;; amdgpu-corpus repo=ROCm/rocSOLVER kind=compiled arch=gfx90a opt=O3
	.text
	.amdgcn_target "amdgcn-amd-amdhsa--gfx90a"
	.amdhsa_code_object_version 6
	.section	.text._ZN9rocsolver6v33100L18getri_kernel_smallILi1E19rocblas_complex_numIfEPS3_EEvT1_iilPiilS6_bb,"axG",@progbits,_ZN9rocsolver6v33100L18getri_kernel_smallILi1E19rocblas_complex_numIfEPS3_EEvT1_iilPiilS6_bb,comdat
	.globl	_ZN9rocsolver6v33100L18getri_kernel_smallILi1E19rocblas_complex_numIfEPS3_EEvT1_iilPiilS6_bb ; -- Begin function _ZN9rocsolver6v33100L18getri_kernel_smallILi1E19rocblas_complex_numIfEPS3_EEvT1_iilPiilS6_bb
	.p2align	8
	.type	_ZN9rocsolver6v33100L18getri_kernel_smallILi1E19rocblas_complex_numIfEPS3_EEvT1_iilPiilS6_bb,@function
_ZN9rocsolver6v33100L18getri_kernel_smallILi1E19rocblas_complex_numIfEPS3_EEvT1_iilPiilS6_bb: ; @_ZN9rocsolver6v33100L18getri_kernel_smallILi1E19rocblas_complex_numIfEPS3_EEvT1_iilPiilS6_bb
; %bb.0:
	v_cmp_eq_u32_e32 vcc, 0, v0
	s_and_saveexec_b64 s[0:1], vcc
	s_cbranch_execz .LBB0_15
; %bb.1:
	s_load_dword s0, s[4:5], 0x8
	s_load_dword s7, s[4:5], 0x38
	s_load_dwordx2 s[2:3], s[4:5], 0x0
	s_load_dwordx2 s[10:11], s[4:5], 0x10
	;; [unrolled: 1-line block ×3, first 2 shown]
	s_waitcnt lgkmcnt(0)
	s_ashr_i32 s1, s0, 31
	s_bitcmp1_b32 s7, 0
	s_cselect_b64 s[12:13], -1, 0
	s_ashr_i32 s7, s6, 31
	s_mul_i32 s4, s6, s11
	s_mul_hi_u32 s5, s6, s10
	s_add_i32 s4, s5, s4
	s_mul_i32 s5, s7, s10
	s_add_i32 s5, s4, s5
	s_mul_i32 s4, s6, s10
	s_lshl_b64 s[4:5], s[4:5], 3
	s_add_u32 s2, s2, s4
	s_addc_u32 s3, s3, s5
	s_lshl_b64 s[0:1], s[0:1], 3
	s_add_u32 s2, s2, s0
	s_addc_u32 s3, s3, s1
	s_load_dwordx2 s[4:5], s[2:3], 0x0
	s_and_b64 vcc, exec, s[12:13]
	s_cbranch_vccnz .LBB0_12
; %bb.2:
	s_lshl_b64 s[0:1], s[6:7], 2
	s_add_u32 s0, s8, s0
	s_addc_u32 s1, s9, s1
	s_load_dword s10, s[0:1], 0x0
	s_mov_b64 s[0:1], 0
	s_waitcnt lgkmcnt(0)
	s_cmp_eq_u32 s10, 0
	s_mov_b64 s[10:11], 0
	s_cbranch_scc0 .LBB0_4
; %bb.3:
	s_mov_b64 s[10:11], -1
.LBB0_4:
	s_and_b64 vcc, exec, s[0:1]
	s_cbranch_vccz .LBB0_13
.LBB0_5:
	s_waitcnt lgkmcnt(0)
	v_cmp_eq_f32_e64 s[0:1], s4, 0
	v_cmp_eq_f32_e64 s[12:13], s5, 0
	s_and_b64 s[0:1], s[0:1], s[12:13]
	v_mov_b32_e32 v0, 0
	s_andn2_b64 vcc, exec, s[0:1]
	ds_write_b32 v0, v0
	s_waitcnt lgkmcnt(0)
	; wave barrier
	s_waitcnt lgkmcnt(0)
	s_cbranch_vccnz .LBB0_10
; %bb.6:
	ds_read_b32 v1, v0
	s_waitcnt lgkmcnt(0)
	v_readfirstlane_b32 s12, v1
	s_cmp_lg_u32 s12, 0
	s_cselect_b64 s[0:1], -1, 0
	s_cmp_lt_i32 s12, 2
	s_cselect_b64 s[12:13], -1, 0
	s_and_b64 s[0:1], s[0:1], s[12:13]
	s_and_b64 vcc, exec, s[0:1]
	s_cbranch_vccnz .LBB0_10
; %bb.7:
	s_mov_b64 s[12:13], 0
	v_mov_b32_e32 v2, 1
	v_mov_b32_e32 v3, 0
.LBB0_8:                                ; =>This Inner Loop Header: Depth=1
	ds_cmpst_rtn_b32 v1, v3, v1, v2
	s_waitcnt lgkmcnt(0)
	v_cmp_ne_u32_e32 vcc, 0, v1
	v_cmp_gt_i32_e64 s[0:1], 2, v1
	s_and_b64 s[0:1], vcc, s[0:1]
	s_and_b64 s[0:1], exec, s[0:1]
	s_or_b64 s[12:13], s[0:1], s[12:13]
	s_andn2_b64 exec, exec, s[12:13]
	s_cbranch_execnz .LBB0_8
; %bb.9:
	s_or_b64 exec, exec, s[12:13]
.LBB0_10:
	s_waitcnt lgkmcnt(0)
	; wave barrier
	ds_read_b32 v1, v0
	s_lshl_b64 s[0:1], s[6:7], 2
	s_add_u32 s0, s8, s0
	s_addc_u32 s1, s9, s1
	s_waitcnt lgkmcnt(0)
	v_cmp_ne_u32_e32 vcc, 0, v1
	global_store_dword v0, v1, s[0:1]
	s_cbranch_vccz .LBB0_16
; %bb.11:
                                        ; implicit-def: $vgpr0_vgpr1
	s_and_b64 vcc, exec, s[10:11]
	s_cbranch_vccnz .LBB0_14
	s_branch .LBB0_15
.LBB0_12:
	s_mov_b64 s[10:11], 0
	s_cbranch_execnz .LBB0_5
.LBB0_13:
	s_waitcnt lgkmcnt(0)
	v_pk_mov_b32 v[0:1], s[4:5], s[4:5] op_sel:[0,1]
	s_and_b64 vcc, exec, s[10:11]
	s_cbranch_vccz .LBB0_15
.LBB0_14:
	v_mov_b32_e32 v2, 0
	global_store_dwordx2 v2, v[0:1], s[2:3]
.LBB0_15:
	s_endpgm
.LBB0_16:
	v_mov_b32_e32 v0, s5
	v_cmp_lt_f32_e64 s[0:1], s5, 0
	v_cndmask_b32_e64 v0, v0, -v0, s[0:1]
	v_mov_b32_e32 v1, s4
	v_cmp_lt_f32_e64 s[0:1], s4, 0
	v_cndmask_b32_e64 v1, v1, -v1, s[0:1]
	v_cmp_ngt_f32_e32 vcc, v1, v0
	s_cbranch_vccz .LBB0_18
; %bb.17:
	v_mov_b32_e32 v0, s4
	v_div_scale_f32 v1, s[0:1], s5, s5, v0
	v_rcp_f32_e32 v2, v1
	v_mov_b32_e32 v3, s5
	v_fma_f32 v4, -v1, v2, 1.0
	v_fmac_f32_e32 v2, v4, v2
	v_div_scale_f32 v4, vcc, s4, v3, s4
	v_mul_f32_e32 v5, v4, v2
	v_fma_f32 v6, -v1, v5, v4
	v_fmac_f32_e32 v5, v6, v2
	v_fma_f32 v1, -v1, v5, v4
	v_div_fmas_f32 v1, v1, v2, v5
	v_div_fixup_f32 v0, v1, s5, v0
	v_fma_f32 v1, s4, v0, v3
	v_div_scale_f32 v2, s[0:1], v1, v1, 1.0
	v_rcp_f32_e32 v3, v2
	v_fma_f32 v4, -v2, v3, 1.0
	v_fmac_f32_e32 v3, v4, v3
	v_div_scale_f32 v4, vcc, 1.0, v1, 1.0
	v_mul_f32_e32 v5, v4, v3
	v_fma_f32 v6, -v2, v5, v4
	v_fmac_f32_e32 v5, v6, v3
	v_fma_f32 v2, -v2, v5, v4
	v_div_fmas_f32 v2, v2, v3, v5
	v_div_fixup_f32 v1, v2, v1, 1.0
	v_mul_f32_e32 v0, v0, v1
	v_xor_b32_e32 v1, 0x80000000, v1
	s_cbranch_execz .LBB0_19
	s_branch .LBB0_20
.LBB0_18:
                                        ; implicit-def: $vgpr0_vgpr1
.LBB0_19:
	v_mov_b32_e32 v0, s5
	v_div_scale_f32 v1, s[0:1], s4, s4, v0
	v_rcp_f32_e32 v2, v1
	v_mov_b32_e32 v3, s4
	v_fma_f32 v4, -v1, v2, 1.0
	v_fmac_f32_e32 v2, v4, v2
	v_div_scale_f32 v4, vcc, s5, v3, s5
	v_mul_f32_e32 v5, v4, v2
	v_fma_f32 v6, -v1, v5, v4
	v_fmac_f32_e32 v5, v6, v2
	v_fma_f32 v1, -v1, v5, v4
	v_div_fmas_f32 v1, v1, v2, v5
	v_div_fixup_f32 v1, v1, s4, v0
	v_fma_f32 v0, s5, v1, v3
	v_div_scale_f32 v2, s[0:1], v0, v0, 1.0
	v_rcp_f32_e32 v3, v2
	v_fma_f32 v4, -v2, v3, 1.0
	v_fmac_f32_e32 v3, v4, v3
	v_div_scale_f32 v4, vcc, 1.0, v0, 1.0
	v_mul_f32_e32 v5, v4, v3
	v_fma_f32 v6, -v2, v5, v4
	v_fmac_f32_e32 v5, v6, v3
	v_fma_f32 v2, -v2, v5, v4
	v_div_fmas_f32 v2, v2, v3, v5
	v_div_fixup_f32 v0, v2, v0, 1.0
	v_mul_f32_e64 v1, v1, -v0
.LBB0_20:
	s_cbranch_execnz .LBB0_14
	s_branch .LBB0_15
	.section	.rodata,"a",@progbits
	.p2align	6, 0x0
	.amdhsa_kernel _ZN9rocsolver6v33100L18getri_kernel_smallILi1E19rocblas_complex_numIfEPS3_EEvT1_iilPiilS6_bb
		.amdhsa_group_segment_fixed_size 4
		.amdhsa_private_segment_fixed_size 0
		.amdhsa_kernarg_size 60
		.amdhsa_user_sgpr_count 6
		.amdhsa_user_sgpr_private_segment_buffer 1
		.amdhsa_user_sgpr_dispatch_ptr 0
		.amdhsa_user_sgpr_queue_ptr 0
		.amdhsa_user_sgpr_kernarg_segment_ptr 1
		.amdhsa_user_sgpr_dispatch_id 0
		.amdhsa_user_sgpr_flat_scratch_init 0
		.amdhsa_user_sgpr_kernarg_preload_length 0
		.amdhsa_user_sgpr_kernarg_preload_offset 0
		.amdhsa_user_sgpr_private_segment_size 0
		.amdhsa_uses_dynamic_stack 0
		.amdhsa_system_sgpr_private_segment_wavefront_offset 0
		.amdhsa_system_sgpr_workgroup_id_x 1
		.amdhsa_system_sgpr_workgroup_id_y 0
		.amdhsa_system_sgpr_workgroup_id_z 0
		.amdhsa_system_sgpr_workgroup_info 0
		.amdhsa_system_vgpr_workitem_id 0
		.amdhsa_next_free_vgpr 7
		.amdhsa_next_free_sgpr 14
		.amdhsa_accum_offset 8
		.amdhsa_reserve_vcc 1
		.amdhsa_reserve_flat_scratch 0
		.amdhsa_float_round_mode_32 0
		.amdhsa_float_round_mode_16_64 0
		.amdhsa_float_denorm_mode_32 3
		.amdhsa_float_denorm_mode_16_64 3
		.amdhsa_dx10_clamp 1
		.amdhsa_ieee_mode 1
		.amdhsa_fp16_overflow 0
		.amdhsa_tg_split 0
		.amdhsa_exception_fp_ieee_invalid_op 0
		.amdhsa_exception_fp_denorm_src 0
		.amdhsa_exception_fp_ieee_div_zero 0
		.amdhsa_exception_fp_ieee_overflow 0
		.amdhsa_exception_fp_ieee_underflow 0
		.amdhsa_exception_fp_ieee_inexact 0
		.amdhsa_exception_int_div_zero 0
	.end_amdhsa_kernel
	.section	.text._ZN9rocsolver6v33100L18getri_kernel_smallILi1E19rocblas_complex_numIfEPS3_EEvT1_iilPiilS6_bb,"axG",@progbits,_ZN9rocsolver6v33100L18getri_kernel_smallILi1E19rocblas_complex_numIfEPS3_EEvT1_iilPiilS6_bb,comdat
.Lfunc_end0:
	.size	_ZN9rocsolver6v33100L18getri_kernel_smallILi1E19rocblas_complex_numIfEPS3_EEvT1_iilPiilS6_bb, .Lfunc_end0-_ZN9rocsolver6v33100L18getri_kernel_smallILi1E19rocblas_complex_numIfEPS3_EEvT1_iilPiilS6_bb
                                        ; -- End function
	.section	.AMDGPU.csdata,"",@progbits
; Kernel info:
; codeLenInByte = 848
; NumSgprs: 18
; NumVgprs: 7
; NumAgprs: 0
; TotalNumVgprs: 7
; ScratchSize: 0
; MemoryBound: 0
; FloatMode: 240
; IeeeMode: 1
; LDSByteSize: 4 bytes/workgroup (compile time only)
; SGPRBlocks: 2
; VGPRBlocks: 0
; NumSGPRsForWavesPerEU: 18
; NumVGPRsForWavesPerEU: 7
; AccumOffset: 8
; Occupancy: 8
; WaveLimiterHint : 0
; COMPUTE_PGM_RSRC2:SCRATCH_EN: 0
; COMPUTE_PGM_RSRC2:USER_SGPR: 6
; COMPUTE_PGM_RSRC2:TRAP_HANDLER: 0
; COMPUTE_PGM_RSRC2:TGID_X_EN: 1
; COMPUTE_PGM_RSRC2:TGID_Y_EN: 0
; COMPUTE_PGM_RSRC2:TGID_Z_EN: 0
; COMPUTE_PGM_RSRC2:TIDIG_COMP_CNT: 0
; COMPUTE_PGM_RSRC3_GFX90A:ACCUM_OFFSET: 1
; COMPUTE_PGM_RSRC3_GFX90A:TG_SPLIT: 0
	.section	.text._ZN9rocsolver6v33100L18getri_kernel_smallILi2E19rocblas_complex_numIfEPS3_EEvT1_iilPiilS6_bb,"axG",@progbits,_ZN9rocsolver6v33100L18getri_kernel_smallILi2E19rocblas_complex_numIfEPS3_EEvT1_iilPiilS6_bb,comdat
	.globl	_ZN9rocsolver6v33100L18getri_kernel_smallILi2E19rocblas_complex_numIfEPS3_EEvT1_iilPiilS6_bb ; -- Begin function _ZN9rocsolver6v33100L18getri_kernel_smallILi2E19rocblas_complex_numIfEPS3_EEvT1_iilPiilS6_bb
	.p2align	8
	.type	_ZN9rocsolver6v33100L18getri_kernel_smallILi2E19rocblas_complex_numIfEPS3_EEvT1_iilPiilS6_bb,@function
_ZN9rocsolver6v33100L18getri_kernel_smallILi2E19rocblas_complex_numIfEPS3_EEvT1_iilPiilS6_bb: ; @_ZN9rocsolver6v33100L18getri_kernel_smallILi2E19rocblas_complex_numIfEPS3_EEvT1_iilPiilS6_bb
; %bb.0:
	s_add_u32 flat_scratch_lo, s6, s9
	s_addc_u32 flat_scratch_hi, s7, 0
	s_add_u32 s0, s0, s9
	s_addc_u32 s1, s1, 0
	v_cmp_gt_u32_e32 vcc, 2, v0
	s_and_saveexec_b64 s[6:7], vcc
	s_cbranch_execz .LBB1_22
; %bb.1:
	s_load_dword s6, s[4:5], 0x38
	s_load_dwordx4 s[16:19], s[4:5], 0x10
	s_load_dwordx4 s[12:15], s[4:5], 0x28
                                        ; implicit-def: $sgpr20_sgpr21
	s_waitcnt lgkmcnt(0)
	s_bitcmp1_b32 s6, 8
	s_cselect_b64 s[10:11], -1, 0
	s_ashr_i32 s9, s8, 31
	s_bfe_u32 s7, s6, 0x10008
	s_cmp_eq_u32 s7, 0
	s_cbranch_scc1 .LBB1_3
; %bb.2:
	s_load_dword s20, s[4:5], 0x20
	s_mul_i32 s7, s8, s13
	s_mul_hi_u32 s13, s8, s12
	s_mul_i32 s22, s9, s12
	s_add_i32 s7, s13, s7
	s_add_i32 s13, s7, s22
	s_mul_i32 s12, s8, s12
	s_waitcnt lgkmcnt(0)
	s_ashr_i32 s21, s20, 31
	s_lshl_b64 s[12:13], s[12:13], 2
	s_add_u32 s7, s18, s12
	s_addc_u32 s18, s19, s13
	s_lshl_b64 s[12:13], s[20:21], 2
	s_add_u32 s20, s7, s12
	s_addc_u32 s21, s18, s13
.LBB1_3:
	s_load_dwordx4 s[24:27], s[4:5], 0x0
	s_mul_i32 s4, s8, s17
	s_mul_hi_u32 s5, s8, s16
	s_add_i32 s7, s5, s4
	s_mul_i32 s12, s9, s16
	s_add_i32 s13, s7, s12
	s_mul_i32 s12, s8, s16
	s_waitcnt lgkmcnt(0)
	s_ashr_i32 s5, s26, 31
	s_lshl_b64 s[12:13], s[12:13], 3
	s_mov_b32 s4, s26
	s_add_u32 s7, s24, s12
	s_addc_u32 s12, s25, s13
	s_lshl_b64 s[4:5], s[4:5], 3
	s_add_u32 s4, s7, s4
	s_addc_u32 s5, s12, s5
	v_lshlrev_b32_e32 v10, 3, v0
	v_mov_b32_e32 v1, s5
	v_add_co_u32_e32 v2, vcc, s4, v10
	global_load_dwordx2 v[6:7], v10, s[4:5]
	s_ashr_i32 s5, s27, 31
	s_mov_b32 s4, s27
	v_addc_co_u32_e32 v3, vcc, 0, v1, vcc
	s_lshl_b64 s[4:5], s[4:5], 3
	v_mov_b32_e32 v1, s5
	v_add_co_u32_e32 v4, vcc, s4, v2
	v_addc_co_u32_e32 v5, vcc, v3, v1, vcc
	global_load_dwordx2 v[8:9], v[4:5], off
	s_bitcmp0_b32 s6, 0
	s_mov_b64 s[6:7], -1
	s_waitcnt vmcnt(1)
	buffer_store_dword v7, off, s[0:3], 0 offset:4
	buffer_store_dword v6, off, s[0:3], 0
	s_waitcnt vmcnt(2)
	buffer_store_dword v9, off, s[0:3], 0 offset:12
	buffer_store_dword v8, off, s[0:3], 0 offset:8
	s_cbranch_scc1 .LBB1_20
; %bb.4:
	v_cmp_eq_u32_e64 s[4:5], 0, v0
	s_and_saveexec_b64 s[6:7], s[4:5]
	s_cbranch_execz .LBB1_6
; %bb.5:
	v_mov_b32_e32 v1, 0
	ds_write_b32 v1, v1 offset:32
.LBB1_6:
	s_or_b64 exec, exec, s[6:7]
	v_mov_b32_e32 v1, 0
	v_lshl_add_u32 v7, v0, 3, v1
	s_waitcnt lgkmcnt(0)
	; wave barrier
	s_waitcnt lgkmcnt(0)
	buffer_load_dword v1, v7, s[0:3], 0 offen
	buffer_load_dword v6, v7, s[0:3], 0 offen offset:4
	s_waitcnt vmcnt(1)
	v_cmp_eq_f32_e32 vcc, 0, v1
	s_waitcnt vmcnt(0)
	v_cmp_eq_f32_e64 s[6:7], 0, v6
	s_and_b64 s[6:7], vcc, s[6:7]
	s_and_saveexec_b64 s[12:13], s[6:7]
	s_cbranch_execz .LBB1_10
; %bb.7:
	v_mov_b32_e32 v1, 0
	ds_read_b32 v8, v1 offset:32
	v_add_u32_e32 v6, 1, v0
	s_waitcnt lgkmcnt(0)
	v_readfirstlane_b32 s6, v8
	s_cmp_eq_u32 s6, 0
	s_cselect_b64 s[16:17], -1, 0
	v_cmp_gt_i32_e32 vcc, s6, v6
	s_or_b64 s[16:17], s[16:17], vcc
	s_and_b64 exec, exec, s[16:17]
	s_cbranch_execz .LBB1_10
; %bb.8:
	s_mov_b64 s[16:17], 0
	v_mov_b32_e32 v8, s6
.LBB1_9:                                ; =>This Inner Loop Header: Depth=1
	ds_cmpst_rtn_b32 v8, v1, v8, v6 offset:32
	s_waitcnt lgkmcnt(0)
	v_cmp_ne_u32_e32 vcc, 0, v8
	v_cmp_le_i32_e64 s[6:7], v8, v6
	s_and_b64 s[6:7], vcc, s[6:7]
	s_and_b64 s[6:7], exec, s[6:7]
	s_or_b64 s[16:17], s[6:7], s[16:17]
	s_andn2_b64 exec, exec, s[16:17]
	s_cbranch_execnz .LBB1_9
.LBB1_10:
	s_or_b64 exec, exec, s[12:13]
	v_mov_b32_e32 v6, 0
	s_waitcnt lgkmcnt(0)
	; wave barrier
	ds_read_b32 v1, v6 offset:32
	s_and_saveexec_b64 s[6:7], s[4:5]
	s_cbranch_execz .LBB1_12
; %bb.11:
	s_lshl_b64 s[12:13], s[8:9], 2
	s_add_u32 s12, s14, s12
	s_addc_u32 s13, s15, s13
	s_waitcnt lgkmcnt(0)
	global_store_dword v6, v1, s[12:13]
.LBB1_12:
	s_or_b64 exec, exec, s[6:7]
	s_waitcnt lgkmcnt(0)
	v_cmp_ne_u32_e32 vcc, 0, v1
	s_mov_b64 s[6:7], 0
	s_cbranch_vccnz .LBB1_20
; %bb.13:
	buffer_load_dword v12, v7, s[0:3], 0 offen offset:4
	buffer_load_dword v11, v7, s[0:3], 0 offen
	s_waitcnt vmcnt(1)
	v_cmp_gt_f32_e32 vcc, 0, v12
	v_cndmask_b32_e64 v1, v12, -v12, vcc
	s_waitcnt vmcnt(0)
	v_cmp_gt_f32_e32 vcc, 0, v11
	v_cndmask_b32_e64 v6, v11, -v11, vcc
	v_cmp_ngt_f32_e32 vcc, v6, v1
                                        ; implicit-def: $vgpr1
                                        ; implicit-def: $vgpr6
	s_and_saveexec_b64 s[6:7], vcc
	s_xor_b64 s[6:7], exec, s[6:7]
                                        ; implicit-def: $vgpr8_vgpr9
	s_cbranch_execz .LBB1_15
; %bb.14:
	v_div_scale_f32 v1, s[12:13], v12, v12, v11
	v_rcp_f32_e32 v6, v1
	v_div_scale_f32 v8, vcc, v11, v12, v11
	v_fma_f32 v9, -v1, v6, 1.0
	v_fmac_f32_e32 v6, v9, v6
	v_mul_f32_e32 v9, v8, v6
	v_fma_f32 v13, -v1, v9, v8
	v_fmac_f32_e32 v9, v13, v6
	v_fma_f32 v1, -v1, v9, v8
	v_div_fmas_f32 v1, v1, v6, v9
	v_div_fixup_f32 v6, v1, v12, v11
	v_fmac_f32_e32 v12, v11, v6
	v_div_scale_f32 v1, s[12:13], v12, v12, -1.0
	v_rcp_f32_e32 v8, v1
	v_fma_f32 v9, -v1, v8, 1.0
	v_fmac_f32_e32 v8, v9, v8
	v_div_scale_f32 v9, vcc, -1.0, v12, -1.0
	v_mul_f32_e32 v11, v9, v8
	v_fma_f32 v13, -v1, v11, v9
	v_fmac_f32_e32 v11, v13, v8
	v_fma_f32 v1, -v1, v11, v9
	v_div_fmas_f32 v1, v1, v8, v11
	v_div_fixup_f32 v1, v1, v12, -1.0
	v_mul_f32_e32 v6, v6, v1
	v_xor_b32_e32 v8, 0x80000000, v6
                                        ; implicit-def: $vgpr11
                                        ; implicit-def: $vgpr12
.LBB1_15:
	s_andn2_saveexec_b64 s[6:7], s[6:7]
	s_cbranch_execz .LBB1_17
; %bb.16:
	v_div_scale_f32 v1, s[12:13], v11, v11, v12
	v_rcp_f32_e32 v6, v1
	v_div_scale_f32 v8, vcc, v12, v11, v12
	v_fma_f32 v9, -v1, v6, 1.0
	v_fmac_f32_e32 v6, v9, v6
	v_mul_f32_e32 v9, v8, v6
	v_fma_f32 v13, -v1, v9, v8
	v_fmac_f32_e32 v9, v13, v6
	v_fma_f32 v1, -v1, v9, v8
	v_div_fmas_f32 v1, v1, v6, v9
	v_div_fixup_f32 v1, v1, v11, v12
	v_fmac_f32_e32 v11, v12, v1
	v_div_scale_f32 v6, s[12:13], v11, v11, 1.0
	v_rcp_f32_e32 v8, v6
	v_fma_f32 v9, -v6, v8, 1.0
	v_fmac_f32_e32 v8, v9, v8
	v_div_scale_f32 v9, vcc, 1.0, v11, 1.0
	v_mul_f32_e32 v12, v9, v8
	v_fma_f32 v13, -v6, v12, v9
	v_fmac_f32_e32 v12, v13, v8
	v_fma_f32 v6, -v6, v12, v9
	v_div_fmas_f32 v6, v6, v8, v12
	v_div_fixup_f32 v8, v6, v11, 1.0
	v_xor_b32_e32 v6, 0x80000000, v8
	v_mul_f32_e64 v1, v1, -v8
.LBB1_17:
	s_or_b64 exec, exec, s[6:7]
	buffer_store_dword v1, v7, s[0:3], 0 offen offset:4
	buffer_store_dword v8, v7, s[0:3], 0 offen
	buffer_load_dword v9, off, s[0:3], 0 offset:12
	s_nop 0
	buffer_load_dword v8, off, s[0:3], 0 offset:8
	v_xor_b32_e32 v7, 0x80000000, v1
	s_waitcnt vmcnt(0)
	ds_write2_b64 v10, v[6:7], v[8:9] offset1:2
	s_waitcnt lgkmcnt(0)
	; wave barrier
	s_waitcnt lgkmcnt(0)
	s_and_saveexec_b64 s[6:7], s[4:5]
	s_cbranch_execz .LBB1_19
; %bb.18:
	buffer_load_dword v1, off, s[0:3], 0 offset:4
	buffer_load_dword v10, off, s[0:3], 0
	v_mov_b32_e32 v6, 0
	ds_read2_b64 v[6:9], v6 offset0:1 offset1:2
	s_waitcnt vmcnt(1) lgkmcnt(0)
	v_mul_f32_e32 v11, v9, v1
	v_mul_f32_e32 v1, v8, v1
	s_waitcnt vmcnt(0)
	v_fmac_f32_e32 v1, v9, v10
	v_fma_f32 v8, v8, v10, -v11
	v_add_f32_e32 v1, 0, v1
	v_add_f32_e32 v8, 0, v8
	v_mul_f32_e32 v9, v1, v7
	v_mul_f32_e32 v7, v8, v7
	v_fma_f32 v8, v8, v6, -v9
	v_fmac_f32_e32 v7, v1, v6
	buffer_store_dword v8, off, s[0:3], 0 offset:8
	buffer_store_dword v7, off, s[0:3], 0 offset:12
.LBB1_19:
	s_or_b64 exec, exec, s[6:7]
	s_mov_b64 s[6:7], -1
	s_waitcnt lgkmcnt(0)
	; wave barrier
.LBB1_20:
	s_and_b64 vcc, exec, s[6:7]
	s_cbranch_vccz .LBB1_22
; %bb.21:
	s_lshl_b64 s[4:5], s[8:9], 2
	s_add_u32 s4, s14, s4
	s_addc_u32 s5, s15, s5
	v_mov_b32_e32 v1, 0
	global_load_dword v1, v1, s[4:5]
	s_waitcnt vmcnt(0)
	v_cmp_ne_u32_e32 vcc, 0, v1
	s_cbranch_vccz .LBB1_23
.LBB1_22:
	s_endpgm
.LBB1_23:
	v_cmp_eq_u32_e32 vcc, 1, v0
	s_and_saveexec_b64 s[4:5], vcc
	s_cbranch_execz .LBB1_25
; %bb.24:
	buffer_load_dword v0, off, s[0:3], 0
	buffer_load_dword v1, off, s[0:3], 0 offset:4
	v_mov_b32_e32 v6, 0
	buffer_store_dword v6, off, s[0:3], 0
	buffer_store_dword v6, off, s[0:3], 0 offset:4
	s_waitcnt vmcnt(2)
	ds_write_b64 v6, v[0:1] offset:24
.LBB1_25:
	s_or_b64 exec, exec, s[4:5]
	s_waitcnt lgkmcnt(0)
	; wave barrier
	s_waitcnt lgkmcnt(0)
	buffer_load_dword v1, off, s[0:3], 0 offset:12
	buffer_load_dword v0, off, s[0:3], 0 offset:8
	buffer_load_dword v6, off, s[0:3], 0
	buffer_load_dword v7, off, s[0:3], 0 offset:4
	v_mov_b32_e32 v8, 0
	ds_read_b64 v[8:9], v8 offset:24
	s_andn2_b64 vcc, exec, s[10:11]
	s_waitcnt vmcnt(3)
	v_mov_b32_e32 v10, v1
	s_waitcnt lgkmcnt(0)
	v_pk_mul_f32 v[10:11], v[8:9], v[10:11] op_sel_hi:[1,0]
	s_waitcnt vmcnt(2)
	v_pk_fma_f32 v[12:13], v[8:9], v[0:1], v[10:11] op_sel:[0,0,1] op_sel_hi:[1,1,0] neg_lo:[0,0,1] neg_hi:[0,0,1]
	v_pk_fma_f32 v[8:9], v[8:9], v[0:1], v[10:11] op_sel:[0,0,1] op_sel_hi:[1,0,0]
	v_mov_b32_e32 v13, v9
	v_pk_add_f32 v[8:9], v[12:13], 0 op_sel_hi:[1,0]
	s_waitcnt vmcnt(0)
	v_pk_add_f32 v[6:7], v[6:7], v[8:9] neg_lo:[0,1] neg_hi:[0,1]
	buffer_store_dword v6, off, s[0:3], 0
	buffer_store_dword v7, off, s[0:3], 0 offset:4
	s_cbranch_vccnz .LBB1_29
; %bb.26:
	v_pk_mov_b32 v[8:9], s[20:21], s[20:21] op_sel:[0,1]
	flat_load_dword v8, v[8:9]
	s_waitcnt vmcnt(0) lgkmcnt(0)
	v_add_u32_e32 v8, -1, v8
	v_cmp_ne_u32_e32 vcc, 0, v8
	s_and_saveexec_b64 s[4:5], vcc
	s_cbranch_execz .LBB1_28
; %bb.27:
	v_mov_b32_e32 v0, 0
	v_lshl_add_u32 v0, v8, 3, v0
	buffer_load_dword v1, v0, s[0:3], 0 offen offset:4
	buffer_load_dword v8, v0, s[0:3], 0 offen
	s_waitcnt vmcnt(1)
	buffer_store_dword v1, off, s[0:3], 0 offset:4
	s_waitcnt vmcnt(1)
	buffer_store_dword v8, off, s[0:3], 0
	buffer_store_dword v7, v0, s[0:3], 0 offen offset:4
	buffer_store_dword v6, v0, s[0:3], 0 offen
	buffer_load_dword v6, off, s[0:3], 0
	s_nop 0
	buffer_load_dword v1, off, s[0:3], 0 offset:12
	buffer_load_dword v0, off, s[0:3], 0 offset:8
	;; [unrolled: 1-line block ×3, first 2 shown]
.LBB1_28:
	s_or_b64 exec, exec, s[4:5]
.LBB1_29:
	s_waitcnt vmcnt(0)
	global_store_dwordx2 v[2:3], v[6:7], off
	global_store_dwordx2 v[4:5], v[0:1], off
	s_endpgm
	.section	.rodata,"a",@progbits
	.p2align	6, 0x0
	.amdhsa_kernel _ZN9rocsolver6v33100L18getri_kernel_smallILi2E19rocblas_complex_numIfEPS3_EEvT1_iilPiilS6_bb
		.amdhsa_group_segment_fixed_size 36
		.amdhsa_private_segment_fixed_size 32
		.amdhsa_kernarg_size 60
		.amdhsa_user_sgpr_count 8
		.amdhsa_user_sgpr_private_segment_buffer 1
		.amdhsa_user_sgpr_dispatch_ptr 0
		.amdhsa_user_sgpr_queue_ptr 0
		.amdhsa_user_sgpr_kernarg_segment_ptr 1
		.amdhsa_user_sgpr_dispatch_id 0
		.amdhsa_user_sgpr_flat_scratch_init 1
		.amdhsa_user_sgpr_kernarg_preload_length 0
		.amdhsa_user_sgpr_kernarg_preload_offset 0
		.amdhsa_user_sgpr_private_segment_size 0
		.amdhsa_uses_dynamic_stack 0
		.amdhsa_system_sgpr_private_segment_wavefront_offset 1
		.amdhsa_system_sgpr_workgroup_id_x 1
		.amdhsa_system_sgpr_workgroup_id_y 0
		.amdhsa_system_sgpr_workgroup_id_z 0
		.amdhsa_system_sgpr_workgroup_info 0
		.amdhsa_system_vgpr_workitem_id 0
		.amdhsa_next_free_vgpr 14
		.amdhsa_next_free_sgpr 28
		.amdhsa_accum_offset 16
		.amdhsa_reserve_vcc 1
		.amdhsa_reserve_flat_scratch 1
		.amdhsa_float_round_mode_32 0
		.amdhsa_float_round_mode_16_64 0
		.amdhsa_float_denorm_mode_32 3
		.amdhsa_float_denorm_mode_16_64 3
		.amdhsa_dx10_clamp 1
		.amdhsa_ieee_mode 1
		.amdhsa_fp16_overflow 0
		.amdhsa_tg_split 0
		.amdhsa_exception_fp_ieee_invalid_op 0
		.amdhsa_exception_fp_denorm_src 0
		.amdhsa_exception_fp_ieee_div_zero 0
		.amdhsa_exception_fp_ieee_overflow 0
		.amdhsa_exception_fp_ieee_underflow 0
		.amdhsa_exception_fp_ieee_inexact 0
		.amdhsa_exception_int_div_zero 0
	.end_amdhsa_kernel
	.section	.text._ZN9rocsolver6v33100L18getri_kernel_smallILi2E19rocblas_complex_numIfEPS3_EEvT1_iilPiilS6_bb,"axG",@progbits,_ZN9rocsolver6v33100L18getri_kernel_smallILi2E19rocblas_complex_numIfEPS3_EEvT1_iilPiilS6_bb,comdat
.Lfunc_end1:
	.size	_ZN9rocsolver6v33100L18getri_kernel_smallILi2E19rocblas_complex_numIfEPS3_EEvT1_iilPiilS6_bb, .Lfunc_end1-_ZN9rocsolver6v33100L18getri_kernel_smallILi2E19rocblas_complex_numIfEPS3_EEvT1_iilPiilS6_bb
                                        ; -- End function
	.section	.AMDGPU.csdata,"",@progbits
; Kernel info:
; codeLenInByte = 1600
; NumSgprs: 34
; NumVgprs: 14
; NumAgprs: 0
; TotalNumVgprs: 14
; ScratchSize: 32
; MemoryBound: 0
; FloatMode: 240
; IeeeMode: 1
; LDSByteSize: 36 bytes/workgroup (compile time only)
; SGPRBlocks: 4
; VGPRBlocks: 1
; NumSGPRsForWavesPerEU: 34
; NumVGPRsForWavesPerEU: 14
; AccumOffset: 16
; Occupancy: 8
; WaveLimiterHint : 0
; COMPUTE_PGM_RSRC2:SCRATCH_EN: 1
; COMPUTE_PGM_RSRC2:USER_SGPR: 8
; COMPUTE_PGM_RSRC2:TRAP_HANDLER: 0
; COMPUTE_PGM_RSRC2:TGID_X_EN: 1
; COMPUTE_PGM_RSRC2:TGID_Y_EN: 0
; COMPUTE_PGM_RSRC2:TGID_Z_EN: 0
; COMPUTE_PGM_RSRC2:TIDIG_COMP_CNT: 0
; COMPUTE_PGM_RSRC3_GFX90A:ACCUM_OFFSET: 3
; COMPUTE_PGM_RSRC3_GFX90A:TG_SPLIT: 0
	.section	.text._ZN9rocsolver6v33100L18getri_kernel_smallILi3E19rocblas_complex_numIfEPS3_EEvT1_iilPiilS6_bb,"axG",@progbits,_ZN9rocsolver6v33100L18getri_kernel_smallILi3E19rocblas_complex_numIfEPS3_EEvT1_iilPiilS6_bb,comdat
	.globl	_ZN9rocsolver6v33100L18getri_kernel_smallILi3E19rocblas_complex_numIfEPS3_EEvT1_iilPiilS6_bb ; -- Begin function _ZN9rocsolver6v33100L18getri_kernel_smallILi3E19rocblas_complex_numIfEPS3_EEvT1_iilPiilS6_bb
	.p2align	8
	.type	_ZN9rocsolver6v33100L18getri_kernel_smallILi3E19rocblas_complex_numIfEPS3_EEvT1_iilPiilS6_bb,@function
_ZN9rocsolver6v33100L18getri_kernel_smallILi3E19rocblas_complex_numIfEPS3_EEvT1_iilPiilS6_bb: ; @_ZN9rocsolver6v33100L18getri_kernel_smallILi3E19rocblas_complex_numIfEPS3_EEvT1_iilPiilS6_bb
; %bb.0:
	s_add_u32 flat_scratch_lo, s6, s9
	s_addc_u32 flat_scratch_hi, s7, 0
	s_add_u32 s0, s0, s9
	s_addc_u32 s1, s1, 0
	v_cmp_gt_u32_e32 vcc, 3, v0
	s_and_saveexec_b64 s[6:7], vcc
	s_cbranch_execz .LBB2_26
; %bb.1:
	s_load_dword s22, s[4:5], 0x38
	s_load_dwordx4 s[16:19], s[4:5], 0x10
	s_load_dwordx4 s[12:15], s[4:5], 0x28
                                        ; implicit-def: $sgpr10_sgpr11
	s_waitcnt lgkmcnt(0)
	s_bitcmp1_b32 s22, 8
	s_cselect_b64 s[20:21], -1, 0
	s_ashr_i32 s9, s8, 31
	s_bfe_u32 s6, s22, 0x10008
	s_cmp_eq_u32 s6, 0
	s_cbranch_scc1 .LBB2_3
; %bb.2:
	s_load_dword s6, s[4:5], 0x20
	s_mul_i32 s7, s8, s13
	s_mul_hi_u32 s10, s8, s12
	s_mul_i32 s11, s9, s12
	s_add_i32 s10, s10, s7
	s_add_i32 s11, s10, s11
	s_mul_i32 s10, s8, s12
	s_waitcnt lgkmcnt(0)
	s_ashr_i32 s7, s6, 31
	s_lshl_b64 s[10:11], s[10:11], 2
	s_add_u32 s10, s18, s10
	s_addc_u32 s11, s19, s11
	s_lshl_b64 s[6:7], s[6:7], 2
	s_add_u32 s10, s10, s6
	s_addc_u32 s11, s11, s7
.LBB2_3:
	s_load_dwordx4 s[4:7], s[4:5], 0x0
	s_mul_i32 s12, s8, s17
	s_mul_hi_u32 s13, s8, s16
	s_add_i32 s17, s13, s12
	v_lshlrev_b32_e32 v12, 3, v0
	s_waitcnt lgkmcnt(0)
	s_ashr_i32 s13, s6, 31
	s_mov_b32 s12, s6
	s_mul_i32 s6, s9, s16
	s_add_i32 s17, s17, s6
	s_mul_i32 s16, s8, s16
	s_lshl_b64 s[16:17], s[16:17], 3
	s_add_u32 s6, s4, s16
	s_addc_u32 s16, s5, s17
	s_lshl_b64 s[4:5], s[12:13], 3
	s_add_u32 s4, s6, s4
	s_addc_u32 s5, s16, s5
	v_mov_b32_e32 v1, s5
	v_add_co_u32_e32 v2, vcc, s4, v12
	s_ashr_i32 s13, s7, 31
	s_mov_b32 s12, s7
	s_add_i32 s6, s7, s7
	v_addc_co_u32_e32 v3, vcc, 0, v1, vcc
	s_lshl_b64 s[12:13], s[12:13], 3
	v_add_u32_e32 v6, s6, v0
	global_load_dwordx2 v[8:9], v12, s[4:5]
	v_mov_b32_e32 v1, s13
	v_add_co_u32_e32 v4, vcc, s12, v2
	v_ashrrev_i32_e32 v7, 31, v6
	v_addc_co_u32_e32 v5, vcc, v3, v1, vcc
	global_load_dwordx2 v[10:11], v[4:5], off
	v_lshlrev_b64 v[6:7], 3, v[6:7]
	v_mov_b32_e32 v1, s5
	v_add_co_u32_e32 v6, vcc, s4, v6
	v_addc_co_u32_e32 v7, vcc, v1, v7, vcc
	global_load_dwordx2 v[14:15], v[6:7], off
	s_bitcmp0_b32 s22, 0
	s_mov_b64 s[6:7], -1
	s_waitcnt vmcnt(2)
	buffer_store_dword v9, off, s[0:3], 0 offset:4
	buffer_store_dword v8, off, s[0:3], 0
	s_waitcnt vmcnt(3)
	buffer_store_dword v11, off, s[0:3], 0 offset:12
	buffer_store_dword v10, off, s[0:3], 0 offset:8
	s_waitcnt vmcnt(4)
	buffer_store_dword v15, off, s[0:3], 0 offset:20
	buffer_store_dword v14, off, s[0:3], 0 offset:16
	s_cbranch_scc1 .LBB2_24
; %bb.4:
	v_cmp_eq_u32_e64 s[4:5], 0, v0
	s_and_saveexec_b64 s[6:7], s[4:5]
	s_cbranch_execz .LBB2_6
; %bb.5:
	v_mov_b32_e32 v1, 0
	ds_write_b32 v1, v1 offset:24
.LBB2_6:
	s_or_b64 exec, exec, s[6:7]
	v_mov_b32_e32 v1, 0
	v_lshl_add_u32 v13, v0, 3, v1
	s_waitcnt lgkmcnt(0)
	; wave barrier
	s_waitcnt lgkmcnt(0)
	buffer_load_dword v1, v13, s[0:3], 0 offen
	buffer_load_dword v8, v13, s[0:3], 0 offen offset:4
	s_waitcnt vmcnt(1)
	v_cmp_eq_f32_e32 vcc, 0, v1
	s_waitcnt vmcnt(0)
	v_cmp_eq_f32_e64 s[6:7], 0, v8
	s_and_b64 s[6:7], vcc, s[6:7]
	s_and_saveexec_b64 s[12:13], s[6:7]
	s_cbranch_execz .LBB2_10
; %bb.7:
	v_mov_b32_e32 v1, 0
	ds_read_b32 v9, v1 offset:24
	v_add_u32_e32 v8, 1, v0
	s_waitcnt lgkmcnt(0)
	v_readfirstlane_b32 s6, v9
	s_cmp_eq_u32 s6, 0
	s_cselect_b64 s[16:17], -1, 0
	v_cmp_gt_i32_e32 vcc, s6, v8
	s_or_b64 s[16:17], s[16:17], vcc
	s_and_b64 exec, exec, s[16:17]
	s_cbranch_execz .LBB2_10
; %bb.8:
	s_mov_b64 s[16:17], 0
	v_mov_b32_e32 v9, s6
.LBB2_9:                                ; =>This Inner Loop Header: Depth=1
	ds_cmpst_rtn_b32 v9, v1, v9, v8 offset:24
	s_waitcnt lgkmcnt(0)
	v_cmp_ne_u32_e32 vcc, 0, v9
	v_cmp_le_i32_e64 s[6:7], v9, v8
	s_and_b64 s[6:7], vcc, s[6:7]
	s_and_b64 s[6:7], exec, s[6:7]
	s_or_b64 s[16:17], s[6:7], s[16:17]
	s_andn2_b64 exec, exec, s[16:17]
	s_cbranch_execnz .LBB2_9
.LBB2_10:
	s_or_b64 exec, exec, s[12:13]
	v_mov_b32_e32 v8, 0
	s_waitcnt lgkmcnt(0)
	; wave barrier
	ds_read_b32 v1, v8 offset:24
	s_and_saveexec_b64 s[6:7], s[4:5]
	s_cbranch_execz .LBB2_12
; %bb.11:
	s_lshl_b64 s[12:13], s[8:9], 2
	s_add_u32 s12, s14, s12
	s_addc_u32 s13, s15, s13
	s_waitcnt lgkmcnt(0)
	global_store_dword v8, v1, s[12:13]
.LBB2_12:
	s_or_b64 exec, exec, s[6:7]
	s_waitcnt lgkmcnt(0)
	v_cmp_ne_u32_e32 vcc, 0, v1
	s_mov_b64 s[6:7], 0
	s_cbranch_vccnz .LBB2_24
; %bb.13:
	buffer_load_dword v14, v13, s[0:3], 0 offen offset:4
	buffer_load_dword v9, v13, s[0:3], 0 offen
	s_waitcnt vmcnt(1)
	v_cmp_gt_f32_e32 vcc, 0, v14
	v_cndmask_b32_e64 v1, v14, -v14, vcc
	s_waitcnt vmcnt(0)
	v_cmp_gt_f32_e32 vcc, 0, v9
	v_cndmask_b32_e64 v8, v9, -v9, vcc
	v_cmp_ngt_f32_e32 vcc, v8, v1
                                        ; implicit-def: $vgpr1
                                        ; implicit-def: $vgpr8
	s_and_saveexec_b64 s[6:7], vcc
	s_xor_b64 s[6:7], exec, s[6:7]
                                        ; implicit-def: $vgpr10_vgpr11
	s_cbranch_execz .LBB2_15
; %bb.14:
	v_div_scale_f32 v1, s[12:13], v14, v14, v9
	v_rcp_f32_e32 v8, v1
	v_div_scale_f32 v10, vcc, v9, v14, v9
	v_fma_f32 v11, -v1, v8, 1.0
	v_fmac_f32_e32 v8, v11, v8
	v_mul_f32_e32 v11, v10, v8
	v_fma_f32 v15, -v1, v11, v10
	v_fmac_f32_e32 v11, v15, v8
	v_fma_f32 v1, -v1, v11, v10
	v_div_fmas_f32 v1, v1, v8, v11
	v_div_fixup_f32 v8, v1, v14, v9
	v_fmac_f32_e32 v14, v9, v8
	v_div_scale_f32 v1, s[12:13], v14, v14, -1.0
	v_rcp_f32_e32 v9, v1
	v_fma_f32 v10, -v1, v9, 1.0
	v_fmac_f32_e32 v9, v10, v9
	v_div_scale_f32 v10, vcc, -1.0, v14, -1.0
	v_mul_f32_e32 v11, v10, v9
	v_fma_f32 v15, -v1, v11, v10
	v_fmac_f32_e32 v11, v15, v9
	v_fma_f32 v1, -v1, v11, v10
	v_div_fmas_f32 v1, v1, v9, v11
	v_div_fixup_f32 v1, v1, v14, -1.0
	v_mul_f32_e32 v8, v8, v1
	v_xor_b32_e32 v10, 0x80000000, v8
                                        ; implicit-def: $vgpr9
                                        ; implicit-def: $vgpr14
.LBB2_15:
	s_andn2_saveexec_b64 s[6:7], s[6:7]
	s_cbranch_execz .LBB2_17
; %bb.16:
	v_div_scale_f32 v1, s[12:13], v9, v9, v14
	v_rcp_f32_e32 v8, v1
	v_div_scale_f32 v10, vcc, v14, v9, v14
	v_fma_f32 v11, -v1, v8, 1.0
	v_fmac_f32_e32 v8, v11, v8
	v_mul_f32_e32 v11, v10, v8
	v_fma_f32 v15, -v1, v11, v10
	v_fmac_f32_e32 v11, v15, v8
	v_fma_f32 v1, -v1, v11, v10
	v_div_fmas_f32 v1, v1, v8, v11
	v_div_fixup_f32 v1, v1, v9, v14
	v_fmac_f32_e32 v9, v14, v1
	v_div_scale_f32 v8, s[12:13], v9, v9, 1.0
	v_rcp_f32_e32 v10, v8
	v_fma_f32 v11, -v8, v10, 1.0
	v_fmac_f32_e32 v10, v11, v10
	v_div_scale_f32 v11, vcc, 1.0, v9, 1.0
	v_mul_f32_e32 v14, v11, v10
	v_fma_f32 v15, -v8, v14, v11
	v_fmac_f32_e32 v14, v15, v10
	v_fma_f32 v8, -v8, v14, v11
	v_div_fmas_f32 v8, v8, v10, v14
	v_div_fixup_f32 v10, v8, v9, 1.0
	v_xor_b32_e32 v8, 0x80000000, v10
	v_mul_f32_e64 v1, v1, -v10
.LBB2_17:
	s_or_b64 exec, exec, s[6:7]
	buffer_store_dword v1, v13, s[0:3], 0 offen offset:4
	buffer_store_dword v10, v13, s[0:3], 0 offen
	buffer_load_dword v11, off, s[0:3], 0 offset:12
	s_nop 0
	buffer_load_dword v10, off, s[0:3], 0 offset:8
	v_xor_b32_e32 v9, 0x80000000, v1
	v_add_u32_e32 v1, 32, v12
	s_waitcnt vmcnt(0)
	ds_write2_b64 v12, v[8:9], v[10:11] offset1:4
	s_waitcnt lgkmcnt(0)
	; wave barrier
	s_waitcnt lgkmcnt(0)
	s_and_saveexec_b64 s[6:7], s[4:5]
	s_cbranch_execz .LBB2_19
; %bb.18:
	buffer_load_dword v12, v13, s[0:3], 0 offen offset:4
	buffer_load_dword v14, v13, s[0:3], 0 offen
	ds_read_b64 v[8:9], v1
	v_mov_b32_e32 v10, 0
	ds_read_b64 v[10:11], v10 offset:8
	s_waitcnt vmcnt(1) lgkmcnt(1)
	v_mul_f32_e32 v15, v9, v12
	v_mul_f32_e32 v12, v8, v12
	s_waitcnt vmcnt(0)
	v_fmac_f32_e32 v12, v9, v14
	v_fma_f32 v8, v8, v14, -v15
	v_add_f32_e32 v9, 0, v12
	v_add_f32_e32 v8, 0, v8
	s_waitcnt lgkmcnt(0)
	v_mul_f32_e32 v12, v9, v11
	v_mul_f32_e32 v11, v8, v11
	v_fma_f32 v8, v8, v10, -v12
	v_fmac_f32_e32 v11, v9, v10
	buffer_store_dword v8, off, s[0:3], 0 offset:8
	buffer_store_dword v11, off, s[0:3], 0 offset:12
.LBB2_19:
	s_or_b64 exec, exec, s[6:7]
	s_waitcnt lgkmcnt(0)
	; wave barrier
	buffer_load_dword v8, off, s[0:3], 0 offset:16
	buffer_load_dword v9, off, s[0:3], 0 offset:20
	v_cmp_ne_u32_e32 vcc, 2, v0
	s_waitcnt vmcnt(0)
	ds_write_b64 v1, v[8:9]
	s_waitcnt lgkmcnt(0)
	; wave barrier
	s_waitcnt lgkmcnt(0)
	s_and_saveexec_b64 s[6:7], vcc
	s_cbranch_execz .LBB2_23
; %bb.20:
	buffer_load_dword v10, v13, s[0:3], 0 offen offset:4
	buffer_load_dword v11, v13, s[0:3], 0 offen
	ds_read_b64 v[8:9], v1
	s_waitcnt vmcnt(1) lgkmcnt(0)
	v_mul_f32_e32 v1, v9, v10
	v_mul_f32_e32 v10, v8, v10
	s_waitcnt vmcnt(0)
	v_fma_f32 v1, v8, v11, -v1
	v_fmac_f32_e32 v10, v9, v11
	v_add_f32_e32 v8, 0, v1
	v_add_f32_e32 v1, 0, v10
	s_and_saveexec_b64 s[12:13], s[4:5]
	s_cbranch_execz .LBB2_22
; %bb.21:
	buffer_load_dword v9, off, s[0:3], 0 offset:12
	buffer_load_dword v12, off, s[0:3], 0 offset:8
	v_mov_b32_e32 v10, 0
	ds_read_b64 v[10:11], v10 offset:40
	s_waitcnt vmcnt(1) lgkmcnt(0)
	v_mul_f32_e32 v13, v10, v9
	v_mul_f32_e32 v9, v11, v9
	s_waitcnt vmcnt(0)
	v_fmac_f32_e32 v13, v11, v12
	v_fma_f32 v9, v10, v12, -v9
	v_add_f32_e32 v1, v1, v13
	v_add_f32_e32 v8, v8, v9
.LBB2_22:
	s_or_b64 exec, exec, s[12:13]
	v_mov_b32_e32 v9, 0
	ds_read_b64 v[10:11], v9 offset:16
	s_waitcnt lgkmcnt(0)
	v_mul_f32_e32 v9, v1, v11
	v_mul_f32_e32 v11, v8, v11
	v_fma_f32 v8, v8, v10, -v9
	v_fmac_f32_e32 v11, v1, v10
	buffer_store_dword v8, off, s[0:3], 0 offset:16
	buffer_store_dword v11, off, s[0:3], 0 offset:20
.LBB2_23:
	s_or_b64 exec, exec, s[6:7]
	s_mov_b64 s[6:7], -1
	s_waitcnt lgkmcnt(0)
	; wave barrier
.LBB2_24:
	s_and_b64 vcc, exec, s[6:7]
	s_cbranch_vccz .LBB2_26
; %bb.25:
	s_lshl_b64 s[4:5], s[8:9], 2
	s_add_u32 s4, s14, s4
	s_addc_u32 s5, s15, s5
	v_mov_b32_e32 v1, 0
	global_load_dword v1, v1, s[4:5]
	s_waitcnt vmcnt(0)
	v_cmp_ne_u32_e32 vcc, 0, v1
	s_cbranch_vccz .LBB2_27
.LBB2_26:
	s_endpgm
.LBB2_27:
	v_lshl_add_u32 v1, v0, 3, 32
	v_cmp_eq_u32_e32 vcc, 2, v0
	s_and_saveexec_b64 s[4:5], vcc
	s_cbranch_execz .LBB2_29
; %bb.28:
	buffer_load_dword v8, off, s[0:3], 0 offset:8
	buffer_load_dword v9, off, s[0:3], 0 offset:12
	v_mov_b32_e32 v10, 0
	buffer_store_dword v10, off, s[0:3], 0 offset:8
	buffer_store_dword v10, off, s[0:3], 0 offset:12
	s_waitcnt vmcnt(2)
	ds_write_b64 v1, v[8:9]
.LBB2_29:
	s_or_b64 exec, exec, s[4:5]
	s_waitcnt lgkmcnt(0)
	; wave barrier
	s_waitcnt lgkmcnt(0)
	buffer_load_dword v11, off, s[0:3], 0 offset:20
	buffer_load_dword v10, off, s[0:3], 0 offset:16
	;; [unrolled: 1-line block ×4, first 2 shown]
	v_mov_b32_e32 v8, 0
	ds_read_b64 v[14:15], v8 offset:48
	v_cmp_ne_u32_e32 vcc, 0, v0
	s_waitcnt vmcnt(3)
	v_mov_b32_e32 v16, v11
	s_waitcnt lgkmcnt(0)
	v_pk_mul_f32 v[16:17], v[14:15], v[16:17] op_sel_hi:[1,0]
	s_waitcnt vmcnt(2)
	v_pk_fma_f32 v[18:19], v[14:15], v[10:11], v[16:17] op_sel:[0,0,1] op_sel_hi:[1,1,0] neg_lo:[0,0,1] neg_hi:[0,0,1]
	v_pk_fma_f32 v[10:11], v[14:15], v[10:11], v[16:17] op_sel:[0,0,1] op_sel_hi:[1,0,0]
	v_mov_b32_e32 v19, v11
	v_pk_add_f32 v[10:11], v[18:19], 0 op_sel_hi:[1,0]
	s_waitcnt vmcnt(0)
	v_pk_add_f32 v[10:11], v[12:13], v[10:11] neg_lo:[0,1] neg_hi:[0,1]
	buffer_store_dword v10, off, s[0:3], 0 offset:8
	buffer_store_dword v11, off, s[0:3], 0 offset:12
	s_and_saveexec_b64 s[4:5], vcc
	s_cbranch_execz .LBB2_31
; %bb.30:
	buffer_load_dword v10, off, s[0:3], 0
	buffer_load_dword v11, off, s[0:3], 0 offset:4
	s_waitcnt vmcnt(0)
	ds_write_b64 v1, v[10:11]
	buffer_store_dword v8, off, s[0:3], 0
	buffer_store_dword v8, off, s[0:3], 0 offset:4
.LBB2_31:
	s_or_b64 exec, exec, s[4:5]
	s_waitcnt lgkmcnt(0)
	; wave barrier
	s_waitcnt lgkmcnt(0)
	buffer_load_dword v1, off, s[0:3], 0 offset:12
	buffer_load_dword v13, off, s[0:3], 0 offset:20
	;; [unrolled: 1-line block ×4, first 2 shown]
	buffer_load_dword v14, off, s[0:3], 0
	buffer_load_dword v15, off, s[0:3], 0 offset:4
	ds_read2_b64 v[8:11], v8 offset0:5 offset1:6
	s_and_b64 vcc, exec, s[20:21]
	s_waitcnt vmcnt(5)
	v_mov_b32_e32 v16, v1
	s_waitcnt vmcnt(4)
	v_mov_b32_e32 v18, v13
	s_waitcnt lgkmcnt(0)
	v_pk_mul_f32 v[16:17], v[8:9], v[16:17] op_sel_hi:[1,0]
	v_pk_mul_f32 v[18:19], v[10:11], v[18:19] op_sel_hi:[1,0]
	s_waitcnt vmcnt(3)
	v_pk_fma_f32 v[20:21], v[8:9], v[0:1], v[16:17] op_sel:[0,0,1] op_sel_hi:[1,1,0] neg_lo:[0,0,1] neg_hi:[0,0,1]
	v_pk_fma_f32 v[8:9], v[8:9], v[0:1], v[16:17] op_sel:[0,0,1] op_sel_hi:[1,0,0]
	s_waitcnt vmcnt(2)
	v_pk_fma_f32 v[16:17], v[10:11], v[12:13], v[18:19] op_sel:[0,0,1] op_sel_hi:[1,1,0] neg_lo:[0,0,1] neg_hi:[0,0,1]
	v_pk_fma_f32 v[10:11], v[10:11], v[12:13], v[18:19] op_sel:[0,0,1] op_sel_hi:[1,0,0]
	v_mov_b32_e32 v21, v9
	v_mov_b32_e32 v17, v11
	v_pk_add_f32 v[8:9], v[20:21], 0 op_sel_hi:[1,0]
	v_pk_add_f32 v[8:9], v[8:9], v[16:17]
	s_waitcnt vmcnt(0)
	v_pk_add_f32 v[8:9], v[14:15], v[8:9] neg_lo:[0,1] neg_hi:[0,1]
	buffer_store_dword v8, off, s[0:3], 0
	buffer_store_dword v9, off, s[0:3], 0 offset:4
	s_cbranch_vccz .LBB2_37
; %bb.32:
	v_pk_mov_b32 v[10:11], s[10:11], s[10:11] op_sel:[0,1]
	flat_load_dword v10, v[10:11] offset:4
	s_waitcnt vmcnt(0) lgkmcnt(0)
	v_add_u32_e32 v10, -1, v10
	v_cmp_ne_u32_e32 vcc, 1, v10
	s_and_saveexec_b64 s[4:5], vcc
	s_cbranch_execz .LBB2_34
; %bb.33:
	v_mov_b32_e32 v8, 0
	v_lshl_add_u32 v8, v10, 3, v8
	buffer_load_dword v9, v8, s[0:3], 0 offen
	buffer_load_dword v10, v8, s[0:3], 0 offen offset:4
	s_waitcnt vmcnt(1)
	buffer_store_dword v9, off, s[0:3], 0 offset:8
	s_waitcnt vmcnt(1)
	buffer_store_dword v10, off, s[0:3], 0 offset:12
	buffer_store_dword v0, v8, s[0:3], 0 offen
	buffer_store_dword v1, v8, s[0:3], 0 offen offset:4
	buffer_load_dword v8, off, s[0:3], 0
	s_nop 0
	buffer_load_dword v9, off, s[0:3], 0 offset:4
.LBB2_34:
	s_or_b64 exec, exec, s[4:5]
	v_pk_mov_b32 v[0:1], s[10:11], s[10:11] op_sel:[0,1]
	flat_load_dword v0, v[0:1]
	s_waitcnt vmcnt(0) lgkmcnt(0)
	v_add_u32_e32 v0, -1, v0
	v_cmp_ne_u32_e32 vcc, 0, v0
	s_and_saveexec_b64 s[4:5], vcc
	s_cbranch_execz .LBB2_36
; %bb.35:
	v_mov_b32_e32 v1, 0
	v_lshl_add_u32 v0, v0, 3, v1
	buffer_load_dword v1, v0, s[0:3], 0 offen offset:4
	buffer_load_dword v10, v0, s[0:3], 0 offen
	s_waitcnt vmcnt(1)
	buffer_store_dword v1, off, s[0:3], 0 offset:4
	s_waitcnt vmcnt(1)
	buffer_store_dword v10, off, s[0:3], 0
	buffer_store_dword v9, v0, s[0:3], 0 offen offset:4
	buffer_store_dword v8, v0, s[0:3], 0 offen
	buffer_load_dword v8, off, s[0:3], 0
	s_nop 0
	buffer_load_dword v9, off, s[0:3], 0 offset:4
.LBB2_36:
	s_or_b64 exec, exec, s[4:5]
.LBB2_37:
	buffer_load_dword v0, off, s[0:3], 0 offset:8
	buffer_load_dword v1, off, s[0:3], 0 offset:12
	;; [unrolled: 1-line block ×4, first 2 shown]
	s_waitcnt vmcnt(4)
	global_store_dwordx2 v[2:3], v[8:9], off
	s_waitcnt vmcnt(3)
	global_store_dwordx2 v[4:5], v[0:1], off
	;; [unrolled: 2-line block ×3, first 2 shown]
	s_endpgm
	.section	.rodata,"a",@progbits
	.p2align	6, 0x0
	.amdhsa_kernel _ZN9rocsolver6v33100L18getri_kernel_smallILi3E19rocblas_complex_numIfEPS3_EEvT1_iilPiilS6_bb
		.amdhsa_group_segment_fixed_size 56
		.amdhsa_private_segment_fixed_size 32
		.amdhsa_kernarg_size 60
		.amdhsa_user_sgpr_count 8
		.amdhsa_user_sgpr_private_segment_buffer 1
		.amdhsa_user_sgpr_dispatch_ptr 0
		.amdhsa_user_sgpr_queue_ptr 0
		.amdhsa_user_sgpr_kernarg_segment_ptr 1
		.amdhsa_user_sgpr_dispatch_id 0
		.amdhsa_user_sgpr_flat_scratch_init 1
		.amdhsa_user_sgpr_kernarg_preload_length 0
		.amdhsa_user_sgpr_kernarg_preload_offset 0
		.amdhsa_user_sgpr_private_segment_size 0
		.amdhsa_uses_dynamic_stack 0
		.amdhsa_system_sgpr_private_segment_wavefront_offset 1
		.amdhsa_system_sgpr_workgroup_id_x 1
		.amdhsa_system_sgpr_workgroup_id_y 0
		.amdhsa_system_sgpr_workgroup_id_z 0
		.amdhsa_system_sgpr_workgroup_info 0
		.amdhsa_system_vgpr_workitem_id 0
		.amdhsa_next_free_vgpr 22
		.amdhsa_next_free_sgpr 23
		.amdhsa_accum_offset 24
		.amdhsa_reserve_vcc 1
		.amdhsa_reserve_flat_scratch 1
		.amdhsa_float_round_mode_32 0
		.amdhsa_float_round_mode_16_64 0
		.amdhsa_float_denorm_mode_32 3
		.amdhsa_float_denorm_mode_16_64 3
		.amdhsa_dx10_clamp 1
		.amdhsa_ieee_mode 1
		.amdhsa_fp16_overflow 0
		.amdhsa_tg_split 0
		.amdhsa_exception_fp_ieee_invalid_op 0
		.amdhsa_exception_fp_denorm_src 0
		.amdhsa_exception_fp_ieee_div_zero 0
		.amdhsa_exception_fp_ieee_overflow 0
		.amdhsa_exception_fp_ieee_underflow 0
		.amdhsa_exception_fp_ieee_inexact 0
		.amdhsa_exception_int_div_zero 0
	.end_amdhsa_kernel
	.section	.text._ZN9rocsolver6v33100L18getri_kernel_smallILi3E19rocblas_complex_numIfEPS3_EEvT1_iilPiilS6_bb,"axG",@progbits,_ZN9rocsolver6v33100L18getri_kernel_smallILi3E19rocblas_complex_numIfEPS3_EEvT1_iilPiilS6_bb,comdat
.Lfunc_end2:
	.size	_ZN9rocsolver6v33100L18getri_kernel_smallILi3E19rocblas_complex_numIfEPS3_EEvT1_iilPiilS6_bb, .Lfunc_end2-_ZN9rocsolver6v33100L18getri_kernel_smallILi3E19rocblas_complex_numIfEPS3_EEvT1_iilPiilS6_bb
                                        ; -- End function
	.section	.AMDGPU.csdata,"",@progbits
; Kernel info:
; codeLenInByte = 2340
; NumSgprs: 29
; NumVgprs: 22
; NumAgprs: 0
; TotalNumVgprs: 22
; ScratchSize: 32
; MemoryBound: 0
; FloatMode: 240
; IeeeMode: 1
; LDSByteSize: 56 bytes/workgroup (compile time only)
; SGPRBlocks: 3
; VGPRBlocks: 2
; NumSGPRsForWavesPerEU: 29
; NumVGPRsForWavesPerEU: 22
; AccumOffset: 24
; Occupancy: 8
; WaveLimiterHint : 0
; COMPUTE_PGM_RSRC2:SCRATCH_EN: 1
; COMPUTE_PGM_RSRC2:USER_SGPR: 8
; COMPUTE_PGM_RSRC2:TRAP_HANDLER: 0
; COMPUTE_PGM_RSRC2:TGID_X_EN: 1
; COMPUTE_PGM_RSRC2:TGID_Y_EN: 0
; COMPUTE_PGM_RSRC2:TGID_Z_EN: 0
; COMPUTE_PGM_RSRC2:TIDIG_COMP_CNT: 0
; COMPUTE_PGM_RSRC3_GFX90A:ACCUM_OFFSET: 5
; COMPUTE_PGM_RSRC3_GFX90A:TG_SPLIT: 0
	.section	.text._ZN9rocsolver6v33100L18getri_kernel_smallILi4E19rocblas_complex_numIfEPS3_EEvT1_iilPiilS6_bb,"axG",@progbits,_ZN9rocsolver6v33100L18getri_kernel_smallILi4E19rocblas_complex_numIfEPS3_EEvT1_iilPiilS6_bb,comdat
	.globl	_ZN9rocsolver6v33100L18getri_kernel_smallILi4E19rocblas_complex_numIfEPS3_EEvT1_iilPiilS6_bb ; -- Begin function _ZN9rocsolver6v33100L18getri_kernel_smallILi4E19rocblas_complex_numIfEPS3_EEvT1_iilPiilS6_bb
	.p2align	8
	.type	_ZN9rocsolver6v33100L18getri_kernel_smallILi4E19rocblas_complex_numIfEPS3_EEvT1_iilPiilS6_bb,@function
_ZN9rocsolver6v33100L18getri_kernel_smallILi4E19rocblas_complex_numIfEPS3_EEvT1_iilPiilS6_bb: ; @_ZN9rocsolver6v33100L18getri_kernel_smallILi4E19rocblas_complex_numIfEPS3_EEvT1_iilPiilS6_bb
; %bb.0:
	s_add_u32 flat_scratch_lo, s6, s9
	s_addc_u32 flat_scratch_hi, s7, 0
	s_add_u32 s0, s0, s9
	s_addc_u32 s1, s1, 0
	v_cmp_gt_u32_e32 vcc, 4, v0
	s_and_saveexec_b64 s[6:7], vcc
	s_cbranch_execz .LBB3_30
; %bb.1:
	s_load_dword s22, s[4:5], 0x38
	s_load_dwordx4 s[16:19], s[4:5], 0x10
	s_load_dwordx4 s[12:15], s[4:5], 0x28
                                        ; implicit-def: $sgpr10_sgpr11
	s_waitcnt lgkmcnt(0)
	s_bitcmp1_b32 s22, 8
	s_cselect_b64 s[20:21], -1, 0
	s_ashr_i32 s9, s8, 31
	s_bfe_u32 s6, s22, 0x10008
	s_cmp_eq_u32 s6, 0
	s_cbranch_scc1 .LBB3_3
; %bb.2:
	s_load_dword s6, s[4:5], 0x20
	s_mul_i32 s7, s8, s13
	s_mul_hi_u32 s10, s8, s12
	s_mul_i32 s11, s9, s12
	s_add_i32 s10, s10, s7
	s_add_i32 s11, s10, s11
	s_mul_i32 s10, s8, s12
	s_waitcnt lgkmcnt(0)
	s_ashr_i32 s7, s6, 31
	s_lshl_b64 s[10:11], s[10:11], 2
	s_add_u32 s10, s18, s10
	s_addc_u32 s11, s19, s11
	s_lshl_b64 s[6:7], s[6:7], 2
	s_add_u32 s10, s10, s6
	s_addc_u32 s11, s11, s7
.LBB3_3:
	s_load_dwordx4 s[4:7], s[4:5], 0x0
	s_mul_i32 s12, s8, s17
	s_mul_hi_u32 s13, s8, s16
	s_add_i32 s17, s13, s12
	v_lshlrev_b32_e32 v14, 3, v0
	s_waitcnt lgkmcnt(0)
	s_ashr_i32 s13, s6, 31
	s_mov_b32 s12, s6
	s_mul_i32 s6, s9, s16
	s_add_i32 s17, s17, s6
	s_mul_i32 s16, s8, s16
	s_lshl_b64 s[16:17], s[16:17], 3
	s_add_u32 s6, s4, s16
	s_addc_u32 s16, s5, s17
	s_lshl_b64 s[4:5], s[12:13], 3
	s_add_u32 s4, s6, s4
	s_addc_u32 s5, s16, s5
	v_mov_b32_e32 v1, s5
	v_add_co_u32_e32 v2, vcc, s4, v14
	s_ashr_i32 s13, s7, 31
	s_mov_b32 s12, s7
	s_add_i32 s6, s7, s7
	v_addc_co_u32_e32 v3, vcc, 0, v1, vcc
	s_lshl_b64 s[12:13], s[12:13], 3
	v_add_u32_e32 v8, s6, v0
	v_mov_b32_e32 v1, s13
	v_add_co_u32_e32 v4, vcc, s12, v2
	v_ashrrev_i32_e32 v9, 31, v8
	v_addc_co_u32_e32 v5, vcc, v3, v1, vcc
	v_lshlrev_b64 v[6:7], 3, v[8:9]
	v_mov_b32_e32 v1, s5
	v_add_co_u32_e32 v6, vcc, s4, v6
	global_load_dwordx2 v[10:11], v14, s[4:5]
	v_addc_co_u32_e32 v7, vcc, v1, v7, vcc
	global_load_dwordx2 v[12:13], v[4:5], off
	global_load_dwordx2 v[16:17], v[6:7], off
	v_add_u32_e32 v8, s7, v8
	v_ashrrev_i32_e32 v9, 31, v8
	v_lshlrev_b64 v[8:9], 3, v[8:9]
	v_add_co_u32_e32 v8, vcc, s4, v8
	v_addc_co_u32_e32 v9, vcc, v1, v9, vcc
	global_load_dwordx2 v[18:19], v[8:9], off
	s_bitcmp0_b32 s22, 0
	s_mov_b64 s[6:7], -1
	s_waitcnt vmcnt(3)
	buffer_store_dword v11, off, s[0:3], 0 offset:4
	buffer_store_dword v10, off, s[0:3], 0
	s_waitcnt vmcnt(4)
	buffer_store_dword v13, off, s[0:3], 0 offset:12
	buffer_store_dword v12, off, s[0:3], 0 offset:8
	s_waitcnt vmcnt(5)
	buffer_store_dword v17, off, s[0:3], 0 offset:20
	buffer_store_dword v16, off, s[0:3], 0 offset:16
	s_waitcnt vmcnt(6)
	buffer_store_dword v19, off, s[0:3], 0 offset:28
	buffer_store_dword v18, off, s[0:3], 0 offset:24
	s_cbranch_scc1 .LBB3_28
; %bb.4:
	v_cmp_eq_u32_e64 s[4:5], 0, v0
	s_and_saveexec_b64 s[6:7], s[4:5]
	s_cbranch_execz .LBB3_6
; %bb.5:
	v_mov_b32_e32 v1, 0
	ds_write_b32 v1, v1 offset:64
.LBB3_6:
	s_or_b64 exec, exec, s[6:7]
	v_mov_b32_e32 v1, 0
	v_lshl_add_u32 v15, v0, 3, v1
	s_waitcnt lgkmcnt(0)
	; wave barrier
	s_waitcnt lgkmcnt(0)
	buffer_load_dword v1, v15, s[0:3], 0 offen
	buffer_load_dword v10, v15, s[0:3], 0 offen offset:4
	s_waitcnt vmcnt(1)
	v_cmp_eq_f32_e32 vcc, 0, v1
	s_waitcnt vmcnt(0)
	v_cmp_eq_f32_e64 s[6:7], 0, v10
	s_and_b64 s[6:7], vcc, s[6:7]
	s_and_saveexec_b64 s[12:13], s[6:7]
	s_cbranch_execz .LBB3_10
; %bb.7:
	v_mov_b32_e32 v1, 0
	ds_read_b32 v11, v1 offset:64
	v_add_u32_e32 v10, 1, v0
	s_waitcnt lgkmcnt(0)
	v_readfirstlane_b32 s6, v11
	s_cmp_eq_u32 s6, 0
	s_cselect_b64 s[16:17], -1, 0
	v_cmp_gt_i32_e32 vcc, s6, v10
	s_or_b64 s[16:17], s[16:17], vcc
	s_and_b64 exec, exec, s[16:17]
	s_cbranch_execz .LBB3_10
; %bb.8:
	s_mov_b64 s[16:17], 0
	v_mov_b32_e32 v11, s6
.LBB3_9:                                ; =>This Inner Loop Header: Depth=1
	ds_cmpst_rtn_b32 v11, v1, v11, v10 offset:64
	s_waitcnt lgkmcnt(0)
	v_cmp_ne_u32_e32 vcc, 0, v11
	v_cmp_le_i32_e64 s[6:7], v11, v10
	s_and_b64 s[6:7], vcc, s[6:7]
	s_and_b64 s[6:7], exec, s[6:7]
	s_or_b64 s[16:17], s[6:7], s[16:17]
	s_andn2_b64 exec, exec, s[16:17]
	s_cbranch_execnz .LBB3_9
.LBB3_10:
	s_or_b64 exec, exec, s[12:13]
	v_mov_b32_e32 v10, 0
	s_waitcnt lgkmcnt(0)
	; wave barrier
	ds_read_b32 v1, v10 offset:64
	s_and_saveexec_b64 s[6:7], s[4:5]
	s_cbranch_execz .LBB3_12
; %bb.11:
	s_lshl_b64 s[12:13], s[8:9], 2
	s_add_u32 s12, s14, s12
	s_addc_u32 s13, s15, s13
	s_waitcnt lgkmcnt(0)
	global_store_dword v10, v1, s[12:13]
.LBB3_12:
	s_or_b64 exec, exec, s[6:7]
	s_waitcnt lgkmcnt(0)
	v_cmp_ne_u32_e32 vcc, 0, v1
	s_mov_b64 s[6:7], 0
	s_cbranch_vccnz .LBB3_28
; %bb.13:
	buffer_load_dword v16, v15, s[0:3], 0 offen offset:4
	buffer_load_dword v11, v15, s[0:3], 0 offen
	s_waitcnt vmcnt(1)
	v_cmp_gt_f32_e32 vcc, 0, v16
	v_cndmask_b32_e64 v1, v16, -v16, vcc
	s_waitcnt vmcnt(0)
	v_cmp_gt_f32_e32 vcc, 0, v11
	v_cndmask_b32_e64 v10, v11, -v11, vcc
	v_cmp_ngt_f32_e32 vcc, v10, v1
                                        ; implicit-def: $vgpr1
                                        ; implicit-def: $vgpr10
	s_and_saveexec_b64 s[6:7], vcc
	s_xor_b64 s[6:7], exec, s[6:7]
                                        ; implicit-def: $vgpr12_vgpr13
	s_cbranch_execz .LBB3_15
; %bb.14:
	v_div_scale_f32 v1, s[12:13], v16, v16, v11
	v_rcp_f32_e32 v10, v1
	v_div_scale_f32 v12, vcc, v11, v16, v11
	v_fma_f32 v13, -v1, v10, 1.0
	v_fmac_f32_e32 v10, v13, v10
	v_mul_f32_e32 v13, v12, v10
	v_fma_f32 v17, -v1, v13, v12
	v_fmac_f32_e32 v13, v17, v10
	v_fma_f32 v1, -v1, v13, v12
	v_div_fmas_f32 v1, v1, v10, v13
	v_div_fixup_f32 v10, v1, v16, v11
	v_fmac_f32_e32 v16, v11, v10
	v_div_scale_f32 v1, s[12:13], v16, v16, -1.0
	v_rcp_f32_e32 v11, v1
	v_fma_f32 v12, -v1, v11, 1.0
	v_fmac_f32_e32 v11, v12, v11
	v_div_scale_f32 v12, vcc, -1.0, v16, -1.0
	v_mul_f32_e32 v13, v12, v11
	v_fma_f32 v17, -v1, v13, v12
	v_fmac_f32_e32 v13, v17, v11
	v_fma_f32 v1, -v1, v13, v12
	v_div_fmas_f32 v1, v1, v11, v13
	v_div_fixup_f32 v1, v1, v16, -1.0
	v_mul_f32_e32 v10, v10, v1
	v_xor_b32_e32 v12, 0x80000000, v10
                                        ; implicit-def: $vgpr11
                                        ; implicit-def: $vgpr16
.LBB3_15:
	s_andn2_saveexec_b64 s[6:7], s[6:7]
	s_cbranch_execz .LBB3_17
; %bb.16:
	v_div_scale_f32 v1, s[12:13], v11, v11, v16
	v_rcp_f32_e32 v10, v1
	v_div_scale_f32 v12, vcc, v16, v11, v16
	v_fma_f32 v13, -v1, v10, 1.0
	v_fmac_f32_e32 v10, v13, v10
	v_mul_f32_e32 v13, v12, v10
	v_fma_f32 v17, -v1, v13, v12
	v_fmac_f32_e32 v13, v17, v10
	v_fma_f32 v1, -v1, v13, v12
	v_div_fmas_f32 v1, v1, v10, v13
	v_div_fixup_f32 v1, v1, v11, v16
	v_fmac_f32_e32 v11, v16, v1
	v_div_scale_f32 v10, s[12:13], v11, v11, 1.0
	v_rcp_f32_e32 v12, v10
	v_fma_f32 v13, -v10, v12, 1.0
	v_fmac_f32_e32 v12, v13, v12
	v_div_scale_f32 v13, vcc, 1.0, v11, 1.0
	v_mul_f32_e32 v16, v13, v12
	v_fma_f32 v17, -v10, v16, v13
	v_fmac_f32_e32 v16, v17, v12
	v_fma_f32 v10, -v10, v16, v13
	v_div_fmas_f32 v10, v10, v12, v16
	v_div_fixup_f32 v12, v10, v11, 1.0
	v_xor_b32_e32 v10, 0x80000000, v12
	v_mul_f32_e64 v1, v1, -v12
.LBB3_17:
	s_or_b64 exec, exec, s[6:7]
	buffer_store_dword v1, v15, s[0:3], 0 offen offset:4
	buffer_store_dword v12, v15, s[0:3], 0 offen
	buffer_load_dword v13, off, s[0:3], 0 offset:12
	s_nop 0
	buffer_load_dword v12, off, s[0:3], 0 offset:8
	v_xor_b32_e32 v11, 0x80000000, v1
	v_add_u32_e32 v1, 32, v14
	s_waitcnt vmcnt(0)
	ds_write2_b64 v14, v[10:11], v[12:13] offset1:4
	s_waitcnt lgkmcnt(0)
	; wave barrier
	s_waitcnt lgkmcnt(0)
	s_and_saveexec_b64 s[6:7], s[4:5]
	s_cbranch_execz .LBB3_19
; %bb.18:
	buffer_load_dword v16, v15, s[0:3], 0 offen offset:4
	buffer_load_dword v17, v15, s[0:3], 0 offen
	ds_read_b64 v[10:11], v1
	v_mov_b32_e32 v12, 0
	ds_read_b64 v[12:13], v12 offset:8
	s_waitcnt vmcnt(1) lgkmcnt(1)
	v_mul_f32_e32 v18, v11, v16
	v_mul_f32_e32 v16, v10, v16
	s_waitcnt vmcnt(0)
	v_fmac_f32_e32 v16, v11, v17
	v_fma_f32 v10, v10, v17, -v18
	v_add_f32_e32 v11, 0, v16
	v_add_f32_e32 v10, 0, v10
	s_waitcnt lgkmcnt(0)
	v_mul_f32_e32 v16, v11, v13
	v_mul_f32_e32 v13, v10, v13
	v_fma_f32 v10, v10, v12, -v16
	v_fmac_f32_e32 v13, v11, v12
	buffer_store_dword v10, off, s[0:3], 0 offset:8
	buffer_store_dword v13, off, s[0:3], 0 offset:12
.LBB3_19:
	s_or_b64 exec, exec, s[6:7]
	s_waitcnt lgkmcnt(0)
	; wave barrier
	buffer_load_dword v10, off, s[0:3], 0 offset:16
	buffer_load_dword v11, off, s[0:3], 0 offset:20
	v_cmp_gt_u32_e32 vcc, 2, v0
	s_waitcnt vmcnt(0)
	ds_write_b64 v1, v[10:11]
	s_waitcnt lgkmcnt(0)
	; wave barrier
	s_waitcnt lgkmcnt(0)
	s_and_saveexec_b64 s[6:7], vcc
	s_cbranch_execz .LBB3_23
; %bb.20:
	buffer_load_dword v12, v15, s[0:3], 0 offen offset:4
	buffer_load_dword v13, v15, s[0:3], 0 offen
	ds_read_b64 v[10:11], v1
	s_waitcnt vmcnt(1) lgkmcnt(0)
	v_mul_f32_e32 v15, v11, v12
	v_mul_f32_e32 v12, v10, v12
	s_waitcnt vmcnt(0)
	v_fma_f32 v10, v10, v13, -v15
	v_fmac_f32_e32 v12, v11, v13
	v_add_f32_e32 v11, 0, v10
	v_add_f32_e32 v10, 0, v12
	s_and_saveexec_b64 s[12:13], s[4:5]
	s_cbranch_execz .LBB3_22
; %bb.21:
	buffer_load_dword v15, off, s[0:3], 0 offset:12
	buffer_load_dword v16, off, s[0:3], 0 offset:8
	v_mov_b32_e32 v12, 0
	ds_read_b64 v[12:13], v12 offset:40
	s_waitcnt vmcnt(1) lgkmcnt(0)
	v_mul_f32_e32 v17, v12, v15
	v_mul_f32_e32 v15, v13, v15
	s_waitcnt vmcnt(0)
	v_fmac_f32_e32 v17, v13, v16
	v_fma_f32 v12, v12, v16, -v15
	v_add_f32_e32 v10, v10, v17
	v_add_f32_e32 v11, v11, v12
.LBB3_22:
	s_or_b64 exec, exec, s[12:13]
	v_mov_b32_e32 v12, 0
	ds_read_b64 v[12:13], v12 offset:16
	s_waitcnt lgkmcnt(0)
	v_mul_f32_e32 v15, v10, v13
	v_mul_f32_e32 v13, v11, v13
	v_fma_f32 v11, v11, v12, -v15
	v_fmac_f32_e32 v13, v10, v12
	buffer_store_dword v11, off, s[0:3], 0 offset:16
	buffer_store_dword v13, off, s[0:3], 0 offset:20
.LBB3_23:
	s_or_b64 exec, exec, s[6:7]
	s_waitcnt lgkmcnt(0)
	; wave barrier
	buffer_load_dword v10, off, s[0:3], 0 offset:24
	buffer_load_dword v11, off, s[0:3], 0 offset:28
	v_cmp_ne_u32_e32 vcc, 3, v0
	s_waitcnt vmcnt(0)
	ds_write_b64 v1, v[10:11]
	s_waitcnt lgkmcnt(0)
	; wave barrier
	s_waitcnt lgkmcnt(0)
	s_and_saveexec_b64 s[4:5], vcc
	s_cbranch_execz .LBB3_27
; %bb.24:
	v_add_u32_e32 v11, -1, v0
	v_add_u32_e32 v12, 0, v14
	s_mov_b64 s[6:7], 0
	v_mov_b32_e32 v10, 0
	v_mov_b32_e32 v13, 0
.LBB3_25:                               ; =>This Inner Loop Header: Depth=1
	buffer_load_dword v16, v12, s[0:3], 0 offen offset:4
	buffer_load_dword v17, v12, s[0:3], 0 offen
	ds_read_b64 v[14:15], v1
	v_add_u32_e32 v11, 1, v11
	v_cmp_lt_u32_e32 vcc, 1, v11
	v_add_u32_e32 v1, 8, v1
	v_add_u32_e32 v12, 8, v12
	s_or_b64 s[6:7], vcc, s[6:7]
	s_waitcnt vmcnt(1) lgkmcnt(0)
	v_mul_f32_e32 v18, v15, v16
	v_mul_f32_e32 v16, v14, v16
	s_waitcnt vmcnt(0)
	v_fma_f32 v14, v14, v17, -v18
	v_fmac_f32_e32 v16, v15, v17
	v_add_f32_e32 v13, v13, v14
	v_add_f32_e32 v10, v10, v16
	s_andn2_b64 exec, exec, s[6:7]
	s_cbranch_execnz .LBB3_25
; %bb.26:
	s_or_b64 exec, exec, s[6:7]
	v_mov_b32_e32 v1, 0
	ds_read_b64 v[14:15], v1 offset:24
	s_waitcnt lgkmcnt(0)
	v_mul_f32_e32 v1, v10, v15
	v_mul_f32_e32 v11, v13, v15
	v_fma_f32 v1, v13, v14, -v1
	v_fmac_f32_e32 v11, v10, v14
	buffer_store_dword v1, off, s[0:3], 0 offset:24
	buffer_store_dword v11, off, s[0:3], 0 offset:28
.LBB3_27:
	s_or_b64 exec, exec, s[4:5]
	s_mov_b64 s[6:7], -1
	s_waitcnt lgkmcnt(0)
	; wave barrier
.LBB3_28:
	s_and_b64 vcc, exec, s[6:7]
	s_cbranch_vccz .LBB3_30
; %bb.29:
	s_lshl_b64 s[4:5], s[8:9], 2
	s_add_u32 s4, s14, s4
	s_addc_u32 s5, s15, s5
	v_mov_b32_e32 v1, 0
	global_load_dword v1, v1, s[4:5]
	s_waitcnt vmcnt(0)
	v_cmp_ne_u32_e32 vcc, 0, v1
	s_cbranch_vccz .LBB3_31
.LBB3_30:
	s_endpgm
.LBB3_31:
	v_lshl_add_u32 v1, v0, 3, 32
	v_cmp_eq_u32_e32 vcc, 3, v0
	s_and_saveexec_b64 s[4:5], vcc
	s_cbranch_execz .LBB3_33
; %bb.32:
	buffer_load_dword v10, off, s[0:3], 0 offset:16
	buffer_load_dword v11, off, s[0:3], 0 offset:20
	v_mov_b32_e32 v12, 0
	buffer_store_dword v12, off, s[0:3], 0 offset:16
	buffer_store_dword v12, off, s[0:3], 0 offset:20
	s_waitcnt vmcnt(2)
	ds_write_b64 v1, v[10:11]
.LBB3_33:
	s_or_b64 exec, exec, s[4:5]
	s_waitcnt lgkmcnt(0)
	; wave barrier
	s_waitcnt lgkmcnt(0)
	buffer_load_dword v13, off, s[0:3], 0 offset:28
	buffer_load_dword v12, off, s[0:3], 0 offset:24
	;; [unrolled: 1-line block ×4, first 2 shown]
	v_mov_b32_e32 v10, 0
	ds_read_b64 v[16:17], v10 offset:56
	v_cmp_lt_u32_e32 vcc, 1, v0
	s_waitcnt vmcnt(3)
	v_mov_b32_e32 v18, v13
	s_waitcnt lgkmcnt(0)
	v_pk_mul_f32 v[18:19], v[16:17], v[18:19] op_sel_hi:[1,0]
	s_waitcnt vmcnt(2)
	v_pk_fma_f32 v[20:21], v[16:17], v[12:13], v[18:19] op_sel:[0,0,1] op_sel_hi:[1,1,0] neg_lo:[0,0,1] neg_hi:[0,0,1]
	v_pk_fma_f32 v[12:13], v[16:17], v[12:13], v[18:19] op_sel:[0,0,1] op_sel_hi:[1,0,0]
	v_mov_b32_e32 v21, v13
	v_pk_add_f32 v[12:13], v[20:21], 0 op_sel_hi:[1,0]
	s_waitcnt vmcnt(0)
	v_pk_add_f32 v[12:13], v[14:15], v[12:13] neg_lo:[0,1] neg_hi:[0,1]
	buffer_store_dword v12, off, s[0:3], 0 offset:16
	buffer_store_dword v13, off, s[0:3], 0 offset:20
	s_and_saveexec_b64 s[4:5], vcc
	s_cbranch_execz .LBB3_35
; %bb.34:
	buffer_load_dword v12, off, s[0:3], 0 offset:8
	buffer_load_dword v13, off, s[0:3], 0 offset:12
	s_waitcnt vmcnt(0)
	ds_write_b64 v1, v[12:13]
	buffer_store_dword v10, off, s[0:3], 0 offset:8
	buffer_store_dword v10, off, s[0:3], 0 offset:12
.LBB3_35:
	s_or_b64 exec, exec, s[4:5]
	s_waitcnt lgkmcnt(0)
	; wave barrier
	s_waitcnt lgkmcnt(0)
	buffer_load_dword v15, off, s[0:3], 0 offset:20
	buffer_load_dword v17, off, s[0:3], 0 offset:28
	;; [unrolled: 1-line block ×6, first 2 shown]
	ds_read_b128 v[10:13], v10 offset:48
	v_cmp_ne_u32_e32 vcc, 0, v0
	s_waitcnt vmcnt(5)
	v_mov_b32_e32 v20, v15
	s_waitcnt vmcnt(4)
	v_mov_b32_e32 v22, v17
	s_waitcnt lgkmcnt(0)
	v_pk_mul_f32 v[20:21], v[10:11], v[20:21] op_sel_hi:[1,0]
	v_pk_mul_f32 v[22:23], v[12:13], v[22:23] op_sel_hi:[1,0]
	s_waitcnt vmcnt(3)
	v_pk_fma_f32 v[24:25], v[10:11], v[14:15], v[20:21] op_sel:[0,0,1] op_sel_hi:[1,1,0] neg_lo:[0,0,1] neg_hi:[0,0,1]
	v_pk_fma_f32 v[10:11], v[10:11], v[14:15], v[20:21] op_sel:[0,0,1] op_sel_hi:[1,0,0]
	s_waitcnt vmcnt(2)
	v_pk_fma_f32 v[14:15], v[12:13], v[16:17], v[22:23] op_sel:[0,0,1] op_sel_hi:[1,1,0] neg_lo:[0,0,1] neg_hi:[0,0,1]
	v_pk_fma_f32 v[12:13], v[12:13], v[16:17], v[22:23] op_sel:[0,0,1] op_sel_hi:[1,0,0]
	v_mov_b32_e32 v25, v11
	v_mov_b32_e32 v15, v13
	v_pk_add_f32 v[10:11], v[24:25], 0 op_sel_hi:[1,0]
	v_pk_add_f32 v[10:11], v[10:11], v[14:15]
	s_waitcnt vmcnt(0)
	v_pk_add_f32 v[10:11], v[18:19], v[10:11] neg_lo:[0,1] neg_hi:[0,1]
	buffer_store_dword v10, off, s[0:3], 0 offset:8
	buffer_store_dword v11, off, s[0:3], 0 offset:12
	s_and_saveexec_b64 s[4:5], vcc
	s_cbranch_execz .LBB3_37
; %bb.36:
	buffer_load_dword v10, off, s[0:3], 0
	buffer_load_dword v11, off, s[0:3], 0 offset:4
	v_mov_b32_e32 v0, 0
	buffer_store_dword v0, off, s[0:3], 0
	buffer_store_dword v0, off, s[0:3], 0 offset:4
	s_waitcnt vmcnt(2)
	ds_write_b64 v1, v[10:11]
.LBB3_37:
	s_or_b64 exec, exec, s[4:5]
	s_waitcnt lgkmcnt(0)
	; wave barrier
	s_waitcnt lgkmcnt(0)
	buffer_load_dword v15, off, s[0:3], 0 offset:12
	buffer_load_dword v1, off, s[0:3], 0 offset:20
	;; [unrolled: 1-line block ×6, first 2 shown]
	buffer_load_dword v18, off, s[0:3], 0
	buffer_load_dword v19, off, s[0:3], 0 offset:4
	v_mov_b32_e32 v20, 0
	ds_read2_b64 v[10:13], v20 offset0:5 offset1:6
	ds_read_b64 v[20:21], v20 offset:56
	s_and_b64 vcc, exec, s[20:21]
	s_waitcnt vmcnt(7)
	v_mov_b32_e32 v22, v15
	s_waitcnt vmcnt(6)
	v_mov_b32_e32 v24, v1
	s_waitcnt lgkmcnt(1)
	v_pk_mul_f32 v[22:23], v[10:11], v[22:23] op_sel_hi:[1,0]
	s_waitcnt vmcnt(5)
	v_mov_b32_e32 v26, v17
	v_pk_mul_f32 v[24:25], v[12:13], v[24:25] op_sel_hi:[1,0]
	s_waitcnt vmcnt(4)
	v_pk_fma_f32 v[28:29], v[10:11], v[14:15], v[22:23] op_sel:[0,0,1] op_sel_hi:[1,1,0] neg_lo:[0,0,1] neg_hi:[0,0,1]
	v_pk_fma_f32 v[10:11], v[10:11], v[14:15], v[22:23] op_sel:[0,0,1] op_sel_hi:[1,0,0]
	s_waitcnt lgkmcnt(0)
	v_pk_mul_f32 v[26:27], v[20:21], v[26:27] op_sel_hi:[1,0]
	s_waitcnt vmcnt(3)
	v_pk_fma_f32 v[14:15], v[12:13], v[0:1], v[24:25] op_sel:[0,0,1] op_sel_hi:[1,1,0] neg_lo:[0,0,1] neg_hi:[0,0,1]
	v_pk_fma_f32 v[12:13], v[12:13], v[0:1], v[24:25] op_sel:[0,0,1] op_sel_hi:[1,0,0]
	v_mov_b32_e32 v29, v11
	s_waitcnt vmcnt(2)
	v_pk_fma_f32 v[22:23], v[20:21], v[16:17], v[26:27] op_sel:[0,0,1] op_sel_hi:[1,1,0] neg_lo:[0,0,1] neg_hi:[0,0,1]
	v_pk_fma_f32 v[16:17], v[20:21], v[16:17], v[26:27] op_sel:[0,0,1] op_sel_hi:[1,0,0]
	v_mov_b32_e32 v15, v13
	v_pk_add_f32 v[10:11], v[28:29], 0 op_sel_hi:[1,0]
	v_mov_b32_e32 v23, v17
	v_pk_add_f32 v[10:11], v[10:11], v[14:15]
	v_pk_add_f32 v[10:11], v[10:11], v[22:23]
	s_waitcnt vmcnt(0)
	v_pk_add_f32 v[10:11], v[18:19], v[10:11] neg_lo:[0,1] neg_hi:[0,1]
	buffer_store_dword v10, off, s[0:3], 0
	buffer_store_dword v11, off, s[0:3], 0 offset:4
	s_cbranch_vccz .LBB3_45
; %bb.38:
	v_pk_mov_b32 v[10:11], s[10:11], s[10:11] op_sel:[0,1]
	flat_load_dword v10, v[10:11] offset:8
	s_waitcnt vmcnt(0) lgkmcnt(0)
	v_add_u32_e32 v10, -1, v10
	v_cmp_ne_u32_e32 vcc, 2, v10
	s_and_saveexec_b64 s[4:5], vcc
	s_cbranch_execz .LBB3_40
; %bb.39:
	v_mov_b32_e32 v11, 0
	v_lshl_add_u32 v10, v10, 3, v11
	buffer_load_dword v11, v10, s[0:3], 0 offen offset:4
	buffer_load_dword v12, v10, s[0:3], 0 offen
	s_waitcnt vmcnt(1)
	buffer_store_dword v11, off, s[0:3], 0 offset:20
	s_waitcnt vmcnt(1)
	buffer_store_dword v12, off, s[0:3], 0 offset:16
	buffer_store_dword v1, v10, s[0:3], 0 offen offset:4
	buffer_store_dword v0, v10, s[0:3], 0 offen
.LBB3_40:
	s_or_b64 exec, exec, s[4:5]
	v_pk_mov_b32 v[0:1], s[10:11], s[10:11] op_sel:[0,1]
	flat_load_dword v0, v[0:1] offset:4
	s_waitcnt vmcnt(0) lgkmcnt(0)
	v_add_u32_e32 v0, -1, v0
	v_cmp_ne_u32_e32 vcc, 1, v0
	s_and_saveexec_b64 s[4:5], vcc
	s_cbranch_execz .LBB3_42
; %bb.41:
	v_mov_b32_e32 v1, 0
	v_lshl_add_u32 v0, v0, 3, v1
	buffer_load_dword v1, v0, s[0:3], 0 offen
	buffer_load_dword v10, v0, s[0:3], 0 offen offset:4
	buffer_load_dword v11, off, s[0:3], 0 offset:8
	buffer_load_dword v12, off, s[0:3], 0 offset:12
	s_waitcnt vmcnt(3)
	buffer_store_dword v1, off, s[0:3], 0 offset:8
	s_waitcnt vmcnt(3)
	buffer_store_dword v10, off, s[0:3], 0 offset:12
	s_waitcnt vmcnt(3)
	buffer_store_dword v11, v0, s[0:3], 0 offen
	s_waitcnt vmcnt(3)
	buffer_store_dword v12, v0, s[0:3], 0 offen offset:4
.LBB3_42:
	s_or_b64 exec, exec, s[4:5]
	v_pk_mov_b32 v[0:1], s[10:11], s[10:11] op_sel:[0,1]
	flat_load_dword v0, v[0:1]
	s_nop 0
	buffer_load_dword v10, off, s[0:3], 0
	buffer_load_dword v11, off, s[0:3], 0 offset:4
	s_waitcnt vmcnt(0) lgkmcnt(0)
	v_add_u32_e32 v0, -1, v0
	v_cmp_ne_u32_e32 vcc, 0, v0
	s_and_saveexec_b64 s[4:5], vcc
	s_cbranch_execz .LBB3_44
; %bb.43:
	v_mov_b32_e32 v1, 0
	v_lshl_add_u32 v0, v0, 3, v1
	buffer_load_dword v1, v0, s[0:3], 0 offen offset:4
	buffer_load_dword v12, v0, s[0:3], 0 offen
	s_waitcnt vmcnt(1)
	buffer_store_dword v1, off, s[0:3], 0 offset:4
	s_waitcnt vmcnt(1)
	buffer_store_dword v12, off, s[0:3], 0
	buffer_store_dword v11, v0, s[0:3], 0 offen offset:4
	buffer_store_dword v10, v0, s[0:3], 0 offen
	buffer_load_dword v10, off, s[0:3], 0
	s_nop 0
	buffer_load_dword v11, off, s[0:3], 0 offset:4
.LBB3_44:
	s_or_b64 exec, exec, s[4:5]
.LBB3_45:
	buffer_load_dword v0, off, s[0:3], 0 offset:8
	buffer_load_dword v1, off, s[0:3], 0 offset:12
	;; [unrolled: 1-line block ×6, first 2 shown]
	s_waitcnt vmcnt(6)
	global_store_dwordx2 v[2:3], v[10:11], off
	s_waitcnt vmcnt(5)
	global_store_dwordx2 v[4:5], v[0:1], off
	;; [unrolled: 2-line block ×4, first 2 shown]
	s_endpgm
	.section	.rodata,"a",@progbits
	.p2align	6, 0x0
	.amdhsa_kernel _ZN9rocsolver6v33100L18getri_kernel_smallILi4E19rocblas_complex_numIfEPS3_EEvT1_iilPiilS6_bb
		.amdhsa_group_segment_fixed_size 68
		.amdhsa_private_segment_fixed_size 48
		.amdhsa_kernarg_size 60
		.amdhsa_user_sgpr_count 8
		.amdhsa_user_sgpr_private_segment_buffer 1
		.amdhsa_user_sgpr_dispatch_ptr 0
		.amdhsa_user_sgpr_queue_ptr 0
		.amdhsa_user_sgpr_kernarg_segment_ptr 1
		.amdhsa_user_sgpr_dispatch_id 0
		.amdhsa_user_sgpr_flat_scratch_init 1
		.amdhsa_user_sgpr_kernarg_preload_length 0
		.amdhsa_user_sgpr_kernarg_preload_offset 0
		.amdhsa_user_sgpr_private_segment_size 0
		.amdhsa_uses_dynamic_stack 0
		.amdhsa_system_sgpr_private_segment_wavefront_offset 1
		.amdhsa_system_sgpr_workgroup_id_x 1
		.amdhsa_system_sgpr_workgroup_id_y 0
		.amdhsa_system_sgpr_workgroup_id_z 0
		.amdhsa_system_sgpr_workgroup_info 0
		.amdhsa_system_vgpr_workitem_id 0
		.amdhsa_next_free_vgpr 30
		.amdhsa_next_free_sgpr 23
		.amdhsa_accum_offset 32
		.amdhsa_reserve_vcc 1
		.amdhsa_reserve_flat_scratch 1
		.amdhsa_float_round_mode_32 0
		.amdhsa_float_round_mode_16_64 0
		.amdhsa_float_denorm_mode_32 3
		.amdhsa_float_denorm_mode_16_64 3
		.amdhsa_dx10_clamp 1
		.amdhsa_ieee_mode 1
		.amdhsa_fp16_overflow 0
		.amdhsa_tg_split 0
		.amdhsa_exception_fp_ieee_invalid_op 0
		.amdhsa_exception_fp_denorm_src 0
		.amdhsa_exception_fp_ieee_div_zero 0
		.amdhsa_exception_fp_ieee_overflow 0
		.amdhsa_exception_fp_ieee_underflow 0
		.amdhsa_exception_fp_ieee_inexact 0
		.amdhsa_exception_int_div_zero 0
	.end_amdhsa_kernel
	.section	.text._ZN9rocsolver6v33100L18getri_kernel_smallILi4E19rocblas_complex_numIfEPS3_EEvT1_iilPiilS6_bb,"axG",@progbits,_ZN9rocsolver6v33100L18getri_kernel_smallILi4E19rocblas_complex_numIfEPS3_EEvT1_iilPiilS6_bb,comdat
.Lfunc_end3:
	.size	_ZN9rocsolver6v33100L18getri_kernel_smallILi4E19rocblas_complex_numIfEPS3_EEvT1_iilPiilS6_bb, .Lfunc_end3-_ZN9rocsolver6v33100L18getri_kernel_smallILi4E19rocblas_complex_numIfEPS3_EEvT1_iilPiilS6_bb
                                        ; -- End function
	.section	.AMDGPU.csdata,"",@progbits
; Kernel info:
; codeLenInByte = 3108
; NumSgprs: 29
; NumVgprs: 30
; NumAgprs: 0
; TotalNumVgprs: 30
; ScratchSize: 48
; MemoryBound: 0
; FloatMode: 240
; IeeeMode: 1
; LDSByteSize: 68 bytes/workgroup (compile time only)
; SGPRBlocks: 3
; VGPRBlocks: 3
; NumSGPRsForWavesPerEU: 29
; NumVGPRsForWavesPerEU: 30
; AccumOffset: 32
; Occupancy: 8
; WaveLimiterHint : 0
; COMPUTE_PGM_RSRC2:SCRATCH_EN: 1
; COMPUTE_PGM_RSRC2:USER_SGPR: 8
; COMPUTE_PGM_RSRC2:TRAP_HANDLER: 0
; COMPUTE_PGM_RSRC2:TGID_X_EN: 1
; COMPUTE_PGM_RSRC2:TGID_Y_EN: 0
; COMPUTE_PGM_RSRC2:TGID_Z_EN: 0
; COMPUTE_PGM_RSRC2:TIDIG_COMP_CNT: 0
; COMPUTE_PGM_RSRC3_GFX90A:ACCUM_OFFSET: 7
; COMPUTE_PGM_RSRC3_GFX90A:TG_SPLIT: 0
	.section	.text._ZN9rocsolver6v33100L18getri_kernel_smallILi5E19rocblas_complex_numIfEPS3_EEvT1_iilPiilS6_bb,"axG",@progbits,_ZN9rocsolver6v33100L18getri_kernel_smallILi5E19rocblas_complex_numIfEPS3_EEvT1_iilPiilS6_bb,comdat
	.globl	_ZN9rocsolver6v33100L18getri_kernel_smallILi5E19rocblas_complex_numIfEPS3_EEvT1_iilPiilS6_bb ; -- Begin function _ZN9rocsolver6v33100L18getri_kernel_smallILi5E19rocblas_complex_numIfEPS3_EEvT1_iilPiilS6_bb
	.p2align	8
	.type	_ZN9rocsolver6v33100L18getri_kernel_smallILi5E19rocblas_complex_numIfEPS3_EEvT1_iilPiilS6_bb,@function
_ZN9rocsolver6v33100L18getri_kernel_smallILi5E19rocblas_complex_numIfEPS3_EEvT1_iilPiilS6_bb: ; @_ZN9rocsolver6v33100L18getri_kernel_smallILi5E19rocblas_complex_numIfEPS3_EEvT1_iilPiilS6_bb
; %bb.0:
	s_add_u32 flat_scratch_lo, s6, s9
	s_addc_u32 flat_scratch_hi, s7, 0
	s_add_u32 s0, s0, s9
	s_addc_u32 s1, s1, 0
	v_cmp_gt_u32_e32 vcc, 5, v0
	s_and_saveexec_b64 s[6:7], vcc
	s_cbranch_execz .LBB4_34
; %bb.1:
	s_load_dword s22, s[4:5], 0x38
	s_load_dwordx4 s[16:19], s[4:5], 0x10
	s_load_dwordx4 s[12:15], s[4:5], 0x28
                                        ; implicit-def: $sgpr10_sgpr11
	s_waitcnt lgkmcnt(0)
	s_bitcmp1_b32 s22, 8
	s_cselect_b64 s[20:21], -1, 0
	s_ashr_i32 s9, s8, 31
	s_bfe_u32 s6, s22, 0x10008
	s_cmp_eq_u32 s6, 0
	s_cbranch_scc1 .LBB4_3
; %bb.2:
	s_load_dword s6, s[4:5], 0x20
	s_mul_i32 s7, s8, s13
	s_mul_hi_u32 s10, s8, s12
	s_mul_i32 s11, s9, s12
	s_add_i32 s10, s10, s7
	s_add_i32 s11, s10, s11
	s_mul_i32 s10, s8, s12
	s_waitcnt lgkmcnt(0)
	s_ashr_i32 s7, s6, 31
	s_lshl_b64 s[10:11], s[10:11], 2
	s_add_u32 s10, s18, s10
	s_addc_u32 s11, s19, s11
	s_lshl_b64 s[6:7], s[6:7], 2
	s_add_u32 s10, s10, s6
	s_addc_u32 s11, s11, s7
.LBB4_3:
	s_load_dwordx4 s[4:7], s[4:5], 0x0
	s_mul_i32 s12, s8, s17
	s_mul_hi_u32 s13, s8, s16
	s_add_i32 s17, s13, s12
	v_lshlrev_b32_e32 v16, 3, v0
	s_waitcnt lgkmcnt(0)
	s_ashr_i32 s13, s6, 31
	s_mov_b32 s12, s6
	s_mul_i32 s6, s9, s16
	s_add_i32 s17, s17, s6
	s_mul_i32 s16, s8, s16
	s_lshl_b64 s[16:17], s[16:17], 3
	s_add_u32 s6, s4, s16
	s_addc_u32 s16, s5, s17
	s_lshl_b64 s[4:5], s[12:13], 3
	s_add_u32 s4, s6, s4
	s_addc_u32 s5, s16, s5
	v_mov_b32_e32 v1, s5
	v_add_co_u32_e32 v2, vcc, s4, v16
	s_ashr_i32 s13, s7, 31
	s_mov_b32 s12, s7
	s_add_i32 s6, s7, s7
	v_addc_co_u32_e32 v3, vcc, 0, v1, vcc
	s_lshl_b64 s[12:13], s[12:13], 3
	v_add_u32_e32 v8, s6, v0
	v_mov_b32_e32 v1, s13
	v_add_co_u32_e32 v4, vcc, s12, v2
	v_ashrrev_i32_e32 v9, 31, v8
	v_addc_co_u32_e32 v5, vcc, v3, v1, vcc
	v_lshlrev_b64 v[6:7], 3, v[8:9]
	v_add_u32_e32 v10, s7, v8
	v_mov_b32_e32 v1, s5
	v_add_co_u32_e32 v6, vcc, s4, v6
	v_ashrrev_i32_e32 v11, 31, v10
	v_addc_co_u32_e32 v7, vcc, v1, v7, vcc
	v_lshlrev_b64 v[8:9], 3, v[10:11]
	v_add_co_u32_e32 v8, vcc, s4, v8
	global_load_dwordx2 v[12:13], v16, s[4:5]
	v_addc_co_u32_e32 v9, vcc, v1, v9, vcc
	global_load_dwordx2 v[14:15], v[4:5], off
	global_load_dwordx2 v[18:19], v[6:7], off
	;; [unrolled: 1-line block ×3, first 2 shown]
	v_add_u32_e32 v10, s7, v10
	v_ashrrev_i32_e32 v11, 31, v10
	v_lshlrev_b64 v[10:11], 3, v[10:11]
	v_add_co_u32_e32 v10, vcc, s4, v10
	v_addc_co_u32_e32 v11, vcc, v1, v11, vcc
	global_load_dwordx2 v[22:23], v[10:11], off
	s_bitcmp0_b32 s22, 0
	s_mov_b64 s[6:7], -1
	s_waitcnt vmcnt(4)
	buffer_store_dword v13, off, s[0:3], 0 offset:4
	buffer_store_dword v12, off, s[0:3], 0
	s_waitcnt vmcnt(5)
	buffer_store_dword v15, off, s[0:3], 0 offset:12
	buffer_store_dword v14, off, s[0:3], 0 offset:8
	s_waitcnt vmcnt(6)
	buffer_store_dword v19, off, s[0:3], 0 offset:20
	buffer_store_dword v18, off, s[0:3], 0 offset:16
	;; [unrolled: 3-line block ×4, first 2 shown]
	s_cbranch_scc1 .LBB4_32
; %bb.4:
	v_cmp_eq_u32_e64 s[4:5], 0, v0
	s_and_saveexec_b64 s[6:7], s[4:5]
	s_cbranch_execz .LBB4_6
; %bb.5:
	v_mov_b32_e32 v1, 0
	ds_write_b32 v1, v1 offset:40
.LBB4_6:
	s_or_b64 exec, exec, s[6:7]
	v_mov_b32_e32 v1, 0
	v_lshl_add_u32 v17, v0, 3, v1
	s_waitcnt lgkmcnt(0)
	; wave barrier
	s_waitcnt lgkmcnt(0)
	buffer_load_dword v1, v17, s[0:3], 0 offen
	buffer_load_dword v12, v17, s[0:3], 0 offen offset:4
	s_waitcnt vmcnt(1)
	v_cmp_eq_f32_e32 vcc, 0, v1
	s_waitcnt vmcnt(0)
	v_cmp_eq_f32_e64 s[6:7], 0, v12
	s_and_b64 s[6:7], vcc, s[6:7]
	s_and_saveexec_b64 s[12:13], s[6:7]
	s_cbranch_execz .LBB4_10
; %bb.7:
	v_mov_b32_e32 v1, 0
	ds_read_b32 v13, v1 offset:40
	v_add_u32_e32 v12, 1, v0
	s_waitcnt lgkmcnt(0)
	v_readfirstlane_b32 s6, v13
	s_cmp_eq_u32 s6, 0
	s_cselect_b64 s[16:17], -1, 0
	v_cmp_gt_i32_e32 vcc, s6, v12
	s_or_b64 s[16:17], s[16:17], vcc
	s_and_b64 exec, exec, s[16:17]
	s_cbranch_execz .LBB4_10
; %bb.8:
	s_mov_b64 s[16:17], 0
	v_mov_b32_e32 v13, s6
.LBB4_9:                                ; =>This Inner Loop Header: Depth=1
	ds_cmpst_rtn_b32 v13, v1, v13, v12 offset:40
	s_waitcnt lgkmcnt(0)
	v_cmp_ne_u32_e32 vcc, 0, v13
	v_cmp_le_i32_e64 s[6:7], v13, v12
	s_and_b64 s[6:7], vcc, s[6:7]
	s_and_b64 s[6:7], exec, s[6:7]
	s_or_b64 s[16:17], s[6:7], s[16:17]
	s_andn2_b64 exec, exec, s[16:17]
	s_cbranch_execnz .LBB4_9
.LBB4_10:
	s_or_b64 exec, exec, s[12:13]
	v_mov_b32_e32 v12, 0
	s_waitcnt lgkmcnt(0)
	; wave barrier
	ds_read_b32 v1, v12 offset:40
	s_and_saveexec_b64 s[6:7], s[4:5]
	s_cbranch_execz .LBB4_12
; %bb.11:
	s_lshl_b64 s[12:13], s[8:9], 2
	s_add_u32 s12, s14, s12
	s_addc_u32 s13, s15, s13
	s_waitcnt lgkmcnt(0)
	global_store_dword v12, v1, s[12:13]
.LBB4_12:
	s_or_b64 exec, exec, s[6:7]
	s_waitcnt lgkmcnt(0)
	v_cmp_ne_u32_e32 vcc, 0, v1
	s_mov_b64 s[6:7], 0
	s_cbranch_vccnz .LBB4_32
; %bb.13:
	buffer_load_dword v18, v17, s[0:3], 0 offen offset:4
	buffer_load_dword v13, v17, s[0:3], 0 offen
	s_waitcnt vmcnt(1)
	v_cmp_gt_f32_e32 vcc, 0, v18
	v_cndmask_b32_e64 v1, v18, -v18, vcc
	s_waitcnt vmcnt(0)
	v_cmp_gt_f32_e32 vcc, 0, v13
	v_cndmask_b32_e64 v12, v13, -v13, vcc
	v_cmp_ngt_f32_e32 vcc, v12, v1
                                        ; implicit-def: $vgpr1
                                        ; implicit-def: $vgpr12
	s_and_saveexec_b64 s[6:7], vcc
	s_xor_b64 s[6:7], exec, s[6:7]
                                        ; implicit-def: $vgpr14_vgpr15
	s_cbranch_execz .LBB4_15
; %bb.14:
	v_div_scale_f32 v1, s[12:13], v18, v18, v13
	v_rcp_f32_e32 v12, v1
	v_div_scale_f32 v14, vcc, v13, v18, v13
	v_fma_f32 v15, -v1, v12, 1.0
	v_fmac_f32_e32 v12, v15, v12
	v_mul_f32_e32 v15, v14, v12
	v_fma_f32 v19, -v1, v15, v14
	v_fmac_f32_e32 v15, v19, v12
	v_fma_f32 v1, -v1, v15, v14
	v_div_fmas_f32 v1, v1, v12, v15
	v_div_fixup_f32 v12, v1, v18, v13
	v_fmac_f32_e32 v18, v13, v12
	v_div_scale_f32 v1, s[12:13], v18, v18, -1.0
	v_rcp_f32_e32 v13, v1
	v_fma_f32 v14, -v1, v13, 1.0
	v_fmac_f32_e32 v13, v14, v13
	v_div_scale_f32 v14, vcc, -1.0, v18, -1.0
	v_mul_f32_e32 v15, v14, v13
	v_fma_f32 v19, -v1, v15, v14
	v_fmac_f32_e32 v15, v19, v13
	v_fma_f32 v1, -v1, v15, v14
	v_div_fmas_f32 v1, v1, v13, v15
	v_div_fixup_f32 v1, v1, v18, -1.0
	v_mul_f32_e32 v12, v12, v1
	v_xor_b32_e32 v14, 0x80000000, v12
                                        ; implicit-def: $vgpr13
                                        ; implicit-def: $vgpr18
.LBB4_15:
	s_andn2_saveexec_b64 s[6:7], s[6:7]
	s_cbranch_execz .LBB4_17
; %bb.16:
	v_div_scale_f32 v1, s[12:13], v13, v13, v18
	v_rcp_f32_e32 v12, v1
	v_div_scale_f32 v14, vcc, v18, v13, v18
	v_fma_f32 v15, -v1, v12, 1.0
	v_fmac_f32_e32 v12, v15, v12
	v_mul_f32_e32 v15, v14, v12
	v_fma_f32 v19, -v1, v15, v14
	v_fmac_f32_e32 v15, v19, v12
	v_fma_f32 v1, -v1, v15, v14
	v_div_fmas_f32 v1, v1, v12, v15
	v_div_fixup_f32 v1, v1, v13, v18
	v_fmac_f32_e32 v13, v18, v1
	v_div_scale_f32 v12, s[12:13], v13, v13, 1.0
	v_rcp_f32_e32 v14, v12
	v_fma_f32 v15, -v12, v14, 1.0
	v_fmac_f32_e32 v14, v15, v14
	v_div_scale_f32 v15, vcc, 1.0, v13, 1.0
	v_mul_f32_e32 v18, v15, v14
	v_fma_f32 v19, -v12, v18, v15
	v_fmac_f32_e32 v18, v19, v14
	v_fma_f32 v12, -v12, v18, v15
	v_div_fmas_f32 v12, v12, v14, v18
	v_div_fixup_f32 v14, v12, v13, 1.0
	v_xor_b32_e32 v12, 0x80000000, v14
	v_mul_f32_e64 v1, v1, -v14
.LBB4_17:
	s_or_b64 exec, exec, s[6:7]
	buffer_store_dword v1, v17, s[0:3], 0 offen offset:4
	buffer_store_dword v14, v17, s[0:3], 0 offen
	buffer_load_dword v15, off, s[0:3], 0 offset:12
	s_nop 0
	buffer_load_dword v14, off, s[0:3], 0 offset:8
	v_xor_b32_e32 v13, 0x80000000, v1
	v_add_u32_e32 v1, 48, v16
	s_waitcnt vmcnt(0)
	ds_write2_b64 v16, v[12:13], v[14:15] offset1:6
	s_waitcnt lgkmcnt(0)
	; wave barrier
	s_waitcnt lgkmcnt(0)
	s_and_saveexec_b64 s[6:7], s[4:5]
	s_cbranch_execz .LBB4_19
; %bb.18:
	buffer_load_dword v18, v17, s[0:3], 0 offen offset:4
	buffer_load_dword v19, v17, s[0:3], 0 offen
	ds_read_b64 v[12:13], v1
	v_mov_b32_e32 v14, 0
	ds_read_b64 v[14:15], v14 offset:8
	s_waitcnt vmcnt(1) lgkmcnt(1)
	v_mul_f32_e32 v20, v13, v18
	v_mul_f32_e32 v18, v12, v18
	s_waitcnt vmcnt(0)
	v_fmac_f32_e32 v18, v13, v19
	v_fma_f32 v12, v12, v19, -v20
	v_add_f32_e32 v13, 0, v18
	v_add_f32_e32 v12, 0, v12
	s_waitcnt lgkmcnt(0)
	v_mul_f32_e32 v18, v13, v15
	v_mul_f32_e32 v15, v12, v15
	v_fma_f32 v12, v12, v14, -v18
	v_fmac_f32_e32 v15, v13, v14
	buffer_store_dword v12, off, s[0:3], 0 offset:8
	buffer_store_dword v15, off, s[0:3], 0 offset:12
.LBB4_19:
	s_or_b64 exec, exec, s[6:7]
	s_waitcnt lgkmcnt(0)
	; wave barrier
	buffer_load_dword v12, off, s[0:3], 0 offset:16
	buffer_load_dword v13, off, s[0:3], 0 offset:20
	v_cmp_gt_u32_e32 vcc, 2, v0
	s_waitcnt vmcnt(0)
	ds_write_b64 v1, v[12:13]
	s_waitcnt lgkmcnt(0)
	; wave barrier
	s_waitcnt lgkmcnt(0)
	s_and_saveexec_b64 s[6:7], vcc
	s_cbranch_execz .LBB4_23
; %bb.20:
	buffer_load_dword v14, v17, s[0:3], 0 offen offset:4
	buffer_load_dword v15, v17, s[0:3], 0 offen
	ds_read_b64 v[12:13], v1
	s_waitcnt vmcnt(1) lgkmcnt(0)
	v_mul_f32_e32 v17, v13, v14
	v_mul_f32_e32 v14, v12, v14
	s_waitcnt vmcnt(0)
	v_fma_f32 v12, v12, v15, -v17
	v_fmac_f32_e32 v14, v13, v15
	v_add_f32_e32 v13, 0, v12
	v_add_f32_e32 v12, 0, v14
	s_and_saveexec_b64 s[12:13], s[4:5]
	s_cbranch_execz .LBB4_22
; %bb.21:
	buffer_load_dword v17, off, s[0:3], 0 offset:12
	buffer_load_dword v18, off, s[0:3], 0 offset:8
	v_mov_b32_e32 v14, 0
	ds_read_b64 v[14:15], v14 offset:56
	s_waitcnt vmcnt(1) lgkmcnt(0)
	v_mul_f32_e32 v19, v14, v17
	v_mul_f32_e32 v17, v15, v17
	s_waitcnt vmcnt(0)
	v_fmac_f32_e32 v19, v15, v18
	v_fma_f32 v14, v14, v18, -v17
	v_add_f32_e32 v12, v12, v19
	v_add_f32_e32 v13, v13, v14
.LBB4_22:
	s_or_b64 exec, exec, s[12:13]
	v_mov_b32_e32 v14, 0
	ds_read_b64 v[14:15], v14 offset:16
	s_waitcnt lgkmcnt(0)
	v_mul_f32_e32 v17, v12, v15
	v_mul_f32_e32 v15, v13, v15
	v_fma_f32 v13, v13, v14, -v17
	v_fmac_f32_e32 v15, v12, v14
	buffer_store_dword v13, off, s[0:3], 0 offset:16
	buffer_store_dword v15, off, s[0:3], 0 offset:20
.LBB4_23:
	s_or_b64 exec, exec, s[6:7]
	s_waitcnt lgkmcnt(0)
	; wave barrier
	buffer_load_dword v12, off, s[0:3], 0 offset:24
	buffer_load_dword v13, off, s[0:3], 0 offset:28
	v_cmp_gt_u32_e32 vcc, 3, v0
	s_waitcnt vmcnt(0)
	ds_write_b64 v1, v[12:13]
	v_add_u32_e32 v12, -1, v0
	s_waitcnt lgkmcnt(0)
	; wave barrier
	s_waitcnt lgkmcnt(0)
	s_and_saveexec_b64 s[4:5], vcc
	s_cbranch_execz .LBB4_27
; %bb.24:
	v_add_u32_e32 v14, -1, v0
	v_add_u32_e32 v15, 48, v16
	v_add_u32_e32 v17, 0, v16
	s_mov_b64 s[6:7], 0
	v_mov_b32_e32 v13, 0
	v_mov_b32_e32 v18, 0
.LBB4_25:                               ; =>This Inner Loop Header: Depth=1
	buffer_load_dword v19, v17, s[0:3], 0 offen offset:4
	buffer_load_dword v22, v17, s[0:3], 0 offen
	ds_read_b64 v[20:21], v15
	v_add_u32_e32 v14, 1, v14
	v_cmp_lt_u32_e32 vcc, 1, v14
	v_add_u32_e32 v15, 8, v15
	v_add_u32_e32 v17, 8, v17
	s_or_b64 s[6:7], vcc, s[6:7]
	s_waitcnt vmcnt(1) lgkmcnt(0)
	v_mul_f32_e32 v23, v21, v19
	v_mul_f32_e32 v19, v20, v19
	s_waitcnt vmcnt(0)
	v_fma_f32 v20, v20, v22, -v23
	v_fmac_f32_e32 v19, v21, v22
	v_add_f32_e32 v18, v18, v20
	v_add_f32_e32 v13, v13, v19
	s_andn2_b64 exec, exec, s[6:7]
	s_cbranch_execnz .LBB4_25
; %bb.26:
	s_or_b64 exec, exec, s[6:7]
	v_mov_b32_e32 v14, 0
	ds_read_b64 v[14:15], v14 offset:24
	s_waitcnt lgkmcnt(0)
	v_mul_f32_e32 v17, v13, v15
	v_mul_f32_e32 v15, v18, v15
	v_fma_f32 v17, v18, v14, -v17
	v_fmac_f32_e32 v15, v13, v14
	buffer_store_dword v17, off, s[0:3], 0 offset:24
	buffer_store_dword v15, off, s[0:3], 0 offset:28
.LBB4_27:
	s_or_b64 exec, exec, s[4:5]
	s_waitcnt lgkmcnt(0)
	; wave barrier
	buffer_load_dword v14, off, s[0:3], 0 offset:32
	buffer_load_dword v15, off, s[0:3], 0 offset:36
	v_cmp_ne_u32_e32 vcc, 4, v0
	s_waitcnt vmcnt(0)
	ds_write_b64 v1, v[14:15]
	s_waitcnt lgkmcnt(0)
	; wave barrier
	s_waitcnt lgkmcnt(0)
	s_and_saveexec_b64 s[4:5], vcc
	s_cbranch_execz .LBB4_31
; %bb.28:
	v_add_u32_e32 v14, 0, v16
	s_mov_b64 s[6:7], 0
	v_mov_b32_e32 v13, 0
	v_mov_b32_e32 v15, 0
.LBB4_29:                               ; =>This Inner Loop Header: Depth=1
	buffer_load_dword v18, v14, s[0:3], 0 offen offset:4
	buffer_load_dword v19, v14, s[0:3], 0 offen
	ds_read_b64 v[16:17], v1
	v_add_u32_e32 v12, 1, v12
	v_cmp_lt_u32_e32 vcc, 2, v12
	v_add_u32_e32 v1, 8, v1
	v_add_u32_e32 v14, 8, v14
	s_or_b64 s[6:7], vcc, s[6:7]
	s_waitcnt vmcnt(1) lgkmcnt(0)
	v_mul_f32_e32 v20, v17, v18
	v_mul_f32_e32 v18, v16, v18
	s_waitcnt vmcnt(0)
	v_fma_f32 v16, v16, v19, -v20
	v_fmac_f32_e32 v18, v17, v19
	v_add_f32_e32 v15, v15, v16
	v_add_f32_e32 v13, v13, v18
	s_andn2_b64 exec, exec, s[6:7]
	s_cbranch_execnz .LBB4_29
; %bb.30:
	s_or_b64 exec, exec, s[6:7]
	v_mov_b32_e32 v1, 0
	ds_read_b64 v[16:17], v1 offset:32
	s_waitcnt lgkmcnt(0)
	v_mul_f32_e32 v1, v13, v17
	v_mul_f32_e32 v12, v15, v17
	v_fma_f32 v1, v15, v16, -v1
	v_fmac_f32_e32 v12, v13, v16
	buffer_store_dword v1, off, s[0:3], 0 offset:32
	buffer_store_dword v12, off, s[0:3], 0 offset:36
.LBB4_31:
	s_or_b64 exec, exec, s[4:5]
	s_mov_b64 s[6:7], -1
	s_waitcnt lgkmcnt(0)
	; wave barrier
.LBB4_32:
	s_and_b64 vcc, exec, s[6:7]
	s_cbranch_vccz .LBB4_34
; %bb.33:
	s_lshl_b64 s[4:5], s[8:9], 2
	s_add_u32 s4, s14, s4
	s_addc_u32 s5, s15, s5
	v_mov_b32_e32 v1, 0
	global_load_dword v1, v1, s[4:5]
	s_waitcnt vmcnt(0)
	v_cmp_ne_u32_e32 vcc, 0, v1
	s_cbranch_vccz .LBB4_35
.LBB4_34:
	s_endpgm
.LBB4_35:
	v_lshl_add_u32 v1, v0, 3, 48
	v_cmp_eq_u32_e32 vcc, 4, v0
	s_and_saveexec_b64 s[4:5], vcc
	s_cbranch_execz .LBB4_37
; %bb.36:
	buffer_load_dword v12, off, s[0:3], 0 offset:24
	buffer_load_dword v13, off, s[0:3], 0 offset:28
	v_mov_b32_e32 v14, 0
	buffer_store_dword v14, off, s[0:3], 0 offset:24
	buffer_store_dword v14, off, s[0:3], 0 offset:28
	s_waitcnt vmcnt(2)
	ds_write_b64 v1, v[12:13]
.LBB4_37:
	s_or_b64 exec, exec, s[4:5]
	s_waitcnt lgkmcnt(0)
	; wave barrier
	s_waitcnt lgkmcnt(0)
	buffer_load_dword v15, off, s[0:3], 0 offset:36
	buffer_load_dword v14, off, s[0:3], 0 offset:32
	;; [unrolled: 1-line block ×4, first 2 shown]
	v_mov_b32_e32 v12, 0
	ds_read_b64 v[18:19], v12 offset:80
	v_cmp_lt_u32_e32 vcc, 2, v0
	s_waitcnt vmcnt(3)
	v_mov_b32_e32 v20, v15
	s_waitcnt lgkmcnt(0)
	v_pk_mul_f32 v[20:21], v[18:19], v[20:21] op_sel_hi:[1,0]
	s_waitcnt vmcnt(2)
	v_pk_fma_f32 v[22:23], v[18:19], v[14:15], v[20:21] op_sel:[0,0,1] op_sel_hi:[1,1,0] neg_lo:[0,0,1] neg_hi:[0,0,1]
	v_pk_fma_f32 v[14:15], v[18:19], v[14:15], v[20:21] op_sel:[0,0,1] op_sel_hi:[1,0,0]
	v_mov_b32_e32 v23, v15
	v_pk_add_f32 v[14:15], v[22:23], 0 op_sel_hi:[1,0]
	s_waitcnt vmcnt(0)
	v_pk_add_f32 v[14:15], v[16:17], v[14:15] neg_lo:[0,1] neg_hi:[0,1]
	buffer_store_dword v14, off, s[0:3], 0 offset:24
	buffer_store_dword v15, off, s[0:3], 0 offset:28
	s_and_saveexec_b64 s[4:5], vcc
	s_cbranch_execz .LBB4_39
; %bb.38:
	buffer_load_dword v14, off, s[0:3], 0 offset:16
	buffer_load_dword v15, off, s[0:3], 0 offset:20
	s_waitcnt vmcnt(0)
	ds_write_b64 v1, v[14:15]
	buffer_store_dword v12, off, s[0:3], 0 offset:16
	buffer_store_dword v12, off, s[0:3], 0 offset:20
.LBB4_39:
	s_or_b64 exec, exec, s[4:5]
	s_waitcnt lgkmcnt(0)
	; wave barrier
	s_waitcnt lgkmcnt(0)
	buffer_load_dword v17, off, s[0:3], 0 offset:28
	buffer_load_dword v19, off, s[0:3], 0 offset:36
	;; [unrolled: 1-line block ×6, first 2 shown]
	ds_read2_b64 v[12:15], v12 offset0:9 offset1:10
	v_cmp_lt_u32_e32 vcc, 1, v0
	s_waitcnt vmcnt(5)
	v_mov_b32_e32 v22, v17
	s_waitcnt vmcnt(4)
	v_mov_b32_e32 v24, v19
	s_waitcnt lgkmcnt(0)
	v_pk_mul_f32 v[22:23], v[12:13], v[22:23] op_sel_hi:[1,0]
	v_pk_mul_f32 v[24:25], v[14:15], v[24:25] op_sel_hi:[1,0]
	s_waitcnt vmcnt(3)
	v_pk_fma_f32 v[26:27], v[12:13], v[16:17], v[22:23] op_sel:[0,0,1] op_sel_hi:[1,1,0] neg_lo:[0,0,1] neg_hi:[0,0,1]
	v_pk_fma_f32 v[12:13], v[12:13], v[16:17], v[22:23] op_sel:[0,0,1] op_sel_hi:[1,0,0]
	s_waitcnt vmcnt(2)
	v_pk_fma_f32 v[16:17], v[14:15], v[18:19], v[24:25] op_sel:[0,0,1] op_sel_hi:[1,1,0] neg_lo:[0,0,1] neg_hi:[0,0,1]
	v_pk_fma_f32 v[14:15], v[14:15], v[18:19], v[24:25] op_sel:[0,0,1] op_sel_hi:[1,0,0]
	v_mov_b32_e32 v27, v13
	v_mov_b32_e32 v17, v15
	v_pk_add_f32 v[12:13], v[26:27], 0 op_sel_hi:[1,0]
	v_pk_add_f32 v[12:13], v[12:13], v[16:17]
	s_waitcnt vmcnt(0)
	v_pk_add_f32 v[12:13], v[20:21], v[12:13] neg_lo:[0,1] neg_hi:[0,1]
	buffer_store_dword v12, off, s[0:3], 0 offset:16
	buffer_store_dword v13, off, s[0:3], 0 offset:20
	s_and_saveexec_b64 s[4:5], vcc
	s_cbranch_execz .LBB4_41
; %bb.40:
	buffer_load_dword v12, off, s[0:3], 0 offset:8
	buffer_load_dword v13, off, s[0:3], 0 offset:12
	v_mov_b32_e32 v14, 0
	buffer_store_dword v14, off, s[0:3], 0 offset:8
	buffer_store_dword v14, off, s[0:3], 0 offset:12
	s_waitcnt vmcnt(2)
	ds_write_b64 v1, v[12:13]
.LBB4_41:
	s_or_b64 exec, exec, s[4:5]
	s_waitcnt lgkmcnt(0)
	; wave barrier
	s_waitcnt lgkmcnt(0)
	buffer_load_dword v19, off, s[0:3], 0 offset:20
	buffer_load_dword v21, off, s[0:3], 0 offset:28
	buffer_load_dword v23, off, s[0:3], 0 offset:36
	buffer_load_dword v18, off, s[0:3], 0 offset:16
	buffer_load_dword v20, off, s[0:3], 0 offset:24
	buffer_load_dword v22, off, s[0:3], 0 offset:32
	buffer_load_dword v24, off, s[0:3], 0 offset:8
	buffer_load_dword v25, off, s[0:3], 0 offset:12
	v_mov_b32_e32 v12, 0
	ds_read_b128 v[14:17], v12 offset:64
	ds_read_b64 v[26:27], v12 offset:80
	v_cmp_ne_u32_e32 vcc, 0, v0
	s_waitcnt vmcnt(7)
	v_mov_b32_e32 v28, v19
	s_waitcnt vmcnt(6)
	v_mov_b32_e32 v30, v21
	s_waitcnt lgkmcnt(1)
	v_pk_mul_f32 v[28:29], v[14:15], v[28:29] op_sel_hi:[1,0]
	s_waitcnt vmcnt(5)
	v_mov_b32_e32 v32, v23
	v_pk_mul_f32 v[30:31], v[16:17], v[30:31] op_sel_hi:[1,0]
	s_waitcnt vmcnt(4)
	v_pk_fma_f32 v[34:35], v[14:15], v[18:19], v[28:29] op_sel:[0,0,1] op_sel_hi:[1,1,0] neg_lo:[0,0,1] neg_hi:[0,0,1]
	v_pk_fma_f32 v[14:15], v[14:15], v[18:19], v[28:29] op_sel:[0,0,1] op_sel_hi:[1,0,0]
	s_waitcnt lgkmcnt(0)
	v_pk_mul_f32 v[32:33], v[26:27], v[32:33] op_sel_hi:[1,0]
	s_waitcnt vmcnt(3)
	v_pk_fma_f32 v[18:19], v[16:17], v[20:21], v[30:31] op_sel:[0,0,1] op_sel_hi:[1,1,0] neg_lo:[0,0,1] neg_hi:[0,0,1]
	v_pk_fma_f32 v[16:17], v[16:17], v[20:21], v[30:31] op_sel:[0,0,1] op_sel_hi:[1,0,0]
	v_mov_b32_e32 v35, v15
	s_waitcnt vmcnt(2)
	v_pk_fma_f32 v[20:21], v[26:27], v[22:23], v[32:33] op_sel:[0,0,1] op_sel_hi:[1,1,0] neg_lo:[0,0,1] neg_hi:[0,0,1]
	v_pk_fma_f32 v[22:23], v[26:27], v[22:23], v[32:33] op_sel:[0,0,1] op_sel_hi:[1,0,0]
	v_mov_b32_e32 v19, v17
	v_pk_add_f32 v[14:15], v[34:35], 0 op_sel_hi:[1,0]
	v_mov_b32_e32 v21, v23
	v_pk_add_f32 v[14:15], v[14:15], v[18:19]
	v_pk_add_f32 v[14:15], v[14:15], v[20:21]
	s_waitcnt vmcnt(0)
	v_pk_add_f32 v[14:15], v[24:25], v[14:15] neg_lo:[0,1] neg_hi:[0,1]
	buffer_store_dword v14, off, s[0:3], 0 offset:8
	buffer_store_dword v15, off, s[0:3], 0 offset:12
	s_and_saveexec_b64 s[4:5], vcc
	s_cbranch_execz .LBB4_43
; %bb.42:
	buffer_load_dword v14, off, s[0:3], 0
	buffer_load_dword v15, off, s[0:3], 0 offset:4
	s_waitcnt vmcnt(0)
	ds_write_b64 v1, v[14:15]
	buffer_store_dword v12, off, s[0:3], 0
	buffer_store_dword v12, off, s[0:3], 0 offset:4
.LBB4_43:
	s_or_b64 exec, exec, s[4:5]
	s_waitcnt lgkmcnt(0)
	; wave barrier
	s_waitcnt lgkmcnt(0)
	buffer_load_dword v23, off, s[0:3], 0 offset:12
	buffer_load_dword v25, off, s[0:3], 0 offset:20
	;; [unrolled: 1-line block ×8, first 2 shown]
	buffer_load_dword v28, off, s[0:3], 0
	buffer_load_dword v29, off, s[0:3], 0 offset:4
	ds_read2_b64 v[14:17], v12 offset0:7 offset1:8
	ds_read2_b64 v[18:21], v12 offset0:9 offset1:10
	s_and_b64 vcc, exec, s[20:21]
	s_waitcnt vmcnt(9)
	v_mov_b32_e32 v12, v23
	s_waitcnt vmcnt(8)
	v_mov_b32_e32 v30, v25
	s_waitcnt lgkmcnt(1)
	v_pk_mul_f32 v[12:13], v[14:15], v[12:13] op_sel_hi:[1,0]
	s_waitcnt vmcnt(7)
	v_mov_b32_e32 v32, v1
	v_pk_mul_f32 v[30:31], v[16:17], v[30:31] op_sel_hi:[1,0]
	s_waitcnt vmcnt(5)
	v_pk_fma_f32 v[36:37], v[14:15], v[22:23], v[12:13] op_sel:[0,0,1] op_sel_hi:[1,1,0] neg_lo:[0,0,1] neg_hi:[0,0,1]
	v_pk_fma_f32 v[12:13], v[14:15], v[22:23], v[12:13] op_sel:[0,0,1] op_sel_hi:[1,0,0]
	v_mov_b32_e32 v34, v27
	s_waitcnt lgkmcnt(0)
	v_pk_mul_f32 v[32:33], v[18:19], v[32:33] op_sel_hi:[1,0]
	s_waitcnt vmcnt(4)
	v_pk_fma_f32 v[14:15], v[16:17], v[24:25], v[30:31] op_sel:[0,0,1] op_sel_hi:[1,1,0] neg_lo:[0,0,1] neg_hi:[0,0,1]
	v_pk_fma_f32 v[16:17], v[16:17], v[24:25], v[30:31] op_sel:[0,0,1] op_sel_hi:[1,0,0]
	v_mov_b32_e32 v37, v13
	v_pk_mul_f32 v[34:35], v[20:21], v[34:35] op_sel_hi:[1,0]
	s_waitcnt vmcnt(3)
	v_pk_fma_f32 v[22:23], v[18:19], v[0:1], v[32:33] op_sel:[0,0,1] op_sel_hi:[1,1,0] neg_lo:[0,0,1] neg_hi:[0,0,1]
	v_pk_fma_f32 v[18:19], v[18:19], v[0:1], v[32:33] op_sel:[0,0,1] op_sel_hi:[1,0,0]
	v_mov_b32_e32 v15, v17
	v_pk_add_f32 v[12:13], v[36:37], 0 op_sel_hi:[1,0]
	s_waitcnt vmcnt(2)
	v_pk_fma_f32 v[24:25], v[20:21], v[26:27], v[34:35] op_sel:[0,0,1] op_sel_hi:[1,1,0] neg_lo:[0,0,1] neg_hi:[0,0,1]
	v_pk_fma_f32 v[20:21], v[20:21], v[26:27], v[34:35] op_sel:[0,0,1] op_sel_hi:[1,0,0]
	v_mov_b32_e32 v23, v19
	v_pk_add_f32 v[12:13], v[12:13], v[14:15]
	v_mov_b32_e32 v25, v21
	v_pk_add_f32 v[12:13], v[12:13], v[22:23]
	v_pk_add_f32 v[12:13], v[12:13], v[24:25]
	s_waitcnt vmcnt(0)
	v_pk_add_f32 v[12:13], v[28:29], v[12:13] neg_lo:[0,1] neg_hi:[0,1]
	buffer_store_dword v12, off, s[0:3], 0
	buffer_store_dword v13, off, s[0:3], 0 offset:4
	s_cbranch_vccz .LBB4_53
; %bb.44:
	v_pk_mov_b32 v[12:13], s[10:11], s[10:11] op_sel:[0,1]
	flat_load_dword v12, v[12:13] offset:12
	s_waitcnt vmcnt(0) lgkmcnt(0)
	v_add_u32_e32 v12, -1, v12
	v_cmp_ne_u32_e32 vcc, 3, v12
	s_and_saveexec_b64 s[4:5], vcc
	s_cbranch_execz .LBB4_46
; %bb.45:
	v_mov_b32_e32 v13, 0
	v_lshl_add_u32 v12, v12, 3, v13
	buffer_load_dword v13, v12, s[0:3], 0 offen
	buffer_load_dword v14, v12, s[0:3], 0 offen offset:4
	s_waitcnt vmcnt(1)
	buffer_store_dword v13, off, s[0:3], 0 offset:24
	s_waitcnt vmcnt(1)
	buffer_store_dword v14, off, s[0:3], 0 offset:28
	buffer_store_dword v0, v12, s[0:3], 0 offen
	buffer_store_dword v1, v12, s[0:3], 0 offen offset:4
.LBB4_46:
	s_or_b64 exec, exec, s[4:5]
	v_pk_mov_b32 v[0:1], s[10:11], s[10:11] op_sel:[0,1]
	flat_load_dword v0, v[0:1] offset:8
	s_waitcnt vmcnt(0) lgkmcnt(0)
	v_add_u32_e32 v0, -1, v0
	v_cmp_ne_u32_e32 vcc, 2, v0
	s_and_saveexec_b64 s[4:5], vcc
	s_cbranch_execz .LBB4_48
; %bb.47:
	v_mov_b32_e32 v1, 0
	v_lshl_add_u32 v0, v0, 3, v1
	buffer_load_dword v1, v0, s[0:3], 0 offen
	buffer_load_dword v12, v0, s[0:3], 0 offen offset:4
	buffer_load_dword v13, off, s[0:3], 0 offset:20
	buffer_load_dword v14, off, s[0:3], 0 offset:16
	s_waitcnt vmcnt(3)
	buffer_store_dword v1, off, s[0:3], 0 offset:16
	s_waitcnt vmcnt(3)
	buffer_store_dword v12, off, s[0:3], 0 offset:20
	s_waitcnt vmcnt(3)
	buffer_store_dword v13, v0, s[0:3], 0 offen offset:4
	s_waitcnt vmcnt(3)
	buffer_store_dword v14, v0, s[0:3], 0 offen
.LBB4_48:
	s_or_b64 exec, exec, s[4:5]
	v_pk_mov_b32 v[0:1], s[10:11], s[10:11] op_sel:[0,1]
	flat_load_dword v0, v[0:1] offset:4
	s_waitcnt vmcnt(0) lgkmcnt(0)
	v_add_u32_e32 v0, -1, v0
	v_cmp_ne_u32_e32 vcc, 1, v0
	s_and_saveexec_b64 s[4:5], vcc
	s_cbranch_execz .LBB4_50
; %bb.49:
	v_mov_b32_e32 v1, 0
	v_lshl_add_u32 v0, v0, 3, v1
	buffer_load_dword v1, v0, s[0:3], 0 offen
	buffer_load_dword v12, v0, s[0:3], 0 offen offset:4
	buffer_load_dword v13, off, s[0:3], 0 offset:8
	buffer_load_dword v14, off, s[0:3], 0 offset:12
	s_waitcnt vmcnt(3)
	buffer_store_dword v1, off, s[0:3], 0 offset:8
	s_waitcnt vmcnt(3)
	buffer_store_dword v12, off, s[0:3], 0 offset:12
	s_waitcnt vmcnt(3)
	buffer_store_dword v13, v0, s[0:3], 0 offen
	s_waitcnt vmcnt(3)
	buffer_store_dword v14, v0, s[0:3], 0 offen offset:4
.LBB4_50:
	s_or_b64 exec, exec, s[4:5]
	v_pk_mov_b32 v[0:1], s[10:11], s[10:11] op_sel:[0,1]
	flat_load_dword v0, v[0:1]
	s_nop 0
	buffer_load_dword v12, off, s[0:3], 0
	buffer_load_dword v13, off, s[0:3], 0 offset:4
	s_waitcnt vmcnt(0) lgkmcnt(0)
	v_add_u32_e32 v0, -1, v0
	v_cmp_ne_u32_e32 vcc, 0, v0
	s_and_saveexec_b64 s[4:5], vcc
	s_cbranch_execz .LBB4_52
; %bb.51:
	v_mov_b32_e32 v1, 0
	v_lshl_add_u32 v0, v0, 3, v1
	buffer_load_dword v1, v0, s[0:3], 0 offen offset:4
	buffer_load_dword v14, v0, s[0:3], 0 offen
	s_waitcnt vmcnt(1)
	buffer_store_dword v1, off, s[0:3], 0 offset:4
	s_waitcnt vmcnt(1)
	buffer_store_dword v14, off, s[0:3], 0
	buffer_store_dword v13, v0, s[0:3], 0 offen offset:4
	buffer_store_dword v12, v0, s[0:3], 0 offen
	buffer_load_dword v12, off, s[0:3], 0
	s_nop 0
	buffer_load_dword v13, off, s[0:3], 0 offset:4
.LBB4_52:
	s_or_b64 exec, exec, s[4:5]
.LBB4_53:
	buffer_load_dword v0, off, s[0:3], 0 offset:8
	buffer_load_dword v1, off, s[0:3], 0 offset:12
	;; [unrolled: 1-line block ×8, first 2 shown]
	s_waitcnt vmcnt(8)
	global_store_dwordx2 v[2:3], v[12:13], off
	s_waitcnt vmcnt(7)
	global_store_dwordx2 v[4:5], v[0:1], off
	;; [unrolled: 2-line block ×5, first 2 shown]
	s_endpgm
	.section	.rodata,"a",@progbits
	.p2align	6, 0x0
	.amdhsa_kernel _ZN9rocsolver6v33100L18getri_kernel_smallILi5E19rocblas_complex_numIfEPS3_EEvT1_iilPiilS6_bb
		.amdhsa_group_segment_fixed_size 88
		.amdhsa_private_segment_fixed_size 48
		.amdhsa_kernarg_size 60
		.amdhsa_user_sgpr_count 8
		.amdhsa_user_sgpr_private_segment_buffer 1
		.amdhsa_user_sgpr_dispatch_ptr 0
		.amdhsa_user_sgpr_queue_ptr 0
		.amdhsa_user_sgpr_kernarg_segment_ptr 1
		.amdhsa_user_sgpr_dispatch_id 0
		.amdhsa_user_sgpr_flat_scratch_init 1
		.amdhsa_user_sgpr_kernarg_preload_length 0
		.amdhsa_user_sgpr_kernarg_preload_offset 0
		.amdhsa_user_sgpr_private_segment_size 0
		.amdhsa_uses_dynamic_stack 0
		.amdhsa_system_sgpr_private_segment_wavefront_offset 1
		.amdhsa_system_sgpr_workgroup_id_x 1
		.amdhsa_system_sgpr_workgroup_id_y 0
		.amdhsa_system_sgpr_workgroup_id_z 0
		.amdhsa_system_sgpr_workgroup_info 0
		.amdhsa_system_vgpr_workitem_id 0
		.amdhsa_next_free_vgpr 38
		.amdhsa_next_free_sgpr 23
		.amdhsa_accum_offset 40
		.amdhsa_reserve_vcc 1
		.amdhsa_reserve_flat_scratch 1
		.amdhsa_float_round_mode_32 0
		.amdhsa_float_round_mode_16_64 0
		.amdhsa_float_denorm_mode_32 3
		.amdhsa_float_denorm_mode_16_64 3
		.amdhsa_dx10_clamp 1
		.amdhsa_ieee_mode 1
		.amdhsa_fp16_overflow 0
		.amdhsa_tg_split 0
		.amdhsa_exception_fp_ieee_invalid_op 0
		.amdhsa_exception_fp_denorm_src 0
		.amdhsa_exception_fp_ieee_div_zero 0
		.amdhsa_exception_fp_ieee_overflow 0
		.amdhsa_exception_fp_ieee_underflow 0
		.amdhsa_exception_fp_ieee_inexact 0
		.amdhsa_exception_int_div_zero 0
	.end_amdhsa_kernel
	.section	.text._ZN9rocsolver6v33100L18getri_kernel_smallILi5E19rocblas_complex_numIfEPS3_EEvT1_iilPiilS6_bb,"axG",@progbits,_ZN9rocsolver6v33100L18getri_kernel_smallILi5E19rocblas_complex_numIfEPS3_EEvT1_iilPiilS6_bb,comdat
.Lfunc_end4:
	.size	_ZN9rocsolver6v33100L18getri_kernel_smallILi5E19rocblas_complex_numIfEPS3_EEvT1_iilPiilS6_bb, .Lfunc_end4-_ZN9rocsolver6v33100L18getri_kernel_smallILi5E19rocblas_complex_numIfEPS3_EEvT1_iilPiilS6_bb
                                        ; -- End function
	.section	.AMDGPU.csdata,"",@progbits
; Kernel info:
; codeLenInByte = 3932
; NumSgprs: 29
; NumVgprs: 38
; NumAgprs: 0
; TotalNumVgprs: 38
; ScratchSize: 48
; MemoryBound: 0
; FloatMode: 240
; IeeeMode: 1
; LDSByteSize: 88 bytes/workgroup (compile time only)
; SGPRBlocks: 3
; VGPRBlocks: 4
; NumSGPRsForWavesPerEU: 29
; NumVGPRsForWavesPerEU: 38
; AccumOffset: 40
; Occupancy: 8
; WaveLimiterHint : 0
; COMPUTE_PGM_RSRC2:SCRATCH_EN: 1
; COMPUTE_PGM_RSRC2:USER_SGPR: 8
; COMPUTE_PGM_RSRC2:TRAP_HANDLER: 0
; COMPUTE_PGM_RSRC2:TGID_X_EN: 1
; COMPUTE_PGM_RSRC2:TGID_Y_EN: 0
; COMPUTE_PGM_RSRC2:TGID_Z_EN: 0
; COMPUTE_PGM_RSRC2:TIDIG_COMP_CNT: 0
; COMPUTE_PGM_RSRC3_GFX90A:ACCUM_OFFSET: 9
; COMPUTE_PGM_RSRC3_GFX90A:TG_SPLIT: 0
	.section	.text._ZN9rocsolver6v33100L18getri_kernel_smallILi6E19rocblas_complex_numIfEPS3_EEvT1_iilPiilS6_bb,"axG",@progbits,_ZN9rocsolver6v33100L18getri_kernel_smallILi6E19rocblas_complex_numIfEPS3_EEvT1_iilPiilS6_bb,comdat
	.globl	_ZN9rocsolver6v33100L18getri_kernel_smallILi6E19rocblas_complex_numIfEPS3_EEvT1_iilPiilS6_bb ; -- Begin function _ZN9rocsolver6v33100L18getri_kernel_smallILi6E19rocblas_complex_numIfEPS3_EEvT1_iilPiilS6_bb
	.p2align	8
	.type	_ZN9rocsolver6v33100L18getri_kernel_smallILi6E19rocblas_complex_numIfEPS3_EEvT1_iilPiilS6_bb,@function
_ZN9rocsolver6v33100L18getri_kernel_smallILi6E19rocblas_complex_numIfEPS3_EEvT1_iilPiilS6_bb: ; @_ZN9rocsolver6v33100L18getri_kernel_smallILi6E19rocblas_complex_numIfEPS3_EEvT1_iilPiilS6_bb
; %bb.0:
	s_add_u32 flat_scratch_lo, s6, s9
	s_addc_u32 flat_scratch_hi, s7, 0
	s_add_u32 s0, s0, s9
	s_addc_u32 s1, s1, 0
	v_cmp_gt_u32_e32 vcc, 6, v0
	s_and_saveexec_b64 s[6:7], vcc
	s_cbranch_execz .LBB5_38
; %bb.1:
	s_load_dword s22, s[4:5], 0x38
	s_load_dwordx4 s[16:19], s[4:5], 0x10
	s_load_dwordx4 s[12:15], s[4:5], 0x28
                                        ; implicit-def: $sgpr10_sgpr11
	s_waitcnt lgkmcnt(0)
	s_bitcmp1_b32 s22, 8
	s_cselect_b64 s[20:21], -1, 0
	s_ashr_i32 s9, s8, 31
	s_bfe_u32 s6, s22, 0x10008
	s_cmp_eq_u32 s6, 0
	s_cbranch_scc1 .LBB5_3
; %bb.2:
	s_load_dword s6, s[4:5], 0x20
	s_mul_i32 s7, s8, s13
	s_mul_hi_u32 s10, s8, s12
	s_mul_i32 s11, s9, s12
	s_add_i32 s10, s10, s7
	s_add_i32 s11, s10, s11
	s_mul_i32 s10, s8, s12
	s_waitcnt lgkmcnt(0)
	s_ashr_i32 s7, s6, 31
	s_lshl_b64 s[10:11], s[10:11], 2
	s_add_u32 s10, s18, s10
	s_addc_u32 s11, s19, s11
	s_lshl_b64 s[6:7], s[6:7], 2
	s_add_u32 s10, s10, s6
	s_addc_u32 s11, s11, s7
.LBB5_3:
	s_load_dwordx4 s[4:7], s[4:5], 0x0
	s_mul_i32 s12, s8, s17
	s_mul_hi_u32 s13, s8, s16
	s_add_i32 s17, s13, s12
	v_lshlrev_b32_e32 v18, 3, v0
	s_waitcnt lgkmcnt(0)
	s_ashr_i32 s13, s6, 31
	s_mov_b32 s12, s6
	s_mul_i32 s6, s9, s16
	s_add_i32 s17, s17, s6
	s_mul_i32 s16, s8, s16
	s_lshl_b64 s[16:17], s[16:17], 3
	s_add_u32 s6, s4, s16
	s_addc_u32 s16, s5, s17
	s_lshl_b64 s[4:5], s[12:13], 3
	s_add_u32 s4, s6, s4
	s_addc_u32 s5, s16, s5
	v_mov_b32_e32 v1, s5
	v_add_co_u32_e32 v2, vcc, s4, v18
	s_ashr_i32 s13, s7, 31
	s_mov_b32 s12, s7
	s_add_i32 s6, s7, s7
	v_addc_co_u32_e32 v3, vcc, 0, v1, vcc
	s_lshl_b64 s[12:13], s[12:13], 3
	v_add_u32_e32 v8, s6, v0
	v_mov_b32_e32 v1, s13
	v_add_co_u32_e32 v4, vcc, s12, v2
	v_ashrrev_i32_e32 v9, 31, v8
	v_addc_co_u32_e32 v5, vcc, v3, v1, vcc
	v_lshlrev_b64 v[6:7], 3, v[8:9]
	v_add_u32_e32 v10, s7, v8
	v_mov_b32_e32 v1, s5
	v_add_co_u32_e32 v6, vcc, s4, v6
	v_ashrrev_i32_e32 v11, 31, v10
	v_addc_co_u32_e32 v7, vcc, v1, v7, vcc
	v_lshlrev_b64 v[8:9], 3, v[10:11]
	v_add_u32_e32 v12, s7, v10
	v_add_co_u32_e32 v8, vcc, s4, v8
	v_ashrrev_i32_e32 v13, 31, v12
	v_addc_co_u32_e32 v9, vcc, v1, v9, vcc
	v_lshlrev_b64 v[10:11], 3, v[12:13]
	v_add_co_u32_e32 v10, vcc, s4, v10
	global_load_dwordx2 v[14:15], v18, s[4:5]
	v_addc_co_u32_e32 v11, vcc, v1, v11, vcc
	global_load_dwordx2 v[16:17], v[4:5], off
	global_load_dwordx2 v[20:21], v[6:7], off
	;; [unrolled: 1-line block ×4, first 2 shown]
	v_add_u32_e32 v12, s7, v12
	v_ashrrev_i32_e32 v13, 31, v12
	v_lshlrev_b64 v[12:13], 3, v[12:13]
	v_add_co_u32_e32 v12, vcc, s4, v12
	v_addc_co_u32_e32 v13, vcc, v1, v13, vcc
	global_load_dwordx2 v[26:27], v[12:13], off
	s_bitcmp0_b32 s22, 0
	s_mov_b64 s[6:7], -1
	s_waitcnt vmcnt(5)
	buffer_store_dword v15, off, s[0:3], 0 offset:4
	buffer_store_dword v14, off, s[0:3], 0
	s_waitcnt vmcnt(6)
	buffer_store_dword v17, off, s[0:3], 0 offset:12
	buffer_store_dword v16, off, s[0:3], 0 offset:8
	s_waitcnt vmcnt(7)
	buffer_store_dword v21, off, s[0:3], 0 offset:20
	buffer_store_dword v20, off, s[0:3], 0 offset:16
	;; [unrolled: 3-line block ×5, first 2 shown]
	s_cbranch_scc1 .LBB5_36
; %bb.4:
	v_cmp_eq_u32_e64 s[4:5], 0, v0
	s_and_saveexec_b64 s[6:7], s[4:5]
	s_cbranch_execz .LBB5_6
; %bb.5:
	v_mov_b32_e32 v1, 0
	ds_write_b32 v1, v1 offset:96
.LBB5_6:
	s_or_b64 exec, exec, s[6:7]
	v_mov_b32_e32 v1, 0
	v_lshl_add_u32 v19, v0, 3, v1
	s_waitcnt lgkmcnt(0)
	; wave barrier
	s_waitcnt lgkmcnt(0)
	buffer_load_dword v1, v19, s[0:3], 0 offen
	buffer_load_dword v14, v19, s[0:3], 0 offen offset:4
	s_waitcnt vmcnt(1)
	v_cmp_eq_f32_e32 vcc, 0, v1
	s_waitcnt vmcnt(0)
	v_cmp_eq_f32_e64 s[6:7], 0, v14
	s_and_b64 s[6:7], vcc, s[6:7]
	s_and_saveexec_b64 s[12:13], s[6:7]
	s_cbranch_execz .LBB5_10
; %bb.7:
	v_mov_b32_e32 v1, 0
	ds_read_b32 v15, v1 offset:96
	v_add_u32_e32 v14, 1, v0
	s_waitcnt lgkmcnt(0)
	v_readfirstlane_b32 s6, v15
	s_cmp_eq_u32 s6, 0
	s_cselect_b64 s[16:17], -1, 0
	v_cmp_gt_i32_e32 vcc, s6, v14
	s_or_b64 s[16:17], s[16:17], vcc
	s_and_b64 exec, exec, s[16:17]
	s_cbranch_execz .LBB5_10
; %bb.8:
	s_mov_b64 s[16:17], 0
	v_mov_b32_e32 v15, s6
.LBB5_9:                                ; =>This Inner Loop Header: Depth=1
	ds_cmpst_rtn_b32 v15, v1, v15, v14 offset:96
	s_waitcnt lgkmcnt(0)
	v_cmp_ne_u32_e32 vcc, 0, v15
	v_cmp_le_i32_e64 s[6:7], v15, v14
	s_and_b64 s[6:7], vcc, s[6:7]
	s_and_b64 s[6:7], exec, s[6:7]
	s_or_b64 s[16:17], s[6:7], s[16:17]
	s_andn2_b64 exec, exec, s[16:17]
	s_cbranch_execnz .LBB5_9
.LBB5_10:
	s_or_b64 exec, exec, s[12:13]
	v_mov_b32_e32 v14, 0
	s_waitcnt lgkmcnt(0)
	; wave barrier
	ds_read_b32 v1, v14 offset:96
	s_and_saveexec_b64 s[6:7], s[4:5]
	s_cbranch_execz .LBB5_12
; %bb.11:
	s_lshl_b64 s[12:13], s[8:9], 2
	s_add_u32 s12, s14, s12
	s_addc_u32 s13, s15, s13
	s_waitcnt lgkmcnt(0)
	global_store_dword v14, v1, s[12:13]
.LBB5_12:
	s_or_b64 exec, exec, s[6:7]
	s_waitcnt lgkmcnt(0)
	v_cmp_ne_u32_e32 vcc, 0, v1
	s_mov_b64 s[6:7], 0
	s_cbranch_vccnz .LBB5_36
; %bb.13:
	buffer_load_dword v20, v19, s[0:3], 0 offen offset:4
	buffer_load_dword v15, v19, s[0:3], 0 offen
	s_waitcnt vmcnt(1)
	v_cmp_gt_f32_e32 vcc, 0, v20
	v_cndmask_b32_e64 v1, v20, -v20, vcc
	s_waitcnt vmcnt(0)
	v_cmp_gt_f32_e32 vcc, 0, v15
	v_cndmask_b32_e64 v14, v15, -v15, vcc
	v_cmp_ngt_f32_e32 vcc, v14, v1
                                        ; implicit-def: $vgpr1
                                        ; implicit-def: $vgpr14
	s_and_saveexec_b64 s[6:7], vcc
	s_xor_b64 s[6:7], exec, s[6:7]
                                        ; implicit-def: $vgpr16_vgpr17
	s_cbranch_execz .LBB5_15
; %bb.14:
	v_div_scale_f32 v1, s[12:13], v20, v20, v15
	v_rcp_f32_e32 v14, v1
	v_div_scale_f32 v16, vcc, v15, v20, v15
	v_fma_f32 v17, -v1, v14, 1.0
	v_fmac_f32_e32 v14, v17, v14
	v_mul_f32_e32 v17, v16, v14
	v_fma_f32 v21, -v1, v17, v16
	v_fmac_f32_e32 v17, v21, v14
	v_fma_f32 v1, -v1, v17, v16
	v_div_fmas_f32 v1, v1, v14, v17
	v_div_fixup_f32 v14, v1, v20, v15
	v_fmac_f32_e32 v20, v15, v14
	v_div_scale_f32 v1, s[12:13], v20, v20, -1.0
	v_rcp_f32_e32 v15, v1
	v_fma_f32 v16, -v1, v15, 1.0
	v_fmac_f32_e32 v15, v16, v15
	v_div_scale_f32 v16, vcc, -1.0, v20, -1.0
	v_mul_f32_e32 v17, v16, v15
	v_fma_f32 v21, -v1, v17, v16
	v_fmac_f32_e32 v17, v21, v15
	v_fma_f32 v1, -v1, v17, v16
	v_div_fmas_f32 v1, v1, v15, v17
	v_div_fixup_f32 v1, v1, v20, -1.0
	v_mul_f32_e32 v14, v14, v1
	v_xor_b32_e32 v16, 0x80000000, v14
                                        ; implicit-def: $vgpr15
                                        ; implicit-def: $vgpr20
.LBB5_15:
	s_andn2_saveexec_b64 s[6:7], s[6:7]
	s_cbranch_execz .LBB5_17
; %bb.16:
	v_div_scale_f32 v1, s[12:13], v15, v15, v20
	v_rcp_f32_e32 v14, v1
	v_div_scale_f32 v16, vcc, v20, v15, v20
	v_fma_f32 v17, -v1, v14, 1.0
	v_fmac_f32_e32 v14, v17, v14
	v_mul_f32_e32 v17, v16, v14
	v_fma_f32 v21, -v1, v17, v16
	v_fmac_f32_e32 v17, v21, v14
	v_fma_f32 v1, -v1, v17, v16
	v_div_fmas_f32 v1, v1, v14, v17
	v_div_fixup_f32 v1, v1, v15, v20
	v_fmac_f32_e32 v15, v20, v1
	v_div_scale_f32 v14, s[12:13], v15, v15, 1.0
	v_rcp_f32_e32 v16, v14
	v_fma_f32 v17, -v14, v16, 1.0
	v_fmac_f32_e32 v16, v17, v16
	v_div_scale_f32 v17, vcc, 1.0, v15, 1.0
	v_mul_f32_e32 v20, v17, v16
	v_fma_f32 v21, -v14, v20, v17
	v_fmac_f32_e32 v20, v21, v16
	v_fma_f32 v14, -v14, v20, v17
	v_div_fmas_f32 v14, v14, v16, v20
	v_div_fixup_f32 v16, v14, v15, 1.0
	v_xor_b32_e32 v14, 0x80000000, v16
	v_mul_f32_e64 v1, v1, -v16
.LBB5_17:
	s_or_b64 exec, exec, s[6:7]
	buffer_store_dword v1, v19, s[0:3], 0 offen offset:4
	buffer_store_dword v16, v19, s[0:3], 0 offen
	buffer_load_dword v17, off, s[0:3], 0 offset:12
	s_nop 0
	buffer_load_dword v16, off, s[0:3], 0 offset:8
	v_xor_b32_e32 v15, 0x80000000, v1
	v_add_u32_e32 v1, 48, v18
	s_waitcnt vmcnt(0)
	ds_write2_b64 v18, v[14:15], v[16:17] offset1:6
	s_waitcnt lgkmcnt(0)
	; wave barrier
	s_waitcnt lgkmcnt(0)
	s_and_saveexec_b64 s[6:7], s[4:5]
	s_cbranch_execz .LBB5_19
; %bb.18:
	buffer_load_dword v20, v19, s[0:3], 0 offen offset:4
	buffer_load_dword v21, v19, s[0:3], 0 offen
	ds_read_b64 v[14:15], v1
	v_mov_b32_e32 v16, 0
	ds_read_b64 v[16:17], v16 offset:8
	s_waitcnt vmcnt(1) lgkmcnt(1)
	v_mul_f32_e32 v22, v15, v20
	v_mul_f32_e32 v20, v14, v20
	s_waitcnt vmcnt(0)
	v_fmac_f32_e32 v20, v15, v21
	v_fma_f32 v14, v14, v21, -v22
	v_add_f32_e32 v15, 0, v20
	v_add_f32_e32 v14, 0, v14
	s_waitcnt lgkmcnt(0)
	v_mul_f32_e32 v20, v15, v17
	v_mul_f32_e32 v17, v14, v17
	v_fma_f32 v14, v14, v16, -v20
	v_fmac_f32_e32 v17, v15, v16
	buffer_store_dword v14, off, s[0:3], 0 offset:8
	buffer_store_dword v17, off, s[0:3], 0 offset:12
.LBB5_19:
	s_or_b64 exec, exec, s[6:7]
	s_waitcnt lgkmcnt(0)
	; wave barrier
	buffer_load_dword v14, off, s[0:3], 0 offset:16
	buffer_load_dword v15, off, s[0:3], 0 offset:20
	v_cmp_gt_u32_e32 vcc, 2, v0
	s_waitcnt vmcnt(0)
	ds_write_b64 v1, v[14:15]
	s_waitcnt lgkmcnt(0)
	; wave barrier
	s_waitcnt lgkmcnt(0)
	s_and_saveexec_b64 s[6:7], vcc
	s_cbranch_execz .LBB5_23
; %bb.20:
	buffer_load_dword v16, v19, s[0:3], 0 offen offset:4
	buffer_load_dword v17, v19, s[0:3], 0 offen
	ds_read_b64 v[14:15], v1
	s_waitcnt vmcnt(1) lgkmcnt(0)
	v_mul_f32_e32 v19, v15, v16
	v_mul_f32_e32 v16, v14, v16
	s_waitcnt vmcnt(0)
	v_fma_f32 v14, v14, v17, -v19
	v_fmac_f32_e32 v16, v15, v17
	v_add_f32_e32 v15, 0, v14
	v_add_f32_e32 v14, 0, v16
	s_and_saveexec_b64 s[12:13], s[4:5]
	s_cbranch_execz .LBB5_22
; %bb.21:
	buffer_load_dword v19, off, s[0:3], 0 offset:12
	buffer_load_dword v20, off, s[0:3], 0 offset:8
	v_mov_b32_e32 v16, 0
	ds_read_b64 v[16:17], v16 offset:56
	s_waitcnt vmcnt(1) lgkmcnt(0)
	v_mul_f32_e32 v21, v16, v19
	v_mul_f32_e32 v19, v17, v19
	s_waitcnt vmcnt(0)
	v_fmac_f32_e32 v21, v17, v20
	v_fma_f32 v16, v16, v20, -v19
	v_add_f32_e32 v14, v14, v21
	v_add_f32_e32 v15, v15, v16
.LBB5_22:
	s_or_b64 exec, exec, s[12:13]
	v_mov_b32_e32 v16, 0
	ds_read_b64 v[16:17], v16 offset:16
	s_waitcnt lgkmcnt(0)
	v_mul_f32_e32 v19, v14, v17
	v_mul_f32_e32 v17, v15, v17
	v_fma_f32 v15, v15, v16, -v19
	v_fmac_f32_e32 v17, v14, v16
	buffer_store_dword v15, off, s[0:3], 0 offset:16
	buffer_store_dword v17, off, s[0:3], 0 offset:20
.LBB5_23:
	s_or_b64 exec, exec, s[6:7]
	s_waitcnt lgkmcnt(0)
	; wave barrier
	buffer_load_dword v14, off, s[0:3], 0 offset:24
	buffer_load_dword v15, off, s[0:3], 0 offset:28
	v_cmp_gt_u32_e32 vcc, 3, v0
	s_waitcnt vmcnt(0)
	ds_write_b64 v1, v[14:15]
	v_add_u32_e32 v14, -1, v0
	s_waitcnt lgkmcnt(0)
	; wave barrier
	s_waitcnt lgkmcnt(0)
	s_and_saveexec_b64 s[4:5], vcc
	s_cbranch_execz .LBB5_27
; %bb.24:
	v_add_u32_e32 v16, -1, v0
	v_add_u32_e32 v17, 48, v18
	v_add_u32_e32 v19, 0, v18
	s_mov_b64 s[6:7], 0
	v_mov_b32_e32 v15, 0
	v_mov_b32_e32 v20, 0
.LBB5_25:                               ; =>This Inner Loop Header: Depth=1
	buffer_load_dword v21, v19, s[0:3], 0 offen offset:4
	buffer_load_dword v24, v19, s[0:3], 0 offen
	ds_read_b64 v[22:23], v17
	v_add_u32_e32 v16, 1, v16
	v_cmp_lt_u32_e32 vcc, 1, v16
	v_add_u32_e32 v17, 8, v17
	v_add_u32_e32 v19, 8, v19
	s_or_b64 s[6:7], vcc, s[6:7]
	s_waitcnt vmcnt(1) lgkmcnt(0)
	v_mul_f32_e32 v25, v23, v21
	v_mul_f32_e32 v21, v22, v21
	s_waitcnt vmcnt(0)
	v_fma_f32 v22, v22, v24, -v25
	v_fmac_f32_e32 v21, v23, v24
	v_add_f32_e32 v20, v20, v22
	v_add_f32_e32 v15, v15, v21
	s_andn2_b64 exec, exec, s[6:7]
	s_cbranch_execnz .LBB5_25
; %bb.26:
	s_or_b64 exec, exec, s[6:7]
	v_mov_b32_e32 v16, 0
	ds_read_b64 v[16:17], v16 offset:24
	s_waitcnt lgkmcnt(0)
	v_mul_f32_e32 v19, v15, v17
	v_mul_f32_e32 v17, v20, v17
	v_fma_f32 v19, v20, v16, -v19
	v_fmac_f32_e32 v17, v15, v16
	buffer_store_dword v19, off, s[0:3], 0 offset:24
	buffer_store_dword v17, off, s[0:3], 0 offset:28
.LBB5_27:
	s_or_b64 exec, exec, s[4:5]
	s_waitcnt lgkmcnt(0)
	; wave barrier
	buffer_load_dword v16, off, s[0:3], 0 offset:32
	buffer_load_dword v17, off, s[0:3], 0 offset:36
	v_cmp_gt_u32_e32 vcc, 4, v0
	s_waitcnt vmcnt(0)
	ds_write_b64 v1, v[16:17]
	s_waitcnt lgkmcnt(0)
	; wave barrier
	s_waitcnt lgkmcnt(0)
	s_and_saveexec_b64 s[4:5], vcc
	s_cbranch_execz .LBB5_31
; %bb.28:
	v_add_u32_e32 v16, -1, v0
	v_add_u32_e32 v17, 48, v18
	v_add_u32_e32 v19, 0, v18
	s_mov_b64 s[6:7], 0
	v_mov_b32_e32 v15, 0
	v_mov_b32_e32 v20, 0
.LBB5_29:                               ; =>This Inner Loop Header: Depth=1
	buffer_load_dword v21, v19, s[0:3], 0 offen offset:4
	buffer_load_dword v24, v19, s[0:3], 0 offen
	ds_read_b64 v[22:23], v17
	v_add_u32_e32 v16, 1, v16
	v_cmp_lt_u32_e32 vcc, 2, v16
	v_add_u32_e32 v17, 8, v17
	v_add_u32_e32 v19, 8, v19
	s_or_b64 s[6:7], vcc, s[6:7]
	s_waitcnt vmcnt(1) lgkmcnt(0)
	v_mul_f32_e32 v25, v23, v21
	v_mul_f32_e32 v21, v22, v21
	s_waitcnt vmcnt(0)
	v_fma_f32 v22, v22, v24, -v25
	v_fmac_f32_e32 v21, v23, v24
	v_add_f32_e32 v20, v20, v22
	v_add_f32_e32 v15, v15, v21
	s_andn2_b64 exec, exec, s[6:7]
	s_cbranch_execnz .LBB5_29
; %bb.30:
	s_or_b64 exec, exec, s[6:7]
	v_mov_b32_e32 v16, 0
	ds_read_b64 v[16:17], v16 offset:32
	s_waitcnt lgkmcnt(0)
	v_mul_f32_e32 v19, v15, v17
	v_mul_f32_e32 v17, v20, v17
	v_fma_f32 v19, v20, v16, -v19
	v_fmac_f32_e32 v17, v15, v16
	buffer_store_dword v19, off, s[0:3], 0 offset:32
	buffer_store_dword v17, off, s[0:3], 0 offset:36
.LBB5_31:
	s_or_b64 exec, exec, s[4:5]
	s_waitcnt lgkmcnt(0)
	; wave barrier
	buffer_load_dword v16, off, s[0:3], 0 offset:40
	buffer_load_dword v17, off, s[0:3], 0 offset:44
	v_cmp_ne_u32_e32 vcc, 5, v0
	s_waitcnt vmcnt(0)
	ds_write_b64 v1, v[16:17]
	s_waitcnt lgkmcnt(0)
	; wave barrier
	s_waitcnt lgkmcnt(0)
	s_and_saveexec_b64 s[4:5], vcc
	s_cbranch_execz .LBB5_35
; %bb.32:
	v_add_u32_e32 v16, 0, v18
	s_mov_b64 s[6:7], 0
	v_mov_b32_e32 v15, 0
	v_mov_b32_e32 v17, 0
.LBB5_33:                               ; =>This Inner Loop Header: Depth=1
	buffer_load_dword v20, v16, s[0:3], 0 offen offset:4
	buffer_load_dword v21, v16, s[0:3], 0 offen
	ds_read_b64 v[18:19], v1
	v_add_u32_e32 v14, 1, v14
	v_cmp_lt_u32_e32 vcc, 3, v14
	v_add_u32_e32 v1, 8, v1
	v_add_u32_e32 v16, 8, v16
	s_or_b64 s[6:7], vcc, s[6:7]
	s_waitcnt vmcnt(1) lgkmcnt(0)
	v_mul_f32_e32 v22, v19, v20
	v_mul_f32_e32 v20, v18, v20
	s_waitcnt vmcnt(0)
	v_fma_f32 v18, v18, v21, -v22
	v_fmac_f32_e32 v20, v19, v21
	v_add_f32_e32 v17, v17, v18
	v_add_f32_e32 v15, v15, v20
	s_andn2_b64 exec, exec, s[6:7]
	s_cbranch_execnz .LBB5_33
; %bb.34:
	s_or_b64 exec, exec, s[6:7]
	v_mov_b32_e32 v1, 0
	ds_read_b64 v[18:19], v1 offset:40
	s_waitcnt lgkmcnt(0)
	v_mul_f32_e32 v1, v15, v19
	v_mul_f32_e32 v14, v17, v19
	v_fma_f32 v1, v17, v18, -v1
	v_fmac_f32_e32 v14, v15, v18
	buffer_store_dword v1, off, s[0:3], 0 offset:40
	buffer_store_dword v14, off, s[0:3], 0 offset:44
.LBB5_35:
	s_or_b64 exec, exec, s[4:5]
	s_mov_b64 s[6:7], -1
	s_waitcnt lgkmcnt(0)
	; wave barrier
.LBB5_36:
	s_and_b64 vcc, exec, s[6:7]
	s_cbranch_vccz .LBB5_38
; %bb.37:
	s_lshl_b64 s[4:5], s[8:9], 2
	s_add_u32 s4, s14, s4
	s_addc_u32 s5, s15, s5
	v_mov_b32_e32 v1, 0
	global_load_dword v1, v1, s[4:5]
	s_waitcnt vmcnt(0)
	v_cmp_ne_u32_e32 vcc, 0, v1
	s_cbranch_vccz .LBB5_39
.LBB5_38:
	s_endpgm
.LBB5_39:
	v_lshl_add_u32 v1, v0, 3, 48
	v_cmp_eq_u32_e32 vcc, 5, v0
	s_and_saveexec_b64 s[4:5], vcc
	s_cbranch_execz .LBB5_41
; %bb.40:
	buffer_load_dword v14, off, s[0:3], 0 offset:32
	buffer_load_dword v15, off, s[0:3], 0 offset:36
	v_mov_b32_e32 v16, 0
	buffer_store_dword v16, off, s[0:3], 0 offset:32
	buffer_store_dword v16, off, s[0:3], 0 offset:36
	s_waitcnt vmcnt(2)
	ds_write_b64 v1, v[14:15]
.LBB5_41:
	s_or_b64 exec, exec, s[4:5]
	s_waitcnt lgkmcnt(0)
	; wave barrier
	s_waitcnt lgkmcnt(0)
	buffer_load_dword v17, off, s[0:3], 0 offset:44
	buffer_load_dword v16, off, s[0:3], 0 offset:40
	;; [unrolled: 1-line block ×4, first 2 shown]
	v_mov_b32_e32 v14, 0
	ds_read_b64 v[20:21], v14 offset:88
	v_cmp_lt_u32_e32 vcc, 3, v0
	s_waitcnt vmcnt(3)
	v_mov_b32_e32 v22, v17
	s_waitcnt lgkmcnt(0)
	v_pk_mul_f32 v[22:23], v[20:21], v[22:23] op_sel_hi:[1,0]
	s_waitcnt vmcnt(2)
	v_pk_fma_f32 v[24:25], v[20:21], v[16:17], v[22:23] op_sel:[0,0,1] op_sel_hi:[1,1,0] neg_lo:[0,0,1] neg_hi:[0,0,1]
	v_pk_fma_f32 v[16:17], v[20:21], v[16:17], v[22:23] op_sel:[0,0,1] op_sel_hi:[1,0,0]
	v_mov_b32_e32 v25, v17
	v_pk_add_f32 v[16:17], v[24:25], 0 op_sel_hi:[1,0]
	s_waitcnt vmcnt(0)
	v_pk_add_f32 v[16:17], v[18:19], v[16:17] neg_lo:[0,1] neg_hi:[0,1]
	buffer_store_dword v16, off, s[0:3], 0 offset:32
	buffer_store_dword v17, off, s[0:3], 0 offset:36
	s_and_saveexec_b64 s[4:5], vcc
	s_cbranch_execz .LBB5_43
; %bb.42:
	buffer_load_dword v16, off, s[0:3], 0 offset:24
	buffer_load_dword v17, off, s[0:3], 0 offset:28
	s_waitcnt vmcnt(0)
	ds_write_b64 v1, v[16:17]
	buffer_store_dword v14, off, s[0:3], 0 offset:24
	buffer_store_dword v14, off, s[0:3], 0 offset:28
.LBB5_43:
	s_or_b64 exec, exec, s[4:5]
	s_waitcnt lgkmcnt(0)
	; wave barrier
	s_waitcnt lgkmcnt(0)
	buffer_load_dword v19, off, s[0:3], 0 offset:36
	buffer_load_dword v21, off, s[0:3], 0 offset:44
	;; [unrolled: 1-line block ×6, first 2 shown]
	ds_read_b128 v[14:17], v14 offset:80
	v_cmp_lt_u32_e32 vcc, 2, v0
	s_waitcnt vmcnt(5)
	v_mov_b32_e32 v24, v19
	s_waitcnt vmcnt(4)
	v_mov_b32_e32 v26, v21
	s_waitcnt lgkmcnt(0)
	v_pk_mul_f32 v[24:25], v[14:15], v[24:25] op_sel_hi:[1,0]
	v_pk_mul_f32 v[26:27], v[16:17], v[26:27] op_sel_hi:[1,0]
	s_waitcnt vmcnt(3)
	v_pk_fma_f32 v[28:29], v[14:15], v[18:19], v[24:25] op_sel:[0,0,1] op_sel_hi:[1,1,0] neg_lo:[0,0,1] neg_hi:[0,0,1]
	v_pk_fma_f32 v[14:15], v[14:15], v[18:19], v[24:25] op_sel:[0,0,1] op_sel_hi:[1,0,0]
	s_waitcnt vmcnt(2)
	v_pk_fma_f32 v[18:19], v[16:17], v[20:21], v[26:27] op_sel:[0,0,1] op_sel_hi:[1,1,0] neg_lo:[0,0,1] neg_hi:[0,0,1]
	v_pk_fma_f32 v[16:17], v[16:17], v[20:21], v[26:27] op_sel:[0,0,1] op_sel_hi:[1,0,0]
	v_mov_b32_e32 v29, v15
	v_mov_b32_e32 v19, v17
	v_pk_add_f32 v[14:15], v[28:29], 0 op_sel_hi:[1,0]
	v_pk_add_f32 v[14:15], v[14:15], v[18:19]
	s_waitcnt vmcnt(0)
	v_pk_add_f32 v[14:15], v[22:23], v[14:15] neg_lo:[0,1] neg_hi:[0,1]
	buffer_store_dword v14, off, s[0:3], 0 offset:24
	buffer_store_dword v15, off, s[0:3], 0 offset:28
	s_and_saveexec_b64 s[4:5], vcc
	s_cbranch_execz .LBB5_45
; %bb.44:
	buffer_load_dword v14, off, s[0:3], 0 offset:16
	buffer_load_dword v15, off, s[0:3], 0 offset:20
	v_mov_b32_e32 v16, 0
	buffer_store_dword v16, off, s[0:3], 0 offset:16
	buffer_store_dword v16, off, s[0:3], 0 offset:20
	s_waitcnt vmcnt(2)
	ds_write_b64 v1, v[14:15]
.LBB5_45:
	s_or_b64 exec, exec, s[4:5]
	s_waitcnt lgkmcnt(0)
	; wave barrier
	s_waitcnt lgkmcnt(0)
	buffer_load_dword v21, off, s[0:3], 0 offset:28
	buffer_load_dword v23, off, s[0:3], 0 offset:36
	;; [unrolled: 1-line block ×8, first 2 shown]
	v_mov_b32_e32 v14, 0
	ds_read2_b64 v[16:19], v14 offset0:9 offset1:10
	ds_read_b64 v[28:29], v14 offset:88
	v_cmp_lt_u32_e32 vcc, 1, v0
	s_waitcnt vmcnt(7)
	v_mov_b32_e32 v30, v21
	s_waitcnt vmcnt(6)
	v_mov_b32_e32 v32, v23
	s_waitcnt lgkmcnt(1)
	v_pk_mul_f32 v[30:31], v[16:17], v[30:31] op_sel_hi:[1,0]
	s_waitcnt vmcnt(5)
	v_mov_b32_e32 v34, v25
	v_pk_mul_f32 v[32:33], v[18:19], v[32:33] op_sel_hi:[1,0]
	s_waitcnt vmcnt(4)
	v_pk_fma_f32 v[36:37], v[16:17], v[20:21], v[30:31] op_sel:[0,0,1] op_sel_hi:[1,1,0] neg_lo:[0,0,1] neg_hi:[0,0,1]
	v_pk_fma_f32 v[16:17], v[16:17], v[20:21], v[30:31] op_sel:[0,0,1] op_sel_hi:[1,0,0]
	s_waitcnt lgkmcnt(0)
	v_pk_mul_f32 v[34:35], v[28:29], v[34:35] op_sel_hi:[1,0]
	s_waitcnt vmcnt(3)
	v_pk_fma_f32 v[20:21], v[18:19], v[22:23], v[32:33] op_sel:[0,0,1] op_sel_hi:[1,1,0] neg_lo:[0,0,1] neg_hi:[0,0,1]
	v_pk_fma_f32 v[18:19], v[18:19], v[22:23], v[32:33] op_sel:[0,0,1] op_sel_hi:[1,0,0]
	v_mov_b32_e32 v37, v17
	s_waitcnt vmcnt(2)
	v_pk_fma_f32 v[22:23], v[28:29], v[24:25], v[34:35] op_sel:[0,0,1] op_sel_hi:[1,1,0] neg_lo:[0,0,1] neg_hi:[0,0,1]
	v_pk_fma_f32 v[24:25], v[28:29], v[24:25], v[34:35] op_sel:[0,0,1] op_sel_hi:[1,0,0]
	v_mov_b32_e32 v21, v19
	v_pk_add_f32 v[16:17], v[36:37], 0 op_sel_hi:[1,0]
	v_mov_b32_e32 v23, v25
	v_pk_add_f32 v[16:17], v[16:17], v[20:21]
	v_pk_add_f32 v[16:17], v[16:17], v[22:23]
	s_waitcnt vmcnt(0)
	v_pk_add_f32 v[16:17], v[26:27], v[16:17] neg_lo:[0,1] neg_hi:[0,1]
	buffer_store_dword v16, off, s[0:3], 0 offset:16
	buffer_store_dword v17, off, s[0:3], 0 offset:20
	s_and_saveexec_b64 s[4:5], vcc
	s_cbranch_execz .LBB5_47
; %bb.46:
	buffer_load_dword v16, off, s[0:3], 0 offset:8
	buffer_load_dword v17, off, s[0:3], 0 offset:12
	s_waitcnt vmcnt(0)
	ds_write_b64 v1, v[16:17]
	buffer_store_dword v14, off, s[0:3], 0 offset:8
	buffer_store_dword v14, off, s[0:3], 0 offset:12
.LBB5_47:
	s_or_b64 exec, exec, s[4:5]
	s_waitcnt lgkmcnt(0)
	; wave barrier
	s_waitcnt lgkmcnt(0)
	buffer_load_dword v25, off, s[0:3], 0 offset:20
	buffer_load_dword v27, off, s[0:3], 0 offset:28
	;; [unrolled: 1-line block ×10, first 2 shown]
	ds_read_b128 v[16:19], v14 offset:64
	ds_read_b128 v[20:23], v14 offset:80
	v_cmp_ne_u32_e32 vcc, 0, v0
	s_waitcnt vmcnt(9)
	v_mov_b32_e32 v14, v25
	s_waitcnt vmcnt(8)
	v_mov_b32_e32 v34, v27
	s_waitcnt lgkmcnt(1)
	v_pk_mul_f32 v[14:15], v[16:17], v[14:15] op_sel_hi:[1,0]
	s_waitcnt vmcnt(7)
	v_mov_b32_e32 v36, v29
	v_pk_mul_f32 v[34:35], v[18:19], v[34:35] op_sel_hi:[1,0]
	s_waitcnt vmcnt(5)
	v_pk_fma_f32 v[40:41], v[16:17], v[24:25], v[14:15] op_sel:[0,0,1] op_sel_hi:[1,1,0] neg_lo:[0,0,1] neg_hi:[0,0,1]
	v_pk_fma_f32 v[14:15], v[16:17], v[24:25], v[14:15] op_sel:[0,0,1] op_sel_hi:[1,0,0]
	v_mov_b32_e32 v38, v31
	s_waitcnt lgkmcnt(0)
	v_pk_mul_f32 v[36:37], v[20:21], v[36:37] op_sel_hi:[1,0]
	s_waitcnt vmcnt(4)
	v_pk_fma_f32 v[16:17], v[18:19], v[26:27], v[34:35] op_sel:[0,0,1] op_sel_hi:[1,1,0] neg_lo:[0,0,1] neg_hi:[0,0,1]
	v_pk_fma_f32 v[18:19], v[18:19], v[26:27], v[34:35] op_sel:[0,0,1] op_sel_hi:[1,0,0]
	v_mov_b32_e32 v41, v15
	v_pk_mul_f32 v[38:39], v[22:23], v[38:39] op_sel_hi:[1,0]
	s_waitcnt vmcnt(3)
	v_pk_fma_f32 v[24:25], v[20:21], v[28:29], v[36:37] op_sel:[0,0,1] op_sel_hi:[1,1,0] neg_lo:[0,0,1] neg_hi:[0,0,1]
	v_pk_fma_f32 v[20:21], v[20:21], v[28:29], v[36:37] op_sel:[0,0,1] op_sel_hi:[1,0,0]
	v_mov_b32_e32 v17, v19
	v_pk_add_f32 v[14:15], v[40:41], 0 op_sel_hi:[1,0]
	s_waitcnt vmcnt(2)
	v_pk_fma_f32 v[26:27], v[22:23], v[30:31], v[38:39] op_sel:[0,0,1] op_sel_hi:[1,1,0] neg_lo:[0,0,1] neg_hi:[0,0,1]
	v_pk_fma_f32 v[22:23], v[22:23], v[30:31], v[38:39] op_sel:[0,0,1] op_sel_hi:[1,0,0]
	v_mov_b32_e32 v25, v21
	v_pk_add_f32 v[14:15], v[14:15], v[16:17]
	v_mov_b32_e32 v27, v23
	v_pk_add_f32 v[14:15], v[14:15], v[24:25]
	v_pk_add_f32 v[14:15], v[14:15], v[26:27]
	s_waitcnt vmcnt(0)
	v_pk_add_f32 v[14:15], v[32:33], v[14:15] neg_lo:[0,1] neg_hi:[0,1]
	buffer_store_dword v14, off, s[0:3], 0 offset:8
	buffer_store_dword v15, off, s[0:3], 0 offset:12
	s_and_saveexec_b64 s[4:5], vcc
	s_cbranch_execz .LBB5_49
; %bb.48:
	buffer_load_dword v14, off, s[0:3], 0
	buffer_load_dword v15, off, s[0:3], 0 offset:4
	v_mov_b32_e32 v0, 0
	buffer_store_dword v0, off, s[0:3], 0
	buffer_store_dword v0, off, s[0:3], 0 offset:4
	s_waitcnt vmcnt(2)
	ds_write_b64 v1, v[14:15]
.LBB5_49:
	s_or_b64 exec, exec, s[4:5]
	s_waitcnt lgkmcnt(0)
	; wave barrier
	s_waitcnt lgkmcnt(0)
	buffer_load_dword v23, off, s[0:3], 0 offset:12
	buffer_load_dword v25, off, s[0:3], 0 offset:20
	;; [unrolled: 1-line block ×10, first 2 shown]
	buffer_load_dword v30, off, s[0:3], 0
	buffer_load_dword v31, off, s[0:3], 0 offset:4
	v_mov_b32_e32 v32, 0
	ds_read2_b64 v[14:17], v32 offset0:7 offset1:8
	ds_read2_b64 v[18:21], v32 offset0:9 offset1:10
	ds_read_b64 v[32:33], v32 offset:88
	s_and_b64 vcc, exec, s[20:21]
	s_waitcnt vmcnt(11)
	v_mov_b32_e32 v34, v23
	s_waitcnt vmcnt(10)
	v_mov_b32_e32 v36, v25
	s_waitcnt lgkmcnt(2)
	v_pk_mul_f32 v[34:35], v[14:15], v[34:35] op_sel_hi:[1,0]
	s_waitcnt vmcnt(9)
	v_mov_b32_e32 v38, v27
	v_pk_mul_f32 v[36:37], v[16:17], v[36:37] op_sel_hi:[1,0]
	s_waitcnt vmcnt(6)
	v_pk_fma_f32 v[44:45], v[14:15], v[22:23], v[34:35] op_sel:[0,0,1] op_sel_hi:[1,1,0] neg_lo:[0,0,1] neg_hi:[0,0,1]
	v_pk_fma_f32 v[14:15], v[14:15], v[22:23], v[34:35] op_sel:[0,0,1] op_sel_hi:[1,0,0]
	v_mov_b32_e32 v40, v1
	s_waitcnt lgkmcnt(1)
	v_pk_mul_f32 v[38:39], v[18:19], v[38:39] op_sel_hi:[1,0]
	s_waitcnt vmcnt(5)
	v_pk_fma_f32 v[22:23], v[16:17], v[24:25], v[36:37] op_sel:[0,0,1] op_sel_hi:[1,1,0] neg_lo:[0,0,1] neg_hi:[0,0,1]
	v_pk_fma_f32 v[16:17], v[16:17], v[24:25], v[36:37] op_sel:[0,0,1] op_sel_hi:[1,0,0]
	v_mov_b32_e32 v45, v15
	v_mov_b32_e32 v42, v29
	v_pk_mul_f32 v[40:41], v[20:21], v[40:41] op_sel_hi:[1,0]
	s_waitcnt vmcnt(4)
	v_pk_fma_f32 v[24:25], v[18:19], v[26:27], v[38:39] op_sel:[0,0,1] op_sel_hi:[1,1,0] neg_lo:[0,0,1] neg_hi:[0,0,1]
	v_pk_fma_f32 v[18:19], v[18:19], v[26:27], v[38:39] op_sel:[0,0,1] op_sel_hi:[1,0,0]
	v_mov_b32_e32 v23, v17
	v_pk_add_f32 v[14:15], v[44:45], 0 op_sel_hi:[1,0]
	s_waitcnt lgkmcnt(0)
	v_pk_mul_f32 v[42:43], v[32:33], v[42:43] op_sel_hi:[1,0]
	s_waitcnt vmcnt(3)
	v_pk_fma_f32 v[26:27], v[20:21], v[0:1], v[40:41] op_sel:[0,0,1] op_sel_hi:[1,1,0] neg_lo:[0,0,1] neg_hi:[0,0,1]
	v_pk_fma_f32 v[20:21], v[20:21], v[0:1], v[40:41] op_sel:[0,0,1] op_sel_hi:[1,0,0]
	v_mov_b32_e32 v25, v19
	v_pk_add_f32 v[14:15], v[14:15], v[22:23]
	s_waitcnt vmcnt(2)
	v_pk_fma_f32 v[34:35], v[32:33], v[28:29], v[42:43] op_sel:[0,0,1] op_sel_hi:[1,1,0] neg_lo:[0,0,1] neg_hi:[0,0,1]
	v_pk_fma_f32 v[28:29], v[32:33], v[28:29], v[42:43] op_sel:[0,0,1] op_sel_hi:[1,0,0]
	v_mov_b32_e32 v27, v21
	v_pk_add_f32 v[14:15], v[14:15], v[24:25]
	v_mov_b32_e32 v35, v29
	v_pk_add_f32 v[14:15], v[14:15], v[26:27]
	v_pk_add_f32 v[14:15], v[14:15], v[34:35]
	s_waitcnt vmcnt(0)
	v_pk_add_f32 v[14:15], v[30:31], v[14:15] neg_lo:[0,1] neg_hi:[0,1]
	buffer_store_dword v14, off, s[0:3], 0
	buffer_store_dword v15, off, s[0:3], 0 offset:4
	s_cbranch_vccz .LBB5_61
; %bb.50:
	v_pk_mov_b32 v[14:15], s[10:11], s[10:11] op_sel:[0,1]
	flat_load_dword v14, v[14:15] offset:16
	s_waitcnt vmcnt(0) lgkmcnt(0)
	v_add_u32_e32 v14, -1, v14
	v_cmp_ne_u32_e32 vcc, 4, v14
	s_and_saveexec_b64 s[4:5], vcc
	s_cbranch_execz .LBB5_52
; %bb.51:
	v_mov_b32_e32 v15, 0
	v_lshl_add_u32 v14, v14, 3, v15
	buffer_load_dword v15, v14, s[0:3], 0 offen offset:4
	buffer_load_dword v16, v14, s[0:3], 0 offen
	s_waitcnt vmcnt(1)
	buffer_store_dword v15, off, s[0:3], 0 offset:36
	s_waitcnt vmcnt(1)
	buffer_store_dword v16, off, s[0:3], 0 offset:32
	buffer_store_dword v1, v14, s[0:3], 0 offen offset:4
	buffer_store_dword v0, v14, s[0:3], 0 offen
.LBB5_52:
	s_or_b64 exec, exec, s[4:5]
	v_pk_mov_b32 v[0:1], s[10:11], s[10:11] op_sel:[0,1]
	flat_load_dword v0, v[0:1] offset:12
	s_waitcnt vmcnt(0) lgkmcnt(0)
	v_add_u32_e32 v0, -1, v0
	v_cmp_ne_u32_e32 vcc, 3, v0
	s_and_saveexec_b64 s[4:5], vcc
	s_cbranch_execz .LBB5_54
; %bb.53:
	v_mov_b32_e32 v1, 0
	v_lshl_add_u32 v0, v0, 3, v1
	buffer_load_dword v1, v0, s[0:3], 0 offen
	buffer_load_dword v14, v0, s[0:3], 0 offen offset:4
	buffer_load_dword v15, off, s[0:3], 0 offset:24
	buffer_load_dword v16, off, s[0:3], 0 offset:28
	s_waitcnt vmcnt(3)
	buffer_store_dword v1, off, s[0:3], 0 offset:24
	s_waitcnt vmcnt(3)
	buffer_store_dword v14, off, s[0:3], 0 offset:28
	s_waitcnt vmcnt(3)
	buffer_store_dword v15, v0, s[0:3], 0 offen
	s_waitcnt vmcnt(3)
	buffer_store_dword v16, v0, s[0:3], 0 offen offset:4
.LBB5_54:
	s_or_b64 exec, exec, s[4:5]
	v_pk_mov_b32 v[0:1], s[10:11], s[10:11] op_sel:[0,1]
	flat_load_dword v0, v[0:1] offset:8
	s_waitcnt vmcnt(0) lgkmcnt(0)
	v_add_u32_e32 v0, -1, v0
	v_cmp_ne_u32_e32 vcc, 2, v0
	s_and_saveexec_b64 s[4:5], vcc
	s_cbranch_execz .LBB5_56
; %bb.55:
	v_mov_b32_e32 v1, 0
	v_lshl_add_u32 v0, v0, 3, v1
	buffer_load_dword v1, v0, s[0:3], 0 offen
	buffer_load_dword v14, v0, s[0:3], 0 offen offset:4
	buffer_load_dword v15, off, s[0:3], 0 offset:20
	buffer_load_dword v16, off, s[0:3], 0 offset:16
	s_waitcnt vmcnt(3)
	buffer_store_dword v1, off, s[0:3], 0 offset:16
	s_waitcnt vmcnt(3)
	buffer_store_dword v14, off, s[0:3], 0 offset:20
	s_waitcnt vmcnt(3)
	buffer_store_dword v15, v0, s[0:3], 0 offen offset:4
	s_waitcnt vmcnt(3)
	buffer_store_dword v16, v0, s[0:3], 0 offen
.LBB5_56:
	s_or_b64 exec, exec, s[4:5]
	v_pk_mov_b32 v[0:1], s[10:11], s[10:11] op_sel:[0,1]
	flat_load_dword v0, v[0:1] offset:4
	s_waitcnt vmcnt(0) lgkmcnt(0)
	v_add_u32_e32 v0, -1, v0
	v_cmp_ne_u32_e32 vcc, 1, v0
	s_and_saveexec_b64 s[4:5], vcc
	s_cbranch_execz .LBB5_58
; %bb.57:
	v_mov_b32_e32 v1, 0
	v_lshl_add_u32 v0, v0, 3, v1
	buffer_load_dword v1, v0, s[0:3], 0 offen
	buffer_load_dword v14, v0, s[0:3], 0 offen offset:4
	buffer_load_dword v15, off, s[0:3], 0 offset:8
	buffer_load_dword v16, off, s[0:3], 0 offset:12
	s_waitcnt vmcnt(3)
	buffer_store_dword v1, off, s[0:3], 0 offset:8
	s_waitcnt vmcnt(3)
	buffer_store_dword v14, off, s[0:3], 0 offset:12
	s_waitcnt vmcnt(3)
	buffer_store_dword v15, v0, s[0:3], 0 offen
	s_waitcnt vmcnt(3)
	buffer_store_dword v16, v0, s[0:3], 0 offen offset:4
.LBB5_58:
	s_or_b64 exec, exec, s[4:5]
	v_pk_mov_b32 v[0:1], s[10:11], s[10:11] op_sel:[0,1]
	flat_load_dword v0, v[0:1]
	s_nop 0
	buffer_load_dword v14, off, s[0:3], 0
	buffer_load_dword v15, off, s[0:3], 0 offset:4
	s_waitcnt vmcnt(0) lgkmcnt(0)
	v_add_u32_e32 v0, -1, v0
	v_cmp_ne_u32_e32 vcc, 0, v0
	s_and_saveexec_b64 s[4:5], vcc
	s_cbranch_execz .LBB5_60
; %bb.59:
	v_mov_b32_e32 v1, 0
	v_lshl_add_u32 v0, v0, 3, v1
	buffer_load_dword v1, v0, s[0:3], 0 offen offset:4
	buffer_load_dword v16, v0, s[0:3], 0 offen
	s_waitcnt vmcnt(1)
	buffer_store_dword v1, off, s[0:3], 0 offset:4
	s_waitcnt vmcnt(1)
	buffer_store_dword v16, off, s[0:3], 0
	buffer_store_dword v15, v0, s[0:3], 0 offen offset:4
	buffer_store_dword v14, v0, s[0:3], 0 offen
	buffer_load_dword v14, off, s[0:3], 0
	s_nop 0
	buffer_load_dword v15, off, s[0:3], 0 offset:4
.LBB5_60:
	s_or_b64 exec, exec, s[4:5]
.LBB5_61:
	buffer_load_dword v0, off, s[0:3], 0 offset:8
	buffer_load_dword v1, off, s[0:3], 0 offset:12
	;; [unrolled: 1-line block ×10, first 2 shown]
	s_waitcnt vmcnt(10)
	global_store_dwordx2 v[2:3], v[14:15], off
	s_waitcnt vmcnt(9)
	global_store_dwordx2 v[4:5], v[0:1], off
	;; [unrolled: 2-line block ×6, first 2 shown]
	s_endpgm
	.section	.rodata,"a",@progbits
	.p2align	6, 0x0
	.amdhsa_kernel _ZN9rocsolver6v33100L18getri_kernel_smallILi6E19rocblas_complex_numIfEPS3_EEvT1_iilPiilS6_bb
		.amdhsa_group_segment_fixed_size 100
		.amdhsa_private_segment_fixed_size 64
		.amdhsa_kernarg_size 60
		.amdhsa_user_sgpr_count 8
		.amdhsa_user_sgpr_private_segment_buffer 1
		.amdhsa_user_sgpr_dispatch_ptr 0
		.amdhsa_user_sgpr_queue_ptr 0
		.amdhsa_user_sgpr_kernarg_segment_ptr 1
		.amdhsa_user_sgpr_dispatch_id 0
		.amdhsa_user_sgpr_flat_scratch_init 1
		.amdhsa_user_sgpr_kernarg_preload_length 0
		.amdhsa_user_sgpr_kernarg_preload_offset 0
		.amdhsa_user_sgpr_private_segment_size 0
		.amdhsa_uses_dynamic_stack 0
		.amdhsa_system_sgpr_private_segment_wavefront_offset 1
		.amdhsa_system_sgpr_workgroup_id_x 1
		.amdhsa_system_sgpr_workgroup_id_y 0
		.amdhsa_system_sgpr_workgroup_id_z 0
		.amdhsa_system_sgpr_workgroup_info 0
		.amdhsa_system_vgpr_workitem_id 0
		.amdhsa_next_free_vgpr 46
		.amdhsa_next_free_sgpr 23
		.amdhsa_accum_offset 48
		.amdhsa_reserve_vcc 1
		.amdhsa_reserve_flat_scratch 1
		.amdhsa_float_round_mode_32 0
		.amdhsa_float_round_mode_16_64 0
		.amdhsa_float_denorm_mode_32 3
		.amdhsa_float_denorm_mode_16_64 3
		.amdhsa_dx10_clamp 1
		.amdhsa_ieee_mode 1
		.amdhsa_fp16_overflow 0
		.amdhsa_tg_split 0
		.amdhsa_exception_fp_ieee_invalid_op 0
		.amdhsa_exception_fp_denorm_src 0
		.amdhsa_exception_fp_ieee_div_zero 0
		.amdhsa_exception_fp_ieee_overflow 0
		.amdhsa_exception_fp_ieee_underflow 0
		.amdhsa_exception_fp_ieee_inexact 0
		.amdhsa_exception_int_div_zero 0
	.end_amdhsa_kernel
	.section	.text._ZN9rocsolver6v33100L18getri_kernel_smallILi6E19rocblas_complex_numIfEPS3_EEvT1_iilPiilS6_bb,"axG",@progbits,_ZN9rocsolver6v33100L18getri_kernel_smallILi6E19rocblas_complex_numIfEPS3_EEvT1_iilPiilS6_bb,comdat
.Lfunc_end5:
	.size	_ZN9rocsolver6v33100L18getri_kernel_smallILi6E19rocblas_complex_numIfEPS3_EEvT1_iilPiilS6_bb, .Lfunc_end5-_ZN9rocsolver6v33100L18getri_kernel_smallILi6E19rocblas_complex_numIfEPS3_EEvT1_iilPiilS6_bb
                                        ; -- End function
	.section	.AMDGPU.csdata,"",@progbits
; Kernel info:
; codeLenInByte = 4836
; NumSgprs: 29
; NumVgprs: 46
; NumAgprs: 0
; TotalNumVgprs: 46
; ScratchSize: 64
; MemoryBound: 0
; FloatMode: 240
; IeeeMode: 1
; LDSByteSize: 100 bytes/workgroup (compile time only)
; SGPRBlocks: 3
; VGPRBlocks: 5
; NumSGPRsForWavesPerEU: 29
; NumVGPRsForWavesPerEU: 46
; AccumOffset: 48
; Occupancy: 8
; WaveLimiterHint : 0
; COMPUTE_PGM_RSRC2:SCRATCH_EN: 1
; COMPUTE_PGM_RSRC2:USER_SGPR: 8
; COMPUTE_PGM_RSRC2:TRAP_HANDLER: 0
; COMPUTE_PGM_RSRC2:TGID_X_EN: 1
; COMPUTE_PGM_RSRC2:TGID_Y_EN: 0
; COMPUTE_PGM_RSRC2:TGID_Z_EN: 0
; COMPUTE_PGM_RSRC2:TIDIG_COMP_CNT: 0
; COMPUTE_PGM_RSRC3_GFX90A:ACCUM_OFFSET: 11
; COMPUTE_PGM_RSRC3_GFX90A:TG_SPLIT: 0
	.section	.text._ZN9rocsolver6v33100L18getri_kernel_smallILi7E19rocblas_complex_numIfEPS3_EEvT1_iilPiilS6_bb,"axG",@progbits,_ZN9rocsolver6v33100L18getri_kernel_smallILi7E19rocblas_complex_numIfEPS3_EEvT1_iilPiilS6_bb,comdat
	.globl	_ZN9rocsolver6v33100L18getri_kernel_smallILi7E19rocblas_complex_numIfEPS3_EEvT1_iilPiilS6_bb ; -- Begin function _ZN9rocsolver6v33100L18getri_kernel_smallILi7E19rocblas_complex_numIfEPS3_EEvT1_iilPiilS6_bb
	.p2align	8
	.type	_ZN9rocsolver6v33100L18getri_kernel_smallILi7E19rocblas_complex_numIfEPS3_EEvT1_iilPiilS6_bb,@function
_ZN9rocsolver6v33100L18getri_kernel_smallILi7E19rocblas_complex_numIfEPS3_EEvT1_iilPiilS6_bb: ; @_ZN9rocsolver6v33100L18getri_kernel_smallILi7E19rocblas_complex_numIfEPS3_EEvT1_iilPiilS6_bb
; %bb.0:
	s_add_u32 flat_scratch_lo, s6, s9
	s_addc_u32 flat_scratch_hi, s7, 0
	s_add_u32 s0, s0, s9
	s_addc_u32 s1, s1, 0
	v_cmp_gt_u32_e32 vcc, 7, v0
	s_and_saveexec_b64 s[6:7], vcc
	s_cbranch_execz .LBB6_42
; %bb.1:
	s_load_dword s22, s[4:5], 0x38
	s_load_dwordx4 s[16:19], s[4:5], 0x10
	s_load_dwordx4 s[12:15], s[4:5], 0x28
                                        ; implicit-def: $sgpr10_sgpr11
	s_waitcnt lgkmcnt(0)
	s_bitcmp1_b32 s22, 8
	s_cselect_b64 s[20:21], -1, 0
	s_ashr_i32 s9, s8, 31
	s_bfe_u32 s6, s22, 0x10008
	s_cmp_eq_u32 s6, 0
	s_cbranch_scc1 .LBB6_3
; %bb.2:
	s_load_dword s6, s[4:5], 0x20
	s_mul_i32 s7, s8, s13
	s_mul_hi_u32 s10, s8, s12
	s_mul_i32 s11, s9, s12
	s_add_i32 s10, s10, s7
	s_add_i32 s11, s10, s11
	s_mul_i32 s10, s8, s12
	s_waitcnt lgkmcnt(0)
	s_ashr_i32 s7, s6, 31
	s_lshl_b64 s[10:11], s[10:11], 2
	s_add_u32 s10, s18, s10
	s_addc_u32 s11, s19, s11
	s_lshl_b64 s[6:7], s[6:7], 2
	s_add_u32 s10, s10, s6
	s_addc_u32 s11, s11, s7
.LBB6_3:
	s_load_dwordx4 s[4:7], s[4:5], 0x0
	s_mul_i32 s12, s8, s17
	s_mul_hi_u32 s13, s8, s16
	s_add_i32 s17, s13, s12
	v_lshlrev_b32_e32 v20, 3, v0
	s_waitcnt lgkmcnt(0)
	s_ashr_i32 s13, s6, 31
	s_mov_b32 s12, s6
	s_mul_i32 s6, s9, s16
	s_add_i32 s17, s17, s6
	s_mul_i32 s16, s8, s16
	s_lshl_b64 s[16:17], s[16:17], 3
	s_add_u32 s6, s4, s16
	s_addc_u32 s16, s5, s17
	s_lshl_b64 s[4:5], s[12:13], 3
	s_add_u32 s4, s6, s4
	s_addc_u32 s5, s16, s5
	v_mov_b32_e32 v1, s5
	v_add_co_u32_e32 v2, vcc, s4, v20
	s_ashr_i32 s13, s7, 31
	s_mov_b32 s12, s7
	s_add_i32 s6, s7, s7
	v_addc_co_u32_e32 v3, vcc, 0, v1, vcc
	s_lshl_b64 s[12:13], s[12:13], 3
	v_add_u32_e32 v8, s6, v0
	v_mov_b32_e32 v1, s13
	v_add_co_u32_e32 v4, vcc, s12, v2
	v_ashrrev_i32_e32 v9, 31, v8
	v_addc_co_u32_e32 v5, vcc, v3, v1, vcc
	v_lshlrev_b64 v[6:7], 3, v[8:9]
	v_add_u32_e32 v10, s7, v8
	v_mov_b32_e32 v1, s5
	v_add_co_u32_e32 v6, vcc, s4, v6
	v_ashrrev_i32_e32 v11, 31, v10
	v_addc_co_u32_e32 v7, vcc, v1, v7, vcc
	v_lshlrev_b64 v[8:9], 3, v[10:11]
	v_add_u32_e32 v12, s7, v10
	v_add_co_u32_e32 v8, vcc, s4, v8
	v_ashrrev_i32_e32 v13, 31, v12
	v_addc_co_u32_e32 v9, vcc, v1, v9, vcc
	v_lshlrev_b64 v[10:11], 3, v[12:13]
	v_add_co_u32_e32 v10, vcc, s4, v10
	global_load_dwordx2 v[16:17], v20, s[4:5]
	v_addc_co_u32_e32 v11, vcc, v1, v11, vcc
	global_load_dwordx2 v[18:19], v[4:5], off
	global_load_dwordx2 v[22:23], v[6:7], off
	;; [unrolled: 1-line block ×4, first 2 shown]
	v_add_u32_e32 v14, s7, v12
	v_ashrrev_i32_e32 v15, 31, v14
	v_lshlrev_b64 v[12:13], 3, v[14:15]
	v_add_u32_e32 v14, s7, v14
	v_add_co_u32_e32 v12, vcc, s4, v12
	v_ashrrev_i32_e32 v15, 31, v14
	v_addc_co_u32_e32 v13, vcc, v1, v13, vcc
	v_lshlrev_b64 v[14:15], 3, v[14:15]
	global_load_dwordx2 v[28:29], v[12:13], off
	v_add_co_u32_e32 v14, vcc, s4, v14
	v_addc_co_u32_e32 v15, vcc, v1, v15, vcc
	global_load_dwordx2 v[30:31], v[14:15], off
	s_bitcmp0_b32 s22, 0
	s_mov_b64 s[6:7], -1
	s_waitcnt vmcnt(6)
	buffer_store_dword v17, off, s[0:3], 0 offset:4
	buffer_store_dword v16, off, s[0:3], 0
	s_waitcnt vmcnt(7)
	buffer_store_dword v19, off, s[0:3], 0 offset:12
	buffer_store_dword v18, off, s[0:3], 0 offset:8
	s_waitcnt vmcnt(8)
	buffer_store_dword v23, off, s[0:3], 0 offset:20
	buffer_store_dword v22, off, s[0:3], 0 offset:16
	;; [unrolled: 3-line block ×6, first 2 shown]
	s_cbranch_scc1 .LBB6_40
; %bb.4:
	v_cmp_eq_u32_e64 s[4:5], 0, v0
	s_and_saveexec_b64 s[6:7], s[4:5]
	s_cbranch_execz .LBB6_6
; %bb.5:
	v_mov_b32_e32 v1, 0
	ds_write_b32 v1, v1 offset:56
.LBB6_6:
	s_or_b64 exec, exec, s[6:7]
	v_mov_b32_e32 v1, 0
	v_lshl_add_u32 v21, v0, 3, v1
	s_waitcnt lgkmcnt(0)
	; wave barrier
	s_waitcnt lgkmcnt(0)
	buffer_load_dword v1, v21, s[0:3], 0 offen
	buffer_load_dword v16, v21, s[0:3], 0 offen offset:4
	s_waitcnt vmcnt(1)
	v_cmp_eq_f32_e32 vcc, 0, v1
	s_waitcnt vmcnt(0)
	v_cmp_eq_f32_e64 s[6:7], 0, v16
	s_and_b64 s[6:7], vcc, s[6:7]
	s_and_saveexec_b64 s[12:13], s[6:7]
	s_cbranch_execz .LBB6_10
; %bb.7:
	v_mov_b32_e32 v1, 0
	ds_read_b32 v17, v1 offset:56
	v_add_u32_e32 v16, 1, v0
	s_waitcnt lgkmcnt(0)
	v_readfirstlane_b32 s6, v17
	s_cmp_eq_u32 s6, 0
	s_cselect_b64 s[16:17], -1, 0
	v_cmp_gt_i32_e32 vcc, s6, v16
	s_or_b64 s[16:17], s[16:17], vcc
	s_and_b64 exec, exec, s[16:17]
	s_cbranch_execz .LBB6_10
; %bb.8:
	s_mov_b64 s[16:17], 0
	v_mov_b32_e32 v17, s6
.LBB6_9:                                ; =>This Inner Loop Header: Depth=1
	ds_cmpst_rtn_b32 v17, v1, v17, v16 offset:56
	s_waitcnt lgkmcnt(0)
	v_cmp_ne_u32_e32 vcc, 0, v17
	v_cmp_le_i32_e64 s[6:7], v17, v16
	s_and_b64 s[6:7], vcc, s[6:7]
	s_and_b64 s[6:7], exec, s[6:7]
	s_or_b64 s[16:17], s[6:7], s[16:17]
	s_andn2_b64 exec, exec, s[16:17]
	s_cbranch_execnz .LBB6_9
.LBB6_10:
	s_or_b64 exec, exec, s[12:13]
	v_mov_b32_e32 v16, 0
	s_waitcnt lgkmcnt(0)
	; wave barrier
	ds_read_b32 v1, v16 offset:56
	s_and_saveexec_b64 s[6:7], s[4:5]
	s_cbranch_execz .LBB6_12
; %bb.11:
	s_lshl_b64 s[12:13], s[8:9], 2
	s_add_u32 s12, s14, s12
	s_addc_u32 s13, s15, s13
	s_waitcnt lgkmcnt(0)
	global_store_dword v16, v1, s[12:13]
.LBB6_12:
	s_or_b64 exec, exec, s[6:7]
	s_waitcnt lgkmcnt(0)
	v_cmp_ne_u32_e32 vcc, 0, v1
	s_mov_b64 s[6:7], 0
	s_cbranch_vccnz .LBB6_40
; %bb.13:
	buffer_load_dword v22, v21, s[0:3], 0 offen offset:4
	buffer_load_dword v17, v21, s[0:3], 0 offen
	s_waitcnt vmcnt(1)
	v_cmp_gt_f32_e32 vcc, 0, v22
	v_cndmask_b32_e64 v1, v22, -v22, vcc
	s_waitcnt vmcnt(0)
	v_cmp_gt_f32_e32 vcc, 0, v17
	v_cndmask_b32_e64 v16, v17, -v17, vcc
	v_cmp_ngt_f32_e32 vcc, v16, v1
                                        ; implicit-def: $vgpr1
                                        ; implicit-def: $vgpr16
	s_and_saveexec_b64 s[6:7], vcc
	s_xor_b64 s[6:7], exec, s[6:7]
                                        ; implicit-def: $vgpr18_vgpr19
	s_cbranch_execz .LBB6_15
; %bb.14:
	v_div_scale_f32 v1, s[12:13], v22, v22, v17
	v_rcp_f32_e32 v16, v1
	v_div_scale_f32 v18, vcc, v17, v22, v17
	v_fma_f32 v19, -v1, v16, 1.0
	v_fmac_f32_e32 v16, v19, v16
	v_mul_f32_e32 v19, v18, v16
	v_fma_f32 v23, -v1, v19, v18
	v_fmac_f32_e32 v19, v23, v16
	v_fma_f32 v1, -v1, v19, v18
	v_div_fmas_f32 v1, v1, v16, v19
	v_div_fixup_f32 v16, v1, v22, v17
	v_fmac_f32_e32 v22, v17, v16
	v_div_scale_f32 v1, s[12:13], v22, v22, -1.0
	v_rcp_f32_e32 v17, v1
	v_fma_f32 v18, -v1, v17, 1.0
	v_fmac_f32_e32 v17, v18, v17
	v_div_scale_f32 v18, vcc, -1.0, v22, -1.0
	v_mul_f32_e32 v19, v18, v17
	v_fma_f32 v23, -v1, v19, v18
	v_fmac_f32_e32 v19, v23, v17
	v_fma_f32 v1, -v1, v19, v18
	v_div_fmas_f32 v1, v1, v17, v19
	v_div_fixup_f32 v1, v1, v22, -1.0
	v_mul_f32_e32 v16, v16, v1
	v_xor_b32_e32 v18, 0x80000000, v16
                                        ; implicit-def: $vgpr17
                                        ; implicit-def: $vgpr22
.LBB6_15:
	s_andn2_saveexec_b64 s[6:7], s[6:7]
	s_cbranch_execz .LBB6_17
; %bb.16:
	v_div_scale_f32 v1, s[12:13], v17, v17, v22
	v_rcp_f32_e32 v16, v1
	v_div_scale_f32 v18, vcc, v22, v17, v22
	v_fma_f32 v19, -v1, v16, 1.0
	v_fmac_f32_e32 v16, v19, v16
	v_mul_f32_e32 v19, v18, v16
	v_fma_f32 v23, -v1, v19, v18
	v_fmac_f32_e32 v19, v23, v16
	v_fma_f32 v1, -v1, v19, v18
	v_div_fmas_f32 v1, v1, v16, v19
	v_div_fixup_f32 v1, v1, v17, v22
	v_fmac_f32_e32 v17, v22, v1
	v_div_scale_f32 v16, s[12:13], v17, v17, 1.0
	v_rcp_f32_e32 v18, v16
	v_fma_f32 v19, -v16, v18, 1.0
	v_fmac_f32_e32 v18, v19, v18
	v_div_scale_f32 v19, vcc, 1.0, v17, 1.0
	v_mul_f32_e32 v22, v19, v18
	v_fma_f32 v23, -v16, v22, v19
	v_fmac_f32_e32 v22, v23, v18
	v_fma_f32 v16, -v16, v22, v19
	v_div_fmas_f32 v16, v16, v18, v22
	v_div_fixup_f32 v18, v16, v17, 1.0
	v_xor_b32_e32 v16, 0x80000000, v18
	v_mul_f32_e64 v1, v1, -v18
.LBB6_17:
	s_or_b64 exec, exec, s[6:7]
	buffer_store_dword v1, v21, s[0:3], 0 offen offset:4
	buffer_store_dword v18, v21, s[0:3], 0 offen
	buffer_load_dword v19, off, s[0:3], 0 offset:12
	s_nop 0
	buffer_load_dword v18, off, s[0:3], 0 offset:8
	v_xor_b32_e32 v17, 0x80000000, v1
	v_add_u32_e32 v1, 64, v20
	s_waitcnt vmcnt(0)
	ds_write2_b64 v20, v[16:17], v[18:19] offset1:8
	s_waitcnt lgkmcnt(0)
	; wave barrier
	s_waitcnt lgkmcnt(0)
	s_and_saveexec_b64 s[6:7], s[4:5]
	s_cbranch_execz .LBB6_19
; %bb.18:
	buffer_load_dword v22, v21, s[0:3], 0 offen offset:4
	buffer_load_dword v23, v21, s[0:3], 0 offen
	ds_read_b64 v[16:17], v1
	v_mov_b32_e32 v18, 0
	ds_read_b64 v[18:19], v18 offset:8
	s_waitcnt vmcnt(1) lgkmcnt(1)
	v_mul_f32_e32 v24, v17, v22
	v_mul_f32_e32 v22, v16, v22
	s_waitcnt vmcnt(0)
	v_fmac_f32_e32 v22, v17, v23
	v_fma_f32 v16, v16, v23, -v24
	v_add_f32_e32 v17, 0, v22
	v_add_f32_e32 v16, 0, v16
	s_waitcnt lgkmcnt(0)
	v_mul_f32_e32 v22, v17, v19
	v_mul_f32_e32 v19, v16, v19
	v_fma_f32 v16, v16, v18, -v22
	v_fmac_f32_e32 v19, v17, v18
	buffer_store_dword v16, off, s[0:3], 0 offset:8
	buffer_store_dword v19, off, s[0:3], 0 offset:12
.LBB6_19:
	s_or_b64 exec, exec, s[6:7]
	s_waitcnt lgkmcnt(0)
	; wave barrier
	buffer_load_dword v16, off, s[0:3], 0 offset:16
	buffer_load_dword v17, off, s[0:3], 0 offset:20
	v_cmp_gt_u32_e32 vcc, 2, v0
	s_waitcnt vmcnt(0)
	ds_write_b64 v1, v[16:17]
	s_waitcnt lgkmcnt(0)
	; wave barrier
	s_waitcnt lgkmcnt(0)
	s_and_saveexec_b64 s[6:7], vcc
	s_cbranch_execz .LBB6_23
; %bb.20:
	buffer_load_dword v18, v21, s[0:3], 0 offen offset:4
	buffer_load_dword v19, v21, s[0:3], 0 offen
	ds_read_b64 v[16:17], v1
	s_waitcnt vmcnt(1) lgkmcnt(0)
	v_mul_f32_e32 v21, v17, v18
	v_mul_f32_e32 v18, v16, v18
	s_waitcnt vmcnt(0)
	v_fma_f32 v16, v16, v19, -v21
	v_fmac_f32_e32 v18, v17, v19
	v_add_f32_e32 v17, 0, v16
	v_add_f32_e32 v16, 0, v18
	s_and_saveexec_b64 s[12:13], s[4:5]
	s_cbranch_execz .LBB6_22
; %bb.21:
	buffer_load_dword v21, off, s[0:3], 0 offset:12
	buffer_load_dword v22, off, s[0:3], 0 offset:8
	v_mov_b32_e32 v18, 0
	ds_read_b64 v[18:19], v18 offset:72
	s_waitcnt vmcnt(1) lgkmcnt(0)
	v_mul_f32_e32 v23, v18, v21
	v_mul_f32_e32 v21, v19, v21
	s_waitcnt vmcnt(0)
	v_fmac_f32_e32 v23, v19, v22
	v_fma_f32 v18, v18, v22, -v21
	v_add_f32_e32 v16, v16, v23
	v_add_f32_e32 v17, v17, v18
.LBB6_22:
	s_or_b64 exec, exec, s[12:13]
	v_mov_b32_e32 v18, 0
	ds_read_b64 v[18:19], v18 offset:16
	s_waitcnt lgkmcnt(0)
	v_mul_f32_e32 v21, v16, v19
	v_mul_f32_e32 v19, v17, v19
	v_fma_f32 v17, v17, v18, -v21
	v_fmac_f32_e32 v19, v16, v18
	buffer_store_dword v17, off, s[0:3], 0 offset:16
	buffer_store_dword v19, off, s[0:3], 0 offset:20
.LBB6_23:
	s_or_b64 exec, exec, s[6:7]
	s_waitcnt lgkmcnt(0)
	; wave barrier
	buffer_load_dword v16, off, s[0:3], 0 offset:24
	buffer_load_dword v17, off, s[0:3], 0 offset:28
	v_cmp_gt_u32_e32 vcc, 3, v0
	s_waitcnt vmcnt(0)
	ds_write_b64 v1, v[16:17]
	v_add_u32_e32 v16, -1, v0
	s_waitcnt lgkmcnt(0)
	; wave barrier
	s_waitcnt lgkmcnt(0)
	s_and_saveexec_b64 s[4:5], vcc
	s_cbranch_execz .LBB6_27
; %bb.24:
	v_add_u32_e32 v18, -1, v0
	v_add_u32_e32 v19, 64, v20
	v_add_u32_e32 v21, 0, v20
	s_mov_b64 s[6:7], 0
	v_mov_b32_e32 v17, 0
	v_mov_b32_e32 v22, 0
.LBB6_25:                               ; =>This Inner Loop Header: Depth=1
	buffer_load_dword v23, v21, s[0:3], 0 offen offset:4
	buffer_load_dword v26, v21, s[0:3], 0 offen
	ds_read_b64 v[24:25], v19
	v_add_u32_e32 v18, 1, v18
	v_cmp_lt_u32_e32 vcc, 1, v18
	v_add_u32_e32 v19, 8, v19
	v_add_u32_e32 v21, 8, v21
	s_or_b64 s[6:7], vcc, s[6:7]
	s_waitcnt vmcnt(1) lgkmcnt(0)
	v_mul_f32_e32 v27, v25, v23
	v_mul_f32_e32 v23, v24, v23
	s_waitcnt vmcnt(0)
	v_fma_f32 v24, v24, v26, -v27
	v_fmac_f32_e32 v23, v25, v26
	v_add_f32_e32 v22, v22, v24
	v_add_f32_e32 v17, v17, v23
	s_andn2_b64 exec, exec, s[6:7]
	s_cbranch_execnz .LBB6_25
; %bb.26:
	s_or_b64 exec, exec, s[6:7]
	v_mov_b32_e32 v18, 0
	ds_read_b64 v[18:19], v18 offset:24
	s_waitcnt lgkmcnt(0)
	v_mul_f32_e32 v21, v17, v19
	v_mul_f32_e32 v19, v22, v19
	v_fma_f32 v21, v22, v18, -v21
	v_fmac_f32_e32 v19, v17, v18
	buffer_store_dword v21, off, s[0:3], 0 offset:24
	buffer_store_dword v19, off, s[0:3], 0 offset:28
.LBB6_27:
	s_or_b64 exec, exec, s[4:5]
	s_waitcnt lgkmcnt(0)
	; wave barrier
	buffer_load_dword v18, off, s[0:3], 0 offset:32
	buffer_load_dword v19, off, s[0:3], 0 offset:36
	v_cmp_gt_u32_e32 vcc, 4, v0
	s_waitcnt vmcnt(0)
	ds_write_b64 v1, v[18:19]
	s_waitcnt lgkmcnt(0)
	; wave barrier
	s_waitcnt lgkmcnt(0)
	s_and_saveexec_b64 s[4:5], vcc
	s_cbranch_execz .LBB6_31
; %bb.28:
	v_add_u32_e32 v18, -1, v0
	v_add_u32_e32 v19, 64, v20
	v_add_u32_e32 v21, 0, v20
	s_mov_b64 s[6:7], 0
	v_mov_b32_e32 v17, 0
	v_mov_b32_e32 v22, 0
.LBB6_29:                               ; =>This Inner Loop Header: Depth=1
	buffer_load_dword v23, v21, s[0:3], 0 offen offset:4
	buffer_load_dword v26, v21, s[0:3], 0 offen
	ds_read_b64 v[24:25], v19
	v_add_u32_e32 v18, 1, v18
	v_cmp_lt_u32_e32 vcc, 2, v18
	v_add_u32_e32 v19, 8, v19
	v_add_u32_e32 v21, 8, v21
	s_or_b64 s[6:7], vcc, s[6:7]
	s_waitcnt vmcnt(1) lgkmcnt(0)
	v_mul_f32_e32 v27, v25, v23
	v_mul_f32_e32 v23, v24, v23
	s_waitcnt vmcnt(0)
	v_fma_f32 v24, v24, v26, -v27
	v_fmac_f32_e32 v23, v25, v26
	v_add_f32_e32 v22, v22, v24
	v_add_f32_e32 v17, v17, v23
	s_andn2_b64 exec, exec, s[6:7]
	s_cbranch_execnz .LBB6_29
; %bb.30:
	s_or_b64 exec, exec, s[6:7]
	v_mov_b32_e32 v18, 0
	ds_read_b64 v[18:19], v18 offset:32
	s_waitcnt lgkmcnt(0)
	v_mul_f32_e32 v21, v17, v19
	v_mul_f32_e32 v19, v22, v19
	v_fma_f32 v21, v22, v18, -v21
	v_fmac_f32_e32 v19, v17, v18
	buffer_store_dword v21, off, s[0:3], 0 offset:32
	buffer_store_dword v19, off, s[0:3], 0 offset:36
.LBB6_31:
	s_or_b64 exec, exec, s[4:5]
	s_waitcnt lgkmcnt(0)
	; wave barrier
	buffer_load_dword v18, off, s[0:3], 0 offset:40
	buffer_load_dword v19, off, s[0:3], 0 offset:44
	v_cmp_gt_u32_e32 vcc, 5, v0
	s_waitcnt vmcnt(0)
	ds_write_b64 v1, v[18:19]
	s_waitcnt lgkmcnt(0)
	; wave barrier
	s_waitcnt lgkmcnt(0)
	s_and_saveexec_b64 s[4:5], vcc
	s_cbranch_execz .LBB6_35
; %bb.32:
	v_add_u32_e32 v18, -1, v0
	v_add_u32_e32 v19, 64, v20
	v_add_u32_e32 v21, 0, v20
	s_mov_b64 s[6:7], 0
	v_mov_b32_e32 v17, 0
	v_mov_b32_e32 v22, 0
.LBB6_33:                               ; =>This Inner Loop Header: Depth=1
	buffer_load_dword v23, v21, s[0:3], 0 offen offset:4
	buffer_load_dword v26, v21, s[0:3], 0 offen
	ds_read_b64 v[24:25], v19
	v_add_u32_e32 v18, 1, v18
	v_cmp_lt_u32_e32 vcc, 3, v18
	v_add_u32_e32 v19, 8, v19
	v_add_u32_e32 v21, 8, v21
	s_or_b64 s[6:7], vcc, s[6:7]
	s_waitcnt vmcnt(1) lgkmcnt(0)
	v_mul_f32_e32 v27, v25, v23
	v_mul_f32_e32 v23, v24, v23
	s_waitcnt vmcnt(0)
	v_fma_f32 v24, v24, v26, -v27
	v_fmac_f32_e32 v23, v25, v26
	v_add_f32_e32 v22, v22, v24
	v_add_f32_e32 v17, v17, v23
	s_andn2_b64 exec, exec, s[6:7]
	s_cbranch_execnz .LBB6_33
; %bb.34:
	s_or_b64 exec, exec, s[6:7]
	v_mov_b32_e32 v18, 0
	ds_read_b64 v[18:19], v18 offset:40
	s_waitcnt lgkmcnt(0)
	v_mul_f32_e32 v21, v17, v19
	v_mul_f32_e32 v19, v22, v19
	v_fma_f32 v21, v22, v18, -v21
	v_fmac_f32_e32 v19, v17, v18
	buffer_store_dword v21, off, s[0:3], 0 offset:40
	buffer_store_dword v19, off, s[0:3], 0 offset:44
.LBB6_35:
	s_or_b64 exec, exec, s[4:5]
	s_waitcnt lgkmcnt(0)
	; wave barrier
	buffer_load_dword v18, off, s[0:3], 0 offset:48
	buffer_load_dword v19, off, s[0:3], 0 offset:52
	v_cmp_ne_u32_e32 vcc, 6, v0
	s_waitcnt vmcnt(0)
	ds_write_b64 v1, v[18:19]
	s_waitcnt lgkmcnt(0)
	; wave barrier
	s_waitcnt lgkmcnt(0)
	s_and_saveexec_b64 s[4:5], vcc
	s_cbranch_execz .LBB6_39
; %bb.36:
	v_add_u32_e32 v18, 0, v20
	s_mov_b64 s[6:7], 0
	v_mov_b32_e32 v17, 0
	v_mov_b32_e32 v19, 0
.LBB6_37:                               ; =>This Inner Loop Header: Depth=1
	buffer_load_dword v22, v18, s[0:3], 0 offen offset:4
	buffer_load_dword v23, v18, s[0:3], 0 offen
	ds_read_b64 v[20:21], v1
	v_add_u32_e32 v16, 1, v16
	v_cmp_lt_u32_e32 vcc, 4, v16
	v_add_u32_e32 v1, 8, v1
	v_add_u32_e32 v18, 8, v18
	s_or_b64 s[6:7], vcc, s[6:7]
	s_waitcnt vmcnt(1) lgkmcnt(0)
	v_mul_f32_e32 v24, v21, v22
	v_mul_f32_e32 v22, v20, v22
	s_waitcnt vmcnt(0)
	v_fma_f32 v20, v20, v23, -v24
	v_fmac_f32_e32 v22, v21, v23
	v_add_f32_e32 v19, v19, v20
	v_add_f32_e32 v17, v17, v22
	s_andn2_b64 exec, exec, s[6:7]
	s_cbranch_execnz .LBB6_37
; %bb.38:
	s_or_b64 exec, exec, s[6:7]
	v_mov_b32_e32 v1, 0
	ds_read_b64 v[20:21], v1 offset:48
	s_waitcnt lgkmcnt(0)
	v_mul_f32_e32 v1, v17, v21
	v_mul_f32_e32 v16, v19, v21
	v_fma_f32 v1, v19, v20, -v1
	v_fmac_f32_e32 v16, v17, v20
	buffer_store_dword v1, off, s[0:3], 0 offset:48
	buffer_store_dword v16, off, s[0:3], 0 offset:52
.LBB6_39:
	s_or_b64 exec, exec, s[4:5]
	s_mov_b64 s[6:7], -1
	s_waitcnt lgkmcnt(0)
	; wave barrier
.LBB6_40:
	s_and_b64 vcc, exec, s[6:7]
	s_cbranch_vccz .LBB6_42
; %bb.41:
	s_lshl_b64 s[4:5], s[8:9], 2
	s_add_u32 s4, s14, s4
	s_addc_u32 s5, s15, s5
	v_mov_b32_e32 v1, 0
	global_load_dword v1, v1, s[4:5]
	s_waitcnt vmcnt(0)
	v_cmp_ne_u32_e32 vcc, 0, v1
	s_cbranch_vccz .LBB6_43
.LBB6_42:
	s_endpgm
.LBB6_43:
	v_lshl_add_u32 v1, v0, 3, 64
	v_cmp_eq_u32_e32 vcc, 6, v0
	s_and_saveexec_b64 s[4:5], vcc
	s_cbranch_execz .LBB6_45
; %bb.44:
	buffer_load_dword v16, off, s[0:3], 0 offset:40
	buffer_load_dword v17, off, s[0:3], 0 offset:44
	v_mov_b32_e32 v18, 0
	buffer_store_dword v18, off, s[0:3], 0 offset:40
	buffer_store_dword v18, off, s[0:3], 0 offset:44
	s_waitcnt vmcnt(2)
	ds_write_b64 v1, v[16:17]
.LBB6_45:
	s_or_b64 exec, exec, s[4:5]
	s_waitcnt lgkmcnt(0)
	; wave barrier
	s_waitcnt lgkmcnt(0)
	buffer_load_dword v19, off, s[0:3], 0 offset:52
	buffer_load_dword v18, off, s[0:3], 0 offset:48
	;; [unrolled: 1-line block ×4, first 2 shown]
	v_mov_b32_e32 v16, 0
	ds_read_b64 v[22:23], v16 offset:112
	v_cmp_lt_u32_e32 vcc, 4, v0
	s_waitcnt vmcnt(3)
	v_mov_b32_e32 v24, v19
	s_waitcnt lgkmcnt(0)
	v_pk_mul_f32 v[24:25], v[22:23], v[24:25] op_sel_hi:[1,0]
	s_waitcnt vmcnt(2)
	v_pk_fma_f32 v[26:27], v[22:23], v[18:19], v[24:25] op_sel:[0,0,1] op_sel_hi:[1,1,0] neg_lo:[0,0,1] neg_hi:[0,0,1]
	v_pk_fma_f32 v[18:19], v[22:23], v[18:19], v[24:25] op_sel:[0,0,1] op_sel_hi:[1,0,0]
	v_mov_b32_e32 v27, v19
	v_pk_add_f32 v[18:19], v[26:27], 0 op_sel_hi:[1,0]
	s_waitcnt vmcnt(0)
	v_pk_add_f32 v[18:19], v[20:21], v[18:19] neg_lo:[0,1] neg_hi:[0,1]
	buffer_store_dword v18, off, s[0:3], 0 offset:40
	buffer_store_dword v19, off, s[0:3], 0 offset:44
	s_and_saveexec_b64 s[4:5], vcc
	s_cbranch_execz .LBB6_47
; %bb.46:
	buffer_load_dword v18, off, s[0:3], 0 offset:32
	buffer_load_dword v19, off, s[0:3], 0 offset:36
	s_waitcnt vmcnt(0)
	ds_write_b64 v1, v[18:19]
	buffer_store_dword v16, off, s[0:3], 0 offset:32
	buffer_store_dword v16, off, s[0:3], 0 offset:36
.LBB6_47:
	s_or_b64 exec, exec, s[4:5]
	s_waitcnt lgkmcnt(0)
	; wave barrier
	s_waitcnt lgkmcnt(0)
	buffer_load_dword v21, off, s[0:3], 0 offset:44
	buffer_load_dword v23, off, s[0:3], 0 offset:52
	;; [unrolled: 1-line block ×6, first 2 shown]
	ds_read2_b64 v[16:19], v16 offset0:13 offset1:14
	v_cmp_lt_u32_e32 vcc, 3, v0
	s_waitcnt vmcnt(5)
	v_mov_b32_e32 v26, v21
	s_waitcnt vmcnt(4)
	v_mov_b32_e32 v28, v23
	s_waitcnt lgkmcnt(0)
	v_pk_mul_f32 v[26:27], v[16:17], v[26:27] op_sel_hi:[1,0]
	v_pk_mul_f32 v[28:29], v[18:19], v[28:29] op_sel_hi:[1,0]
	s_waitcnt vmcnt(3)
	v_pk_fma_f32 v[30:31], v[16:17], v[20:21], v[26:27] op_sel:[0,0,1] op_sel_hi:[1,1,0] neg_lo:[0,0,1] neg_hi:[0,0,1]
	v_pk_fma_f32 v[16:17], v[16:17], v[20:21], v[26:27] op_sel:[0,0,1] op_sel_hi:[1,0,0]
	s_waitcnt vmcnt(2)
	v_pk_fma_f32 v[20:21], v[18:19], v[22:23], v[28:29] op_sel:[0,0,1] op_sel_hi:[1,1,0] neg_lo:[0,0,1] neg_hi:[0,0,1]
	v_pk_fma_f32 v[18:19], v[18:19], v[22:23], v[28:29] op_sel:[0,0,1] op_sel_hi:[1,0,0]
	v_mov_b32_e32 v31, v17
	v_mov_b32_e32 v21, v19
	v_pk_add_f32 v[16:17], v[30:31], 0 op_sel_hi:[1,0]
	v_pk_add_f32 v[16:17], v[16:17], v[20:21]
	s_waitcnt vmcnt(0)
	v_pk_add_f32 v[16:17], v[24:25], v[16:17] neg_lo:[0,1] neg_hi:[0,1]
	buffer_store_dword v16, off, s[0:3], 0 offset:32
	buffer_store_dword v17, off, s[0:3], 0 offset:36
	s_and_saveexec_b64 s[4:5], vcc
	s_cbranch_execz .LBB6_49
; %bb.48:
	buffer_load_dword v16, off, s[0:3], 0 offset:24
	buffer_load_dword v17, off, s[0:3], 0 offset:28
	v_mov_b32_e32 v18, 0
	buffer_store_dword v18, off, s[0:3], 0 offset:24
	buffer_store_dword v18, off, s[0:3], 0 offset:28
	s_waitcnt vmcnt(2)
	ds_write_b64 v1, v[16:17]
.LBB6_49:
	s_or_b64 exec, exec, s[4:5]
	s_waitcnt lgkmcnt(0)
	; wave barrier
	s_waitcnt lgkmcnt(0)
	buffer_load_dword v23, off, s[0:3], 0 offset:36
	buffer_load_dword v25, off, s[0:3], 0 offset:44
	;; [unrolled: 1-line block ×8, first 2 shown]
	v_mov_b32_e32 v16, 0
	ds_read_b128 v[18:21], v16 offset:96
	ds_read_b64 v[30:31], v16 offset:112
	v_cmp_lt_u32_e32 vcc, 2, v0
	s_waitcnt vmcnt(7)
	v_mov_b32_e32 v32, v23
	s_waitcnt vmcnt(6)
	v_mov_b32_e32 v34, v25
	s_waitcnt lgkmcnt(1)
	v_pk_mul_f32 v[32:33], v[18:19], v[32:33] op_sel_hi:[1,0]
	s_waitcnt vmcnt(5)
	v_mov_b32_e32 v36, v27
	v_pk_mul_f32 v[34:35], v[20:21], v[34:35] op_sel_hi:[1,0]
	s_waitcnt vmcnt(4)
	v_pk_fma_f32 v[38:39], v[18:19], v[22:23], v[32:33] op_sel:[0,0,1] op_sel_hi:[1,1,0] neg_lo:[0,0,1] neg_hi:[0,0,1]
	v_pk_fma_f32 v[18:19], v[18:19], v[22:23], v[32:33] op_sel:[0,0,1] op_sel_hi:[1,0,0]
	s_waitcnt lgkmcnt(0)
	v_pk_mul_f32 v[36:37], v[30:31], v[36:37] op_sel_hi:[1,0]
	s_waitcnt vmcnt(3)
	v_pk_fma_f32 v[22:23], v[20:21], v[24:25], v[34:35] op_sel:[0,0,1] op_sel_hi:[1,1,0] neg_lo:[0,0,1] neg_hi:[0,0,1]
	v_pk_fma_f32 v[20:21], v[20:21], v[24:25], v[34:35] op_sel:[0,0,1] op_sel_hi:[1,0,0]
	v_mov_b32_e32 v39, v19
	s_waitcnt vmcnt(2)
	v_pk_fma_f32 v[24:25], v[30:31], v[26:27], v[36:37] op_sel:[0,0,1] op_sel_hi:[1,1,0] neg_lo:[0,0,1] neg_hi:[0,0,1]
	v_pk_fma_f32 v[26:27], v[30:31], v[26:27], v[36:37] op_sel:[0,0,1] op_sel_hi:[1,0,0]
	v_mov_b32_e32 v23, v21
	v_pk_add_f32 v[18:19], v[38:39], 0 op_sel_hi:[1,0]
	v_mov_b32_e32 v25, v27
	v_pk_add_f32 v[18:19], v[18:19], v[22:23]
	v_pk_add_f32 v[18:19], v[18:19], v[24:25]
	s_waitcnt vmcnt(0)
	v_pk_add_f32 v[18:19], v[28:29], v[18:19] neg_lo:[0,1] neg_hi:[0,1]
	buffer_store_dword v18, off, s[0:3], 0 offset:24
	buffer_store_dword v19, off, s[0:3], 0 offset:28
	s_and_saveexec_b64 s[4:5], vcc
	s_cbranch_execz .LBB6_51
; %bb.50:
	buffer_load_dword v18, off, s[0:3], 0 offset:16
	buffer_load_dword v19, off, s[0:3], 0 offset:20
	s_waitcnt vmcnt(0)
	ds_write_b64 v1, v[18:19]
	buffer_store_dword v16, off, s[0:3], 0 offset:16
	buffer_store_dword v16, off, s[0:3], 0 offset:20
.LBB6_51:
	s_or_b64 exec, exec, s[4:5]
	s_waitcnt lgkmcnt(0)
	; wave barrier
	s_waitcnt lgkmcnt(0)
	buffer_load_dword v27, off, s[0:3], 0 offset:28
	buffer_load_dword v29, off, s[0:3], 0 offset:36
	;; [unrolled: 1-line block ×10, first 2 shown]
	ds_read2_b64 v[18:21], v16 offset0:11 offset1:12
	ds_read2_b64 v[22:25], v16 offset0:13 offset1:14
	v_cmp_lt_u32_e32 vcc, 1, v0
	s_waitcnt vmcnt(9)
	v_mov_b32_e32 v16, v27
	s_waitcnt vmcnt(8)
	v_mov_b32_e32 v36, v29
	s_waitcnt lgkmcnt(1)
	v_pk_mul_f32 v[16:17], v[18:19], v[16:17] op_sel_hi:[1,0]
	s_waitcnt vmcnt(7)
	v_mov_b32_e32 v38, v31
	v_pk_mul_f32 v[36:37], v[20:21], v[36:37] op_sel_hi:[1,0]
	s_waitcnt vmcnt(5)
	v_pk_fma_f32 v[42:43], v[18:19], v[26:27], v[16:17] op_sel:[0,0,1] op_sel_hi:[1,1,0] neg_lo:[0,0,1] neg_hi:[0,0,1]
	v_pk_fma_f32 v[16:17], v[18:19], v[26:27], v[16:17] op_sel:[0,0,1] op_sel_hi:[1,0,0]
	v_mov_b32_e32 v40, v33
	s_waitcnt lgkmcnt(0)
	v_pk_mul_f32 v[38:39], v[22:23], v[38:39] op_sel_hi:[1,0]
	s_waitcnt vmcnt(4)
	v_pk_fma_f32 v[18:19], v[20:21], v[28:29], v[36:37] op_sel:[0,0,1] op_sel_hi:[1,1,0] neg_lo:[0,0,1] neg_hi:[0,0,1]
	v_pk_fma_f32 v[20:21], v[20:21], v[28:29], v[36:37] op_sel:[0,0,1] op_sel_hi:[1,0,0]
	v_mov_b32_e32 v43, v17
	v_pk_mul_f32 v[40:41], v[24:25], v[40:41] op_sel_hi:[1,0]
	s_waitcnt vmcnt(3)
	v_pk_fma_f32 v[26:27], v[22:23], v[30:31], v[38:39] op_sel:[0,0,1] op_sel_hi:[1,1,0] neg_lo:[0,0,1] neg_hi:[0,0,1]
	v_pk_fma_f32 v[22:23], v[22:23], v[30:31], v[38:39] op_sel:[0,0,1] op_sel_hi:[1,0,0]
	v_mov_b32_e32 v19, v21
	v_pk_add_f32 v[16:17], v[42:43], 0 op_sel_hi:[1,0]
	s_waitcnt vmcnt(2)
	v_pk_fma_f32 v[28:29], v[24:25], v[32:33], v[40:41] op_sel:[0,0,1] op_sel_hi:[1,1,0] neg_lo:[0,0,1] neg_hi:[0,0,1]
	v_pk_fma_f32 v[24:25], v[24:25], v[32:33], v[40:41] op_sel:[0,0,1] op_sel_hi:[1,0,0]
	v_mov_b32_e32 v27, v23
	v_pk_add_f32 v[16:17], v[16:17], v[18:19]
	v_mov_b32_e32 v29, v25
	v_pk_add_f32 v[16:17], v[16:17], v[26:27]
	v_pk_add_f32 v[16:17], v[16:17], v[28:29]
	s_waitcnt vmcnt(0)
	v_pk_add_f32 v[16:17], v[34:35], v[16:17] neg_lo:[0,1] neg_hi:[0,1]
	buffer_store_dword v16, off, s[0:3], 0 offset:16
	buffer_store_dword v17, off, s[0:3], 0 offset:20
	s_and_saveexec_b64 s[4:5], vcc
	s_cbranch_execz .LBB6_53
; %bb.52:
	buffer_load_dword v16, off, s[0:3], 0 offset:8
	buffer_load_dword v17, off, s[0:3], 0 offset:12
	v_mov_b32_e32 v18, 0
	buffer_store_dword v18, off, s[0:3], 0 offset:8
	buffer_store_dword v18, off, s[0:3], 0 offset:12
	s_waitcnt vmcnt(2)
	ds_write_b64 v1, v[16:17]
.LBB6_53:
	s_or_b64 exec, exec, s[4:5]
	s_waitcnt lgkmcnt(0)
	; wave barrier
	s_waitcnt lgkmcnt(0)
	buffer_load_dword v27, off, s[0:3], 0 offset:20
	buffer_load_dword v29, off, s[0:3], 0 offset:28
	;; [unrolled: 1-line block ×12, first 2 shown]
	v_mov_b32_e32 v16, 0
	ds_read_b128 v[18:21], v16 offset:80
	ds_read_b128 v[22:25], v16 offset:96
	ds_read_b64 v[38:39], v16 offset:112
	v_cmp_ne_u32_e32 vcc, 0, v0
	s_waitcnt vmcnt(11)
	v_mov_b32_e32 v40, v27
	s_waitcnt vmcnt(10)
	v_mov_b32_e32 v42, v29
	s_waitcnt lgkmcnt(2)
	v_pk_mul_f32 v[40:41], v[18:19], v[40:41] op_sel_hi:[1,0]
	s_waitcnt vmcnt(9)
	v_mov_b32_e32 v44, v31
	v_pk_mul_f32 v[42:43], v[20:21], v[42:43] op_sel_hi:[1,0]
	s_waitcnt vmcnt(6)
	v_pk_fma_f32 v[50:51], v[18:19], v[26:27], v[40:41] op_sel:[0,0,1] op_sel_hi:[1,1,0] neg_lo:[0,0,1] neg_hi:[0,0,1]
	v_pk_fma_f32 v[18:19], v[18:19], v[26:27], v[40:41] op_sel:[0,0,1] op_sel_hi:[1,0,0]
	v_mov_b32_e32 v46, v33
	s_waitcnt lgkmcnt(1)
	v_pk_mul_f32 v[44:45], v[22:23], v[44:45] op_sel_hi:[1,0]
	s_waitcnt vmcnt(5)
	v_pk_fma_f32 v[26:27], v[20:21], v[28:29], v[42:43] op_sel:[0,0,1] op_sel_hi:[1,1,0] neg_lo:[0,0,1] neg_hi:[0,0,1]
	v_pk_fma_f32 v[20:21], v[20:21], v[28:29], v[42:43] op_sel:[0,0,1] op_sel_hi:[1,0,0]
	v_mov_b32_e32 v51, v19
	v_mov_b32_e32 v48, v35
	v_pk_mul_f32 v[46:47], v[24:25], v[46:47] op_sel_hi:[1,0]
	s_waitcnt vmcnt(4)
	v_pk_fma_f32 v[28:29], v[22:23], v[30:31], v[44:45] op_sel:[0,0,1] op_sel_hi:[1,1,0] neg_lo:[0,0,1] neg_hi:[0,0,1]
	v_pk_fma_f32 v[22:23], v[22:23], v[30:31], v[44:45] op_sel:[0,0,1] op_sel_hi:[1,0,0]
	v_mov_b32_e32 v27, v21
	v_pk_add_f32 v[18:19], v[50:51], 0 op_sel_hi:[1,0]
	s_waitcnt lgkmcnt(0)
	v_pk_mul_f32 v[48:49], v[38:39], v[48:49] op_sel_hi:[1,0]
	s_waitcnt vmcnt(3)
	v_pk_fma_f32 v[30:31], v[24:25], v[32:33], v[46:47] op_sel:[0,0,1] op_sel_hi:[1,1,0] neg_lo:[0,0,1] neg_hi:[0,0,1]
	v_pk_fma_f32 v[24:25], v[24:25], v[32:33], v[46:47] op_sel:[0,0,1] op_sel_hi:[1,0,0]
	v_mov_b32_e32 v29, v23
	v_pk_add_f32 v[18:19], v[18:19], v[26:27]
	s_waitcnt vmcnt(2)
	v_pk_fma_f32 v[32:33], v[38:39], v[34:35], v[48:49] op_sel:[0,0,1] op_sel_hi:[1,1,0] neg_lo:[0,0,1] neg_hi:[0,0,1]
	v_pk_fma_f32 v[34:35], v[38:39], v[34:35], v[48:49] op_sel:[0,0,1] op_sel_hi:[1,0,0]
	v_mov_b32_e32 v31, v25
	v_pk_add_f32 v[18:19], v[18:19], v[28:29]
	v_mov_b32_e32 v33, v35
	v_pk_add_f32 v[18:19], v[18:19], v[30:31]
	v_pk_add_f32 v[18:19], v[18:19], v[32:33]
	s_waitcnt vmcnt(0)
	v_pk_add_f32 v[18:19], v[36:37], v[18:19] neg_lo:[0,1] neg_hi:[0,1]
	buffer_store_dword v18, off, s[0:3], 0 offset:8
	buffer_store_dword v19, off, s[0:3], 0 offset:12
	s_and_saveexec_b64 s[4:5], vcc
	s_cbranch_execz .LBB6_55
; %bb.54:
	buffer_load_dword v18, off, s[0:3], 0
	buffer_load_dword v19, off, s[0:3], 0 offset:4
	s_waitcnt vmcnt(0)
	ds_write_b64 v1, v[18:19]
	buffer_store_dword v16, off, s[0:3], 0
	buffer_store_dword v16, off, s[0:3], 0 offset:4
.LBB6_55:
	s_or_b64 exec, exec, s[4:5]
	s_waitcnt lgkmcnt(0)
	; wave barrier
	s_waitcnt lgkmcnt(0)
	buffer_load_dword v31, off, s[0:3], 0 offset:12
	buffer_load_dword v33, off, s[0:3], 0 offset:20
	;; [unrolled: 1-line block ×12, first 2 shown]
	buffer_load_dword v40, off, s[0:3], 0
	buffer_load_dword v41, off, s[0:3], 0 offset:4
	ds_read2_b64 v[18:21], v16 offset0:9 offset1:10
	ds_read2_b64 v[22:25], v16 offset0:11 offset1:12
	;; [unrolled: 1-line block ×3, first 2 shown]
	s_and_b64 vcc, exec, s[20:21]
	s_waitcnt vmcnt(13)
	v_mov_b32_e32 v16, v31
	s_waitcnt vmcnt(12)
	v_mov_b32_e32 v42, v33
	s_waitcnt lgkmcnt(2)
	v_pk_mul_f32 v[16:17], v[18:19], v[16:17] op_sel_hi:[1,0]
	s_waitcnt vmcnt(11)
	v_mov_b32_e32 v44, v35
	v_pk_mul_f32 v[42:43], v[20:21], v[42:43] op_sel_hi:[1,0]
	s_waitcnt vmcnt(10)
	v_mov_b32_e32 v46, v37
	s_waitcnt vmcnt(7)
	v_pk_fma_f32 v[52:53], v[18:19], v[30:31], v[16:17] op_sel:[0,0,1] op_sel_hi:[1,1,0] neg_lo:[0,0,1] neg_hi:[0,0,1]
	v_pk_fma_f32 v[16:17], v[18:19], v[30:31], v[16:17] op_sel:[0,0,1] op_sel_hi:[1,0,0]
	s_waitcnt lgkmcnt(1)
	v_pk_mul_f32 v[44:45], v[22:23], v[44:45] op_sel_hi:[1,0]
	s_waitcnt vmcnt(6)
	v_pk_fma_f32 v[18:19], v[20:21], v[32:33], v[42:43] op_sel:[0,0,1] op_sel_hi:[1,1,0] neg_lo:[0,0,1] neg_hi:[0,0,1]
	v_pk_fma_f32 v[20:21], v[20:21], v[32:33], v[42:43] op_sel:[0,0,1] op_sel_hi:[1,0,0]
	v_mov_b32_e32 v53, v17
	v_mov_b32_e32 v48, v1
	v_pk_mul_f32 v[46:47], v[24:25], v[46:47] op_sel_hi:[1,0]
	s_waitcnt vmcnt(5)
	v_pk_fma_f32 v[30:31], v[22:23], v[34:35], v[44:45] op_sel:[0,0,1] op_sel_hi:[1,1,0] neg_lo:[0,0,1] neg_hi:[0,0,1]
	v_pk_fma_f32 v[22:23], v[22:23], v[34:35], v[44:45] op_sel:[0,0,1] op_sel_hi:[1,0,0]
	v_mov_b32_e32 v19, v21
	v_pk_add_f32 v[16:17], v[52:53], 0 op_sel_hi:[1,0]
	v_mov_b32_e32 v50, v39
	s_waitcnt lgkmcnt(0)
	v_pk_mul_f32 v[48:49], v[26:27], v[48:49] op_sel_hi:[1,0]
	s_waitcnt vmcnt(4)
	v_pk_fma_f32 v[32:33], v[24:25], v[36:37], v[46:47] op_sel:[0,0,1] op_sel_hi:[1,1,0] neg_lo:[0,0,1] neg_hi:[0,0,1]
	v_pk_fma_f32 v[24:25], v[24:25], v[36:37], v[46:47] op_sel:[0,0,1] op_sel_hi:[1,0,0]
	v_mov_b32_e32 v31, v23
	v_pk_add_f32 v[16:17], v[16:17], v[18:19]
	v_pk_mul_f32 v[50:51], v[28:29], v[50:51] op_sel_hi:[1,0]
	s_waitcnt vmcnt(3)
	v_pk_fma_f32 v[34:35], v[26:27], v[0:1], v[48:49] op_sel:[0,0,1] op_sel_hi:[1,1,0] neg_lo:[0,0,1] neg_hi:[0,0,1]
	v_pk_fma_f32 v[26:27], v[26:27], v[0:1], v[48:49] op_sel:[0,0,1] op_sel_hi:[1,0,0]
	v_mov_b32_e32 v33, v25
	v_pk_add_f32 v[16:17], v[16:17], v[30:31]
	s_waitcnt vmcnt(2)
	v_pk_fma_f32 v[36:37], v[28:29], v[38:39], v[50:51] op_sel:[0,0,1] op_sel_hi:[1,1,0] neg_lo:[0,0,1] neg_hi:[0,0,1]
	v_pk_fma_f32 v[28:29], v[28:29], v[38:39], v[50:51] op_sel:[0,0,1] op_sel_hi:[1,0,0]
	v_mov_b32_e32 v35, v27
	v_pk_add_f32 v[16:17], v[16:17], v[32:33]
	v_mov_b32_e32 v37, v29
	v_pk_add_f32 v[16:17], v[16:17], v[34:35]
	v_pk_add_f32 v[16:17], v[16:17], v[36:37]
	s_waitcnt vmcnt(0)
	v_pk_add_f32 v[16:17], v[40:41], v[16:17] neg_lo:[0,1] neg_hi:[0,1]
	buffer_store_dword v16, off, s[0:3], 0
	buffer_store_dword v17, off, s[0:3], 0 offset:4
	s_cbranch_vccz .LBB6_69
; %bb.56:
	v_pk_mov_b32 v[16:17], s[10:11], s[10:11] op_sel:[0,1]
	flat_load_dword v16, v[16:17] offset:20
	s_waitcnt vmcnt(0) lgkmcnt(0)
	v_add_u32_e32 v16, -1, v16
	v_cmp_ne_u32_e32 vcc, 5, v16
	s_and_saveexec_b64 s[4:5], vcc
	s_cbranch_execz .LBB6_58
; %bb.57:
	v_mov_b32_e32 v17, 0
	v_lshl_add_u32 v16, v16, 3, v17
	buffer_load_dword v17, v16, s[0:3], 0 offen
	buffer_load_dword v18, v16, s[0:3], 0 offen offset:4
	s_waitcnt vmcnt(1)
	buffer_store_dword v17, off, s[0:3], 0 offset:40
	s_waitcnt vmcnt(1)
	buffer_store_dword v18, off, s[0:3], 0 offset:44
	buffer_store_dword v0, v16, s[0:3], 0 offen
	buffer_store_dword v1, v16, s[0:3], 0 offen offset:4
.LBB6_58:
	s_or_b64 exec, exec, s[4:5]
	v_pk_mov_b32 v[0:1], s[10:11], s[10:11] op_sel:[0,1]
	flat_load_dword v0, v[0:1] offset:16
	s_waitcnt vmcnt(0) lgkmcnt(0)
	v_add_u32_e32 v0, -1, v0
	v_cmp_ne_u32_e32 vcc, 4, v0
	s_and_saveexec_b64 s[4:5], vcc
	s_cbranch_execz .LBB6_60
; %bb.59:
	v_mov_b32_e32 v1, 0
	v_lshl_add_u32 v0, v0, 3, v1
	buffer_load_dword v1, v0, s[0:3], 0 offen
	buffer_load_dword v16, v0, s[0:3], 0 offen offset:4
	buffer_load_dword v17, off, s[0:3], 0 offset:36
	buffer_load_dword v18, off, s[0:3], 0 offset:32
	s_waitcnt vmcnt(3)
	buffer_store_dword v1, off, s[0:3], 0 offset:32
	s_waitcnt vmcnt(3)
	buffer_store_dword v16, off, s[0:3], 0 offset:36
	s_waitcnt vmcnt(3)
	buffer_store_dword v17, v0, s[0:3], 0 offen offset:4
	s_waitcnt vmcnt(3)
	buffer_store_dword v18, v0, s[0:3], 0 offen
.LBB6_60:
	s_or_b64 exec, exec, s[4:5]
	v_pk_mov_b32 v[0:1], s[10:11], s[10:11] op_sel:[0,1]
	flat_load_dword v0, v[0:1] offset:12
	s_waitcnt vmcnt(0) lgkmcnt(0)
	v_add_u32_e32 v0, -1, v0
	v_cmp_ne_u32_e32 vcc, 3, v0
	s_and_saveexec_b64 s[4:5], vcc
	s_cbranch_execz .LBB6_62
; %bb.61:
	v_mov_b32_e32 v1, 0
	v_lshl_add_u32 v0, v0, 3, v1
	buffer_load_dword v1, v0, s[0:3], 0 offen
	buffer_load_dword v16, v0, s[0:3], 0 offen offset:4
	buffer_load_dword v17, off, s[0:3], 0 offset:24
	buffer_load_dword v18, off, s[0:3], 0 offset:28
	s_waitcnt vmcnt(3)
	buffer_store_dword v1, off, s[0:3], 0 offset:24
	s_waitcnt vmcnt(3)
	buffer_store_dword v16, off, s[0:3], 0 offset:28
	s_waitcnt vmcnt(3)
	buffer_store_dword v17, v0, s[0:3], 0 offen
	s_waitcnt vmcnt(3)
	buffer_store_dword v18, v0, s[0:3], 0 offen offset:4
.LBB6_62:
	s_or_b64 exec, exec, s[4:5]
	v_pk_mov_b32 v[0:1], s[10:11], s[10:11] op_sel:[0,1]
	flat_load_dword v0, v[0:1] offset:8
	s_waitcnt vmcnt(0) lgkmcnt(0)
	v_add_u32_e32 v0, -1, v0
	v_cmp_ne_u32_e32 vcc, 2, v0
	s_and_saveexec_b64 s[4:5], vcc
	s_cbranch_execz .LBB6_64
; %bb.63:
	v_mov_b32_e32 v1, 0
	v_lshl_add_u32 v0, v0, 3, v1
	buffer_load_dword v1, v0, s[0:3], 0 offen
	buffer_load_dword v16, v0, s[0:3], 0 offen offset:4
	buffer_load_dword v17, off, s[0:3], 0 offset:20
	buffer_load_dword v18, off, s[0:3], 0 offset:16
	s_waitcnt vmcnt(3)
	buffer_store_dword v1, off, s[0:3], 0 offset:16
	s_waitcnt vmcnt(3)
	buffer_store_dword v16, off, s[0:3], 0 offset:20
	s_waitcnt vmcnt(3)
	buffer_store_dword v17, v0, s[0:3], 0 offen offset:4
	s_waitcnt vmcnt(3)
	buffer_store_dword v18, v0, s[0:3], 0 offen
.LBB6_64:
	s_or_b64 exec, exec, s[4:5]
	v_pk_mov_b32 v[0:1], s[10:11], s[10:11] op_sel:[0,1]
	flat_load_dword v0, v[0:1] offset:4
	s_waitcnt vmcnt(0) lgkmcnt(0)
	v_add_u32_e32 v0, -1, v0
	v_cmp_ne_u32_e32 vcc, 1, v0
	s_and_saveexec_b64 s[4:5], vcc
	s_cbranch_execz .LBB6_66
; %bb.65:
	v_mov_b32_e32 v1, 0
	v_lshl_add_u32 v0, v0, 3, v1
	buffer_load_dword v1, v0, s[0:3], 0 offen
	buffer_load_dword v16, v0, s[0:3], 0 offen offset:4
	buffer_load_dword v17, off, s[0:3], 0 offset:8
	buffer_load_dword v18, off, s[0:3], 0 offset:12
	s_waitcnt vmcnt(3)
	buffer_store_dword v1, off, s[0:3], 0 offset:8
	s_waitcnt vmcnt(3)
	buffer_store_dword v16, off, s[0:3], 0 offset:12
	s_waitcnt vmcnt(3)
	buffer_store_dword v17, v0, s[0:3], 0 offen
	s_waitcnt vmcnt(3)
	buffer_store_dword v18, v0, s[0:3], 0 offen offset:4
.LBB6_66:
	s_or_b64 exec, exec, s[4:5]
	v_pk_mov_b32 v[0:1], s[10:11], s[10:11] op_sel:[0,1]
	flat_load_dword v0, v[0:1]
	s_nop 0
	buffer_load_dword v16, off, s[0:3], 0
	buffer_load_dword v17, off, s[0:3], 0 offset:4
	s_waitcnt vmcnt(0) lgkmcnt(0)
	v_add_u32_e32 v0, -1, v0
	v_cmp_ne_u32_e32 vcc, 0, v0
	s_and_saveexec_b64 s[4:5], vcc
	s_cbranch_execz .LBB6_68
; %bb.67:
	v_mov_b32_e32 v1, 0
	v_lshl_add_u32 v0, v0, 3, v1
	buffer_load_dword v1, v0, s[0:3], 0 offen offset:4
	buffer_load_dword v18, v0, s[0:3], 0 offen
	s_waitcnt vmcnt(1)
	buffer_store_dword v1, off, s[0:3], 0 offset:4
	s_waitcnt vmcnt(1)
	buffer_store_dword v18, off, s[0:3], 0
	buffer_store_dword v17, v0, s[0:3], 0 offen offset:4
	buffer_store_dword v16, v0, s[0:3], 0 offen
	buffer_load_dword v16, off, s[0:3], 0
	s_nop 0
	buffer_load_dword v17, off, s[0:3], 0 offset:4
.LBB6_68:
	s_or_b64 exec, exec, s[4:5]
.LBB6_69:
	buffer_load_dword v0, off, s[0:3], 0 offset:8
	buffer_load_dword v1, off, s[0:3], 0 offset:12
	;; [unrolled: 1-line block ×12, first 2 shown]
	s_waitcnt vmcnt(12)
	global_store_dwordx2 v[2:3], v[16:17], off
	s_waitcnt vmcnt(11)
	global_store_dwordx2 v[4:5], v[0:1], off
	s_waitcnt vmcnt(10)
	global_store_dwordx2 v[6:7], v[18:19], off
	s_waitcnt vmcnt(9)
	global_store_dwordx2 v[8:9], v[20:21], off
	s_waitcnt vmcnt(8)
	global_store_dwordx2 v[10:11], v[22:23], off
	s_waitcnt vmcnt(7)
	global_store_dwordx2 v[12:13], v[24:25], off
	s_waitcnt vmcnt(6)
	global_store_dwordx2 v[14:15], v[26:27], off
	s_endpgm
	.section	.rodata,"a",@progbits
	.p2align	6, 0x0
	.amdhsa_kernel _ZN9rocsolver6v33100L18getri_kernel_smallILi7E19rocblas_complex_numIfEPS3_EEvT1_iilPiilS6_bb
		.amdhsa_group_segment_fixed_size 120
		.amdhsa_private_segment_fixed_size 64
		.amdhsa_kernarg_size 60
		.amdhsa_user_sgpr_count 8
		.amdhsa_user_sgpr_private_segment_buffer 1
		.amdhsa_user_sgpr_dispatch_ptr 0
		.amdhsa_user_sgpr_queue_ptr 0
		.amdhsa_user_sgpr_kernarg_segment_ptr 1
		.amdhsa_user_sgpr_dispatch_id 0
		.amdhsa_user_sgpr_flat_scratch_init 1
		.amdhsa_user_sgpr_kernarg_preload_length 0
		.amdhsa_user_sgpr_kernarg_preload_offset 0
		.amdhsa_user_sgpr_private_segment_size 0
		.amdhsa_uses_dynamic_stack 0
		.amdhsa_system_sgpr_private_segment_wavefront_offset 1
		.amdhsa_system_sgpr_workgroup_id_x 1
		.amdhsa_system_sgpr_workgroup_id_y 0
		.amdhsa_system_sgpr_workgroup_id_z 0
		.amdhsa_system_sgpr_workgroup_info 0
		.amdhsa_system_vgpr_workitem_id 0
		.amdhsa_next_free_vgpr 54
		.amdhsa_next_free_sgpr 23
		.amdhsa_accum_offset 56
		.amdhsa_reserve_vcc 1
		.amdhsa_reserve_flat_scratch 1
		.amdhsa_float_round_mode_32 0
		.amdhsa_float_round_mode_16_64 0
		.amdhsa_float_denorm_mode_32 3
		.amdhsa_float_denorm_mode_16_64 3
		.amdhsa_dx10_clamp 1
		.amdhsa_ieee_mode 1
		.amdhsa_fp16_overflow 0
		.amdhsa_tg_split 0
		.amdhsa_exception_fp_ieee_invalid_op 0
		.amdhsa_exception_fp_denorm_src 0
		.amdhsa_exception_fp_ieee_div_zero 0
		.amdhsa_exception_fp_ieee_overflow 0
		.amdhsa_exception_fp_ieee_underflow 0
		.amdhsa_exception_fp_ieee_inexact 0
		.amdhsa_exception_int_div_zero 0
	.end_amdhsa_kernel
	.section	.text._ZN9rocsolver6v33100L18getri_kernel_smallILi7E19rocblas_complex_numIfEPS3_EEvT1_iilPiilS6_bb,"axG",@progbits,_ZN9rocsolver6v33100L18getri_kernel_smallILi7E19rocblas_complex_numIfEPS3_EEvT1_iilPiilS6_bb,comdat
.Lfunc_end6:
	.size	_ZN9rocsolver6v33100L18getri_kernel_smallILi7E19rocblas_complex_numIfEPS3_EEvT1_iilPiilS6_bb, .Lfunc_end6-_ZN9rocsolver6v33100L18getri_kernel_smallILi7E19rocblas_complex_numIfEPS3_EEvT1_iilPiilS6_bb
                                        ; -- End function
	.section	.AMDGPU.csdata,"",@progbits
; Kernel info:
; codeLenInByte = 5796
; NumSgprs: 29
; NumVgprs: 54
; NumAgprs: 0
; TotalNumVgprs: 54
; ScratchSize: 64
; MemoryBound: 0
; FloatMode: 240
; IeeeMode: 1
; LDSByteSize: 120 bytes/workgroup (compile time only)
; SGPRBlocks: 3
; VGPRBlocks: 6
; NumSGPRsForWavesPerEU: 29
; NumVGPRsForWavesPerEU: 54
; AccumOffset: 56
; Occupancy: 8
; WaveLimiterHint : 0
; COMPUTE_PGM_RSRC2:SCRATCH_EN: 1
; COMPUTE_PGM_RSRC2:USER_SGPR: 8
; COMPUTE_PGM_RSRC2:TRAP_HANDLER: 0
; COMPUTE_PGM_RSRC2:TGID_X_EN: 1
; COMPUTE_PGM_RSRC2:TGID_Y_EN: 0
; COMPUTE_PGM_RSRC2:TGID_Z_EN: 0
; COMPUTE_PGM_RSRC2:TIDIG_COMP_CNT: 0
; COMPUTE_PGM_RSRC3_GFX90A:ACCUM_OFFSET: 13
; COMPUTE_PGM_RSRC3_GFX90A:TG_SPLIT: 0
	.section	.text._ZN9rocsolver6v33100L18getri_kernel_smallILi8E19rocblas_complex_numIfEPS3_EEvT1_iilPiilS6_bb,"axG",@progbits,_ZN9rocsolver6v33100L18getri_kernel_smallILi8E19rocblas_complex_numIfEPS3_EEvT1_iilPiilS6_bb,comdat
	.globl	_ZN9rocsolver6v33100L18getri_kernel_smallILi8E19rocblas_complex_numIfEPS3_EEvT1_iilPiilS6_bb ; -- Begin function _ZN9rocsolver6v33100L18getri_kernel_smallILi8E19rocblas_complex_numIfEPS3_EEvT1_iilPiilS6_bb
	.p2align	8
	.type	_ZN9rocsolver6v33100L18getri_kernel_smallILi8E19rocblas_complex_numIfEPS3_EEvT1_iilPiilS6_bb,@function
_ZN9rocsolver6v33100L18getri_kernel_smallILi8E19rocblas_complex_numIfEPS3_EEvT1_iilPiilS6_bb: ; @_ZN9rocsolver6v33100L18getri_kernel_smallILi8E19rocblas_complex_numIfEPS3_EEvT1_iilPiilS6_bb
; %bb.0:
	s_add_u32 flat_scratch_lo, s6, s9
	s_addc_u32 flat_scratch_hi, s7, 0
	s_add_u32 s0, s0, s9
	s_addc_u32 s1, s1, 0
	v_cmp_gt_u32_e32 vcc, 8, v0
	s_and_saveexec_b64 s[6:7], vcc
	s_cbranch_execz .LBB7_46
; %bb.1:
	s_load_dword s22, s[4:5], 0x38
	s_load_dwordx4 s[16:19], s[4:5], 0x10
	s_load_dwordx4 s[12:15], s[4:5], 0x28
                                        ; implicit-def: $sgpr10_sgpr11
	s_waitcnt lgkmcnt(0)
	s_bitcmp1_b32 s22, 8
	s_cselect_b64 s[20:21], -1, 0
	s_ashr_i32 s9, s8, 31
	s_bfe_u32 s6, s22, 0x10008
	s_cmp_eq_u32 s6, 0
	s_cbranch_scc1 .LBB7_3
; %bb.2:
	s_load_dword s6, s[4:5], 0x20
	s_mul_i32 s7, s8, s13
	s_mul_hi_u32 s10, s8, s12
	s_mul_i32 s11, s9, s12
	s_add_i32 s10, s10, s7
	s_add_i32 s11, s10, s11
	s_mul_i32 s10, s8, s12
	s_waitcnt lgkmcnt(0)
	s_ashr_i32 s7, s6, 31
	s_lshl_b64 s[10:11], s[10:11], 2
	s_add_u32 s10, s18, s10
	s_addc_u32 s11, s19, s11
	s_lshl_b64 s[6:7], s[6:7], 2
	s_add_u32 s10, s10, s6
	s_addc_u32 s11, s11, s7
.LBB7_3:
	s_load_dwordx4 s[4:7], s[4:5], 0x0
	s_mul_i32 s12, s8, s17
	s_mul_hi_u32 s13, s8, s16
	s_add_i32 s17, s13, s12
	v_lshlrev_b32_e32 v22, 3, v0
	s_waitcnt lgkmcnt(0)
	s_ashr_i32 s13, s6, 31
	s_mov_b32 s12, s6
	s_mul_i32 s6, s9, s16
	s_add_i32 s17, s17, s6
	s_mul_i32 s16, s8, s16
	s_lshl_b64 s[16:17], s[16:17], 3
	s_add_u32 s6, s4, s16
	s_addc_u32 s16, s5, s17
	s_lshl_b64 s[4:5], s[12:13], 3
	s_add_u32 s4, s6, s4
	s_addc_u32 s5, s16, s5
	v_mov_b32_e32 v1, s5
	v_add_co_u32_e32 v2, vcc, s4, v22
	s_ashr_i32 s13, s7, 31
	s_mov_b32 s12, s7
	s_add_i32 s6, s7, s7
	v_addc_co_u32_e32 v3, vcc, 0, v1, vcc
	s_lshl_b64 s[12:13], s[12:13], 3
	v_add_u32_e32 v8, s6, v0
	v_mov_b32_e32 v1, s13
	v_add_co_u32_e32 v4, vcc, s12, v2
	v_ashrrev_i32_e32 v9, 31, v8
	v_addc_co_u32_e32 v5, vcc, v3, v1, vcc
	v_lshlrev_b64 v[6:7], 3, v[8:9]
	v_add_u32_e32 v10, s7, v8
	v_mov_b32_e32 v1, s5
	v_add_co_u32_e32 v6, vcc, s4, v6
	v_ashrrev_i32_e32 v11, 31, v10
	v_addc_co_u32_e32 v7, vcc, v1, v7, vcc
	v_lshlrev_b64 v[8:9], 3, v[10:11]
	v_add_u32_e32 v12, s7, v10
	v_add_co_u32_e32 v8, vcc, s4, v8
	v_ashrrev_i32_e32 v13, 31, v12
	v_addc_co_u32_e32 v9, vcc, v1, v9, vcc
	v_lshlrev_b64 v[10:11], 3, v[12:13]
	v_add_u32_e32 v14, s7, v12
	;; [unrolled: 5-line block ×3, first 2 shown]
	v_add_co_u32_e32 v12, vcc, s4, v12
	v_ashrrev_i32_e32 v17, 31, v16
	v_addc_co_u32_e32 v13, vcc, v1, v13, vcc
	v_lshlrev_b64 v[14:15], 3, v[16:17]
	v_add_co_u32_e32 v14, vcc, s4, v14
	global_load_dwordx2 v[18:19], v22, s[4:5]
	global_load_dwordx2 v[20:21], v[4:5], off
	global_load_dwordx2 v[24:25], v[6:7], off
	;; [unrolled: 1-line block ×4, first 2 shown]
	v_addc_co_u32_e32 v15, vcc, v1, v15, vcc
	global_load_dwordx2 v[30:31], v[12:13], off
	global_load_dwordx2 v[32:33], v[14:15], off
	v_add_u32_e32 v16, s7, v16
	v_ashrrev_i32_e32 v17, 31, v16
	v_lshlrev_b64 v[16:17], 3, v[16:17]
	v_add_co_u32_e32 v16, vcc, s4, v16
	v_addc_co_u32_e32 v17, vcc, v1, v17, vcc
	global_load_dwordx2 v[34:35], v[16:17], off
	s_bitcmp0_b32 s22, 0
	s_mov_b64 s[6:7], -1
	s_waitcnt vmcnt(7)
	buffer_store_dword v19, off, s[0:3], 0 offset:4
	buffer_store_dword v18, off, s[0:3], 0
	s_waitcnt vmcnt(8)
	buffer_store_dword v21, off, s[0:3], 0 offset:12
	buffer_store_dword v20, off, s[0:3], 0 offset:8
	s_waitcnt vmcnt(9)
	buffer_store_dword v25, off, s[0:3], 0 offset:20
	buffer_store_dword v24, off, s[0:3], 0 offset:16
	;; [unrolled: 3-line block ×7, first 2 shown]
	s_cbranch_scc1 .LBB7_44
; %bb.4:
	v_cmp_eq_u32_e64 s[4:5], 0, v0
	s_and_saveexec_b64 s[6:7], s[4:5]
	s_cbranch_execz .LBB7_6
; %bb.5:
	v_mov_b32_e32 v1, 0
	ds_write_b32 v1, v1 offset:128
.LBB7_6:
	s_or_b64 exec, exec, s[6:7]
	v_mov_b32_e32 v1, 0
	v_lshl_add_u32 v23, v0, 3, v1
	s_waitcnt lgkmcnt(0)
	; wave barrier
	s_waitcnt lgkmcnt(0)
	buffer_load_dword v1, v23, s[0:3], 0 offen
	buffer_load_dword v18, v23, s[0:3], 0 offen offset:4
	s_waitcnt vmcnt(1)
	v_cmp_eq_f32_e32 vcc, 0, v1
	s_waitcnt vmcnt(0)
	v_cmp_eq_f32_e64 s[6:7], 0, v18
	s_and_b64 s[6:7], vcc, s[6:7]
	s_and_saveexec_b64 s[12:13], s[6:7]
	s_cbranch_execz .LBB7_10
; %bb.7:
	v_mov_b32_e32 v1, 0
	ds_read_b32 v19, v1 offset:128
	v_add_u32_e32 v18, 1, v0
	s_waitcnt lgkmcnt(0)
	v_readfirstlane_b32 s6, v19
	s_cmp_eq_u32 s6, 0
	s_cselect_b64 s[16:17], -1, 0
	v_cmp_gt_i32_e32 vcc, s6, v18
	s_or_b64 s[16:17], s[16:17], vcc
	s_and_b64 exec, exec, s[16:17]
	s_cbranch_execz .LBB7_10
; %bb.8:
	s_mov_b64 s[16:17], 0
	v_mov_b32_e32 v19, s6
.LBB7_9:                                ; =>This Inner Loop Header: Depth=1
	ds_cmpst_rtn_b32 v19, v1, v19, v18 offset:128
	s_waitcnt lgkmcnt(0)
	v_cmp_ne_u32_e32 vcc, 0, v19
	v_cmp_le_i32_e64 s[6:7], v19, v18
	s_and_b64 s[6:7], vcc, s[6:7]
	s_and_b64 s[6:7], exec, s[6:7]
	s_or_b64 s[16:17], s[6:7], s[16:17]
	s_andn2_b64 exec, exec, s[16:17]
	s_cbranch_execnz .LBB7_9
.LBB7_10:
	s_or_b64 exec, exec, s[12:13]
	v_mov_b32_e32 v18, 0
	s_waitcnt lgkmcnt(0)
	; wave barrier
	ds_read_b32 v1, v18 offset:128
	s_and_saveexec_b64 s[6:7], s[4:5]
	s_cbranch_execz .LBB7_12
; %bb.11:
	s_lshl_b64 s[12:13], s[8:9], 2
	s_add_u32 s12, s14, s12
	s_addc_u32 s13, s15, s13
	s_waitcnt lgkmcnt(0)
	global_store_dword v18, v1, s[12:13]
.LBB7_12:
	s_or_b64 exec, exec, s[6:7]
	s_waitcnt lgkmcnt(0)
	v_cmp_ne_u32_e32 vcc, 0, v1
	s_mov_b64 s[6:7], 0
	s_cbranch_vccnz .LBB7_44
; %bb.13:
	buffer_load_dword v24, v23, s[0:3], 0 offen offset:4
	buffer_load_dword v19, v23, s[0:3], 0 offen
	s_waitcnt vmcnt(1)
	v_cmp_gt_f32_e32 vcc, 0, v24
	v_cndmask_b32_e64 v1, v24, -v24, vcc
	s_waitcnt vmcnt(0)
	v_cmp_gt_f32_e32 vcc, 0, v19
	v_cndmask_b32_e64 v18, v19, -v19, vcc
	v_cmp_ngt_f32_e32 vcc, v18, v1
                                        ; implicit-def: $vgpr1
                                        ; implicit-def: $vgpr18
	s_and_saveexec_b64 s[6:7], vcc
	s_xor_b64 s[6:7], exec, s[6:7]
                                        ; implicit-def: $vgpr20_vgpr21
	s_cbranch_execz .LBB7_15
; %bb.14:
	v_div_scale_f32 v1, s[12:13], v24, v24, v19
	v_rcp_f32_e32 v18, v1
	v_div_scale_f32 v20, vcc, v19, v24, v19
	v_fma_f32 v21, -v1, v18, 1.0
	v_fmac_f32_e32 v18, v21, v18
	v_mul_f32_e32 v21, v20, v18
	v_fma_f32 v25, -v1, v21, v20
	v_fmac_f32_e32 v21, v25, v18
	v_fma_f32 v1, -v1, v21, v20
	v_div_fmas_f32 v1, v1, v18, v21
	v_div_fixup_f32 v18, v1, v24, v19
	v_fmac_f32_e32 v24, v19, v18
	v_div_scale_f32 v1, s[12:13], v24, v24, -1.0
	v_rcp_f32_e32 v19, v1
	v_fma_f32 v20, -v1, v19, 1.0
	v_fmac_f32_e32 v19, v20, v19
	v_div_scale_f32 v20, vcc, -1.0, v24, -1.0
	v_mul_f32_e32 v21, v20, v19
	v_fma_f32 v25, -v1, v21, v20
	v_fmac_f32_e32 v21, v25, v19
	v_fma_f32 v1, -v1, v21, v20
	v_div_fmas_f32 v1, v1, v19, v21
	v_div_fixup_f32 v1, v1, v24, -1.0
	v_mul_f32_e32 v18, v18, v1
	v_xor_b32_e32 v20, 0x80000000, v18
                                        ; implicit-def: $vgpr19
                                        ; implicit-def: $vgpr24
.LBB7_15:
	s_andn2_saveexec_b64 s[6:7], s[6:7]
	s_cbranch_execz .LBB7_17
; %bb.16:
	v_div_scale_f32 v1, s[12:13], v19, v19, v24
	v_rcp_f32_e32 v18, v1
	v_div_scale_f32 v20, vcc, v24, v19, v24
	v_fma_f32 v21, -v1, v18, 1.0
	v_fmac_f32_e32 v18, v21, v18
	v_mul_f32_e32 v21, v20, v18
	v_fma_f32 v25, -v1, v21, v20
	v_fmac_f32_e32 v21, v25, v18
	v_fma_f32 v1, -v1, v21, v20
	v_div_fmas_f32 v1, v1, v18, v21
	v_div_fixup_f32 v1, v1, v19, v24
	v_fmac_f32_e32 v19, v24, v1
	v_div_scale_f32 v18, s[12:13], v19, v19, 1.0
	v_rcp_f32_e32 v20, v18
	v_fma_f32 v21, -v18, v20, 1.0
	v_fmac_f32_e32 v20, v21, v20
	v_div_scale_f32 v21, vcc, 1.0, v19, 1.0
	v_mul_f32_e32 v24, v21, v20
	v_fma_f32 v25, -v18, v24, v21
	v_fmac_f32_e32 v24, v25, v20
	v_fma_f32 v18, -v18, v24, v21
	v_div_fmas_f32 v18, v18, v20, v24
	v_div_fixup_f32 v20, v18, v19, 1.0
	v_xor_b32_e32 v18, 0x80000000, v20
	v_mul_f32_e64 v1, v1, -v20
.LBB7_17:
	s_or_b64 exec, exec, s[6:7]
	buffer_store_dword v1, v23, s[0:3], 0 offen offset:4
	buffer_store_dword v20, v23, s[0:3], 0 offen
	buffer_load_dword v21, off, s[0:3], 0 offset:12
	s_nop 0
	buffer_load_dword v20, off, s[0:3], 0 offset:8
	v_xor_b32_e32 v19, 0x80000000, v1
	v_add_u32_e32 v1, 64, v22
	s_waitcnt vmcnt(0)
	ds_write2_b64 v22, v[18:19], v[20:21] offset1:8
	s_waitcnt lgkmcnt(0)
	; wave barrier
	s_waitcnt lgkmcnt(0)
	s_and_saveexec_b64 s[6:7], s[4:5]
	s_cbranch_execz .LBB7_19
; %bb.18:
	buffer_load_dword v24, v23, s[0:3], 0 offen offset:4
	buffer_load_dword v25, v23, s[0:3], 0 offen
	ds_read_b64 v[18:19], v1
	v_mov_b32_e32 v20, 0
	ds_read_b64 v[20:21], v20 offset:8
	s_waitcnt vmcnt(1) lgkmcnt(1)
	v_mul_f32_e32 v26, v19, v24
	v_mul_f32_e32 v24, v18, v24
	s_waitcnt vmcnt(0)
	v_fmac_f32_e32 v24, v19, v25
	v_fma_f32 v18, v18, v25, -v26
	v_add_f32_e32 v19, 0, v24
	v_add_f32_e32 v18, 0, v18
	s_waitcnt lgkmcnt(0)
	v_mul_f32_e32 v24, v19, v21
	v_mul_f32_e32 v21, v18, v21
	v_fma_f32 v18, v18, v20, -v24
	v_fmac_f32_e32 v21, v19, v20
	buffer_store_dword v18, off, s[0:3], 0 offset:8
	buffer_store_dword v21, off, s[0:3], 0 offset:12
.LBB7_19:
	s_or_b64 exec, exec, s[6:7]
	s_waitcnt lgkmcnt(0)
	; wave barrier
	buffer_load_dword v18, off, s[0:3], 0 offset:16
	buffer_load_dword v19, off, s[0:3], 0 offset:20
	v_cmp_gt_u32_e32 vcc, 2, v0
	s_waitcnt vmcnt(0)
	ds_write_b64 v1, v[18:19]
	s_waitcnt lgkmcnt(0)
	; wave barrier
	s_waitcnt lgkmcnt(0)
	s_and_saveexec_b64 s[6:7], vcc
	s_cbranch_execz .LBB7_23
; %bb.20:
	buffer_load_dword v20, v23, s[0:3], 0 offen offset:4
	buffer_load_dword v21, v23, s[0:3], 0 offen
	ds_read_b64 v[18:19], v1
	s_waitcnt vmcnt(1) lgkmcnt(0)
	v_mul_f32_e32 v23, v19, v20
	v_mul_f32_e32 v20, v18, v20
	s_waitcnt vmcnt(0)
	v_fma_f32 v18, v18, v21, -v23
	v_fmac_f32_e32 v20, v19, v21
	v_add_f32_e32 v19, 0, v18
	v_add_f32_e32 v18, 0, v20
	s_and_saveexec_b64 s[12:13], s[4:5]
	s_cbranch_execz .LBB7_22
; %bb.21:
	buffer_load_dword v23, off, s[0:3], 0 offset:12
	buffer_load_dword v24, off, s[0:3], 0 offset:8
	v_mov_b32_e32 v20, 0
	ds_read_b64 v[20:21], v20 offset:72
	s_waitcnt vmcnt(1) lgkmcnt(0)
	v_mul_f32_e32 v25, v20, v23
	v_mul_f32_e32 v23, v21, v23
	s_waitcnt vmcnt(0)
	v_fmac_f32_e32 v25, v21, v24
	v_fma_f32 v20, v20, v24, -v23
	v_add_f32_e32 v18, v18, v25
	v_add_f32_e32 v19, v19, v20
.LBB7_22:
	s_or_b64 exec, exec, s[12:13]
	v_mov_b32_e32 v20, 0
	ds_read_b64 v[20:21], v20 offset:16
	s_waitcnt lgkmcnt(0)
	v_mul_f32_e32 v23, v18, v21
	v_mul_f32_e32 v21, v19, v21
	v_fma_f32 v19, v19, v20, -v23
	v_fmac_f32_e32 v21, v18, v20
	buffer_store_dword v19, off, s[0:3], 0 offset:16
	buffer_store_dword v21, off, s[0:3], 0 offset:20
.LBB7_23:
	s_or_b64 exec, exec, s[6:7]
	s_waitcnt lgkmcnt(0)
	; wave barrier
	buffer_load_dword v18, off, s[0:3], 0 offset:24
	buffer_load_dword v19, off, s[0:3], 0 offset:28
	v_cmp_gt_u32_e32 vcc, 3, v0
	s_waitcnt vmcnt(0)
	ds_write_b64 v1, v[18:19]
	v_add_u32_e32 v18, -1, v0
	s_waitcnt lgkmcnt(0)
	; wave barrier
	s_waitcnt lgkmcnt(0)
	s_and_saveexec_b64 s[4:5], vcc
	s_cbranch_execz .LBB7_27
; %bb.24:
	v_add_u32_e32 v20, -1, v0
	v_add_u32_e32 v21, 64, v22
	v_add_u32_e32 v23, 0, v22
	s_mov_b64 s[6:7], 0
	v_mov_b32_e32 v19, 0
	v_mov_b32_e32 v24, 0
.LBB7_25:                               ; =>This Inner Loop Header: Depth=1
	buffer_load_dword v25, v23, s[0:3], 0 offen offset:4
	buffer_load_dword v28, v23, s[0:3], 0 offen
	ds_read_b64 v[26:27], v21
	v_add_u32_e32 v20, 1, v20
	v_cmp_lt_u32_e32 vcc, 1, v20
	v_add_u32_e32 v21, 8, v21
	v_add_u32_e32 v23, 8, v23
	s_or_b64 s[6:7], vcc, s[6:7]
	s_waitcnt vmcnt(1) lgkmcnt(0)
	v_mul_f32_e32 v29, v27, v25
	v_mul_f32_e32 v25, v26, v25
	s_waitcnt vmcnt(0)
	v_fma_f32 v26, v26, v28, -v29
	v_fmac_f32_e32 v25, v27, v28
	v_add_f32_e32 v24, v24, v26
	v_add_f32_e32 v19, v19, v25
	s_andn2_b64 exec, exec, s[6:7]
	s_cbranch_execnz .LBB7_25
; %bb.26:
	s_or_b64 exec, exec, s[6:7]
	v_mov_b32_e32 v20, 0
	ds_read_b64 v[20:21], v20 offset:24
	s_waitcnt lgkmcnt(0)
	v_mul_f32_e32 v23, v19, v21
	v_mul_f32_e32 v21, v24, v21
	v_fma_f32 v23, v24, v20, -v23
	v_fmac_f32_e32 v21, v19, v20
	buffer_store_dword v23, off, s[0:3], 0 offset:24
	buffer_store_dword v21, off, s[0:3], 0 offset:28
.LBB7_27:
	s_or_b64 exec, exec, s[4:5]
	s_waitcnt lgkmcnt(0)
	; wave barrier
	buffer_load_dword v20, off, s[0:3], 0 offset:32
	buffer_load_dword v21, off, s[0:3], 0 offset:36
	v_cmp_gt_u32_e32 vcc, 4, v0
	s_waitcnt vmcnt(0)
	ds_write_b64 v1, v[20:21]
	s_waitcnt lgkmcnt(0)
	; wave barrier
	s_waitcnt lgkmcnt(0)
	s_and_saveexec_b64 s[4:5], vcc
	s_cbranch_execz .LBB7_31
; %bb.28:
	v_add_u32_e32 v20, -1, v0
	v_add_u32_e32 v21, 64, v22
	v_add_u32_e32 v23, 0, v22
	s_mov_b64 s[6:7], 0
	v_mov_b32_e32 v19, 0
	v_mov_b32_e32 v24, 0
.LBB7_29:                               ; =>This Inner Loop Header: Depth=1
	buffer_load_dword v25, v23, s[0:3], 0 offen offset:4
	buffer_load_dword v28, v23, s[0:3], 0 offen
	ds_read_b64 v[26:27], v21
	v_add_u32_e32 v20, 1, v20
	v_cmp_lt_u32_e32 vcc, 2, v20
	v_add_u32_e32 v21, 8, v21
	v_add_u32_e32 v23, 8, v23
	s_or_b64 s[6:7], vcc, s[6:7]
	s_waitcnt vmcnt(1) lgkmcnt(0)
	v_mul_f32_e32 v29, v27, v25
	v_mul_f32_e32 v25, v26, v25
	s_waitcnt vmcnt(0)
	v_fma_f32 v26, v26, v28, -v29
	v_fmac_f32_e32 v25, v27, v28
	v_add_f32_e32 v24, v24, v26
	v_add_f32_e32 v19, v19, v25
	s_andn2_b64 exec, exec, s[6:7]
	s_cbranch_execnz .LBB7_29
; %bb.30:
	s_or_b64 exec, exec, s[6:7]
	v_mov_b32_e32 v20, 0
	ds_read_b64 v[20:21], v20 offset:32
	s_waitcnt lgkmcnt(0)
	v_mul_f32_e32 v23, v19, v21
	v_mul_f32_e32 v21, v24, v21
	v_fma_f32 v23, v24, v20, -v23
	v_fmac_f32_e32 v21, v19, v20
	buffer_store_dword v23, off, s[0:3], 0 offset:32
	buffer_store_dword v21, off, s[0:3], 0 offset:36
.LBB7_31:
	s_or_b64 exec, exec, s[4:5]
	s_waitcnt lgkmcnt(0)
	; wave barrier
	buffer_load_dword v20, off, s[0:3], 0 offset:40
	buffer_load_dword v21, off, s[0:3], 0 offset:44
	v_cmp_gt_u32_e32 vcc, 5, v0
	s_waitcnt vmcnt(0)
	ds_write_b64 v1, v[20:21]
	;; [unrolled: 51-line block ×3, first 2 shown]
	s_waitcnt lgkmcnt(0)
	; wave barrier
	s_waitcnt lgkmcnt(0)
	s_and_saveexec_b64 s[4:5], vcc
	s_cbranch_execz .LBB7_39
; %bb.36:
	v_add_u32_e32 v20, -1, v0
	v_add_u32_e32 v21, 64, v22
	v_add_u32_e32 v23, 0, v22
	s_mov_b64 s[6:7], 0
	v_mov_b32_e32 v19, 0
	v_mov_b32_e32 v24, 0
.LBB7_37:                               ; =>This Inner Loop Header: Depth=1
	buffer_load_dword v25, v23, s[0:3], 0 offen offset:4
	buffer_load_dword v28, v23, s[0:3], 0 offen
	ds_read_b64 v[26:27], v21
	v_add_u32_e32 v20, 1, v20
	v_cmp_lt_u32_e32 vcc, 4, v20
	v_add_u32_e32 v21, 8, v21
	v_add_u32_e32 v23, 8, v23
	s_or_b64 s[6:7], vcc, s[6:7]
	s_waitcnt vmcnt(1) lgkmcnt(0)
	v_mul_f32_e32 v29, v27, v25
	v_mul_f32_e32 v25, v26, v25
	s_waitcnt vmcnt(0)
	v_fma_f32 v26, v26, v28, -v29
	v_fmac_f32_e32 v25, v27, v28
	v_add_f32_e32 v24, v24, v26
	v_add_f32_e32 v19, v19, v25
	s_andn2_b64 exec, exec, s[6:7]
	s_cbranch_execnz .LBB7_37
; %bb.38:
	s_or_b64 exec, exec, s[6:7]
	v_mov_b32_e32 v20, 0
	ds_read_b64 v[20:21], v20 offset:48
	s_waitcnt lgkmcnt(0)
	v_mul_f32_e32 v23, v19, v21
	v_mul_f32_e32 v21, v24, v21
	v_fma_f32 v23, v24, v20, -v23
	v_fmac_f32_e32 v21, v19, v20
	buffer_store_dword v23, off, s[0:3], 0 offset:48
	buffer_store_dword v21, off, s[0:3], 0 offset:52
.LBB7_39:
	s_or_b64 exec, exec, s[4:5]
	s_waitcnt lgkmcnt(0)
	; wave barrier
	buffer_load_dword v20, off, s[0:3], 0 offset:56
	buffer_load_dword v21, off, s[0:3], 0 offset:60
	v_cmp_ne_u32_e32 vcc, 7, v0
	s_waitcnt vmcnt(0)
	ds_write_b64 v1, v[20:21]
	s_waitcnt lgkmcnt(0)
	; wave barrier
	s_waitcnt lgkmcnt(0)
	s_and_saveexec_b64 s[4:5], vcc
	s_cbranch_execz .LBB7_43
; %bb.40:
	v_add_u32_e32 v20, 0, v22
	s_mov_b64 s[6:7], 0
	v_mov_b32_e32 v19, 0
	v_mov_b32_e32 v21, 0
.LBB7_41:                               ; =>This Inner Loop Header: Depth=1
	buffer_load_dword v24, v20, s[0:3], 0 offen offset:4
	buffer_load_dword v25, v20, s[0:3], 0 offen
	ds_read_b64 v[22:23], v1
	v_add_u32_e32 v18, 1, v18
	v_cmp_lt_u32_e32 vcc, 5, v18
	v_add_u32_e32 v1, 8, v1
	v_add_u32_e32 v20, 8, v20
	s_or_b64 s[6:7], vcc, s[6:7]
	s_waitcnt vmcnt(1) lgkmcnt(0)
	v_mul_f32_e32 v26, v23, v24
	v_mul_f32_e32 v24, v22, v24
	s_waitcnt vmcnt(0)
	v_fma_f32 v22, v22, v25, -v26
	v_fmac_f32_e32 v24, v23, v25
	v_add_f32_e32 v21, v21, v22
	v_add_f32_e32 v19, v19, v24
	s_andn2_b64 exec, exec, s[6:7]
	s_cbranch_execnz .LBB7_41
; %bb.42:
	s_or_b64 exec, exec, s[6:7]
	v_mov_b32_e32 v1, 0
	ds_read_b64 v[22:23], v1 offset:56
	s_waitcnt lgkmcnt(0)
	v_mul_f32_e32 v1, v19, v23
	v_mul_f32_e32 v18, v21, v23
	v_fma_f32 v1, v21, v22, -v1
	v_fmac_f32_e32 v18, v19, v22
	buffer_store_dword v1, off, s[0:3], 0 offset:56
	buffer_store_dword v18, off, s[0:3], 0 offset:60
.LBB7_43:
	s_or_b64 exec, exec, s[4:5]
	s_mov_b64 s[6:7], -1
	s_waitcnt lgkmcnt(0)
	; wave barrier
.LBB7_44:
	s_and_b64 vcc, exec, s[6:7]
	s_cbranch_vccz .LBB7_46
; %bb.45:
	s_lshl_b64 s[4:5], s[8:9], 2
	s_add_u32 s4, s14, s4
	s_addc_u32 s5, s15, s5
	v_mov_b32_e32 v1, 0
	global_load_dword v1, v1, s[4:5]
	s_waitcnt vmcnt(0)
	v_cmp_ne_u32_e32 vcc, 0, v1
	s_cbranch_vccz .LBB7_47
.LBB7_46:
	s_endpgm
.LBB7_47:
	v_lshl_add_u32 v1, v0, 3, 64
	v_cmp_eq_u32_e32 vcc, 7, v0
	s_and_saveexec_b64 s[4:5], vcc
	s_cbranch_execz .LBB7_49
; %bb.48:
	buffer_load_dword v18, off, s[0:3], 0 offset:48
	buffer_load_dword v19, off, s[0:3], 0 offset:52
	v_mov_b32_e32 v20, 0
	buffer_store_dword v20, off, s[0:3], 0 offset:48
	buffer_store_dword v20, off, s[0:3], 0 offset:52
	s_waitcnt vmcnt(2)
	ds_write_b64 v1, v[18:19]
.LBB7_49:
	s_or_b64 exec, exec, s[4:5]
	s_waitcnt lgkmcnt(0)
	; wave barrier
	s_waitcnt lgkmcnt(0)
	buffer_load_dword v21, off, s[0:3], 0 offset:60
	buffer_load_dword v20, off, s[0:3], 0 offset:56
	;; [unrolled: 1-line block ×4, first 2 shown]
	v_mov_b32_e32 v18, 0
	ds_read_b64 v[24:25], v18 offset:120
	v_cmp_lt_u32_e32 vcc, 5, v0
	s_waitcnt vmcnt(3)
	v_mov_b32_e32 v26, v21
	s_waitcnt lgkmcnt(0)
	v_pk_mul_f32 v[26:27], v[24:25], v[26:27] op_sel_hi:[1,0]
	s_waitcnt vmcnt(2)
	v_pk_fma_f32 v[28:29], v[24:25], v[20:21], v[26:27] op_sel:[0,0,1] op_sel_hi:[1,1,0] neg_lo:[0,0,1] neg_hi:[0,0,1]
	v_pk_fma_f32 v[20:21], v[24:25], v[20:21], v[26:27] op_sel:[0,0,1] op_sel_hi:[1,0,0]
	v_mov_b32_e32 v29, v21
	v_pk_add_f32 v[20:21], v[28:29], 0 op_sel_hi:[1,0]
	s_waitcnt vmcnt(0)
	v_pk_add_f32 v[20:21], v[22:23], v[20:21] neg_lo:[0,1] neg_hi:[0,1]
	buffer_store_dword v20, off, s[0:3], 0 offset:48
	buffer_store_dword v21, off, s[0:3], 0 offset:52
	s_and_saveexec_b64 s[4:5], vcc
	s_cbranch_execz .LBB7_51
; %bb.50:
	buffer_load_dword v20, off, s[0:3], 0 offset:40
	buffer_load_dword v21, off, s[0:3], 0 offset:44
	s_waitcnt vmcnt(0)
	ds_write_b64 v1, v[20:21]
	buffer_store_dword v18, off, s[0:3], 0 offset:40
	buffer_store_dword v18, off, s[0:3], 0 offset:44
.LBB7_51:
	s_or_b64 exec, exec, s[4:5]
	s_waitcnt lgkmcnt(0)
	; wave barrier
	s_waitcnt lgkmcnt(0)
	buffer_load_dword v23, off, s[0:3], 0 offset:52
	buffer_load_dword v25, off, s[0:3], 0 offset:60
	;; [unrolled: 1-line block ×6, first 2 shown]
	ds_read_b128 v[18:21], v18 offset:112
	v_cmp_lt_u32_e32 vcc, 4, v0
	s_waitcnt vmcnt(5)
	v_mov_b32_e32 v28, v23
	s_waitcnt vmcnt(4)
	v_mov_b32_e32 v30, v25
	s_waitcnt lgkmcnt(0)
	v_pk_mul_f32 v[28:29], v[18:19], v[28:29] op_sel_hi:[1,0]
	v_pk_mul_f32 v[30:31], v[20:21], v[30:31] op_sel_hi:[1,0]
	s_waitcnt vmcnt(3)
	v_pk_fma_f32 v[32:33], v[18:19], v[22:23], v[28:29] op_sel:[0,0,1] op_sel_hi:[1,1,0] neg_lo:[0,0,1] neg_hi:[0,0,1]
	v_pk_fma_f32 v[18:19], v[18:19], v[22:23], v[28:29] op_sel:[0,0,1] op_sel_hi:[1,0,0]
	s_waitcnt vmcnt(2)
	v_pk_fma_f32 v[22:23], v[20:21], v[24:25], v[30:31] op_sel:[0,0,1] op_sel_hi:[1,1,0] neg_lo:[0,0,1] neg_hi:[0,0,1]
	v_pk_fma_f32 v[20:21], v[20:21], v[24:25], v[30:31] op_sel:[0,0,1] op_sel_hi:[1,0,0]
	v_mov_b32_e32 v33, v19
	v_mov_b32_e32 v23, v21
	v_pk_add_f32 v[18:19], v[32:33], 0 op_sel_hi:[1,0]
	v_pk_add_f32 v[18:19], v[18:19], v[22:23]
	s_waitcnt vmcnt(0)
	v_pk_add_f32 v[18:19], v[26:27], v[18:19] neg_lo:[0,1] neg_hi:[0,1]
	buffer_store_dword v18, off, s[0:3], 0 offset:40
	buffer_store_dword v19, off, s[0:3], 0 offset:44
	s_and_saveexec_b64 s[4:5], vcc
	s_cbranch_execz .LBB7_53
; %bb.52:
	buffer_load_dword v18, off, s[0:3], 0 offset:32
	buffer_load_dword v19, off, s[0:3], 0 offset:36
	v_mov_b32_e32 v20, 0
	buffer_store_dword v20, off, s[0:3], 0 offset:32
	buffer_store_dword v20, off, s[0:3], 0 offset:36
	s_waitcnt vmcnt(2)
	ds_write_b64 v1, v[18:19]
.LBB7_53:
	s_or_b64 exec, exec, s[4:5]
	s_waitcnt lgkmcnt(0)
	; wave barrier
	s_waitcnt lgkmcnt(0)
	buffer_load_dword v25, off, s[0:3], 0 offset:44
	buffer_load_dword v27, off, s[0:3], 0 offset:52
	;; [unrolled: 1-line block ×8, first 2 shown]
	v_mov_b32_e32 v18, 0
	ds_read2_b64 v[20:23], v18 offset0:13 offset1:14
	ds_read_b64 v[32:33], v18 offset:120
	v_cmp_lt_u32_e32 vcc, 3, v0
	s_waitcnt vmcnt(7)
	v_mov_b32_e32 v34, v25
	s_waitcnt vmcnt(6)
	v_mov_b32_e32 v36, v27
	s_waitcnt lgkmcnt(1)
	v_pk_mul_f32 v[34:35], v[20:21], v[34:35] op_sel_hi:[1,0]
	s_waitcnt vmcnt(5)
	v_mov_b32_e32 v38, v29
	v_pk_mul_f32 v[36:37], v[22:23], v[36:37] op_sel_hi:[1,0]
	s_waitcnt vmcnt(4)
	v_pk_fma_f32 v[40:41], v[20:21], v[24:25], v[34:35] op_sel:[0,0,1] op_sel_hi:[1,1,0] neg_lo:[0,0,1] neg_hi:[0,0,1]
	v_pk_fma_f32 v[20:21], v[20:21], v[24:25], v[34:35] op_sel:[0,0,1] op_sel_hi:[1,0,0]
	s_waitcnt lgkmcnt(0)
	v_pk_mul_f32 v[38:39], v[32:33], v[38:39] op_sel_hi:[1,0]
	s_waitcnt vmcnt(3)
	v_pk_fma_f32 v[24:25], v[22:23], v[26:27], v[36:37] op_sel:[0,0,1] op_sel_hi:[1,1,0] neg_lo:[0,0,1] neg_hi:[0,0,1]
	v_pk_fma_f32 v[22:23], v[22:23], v[26:27], v[36:37] op_sel:[0,0,1] op_sel_hi:[1,0,0]
	v_mov_b32_e32 v41, v21
	s_waitcnt vmcnt(2)
	v_pk_fma_f32 v[26:27], v[32:33], v[28:29], v[38:39] op_sel:[0,0,1] op_sel_hi:[1,1,0] neg_lo:[0,0,1] neg_hi:[0,0,1]
	v_pk_fma_f32 v[28:29], v[32:33], v[28:29], v[38:39] op_sel:[0,0,1] op_sel_hi:[1,0,0]
	v_mov_b32_e32 v25, v23
	v_pk_add_f32 v[20:21], v[40:41], 0 op_sel_hi:[1,0]
	v_mov_b32_e32 v27, v29
	v_pk_add_f32 v[20:21], v[20:21], v[24:25]
	v_pk_add_f32 v[20:21], v[20:21], v[26:27]
	s_waitcnt vmcnt(0)
	v_pk_add_f32 v[20:21], v[30:31], v[20:21] neg_lo:[0,1] neg_hi:[0,1]
	buffer_store_dword v20, off, s[0:3], 0 offset:32
	buffer_store_dword v21, off, s[0:3], 0 offset:36
	s_and_saveexec_b64 s[4:5], vcc
	s_cbranch_execz .LBB7_55
; %bb.54:
	buffer_load_dword v20, off, s[0:3], 0 offset:24
	buffer_load_dword v21, off, s[0:3], 0 offset:28
	s_waitcnt vmcnt(0)
	ds_write_b64 v1, v[20:21]
	buffer_store_dword v18, off, s[0:3], 0 offset:24
	buffer_store_dword v18, off, s[0:3], 0 offset:28
.LBB7_55:
	s_or_b64 exec, exec, s[4:5]
	s_waitcnt lgkmcnt(0)
	; wave barrier
	s_waitcnt lgkmcnt(0)
	buffer_load_dword v29, off, s[0:3], 0 offset:36
	buffer_load_dword v31, off, s[0:3], 0 offset:44
	;; [unrolled: 1-line block ×10, first 2 shown]
	ds_read_b128 v[20:23], v18 offset:96
	ds_read_b128 v[24:27], v18 offset:112
	v_cmp_lt_u32_e32 vcc, 2, v0
	s_waitcnt vmcnt(9)
	v_mov_b32_e32 v18, v29
	s_waitcnt vmcnt(8)
	v_mov_b32_e32 v38, v31
	s_waitcnt lgkmcnt(1)
	v_pk_mul_f32 v[18:19], v[20:21], v[18:19] op_sel_hi:[1,0]
	s_waitcnt vmcnt(7)
	v_mov_b32_e32 v40, v33
	v_pk_mul_f32 v[38:39], v[22:23], v[38:39] op_sel_hi:[1,0]
	s_waitcnt vmcnt(5)
	v_pk_fma_f32 v[44:45], v[20:21], v[28:29], v[18:19] op_sel:[0,0,1] op_sel_hi:[1,1,0] neg_lo:[0,0,1] neg_hi:[0,0,1]
	v_pk_fma_f32 v[18:19], v[20:21], v[28:29], v[18:19] op_sel:[0,0,1] op_sel_hi:[1,0,0]
	v_mov_b32_e32 v42, v35
	s_waitcnt lgkmcnt(0)
	v_pk_mul_f32 v[40:41], v[24:25], v[40:41] op_sel_hi:[1,0]
	s_waitcnt vmcnt(4)
	v_pk_fma_f32 v[20:21], v[22:23], v[30:31], v[38:39] op_sel:[0,0,1] op_sel_hi:[1,1,0] neg_lo:[0,0,1] neg_hi:[0,0,1]
	v_pk_fma_f32 v[22:23], v[22:23], v[30:31], v[38:39] op_sel:[0,0,1] op_sel_hi:[1,0,0]
	v_mov_b32_e32 v45, v19
	v_pk_mul_f32 v[42:43], v[26:27], v[42:43] op_sel_hi:[1,0]
	s_waitcnt vmcnt(3)
	v_pk_fma_f32 v[28:29], v[24:25], v[32:33], v[40:41] op_sel:[0,0,1] op_sel_hi:[1,1,0] neg_lo:[0,0,1] neg_hi:[0,0,1]
	v_pk_fma_f32 v[24:25], v[24:25], v[32:33], v[40:41] op_sel:[0,0,1] op_sel_hi:[1,0,0]
	v_mov_b32_e32 v21, v23
	v_pk_add_f32 v[18:19], v[44:45], 0 op_sel_hi:[1,0]
	s_waitcnt vmcnt(2)
	v_pk_fma_f32 v[30:31], v[26:27], v[34:35], v[42:43] op_sel:[0,0,1] op_sel_hi:[1,1,0] neg_lo:[0,0,1] neg_hi:[0,0,1]
	v_pk_fma_f32 v[26:27], v[26:27], v[34:35], v[42:43] op_sel:[0,0,1] op_sel_hi:[1,0,0]
	v_mov_b32_e32 v29, v25
	v_pk_add_f32 v[18:19], v[18:19], v[20:21]
	v_mov_b32_e32 v31, v27
	v_pk_add_f32 v[18:19], v[18:19], v[28:29]
	v_pk_add_f32 v[18:19], v[18:19], v[30:31]
	s_waitcnt vmcnt(0)
	v_pk_add_f32 v[18:19], v[36:37], v[18:19] neg_lo:[0,1] neg_hi:[0,1]
	buffer_store_dword v18, off, s[0:3], 0 offset:24
	buffer_store_dword v19, off, s[0:3], 0 offset:28
	s_and_saveexec_b64 s[4:5], vcc
	s_cbranch_execz .LBB7_57
; %bb.56:
	buffer_load_dword v18, off, s[0:3], 0 offset:16
	buffer_load_dword v19, off, s[0:3], 0 offset:20
	v_mov_b32_e32 v20, 0
	buffer_store_dword v20, off, s[0:3], 0 offset:16
	buffer_store_dword v20, off, s[0:3], 0 offset:20
	s_waitcnt vmcnt(2)
	ds_write_b64 v1, v[18:19]
.LBB7_57:
	s_or_b64 exec, exec, s[4:5]
	s_waitcnt lgkmcnt(0)
	; wave barrier
	s_waitcnt lgkmcnt(0)
	buffer_load_dword v29, off, s[0:3], 0 offset:28
	buffer_load_dword v31, off, s[0:3], 0 offset:36
	;; [unrolled: 1-line block ×12, first 2 shown]
	v_mov_b32_e32 v18, 0
	ds_read2_b64 v[20:23], v18 offset0:11 offset1:12
	ds_read2_b64 v[24:27], v18 offset0:13 offset1:14
	ds_read_b64 v[40:41], v18 offset:120
	v_cmp_lt_u32_e32 vcc, 1, v0
	s_waitcnt vmcnt(11)
	v_mov_b32_e32 v42, v29
	s_waitcnt vmcnt(10)
	v_mov_b32_e32 v44, v31
	s_waitcnt lgkmcnt(2)
	v_pk_mul_f32 v[42:43], v[20:21], v[42:43] op_sel_hi:[1,0]
	s_waitcnt vmcnt(9)
	v_mov_b32_e32 v46, v33
	v_pk_mul_f32 v[44:45], v[22:23], v[44:45] op_sel_hi:[1,0]
	s_waitcnt vmcnt(6)
	v_pk_fma_f32 v[52:53], v[20:21], v[28:29], v[42:43] op_sel:[0,0,1] op_sel_hi:[1,1,0] neg_lo:[0,0,1] neg_hi:[0,0,1]
	v_pk_fma_f32 v[20:21], v[20:21], v[28:29], v[42:43] op_sel:[0,0,1] op_sel_hi:[1,0,0]
	v_mov_b32_e32 v48, v35
	s_waitcnt lgkmcnt(1)
	v_pk_mul_f32 v[46:47], v[24:25], v[46:47] op_sel_hi:[1,0]
	s_waitcnt vmcnt(5)
	v_pk_fma_f32 v[28:29], v[22:23], v[30:31], v[44:45] op_sel:[0,0,1] op_sel_hi:[1,1,0] neg_lo:[0,0,1] neg_hi:[0,0,1]
	v_pk_fma_f32 v[22:23], v[22:23], v[30:31], v[44:45] op_sel:[0,0,1] op_sel_hi:[1,0,0]
	v_mov_b32_e32 v53, v21
	v_mov_b32_e32 v50, v37
	v_pk_mul_f32 v[48:49], v[26:27], v[48:49] op_sel_hi:[1,0]
	s_waitcnt vmcnt(4)
	v_pk_fma_f32 v[30:31], v[24:25], v[32:33], v[46:47] op_sel:[0,0,1] op_sel_hi:[1,1,0] neg_lo:[0,0,1] neg_hi:[0,0,1]
	v_pk_fma_f32 v[24:25], v[24:25], v[32:33], v[46:47] op_sel:[0,0,1] op_sel_hi:[1,0,0]
	v_mov_b32_e32 v29, v23
	v_pk_add_f32 v[20:21], v[52:53], 0 op_sel_hi:[1,0]
	s_waitcnt lgkmcnt(0)
	v_pk_mul_f32 v[50:51], v[40:41], v[50:51] op_sel_hi:[1,0]
	s_waitcnt vmcnt(3)
	v_pk_fma_f32 v[32:33], v[26:27], v[34:35], v[48:49] op_sel:[0,0,1] op_sel_hi:[1,1,0] neg_lo:[0,0,1] neg_hi:[0,0,1]
	v_pk_fma_f32 v[26:27], v[26:27], v[34:35], v[48:49] op_sel:[0,0,1] op_sel_hi:[1,0,0]
	v_mov_b32_e32 v31, v25
	v_pk_add_f32 v[20:21], v[20:21], v[28:29]
	s_waitcnt vmcnt(2)
	v_pk_fma_f32 v[34:35], v[40:41], v[36:37], v[50:51] op_sel:[0,0,1] op_sel_hi:[1,1,0] neg_lo:[0,0,1] neg_hi:[0,0,1]
	v_pk_fma_f32 v[36:37], v[40:41], v[36:37], v[50:51] op_sel:[0,0,1] op_sel_hi:[1,0,0]
	v_mov_b32_e32 v33, v27
	v_pk_add_f32 v[20:21], v[20:21], v[30:31]
	v_mov_b32_e32 v35, v37
	v_pk_add_f32 v[20:21], v[20:21], v[32:33]
	v_pk_add_f32 v[20:21], v[20:21], v[34:35]
	s_waitcnt vmcnt(0)
	v_pk_add_f32 v[20:21], v[38:39], v[20:21] neg_lo:[0,1] neg_hi:[0,1]
	buffer_store_dword v20, off, s[0:3], 0 offset:16
	buffer_store_dword v21, off, s[0:3], 0 offset:20
	s_and_saveexec_b64 s[4:5], vcc
	s_cbranch_execz .LBB7_59
; %bb.58:
	buffer_load_dword v20, off, s[0:3], 0 offset:8
	buffer_load_dword v21, off, s[0:3], 0 offset:12
	s_waitcnt vmcnt(0)
	ds_write_b64 v1, v[20:21]
	buffer_store_dword v18, off, s[0:3], 0 offset:8
	buffer_store_dword v18, off, s[0:3], 0 offset:12
.LBB7_59:
	s_or_b64 exec, exec, s[4:5]
	s_waitcnt lgkmcnt(0)
	; wave barrier
	s_waitcnt lgkmcnt(0)
	buffer_load_dword v33, off, s[0:3], 0 offset:20
	buffer_load_dword v35, off, s[0:3], 0 offset:28
	;; [unrolled: 1-line block ×14, first 2 shown]
	ds_read_b128 v[20:23], v18 offset:80
	ds_read_b128 v[24:27], v18 offset:96
	ds_read_b128 v[28:31], v18 offset:112
	v_cmp_ne_u32_e32 vcc, 0, v0
	s_waitcnt vmcnt(13)
	v_mov_b32_e32 v18, v33
	s_waitcnt vmcnt(12)
	v_mov_b32_e32 v46, v35
	s_waitcnt lgkmcnt(2)
	v_pk_mul_f32 v[18:19], v[20:21], v[18:19] op_sel_hi:[1,0]
	s_waitcnt vmcnt(11)
	v_mov_b32_e32 v48, v37
	v_pk_mul_f32 v[46:47], v[22:23], v[46:47] op_sel_hi:[1,0]
	s_waitcnt vmcnt(10)
	v_mov_b32_e32 v50, v39
	s_waitcnt vmcnt(7)
	v_pk_fma_f32 v[56:57], v[20:21], v[32:33], v[18:19] op_sel:[0,0,1] op_sel_hi:[1,1,0] neg_lo:[0,0,1] neg_hi:[0,0,1]
	v_pk_fma_f32 v[18:19], v[20:21], v[32:33], v[18:19] op_sel:[0,0,1] op_sel_hi:[1,0,0]
	s_waitcnt lgkmcnt(1)
	v_pk_mul_f32 v[48:49], v[24:25], v[48:49] op_sel_hi:[1,0]
	s_waitcnt vmcnt(6)
	v_pk_fma_f32 v[20:21], v[22:23], v[34:35], v[46:47] op_sel:[0,0,1] op_sel_hi:[1,1,0] neg_lo:[0,0,1] neg_hi:[0,0,1]
	v_pk_fma_f32 v[22:23], v[22:23], v[34:35], v[46:47] op_sel:[0,0,1] op_sel_hi:[1,0,0]
	v_mov_b32_e32 v57, v19
	v_mov_b32_e32 v52, v41
	v_pk_mul_f32 v[50:51], v[26:27], v[50:51] op_sel_hi:[1,0]
	s_waitcnt vmcnt(5)
	v_pk_fma_f32 v[32:33], v[24:25], v[36:37], v[48:49] op_sel:[0,0,1] op_sel_hi:[1,1,0] neg_lo:[0,0,1] neg_hi:[0,0,1]
	v_pk_fma_f32 v[24:25], v[24:25], v[36:37], v[48:49] op_sel:[0,0,1] op_sel_hi:[1,0,0]
	v_mov_b32_e32 v21, v23
	v_pk_add_f32 v[18:19], v[56:57], 0 op_sel_hi:[1,0]
	v_mov_b32_e32 v54, v43
	s_waitcnt lgkmcnt(0)
	v_pk_mul_f32 v[52:53], v[28:29], v[52:53] op_sel_hi:[1,0]
	s_waitcnt vmcnt(4)
	v_pk_fma_f32 v[34:35], v[26:27], v[38:39], v[50:51] op_sel:[0,0,1] op_sel_hi:[1,1,0] neg_lo:[0,0,1] neg_hi:[0,0,1]
	v_pk_fma_f32 v[26:27], v[26:27], v[38:39], v[50:51] op_sel:[0,0,1] op_sel_hi:[1,0,0]
	v_mov_b32_e32 v33, v25
	v_pk_add_f32 v[18:19], v[18:19], v[20:21]
	v_pk_mul_f32 v[54:55], v[30:31], v[54:55] op_sel_hi:[1,0]
	s_waitcnt vmcnt(3)
	v_pk_fma_f32 v[36:37], v[28:29], v[40:41], v[52:53] op_sel:[0,0,1] op_sel_hi:[1,1,0] neg_lo:[0,0,1] neg_hi:[0,0,1]
	v_pk_fma_f32 v[28:29], v[28:29], v[40:41], v[52:53] op_sel:[0,0,1] op_sel_hi:[1,0,0]
	v_mov_b32_e32 v35, v27
	v_pk_add_f32 v[18:19], v[18:19], v[32:33]
	s_waitcnt vmcnt(2)
	v_pk_fma_f32 v[38:39], v[30:31], v[42:43], v[54:55] op_sel:[0,0,1] op_sel_hi:[1,1,0] neg_lo:[0,0,1] neg_hi:[0,0,1]
	v_pk_fma_f32 v[30:31], v[30:31], v[42:43], v[54:55] op_sel:[0,0,1] op_sel_hi:[1,0,0]
	v_mov_b32_e32 v37, v29
	v_pk_add_f32 v[18:19], v[18:19], v[34:35]
	v_mov_b32_e32 v39, v31
	v_pk_add_f32 v[18:19], v[18:19], v[36:37]
	v_pk_add_f32 v[18:19], v[18:19], v[38:39]
	s_waitcnt vmcnt(0)
	v_pk_add_f32 v[18:19], v[44:45], v[18:19] neg_lo:[0,1] neg_hi:[0,1]
	buffer_store_dword v18, off, s[0:3], 0 offset:8
	buffer_store_dword v19, off, s[0:3], 0 offset:12
	s_and_saveexec_b64 s[4:5], vcc
	s_cbranch_execz .LBB7_61
; %bb.60:
	buffer_load_dword v18, off, s[0:3], 0
	buffer_load_dword v19, off, s[0:3], 0 offset:4
	v_mov_b32_e32 v0, 0
	buffer_store_dword v0, off, s[0:3], 0
	buffer_store_dword v0, off, s[0:3], 0 offset:4
	s_waitcnt vmcnt(2)
	ds_write_b64 v1, v[18:19]
.LBB7_61:
	s_or_b64 exec, exec, s[4:5]
	s_waitcnt lgkmcnt(0)
	; wave barrier
	s_waitcnt lgkmcnt(0)
	buffer_load_dword v1, off, s[0:3], 0 offset:12
	buffer_load_dword v31, off, s[0:3], 0 offset:20
	;; [unrolled: 1-line block ×14, first 2 shown]
	buffer_load_dword v42, off, s[0:3], 0
	buffer_load_dword v43, off, s[0:3], 0 offset:4
	v_mov_b32_e32 v44, 0
	ds_read2_b64 v[18:21], v44 offset0:9 offset1:10
	ds_read2_b64 v[22:25], v44 offset0:11 offset1:12
	;; [unrolled: 1-line block ×3, first 2 shown]
	ds_read_b64 v[44:45], v44 offset:120
	s_and_b64 vcc, exec, s[20:21]
	s_waitcnt vmcnt(15)
	v_mov_b32_e32 v46, v1
	s_waitcnt vmcnt(14)
	v_mov_b32_e32 v48, v31
	s_waitcnt lgkmcnt(3)
	v_pk_mul_f32 v[46:47], v[18:19], v[46:47] op_sel_hi:[1,0]
	s_waitcnt vmcnt(13)
	v_mov_b32_e32 v50, v33
	v_pk_mul_f32 v[48:49], v[20:21], v[48:49] op_sel_hi:[1,0]
	s_waitcnt vmcnt(12)
	v_mov_b32_e32 v52, v35
	s_waitcnt lgkmcnt(2)
	v_pk_mul_f32 v[50:51], v[22:23], v[50:51] op_sel_hi:[1,0]
	s_waitcnt vmcnt(8)
	v_pk_fma_f32 v[60:61], v[18:19], v[0:1], v[46:47] op_sel:[0,0,1] op_sel_hi:[1,1,0] neg_lo:[0,0,1] neg_hi:[0,0,1]
	v_pk_fma_f32 v[0:1], v[18:19], v[0:1], v[46:47] op_sel:[0,0,1] op_sel_hi:[1,0,0]
	s_waitcnt vmcnt(7)
	v_pk_fma_f32 v[18:19], v[20:21], v[30:31], v[48:49] op_sel:[0,0,1] op_sel_hi:[1,1,0] neg_lo:[0,0,1] neg_hi:[0,0,1]
	v_pk_fma_f32 v[20:21], v[20:21], v[30:31], v[48:49] op_sel:[0,0,1] op_sel_hi:[1,0,0]
	v_mov_b32_e32 v61, v1
	v_mov_b32_e32 v54, v37
	v_pk_mul_f32 v[52:53], v[24:25], v[52:53] op_sel_hi:[1,0]
	s_waitcnt vmcnt(6)
	v_pk_fma_f32 v[30:31], v[22:23], v[32:33], v[50:51] op_sel:[0,0,1] op_sel_hi:[1,1,0] neg_lo:[0,0,1] neg_hi:[0,0,1]
	v_pk_fma_f32 v[22:23], v[22:23], v[32:33], v[50:51] op_sel:[0,0,1] op_sel_hi:[1,0,0]
	v_mov_b32_e32 v19, v21
	v_pk_add_f32 v[0:1], v[60:61], 0 op_sel_hi:[1,0]
	v_mov_b32_e32 v56, v39
	s_waitcnt lgkmcnt(1)
	v_pk_mul_f32 v[54:55], v[26:27], v[54:55] op_sel_hi:[1,0]
	s_waitcnt vmcnt(5)
	v_pk_fma_f32 v[32:33], v[24:25], v[34:35], v[52:53] op_sel:[0,0,1] op_sel_hi:[1,1,0] neg_lo:[0,0,1] neg_hi:[0,0,1]
	v_pk_fma_f32 v[24:25], v[24:25], v[34:35], v[52:53] op_sel:[0,0,1] op_sel_hi:[1,0,0]
	v_mov_b32_e32 v31, v23
	v_pk_add_f32 v[0:1], v[0:1], v[18:19]
	v_mov_b32_e32 v58, v41
	v_pk_mul_f32 v[56:57], v[28:29], v[56:57] op_sel_hi:[1,0]
	s_waitcnt vmcnt(4)
	v_pk_fma_f32 v[34:35], v[26:27], v[36:37], v[54:55] op_sel:[0,0,1] op_sel_hi:[1,1,0] neg_lo:[0,0,1] neg_hi:[0,0,1]
	v_pk_fma_f32 v[26:27], v[26:27], v[36:37], v[54:55] op_sel:[0,0,1] op_sel_hi:[1,0,0]
	v_mov_b32_e32 v33, v25
	v_pk_add_f32 v[0:1], v[0:1], v[30:31]
	s_waitcnt lgkmcnt(0)
	v_pk_mul_f32 v[58:59], v[44:45], v[58:59] op_sel_hi:[1,0]
	s_waitcnt vmcnt(3)
	v_pk_fma_f32 v[36:37], v[28:29], v[38:39], v[56:57] op_sel:[0,0,1] op_sel_hi:[1,1,0] neg_lo:[0,0,1] neg_hi:[0,0,1]
	v_pk_fma_f32 v[28:29], v[28:29], v[38:39], v[56:57] op_sel:[0,0,1] op_sel_hi:[1,0,0]
	v_mov_b32_e32 v35, v27
	v_pk_add_f32 v[0:1], v[0:1], v[32:33]
	s_waitcnt vmcnt(2)
	v_pk_fma_f32 v[38:39], v[44:45], v[40:41], v[58:59] op_sel:[0,0,1] op_sel_hi:[1,1,0] neg_lo:[0,0,1] neg_hi:[0,0,1]
	v_pk_fma_f32 v[40:41], v[44:45], v[40:41], v[58:59] op_sel:[0,0,1] op_sel_hi:[1,0,0]
	v_mov_b32_e32 v37, v29
	v_pk_add_f32 v[0:1], v[0:1], v[34:35]
	v_mov_b32_e32 v39, v41
	v_pk_add_f32 v[0:1], v[0:1], v[36:37]
	v_pk_add_f32 v[0:1], v[0:1], v[38:39]
	s_waitcnt vmcnt(0)
	v_pk_add_f32 v[0:1], v[42:43], v[0:1] neg_lo:[0,1] neg_hi:[0,1]
	buffer_store_dword v0, off, s[0:3], 0
	buffer_store_dword v1, off, s[0:3], 0 offset:4
	s_cbranch_vccz .LBB7_77
; %bb.62:
	v_pk_mov_b32 v[0:1], s[10:11], s[10:11] op_sel:[0,1]
	flat_load_dword v0, v[0:1] offset:24
	s_waitcnt vmcnt(0) lgkmcnt(0)
	v_add_u32_e32 v0, -1, v0
	v_cmp_ne_u32_e32 vcc, 6, v0
	s_and_saveexec_b64 s[4:5], vcc
	s_cbranch_execz .LBB7_64
; %bb.63:
	v_mov_b32_e32 v1, 0
	v_lshl_add_u32 v0, v0, 3, v1
	buffer_load_dword v1, v0, s[0:3], 0 offen
	buffer_load_dword v18, v0, s[0:3], 0 offen offset:4
	buffer_load_dword v19, off, s[0:3], 0 offset:52
	buffer_load_dword v20, off, s[0:3], 0 offset:48
	s_waitcnt vmcnt(3)
	buffer_store_dword v1, off, s[0:3], 0 offset:48
	s_waitcnt vmcnt(3)
	buffer_store_dword v18, off, s[0:3], 0 offset:52
	s_waitcnt vmcnt(3)
	buffer_store_dword v19, v0, s[0:3], 0 offen offset:4
	s_waitcnt vmcnt(3)
	buffer_store_dword v20, v0, s[0:3], 0 offen
.LBB7_64:
	s_or_b64 exec, exec, s[4:5]
	v_pk_mov_b32 v[0:1], s[10:11], s[10:11] op_sel:[0,1]
	flat_load_dword v0, v[0:1] offset:20
	s_waitcnt vmcnt(0) lgkmcnt(0)
	v_add_u32_e32 v0, -1, v0
	v_cmp_ne_u32_e32 vcc, 5, v0
	s_and_saveexec_b64 s[4:5], vcc
	s_cbranch_execz .LBB7_66
; %bb.65:
	v_mov_b32_e32 v1, 0
	v_lshl_add_u32 v0, v0, 3, v1
	buffer_load_dword v1, v0, s[0:3], 0 offen
	buffer_load_dword v18, v0, s[0:3], 0 offen offset:4
	buffer_load_dword v19, off, s[0:3], 0 offset:40
	buffer_load_dword v20, off, s[0:3], 0 offset:44
	s_waitcnt vmcnt(3)
	buffer_store_dword v1, off, s[0:3], 0 offset:40
	s_waitcnt vmcnt(3)
	buffer_store_dword v18, off, s[0:3], 0 offset:44
	s_waitcnt vmcnt(3)
	buffer_store_dword v19, v0, s[0:3], 0 offen
	s_waitcnt vmcnt(3)
	buffer_store_dword v20, v0, s[0:3], 0 offen offset:4
.LBB7_66:
	s_or_b64 exec, exec, s[4:5]
	v_pk_mov_b32 v[0:1], s[10:11], s[10:11] op_sel:[0,1]
	flat_load_dword v0, v[0:1] offset:16
	s_waitcnt vmcnt(0) lgkmcnt(0)
	v_add_u32_e32 v0, -1, v0
	v_cmp_ne_u32_e32 vcc, 4, v0
	s_and_saveexec_b64 s[4:5], vcc
	s_cbranch_execz .LBB7_68
; %bb.67:
	v_mov_b32_e32 v1, 0
	v_lshl_add_u32 v0, v0, 3, v1
	buffer_load_dword v1, v0, s[0:3], 0 offen
	buffer_load_dword v18, v0, s[0:3], 0 offen offset:4
	buffer_load_dword v19, off, s[0:3], 0 offset:36
	buffer_load_dword v20, off, s[0:3], 0 offset:32
	s_waitcnt vmcnt(3)
	buffer_store_dword v1, off, s[0:3], 0 offset:32
	s_waitcnt vmcnt(3)
	buffer_store_dword v18, off, s[0:3], 0 offset:36
	s_waitcnt vmcnt(3)
	buffer_store_dword v19, v0, s[0:3], 0 offen offset:4
	s_waitcnt vmcnt(3)
	buffer_store_dword v20, v0, s[0:3], 0 offen
.LBB7_68:
	s_or_b64 exec, exec, s[4:5]
	v_pk_mov_b32 v[0:1], s[10:11], s[10:11] op_sel:[0,1]
	flat_load_dword v0, v[0:1] offset:12
	s_waitcnt vmcnt(0) lgkmcnt(0)
	v_add_u32_e32 v0, -1, v0
	v_cmp_ne_u32_e32 vcc, 3, v0
	s_and_saveexec_b64 s[4:5], vcc
	s_cbranch_execz .LBB7_70
; %bb.69:
	v_mov_b32_e32 v1, 0
	v_lshl_add_u32 v0, v0, 3, v1
	buffer_load_dword v1, v0, s[0:3], 0 offen
	buffer_load_dword v18, v0, s[0:3], 0 offen offset:4
	buffer_load_dword v19, off, s[0:3], 0 offset:24
	buffer_load_dword v20, off, s[0:3], 0 offset:28
	s_waitcnt vmcnt(3)
	buffer_store_dword v1, off, s[0:3], 0 offset:24
	s_waitcnt vmcnt(3)
	buffer_store_dword v18, off, s[0:3], 0 offset:28
	s_waitcnt vmcnt(3)
	buffer_store_dword v19, v0, s[0:3], 0 offen
	s_waitcnt vmcnt(3)
	buffer_store_dword v20, v0, s[0:3], 0 offen offset:4
.LBB7_70:
	s_or_b64 exec, exec, s[4:5]
	;; [unrolled: 48-line block ×3, first 2 shown]
	v_pk_mov_b32 v[0:1], s[10:11], s[10:11] op_sel:[0,1]
	flat_load_dword v18, v[0:1]
	s_nop 0
	buffer_load_dword v0, off, s[0:3], 0
	buffer_load_dword v1, off, s[0:3], 0 offset:4
	s_waitcnt vmcnt(0) lgkmcnt(0)
	v_add_u32_e32 v18, -1, v18
	v_cmp_ne_u32_e32 vcc, 0, v18
	s_and_saveexec_b64 s[4:5], vcc
	s_cbranch_execz .LBB7_76
; %bb.75:
	v_mov_b32_e32 v19, 0
	v_lshl_add_u32 v18, v18, 3, v19
	buffer_load_dword v19, v18, s[0:3], 0 offen offset:4
	buffer_load_dword v20, v18, s[0:3], 0 offen
	s_waitcnt vmcnt(1)
	buffer_store_dword v19, off, s[0:3], 0 offset:4
	s_waitcnt vmcnt(1)
	buffer_store_dword v20, off, s[0:3], 0
	buffer_store_dword v1, v18, s[0:3], 0 offen offset:4
	buffer_store_dword v0, v18, s[0:3], 0 offen
	buffer_load_dword v0, off, s[0:3], 0
	s_nop 0
	buffer_load_dword v1, off, s[0:3], 0 offset:4
.LBB7_76:
	s_or_b64 exec, exec, s[4:5]
.LBB7_77:
	buffer_load_dword v18, off, s[0:3], 0 offset:8
	buffer_load_dword v19, off, s[0:3], 0 offset:12
	;; [unrolled: 1-line block ×14, first 2 shown]
	s_waitcnt vmcnt(14)
	global_store_dwordx2 v[2:3], v[0:1], off
	s_waitcnt vmcnt(13)
	global_store_dwordx2 v[4:5], v[18:19], off
	;; [unrolled: 2-line block ×8, first 2 shown]
	s_endpgm
	.section	.rodata,"a",@progbits
	.p2align	6, 0x0
	.amdhsa_kernel _ZN9rocsolver6v33100L18getri_kernel_smallILi8E19rocblas_complex_numIfEPS3_EEvT1_iilPiilS6_bb
		.amdhsa_group_segment_fixed_size 132
		.amdhsa_private_segment_fixed_size 80
		.amdhsa_kernarg_size 60
		.amdhsa_user_sgpr_count 8
		.amdhsa_user_sgpr_private_segment_buffer 1
		.amdhsa_user_sgpr_dispatch_ptr 0
		.amdhsa_user_sgpr_queue_ptr 0
		.amdhsa_user_sgpr_kernarg_segment_ptr 1
		.amdhsa_user_sgpr_dispatch_id 0
		.amdhsa_user_sgpr_flat_scratch_init 1
		.amdhsa_user_sgpr_kernarg_preload_length 0
		.amdhsa_user_sgpr_kernarg_preload_offset 0
		.amdhsa_user_sgpr_private_segment_size 0
		.amdhsa_uses_dynamic_stack 0
		.amdhsa_system_sgpr_private_segment_wavefront_offset 1
		.amdhsa_system_sgpr_workgroup_id_x 1
		.amdhsa_system_sgpr_workgroup_id_y 0
		.amdhsa_system_sgpr_workgroup_id_z 0
		.amdhsa_system_sgpr_workgroup_info 0
		.amdhsa_system_vgpr_workitem_id 0
		.amdhsa_next_free_vgpr 62
		.amdhsa_next_free_sgpr 23
		.amdhsa_accum_offset 64
		.amdhsa_reserve_vcc 1
		.amdhsa_reserve_flat_scratch 1
		.amdhsa_float_round_mode_32 0
		.amdhsa_float_round_mode_16_64 0
		.amdhsa_float_denorm_mode_32 3
		.amdhsa_float_denorm_mode_16_64 3
		.amdhsa_dx10_clamp 1
		.amdhsa_ieee_mode 1
		.amdhsa_fp16_overflow 0
		.amdhsa_tg_split 0
		.amdhsa_exception_fp_ieee_invalid_op 0
		.amdhsa_exception_fp_denorm_src 0
		.amdhsa_exception_fp_ieee_div_zero 0
		.amdhsa_exception_fp_ieee_overflow 0
		.amdhsa_exception_fp_ieee_underflow 0
		.amdhsa_exception_fp_ieee_inexact 0
		.amdhsa_exception_int_div_zero 0
	.end_amdhsa_kernel
	.section	.text._ZN9rocsolver6v33100L18getri_kernel_smallILi8E19rocblas_complex_numIfEPS3_EEvT1_iilPiilS6_bb,"axG",@progbits,_ZN9rocsolver6v33100L18getri_kernel_smallILi8E19rocblas_complex_numIfEPS3_EEvT1_iilPiilS6_bb,comdat
.Lfunc_end7:
	.size	_ZN9rocsolver6v33100L18getri_kernel_smallILi8E19rocblas_complex_numIfEPS3_EEvT1_iilPiilS6_bb, .Lfunc_end7-_ZN9rocsolver6v33100L18getri_kernel_smallILi8E19rocblas_complex_numIfEPS3_EEvT1_iilPiilS6_bb
                                        ; -- End function
	.section	.AMDGPU.csdata,"",@progbits
; Kernel info:
; codeLenInByte = 6860
; NumSgprs: 29
; NumVgprs: 62
; NumAgprs: 0
; TotalNumVgprs: 62
; ScratchSize: 80
; MemoryBound: 0
; FloatMode: 240
; IeeeMode: 1
; LDSByteSize: 132 bytes/workgroup (compile time only)
; SGPRBlocks: 3
; VGPRBlocks: 7
; NumSGPRsForWavesPerEU: 29
; NumVGPRsForWavesPerEU: 62
; AccumOffset: 64
; Occupancy: 8
; WaveLimiterHint : 0
; COMPUTE_PGM_RSRC2:SCRATCH_EN: 1
; COMPUTE_PGM_RSRC2:USER_SGPR: 8
; COMPUTE_PGM_RSRC2:TRAP_HANDLER: 0
; COMPUTE_PGM_RSRC2:TGID_X_EN: 1
; COMPUTE_PGM_RSRC2:TGID_Y_EN: 0
; COMPUTE_PGM_RSRC2:TGID_Z_EN: 0
; COMPUTE_PGM_RSRC2:TIDIG_COMP_CNT: 0
; COMPUTE_PGM_RSRC3_GFX90A:ACCUM_OFFSET: 15
; COMPUTE_PGM_RSRC3_GFX90A:TG_SPLIT: 0
	.section	.text._ZN9rocsolver6v33100L18getri_kernel_smallILi9E19rocblas_complex_numIfEPS3_EEvT1_iilPiilS6_bb,"axG",@progbits,_ZN9rocsolver6v33100L18getri_kernel_smallILi9E19rocblas_complex_numIfEPS3_EEvT1_iilPiilS6_bb,comdat
	.globl	_ZN9rocsolver6v33100L18getri_kernel_smallILi9E19rocblas_complex_numIfEPS3_EEvT1_iilPiilS6_bb ; -- Begin function _ZN9rocsolver6v33100L18getri_kernel_smallILi9E19rocblas_complex_numIfEPS3_EEvT1_iilPiilS6_bb
	.p2align	8
	.type	_ZN9rocsolver6v33100L18getri_kernel_smallILi9E19rocblas_complex_numIfEPS3_EEvT1_iilPiilS6_bb,@function
_ZN9rocsolver6v33100L18getri_kernel_smallILi9E19rocblas_complex_numIfEPS3_EEvT1_iilPiilS6_bb: ; @_ZN9rocsolver6v33100L18getri_kernel_smallILi9E19rocblas_complex_numIfEPS3_EEvT1_iilPiilS6_bb
; %bb.0:
	s_add_u32 flat_scratch_lo, s6, s9
	s_addc_u32 flat_scratch_hi, s7, 0
	s_add_u32 s0, s0, s9
	s_addc_u32 s1, s1, 0
	v_cmp_gt_u32_e32 vcc, 9, v0
	s_and_saveexec_b64 s[6:7], vcc
	s_cbranch_execz .LBB8_50
; %bb.1:
	s_load_dword s22, s[4:5], 0x38
	s_load_dwordx4 s[16:19], s[4:5], 0x10
	s_load_dwordx4 s[12:15], s[4:5], 0x28
                                        ; implicit-def: $sgpr10_sgpr11
	s_waitcnt lgkmcnt(0)
	s_bitcmp1_b32 s22, 8
	s_cselect_b64 s[20:21], -1, 0
	s_ashr_i32 s9, s8, 31
	s_bfe_u32 s6, s22, 0x10008
	s_cmp_eq_u32 s6, 0
	s_cbranch_scc1 .LBB8_3
; %bb.2:
	s_load_dword s6, s[4:5], 0x20
	s_mul_i32 s7, s8, s13
	s_mul_hi_u32 s10, s8, s12
	s_mul_i32 s11, s9, s12
	s_add_i32 s10, s10, s7
	s_add_i32 s11, s10, s11
	s_mul_i32 s10, s8, s12
	s_waitcnt lgkmcnt(0)
	s_ashr_i32 s7, s6, 31
	s_lshl_b64 s[10:11], s[10:11], 2
	s_add_u32 s10, s18, s10
	s_addc_u32 s11, s19, s11
	s_lshl_b64 s[6:7], s[6:7], 2
	s_add_u32 s10, s10, s6
	s_addc_u32 s11, s11, s7
.LBB8_3:
	s_load_dwordx4 s[4:7], s[4:5], 0x0
	s_mul_i32 s12, s8, s17
	s_mul_hi_u32 s13, s8, s16
	s_add_i32 s17, s13, s12
	v_lshlrev_b32_e32 v24, 3, v0
	s_waitcnt lgkmcnt(0)
	s_ashr_i32 s13, s6, 31
	s_mov_b32 s12, s6
	s_mul_i32 s6, s9, s16
	s_add_i32 s17, s17, s6
	s_mul_i32 s16, s8, s16
	s_lshl_b64 s[16:17], s[16:17], 3
	s_add_u32 s6, s4, s16
	s_addc_u32 s16, s5, s17
	s_lshl_b64 s[4:5], s[12:13], 3
	s_add_u32 s4, s6, s4
	s_addc_u32 s5, s16, s5
	v_mov_b32_e32 v1, s5
	v_add_co_u32_e32 v2, vcc, s4, v24
	s_ashr_i32 s13, s7, 31
	s_mov_b32 s12, s7
	s_add_i32 s6, s7, s7
	v_addc_co_u32_e32 v3, vcc, 0, v1, vcc
	s_lshl_b64 s[12:13], s[12:13], 3
	v_add_u32_e32 v8, s6, v0
	v_mov_b32_e32 v1, s13
	v_add_co_u32_e32 v4, vcc, s12, v2
	v_ashrrev_i32_e32 v9, 31, v8
	v_addc_co_u32_e32 v5, vcc, v3, v1, vcc
	v_lshlrev_b64 v[6:7], 3, v[8:9]
	v_add_u32_e32 v10, s7, v8
	v_mov_b32_e32 v1, s5
	v_add_co_u32_e32 v6, vcc, s4, v6
	v_ashrrev_i32_e32 v11, 31, v10
	v_addc_co_u32_e32 v7, vcc, v1, v7, vcc
	v_lshlrev_b64 v[8:9], 3, v[10:11]
	v_add_u32_e32 v12, s7, v10
	v_add_co_u32_e32 v8, vcc, s4, v8
	v_ashrrev_i32_e32 v13, 31, v12
	v_addc_co_u32_e32 v9, vcc, v1, v9, vcc
	v_lshlrev_b64 v[10:11], 3, v[12:13]
	v_add_u32_e32 v14, s7, v12
	;; [unrolled: 5-line block ×4, first 2 shown]
	v_add_co_u32_e32 v14, vcc, s4, v14
	v_ashrrev_i32_e32 v19, 31, v18
	v_addc_co_u32_e32 v15, vcc, v1, v15, vcc
	v_lshlrev_b64 v[16:17], 3, v[18:19]
	v_add_co_u32_e32 v16, vcc, s4, v16
	global_load_dwordx2 v[20:21], v24, s[4:5]
	global_load_dwordx2 v[22:23], v[4:5], off
	global_load_dwordx2 v[26:27], v[6:7], off
	;; [unrolled: 1-line block ×4, first 2 shown]
	v_addc_co_u32_e32 v17, vcc, v1, v17, vcc
	global_load_dwordx2 v[32:33], v[12:13], off
	global_load_dwordx2 v[34:35], v[14:15], off
	;; [unrolled: 1-line block ×3, first 2 shown]
	v_add_u32_e32 v18, s7, v18
	v_ashrrev_i32_e32 v19, 31, v18
	v_lshlrev_b64 v[18:19], 3, v[18:19]
	v_add_co_u32_e32 v18, vcc, s4, v18
	v_addc_co_u32_e32 v19, vcc, v1, v19, vcc
	global_load_dwordx2 v[38:39], v[18:19], off
	s_bitcmp0_b32 s22, 0
	s_mov_b64 s[6:7], -1
	s_waitcnt vmcnt(8)
	buffer_store_dword v21, off, s[0:3], 0 offset:4
	buffer_store_dword v20, off, s[0:3], 0
	s_waitcnt vmcnt(9)
	buffer_store_dword v23, off, s[0:3], 0 offset:12
	buffer_store_dword v22, off, s[0:3], 0 offset:8
	s_waitcnt vmcnt(10)
	buffer_store_dword v27, off, s[0:3], 0 offset:20
	buffer_store_dword v26, off, s[0:3], 0 offset:16
	;; [unrolled: 3-line block ×8, first 2 shown]
	s_cbranch_scc1 .LBB8_48
; %bb.4:
	v_cmp_eq_u32_e64 s[4:5], 0, v0
	s_and_saveexec_b64 s[6:7], s[4:5]
	s_cbranch_execz .LBB8_6
; %bb.5:
	v_mov_b32_e32 v1, 0
	ds_write_b32 v1, v1 offset:72
.LBB8_6:
	s_or_b64 exec, exec, s[6:7]
	v_mov_b32_e32 v1, 0
	v_lshl_add_u32 v25, v0, 3, v1
	s_waitcnt lgkmcnt(0)
	; wave barrier
	s_waitcnt lgkmcnt(0)
	buffer_load_dword v1, v25, s[0:3], 0 offen
	buffer_load_dword v20, v25, s[0:3], 0 offen offset:4
	s_waitcnt vmcnt(1)
	v_cmp_eq_f32_e32 vcc, 0, v1
	s_waitcnt vmcnt(0)
	v_cmp_eq_f32_e64 s[6:7], 0, v20
	s_and_b64 s[6:7], vcc, s[6:7]
	s_and_saveexec_b64 s[12:13], s[6:7]
	s_cbranch_execz .LBB8_10
; %bb.7:
	v_mov_b32_e32 v1, 0
	ds_read_b32 v21, v1 offset:72
	v_add_u32_e32 v20, 1, v0
	s_waitcnt lgkmcnt(0)
	v_readfirstlane_b32 s6, v21
	s_cmp_eq_u32 s6, 0
	s_cselect_b64 s[16:17], -1, 0
	v_cmp_gt_i32_e32 vcc, s6, v20
	s_or_b64 s[16:17], s[16:17], vcc
	s_and_b64 exec, exec, s[16:17]
	s_cbranch_execz .LBB8_10
; %bb.8:
	s_mov_b64 s[16:17], 0
	v_mov_b32_e32 v21, s6
.LBB8_9:                                ; =>This Inner Loop Header: Depth=1
	ds_cmpst_rtn_b32 v21, v1, v21, v20 offset:72
	s_waitcnt lgkmcnt(0)
	v_cmp_ne_u32_e32 vcc, 0, v21
	v_cmp_le_i32_e64 s[6:7], v21, v20
	s_and_b64 s[6:7], vcc, s[6:7]
	s_and_b64 s[6:7], exec, s[6:7]
	s_or_b64 s[16:17], s[6:7], s[16:17]
	s_andn2_b64 exec, exec, s[16:17]
	s_cbranch_execnz .LBB8_9
.LBB8_10:
	s_or_b64 exec, exec, s[12:13]
	v_mov_b32_e32 v20, 0
	s_waitcnt lgkmcnt(0)
	; wave barrier
	ds_read_b32 v1, v20 offset:72
	s_and_saveexec_b64 s[6:7], s[4:5]
	s_cbranch_execz .LBB8_12
; %bb.11:
	s_lshl_b64 s[12:13], s[8:9], 2
	s_add_u32 s12, s14, s12
	s_addc_u32 s13, s15, s13
	s_waitcnt lgkmcnt(0)
	global_store_dword v20, v1, s[12:13]
.LBB8_12:
	s_or_b64 exec, exec, s[6:7]
	s_waitcnt lgkmcnt(0)
	v_cmp_ne_u32_e32 vcc, 0, v1
	s_mov_b64 s[6:7], 0
	s_cbranch_vccnz .LBB8_48
; %bb.13:
	buffer_load_dword v26, v25, s[0:3], 0 offen offset:4
	buffer_load_dword v21, v25, s[0:3], 0 offen
	s_waitcnt vmcnt(1)
	v_cmp_gt_f32_e32 vcc, 0, v26
	v_cndmask_b32_e64 v1, v26, -v26, vcc
	s_waitcnt vmcnt(0)
	v_cmp_gt_f32_e32 vcc, 0, v21
	v_cndmask_b32_e64 v20, v21, -v21, vcc
	v_cmp_ngt_f32_e32 vcc, v20, v1
                                        ; implicit-def: $vgpr1
                                        ; implicit-def: $vgpr20
	s_and_saveexec_b64 s[6:7], vcc
	s_xor_b64 s[6:7], exec, s[6:7]
                                        ; implicit-def: $vgpr22_vgpr23
	s_cbranch_execz .LBB8_15
; %bb.14:
	v_div_scale_f32 v1, s[12:13], v26, v26, v21
	v_rcp_f32_e32 v20, v1
	v_div_scale_f32 v22, vcc, v21, v26, v21
	v_fma_f32 v23, -v1, v20, 1.0
	v_fmac_f32_e32 v20, v23, v20
	v_mul_f32_e32 v23, v22, v20
	v_fma_f32 v27, -v1, v23, v22
	v_fmac_f32_e32 v23, v27, v20
	v_fma_f32 v1, -v1, v23, v22
	v_div_fmas_f32 v1, v1, v20, v23
	v_div_fixup_f32 v20, v1, v26, v21
	v_fmac_f32_e32 v26, v21, v20
	v_div_scale_f32 v1, s[12:13], v26, v26, -1.0
	v_rcp_f32_e32 v21, v1
	v_fma_f32 v22, -v1, v21, 1.0
	v_fmac_f32_e32 v21, v22, v21
	v_div_scale_f32 v22, vcc, -1.0, v26, -1.0
	v_mul_f32_e32 v23, v22, v21
	v_fma_f32 v27, -v1, v23, v22
	v_fmac_f32_e32 v23, v27, v21
	v_fma_f32 v1, -v1, v23, v22
	v_div_fmas_f32 v1, v1, v21, v23
	v_div_fixup_f32 v1, v1, v26, -1.0
	v_mul_f32_e32 v20, v20, v1
	v_xor_b32_e32 v22, 0x80000000, v20
                                        ; implicit-def: $vgpr21
                                        ; implicit-def: $vgpr26
.LBB8_15:
	s_andn2_saveexec_b64 s[6:7], s[6:7]
	s_cbranch_execz .LBB8_17
; %bb.16:
	v_div_scale_f32 v1, s[12:13], v21, v21, v26
	v_rcp_f32_e32 v20, v1
	v_div_scale_f32 v22, vcc, v26, v21, v26
	v_fma_f32 v23, -v1, v20, 1.0
	v_fmac_f32_e32 v20, v23, v20
	v_mul_f32_e32 v23, v22, v20
	v_fma_f32 v27, -v1, v23, v22
	v_fmac_f32_e32 v23, v27, v20
	v_fma_f32 v1, -v1, v23, v22
	v_div_fmas_f32 v1, v1, v20, v23
	v_div_fixup_f32 v1, v1, v21, v26
	v_fmac_f32_e32 v21, v26, v1
	v_div_scale_f32 v20, s[12:13], v21, v21, 1.0
	v_rcp_f32_e32 v22, v20
	v_fma_f32 v23, -v20, v22, 1.0
	v_fmac_f32_e32 v22, v23, v22
	v_div_scale_f32 v23, vcc, 1.0, v21, 1.0
	v_mul_f32_e32 v26, v23, v22
	v_fma_f32 v27, -v20, v26, v23
	v_fmac_f32_e32 v26, v27, v22
	v_fma_f32 v20, -v20, v26, v23
	v_div_fmas_f32 v20, v20, v22, v26
	v_div_fixup_f32 v22, v20, v21, 1.0
	v_xor_b32_e32 v20, 0x80000000, v22
	v_mul_f32_e64 v1, v1, -v22
.LBB8_17:
	s_or_b64 exec, exec, s[6:7]
	buffer_store_dword v1, v25, s[0:3], 0 offen offset:4
	buffer_store_dword v22, v25, s[0:3], 0 offen
	buffer_load_dword v23, off, s[0:3], 0 offset:12
	s_nop 0
	buffer_load_dword v22, off, s[0:3], 0 offset:8
	v_xor_b32_e32 v21, 0x80000000, v1
	v_add_u32_e32 v1, 0x50, v24
	s_waitcnt vmcnt(0)
	ds_write2_b64 v24, v[20:21], v[22:23] offset1:10
	s_waitcnt lgkmcnt(0)
	; wave barrier
	s_waitcnt lgkmcnt(0)
	s_and_saveexec_b64 s[6:7], s[4:5]
	s_cbranch_execz .LBB8_19
; %bb.18:
	buffer_load_dword v26, v25, s[0:3], 0 offen offset:4
	buffer_load_dword v27, v25, s[0:3], 0 offen
	ds_read_b64 v[20:21], v1
	v_mov_b32_e32 v22, 0
	ds_read_b64 v[22:23], v22 offset:8
	s_waitcnt vmcnt(1) lgkmcnt(1)
	v_mul_f32_e32 v28, v21, v26
	v_mul_f32_e32 v26, v20, v26
	s_waitcnt vmcnt(0)
	v_fmac_f32_e32 v26, v21, v27
	v_fma_f32 v20, v20, v27, -v28
	v_add_f32_e32 v21, 0, v26
	v_add_f32_e32 v20, 0, v20
	s_waitcnt lgkmcnt(0)
	v_mul_f32_e32 v26, v21, v23
	v_mul_f32_e32 v23, v20, v23
	v_fma_f32 v20, v20, v22, -v26
	v_fmac_f32_e32 v23, v21, v22
	buffer_store_dword v20, off, s[0:3], 0 offset:8
	buffer_store_dword v23, off, s[0:3], 0 offset:12
.LBB8_19:
	s_or_b64 exec, exec, s[6:7]
	s_waitcnt lgkmcnt(0)
	; wave barrier
	buffer_load_dword v20, off, s[0:3], 0 offset:16
	buffer_load_dword v21, off, s[0:3], 0 offset:20
	v_cmp_gt_u32_e32 vcc, 2, v0
	s_waitcnt vmcnt(0)
	ds_write_b64 v1, v[20:21]
	s_waitcnt lgkmcnt(0)
	; wave barrier
	s_waitcnt lgkmcnt(0)
	s_and_saveexec_b64 s[6:7], vcc
	s_cbranch_execz .LBB8_23
; %bb.20:
	buffer_load_dword v22, v25, s[0:3], 0 offen offset:4
	buffer_load_dword v23, v25, s[0:3], 0 offen
	ds_read_b64 v[20:21], v1
	s_waitcnt vmcnt(1) lgkmcnt(0)
	v_mul_f32_e32 v25, v21, v22
	v_mul_f32_e32 v22, v20, v22
	s_waitcnt vmcnt(0)
	v_fma_f32 v20, v20, v23, -v25
	v_fmac_f32_e32 v22, v21, v23
	v_add_f32_e32 v21, 0, v20
	v_add_f32_e32 v20, 0, v22
	s_and_saveexec_b64 s[12:13], s[4:5]
	s_cbranch_execz .LBB8_22
; %bb.21:
	buffer_load_dword v25, off, s[0:3], 0 offset:12
	buffer_load_dword v26, off, s[0:3], 0 offset:8
	v_mov_b32_e32 v22, 0
	ds_read_b64 v[22:23], v22 offset:88
	s_waitcnt vmcnt(1) lgkmcnt(0)
	v_mul_f32_e32 v27, v22, v25
	v_mul_f32_e32 v25, v23, v25
	s_waitcnt vmcnt(0)
	v_fmac_f32_e32 v27, v23, v26
	v_fma_f32 v22, v22, v26, -v25
	v_add_f32_e32 v20, v20, v27
	v_add_f32_e32 v21, v21, v22
.LBB8_22:
	s_or_b64 exec, exec, s[12:13]
	v_mov_b32_e32 v22, 0
	ds_read_b64 v[22:23], v22 offset:16
	s_waitcnt lgkmcnt(0)
	v_mul_f32_e32 v25, v20, v23
	v_mul_f32_e32 v23, v21, v23
	v_fma_f32 v21, v21, v22, -v25
	v_fmac_f32_e32 v23, v20, v22
	buffer_store_dword v21, off, s[0:3], 0 offset:16
	buffer_store_dword v23, off, s[0:3], 0 offset:20
.LBB8_23:
	s_or_b64 exec, exec, s[6:7]
	s_waitcnt lgkmcnt(0)
	; wave barrier
	buffer_load_dword v20, off, s[0:3], 0 offset:24
	buffer_load_dword v21, off, s[0:3], 0 offset:28
	v_cmp_gt_u32_e32 vcc, 3, v0
	s_waitcnt vmcnt(0)
	ds_write_b64 v1, v[20:21]
	v_add_u32_e32 v20, -1, v0
	s_waitcnt lgkmcnt(0)
	; wave barrier
	s_waitcnt lgkmcnt(0)
	s_and_saveexec_b64 s[4:5], vcc
	s_cbranch_execz .LBB8_27
; %bb.24:
	v_add_u32_e32 v22, -1, v0
	v_add_u32_e32 v23, 0x50, v24
	v_add_u32_e32 v25, 0, v24
	s_mov_b64 s[6:7], 0
	v_mov_b32_e32 v21, 0
	v_mov_b32_e32 v26, 0
.LBB8_25:                               ; =>This Inner Loop Header: Depth=1
	buffer_load_dword v27, v25, s[0:3], 0 offen offset:4
	buffer_load_dword v30, v25, s[0:3], 0 offen
	ds_read_b64 v[28:29], v23
	v_add_u32_e32 v22, 1, v22
	v_cmp_lt_u32_e32 vcc, 1, v22
	v_add_u32_e32 v23, 8, v23
	v_add_u32_e32 v25, 8, v25
	s_or_b64 s[6:7], vcc, s[6:7]
	s_waitcnt vmcnt(1) lgkmcnt(0)
	v_mul_f32_e32 v31, v29, v27
	v_mul_f32_e32 v27, v28, v27
	s_waitcnt vmcnt(0)
	v_fma_f32 v28, v28, v30, -v31
	v_fmac_f32_e32 v27, v29, v30
	v_add_f32_e32 v26, v26, v28
	v_add_f32_e32 v21, v21, v27
	s_andn2_b64 exec, exec, s[6:7]
	s_cbranch_execnz .LBB8_25
; %bb.26:
	s_or_b64 exec, exec, s[6:7]
	v_mov_b32_e32 v22, 0
	ds_read_b64 v[22:23], v22 offset:24
	s_waitcnt lgkmcnt(0)
	v_mul_f32_e32 v25, v21, v23
	v_mul_f32_e32 v23, v26, v23
	v_fma_f32 v25, v26, v22, -v25
	v_fmac_f32_e32 v23, v21, v22
	buffer_store_dword v25, off, s[0:3], 0 offset:24
	buffer_store_dword v23, off, s[0:3], 0 offset:28
.LBB8_27:
	s_or_b64 exec, exec, s[4:5]
	s_waitcnt lgkmcnt(0)
	; wave barrier
	buffer_load_dword v22, off, s[0:3], 0 offset:32
	buffer_load_dword v23, off, s[0:3], 0 offset:36
	v_cmp_gt_u32_e32 vcc, 4, v0
	s_waitcnt vmcnt(0)
	ds_write_b64 v1, v[22:23]
	s_waitcnt lgkmcnt(0)
	; wave barrier
	s_waitcnt lgkmcnt(0)
	s_and_saveexec_b64 s[4:5], vcc
	s_cbranch_execz .LBB8_31
; %bb.28:
	v_add_u32_e32 v22, -1, v0
	v_add_u32_e32 v23, 0x50, v24
	v_add_u32_e32 v25, 0, v24
	s_mov_b64 s[6:7], 0
	v_mov_b32_e32 v21, 0
	v_mov_b32_e32 v26, 0
.LBB8_29:                               ; =>This Inner Loop Header: Depth=1
	buffer_load_dword v27, v25, s[0:3], 0 offen offset:4
	buffer_load_dword v30, v25, s[0:3], 0 offen
	ds_read_b64 v[28:29], v23
	v_add_u32_e32 v22, 1, v22
	v_cmp_lt_u32_e32 vcc, 2, v22
	v_add_u32_e32 v23, 8, v23
	v_add_u32_e32 v25, 8, v25
	s_or_b64 s[6:7], vcc, s[6:7]
	s_waitcnt vmcnt(1) lgkmcnt(0)
	v_mul_f32_e32 v31, v29, v27
	v_mul_f32_e32 v27, v28, v27
	s_waitcnt vmcnt(0)
	v_fma_f32 v28, v28, v30, -v31
	v_fmac_f32_e32 v27, v29, v30
	v_add_f32_e32 v26, v26, v28
	v_add_f32_e32 v21, v21, v27
	s_andn2_b64 exec, exec, s[6:7]
	s_cbranch_execnz .LBB8_29
; %bb.30:
	s_or_b64 exec, exec, s[6:7]
	v_mov_b32_e32 v22, 0
	ds_read_b64 v[22:23], v22 offset:32
	s_waitcnt lgkmcnt(0)
	v_mul_f32_e32 v25, v21, v23
	v_mul_f32_e32 v23, v26, v23
	v_fma_f32 v25, v26, v22, -v25
	v_fmac_f32_e32 v23, v21, v22
	buffer_store_dword v25, off, s[0:3], 0 offset:32
	buffer_store_dword v23, off, s[0:3], 0 offset:36
.LBB8_31:
	s_or_b64 exec, exec, s[4:5]
	s_waitcnt lgkmcnt(0)
	; wave barrier
	buffer_load_dword v22, off, s[0:3], 0 offset:40
	buffer_load_dword v23, off, s[0:3], 0 offset:44
	v_cmp_gt_u32_e32 vcc, 5, v0
	s_waitcnt vmcnt(0)
	ds_write_b64 v1, v[22:23]
	;; [unrolled: 51-line block ×4, first 2 shown]
	s_waitcnt lgkmcnt(0)
	; wave barrier
	s_waitcnt lgkmcnt(0)
	s_and_saveexec_b64 s[4:5], vcc
	s_cbranch_execz .LBB8_43
; %bb.40:
	v_add_u32_e32 v22, -1, v0
	v_add_u32_e32 v23, 0x50, v24
	v_add_u32_e32 v25, 0, v24
	s_mov_b64 s[6:7], 0
	v_mov_b32_e32 v21, 0
	v_mov_b32_e32 v26, 0
.LBB8_41:                               ; =>This Inner Loop Header: Depth=1
	buffer_load_dword v27, v25, s[0:3], 0 offen offset:4
	buffer_load_dword v30, v25, s[0:3], 0 offen
	ds_read_b64 v[28:29], v23
	v_add_u32_e32 v22, 1, v22
	v_cmp_lt_u32_e32 vcc, 5, v22
	v_add_u32_e32 v23, 8, v23
	v_add_u32_e32 v25, 8, v25
	s_or_b64 s[6:7], vcc, s[6:7]
	s_waitcnt vmcnt(1) lgkmcnt(0)
	v_mul_f32_e32 v31, v29, v27
	v_mul_f32_e32 v27, v28, v27
	s_waitcnt vmcnt(0)
	v_fma_f32 v28, v28, v30, -v31
	v_fmac_f32_e32 v27, v29, v30
	v_add_f32_e32 v26, v26, v28
	v_add_f32_e32 v21, v21, v27
	s_andn2_b64 exec, exec, s[6:7]
	s_cbranch_execnz .LBB8_41
; %bb.42:
	s_or_b64 exec, exec, s[6:7]
	v_mov_b32_e32 v22, 0
	ds_read_b64 v[22:23], v22 offset:56
	s_waitcnt lgkmcnt(0)
	v_mul_f32_e32 v25, v21, v23
	v_mul_f32_e32 v23, v26, v23
	v_fma_f32 v25, v26, v22, -v25
	v_fmac_f32_e32 v23, v21, v22
	buffer_store_dword v25, off, s[0:3], 0 offset:56
	buffer_store_dword v23, off, s[0:3], 0 offset:60
.LBB8_43:
	s_or_b64 exec, exec, s[4:5]
	s_waitcnt lgkmcnt(0)
	; wave barrier
	buffer_load_dword v22, off, s[0:3], 0 offset:64
	buffer_load_dword v23, off, s[0:3], 0 offset:68
	v_cmp_ne_u32_e32 vcc, 8, v0
	s_waitcnt vmcnt(0)
	ds_write_b64 v1, v[22:23]
	s_waitcnt lgkmcnt(0)
	; wave barrier
	s_waitcnt lgkmcnt(0)
	s_and_saveexec_b64 s[4:5], vcc
	s_cbranch_execz .LBB8_47
; %bb.44:
	v_add_u32_e32 v21, 0x50, v24
	v_add_u32_e32 v22, 0, v24
	s_mov_b64 s[6:7], 0
	v_mov_b32_e32 v1, 0
	v_mov_b32_e32 v23, 0
.LBB8_45:                               ; =>This Inner Loop Header: Depth=1
	buffer_load_dword v26, v22, s[0:3], 0 offen offset:4
	buffer_load_dword v27, v22, s[0:3], 0 offen
	ds_read_b64 v[24:25], v21
	v_add_u32_e32 v20, 1, v20
	v_cmp_lt_u32_e32 vcc, 6, v20
	v_add_u32_e32 v21, 8, v21
	v_add_u32_e32 v22, 8, v22
	s_or_b64 s[6:7], vcc, s[6:7]
	s_waitcnt vmcnt(1) lgkmcnt(0)
	v_mul_f32_e32 v28, v25, v26
	v_mul_f32_e32 v26, v24, v26
	s_waitcnt vmcnt(0)
	v_fma_f32 v24, v24, v27, -v28
	v_fmac_f32_e32 v26, v25, v27
	v_add_f32_e32 v23, v23, v24
	v_add_f32_e32 v1, v1, v26
	s_andn2_b64 exec, exec, s[6:7]
	s_cbranch_execnz .LBB8_45
; %bb.46:
	s_or_b64 exec, exec, s[6:7]
	v_mov_b32_e32 v20, 0
	ds_read_b64 v[20:21], v20 offset:64
	s_waitcnt lgkmcnt(0)
	v_mul_f32_e32 v22, v1, v21
	v_mul_f32_e32 v21, v23, v21
	v_fma_f32 v22, v23, v20, -v22
	v_fmac_f32_e32 v21, v1, v20
	buffer_store_dword v22, off, s[0:3], 0 offset:64
	buffer_store_dword v21, off, s[0:3], 0 offset:68
.LBB8_47:
	s_or_b64 exec, exec, s[4:5]
	s_mov_b64 s[6:7], -1
	s_waitcnt lgkmcnt(0)
	; wave barrier
.LBB8_48:
	s_and_b64 vcc, exec, s[6:7]
	s_cbranch_vccz .LBB8_50
; %bb.49:
	s_lshl_b64 s[4:5], s[8:9], 2
	s_add_u32 s4, s14, s4
	s_addc_u32 s5, s15, s5
	v_mov_b32_e32 v1, 0
	global_load_dword v1, v1, s[4:5]
	s_waitcnt vmcnt(0)
	v_cmp_ne_u32_e32 vcc, 0, v1
	s_cbranch_vccz .LBB8_51
.LBB8_50:
	s_endpgm
.LBB8_51:
	v_mov_b32_e32 v1, 0x50
	v_lshl_add_u32 v1, v0, 3, v1
	v_cmp_eq_u32_e32 vcc, 8, v0
	s_and_saveexec_b64 s[4:5], vcc
	s_cbranch_execz .LBB8_53
; %bb.52:
	buffer_load_dword v20, off, s[0:3], 0 offset:56
	buffer_load_dword v21, off, s[0:3], 0 offset:60
	v_mov_b32_e32 v22, 0
	buffer_store_dword v22, off, s[0:3], 0 offset:56
	buffer_store_dword v22, off, s[0:3], 0 offset:60
	s_waitcnt vmcnt(2)
	ds_write_b64 v1, v[20:21]
.LBB8_53:
	s_or_b64 exec, exec, s[4:5]
	s_waitcnt lgkmcnt(0)
	; wave barrier
	s_waitcnt lgkmcnt(0)
	buffer_load_dword v23, off, s[0:3], 0 offset:68
	buffer_load_dword v22, off, s[0:3], 0 offset:64
	;; [unrolled: 1-line block ×4, first 2 shown]
	v_mov_b32_e32 v20, 0
	ds_read_b64 v[26:27], v20 offset:144
	v_cmp_lt_u32_e32 vcc, 6, v0
	s_waitcnt vmcnt(3)
	v_mov_b32_e32 v28, v23
	s_waitcnt lgkmcnt(0)
	v_pk_mul_f32 v[28:29], v[26:27], v[28:29] op_sel_hi:[1,0]
	s_waitcnt vmcnt(2)
	v_pk_fma_f32 v[30:31], v[26:27], v[22:23], v[28:29] op_sel:[0,0,1] op_sel_hi:[1,1,0] neg_lo:[0,0,1] neg_hi:[0,0,1]
	v_pk_fma_f32 v[22:23], v[26:27], v[22:23], v[28:29] op_sel:[0,0,1] op_sel_hi:[1,0,0]
	v_mov_b32_e32 v31, v23
	v_pk_add_f32 v[22:23], v[30:31], 0 op_sel_hi:[1,0]
	s_waitcnt vmcnt(0)
	v_pk_add_f32 v[22:23], v[24:25], v[22:23] neg_lo:[0,1] neg_hi:[0,1]
	buffer_store_dword v22, off, s[0:3], 0 offset:56
	buffer_store_dword v23, off, s[0:3], 0 offset:60
	s_and_saveexec_b64 s[4:5], vcc
	s_cbranch_execz .LBB8_55
; %bb.54:
	buffer_load_dword v22, off, s[0:3], 0 offset:48
	buffer_load_dword v23, off, s[0:3], 0 offset:52
	s_waitcnt vmcnt(0)
	ds_write_b64 v1, v[22:23]
	buffer_store_dword v20, off, s[0:3], 0 offset:48
	buffer_store_dword v20, off, s[0:3], 0 offset:52
.LBB8_55:
	s_or_b64 exec, exec, s[4:5]
	s_waitcnt lgkmcnt(0)
	; wave barrier
	s_waitcnt lgkmcnt(0)
	buffer_load_dword v25, off, s[0:3], 0 offset:60
	buffer_load_dword v27, off, s[0:3], 0 offset:68
	;; [unrolled: 1-line block ×6, first 2 shown]
	ds_read2_b64 v[20:23], v20 offset0:17 offset1:18
	v_cmp_lt_u32_e32 vcc, 5, v0
	s_waitcnt vmcnt(5)
	v_mov_b32_e32 v30, v25
	s_waitcnt vmcnt(4)
	v_mov_b32_e32 v32, v27
	s_waitcnt lgkmcnt(0)
	v_pk_mul_f32 v[30:31], v[20:21], v[30:31] op_sel_hi:[1,0]
	v_pk_mul_f32 v[32:33], v[22:23], v[32:33] op_sel_hi:[1,0]
	s_waitcnt vmcnt(3)
	v_pk_fma_f32 v[34:35], v[20:21], v[24:25], v[30:31] op_sel:[0,0,1] op_sel_hi:[1,1,0] neg_lo:[0,0,1] neg_hi:[0,0,1]
	v_pk_fma_f32 v[20:21], v[20:21], v[24:25], v[30:31] op_sel:[0,0,1] op_sel_hi:[1,0,0]
	s_waitcnt vmcnt(2)
	v_pk_fma_f32 v[24:25], v[22:23], v[26:27], v[32:33] op_sel:[0,0,1] op_sel_hi:[1,1,0] neg_lo:[0,0,1] neg_hi:[0,0,1]
	v_pk_fma_f32 v[22:23], v[22:23], v[26:27], v[32:33] op_sel:[0,0,1] op_sel_hi:[1,0,0]
	v_mov_b32_e32 v35, v21
	v_mov_b32_e32 v25, v23
	v_pk_add_f32 v[20:21], v[34:35], 0 op_sel_hi:[1,0]
	v_pk_add_f32 v[20:21], v[20:21], v[24:25]
	s_waitcnt vmcnt(0)
	v_pk_add_f32 v[20:21], v[28:29], v[20:21] neg_lo:[0,1] neg_hi:[0,1]
	buffer_store_dword v20, off, s[0:3], 0 offset:48
	buffer_store_dword v21, off, s[0:3], 0 offset:52
	s_and_saveexec_b64 s[4:5], vcc
	s_cbranch_execz .LBB8_57
; %bb.56:
	buffer_load_dword v20, off, s[0:3], 0 offset:40
	buffer_load_dword v21, off, s[0:3], 0 offset:44
	v_mov_b32_e32 v22, 0
	buffer_store_dword v22, off, s[0:3], 0 offset:40
	buffer_store_dword v22, off, s[0:3], 0 offset:44
	s_waitcnt vmcnt(2)
	ds_write_b64 v1, v[20:21]
.LBB8_57:
	s_or_b64 exec, exec, s[4:5]
	s_waitcnt lgkmcnt(0)
	; wave barrier
	s_waitcnt lgkmcnt(0)
	buffer_load_dword v27, off, s[0:3], 0 offset:52
	buffer_load_dword v29, off, s[0:3], 0 offset:60
	;; [unrolled: 1-line block ×8, first 2 shown]
	v_mov_b32_e32 v20, 0
	ds_read_b128 v[22:25], v20 offset:128
	ds_read_b64 v[34:35], v20 offset:144
	v_cmp_lt_u32_e32 vcc, 4, v0
	s_waitcnt vmcnt(7)
	v_mov_b32_e32 v36, v27
	s_waitcnt vmcnt(6)
	v_mov_b32_e32 v38, v29
	s_waitcnt lgkmcnt(1)
	v_pk_mul_f32 v[36:37], v[22:23], v[36:37] op_sel_hi:[1,0]
	s_waitcnt vmcnt(5)
	v_mov_b32_e32 v40, v31
	v_pk_mul_f32 v[38:39], v[24:25], v[38:39] op_sel_hi:[1,0]
	s_waitcnt vmcnt(4)
	v_pk_fma_f32 v[42:43], v[22:23], v[26:27], v[36:37] op_sel:[0,0,1] op_sel_hi:[1,1,0] neg_lo:[0,0,1] neg_hi:[0,0,1]
	v_pk_fma_f32 v[22:23], v[22:23], v[26:27], v[36:37] op_sel:[0,0,1] op_sel_hi:[1,0,0]
	s_waitcnt lgkmcnt(0)
	v_pk_mul_f32 v[40:41], v[34:35], v[40:41] op_sel_hi:[1,0]
	s_waitcnt vmcnt(3)
	v_pk_fma_f32 v[26:27], v[24:25], v[28:29], v[38:39] op_sel:[0,0,1] op_sel_hi:[1,1,0] neg_lo:[0,0,1] neg_hi:[0,0,1]
	v_pk_fma_f32 v[24:25], v[24:25], v[28:29], v[38:39] op_sel:[0,0,1] op_sel_hi:[1,0,0]
	v_mov_b32_e32 v43, v23
	s_waitcnt vmcnt(2)
	v_pk_fma_f32 v[28:29], v[34:35], v[30:31], v[40:41] op_sel:[0,0,1] op_sel_hi:[1,1,0] neg_lo:[0,0,1] neg_hi:[0,0,1]
	v_pk_fma_f32 v[30:31], v[34:35], v[30:31], v[40:41] op_sel:[0,0,1] op_sel_hi:[1,0,0]
	v_mov_b32_e32 v27, v25
	v_pk_add_f32 v[22:23], v[42:43], 0 op_sel_hi:[1,0]
	v_mov_b32_e32 v29, v31
	v_pk_add_f32 v[22:23], v[22:23], v[26:27]
	v_pk_add_f32 v[22:23], v[22:23], v[28:29]
	s_waitcnt vmcnt(0)
	v_pk_add_f32 v[22:23], v[32:33], v[22:23] neg_lo:[0,1] neg_hi:[0,1]
	buffer_store_dword v22, off, s[0:3], 0 offset:40
	buffer_store_dword v23, off, s[0:3], 0 offset:44
	s_and_saveexec_b64 s[4:5], vcc
	s_cbranch_execz .LBB8_59
; %bb.58:
	buffer_load_dword v22, off, s[0:3], 0 offset:32
	buffer_load_dword v23, off, s[0:3], 0 offset:36
	s_waitcnt vmcnt(0)
	ds_write_b64 v1, v[22:23]
	buffer_store_dword v20, off, s[0:3], 0 offset:32
	buffer_store_dword v20, off, s[0:3], 0 offset:36
.LBB8_59:
	s_or_b64 exec, exec, s[4:5]
	s_waitcnt lgkmcnt(0)
	; wave barrier
	s_waitcnt lgkmcnt(0)
	buffer_load_dword v31, off, s[0:3], 0 offset:44
	buffer_load_dword v33, off, s[0:3], 0 offset:52
	;; [unrolled: 1-line block ×10, first 2 shown]
	ds_read2_b64 v[22:25], v20 offset0:15 offset1:16
	ds_read2_b64 v[26:29], v20 offset0:17 offset1:18
	v_cmp_lt_u32_e32 vcc, 3, v0
	s_waitcnt vmcnt(9)
	v_mov_b32_e32 v20, v31
	s_waitcnt vmcnt(8)
	v_mov_b32_e32 v40, v33
	s_waitcnt lgkmcnt(1)
	v_pk_mul_f32 v[20:21], v[22:23], v[20:21] op_sel_hi:[1,0]
	s_waitcnt vmcnt(7)
	v_mov_b32_e32 v42, v35
	v_pk_mul_f32 v[40:41], v[24:25], v[40:41] op_sel_hi:[1,0]
	s_waitcnt vmcnt(5)
	v_pk_fma_f32 v[46:47], v[22:23], v[30:31], v[20:21] op_sel:[0,0,1] op_sel_hi:[1,1,0] neg_lo:[0,0,1] neg_hi:[0,0,1]
	v_pk_fma_f32 v[20:21], v[22:23], v[30:31], v[20:21] op_sel:[0,0,1] op_sel_hi:[1,0,0]
	v_mov_b32_e32 v44, v37
	s_waitcnt lgkmcnt(0)
	v_pk_mul_f32 v[42:43], v[26:27], v[42:43] op_sel_hi:[1,0]
	s_waitcnt vmcnt(4)
	v_pk_fma_f32 v[22:23], v[24:25], v[32:33], v[40:41] op_sel:[0,0,1] op_sel_hi:[1,1,0] neg_lo:[0,0,1] neg_hi:[0,0,1]
	v_pk_fma_f32 v[24:25], v[24:25], v[32:33], v[40:41] op_sel:[0,0,1] op_sel_hi:[1,0,0]
	v_mov_b32_e32 v47, v21
	v_pk_mul_f32 v[44:45], v[28:29], v[44:45] op_sel_hi:[1,0]
	s_waitcnt vmcnt(3)
	v_pk_fma_f32 v[30:31], v[26:27], v[34:35], v[42:43] op_sel:[0,0,1] op_sel_hi:[1,1,0] neg_lo:[0,0,1] neg_hi:[0,0,1]
	v_pk_fma_f32 v[26:27], v[26:27], v[34:35], v[42:43] op_sel:[0,0,1] op_sel_hi:[1,0,0]
	v_mov_b32_e32 v23, v25
	v_pk_add_f32 v[20:21], v[46:47], 0 op_sel_hi:[1,0]
	s_waitcnt vmcnt(2)
	v_pk_fma_f32 v[32:33], v[28:29], v[36:37], v[44:45] op_sel:[0,0,1] op_sel_hi:[1,1,0] neg_lo:[0,0,1] neg_hi:[0,0,1]
	v_pk_fma_f32 v[28:29], v[28:29], v[36:37], v[44:45] op_sel:[0,0,1] op_sel_hi:[1,0,0]
	v_mov_b32_e32 v31, v27
	v_pk_add_f32 v[20:21], v[20:21], v[22:23]
	v_mov_b32_e32 v33, v29
	v_pk_add_f32 v[20:21], v[20:21], v[30:31]
	v_pk_add_f32 v[20:21], v[20:21], v[32:33]
	s_waitcnt vmcnt(0)
	v_pk_add_f32 v[20:21], v[38:39], v[20:21] neg_lo:[0,1] neg_hi:[0,1]
	buffer_store_dword v20, off, s[0:3], 0 offset:32
	buffer_store_dword v21, off, s[0:3], 0 offset:36
	s_and_saveexec_b64 s[4:5], vcc
	s_cbranch_execz .LBB8_61
; %bb.60:
	buffer_load_dword v20, off, s[0:3], 0 offset:24
	buffer_load_dword v21, off, s[0:3], 0 offset:28
	v_mov_b32_e32 v22, 0
	buffer_store_dword v22, off, s[0:3], 0 offset:24
	buffer_store_dword v22, off, s[0:3], 0 offset:28
	s_waitcnt vmcnt(2)
	ds_write_b64 v1, v[20:21]
.LBB8_61:
	s_or_b64 exec, exec, s[4:5]
	s_waitcnt lgkmcnt(0)
	; wave barrier
	s_waitcnt lgkmcnt(0)
	buffer_load_dword v31, off, s[0:3], 0 offset:36
	buffer_load_dword v33, off, s[0:3], 0 offset:44
	;; [unrolled: 1-line block ×12, first 2 shown]
	v_mov_b32_e32 v20, 0
	ds_read_b128 v[22:25], v20 offset:112
	ds_read_b128 v[26:29], v20 offset:128
	ds_read_b64 v[42:43], v20 offset:144
	v_cmp_lt_u32_e32 vcc, 2, v0
	s_waitcnt vmcnt(11)
	v_mov_b32_e32 v44, v31
	s_waitcnt vmcnt(10)
	v_mov_b32_e32 v46, v33
	s_waitcnt lgkmcnt(2)
	v_pk_mul_f32 v[44:45], v[22:23], v[44:45] op_sel_hi:[1,0]
	s_waitcnt vmcnt(9)
	v_mov_b32_e32 v48, v35
	v_pk_mul_f32 v[46:47], v[24:25], v[46:47] op_sel_hi:[1,0]
	s_waitcnt vmcnt(6)
	v_pk_fma_f32 v[54:55], v[22:23], v[30:31], v[44:45] op_sel:[0,0,1] op_sel_hi:[1,1,0] neg_lo:[0,0,1] neg_hi:[0,0,1]
	v_pk_fma_f32 v[22:23], v[22:23], v[30:31], v[44:45] op_sel:[0,0,1] op_sel_hi:[1,0,0]
	v_mov_b32_e32 v50, v37
	s_waitcnt lgkmcnt(1)
	v_pk_mul_f32 v[48:49], v[26:27], v[48:49] op_sel_hi:[1,0]
	s_waitcnt vmcnt(5)
	v_pk_fma_f32 v[30:31], v[24:25], v[32:33], v[46:47] op_sel:[0,0,1] op_sel_hi:[1,1,0] neg_lo:[0,0,1] neg_hi:[0,0,1]
	v_pk_fma_f32 v[24:25], v[24:25], v[32:33], v[46:47] op_sel:[0,0,1] op_sel_hi:[1,0,0]
	v_mov_b32_e32 v55, v23
	v_mov_b32_e32 v52, v39
	v_pk_mul_f32 v[50:51], v[28:29], v[50:51] op_sel_hi:[1,0]
	s_waitcnt vmcnt(4)
	v_pk_fma_f32 v[32:33], v[26:27], v[34:35], v[48:49] op_sel:[0,0,1] op_sel_hi:[1,1,0] neg_lo:[0,0,1] neg_hi:[0,0,1]
	v_pk_fma_f32 v[26:27], v[26:27], v[34:35], v[48:49] op_sel:[0,0,1] op_sel_hi:[1,0,0]
	v_mov_b32_e32 v31, v25
	v_pk_add_f32 v[22:23], v[54:55], 0 op_sel_hi:[1,0]
	s_waitcnt lgkmcnt(0)
	v_pk_mul_f32 v[52:53], v[42:43], v[52:53] op_sel_hi:[1,0]
	s_waitcnt vmcnt(3)
	v_pk_fma_f32 v[34:35], v[28:29], v[36:37], v[50:51] op_sel:[0,0,1] op_sel_hi:[1,1,0] neg_lo:[0,0,1] neg_hi:[0,0,1]
	v_pk_fma_f32 v[28:29], v[28:29], v[36:37], v[50:51] op_sel:[0,0,1] op_sel_hi:[1,0,0]
	v_mov_b32_e32 v33, v27
	v_pk_add_f32 v[22:23], v[22:23], v[30:31]
	s_waitcnt vmcnt(2)
	v_pk_fma_f32 v[36:37], v[42:43], v[38:39], v[52:53] op_sel:[0,0,1] op_sel_hi:[1,1,0] neg_lo:[0,0,1] neg_hi:[0,0,1]
	v_pk_fma_f32 v[38:39], v[42:43], v[38:39], v[52:53] op_sel:[0,0,1] op_sel_hi:[1,0,0]
	v_mov_b32_e32 v35, v29
	v_pk_add_f32 v[22:23], v[22:23], v[32:33]
	v_mov_b32_e32 v37, v39
	v_pk_add_f32 v[22:23], v[22:23], v[34:35]
	v_pk_add_f32 v[22:23], v[22:23], v[36:37]
	s_waitcnt vmcnt(0)
	v_pk_add_f32 v[22:23], v[40:41], v[22:23] neg_lo:[0,1] neg_hi:[0,1]
	buffer_store_dword v22, off, s[0:3], 0 offset:24
	buffer_store_dword v23, off, s[0:3], 0 offset:28
	s_and_saveexec_b64 s[4:5], vcc
	s_cbranch_execz .LBB8_63
; %bb.62:
	buffer_load_dword v22, off, s[0:3], 0 offset:16
	buffer_load_dword v23, off, s[0:3], 0 offset:20
	s_waitcnt vmcnt(0)
	ds_write_b64 v1, v[22:23]
	buffer_store_dword v20, off, s[0:3], 0 offset:16
	buffer_store_dword v20, off, s[0:3], 0 offset:20
.LBB8_63:
	s_or_b64 exec, exec, s[4:5]
	s_waitcnt lgkmcnt(0)
	; wave barrier
	s_waitcnt lgkmcnt(0)
	buffer_load_dword v35, off, s[0:3], 0 offset:28
	buffer_load_dword v37, off, s[0:3], 0 offset:36
	;; [unrolled: 1-line block ×14, first 2 shown]
	ds_read2_b64 v[22:25], v20 offset0:13 offset1:14
	ds_read2_b64 v[26:29], v20 offset0:15 offset1:16
	;; [unrolled: 1-line block ×3, first 2 shown]
	v_cmp_lt_u32_e32 vcc, 1, v0
	s_waitcnt vmcnt(13)
	v_mov_b32_e32 v20, v35
	s_waitcnt vmcnt(12)
	v_mov_b32_e32 v48, v37
	s_waitcnt lgkmcnt(2)
	v_pk_mul_f32 v[20:21], v[22:23], v[20:21] op_sel_hi:[1,0]
	s_waitcnt vmcnt(11)
	v_mov_b32_e32 v50, v39
	v_pk_mul_f32 v[48:49], v[24:25], v[48:49] op_sel_hi:[1,0]
	s_waitcnt vmcnt(10)
	v_mov_b32_e32 v52, v41
	s_waitcnt vmcnt(7)
	v_pk_fma_f32 v[58:59], v[22:23], v[34:35], v[20:21] op_sel:[0,0,1] op_sel_hi:[1,1,0] neg_lo:[0,0,1] neg_hi:[0,0,1]
	v_pk_fma_f32 v[20:21], v[22:23], v[34:35], v[20:21] op_sel:[0,0,1] op_sel_hi:[1,0,0]
	s_waitcnt lgkmcnt(1)
	v_pk_mul_f32 v[50:51], v[26:27], v[50:51] op_sel_hi:[1,0]
	s_waitcnt vmcnt(6)
	v_pk_fma_f32 v[22:23], v[24:25], v[36:37], v[48:49] op_sel:[0,0,1] op_sel_hi:[1,1,0] neg_lo:[0,0,1] neg_hi:[0,0,1]
	v_pk_fma_f32 v[24:25], v[24:25], v[36:37], v[48:49] op_sel:[0,0,1] op_sel_hi:[1,0,0]
	v_mov_b32_e32 v59, v21
	v_mov_b32_e32 v54, v43
	v_pk_mul_f32 v[52:53], v[28:29], v[52:53] op_sel_hi:[1,0]
	s_waitcnt vmcnt(5)
	v_pk_fma_f32 v[34:35], v[26:27], v[38:39], v[50:51] op_sel:[0,0,1] op_sel_hi:[1,1,0] neg_lo:[0,0,1] neg_hi:[0,0,1]
	v_pk_fma_f32 v[26:27], v[26:27], v[38:39], v[50:51] op_sel:[0,0,1] op_sel_hi:[1,0,0]
	v_mov_b32_e32 v23, v25
	v_pk_add_f32 v[20:21], v[58:59], 0 op_sel_hi:[1,0]
	v_mov_b32_e32 v56, v45
	s_waitcnt lgkmcnt(0)
	v_pk_mul_f32 v[54:55], v[30:31], v[54:55] op_sel_hi:[1,0]
	s_waitcnt vmcnt(4)
	v_pk_fma_f32 v[36:37], v[28:29], v[40:41], v[52:53] op_sel:[0,0,1] op_sel_hi:[1,1,0] neg_lo:[0,0,1] neg_hi:[0,0,1]
	v_pk_fma_f32 v[28:29], v[28:29], v[40:41], v[52:53] op_sel:[0,0,1] op_sel_hi:[1,0,0]
	v_mov_b32_e32 v35, v27
	v_pk_add_f32 v[20:21], v[20:21], v[22:23]
	v_pk_mul_f32 v[56:57], v[32:33], v[56:57] op_sel_hi:[1,0]
	s_waitcnt vmcnt(3)
	v_pk_fma_f32 v[38:39], v[30:31], v[42:43], v[54:55] op_sel:[0,0,1] op_sel_hi:[1,1,0] neg_lo:[0,0,1] neg_hi:[0,0,1]
	v_pk_fma_f32 v[30:31], v[30:31], v[42:43], v[54:55] op_sel:[0,0,1] op_sel_hi:[1,0,0]
	v_mov_b32_e32 v37, v29
	v_pk_add_f32 v[20:21], v[20:21], v[34:35]
	s_waitcnt vmcnt(2)
	v_pk_fma_f32 v[40:41], v[32:33], v[44:45], v[56:57] op_sel:[0,0,1] op_sel_hi:[1,1,0] neg_lo:[0,0,1] neg_hi:[0,0,1]
	v_pk_fma_f32 v[32:33], v[32:33], v[44:45], v[56:57] op_sel:[0,0,1] op_sel_hi:[1,0,0]
	v_mov_b32_e32 v39, v31
	v_pk_add_f32 v[20:21], v[20:21], v[36:37]
	v_mov_b32_e32 v41, v33
	v_pk_add_f32 v[20:21], v[20:21], v[38:39]
	v_pk_add_f32 v[20:21], v[20:21], v[40:41]
	s_waitcnt vmcnt(0)
	v_pk_add_f32 v[20:21], v[46:47], v[20:21] neg_lo:[0,1] neg_hi:[0,1]
	buffer_store_dword v20, off, s[0:3], 0 offset:16
	buffer_store_dword v21, off, s[0:3], 0 offset:20
	s_and_saveexec_b64 s[4:5], vcc
	s_cbranch_execz .LBB8_65
; %bb.64:
	buffer_load_dword v20, off, s[0:3], 0 offset:8
	buffer_load_dword v21, off, s[0:3], 0 offset:12
	v_mov_b32_e32 v22, 0
	buffer_store_dword v22, off, s[0:3], 0 offset:8
	buffer_store_dword v22, off, s[0:3], 0 offset:12
	s_waitcnt vmcnt(2)
	ds_write_b64 v1, v[20:21]
.LBB8_65:
	s_or_b64 exec, exec, s[4:5]
	s_waitcnt lgkmcnt(0)
	; wave barrier
	s_waitcnt lgkmcnt(0)
	buffer_load_dword v34, off, s[0:3], 0 offset:8
	buffer_load_dword v35, off, s[0:3], 0 offset:12
	buffer_load_dword v36, off, s[0:3], 0 offset:16
	buffer_load_dword v37, off, s[0:3], 0 offset:20
	buffer_load_dword v38, off, s[0:3], 0 offset:24
	buffer_load_dword v39, off, s[0:3], 0 offset:28
	buffer_load_dword v40, off, s[0:3], 0 offset:32
	buffer_load_dword v41, off, s[0:3], 0 offset:36
	buffer_load_dword v42, off, s[0:3], 0 offset:40
	buffer_load_dword v43, off, s[0:3], 0 offset:44
	buffer_load_dword v44, off, s[0:3], 0 offset:48
	buffer_load_dword v45, off, s[0:3], 0 offset:52
	buffer_load_dword v46, off, s[0:3], 0 offset:56
	buffer_load_dword v47, off, s[0:3], 0 offset:60
	buffer_load_dword v48, off, s[0:3], 0 offset:64
	buffer_load_dword v49, off, s[0:3], 0 offset:68
	v_mov_b32_e32 v20, 0
	ds_read_b128 v[22:25], v20 offset:96
	ds_read_b128 v[26:29], v20 offset:112
	;; [unrolled: 1-line block ×3, first 2 shown]
	ds_read_b64 v[50:51], v20 offset:144
	v_cmp_ne_u32_e32 vcc, 0, v0
	s_waitcnt vmcnt(12)
	v_mov_b32_e32 v52, v37
	s_waitcnt lgkmcnt(3)
	v_pk_mul_f32 v[52:53], v[22:23], v[52:53] op_sel_hi:[1,0]
	v_pk_fma_f32 v[54:55], v[22:23], v[36:37], v[52:53] op_sel:[0,0,1] op_sel_hi:[1,1,0] neg_lo:[0,0,1] neg_hi:[0,0,1]
	v_pk_fma_f32 v[22:23], v[22:23], v[36:37], v[52:53] op_sel:[0,0,1] op_sel_hi:[1,0,0]
	s_waitcnt vmcnt(10)
	v_mov_b32_e32 v36, v39
	v_pk_mul_f32 v[36:37], v[24:25], v[36:37] op_sel_hi:[1,0]
	v_pk_fma_f32 v[52:53], v[24:25], v[38:39], v[36:37] op_sel:[0,0,1] op_sel_hi:[1,1,0] neg_lo:[0,0,1] neg_hi:[0,0,1]
	v_pk_fma_f32 v[24:25], v[24:25], v[38:39], v[36:37] op_sel:[0,0,1] op_sel_hi:[1,0,0]
	s_waitcnt vmcnt(8)
	v_mov_b32_e32 v24, v41
	v_mov_b32_e32 v53, v25
	s_waitcnt lgkmcnt(2)
	v_pk_mul_f32 v[24:25], v[26:27], v[24:25] op_sel_hi:[1,0]
	v_pk_fma_f32 v[36:37], v[26:27], v[40:41], v[24:25] op_sel:[0,0,1] op_sel_hi:[1,1,0] neg_lo:[0,0,1] neg_hi:[0,0,1]
	v_pk_fma_f32 v[24:25], v[26:27], v[40:41], v[24:25] op_sel:[0,0,1] op_sel_hi:[1,0,0]
	s_waitcnt vmcnt(6)
	v_mov_b32_e32 v24, v43
	v_mov_b32_e32 v55, v23
	;; [unrolled: 1-line block ×3, first 2 shown]
	v_pk_mul_f32 v[24:25], v[28:29], v[24:25] op_sel_hi:[1,0]
	v_pk_add_f32 v[22:23], v[54:55], 0 op_sel_hi:[1,0]
	v_pk_fma_f32 v[26:27], v[28:29], v[42:43], v[24:25] op_sel:[0,0,1] op_sel_hi:[1,1,0] neg_lo:[0,0,1] neg_hi:[0,0,1]
	v_pk_fma_f32 v[24:25], v[28:29], v[42:43], v[24:25] op_sel:[0,0,1] op_sel_hi:[1,0,0]
	v_pk_add_f32 v[22:23], v[22:23], v[52:53]
	s_waitcnt vmcnt(4)
	v_mov_b32_e32 v24, v45
	v_pk_add_f32 v[22:23], v[22:23], v[36:37]
	v_mov_b32_e32 v27, v25
	s_waitcnt lgkmcnt(1)
	v_pk_mul_f32 v[24:25], v[30:31], v[24:25] op_sel_hi:[1,0]
	v_pk_add_f32 v[22:23], v[22:23], v[26:27]
	v_pk_fma_f32 v[26:27], v[30:31], v[44:45], v[24:25] op_sel:[0,0,1] op_sel_hi:[1,1,0] neg_lo:[0,0,1] neg_hi:[0,0,1]
	v_pk_fma_f32 v[24:25], v[30:31], v[44:45], v[24:25] op_sel:[0,0,1] op_sel_hi:[1,0,0]
	s_waitcnt vmcnt(2)
	v_mov_b32_e32 v24, v47
	v_mov_b32_e32 v27, v25
	v_pk_mul_f32 v[24:25], v[32:33], v[24:25] op_sel_hi:[1,0]
	v_pk_add_f32 v[22:23], v[22:23], v[26:27]
	v_pk_fma_f32 v[26:27], v[32:33], v[46:47], v[24:25] op_sel:[0,0,1] op_sel_hi:[1,1,0] neg_lo:[0,0,1] neg_hi:[0,0,1]
	v_pk_fma_f32 v[24:25], v[32:33], v[46:47], v[24:25] op_sel:[0,0,1] op_sel_hi:[1,0,0]
	s_waitcnt vmcnt(0)
	v_mov_b32_e32 v24, v49
	v_mov_b32_e32 v27, v25
	s_waitcnt lgkmcnt(0)
	v_pk_mul_f32 v[24:25], v[50:51], v[24:25] op_sel_hi:[1,0]
	v_pk_add_f32 v[22:23], v[22:23], v[26:27]
	v_pk_fma_f32 v[26:27], v[50:51], v[48:49], v[24:25] op_sel:[0,0,1] op_sel_hi:[1,1,0] neg_lo:[0,0,1] neg_hi:[0,0,1]
	v_pk_fma_f32 v[24:25], v[50:51], v[48:49], v[24:25] op_sel:[0,0,1] op_sel_hi:[1,0,0]
	v_mov_b32_e32 v27, v25
	v_pk_add_f32 v[22:23], v[22:23], v[26:27]
	v_pk_add_f32 v[22:23], v[34:35], v[22:23] neg_lo:[0,1] neg_hi:[0,1]
	buffer_store_dword v22, off, s[0:3], 0 offset:8
	buffer_store_dword v23, off, s[0:3], 0 offset:12
	s_and_saveexec_b64 s[4:5], vcc
	s_cbranch_execz .LBB8_67
; %bb.66:
	buffer_load_dword v22, off, s[0:3], 0
	buffer_load_dword v23, off, s[0:3], 0 offset:4
	s_waitcnt vmcnt(0)
	ds_write_b64 v1, v[22:23]
	buffer_store_dword v20, off, s[0:3], 0
	buffer_store_dword v20, off, s[0:3], 0 offset:4
.LBB8_67:
	s_or_b64 exec, exec, s[4:5]
	s_waitcnt lgkmcnt(0)
	; wave barrier
	s_waitcnt lgkmcnt(0)
	buffer_load_dword v0, off, s[0:3], 0
	buffer_load_dword v1, off, s[0:3], 0 offset:4
	buffer_load_dword v38, off, s[0:3], 0 offset:8
	;; [unrolled: 1-line block ×15, first 2 shown]
	ds_read2_b64 v[22:25], v20 offset0:11 offset1:12
	buffer_load_dword v53, off, s[0:3], 0 offset:68
	buffer_load_dword v52, off, s[0:3], 0 offset:64
	ds_read2_b64 v[26:29], v20 offset0:13 offset1:14
	ds_read2_b64 v[30:33], v20 offset0:15 offset1:16
	;; [unrolled: 1-line block ×3, first 2 shown]
	s_and_b64 vcc, exec, s[20:21]
	s_waitcnt vmcnt(14)
	v_mov_b32_e32 v20, v39
	s_waitcnt lgkmcnt(3)
	v_pk_mul_f32 v[20:21], v[22:23], v[20:21] op_sel_hi:[1,0]
	v_pk_fma_f32 v[54:55], v[22:23], v[38:39], v[20:21] op_sel:[0,0,1] op_sel_hi:[1,1,0] neg_lo:[0,0,1] neg_hi:[0,0,1]
	v_pk_fma_f32 v[20:21], v[22:23], v[38:39], v[20:21] op_sel:[0,0,1] op_sel_hi:[1,0,0]
	s_waitcnt vmcnt(12)
	v_mov_b32_e32 v22, v41
	v_pk_mul_f32 v[22:23], v[24:25], v[22:23] op_sel_hi:[1,0]
	v_pk_fma_f32 v[38:39], v[24:25], v[40:41], v[22:23] op_sel:[0,0,1] op_sel_hi:[1,1,0] neg_lo:[0,0,1] neg_hi:[0,0,1]
	v_pk_fma_f32 v[22:23], v[24:25], v[40:41], v[22:23] op_sel:[0,0,1] op_sel_hi:[1,0,0]
	s_waitcnt vmcnt(10)
	v_mov_b32_e32 v22, v43
	v_mov_b32_e32 v39, v23
	s_waitcnt lgkmcnt(2)
	v_pk_mul_f32 v[22:23], v[26:27], v[22:23] op_sel_hi:[1,0]
	v_mov_b32_e32 v55, v21
	v_pk_fma_f32 v[24:25], v[26:27], v[42:43], v[22:23] op_sel:[0,0,1] op_sel_hi:[1,1,0] neg_lo:[0,0,1] neg_hi:[0,0,1]
	v_pk_fma_f32 v[22:23], v[26:27], v[42:43], v[22:23] op_sel:[0,0,1] op_sel_hi:[1,0,0]
	v_pk_add_f32 v[20:21], v[54:55], 0 op_sel_hi:[1,0]
	s_waitcnt vmcnt(8)
	v_mov_b32_e32 v22, v45
	v_pk_add_f32 v[20:21], v[20:21], v[38:39]
	v_mov_b32_e32 v25, v23
	v_pk_mul_f32 v[22:23], v[28:29], v[22:23] op_sel_hi:[1,0]
	v_pk_add_f32 v[20:21], v[20:21], v[24:25]
	v_pk_fma_f32 v[24:25], v[28:29], v[44:45], v[22:23] op_sel:[0,0,1] op_sel_hi:[1,1,0] neg_lo:[0,0,1] neg_hi:[0,0,1]
	v_pk_fma_f32 v[22:23], v[28:29], v[44:45], v[22:23] op_sel:[0,0,1] op_sel_hi:[1,0,0]
	s_waitcnt vmcnt(6)
	v_mov_b32_e32 v22, v47
	v_mov_b32_e32 v25, v23
	s_waitcnt lgkmcnt(1)
	v_pk_mul_f32 v[22:23], v[30:31], v[22:23] op_sel_hi:[1,0]
	v_pk_add_f32 v[20:21], v[20:21], v[24:25]
	v_pk_fma_f32 v[24:25], v[30:31], v[46:47], v[22:23] op_sel:[0,0,1] op_sel_hi:[1,1,0] neg_lo:[0,0,1] neg_hi:[0,0,1]
	v_pk_fma_f32 v[22:23], v[30:31], v[46:47], v[22:23] op_sel:[0,0,1] op_sel_hi:[1,0,0]
	s_waitcnt vmcnt(4)
	v_mov_b32_e32 v22, v49
	v_mov_b32_e32 v25, v23
	v_pk_mul_f32 v[22:23], v[32:33], v[22:23] op_sel_hi:[1,0]
	v_pk_add_f32 v[20:21], v[20:21], v[24:25]
	v_pk_fma_f32 v[24:25], v[32:33], v[48:49], v[22:23] op_sel:[0,0,1] op_sel_hi:[1,1,0] neg_lo:[0,0,1] neg_hi:[0,0,1]
	v_pk_fma_f32 v[22:23], v[32:33], v[48:49], v[22:23] op_sel:[0,0,1] op_sel_hi:[1,0,0]
	s_waitcnt vmcnt(2)
	v_mov_b32_e32 v22, v51
	v_mov_b32_e32 v25, v23
	s_waitcnt lgkmcnt(0)
	v_pk_mul_f32 v[22:23], v[34:35], v[22:23] op_sel_hi:[1,0]
	v_pk_add_f32 v[20:21], v[20:21], v[24:25]
	v_pk_fma_f32 v[24:25], v[34:35], v[50:51], v[22:23] op_sel:[0,0,1] op_sel_hi:[1,1,0] neg_lo:[0,0,1] neg_hi:[0,0,1]
	v_pk_fma_f32 v[22:23], v[34:35], v[50:51], v[22:23] op_sel:[0,0,1] op_sel_hi:[1,0,0]
	s_waitcnt vmcnt(1)
	v_mov_b32_e32 v22, v53
	v_mov_b32_e32 v25, v23
	v_pk_mul_f32 v[22:23], v[36:37], v[22:23] op_sel_hi:[1,0]
	v_pk_add_f32 v[20:21], v[20:21], v[24:25]
	s_waitcnt vmcnt(0)
	v_pk_fma_f32 v[24:25], v[36:37], v[52:53], v[22:23] op_sel:[0,0,1] op_sel_hi:[1,1,0] neg_lo:[0,0,1] neg_hi:[0,0,1]
	v_pk_fma_f32 v[22:23], v[36:37], v[52:53], v[22:23] op_sel:[0,0,1] op_sel_hi:[1,0,0]
	v_mov_b32_e32 v25, v23
	v_pk_add_f32 v[20:21], v[20:21], v[24:25]
	v_pk_add_f32 v[0:1], v[0:1], v[20:21] neg_lo:[0,1] neg_hi:[0,1]
	buffer_store_dword v0, off, s[0:3], 0
	buffer_store_dword v1, off, s[0:3], 0 offset:4
	s_cbranch_vccz .LBB8_85
; %bb.68:
	v_pk_mov_b32 v[0:1], s[10:11], s[10:11] op_sel:[0,1]
	flat_load_dword v0, v[0:1] offset:28
	s_waitcnt vmcnt(0) lgkmcnt(0)
	v_add_u32_e32 v0, -1, v0
	v_cmp_ne_u32_e32 vcc, 7, v0
	s_and_saveexec_b64 s[4:5], vcc
	s_cbranch_execz .LBB8_70
; %bb.69:
	v_mov_b32_e32 v1, 0
	v_lshl_add_u32 v0, v0, 3, v1
	buffer_load_dword v1, v0, s[0:3], 0 offen
	buffer_load_dword v20, v0, s[0:3], 0 offen offset:4
	buffer_load_dword v21, off, s[0:3], 0 offset:56
	buffer_load_dword v22, off, s[0:3], 0 offset:60
	s_waitcnt vmcnt(3)
	buffer_store_dword v1, off, s[0:3], 0 offset:56
	s_waitcnt vmcnt(3)
	buffer_store_dword v20, off, s[0:3], 0 offset:60
	s_waitcnt vmcnt(3)
	buffer_store_dword v21, v0, s[0:3], 0 offen
	s_waitcnt vmcnt(3)
	buffer_store_dword v22, v0, s[0:3], 0 offen offset:4
.LBB8_70:
	s_or_b64 exec, exec, s[4:5]
	v_pk_mov_b32 v[0:1], s[10:11], s[10:11] op_sel:[0,1]
	flat_load_dword v0, v[0:1] offset:24
	s_waitcnt vmcnt(0) lgkmcnt(0)
	v_add_u32_e32 v0, -1, v0
	v_cmp_ne_u32_e32 vcc, 6, v0
	s_and_saveexec_b64 s[4:5], vcc
	s_cbranch_execz .LBB8_72
; %bb.71:
	v_mov_b32_e32 v1, 0
	v_lshl_add_u32 v0, v0, 3, v1
	buffer_load_dword v1, v0, s[0:3], 0 offen
	buffer_load_dword v20, v0, s[0:3], 0 offen offset:4
	buffer_load_dword v21, off, s[0:3], 0 offset:52
	buffer_load_dword v22, off, s[0:3], 0 offset:48
	s_waitcnt vmcnt(3)
	buffer_store_dword v1, off, s[0:3], 0 offset:48
	s_waitcnt vmcnt(3)
	buffer_store_dword v20, off, s[0:3], 0 offset:52
	s_waitcnt vmcnt(3)
	buffer_store_dword v21, v0, s[0:3], 0 offen offset:4
	s_waitcnt vmcnt(3)
	buffer_store_dword v22, v0, s[0:3], 0 offen
.LBB8_72:
	s_or_b64 exec, exec, s[4:5]
	v_pk_mov_b32 v[0:1], s[10:11], s[10:11] op_sel:[0,1]
	flat_load_dword v0, v[0:1] offset:20
	s_waitcnt vmcnt(0) lgkmcnt(0)
	v_add_u32_e32 v0, -1, v0
	v_cmp_ne_u32_e32 vcc, 5, v0
	s_and_saveexec_b64 s[4:5], vcc
	s_cbranch_execz .LBB8_74
; %bb.73:
	v_mov_b32_e32 v1, 0
	v_lshl_add_u32 v0, v0, 3, v1
	buffer_load_dword v1, v0, s[0:3], 0 offen
	buffer_load_dword v20, v0, s[0:3], 0 offen offset:4
	buffer_load_dword v21, off, s[0:3], 0 offset:40
	buffer_load_dword v22, off, s[0:3], 0 offset:44
	s_waitcnt vmcnt(3)
	buffer_store_dword v1, off, s[0:3], 0 offset:40
	s_waitcnt vmcnt(3)
	buffer_store_dword v20, off, s[0:3], 0 offset:44
	s_waitcnt vmcnt(3)
	buffer_store_dword v21, v0, s[0:3], 0 offen
	s_waitcnt vmcnt(3)
	buffer_store_dword v22, v0, s[0:3], 0 offen offset:4
.LBB8_74:
	s_or_b64 exec, exec, s[4:5]
	v_pk_mov_b32 v[0:1], s[10:11], s[10:11] op_sel:[0,1]
	flat_load_dword v0, v[0:1] offset:16
	s_waitcnt vmcnt(0) lgkmcnt(0)
	v_add_u32_e32 v0, -1, v0
	v_cmp_ne_u32_e32 vcc, 4, v0
	s_and_saveexec_b64 s[4:5], vcc
	s_cbranch_execz .LBB8_76
; %bb.75:
	v_mov_b32_e32 v1, 0
	v_lshl_add_u32 v0, v0, 3, v1
	buffer_load_dword v1, v0, s[0:3], 0 offen
	buffer_load_dword v20, v0, s[0:3], 0 offen offset:4
	buffer_load_dword v21, off, s[0:3], 0 offset:36
	buffer_load_dword v22, off, s[0:3], 0 offset:32
	s_waitcnt vmcnt(3)
	buffer_store_dword v1, off, s[0:3], 0 offset:32
	s_waitcnt vmcnt(3)
	buffer_store_dword v20, off, s[0:3], 0 offset:36
	s_waitcnt vmcnt(3)
	buffer_store_dword v21, v0, s[0:3], 0 offen offset:4
	s_waitcnt vmcnt(3)
	buffer_store_dword v22, v0, s[0:3], 0 offen
.LBB8_76:
	s_or_b64 exec, exec, s[4:5]
	;; [unrolled: 48-line block ×3, first 2 shown]
	v_pk_mov_b32 v[0:1], s[10:11], s[10:11] op_sel:[0,1]
	flat_load_dword v0, v[0:1] offset:4
	s_waitcnt vmcnt(0) lgkmcnt(0)
	v_add_u32_e32 v0, -1, v0
	v_cmp_ne_u32_e32 vcc, 1, v0
	s_and_saveexec_b64 s[4:5], vcc
	s_cbranch_execz .LBB8_82
; %bb.81:
	v_mov_b32_e32 v1, 0
	v_lshl_add_u32 v0, v0, 3, v1
	buffer_load_dword v1, v0, s[0:3], 0 offen
	buffer_load_dword v20, v0, s[0:3], 0 offen offset:4
	buffer_load_dword v21, off, s[0:3], 0 offset:8
	buffer_load_dword v22, off, s[0:3], 0 offset:12
	s_waitcnt vmcnt(3)
	buffer_store_dword v1, off, s[0:3], 0 offset:8
	s_waitcnt vmcnt(3)
	buffer_store_dword v20, off, s[0:3], 0 offset:12
	s_waitcnt vmcnt(3)
	buffer_store_dword v21, v0, s[0:3], 0 offen
	s_waitcnt vmcnt(3)
	buffer_store_dword v22, v0, s[0:3], 0 offen offset:4
.LBB8_82:
	s_or_b64 exec, exec, s[4:5]
	v_pk_mov_b32 v[0:1], s[10:11], s[10:11] op_sel:[0,1]
	flat_load_dword v20, v[0:1]
	s_nop 0
	buffer_load_dword v0, off, s[0:3], 0
	buffer_load_dword v1, off, s[0:3], 0 offset:4
	s_waitcnt vmcnt(0) lgkmcnt(0)
	v_add_u32_e32 v20, -1, v20
	v_cmp_ne_u32_e32 vcc, 0, v20
	s_and_saveexec_b64 s[4:5], vcc
	s_cbranch_execz .LBB8_84
; %bb.83:
	v_mov_b32_e32 v21, 0
	v_lshl_add_u32 v20, v20, 3, v21
	buffer_load_dword v21, v20, s[0:3], 0 offen offset:4
	buffer_load_dword v22, v20, s[0:3], 0 offen
	s_waitcnt vmcnt(1)
	buffer_store_dword v21, off, s[0:3], 0 offset:4
	s_waitcnt vmcnt(1)
	buffer_store_dword v22, off, s[0:3], 0
	buffer_store_dword v1, v20, s[0:3], 0 offen offset:4
	buffer_store_dword v0, v20, s[0:3], 0 offen
	buffer_load_dword v0, off, s[0:3], 0
	s_nop 0
	buffer_load_dword v1, off, s[0:3], 0 offset:4
.LBB8_84:
	s_or_b64 exec, exec, s[4:5]
.LBB8_85:
	buffer_load_dword v20, off, s[0:3], 0 offset:8
	buffer_load_dword v21, off, s[0:3], 0 offset:12
	;; [unrolled: 1-line block ×16, first 2 shown]
	s_waitcnt vmcnt(16)
	global_store_dwordx2 v[2:3], v[0:1], off
	s_waitcnt vmcnt(15)
	global_store_dwordx2 v[4:5], v[20:21], off
	s_waitcnt vmcnt(14)
	global_store_dwordx2 v[6:7], v[22:23], off
	s_waitcnt vmcnt(13)
	global_store_dwordx2 v[8:9], v[24:25], off
	s_waitcnt vmcnt(12)
	global_store_dwordx2 v[10:11], v[26:27], off
	s_waitcnt vmcnt(11)
	global_store_dwordx2 v[12:13], v[28:29], off
	s_waitcnt vmcnt(10)
	global_store_dwordx2 v[14:15], v[30:31], off
	s_waitcnt vmcnt(9)
	global_store_dwordx2 v[16:17], v[32:33], off
	s_waitcnt vmcnt(8)
	global_store_dwordx2 v[18:19], v[34:35], off
	s_endpgm
	.section	.rodata,"a",@progbits
	.p2align	6, 0x0
	.amdhsa_kernel _ZN9rocsolver6v33100L18getri_kernel_smallILi9E19rocblas_complex_numIfEPS3_EEvT1_iilPiilS6_bb
		.amdhsa_group_segment_fixed_size 152
		.amdhsa_private_segment_fixed_size 80
		.amdhsa_kernarg_size 60
		.amdhsa_user_sgpr_count 8
		.amdhsa_user_sgpr_private_segment_buffer 1
		.amdhsa_user_sgpr_dispatch_ptr 0
		.amdhsa_user_sgpr_queue_ptr 0
		.amdhsa_user_sgpr_kernarg_segment_ptr 1
		.amdhsa_user_sgpr_dispatch_id 0
		.amdhsa_user_sgpr_flat_scratch_init 1
		.amdhsa_user_sgpr_kernarg_preload_length 0
		.amdhsa_user_sgpr_kernarg_preload_offset 0
		.amdhsa_user_sgpr_private_segment_size 0
		.amdhsa_uses_dynamic_stack 0
		.amdhsa_system_sgpr_private_segment_wavefront_offset 1
		.amdhsa_system_sgpr_workgroup_id_x 1
		.amdhsa_system_sgpr_workgroup_id_y 0
		.amdhsa_system_sgpr_workgroup_id_z 0
		.amdhsa_system_sgpr_workgroup_info 0
		.amdhsa_system_vgpr_workitem_id 0
		.amdhsa_next_free_vgpr 60
		.amdhsa_next_free_sgpr 23
		.amdhsa_accum_offset 60
		.amdhsa_reserve_vcc 1
		.amdhsa_reserve_flat_scratch 1
		.amdhsa_float_round_mode_32 0
		.amdhsa_float_round_mode_16_64 0
		.amdhsa_float_denorm_mode_32 3
		.amdhsa_float_denorm_mode_16_64 3
		.amdhsa_dx10_clamp 1
		.amdhsa_ieee_mode 1
		.amdhsa_fp16_overflow 0
		.amdhsa_tg_split 0
		.amdhsa_exception_fp_ieee_invalid_op 0
		.amdhsa_exception_fp_denorm_src 0
		.amdhsa_exception_fp_ieee_div_zero 0
		.amdhsa_exception_fp_ieee_overflow 0
		.amdhsa_exception_fp_ieee_underflow 0
		.amdhsa_exception_fp_ieee_inexact 0
		.amdhsa_exception_int_div_zero 0
	.end_amdhsa_kernel
	.section	.text._ZN9rocsolver6v33100L18getri_kernel_smallILi9E19rocblas_complex_numIfEPS3_EEvT1_iilPiilS6_bb,"axG",@progbits,_ZN9rocsolver6v33100L18getri_kernel_smallILi9E19rocblas_complex_numIfEPS3_EEvT1_iilPiilS6_bb,comdat
.Lfunc_end8:
	.size	_ZN9rocsolver6v33100L18getri_kernel_smallILi9E19rocblas_complex_numIfEPS3_EEvT1_iilPiilS6_bb, .Lfunc_end8-_ZN9rocsolver6v33100L18getri_kernel_smallILi9E19rocblas_complex_numIfEPS3_EEvT1_iilPiilS6_bb
                                        ; -- End function
	.section	.AMDGPU.csdata,"",@progbits
; Kernel info:
; codeLenInByte = 7956
; NumSgprs: 29
; NumVgprs: 60
; NumAgprs: 0
; TotalNumVgprs: 60
; ScratchSize: 80
; MemoryBound: 0
; FloatMode: 240
; IeeeMode: 1
; LDSByteSize: 152 bytes/workgroup (compile time only)
; SGPRBlocks: 3
; VGPRBlocks: 7
; NumSGPRsForWavesPerEU: 29
; NumVGPRsForWavesPerEU: 60
; AccumOffset: 60
; Occupancy: 8
; WaveLimiterHint : 0
; COMPUTE_PGM_RSRC2:SCRATCH_EN: 1
; COMPUTE_PGM_RSRC2:USER_SGPR: 8
; COMPUTE_PGM_RSRC2:TRAP_HANDLER: 0
; COMPUTE_PGM_RSRC2:TGID_X_EN: 1
; COMPUTE_PGM_RSRC2:TGID_Y_EN: 0
; COMPUTE_PGM_RSRC2:TGID_Z_EN: 0
; COMPUTE_PGM_RSRC2:TIDIG_COMP_CNT: 0
; COMPUTE_PGM_RSRC3_GFX90A:ACCUM_OFFSET: 14
; COMPUTE_PGM_RSRC3_GFX90A:TG_SPLIT: 0
	.section	.text._ZN9rocsolver6v33100L18getri_kernel_smallILi10E19rocblas_complex_numIfEPS3_EEvT1_iilPiilS6_bb,"axG",@progbits,_ZN9rocsolver6v33100L18getri_kernel_smallILi10E19rocblas_complex_numIfEPS3_EEvT1_iilPiilS6_bb,comdat
	.globl	_ZN9rocsolver6v33100L18getri_kernel_smallILi10E19rocblas_complex_numIfEPS3_EEvT1_iilPiilS6_bb ; -- Begin function _ZN9rocsolver6v33100L18getri_kernel_smallILi10E19rocblas_complex_numIfEPS3_EEvT1_iilPiilS6_bb
	.p2align	8
	.type	_ZN9rocsolver6v33100L18getri_kernel_smallILi10E19rocblas_complex_numIfEPS3_EEvT1_iilPiilS6_bb,@function
_ZN9rocsolver6v33100L18getri_kernel_smallILi10E19rocblas_complex_numIfEPS3_EEvT1_iilPiilS6_bb: ; @_ZN9rocsolver6v33100L18getri_kernel_smallILi10E19rocblas_complex_numIfEPS3_EEvT1_iilPiilS6_bb
; %bb.0:
	s_add_u32 flat_scratch_lo, s6, s9
	s_addc_u32 flat_scratch_hi, s7, 0
	s_add_u32 s0, s0, s9
	s_addc_u32 s1, s1, 0
	v_cmp_gt_u32_e32 vcc, 10, v0
	s_and_saveexec_b64 s[6:7], vcc
	s_cbranch_execz .LBB9_54
; %bb.1:
	s_load_dword s22, s[4:5], 0x38
	s_load_dwordx4 s[16:19], s[4:5], 0x10
	s_load_dwordx4 s[12:15], s[4:5], 0x28
                                        ; implicit-def: $sgpr10_sgpr11
	s_waitcnt lgkmcnt(0)
	s_bitcmp1_b32 s22, 8
	s_cselect_b64 s[20:21], -1, 0
	s_ashr_i32 s9, s8, 31
	s_bfe_u32 s6, s22, 0x10008
	s_cmp_eq_u32 s6, 0
	s_cbranch_scc1 .LBB9_3
; %bb.2:
	s_load_dword s6, s[4:5], 0x20
	s_mul_i32 s7, s8, s13
	s_mul_hi_u32 s10, s8, s12
	s_mul_i32 s11, s9, s12
	s_add_i32 s10, s10, s7
	s_add_i32 s11, s10, s11
	s_mul_i32 s10, s8, s12
	s_waitcnt lgkmcnt(0)
	s_ashr_i32 s7, s6, 31
	s_lshl_b64 s[10:11], s[10:11], 2
	s_add_u32 s10, s18, s10
	s_addc_u32 s11, s19, s11
	s_lshl_b64 s[6:7], s[6:7], 2
	s_add_u32 s10, s10, s6
	s_addc_u32 s11, s11, s7
.LBB9_3:
	s_load_dwordx4 s[4:7], s[4:5], 0x0
	s_mul_i32 s12, s8, s17
	s_mul_hi_u32 s13, s8, s16
	s_add_i32 s17, s13, s12
	v_lshlrev_b32_e32 v26, 3, v0
	s_waitcnt lgkmcnt(0)
	s_ashr_i32 s13, s6, 31
	s_mov_b32 s12, s6
	s_mul_i32 s6, s9, s16
	s_add_i32 s17, s17, s6
	s_mul_i32 s16, s8, s16
	s_lshl_b64 s[16:17], s[16:17], 3
	s_add_u32 s6, s4, s16
	s_addc_u32 s16, s5, s17
	s_lshl_b64 s[4:5], s[12:13], 3
	s_add_u32 s4, s6, s4
	s_addc_u32 s5, s16, s5
	v_mov_b32_e32 v1, s5
	v_add_co_u32_e32 v2, vcc, s4, v26
	s_ashr_i32 s13, s7, 31
	s_mov_b32 s12, s7
	s_add_i32 s6, s7, s7
	v_addc_co_u32_e32 v3, vcc, 0, v1, vcc
	s_lshl_b64 s[12:13], s[12:13], 3
	v_add_u32_e32 v8, s6, v0
	v_mov_b32_e32 v1, s13
	v_add_co_u32_e32 v4, vcc, s12, v2
	v_ashrrev_i32_e32 v9, 31, v8
	v_addc_co_u32_e32 v5, vcc, v3, v1, vcc
	v_lshlrev_b64 v[6:7], 3, v[8:9]
	v_add_u32_e32 v10, s7, v8
	v_mov_b32_e32 v1, s5
	v_add_co_u32_e32 v6, vcc, s4, v6
	v_ashrrev_i32_e32 v11, 31, v10
	v_addc_co_u32_e32 v7, vcc, v1, v7, vcc
	v_lshlrev_b64 v[8:9], 3, v[10:11]
	v_add_u32_e32 v12, s7, v10
	v_add_co_u32_e32 v8, vcc, s4, v8
	v_ashrrev_i32_e32 v13, 31, v12
	v_addc_co_u32_e32 v9, vcc, v1, v9, vcc
	v_lshlrev_b64 v[10:11], 3, v[12:13]
	v_add_u32_e32 v14, s7, v12
	;; [unrolled: 5-line block ×5, first 2 shown]
	v_add_co_u32_e32 v16, vcc, s4, v16
	v_ashrrev_i32_e32 v21, 31, v20
	v_addc_co_u32_e32 v17, vcc, v1, v17, vcc
	v_lshlrev_b64 v[18:19], 3, v[20:21]
	v_add_co_u32_e32 v18, vcc, s4, v18
	global_load_dwordx2 v[22:23], v26, s[4:5]
	global_load_dwordx2 v[24:25], v[4:5], off
	global_load_dwordx2 v[28:29], v[6:7], off
	;; [unrolled: 1-line block ×4, first 2 shown]
	v_addc_co_u32_e32 v19, vcc, v1, v19, vcc
	global_load_dwordx2 v[34:35], v[12:13], off
	global_load_dwordx2 v[36:37], v[14:15], off
	global_load_dwordx2 v[38:39], v[16:17], off
	global_load_dwordx2 v[40:41], v[18:19], off
	v_add_u32_e32 v20, s7, v20
	v_ashrrev_i32_e32 v21, 31, v20
	v_lshlrev_b64 v[20:21], 3, v[20:21]
	v_add_co_u32_e32 v20, vcc, s4, v20
	v_addc_co_u32_e32 v21, vcc, v1, v21, vcc
	global_load_dwordx2 v[42:43], v[20:21], off
	s_bitcmp0_b32 s22, 0
	s_mov_b64 s[6:7], -1
	s_waitcnt vmcnt(9)
	buffer_store_dword v23, off, s[0:3], 0 offset:4
	buffer_store_dword v22, off, s[0:3], 0
	s_waitcnt vmcnt(10)
	buffer_store_dword v25, off, s[0:3], 0 offset:12
	buffer_store_dword v24, off, s[0:3], 0 offset:8
	s_waitcnt vmcnt(11)
	buffer_store_dword v29, off, s[0:3], 0 offset:20
	buffer_store_dword v28, off, s[0:3], 0 offset:16
	;; [unrolled: 3-line block ×9, first 2 shown]
	s_cbranch_scc1 .LBB9_52
; %bb.4:
	v_cmp_eq_u32_e64 s[4:5], 0, v0
	s_and_saveexec_b64 s[6:7], s[4:5]
	s_cbranch_execz .LBB9_6
; %bb.5:
	v_mov_b32_e32 v1, 0
	ds_write_b32 v1, v1 offset:160
.LBB9_6:
	s_or_b64 exec, exec, s[6:7]
	v_mov_b32_e32 v1, 0
	v_lshl_add_u32 v27, v0, 3, v1
	s_waitcnt lgkmcnt(0)
	; wave barrier
	s_waitcnt lgkmcnt(0)
	buffer_load_dword v1, v27, s[0:3], 0 offen
	buffer_load_dword v22, v27, s[0:3], 0 offen offset:4
	s_waitcnt vmcnt(1)
	v_cmp_eq_f32_e32 vcc, 0, v1
	s_waitcnt vmcnt(0)
	v_cmp_eq_f32_e64 s[6:7], 0, v22
	s_and_b64 s[6:7], vcc, s[6:7]
	s_and_saveexec_b64 s[12:13], s[6:7]
	s_cbranch_execz .LBB9_10
; %bb.7:
	v_mov_b32_e32 v1, 0
	ds_read_b32 v23, v1 offset:160
	v_add_u32_e32 v22, 1, v0
	s_waitcnt lgkmcnt(0)
	v_readfirstlane_b32 s6, v23
	s_cmp_eq_u32 s6, 0
	s_cselect_b64 s[16:17], -1, 0
	v_cmp_gt_i32_e32 vcc, s6, v22
	s_or_b64 s[16:17], s[16:17], vcc
	s_and_b64 exec, exec, s[16:17]
	s_cbranch_execz .LBB9_10
; %bb.8:
	s_mov_b64 s[16:17], 0
	v_mov_b32_e32 v23, s6
.LBB9_9:                                ; =>This Inner Loop Header: Depth=1
	ds_cmpst_rtn_b32 v23, v1, v23, v22 offset:160
	s_waitcnt lgkmcnt(0)
	v_cmp_ne_u32_e32 vcc, 0, v23
	v_cmp_le_i32_e64 s[6:7], v23, v22
	s_and_b64 s[6:7], vcc, s[6:7]
	s_and_b64 s[6:7], exec, s[6:7]
	s_or_b64 s[16:17], s[6:7], s[16:17]
	s_andn2_b64 exec, exec, s[16:17]
	s_cbranch_execnz .LBB9_9
.LBB9_10:
	s_or_b64 exec, exec, s[12:13]
	v_mov_b32_e32 v22, 0
	s_waitcnt lgkmcnt(0)
	; wave barrier
	ds_read_b32 v1, v22 offset:160
	s_and_saveexec_b64 s[6:7], s[4:5]
	s_cbranch_execz .LBB9_12
; %bb.11:
	s_lshl_b64 s[12:13], s[8:9], 2
	s_add_u32 s12, s14, s12
	s_addc_u32 s13, s15, s13
	s_waitcnt lgkmcnt(0)
	global_store_dword v22, v1, s[12:13]
.LBB9_12:
	s_or_b64 exec, exec, s[6:7]
	s_waitcnt lgkmcnt(0)
	v_cmp_ne_u32_e32 vcc, 0, v1
	s_mov_b64 s[6:7], 0
	s_cbranch_vccnz .LBB9_52
; %bb.13:
	buffer_load_dword v28, v27, s[0:3], 0 offen offset:4
	buffer_load_dword v23, v27, s[0:3], 0 offen
	s_waitcnt vmcnt(1)
	v_cmp_gt_f32_e32 vcc, 0, v28
	v_cndmask_b32_e64 v1, v28, -v28, vcc
	s_waitcnt vmcnt(0)
	v_cmp_gt_f32_e32 vcc, 0, v23
	v_cndmask_b32_e64 v22, v23, -v23, vcc
	v_cmp_ngt_f32_e32 vcc, v22, v1
                                        ; implicit-def: $vgpr1
                                        ; implicit-def: $vgpr22
	s_and_saveexec_b64 s[6:7], vcc
	s_xor_b64 s[6:7], exec, s[6:7]
                                        ; implicit-def: $vgpr24_vgpr25
	s_cbranch_execz .LBB9_15
; %bb.14:
	v_div_scale_f32 v1, s[12:13], v28, v28, v23
	v_rcp_f32_e32 v22, v1
	v_div_scale_f32 v24, vcc, v23, v28, v23
	v_fma_f32 v25, -v1, v22, 1.0
	v_fmac_f32_e32 v22, v25, v22
	v_mul_f32_e32 v25, v24, v22
	v_fma_f32 v29, -v1, v25, v24
	v_fmac_f32_e32 v25, v29, v22
	v_fma_f32 v1, -v1, v25, v24
	v_div_fmas_f32 v1, v1, v22, v25
	v_div_fixup_f32 v22, v1, v28, v23
	v_fmac_f32_e32 v28, v23, v22
	v_div_scale_f32 v1, s[12:13], v28, v28, -1.0
	v_rcp_f32_e32 v23, v1
	v_fma_f32 v24, -v1, v23, 1.0
	v_fmac_f32_e32 v23, v24, v23
	v_div_scale_f32 v24, vcc, -1.0, v28, -1.0
	v_mul_f32_e32 v25, v24, v23
	v_fma_f32 v29, -v1, v25, v24
	v_fmac_f32_e32 v25, v29, v23
	v_fma_f32 v1, -v1, v25, v24
	v_div_fmas_f32 v1, v1, v23, v25
	v_div_fixup_f32 v1, v1, v28, -1.0
	v_mul_f32_e32 v22, v22, v1
	v_xor_b32_e32 v24, 0x80000000, v22
                                        ; implicit-def: $vgpr23
                                        ; implicit-def: $vgpr28
.LBB9_15:
	s_andn2_saveexec_b64 s[6:7], s[6:7]
	s_cbranch_execz .LBB9_17
; %bb.16:
	v_div_scale_f32 v1, s[12:13], v23, v23, v28
	v_rcp_f32_e32 v22, v1
	v_div_scale_f32 v24, vcc, v28, v23, v28
	v_fma_f32 v25, -v1, v22, 1.0
	v_fmac_f32_e32 v22, v25, v22
	v_mul_f32_e32 v25, v24, v22
	v_fma_f32 v29, -v1, v25, v24
	v_fmac_f32_e32 v25, v29, v22
	v_fma_f32 v1, -v1, v25, v24
	v_div_fmas_f32 v1, v1, v22, v25
	v_div_fixup_f32 v1, v1, v23, v28
	v_fmac_f32_e32 v23, v28, v1
	v_div_scale_f32 v22, s[12:13], v23, v23, 1.0
	v_rcp_f32_e32 v24, v22
	v_fma_f32 v25, -v22, v24, 1.0
	v_fmac_f32_e32 v24, v25, v24
	v_div_scale_f32 v25, vcc, 1.0, v23, 1.0
	v_mul_f32_e32 v28, v25, v24
	v_fma_f32 v29, -v22, v28, v25
	v_fmac_f32_e32 v28, v29, v24
	v_fma_f32 v22, -v22, v28, v25
	v_div_fmas_f32 v22, v22, v24, v28
	v_div_fixup_f32 v24, v22, v23, 1.0
	v_xor_b32_e32 v22, 0x80000000, v24
	v_mul_f32_e64 v1, v1, -v24
.LBB9_17:
	s_or_b64 exec, exec, s[6:7]
	buffer_store_dword v1, v27, s[0:3], 0 offen offset:4
	buffer_store_dword v24, v27, s[0:3], 0 offen
	buffer_load_dword v25, off, s[0:3], 0 offset:12
	s_nop 0
	buffer_load_dword v24, off, s[0:3], 0 offset:8
	v_xor_b32_e32 v23, 0x80000000, v1
	v_add_u32_e32 v1, 0x50, v26
	s_waitcnt vmcnt(0)
	ds_write2_b64 v26, v[22:23], v[24:25] offset1:10
	s_waitcnt lgkmcnt(0)
	; wave barrier
	s_waitcnt lgkmcnt(0)
	s_and_saveexec_b64 s[6:7], s[4:5]
	s_cbranch_execz .LBB9_19
; %bb.18:
	buffer_load_dword v28, v27, s[0:3], 0 offen offset:4
	buffer_load_dword v29, v27, s[0:3], 0 offen
	ds_read_b64 v[22:23], v1
	v_mov_b32_e32 v24, 0
	ds_read_b64 v[24:25], v24 offset:8
	s_waitcnt vmcnt(1) lgkmcnt(1)
	v_mul_f32_e32 v30, v23, v28
	v_mul_f32_e32 v28, v22, v28
	s_waitcnt vmcnt(0)
	v_fmac_f32_e32 v28, v23, v29
	v_fma_f32 v22, v22, v29, -v30
	v_add_f32_e32 v23, 0, v28
	v_add_f32_e32 v22, 0, v22
	s_waitcnt lgkmcnt(0)
	v_mul_f32_e32 v28, v23, v25
	v_mul_f32_e32 v25, v22, v25
	v_fma_f32 v22, v22, v24, -v28
	v_fmac_f32_e32 v25, v23, v24
	buffer_store_dword v22, off, s[0:3], 0 offset:8
	buffer_store_dword v25, off, s[0:3], 0 offset:12
.LBB9_19:
	s_or_b64 exec, exec, s[6:7]
	s_waitcnt lgkmcnt(0)
	; wave barrier
	buffer_load_dword v22, off, s[0:3], 0 offset:16
	buffer_load_dword v23, off, s[0:3], 0 offset:20
	v_cmp_gt_u32_e32 vcc, 2, v0
	s_waitcnt vmcnt(0)
	ds_write_b64 v1, v[22:23]
	s_waitcnt lgkmcnt(0)
	; wave barrier
	s_waitcnt lgkmcnt(0)
	s_and_saveexec_b64 s[6:7], vcc
	s_cbranch_execz .LBB9_23
; %bb.20:
	buffer_load_dword v24, v27, s[0:3], 0 offen offset:4
	buffer_load_dword v25, v27, s[0:3], 0 offen
	ds_read_b64 v[22:23], v1
	s_waitcnt vmcnt(1) lgkmcnt(0)
	v_mul_f32_e32 v27, v23, v24
	v_mul_f32_e32 v24, v22, v24
	s_waitcnt vmcnt(0)
	v_fma_f32 v22, v22, v25, -v27
	v_fmac_f32_e32 v24, v23, v25
	v_add_f32_e32 v23, 0, v22
	v_add_f32_e32 v22, 0, v24
	s_and_saveexec_b64 s[12:13], s[4:5]
	s_cbranch_execz .LBB9_22
; %bb.21:
	buffer_load_dword v27, off, s[0:3], 0 offset:12
	buffer_load_dword v28, off, s[0:3], 0 offset:8
	v_mov_b32_e32 v24, 0
	ds_read_b64 v[24:25], v24 offset:88
	s_waitcnt vmcnt(1) lgkmcnt(0)
	v_mul_f32_e32 v29, v24, v27
	v_mul_f32_e32 v27, v25, v27
	s_waitcnt vmcnt(0)
	v_fmac_f32_e32 v29, v25, v28
	v_fma_f32 v24, v24, v28, -v27
	v_add_f32_e32 v22, v22, v29
	v_add_f32_e32 v23, v23, v24
.LBB9_22:
	s_or_b64 exec, exec, s[12:13]
	v_mov_b32_e32 v24, 0
	ds_read_b64 v[24:25], v24 offset:16
	s_waitcnt lgkmcnt(0)
	v_mul_f32_e32 v27, v22, v25
	v_mul_f32_e32 v25, v23, v25
	v_fma_f32 v23, v23, v24, -v27
	v_fmac_f32_e32 v25, v22, v24
	buffer_store_dword v23, off, s[0:3], 0 offset:16
	buffer_store_dword v25, off, s[0:3], 0 offset:20
.LBB9_23:
	s_or_b64 exec, exec, s[6:7]
	s_waitcnt lgkmcnt(0)
	; wave barrier
	buffer_load_dword v22, off, s[0:3], 0 offset:24
	buffer_load_dword v23, off, s[0:3], 0 offset:28
	v_cmp_gt_u32_e32 vcc, 3, v0
	s_waitcnt vmcnt(0)
	ds_write_b64 v1, v[22:23]
	v_add_u32_e32 v22, -1, v0
	s_waitcnt lgkmcnt(0)
	; wave barrier
	s_waitcnt lgkmcnt(0)
	s_and_saveexec_b64 s[4:5], vcc
	s_cbranch_execz .LBB9_27
; %bb.24:
	v_add_u32_e32 v24, -1, v0
	v_add_u32_e32 v25, 0x50, v26
	v_add_u32_e32 v27, 0, v26
	s_mov_b64 s[6:7], 0
	v_mov_b32_e32 v23, 0
	v_mov_b32_e32 v28, 0
.LBB9_25:                               ; =>This Inner Loop Header: Depth=1
	buffer_load_dword v29, v27, s[0:3], 0 offen offset:4
	buffer_load_dword v32, v27, s[0:3], 0 offen
	ds_read_b64 v[30:31], v25
	v_add_u32_e32 v24, 1, v24
	v_cmp_lt_u32_e32 vcc, 1, v24
	v_add_u32_e32 v25, 8, v25
	v_add_u32_e32 v27, 8, v27
	s_or_b64 s[6:7], vcc, s[6:7]
	s_waitcnt vmcnt(1) lgkmcnt(0)
	v_mul_f32_e32 v33, v31, v29
	v_mul_f32_e32 v29, v30, v29
	s_waitcnt vmcnt(0)
	v_fma_f32 v30, v30, v32, -v33
	v_fmac_f32_e32 v29, v31, v32
	v_add_f32_e32 v28, v28, v30
	v_add_f32_e32 v23, v23, v29
	s_andn2_b64 exec, exec, s[6:7]
	s_cbranch_execnz .LBB9_25
; %bb.26:
	s_or_b64 exec, exec, s[6:7]
	v_mov_b32_e32 v24, 0
	ds_read_b64 v[24:25], v24 offset:24
	s_waitcnt lgkmcnt(0)
	v_mul_f32_e32 v27, v23, v25
	v_mul_f32_e32 v25, v28, v25
	v_fma_f32 v27, v28, v24, -v27
	v_fmac_f32_e32 v25, v23, v24
	buffer_store_dword v27, off, s[0:3], 0 offset:24
	buffer_store_dword v25, off, s[0:3], 0 offset:28
.LBB9_27:
	s_or_b64 exec, exec, s[4:5]
	s_waitcnt lgkmcnt(0)
	; wave barrier
	buffer_load_dword v24, off, s[0:3], 0 offset:32
	buffer_load_dword v25, off, s[0:3], 0 offset:36
	v_cmp_gt_u32_e32 vcc, 4, v0
	s_waitcnt vmcnt(0)
	ds_write_b64 v1, v[24:25]
	s_waitcnt lgkmcnt(0)
	; wave barrier
	s_waitcnt lgkmcnt(0)
	s_and_saveexec_b64 s[4:5], vcc
	s_cbranch_execz .LBB9_31
; %bb.28:
	v_add_u32_e32 v24, -1, v0
	v_add_u32_e32 v25, 0x50, v26
	v_add_u32_e32 v27, 0, v26
	s_mov_b64 s[6:7], 0
	v_mov_b32_e32 v23, 0
	v_mov_b32_e32 v28, 0
.LBB9_29:                               ; =>This Inner Loop Header: Depth=1
	buffer_load_dword v29, v27, s[0:3], 0 offen offset:4
	buffer_load_dword v32, v27, s[0:3], 0 offen
	ds_read_b64 v[30:31], v25
	v_add_u32_e32 v24, 1, v24
	v_cmp_lt_u32_e32 vcc, 2, v24
	v_add_u32_e32 v25, 8, v25
	v_add_u32_e32 v27, 8, v27
	s_or_b64 s[6:7], vcc, s[6:7]
	s_waitcnt vmcnt(1) lgkmcnt(0)
	v_mul_f32_e32 v33, v31, v29
	v_mul_f32_e32 v29, v30, v29
	s_waitcnt vmcnt(0)
	v_fma_f32 v30, v30, v32, -v33
	v_fmac_f32_e32 v29, v31, v32
	v_add_f32_e32 v28, v28, v30
	v_add_f32_e32 v23, v23, v29
	s_andn2_b64 exec, exec, s[6:7]
	s_cbranch_execnz .LBB9_29
; %bb.30:
	s_or_b64 exec, exec, s[6:7]
	v_mov_b32_e32 v24, 0
	ds_read_b64 v[24:25], v24 offset:32
	s_waitcnt lgkmcnt(0)
	v_mul_f32_e32 v27, v23, v25
	v_mul_f32_e32 v25, v28, v25
	v_fma_f32 v27, v28, v24, -v27
	v_fmac_f32_e32 v25, v23, v24
	buffer_store_dword v27, off, s[0:3], 0 offset:32
	buffer_store_dword v25, off, s[0:3], 0 offset:36
.LBB9_31:
	s_or_b64 exec, exec, s[4:5]
	s_waitcnt lgkmcnt(0)
	; wave barrier
	buffer_load_dword v24, off, s[0:3], 0 offset:40
	buffer_load_dword v25, off, s[0:3], 0 offset:44
	v_cmp_gt_u32_e32 vcc, 5, v0
	s_waitcnt vmcnt(0)
	ds_write_b64 v1, v[24:25]
	;; [unrolled: 51-line block ×5, first 2 shown]
	s_waitcnt lgkmcnt(0)
	; wave barrier
	s_waitcnt lgkmcnt(0)
	s_and_saveexec_b64 s[4:5], vcc
	s_cbranch_execz .LBB9_47
; %bb.44:
	v_add_u32_e32 v24, -1, v0
	v_add_u32_e32 v25, 0x50, v26
	v_add_u32_e32 v27, 0, v26
	s_mov_b64 s[6:7], 0
	v_mov_b32_e32 v23, 0
	v_mov_b32_e32 v28, 0
.LBB9_45:                               ; =>This Inner Loop Header: Depth=1
	buffer_load_dword v29, v27, s[0:3], 0 offen offset:4
	buffer_load_dword v32, v27, s[0:3], 0 offen
	ds_read_b64 v[30:31], v25
	v_add_u32_e32 v24, 1, v24
	v_cmp_lt_u32_e32 vcc, 6, v24
	v_add_u32_e32 v25, 8, v25
	v_add_u32_e32 v27, 8, v27
	s_or_b64 s[6:7], vcc, s[6:7]
	s_waitcnt vmcnt(1) lgkmcnt(0)
	v_mul_f32_e32 v33, v31, v29
	v_mul_f32_e32 v29, v30, v29
	s_waitcnt vmcnt(0)
	v_fma_f32 v30, v30, v32, -v33
	v_fmac_f32_e32 v29, v31, v32
	v_add_f32_e32 v28, v28, v30
	v_add_f32_e32 v23, v23, v29
	s_andn2_b64 exec, exec, s[6:7]
	s_cbranch_execnz .LBB9_45
; %bb.46:
	s_or_b64 exec, exec, s[6:7]
	v_mov_b32_e32 v24, 0
	ds_read_b64 v[24:25], v24 offset:64
	s_waitcnt lgkmcnt(0)
	v_mul_f32_e32 v27, v23, v25
	v_mul_f32_e32 v25, v28, v25
	v_fma_f32 v27, v28, v24, -v27
	v_fmac_f32_e32 v25, v23, v24
	buffer_store_dword v27, off, s[0:3], 0 offset:64
	buffer_store_dword v25, off, s[0:3], 0 offset:68
.LBB9_47:
	s_or_b64 exec, exec, s[4:5]
	s_waitcnt lgkmcnt(0)
	; wave barrier
	buffer_load_dword v24, off, s[0:3], 0 offset:72
	buffer_load_dword v25, off, s[0:3], 0 offset:76
	v_cmp_ne_u32_e32 vcc, 9, v0
	s_waitcnt vmcnt(0)
	ds_write_b64 v1, v[24:25]
	s_waitcnt lgkmcnt(0)
	; wave barrier
	s_waitcnt lgkmcnt(0)
	s_and_saveexec_b64 s[4:5], vcc
	s_cbranch_execz .LBB9_51
; %bb.48:
	v_add_u32_e32 v23, 0x50, v26
	v_add_u32_e32 v24, 0, v26
	s_mov_b64 s[6:7], 0
	v_mov_b32_e32 v1, 0
	v_mov_b32_e32 v25, 0
.LBB9_49:                               ; =>This Inner Loop Header: Depth=1
	buffer_load_dword v28, v24, s[0:3], 0 offen offset:4
	buffer_load_dword v29, v24, s[0:3], 0 offen
	ds_read_b64 v[26:27], v23
	v_add_u32_e32 v22, 1, v22
	v_cmp_lt_u32_e32 vcc, 7, v22
	v_add_u32_e32 v23, 8, v23
	v_add_u32_e32 v24, 8, v24
	s_or_b64 s[6:7], vcc, s[6:7]
	s_waitcnt vmcnt(1) lgkmcnt(0)
	v_mul_f32_e32 v30, v27, v28
	v_mul_f32_e32 v28, v26, v28
	s_waitcnt vmcnt(0)
	v_fma_f32 v26, v26, v29, -v30
	v_fmac_f32_e32 v28, v27, v29
	v_add_f32_e32 v25, v25, v26
	v_add_f32_e32 v1, v1, v28
	s_andn2_b64 exec, exec, s[6:7]
	s_cbranch_execnz .LBB9_49
; %bb.50:
	s_or_b64 exec, exec, s[6:7]
	v_mov_b32_e32 v22, 0
	ds_read_b64 v[22:23], v22 offset:72
	s_waitcnt lgkmcnt(0)
	v_mul_f32_e32 v24, v1, v23
	v_mul_f32_e32 v23, v25, v23
	v_fma_f32 v24, v25, v22, -v24
	v_fmac_f32_e32 v23, v1, v22
	buffer_store_dword v24, off, s[0:3], 0 offset:72
	buffer_store_dword v23, off, s[0:3], 0 offset:76
.LBB9_51:
	s_or_b64 exec, exec, s[4:5]
	s_mov_b64 s[6:7], -1
	s_waitcnt lgkmcnt(0)
	; wave barrier
.LBB9_52:
	s_and_b64 vcc, exec, s[6:7]
	s_cbranch_vccz .LBB9_54
; %bb.53:
	s_lshl_b64 s[4:5], s[8:9], 2
	s_add_u32 s4, s14, s4
	s_addc_u32 s5, s15, s5
	v_mov_b32_e32 v1, 0
	global_load_dword v1, v1, s[4:5]
	s_waitcnt vmcnt(0)
	v_cmp_ne_u32_e32 vcc, 0, v1
	s_cbranch_vccz .LBB9_55
.LBB9_54:
	s_endpgm
.LBB9_55:
	v_mov_b32_e32 v1, 0x50
	v_lshl_add_u32 v1, v0, 3, v1
	v_cmp_eq_u32_e32 vcc, 9, v0
	s_and_saveexec_b64 s[4:5], vcc
	s_cbranch_execz .LBB9_57
; %bb.56:
	buffer_load_dword v22, off, s[0:3], 0 offset:64
	buffer_load_dword v23, off, s[0:3], 0 offset:68
	v_mov_b32_e32 v24, 0
	buffer_store_dword v24, off, s[0:3], 0 offset:64
	buffer_store_dword v24, off, s[0:3], 0 offset:68
	s_waitcnt vmcnt(2)
	ds_write_b64 v1, v[22:23]
.LBB9_57:
	s_or_b64 exec, exec, s[4:5]
	s_waitcnt lgkmcnt(0)
	; wave barrier
	s_waitcnt lgkmcnt(0)
	buffer_load_dword v25, off, s[0:3], 0 offset:76
	buffer_load_dword v24, off, s[0:3], 0 offset:72
	;; [unrolled: 1-line block ×4, first 2 shown]
	v_mov_b32_e32 v22, 0
	ds_read_b64 v[28:29], v22 offset:152
	v_cmp_lt_u32_e32 vcc, 7, v0
	s_waitcnt vmcnt(3)
	v_mov_b32_e32 v30, v25
	s_waitcnt lgkmcnt(0)
	v_pk_mul_f32 v[30:31], v[28:29], v[30:31] op_sel_hi:[1,0]
	s_waitcnt vmcnt(2)
	v_pk_fma_f32 v[32:33], v[28:29], v[24:25], v[30:31] op_sel:[0,0,1] op_sel_hi:[1,1,0] neg_lo:[0,0,1] neg_hi:[0,0,1]
	v_pk_fma_f32 v[24:25], v[28:29], v[24:25], v[30:31] op_sel:[0,0,1] op_sel_hi:[1,0,0]
	v_mov_b32_e32 v33, v25
	v_pk_add_f32 v[24:25], v[32:33], 0 op_sel_hi:[1,0]
	s_waitcnt vmcnt(0)
	v_pk_add_f32 v[24:25], v[26:27], v[24:25] neg_lo:[0,1] neg_hi:[0,1]
	buffer_store_dword v24, off, s[0:3], 0 offset:64
	buffer_store_dword v25, off, s[0:3], 0 offset:68
	s_and_saveexec_b64 s[4:5], vcc
	s_cbranch_execz .LBB9_59
; %bb.58:
	buffer_load_dword v24, off, s[0:3], 0 offset:56
	buffer_load_dword v25, off, s[0:3], 0 offset:60
	s_waitcnt vmcnt(0)
	ds_write_b64 v1, v[24:25]
	buffer_store_dword v22, off, s[0:3], 0 offset:56
	buffer_store_dword v22, off, s[0:3], 0 offset:60
.LBB9_59:
	s_or_b64 exec, exec, s[4:5]
	s_waitcnt lgkmcnt(0)
	; wave barrier
	s_waitcnt lgkmcnt(0)
	buffer_load_dword v27, off, s[0:3], 0 offset:68
	buffer_load_dword v29, off, s[0:3], 0 offset:76
	buffer_load_dword v26, off, s[0:3], 0 offset:64
	buffer_load_dword v28, off, s[0:3], 0 offset:72
	buffer_load_dword v30, off, s[0:3], 0 offset:56
	buffer_load_dword v31, off, s[0:3], 0 offset:60
	ds_read_b128 v[22:25], v22 offset:144
	v_cmp_lt_u32_e32 vcc, 6, v0
	s_waitcnt vmcnt(5)
	v_mov_b32_e32 v32, v27
	s_waitcnt vmcnt(4)
	v_mov_b32_e32 v34, v29
	s_waitcnt lgkmcnt(0)
	v_pk_mul_f32 v[32:33], v[22:23], v[32:33] op_sel_hi:[1,0]
	v_pk_mul_f32 v[34:35], v[24:25], v[34:35] op_sel_hi:[1,0]
	s_waitcnt vmcnt(3)
	v_pk_fma_f32 v[36:37], v[22:23], v[26:27], v[32:33] op_sel:[0,0,1] op_sel_hi:[1,1,0] neg_lo:[0,0,1] neg_hi:[0,0,1]
	v_pk_fma_f32 v[22:23], v[22:23], v[26:27], v[32:33] op_sel:[0,0,1] op_sel_hi:[1,0,0]
	s_waitcnt vmcnt(2)
	v_pk_fma_f32 v[26:27], v[24:25], v[28:29], v[34:35] op_sel:[0,0,1] op_sel_hi:[1,1,0] neg_lo:[0,0,1] neg_hi:[0,0,1]
	v_pk_fma_f32 v[24:25], v[24:25], v[28:29], v[34:35] op_sel:[0,0,1] op_sel_hi:[1,0,0]
	v_mov_b32_e32 v37, v23
	v_mov_b32_e32 v27, v25
	v_pk_add_f32 v[22:23], v[36:37], 0 op_sel_hi:[1,0]
	v_pk_add_f32 v[22:23], v[22:23], v[26:27]
	s_waitcnt vmcnt(0)
	v_pk_add_f32 v[22:23], v[30:31], v[22:23] neg_lo:[0,1] neg_hi:[0,1]
	buffer_store_dword v22, off, s[0:3], 0 offset:56
	buffer_store_dword v23, off, s[0:3], 0 offset:60
	s_and_saveexec_b64 s[4:5], vcc
	s_cbranch_execz .LBB9_61
; %bb.60:
	buffer_load_dword v22, off, s[0:3], 0 offset:48
	buffer_load_dword v23, off, s[0:3], 0 offset:52
	v_mov_b32_e32 v24, 0
	buffer_store_dword v24, off, s[0:3], 0 offset:48
	buffer_store_dword v24, off, s[0:3], 0 offset:52
	s_waitcnt vmcnt(2)
	ds_write_b64 v1, v[22:23]
.LBB9_61:
	s_or_b64 exec, exec, s[4:5]
	s_waitcnt lgkmcnt(0)
	; wave barrier
	s_waitcnt lgkmcnt(0)
	buffer_load_dword v29, off, s[0:3], 0 offset:60
	buffer_load_dword v31, off, s[0:3], 0 offset:68
	;; [unrolled: 1-line block ×8, first 2 shown]
	v_mov_b32_e32 v22, 0
	ds_read2_b64 v[24:27], v22 offset0:17 offset1:18
	ds_read_b64 v[36:37], v22 offset:152
	v_cmp_lt_u32_e32 vcc, 5, v0
	s_waitcnt vmcnt(7)
	v_mov_b32_e32 v38, v29
	s_waitcnt vmcnt(6)
	v_mov_b32_e32 v40, v31
	s_waitcnt lgkmcnt(1)
	v_pk_mul_f32 v[38:39], v[24:25], v[38:39] op_sel_hi:[1,0]
	s_waitcnt vmcnt(5)
	v_mov_b32_e32 v42, v33
	v_pk_mul_f32 v[40:41], v[26:27], v[40:41] op_sel_hi:[1,0]
	s_waitcnt vmcnt(4)
	v_pk_fma_f32 v[44:45], v[24:25], v[28:29], v[38:39] op_sel:[0,0,1] op_sel_hi:[1,1,0] neg_lo:[0,0,1] neg_hi:[0,0,1]
	v_pk_fma_f32 v[24:25], v[24:25], v[28:29], v[38:39] op_sel:[0,0,1] op_sel_hi:[1,0,0]
	s_waitcnt lgkmcnt(0)
	v_pk_mul_f32 v[42:43], v[36:37], v[42:43] op_sel_hi:[1,0]
	s_waitcnt vmcnt(3)
	v_pk_fma_f32 v[28:29], v[26:27], v[30:31], v[40:41] op_sel:[0,0,1] op_sel_hi:[1,1,0] neg_lo:[0,0,1] neg_hi:[0,0,1]
	v_pk_fma_f32 v[26:27], v[26:27], v[30:31], v[40:41] op_sel:[0,0,1] op_sel_hi:[1,0,0]
	v_mov_b32_e32 v45, v25
	s_waitcnt vmcnt(2)
	v_pk_fma_f32 v[30:31], v[36:37], v[32:33], v[42:43] op_sel:[0,0,1] op_sel_hi:[1,1,0] neg_lo:[0,0,1] neg_hi:[0,0,1]
	v_pk_fma_f32 v[32:33], v[36:37], v[32:33], v[42:43] op_sel:[0,0,1] op_sel_hi:[1,0,0]
	v_mov_b32_e32 v29, v27
	v_pk_add_f32 v[24:25], v[44:45], 0 op_sel_hi:[1,0]
	v_mov_b32_e32 v31, v33
	v_pk_add_f32 v[24:25], v[24:25], v[28:29]
	v_pk_add_f32 v[24:25], v[24:25], v[30:31]
	s_waitcnt vmcnt(0)
	v_pk_add_f32 v[24:25], v[34:35], v[24:25] neg_lo:[0,1] neg_hi:[0,1]
	buffer_store_dword v24, off, s[0:3], 0 offset:48
	buffer_store_dword v25, off, s[0:3], 0 offset:52
	s_and_saveexec_b64 s[4:5], vcc
	s_cbranch_execz .LBB9_63
; %bb.62:
	buffer_load_dword v24, off, s[0:3], 0 offset:40
	buffer_load_dword v25, off, s[0:3], 0 offset:44
	s_waitcnt vmcnt(0)
	ds_write_b64 v1, v[24:25]
	buffer_store_dword v22, off, s[0:3], 0 offset:40
	buffer_store_dword v22, off, s[0:3], 0 offset:44
.LBB9_63:
	s_or_b64 exec, exec, s[4:5]
	s_waitcnt lgkmcnt(0)
	; wave barrier
	s_waitcnt lgkmcnt(0)
	buffer_load_dword v33, off, s[0:3], 0 offset:52
	buffer_load_dword v35, off, s[0:3], 0 offset:60
	buffer_load_dword v37, off, s[0:3], 0 offset:68
	buffer_load_dword v39, off, s[0:3], 0 offset:76
	buffer_load_dword v32, off, s[0:3], 0 offset:48
	buffer_load_dword v34, off, s[0:3], 0 offset:56
	buffer_load_dword v36, off, s[0:3], 0 offset:64
	buffer_load_dword v38, off, s[0:3], 0 offset:72
	buffer_load_dword v40, off, s[0:3], 0 offset:40
	buffer_load_dword v41, off, s[0:3], 0 offset:44
	ds_read_b128 v[24:27], v22 offset:128
	ds_read_b128 v[28:31], v22 offset:144
	v_cmp_lt_u32_e32 vcc, 4, v0
	s_waitcnt vmcnt(9)
	v_mov_b32_e32 v22, v33
	s_waitcnt vmcnt(8)
	v_mov_b32_e32 v42, v35
	s_waitcnt lgkmcnt(1)
	v_pk_mul_f32 v[22:23], v[24:25], v[22:23] op_sel_hi:[1,0]
	s_waitcnt vmcnt(7)
	v_mov_b32_e32 v44, v37
	v_pk_mul_f32 v[42:43], v[26:27], v[42:43] op_sel_hi:[1,0]
	s_waitcnt vmcnt(5)
	v_pk_fma_f32 v[48:49], v[24:25], v[32:33], v[22:23] op_sel:[0,0,1] op_sel_hi:[1,1,0] neg_lo:[0,0,1] neg_hi:[0,0,1]
	v_pk_fma_f32 v[22:23], v[24:25], v[32:33], v[22:23] op_sel:[0,0,1] op_sel_hi:[1,0,0]
	v_mov_b32_e32 v46, v39
	s_waitcnt lgkmcnt(0)
	v_pk_mul_f32 v[44:45], v[28:29], v[44:45] op_sel_hi:[1,0]
	s_waitcnt vmcnt(4)
	v_pk_fma_f32 v[24:25], v[26:27], v[34:35], v[42:43] op_sel:[0,0,1] op_sel_hi:[1,1,0] neg_lo:[0,0,1] neg_hi:[0,0,1]
	v_pk_fma_f32 v[26:27], v[26:27], v[34:35], v[42:43] op_sel:[0,0,1] op_sel_hi:[1,0,0]
	v_mov_b32_e32 v49, v23
	v_pk_mul_f32 v[46:47], v[30:31], v[46:47] op_sel_hi:[1,0]
	s_waitcnt vmcnt(3)
	v_pk_fma_f32 v[32:33], v[28:29], v[36:37], v[44:45] op_sel:[0,0,1] op_sel_hi:[1,1,0] neg_lo:[0,0,1] neg_hi:[0,0,1]
	v_pk_fma_f32 v[28:29], v[28:29], v[36:37], v[44:45] op_sel:[0,0,1] op_sel_hi:[1,0,0]
	v_mov_b32_e32 v25, v27
	v_pk_add_f32 v[22:23], v[48:49], 0 op_sel_hi:[1,0]
	s_waitcnt vmcnt(2)
	v_pk_fma_f32 v[34:35], v[30:31], v[38:39], v[46:47] op_sel:[0,0,1] op_sel_hi:[1,1,0] neg_lo:[0,0,1] neg_hi:[0,0,1]
	v_pk_fma_f32 v[30:31], v[30:31], v[38:39], v[46:47] op_sel:[0,0,1] op_sel_hi:[1,0,0]
	v_mov_b32_e32 v33, v29
	v_pk_add_f32 v[22:23], v[22:23], v[24:25]
	v_mov_b32_e32 v35, v31
	v_pk_add_f32 v[22:23], v[22:23], v[32:33]
	v_pk_add_f32 v[22:23], v[22:23], v[34:35]
	s_waitcnt vmcnt(0)
	v_pk_add_f32 v[22:23], v[40:41], v[22:23] neg_lo:[0,1] neg_hi:[0,1]
	buffer_store_dword v22, off, s[0:3], 0 offset:40
	buffer_store_dword v23, off, s[0:3], 0 offset:44
	s_and_saveexec_b64 s[4:5], vcc
	s_cbranch_execz .LBB9_65
; %bb.64:
	buffer_load_dword v22, off, s[0:3], 0 offset:32
	buffer_load_dword v23, off, s[0:3], 0 offset:36
	v_mov_b32_e32 v24, 0
	buffer_store_dword v24, off, s[0:3], 0 offset:32
	buffer_store_dword v24, off, s[0:3], 0 offset:36
	s_waitcnt vmcnt(2)
	ds_write_b64 v1, v[22:23]
.LBB9_65:
	s_or_b64 exec, exec, s[4:5]
	s_waitcnt lgkmcnt(0)
	; wave barrier
	s_waitcnt lgkmcnt(0)
	buffer_load_dword v33, off, s[0:3], 0 offset:44
	buffer_load_dword v35, off, s[0:3], 0 offset:52
	;; [unrolled: 1-line block ×12, first 2 shown]
	v_mov_b32_e32 v22, 0
	ds_read2_b64 v[24:27], v22 offset0:15 offset1:16
	ds_read2_b64 v[28:31], v22 offset0:17 offset1:18
	ds_read_b64 v[44:45], v22 offset:152
	v_cmp_lt_u32_e32 vcc, 3, v0
	s_waitcnt vmcnt(11)
	v_mov_b32_e32 v46, v33
	s_waitcnt vmcnt(10)
	v_mov_b32_e32 v48, v35
	s_waitcnt lgkmcnt(2)
	v_pk_mul_f32 v[46:47], v[24:25], v[46:47] op_sel_hi:[1,0]
	s_waitcnt vmcnt(9)
	v_mov_b32_e32 v50, v37
	v_pk_mul_f32 v[48:49], v[26:27], v[48:49] op_sel_hi:[1,0]
	s_waitcnt vmcnt(6)
	v_pk_fma_f32 v[56:57], v[24:25], v[32:33], v[46:47] op_sel:[0,0,1] op_sel_hi:[1,1,0] neg_lo:[0,0,1] neg_hi:[0,0,1]
	v_pk_fma_f32 v[24:25], v[24:25], v[32:33], v[46:47] op_sel:[0,0,1] op_sel_hi:[1,0,0]
	v_mov_b32_e32 v52, v39
	s_waitcnt lgkmcnt(1)
	v_pk_mul_f32 v[50:51], v[28:29], v[50:51] op_sel_hi:[1,0]
	s_waitcnt vmcnt(5)
	v_pk_fma_f32 v[32:33], v[26:27], v[34:35], v[48:49] op_sel:[0,0,1] op_sel_hi:[1,1,0] neg_lo:[0,0,1] neg_hi:[0,0,1]
	v_pk_fma_f32 v[26:27], v[26:27], v[34:35], v[48:49] op_sel:[0,0,1] op_sel_hi:[1,0,0]
	v_mov_b32_e32 v57, v25
	v_mov_b32_e32 v54, v41
	v_pk_mul_f32 v[52:53], v[30:31], v[52:53] op_sel_hi:[1,0]
	s_waitcnt vmcnt(4)
	v_pk_fma_f32 v[34:35], v[28:29], v[36:37], v[50:51] op_sel:[0,0,1] op_sel_hi:[1,1,0] neg_lo:[0,0,1] neg_hi:[0,0,1]
	v_pk_fma_f32 v[28:29], v[28:29], v[36:37], v[50:51] op_sel:[0,0,1] op_sel_hi:[1,0,0]
	v_mov_b32_e32 v33, v27
	v_pk_add_f32 v[24:25], v[56:57], 0 op_sel_hi:[1,0]
	s_waitcnt lgkmcnt(0)
	v_pk_mul_f32 v[54:55], v[44:45], v[54:55] op_sel_hi:[1,0]
	s_waitcnt vmcnt(3)
	v_pk_fma_f32 v[36:37], v[30:31], v[38:39], v[52:53] op_sel:[0,0,1] op_sel_hi:[1,1,0] neg_lo:[0,0,1] neg_hi:[0,0,1]
	v_pk_fma_f32 v[30:31], v[30:31], v[38:39], v[52:53] op_sel:[0,0,1] op_sel_hi:[1,0,0]
	v_mov_b32_e32 v35, v29
	v_pk_add_f32 v[24:25], v[24:25], v[32:33]
	s_waitcnt vmcnt(2)
	v_pk_fma_f32 v[38:39], v[44:45], v[40:41], v[54:55] op_sel:[0,0,1] op_sel_hi:[1,1,0] neg_lo:[0,0,1] neg_hi:[0,0,1]
	v_pk_fma_f32 v[40:41], v[44:45], v[40:41], v[54:55] op_sel:[0,0,1] op_sel_hi:[1,0,0]
	v_mov_b32_e32 v37, v31
	v_pk_add_f32 v[24:25], v[24:25], v[34:35]
	v_mov_b32_e32 v39, v41
	v_pk_add_f32 v[24:25], v[24:25], v[36:37]
	v_pk_add_f32 v[24:25], v[24:25], v[38:39]
	s_waitcnt vmcnt(0)
	v_pk_add_f32 v[24:25], v[42:43], v[24:25] neg_lo:[0,1] neg_hi:[0,1]
	buffer_store_dword v24, off, s[0:3], 0 offset:32
	buffer_store_dword v25, off, s[0:3], 0 offset:36
	s_and_saveexec_b64 s[4:5], vcc
	s_cbranch_execz .LBB9_67
; %bb.66:
	buffer_load_dword v24, off, s[0:3], 0 offset:24
	buffer_load_dword v25, off, s[0:3], 0 offset:28
	s_waitcnt vmcnt(0)
	ds_write_b64 v1, v[24:25]
	buffer_store_dword v22, off, s[0:3], 0 offset:24
	buffer_store_dword v22, off, s[0:3], 0 offset:28
.LBB9_67:
	s_or_b64 exec, exec, s[4:5]
	s_waitcnt lgkmcnt(0)
	; wave barrier
	s_waitcnt lgkmcnt(0)
	buffer_load_dword v37, off, s[0:3], 0 offset:36
	buffer_load_dword v39, off, s[0:3], 0 offset:44
	;; [unrolled: 1-line block ×14, first 2 shown]
	ds_read_b128 v[24:27], v22 offset:112
	ds_read_b128 v[28:31], v22 offset:128
	;; [unrolled: 1-line block ×3, first 2 shown]
	v_cmp_lt_u32_e32 vcc, 2, v0
	s_waitcnt vmcnt(13)
	v_mov_b32_e32 v22, v37
	s_waitcnt vmcnt(12)
	v_mov_b32_e32 v50, v39
	s_waitcnt lgkmcnt(2)
	v_pk_mul_f32 v[22:23], v[24:25], v[22:23] op_sel_hi:[1,0]
	s_waitcnt vmcnt(11)
	v_mov_b32_e32 v52, v41
	v_pk_mul_f32 v[50:51], v[26:27], v[50:51] op_sel_hi:[1,0]
	s_waitcnt vmcnt(10)
	v_mov_b32_e32 v54, v43
	s_waitcnt vmcnt(7)
	v_pk_fma_f32 v[60:61], v[24:25], v[36:37], v[22:23] op_sel:[0,0,1] op_sel_hi:[1,1,0] neg_lo:[0,0,1] neg_hi:[0,0,1]
	v_pk_fma_f32 v[22:23], v[24:25], v[36:37], v[22:23] op_sel:[0,0,1] op_sel_hi:[1,0,0]
	s_waitcnt lgkmcnt(1)
	v_pk_mul_f32 v[52:53], v[28:29], v[52:53] op_sel_hi:[1,0]
	s_waitcnt vmcnt(6)
	v_pk_fma_f32 v[24:25], v[26:27], v[38:39], v[50:51] op_sel:[0,0,1] op_sel_hi:[1,1,0] neg_lo:[0,0,1] neg_hi:[0,0,1]
	v_pk_fma_f32 v[26:27], v[26:27], v[38:39], v[50:51] op_sel:[0,0,1] op_sel_hi:[1,0,0]
	v_mov_b32_e32 v61, v23
	v_mov_b32_e32 v56, v45
	v_pk_mul_f32 v[54:55], v[30:31], v[54:55] op_sel_hi:[1,0]
	s_waitcnt vmcnt(5)
	v_pk_fma_f32 v[36:37], v[28:29], v[40:41], v[52:53] op_sel:[0,0,1] op_sel_hi:[1,1,0] neg_lo:[0,0,1] neg_hi:[0,0,1]
	v_pk_fma_f32 v[28:29], v[28:29], v[40:41], v[52:53] op_sel:[0,0,1] op_sel_hi:[1,0,0]
	v_mov_b32_e32 v25, v27
	v_pk_add_f32 v[22:23], v[60:61], 0 op_sel_hi:[1,0]
	v_mov_b32_e32 v58, v47
	s_waitcnt lgkmcnt(0)
	v_pk_mul_f32 v[56:57], v[32:33], v[56:57] op_sel_hi:[1,0]
	s_waitcnt vmcnt(4)
	v_pk_fma_f32 v[38:39], v[30:31], v[42:43], v[54:55] op_sel:[0,0,1] op_sel_hi:[1,1,0] neg_lo:[0,0,1] neg_hi:[0,0,1]
	v_pk_fma_f32 v[30:31], v[30:31], v[42:43], v[54:55] op_sel:[0,0,1] op_sel_hi:[1,0,0]
	v_mov_b32_e32 v37, v29
	v_pk_add_f32 v[22:23], v[22:23], v[24:25]
	v_pk_mul_f32 v[58:59], v[34:35], v[58:59] op_sel_hi:[1,0]
	s_waitcnt vmcnt(3)
	v_pk_fma_f32 v[40:41], v[32:33], v[44:45], v[56:57] op_sel:[0,0,1] op_sel_hi:[1,1,0] neg_lo:[0,0,1] neg_hi:[0,0,1]
	v_pk_fma_f32 v[32:33], v[32:33], v[44:45], v[56:57] op_sel:[0,0,1] op_sel_hi:[1,0,0]
	v_mov_b32_e32 v39, v31
	v_pk_add_f32 v[22:23], v[22:23], v[36:37]
	s_waitcnt vmcnt(2)
	v_pk_fma_f32 v[42:43], v[34:35], v[46:47], v[58:59] op_sel:[0,0,1] op_sel_hi:[1,1,0] neg_lo:[0,0,1] neg_hi:[0,0,1]
	v_pk_fma_f32 v[34:35], v[34:35], v[46:47], v[58:59] op_sel:[0,0,1] op_sel_hi:[1,0,0]
	v_mov_b32_e32 v41, v33
	v_pk_add_f32 v[22:23], v[22:23], v[38:39]
	v_mov_b32_e32 v43, v35
	v_pk_add_f32 v[22:23], v[22:23], v[40:41]
	v_pk_add_f32 v[22:23], v[22:23], v[42:43]
	s_waitcnt vmcnt(0)
	v_pk_add_f32 v[22:23], v[48:49], v[22:23] neg_lo:[0,1] neg_hi:[0,1]
	buffer_store_dword v22, off, s[0:3], 0 offset:24
	buffer_store_dword v23, off, s[0:3], 0 offset:28
	s_and_saveexec_b64 s[4:5], vcc
	s_cbranch_execz .LBB9_69
; %bb.68:
	buffer_load_dword v22, off, s[0:3], 0 offset:16
	buffer_load_dword v23, off, s[0:3], 0 offset:20
	v_mov_b32_e32 v24, 0
	buffer_store_dword v24, off, s[0:3], 0 offset:16
	buffer_store_dword v24, off, s[0:3], 0 offset:20
	s_waitcnt vmcnt(2)
	ds_write_b64 v1, v[22:23]
.LBB9_69:
	s_or_b64 exec, exec, s[4:5]
	s_waitcnt lgkmcnt(0)
	; wave barrier
	s_waitcnt lgkmcnt(0)
	buffer_load_dword v37, off, s[0:3], 0 offset:28
	buffer_load_dword v39, off, s[0:3], 0 offset:36
	;; [unrolled: 1-line block ×16, first 2 shown]
	v_mov_b32_e32 v22, 0
	ds_read2_b64 v[24:27], v22 offset0:13 offset1:14
	ds_read2_b64 v[28:31], v22 offset0:15 offset1:16
	;; [unrolled: 1-line block ×3, first 2 shown]
	ds_read_b64 v[52:53], v22 offset:152
	v_cmp_lt_u32_e32 vcc, 1, v0
	s_waitcnt vmcnt(15)
	v_mov_b32_e32 v54, v37
	s_waitcnt vmcnt(14)
	v_mov_b32_e32 v56, v39
	s_waitcnt lgkmcnt(3)
	v_pk_mul_f32 v[54:55], v[24:25], v[54:55] op_sel_hi:[1,0]
	s_waitcnt vmcnt(13)
	v_mov_b32_e32 v58, v41
	v_pk_mul_f32 v[56:57], v[26:27], v[56:57] op_sel_hi:[1,0]
	s_waitcnt vmcnt(12)
	v_mov_b32_e32 v60, v43
	s_waitcnt lgkmcnt(2)
	v_pk_mul_f32 v[58:59], v[28:29], v[58:59] op_sel_hi:[1,0]
	s_waitcnt vmcnt(8)
	v_pk_fma_f32 v[68:69], v[24:25], v[36:37], v[54:55] op_sel:[0,0,1] op_sel_hi:[1,1,0] neg_lo:[0,0,1] neg_hi:[0,0,1]
	v_pk_fma_f32 v[24:25], v[24:25], v[36:37], v[54:55] op_sel:[0,0,1] op_sel_hi:[1,0,0]
	s_waitcnt vmcnt(7)
	v_pk_fma_f32 v[36:37], v[26:27], v[38:39], v[56:57] op_sel:[0,0,1] op_sel_hi:[1,1,0] neg_lo:[0,0,1] neg_hi:[0,0,1]
	v_pk_fma_f32 v[26:27], v[26:27], v[38:39], v[56:57] op_sel:[0,0,1] op_sel_hi:[1,0,0]
	v_mov_b32_e32 v69, v25
	v_mov_b32_e32 v62, v45
	v_pk_mul_f32 v[60:61], v[30:31], v[60:61] op_sel_hi:[1,0]
	s_waitcnt vmcnt(6)
	v_pk_fma_f32 v[38:39], v[28:29], v[40:41], v[58:59] op_sel:[0,0,1] op_sel_hi:[1,1,0] neg_lo:[0,0,1] neg_hi:[0,0,1]
	v_pk_fma_f32 v[28:29], v[28:29], v[40:41], v[58:59] op_sel:[0,0,1] op_sel_hi:[1,0,0]
	v_mov_b32_e32 v37, v27
	v_pk_add_f32 v[24:25], v[68:69], 0 op_sel_hi:[1,0]
	v_mov_b32_e32 v64, v47
	s_waitcnt lgkmcnt(1)
	v_pk_mul_f32 v[62:63], v[32:33], v[62:63] op_sel_hi:[1,0]
	s_waitcnt vmcnt(5)
	v_pk_fma_f32 v[40:41], v[30:31], v[42:43], v[60:61] op_sel:[0,0,1] op_sel_hi:[1,1,0] neg_lo:[0,0,1] neg_hi:[0,0,1]
	v_pk_fma_f32 v[30:31], v[30:31], v[42:43], v[60:61] op_sel:[0,0,1] op_sel_hi:[1,0,0]
	v_mov_b32_e32 v39, v29
	v_pk_add_f32 v[24:25], v[24:25], v[36:37]
	v_mov_b32_e32 v66, v49
	v_pk_mul_f32 v[64:65], v[34:35], v[64:65] op_sel_hi:[1,0]
	s_waitcnt vmcnt(4)
	v_pk_fma_f32 v[42:43], v[32:33], v[44:45], v[62:63] op_sel:[0,0,1] op_sel_hi:[1,1,0] neg_lo:[0,0,1] neg_hi:[0,0,1]
	v_pk_fma_f32 v[32:33], v[32:33], v[44:45], v[62:63] op_sel:[0,0,1] op_sel_hi:[1,0,0]
	v_mov_b32_e32 v41, v31
	v_pk_add_f32 v[24:25], v[24:25], v[38:39]
	s_waitcnt lgkmcnt(0)
	v_pk_mul_f32 v[66:67], v[52:53], v[66:67] op_sel_hi:[1,0]
	s_waitcnt vmcnt(3)
	v_pk_fma_f32 v[44:45], v[34:35], v[46:47], v[64:65] op_sel:[0,0,1] op_sel_hi:[1,1,0] neg_lo:[0,0,1] neg_hi:[0,0,1]
	v_pk_fma_f32 v[34:35], v[34:35], v[46:47], v[64:65] op_sel:[0,0,1] op_sel_hi:[1,0,0]
	v_mov_b32_e32 v43, v33
	v_pk_add_f32 v[24:25], v[24:25], v[40:41]
	s_waitcnt vmcnt(2)
	v_pk_fma_f32 v[46:47], v[52:53], v[48:49], v[66:67] op_sel:[0,0,1] op_sel_hi:[1,1,0] neg_lo:[0,0,1] neg_hi:[0,0,1]
	v_pk_fma_f32 v[48:49], v[52:53], v[48:49], v[66:67] op_sel:[0,0,1] op_sel_hi:[1,0,0]
	v_mov_b32_e32 v45, v35
	v_pk_add_f32 v[24:25], v[24:25], v[42:43]
	v_mov_b32_e32 v47, v49
	v_pk_add_f32 v[24:25], v[24:25], v[44:45]
	v_pk_add_f32 v[24:25], v[24:25], v[46:47]
	s_waitcnt vmcnt(0)
	v_pk_add_f32 v[24:25], v[50:51], v[24:25] neg_lo:[0,1] neg_hi:[0,1]
	buffer_store_dword v24, off, s[0:3], 0 offset:16
	buffer_store_dword v25, off, s[0:3], 0 offset:20
	s_and_saveexec_b64 s[4:5], vcc
	s_cbranch_execz .LBB9_71
; %bb.70:
	buffer_load_dword v24, off, s[0:3], 0 offset:8
	buffer_load_dword v25, off, s[0:3], 0 offset:12
	s_waitcnt vmcnt(0)
	ds_write_b64 v1, v[24:25]
	buffer_store_dword v22, off, s[0:3], 0 offset:8
	buffer_store_dword v22, off, s[0:3], 0 offset:12
.LBB9_71:
	s_or_b64 exec, exec, s[4:5]
	s_waitcnt lgkmcnt(0)
	; wave barrier
	s_waitcnt lgkmcnt(0)
	buffer_load_dword v41, off, s[0:3], 0 offset:20
	buffer_load_dword v43, off, s[0:3], 0 offset:28
	;; [unrolled: 1-line block ×18, first 2 shown]
	ds_read_b128 v[24:27], v22 offset:96
	ds_read_b128 v[28:31], v22 offset:112
	;; [unrolled: 1-line block ×4, first 2 shown]
	v_cmp_ne_u32_e32 vcc, 0, v0
	s_waitcnt vmcnt(17)
	v_mov_b32_e32 v22, v41
	s_waitcnt vmcnt(16)
	v_mov_b32_e32 v58, v43
	s_waitcnt lgkmcnt(3)
	v_pk_mul_f32 v[22:23], v[24:25], v[22:23] op_sel_hi:[1,0]
	s_waitcnt vmcnt(15)
	v_mov_b32_e32 v60, v45
	v_pk_mul_f32 v[58:59], v[26:27], v[58:59] op_sel_hi:[1,0]
	s_waitcnt vmcnt(14)
	v_mov_b32_e32 v62, v47
	s_waitcnt lgkmcnt(2)
	v_pk_mul_f32 v[60:61], v[28:29], v[60:61] op_sel_hi:[1,0]
	s_waitcnt vmcnt(13)
	v_mov_b32_e32 v64, v49
	s_waitcnt vmcnt(9)
	v_pk_fma_f32 v[72:73], v[24:25], v[40:41], v[22:23] op_sel:[0,0,1] op_sel_hi:[1,1,0] neg_lo:[0,0,1] neg_hi:[0,0,1]
	v_pk_fma_f32 v[22:23], v[24:25], v[40:41], v[22:23] op_sel:[0,0,1] op_sel_hi:[1,0,0]
	s_waitcnt vmcnt(8)
	v_pk_fma_f32 v[24:25], v[26:27], v[42:43], v[58:59] op_sel:[0,0,1] op_sel_hi:[1,1,0] neg_lo:[0,0,1] neg_hi:[0,0,1]
	v_pk_fma_f32 v[26:27], v[26:27], v[42:43], v[58:59] op_sel:[0,0,1] op_sel_hi:[1,0,0]
	v_mov_b32_e32 v73, v23
	v_pk_mul_f32 v[62:63], v[30:31], v[62:63] op_sel_hi:[1,0]
	s_waitcnt vmcnt(7)
	v_pk_fma_f32 v[40:41], v[28:29], v[44:45], v[60:61] op_sel:[0,0,1] op_sel_hi:[1,1,0] neg_lo:[0,0,1] neg_hi:[0,0,1]
	v_pk_fma_f32 v[28:29], v[28:29], v[44:45], v[60:61] op_sel:[0,0,1] op_sel_hi:[1,0,0]
	v_mov_b32_e32 v25, v27
	v_pk_add_f32 v[22:23], v[72:73], 0 op_sel_hi:[1,0]
	v_mov_b32_e32 v66, v51
	s_waitcnt lgkmcnt(1)
	v_pk_mul_f32 v[64:65], v[32:33], v[64:65] op_sel_hi:[1,0]
	s_waitcnt vmcnt(6)
	v_pk_fma_f32 v[42:43], v[30:31], v[46:47], v[62:63] op_sel:[0,0,1] op_sel_hi:[1,1,0] neg_lo:[0,0,1] neg_hi:[0,0,1]
	v_pk_fma_f32 v[30:31], v[30:31], v[46:47], v[62:63] op_sel:[0,0,1] op_sel_hi:[1,0,0]
	v_mov_b32_e32 v41, v29
	v_pk_add_f32 v[22:23], v[22:23], v[24:25]
	v_mov_b32_e32 v68, v53
	v_pk_mul_f32 v[66:67], v[34:35], v[66:67] op_sel_hi:[1,0]
	s_waitcnt vmcnt(5)
	v_pk_fma_f32 v[44:45], v[32:33], v[48:49], v[64:65] op_sel:[0,0,1] op_sel_hi:[1,1,0] neg_lo:[0,0,1] neg_hi:[0,0,1]
	v_pk_fma_f32 v[32:33], v[32:33], v[48:49], v[64:65] op_sel:[0,0,1] op_sel_hi:[1,0,0]
	v_mov_b32_e32 v43, v31
	v_pk_add_f32 v[22:23], v[22:23], v[40:41]
	v_mov_b32_e32 v70, v55
	s_waitcnt lgkmcnt(0)
	v_pk_mul_f32 v[68:69], v[36:37], v[68:69] op_sel_hi:[1,0]
	s_waitcnt vmcnt(4)
	v_pk_fma_f32 v[46:47], v[34:35], v[50:51], v[66:67] op_sel:[0,0,1] op_sel_hi:[1,1,0] neg_lo:[0,0,1] neg_hi:[0,0,1]
	v_pk_fma_f32 v[34:35], v[34:35], v[50:51], v[66:67] op_sel:[0,0,1] op_sel_hi:[1,0,0]
	v_mov_b32_e32 v45, v33
	v_pk_add_f32 v[22:23], v[22:23], v[42:43]
	v_pk_mul_f32 v[70:71], v[38:39], v[70:71] op_sel_hi:[1,0]
	s_waitcnt vmcnt(3)
	v_pk_fma_f32 v[48:49], v[36:37], v[52:53], v[68:69] op_sel:[0,0,1] op_sel_hi:[1,1,0] neg_lo:[0,0,1] neg_hi:[0,0,1]
	v_pk_fma_f32 v[36:37], v[36:37], v[52:53], v[68:69] op_sel:[0,0,1] op_sel_hi:[1,0,0]
	v_mov_b32_e32 v47, v35
	v_pk_add_f32 v[22:23], v[22:23], v[44:45]
	s_waitcnt vmcnt(2)
	v_pk_fma_f32 v[50:51], v[38:39], v[54:55], v[70:71] op_sel:[0,0,1] op_sel_hi:[1,1,0] neg_lo:[0,0,1] neg_hi:[0,0,1]
	v_pk_fma_f32 v[38:39], v[38:39], v[54:55], v[70:71] op_sel:[0,0,1] op_sel_hi:[1,0,0]
	v_mov_b32_e32 v49, v37
	v_pk_add_f32 v[22:23], v[22:23], v[46:47]
	v_mov_b32_e32 v51, v39
	v_pk_add_f32 v[22:23], v[22:23], v[48:49]
	v_pk_add_f32 v[22:23], v[22:23], v[50:51]
	s_waitcnt vmcnt(0)
	v_pk_add_f32 v[22:23], v[56:57], v[22:23] neg_lo:[0,1] neg_hi:[0,1]
	buffer_store_dword v22, off, s[0:3], 0 offset:8
	buffer_store_dword v23, off, s[0:3], 0 offset:12
	s_and_saveexec_b64 s[4:5], vcc
	s_cbranch_execz .LBB9_73
; %bb.72:
	buffer_load_dword v22, off, s[0:3], 0
	buffer_load_dword v23, off, s[0:3], 0 offset:4
	v_mov_b32_e32 v0, 0
	buffer_store_dword v0, off, s[0:3], 0
	buffer_store_dword v0, off, s[0:3], 0 offset:4
	s_waitcnt vmcnt(2)
	ds_write_b64 v1, v[22:23]
.LBB9_73:
	s_or_b64 exec, exec, s[4:5]
	s_waitcnt lgkmcnt(0)
	; wave barrier
	s_waitcnt lgkmcnt(0)
	buffer_load_dword v56, off, s[0:3], 0 offset:12
	buffer_load_dword v1, off, s[0:3], 0 offset:20
	;; [unrolled: 1-line block ×18, first 2 shown]
	buffer_load_dword v52, off, s[0:3], 0
	buffer_load_dword v53, off, s[0:3], 0 offset:4
	v_mov_b32_e32 v54, 0
	ds_read2_b64 v[22:25], v54 offset0:11 offset1:12
	ds_read2_b64 v[26:29], v54 offset0:13 offset1:14
	;; [unrolled: 1-line block ×4, first 2 shown]
	ds_read_b64 v[54:55], v54 offset:152
	s_and_b64 vcc, exec, s[20:21]
	s_waitcnt vmcnt(19) lgkmcnt(4)
	v_mul_f32_e32 v57, v22, v56
	v_mul_f32_e32 v56, v23, v56
	s_waitcnt vmcnt(18)
	v_mov_b32_e32 v58, v1
	s_waitcnt vmcnt(17)
	v_mov_b32_e32 v60, v39
	;; [unrolled: 2-line block ×8, first 2 shown]
	s_waitcnt vmcnt(10)
	v_fmac_f32_e32 v57, v23, v59
	v_fma_f32 v56, v22, v59, -v56
	v_pk_mul_f32 v[22:23], v[24:25], v[58:59] op_sel_hi:[1,0]
	s_waitcnt lgkmcnt(3)
	v_pk_mul_f32 v[58:59], v[26:27], v[60:61] op_sel_hi:[1,0]
	v_pk_mul_f32 v[60:61], v[28:29], v[62:63] op_sel_hi:[1,0]
	s_waitcnt lgkmcnt(2)
	v_pk_mul_f32 v[62:63], v[30:31], v[64:65] op_sel_hi:[1,0]
	;; [unrolled: 3-line block ×4, first 2 shown]
	s_waitcnt vmcnt(9)
	v_pk_fma_f32 v[72:73], v[24:25], v[0:1], v[22:23] op_sel:[0,0,1] op_sel_hi:[1,1,0] neg_lo:[0,0,1] neg_hi:[0,0,1]
	v_pk_fma_f32 v[0:1], v[24:25], v[0:1], v[22:23] op_sel:[0,0,1] op_sel_hi:[1,0,0]
	v_pk_add_f32 v[56:57], v[56:57], 0 op_sel_hi:[1,0]
	s_waitcnt vmcnt(8)
	v_pk_fma_f32 v[22:23], v[26:27], v[38:39], v[58:59] op_sel:[0,0,1] op_sel_hi:[1,1,0] neg_lo:[0,0,1] neg_hi:[0,0,1]
	v_pk_fma_f32 v[24:25], v[26:27], v[38:39], v[58:59] op_sel:[0,0,1] op_sel_hi:[1,0,0]
	v_mov_b32_e32 v73, v1
	s_waitcnt vmcnt(7)
	v_pk_fma_f32 v[26:27], v[28:29], v[40:41], v[60:61] op_sel:[0,0,1] op_sel_hi:[1,1,0] neg_lo:[0,0,1] neg_hi:[0,0,1]
	v_pk_fma_f32 v[28:29], v[28:29], v[40:41], v[60:61] op_sel:[0,0,1] op_sel_hi:[1,0,0]
	v_mov_b32_e32 v23, v25
	v_pk_add_f32 v[0:1], v[56:57], v[72:73]
	s_waitcnt vmcnt(6)
	v_pk_fma_f32 v[38:39], v[30:31], v[42:43], v[62:63] op_sel:[0,0,1] op_sel_hi:[1,1,0] neg_lo:[0,0,1] neg_hi:[0,0,1]
	v_pk_fma_f32 v[30:31], v[30:31], v[42:43], v[62:63] op_sel:[0,0,1] op_sel_hi:[1,0,0]
	v_mov_b32_e32 v27, v29
	v_pk_add_f32 v[0:1], v[0:1], v[22:23]
	;; [unrolled: 5-line block ×5, first 2 shown]
	v_pk_fma_f32 v[46:47], v[54:55], v[50:51], v[70:71] op_sel:[0,0,1] op_sel_hi:[1,1,0] neg_lo:[0,0,1] neg_hi:[0,0,1]
	v_pk_fma_f32 v[48:49], v[54:55], v[50:51], v[70:71] op_sel:[0,0,1] op_sel_hi:[1,0,0]
	v_mov_b32_e32 v45, v37
	v_pk_add_f32 v[0:1], v[0:1], v[42:43]
	v_mov_b32_e32 v47, v49
	v_pk_add_f32 v[0:1], v[0:1], v[44:45]
	v_pk_add_f32 v[0:1], v[0:1], v[46:47]
	s_waitcnt vmcnt(0)
	v_pk_add_f32 v[0:1], v[52:53], v[0:1] neg_lo:[0,1] neg_hi:[0,1]
	buffer_store_dword v0, off, s[0:3], 0
	buffer_store_dword v1, off, s[0:3], 0 offset:4
	s_cbranch_vccz .LBB9_93
; %bb.74:
	v_pk_mov_b32 v[0:1], s[10:11], s[10:11] op_sel:[0,1]
	flat_load_dword v0, v[0:1] offset:32
	s_waitcnt vmcnt(0) lgkmcnt(0)
	v_add_u32_e32 v0, -1, v0
	v_cmp_ne_u32_e32 vcc, 8, v0
	s_and_saveexec_b64 s[4:5], vcc
	s_cbranch_execz .LBB9_76
; %bb.75:
	v_mov_b32_e32 v1, 0
	v_lshl_add_u32 v0, v0, 3, v1
	buffer_load_dword v1, v0, s[0:3], 0 offen
	buffer_load_dword v22, v0, s[0:3], 0 offen offset:4
	buffer_load_dword v23, off, s[0:3], 0 offset:68
	buffer_load_dword v24, off, s[0:3], 0 offset:64
	s_waitcnt vmcnt(3)
	buffer_store_dword v1, off, s[0:3], 0 offset:64
	s_waitcnt vmcnt(3)
	buffer_store_dword v22, off, s[0:3], 0 offset:68
	s_waitcnt vmcnt(3)
	buffer_store_dword v23, v0, s[0:3], 0 offen offset:4
	s_waitcnt vmcnt(3)
	buffer_store_dword v24, v0, s[0:3], 0 offen
.LBB9_76:
	s_or_b64 exec, exec, s[4:5]
	v_pk_mov_b32 v[0:1], s[10:11], s[10:11] op_sel:[0,1]
	flat_load_dword v0, v[0:1] offset:28
	s_waitcnt vmcnt(0) lgkmcnt(0)
	v_add_u32_e32 v0, -1, v0
	v_cmp_ne_u32_e32 vcc, 7, v0
	s_and_saveexec_b64 s[4:5], vcc
	s_cbranch_execz .LBB9_78
; %bb.77:
	v_mov_b32_e32 v1, 0
	v_lshl_add_u32 v0, v0, 3, v1
	buffer_load_dword v1, v0, s[0:3], 0 offen
	buffer_load_dword v22, v0, s[0:3], 0 offen offset:4
	buffer_load_dword v23, off, s[0:3], 0 offset:56
	buffer_load_dword v24, off, s[0:3], 0 offset:60
	s_waitcnt vmcnt(3)
	buffer_store_dword v1, off, s[0:3], 0 offset:56
	s_waitcnt vmcnt(3)
	buffer_store_dword v22, off, s[0:3], 0 offset:60
	s_waitcnt vmcnt(3)
	buffer_store_dword v23, v0, s[0:3], 0 offen
	s_waitcnt vmcnt(3)
	buffer_store_dword v24, v0, s[0:3], 0 offen offset:4
.LBB9_78:
	s_or_b64 exec, exec, s[4:5]
	v_pk_mov_b32 v[0:1], s[10:11], s[10:11] op_sel:[0,1]
	flat_load_dword v0, v[0:1] offset:24
	s_waitcnt vmcnt(0) lgkmcnt(0)
	v_add_u32_e32 v0, -1, v0
	v_cmp_ne_u32_e32 vcc, 6, v0
	s_and_saveexec_b64 s[4:5], vcc
	s_cbranch_execz .LBB9_80
; %bb.79:
	v_mov_b32_e32 v1, 0
	v_lshl_add_u32 v0, v0, 3, v1
	buffer_load_dword v1, v0, s[0:3], 0 offen
	buffer_load_dword v22, v0, s[0:3], 0 offen offset:4
	buffer_load_dword v23, off, s[0:3], 0 offset:52
	buffer_load_dword v24, off, s[0:3], 0 offset:48
	s_waitcnt vmcnt(3)
	buffer_store_dword v1, off, s[0:3], 0 offset:48
	s_waitcnt vmcnt(3)
	buffer_store_dword v22, off, s[0:3], 0 offset:52
	s_waitcnt vmcnt(3)
	buffer_store_dword v23, v0, s[0:3], 0 offen offset:4
	s_waitcnt vmcnt(3)
	buffer_store_dword v24, v0, s[0:3], 0 offen
.LBB9_80:
	s_or_b64 exec, exec, s[4:5]
	v_pk_mov_b32 v[0:1], s[10:11], s[10:11] op_sel:[0,1]
	flat_load_dword v0, v[0:1] offset:20
	s_waitcnt vmcnt(0) lgkmcnt(0)
	v_add_u32_e32 v0, -1, v0
	v_cmp_ne_u32_e32 vcc, 5, v0
	s_and_saveexec_b64 s[4:5], vcc
	s_cbranch_execz .LBB9_82
; %bb.81:
	v_mov_b32_e32 v1, 0
	v_lshl_add_u32 v0, v0, 3, v1
	buffer_load_dword v1, v0, s[0:3], 0 offen
	buffer_load_dword v22, v0, s[0:3], 0 offen offset:4
	buffer_load_dword v23, off, s[0:3], 0 offset:40
	buffer_load_dword v24, off, s[0:3], 0 offset:44
	s_waitcnt vmcnt(3)
	buffer_store_dword v1, off, s[0:3], 0 offset:40
	s_waitcnt vmcnt(3)
	buffer_store_dword v22, off, s[0:3], 0 offset:44
	s_waitcnt vmcnt(3)
	buffer_store_dword v23, v0, s[0:3], 0 offen
	s_waitcnt vmcnt(3)
	buffer_store_dword v24, v0, s[0:3], 0 offen offset:4
.LBB9_82:
	s_or_b64 exec, exec, s[4:5]
	;; [unrolled: 48-line block ×4, first 2 shown]
	v_pk_mov_b32 v[0:1], s[10:11], s[10:11] op_sel:[0,1]
	flat_load_dword v22, v[0:1]
	s_nop 0
	buffer_load_dword v0, off, s[0:3], 0
	buffer_load_dword v1, off, s[0:3], 0 offset:4
	s_waitcnt vmcnt(0) lgkmcnt(0)
	v_add_u32_e32 v22, -1, v22
	v_cmp_ne_u32_e32 vcc, 0, v22
	s_and_saveexec_b64 s[4:5], vcc
	s_cbranch_execz .LBB9_92
; %bb.91:
	v_mov_b32_e32 v23, 0
	v_lshl_add_u32 v22, v22, 3, v23
	buffer_load_dword v23, v22, s[0:3], 0 offen offset:4
	buffer_load_dword v24, v22, s[0:3], 0 offen
	s_waitcnt vmcnt(1)
	buffer_store_dword v23, off, s[0:3], 0 offset:4
	s_waitcnt vmcnt(1)
	buffer_store_dword v24, off, s[0:3], 0
	buffer_store_dword v1, v22, s[0:3], 0 offen offset:4
	buffer_store_dword v0, v22, s[0:3], 0 offen
	buffer_load_dword v0, off, s[0:3], 0
	s_nop 0
	buffer_load_dword v1, off, s[0:3], 0 offset:4
.LBB9_92:
	s_or_b64 exec, exec, s[4:5]
.LBB9_93:
	buffer_load_dword v22, off, s[0:3], 0 offset:8
	buffer_load_dword v23, off, s[0:3], 0 offset:12
	;; [unrolled: 1-line block ×18, first 2 shown]
	s_waitcnt vmcnt(18)
	global_store_dwordx2 v[2:3], v[0:1], off
	s_waitcnt vmcnt(17)
	global_store_dwordx2 v[4:5], v[22:23], off
	;; [unrolled: 2-line block ×10, first 2 shown]
	s_endpgm
	.section	.rodata,"a",@progbits
	.p2align	6, 0x0
	.amdhsa_kernel _ZN9rocsolver6v33100L18getri_kernel_smallILi10E19rocblas_complex_numIfEPS3_EEvT1_iilPiilS6_bb
		.amdhsa_group_segment_fixed_size 164
		.amdhsa_private_segment_fixed_size 96
		.amdhsa_kernarg_size 60
		.amdhsa_user_sgpr_count 8
		.amdhsa_user_sgpr_private_segment_buffer 1
		.amdhsa_user_sgpr_dispatch_ptr 0
		.amdhsa_user_sgpr_queue_ptr 0
		.amdhsa_user_sgpr_kernarg_segment_ptr 1
		.amdhsa_user_sgpr_dispatch_id 0
		.amdhsa_user_sgpr_flat_scratch_init 1
		.amdhsa_user_sgpr_kernarg_preload_length 0
		.amdhsa_user_sgpr_kernarg_preload_offset 0
		.amdhsa_user_sgpr_private_segment_size 0
		.amdhsa_uses_dynamic_stack 0
		.amdhsa_system_sgpr_private_segment_wavefront_offset 1
		.amdhsa_system_sgpr_workgroup_id_x 1
		.amdhsa_system_sgpr_workgroup_id_y 0
		.amdhsa_system_sgpr_workgroup_id_z 0
		.amdhsa_system_sgpr_workgroup_info 0
		.amdhsa_system_vgpr_workitem_id 0
		.amdhsa_next_free_vgpr 74
		.amdhsa_next_free_sgpr 23
		.amdhsa_accum_offset 76
		.amdhsa_reserve_vcc 1
		.amdhsa_reserve_flat_scratch 1
		.amdhsa_float_round_mode_32 0
		.amdhsa_float_round_mode_16_64 0
		.amdhsa_float_denorm_mode_32 3
		.amdhsa_float_denorm_mode_16_64 3
		.amdhsa_dx10_clamp 1
		.amdhsa_ieee_mode 1
		.amdhsa_fp16_overflow 0
		.amdhsa_tg_split 0
		.amdhsa_exception_fp_ieee_invalid_op 0
		.amdhsa_exception_fp_denorm_src 0
		.amdhsa_exception_fp_ieee_div_zero 0
		.amdhsa_exception_fp_ieee_overflow 0
		.amdhsa_exception_fp_ieee_underflow 0
		.amdhsa_exception_fp_ieee_inexact 0
		.amdhsa_exception_int_div_zero 0
	.end_amdhsa_kernel
	.section	.text._ZN9rocsolver6v33100L18getri_kernel_smallILi10E19rocblas_complex_numIfEPS3_EEvT1_iilPiilS6_bb,"axG",@progbits,_ZN9rocsolver6v33100L18getri_kernel_smallILi10E19rocblas_complex_numIfEPS3_EEvT1_iilPiilS6_bb,comdat
.Lfunc_end9:
	.size	_ZN9rocsolver6v33100L18getri_kernel_smallILi10E19rocblas_complex_numIfEPS3_EEvT1_iilPiilS6_bb, .Lfunc_end9-_ZN9rocsolver6v33100L18getri_kernel_smallILi10E19rocblas_complex_numIfEPS3_EEvT1_iilPiilS6_bb
                                        ; -- End function
	.section	.AMDGPU.csdata,"",@progbits
; Kernel info:
; codeLenInByte = 9172
; NumSgprs: 29
; NumVgprs: 74
; NumAgprs: 0
; TotalNumVgprs: 74
; ScratchSize: 96
; MemoryBound: 0
; FloatMode: 240
; IeeeMode: 1
; LDSByteSize: 164 bytes/workgroup (compile time only)
; SGPRBlocks: 3
; VGPRBlocks: 9
; NumSGPRsForWavesPerEU: 29
; NumVGPRsForWavesPerEU: 74
; AccumOffset: 76
; Occupancy: 6
; WaveLimiterHint : 1
; COMPUTE_PGM_RSRC2:SCRATCH_EN: 1
; COMPUTE_PGM_RSRC2:USER_SGPR: 8
; COMPUTE_PGM_RSRC2:TRAP_HANDLER: 0
; COMPUTE_PGM_RSRC2:TGID_X_EN: 1
; COMPUTE_PGM_RSRC2:TGID_Y_EN: 0
; COMPUTE_PGM_RSRC2:TGID_Z_EN: 0
; COMPUTE_PGM_RSRC2:TIDIG_COMP_CNT: 0
; COMPUTE_PGM_RSRC3_GFX90A:ACCUM_OFFSET: 18
; COMPUTE_PGM_RSRC3_GFX90A:TG_SPLIT: 0
	.section	.text._ZN9rocsolver6v33100L18getri_kernel_smallILi11E19rocblas_complex_numIfEPS3_EEvT1_iilPiilS6_bb,"axG",@progbits,_ZN9rocsolver6v33100L18getri_kernel_smallILi11E19rocblas_complex_numIfEPS3_EEvT1_iilPiilS6_bb,comdat
	.globl	_ZN9rocsolver6v33100L18getri_kernel_smallILi11E19rocblas_complex_numIfEPS3_EEvT1_iilPiilS6_bb ; -- Begin function _ZN9rocsolver6v33100L18getri_kernel_smallILi11E19rocblas_complex_numIfEPS3_EEvT1_iilPiilS6_bb
	.p2align	8
	.type	_ZN9rocsolver6v33100L18getri_kernel_smallILi11E19rocblas_complex_numIfEPS3_EEvT1_iilPiilS6_bb,@function
_ZN9rocsolver6v33100L18getri_kernel_smallILi11E19rocblas_complex_numIfEPS3_EEvT1_iilPiilS6_bb: ; @_ZN9rocsolver6v33100L18getri_kernel_smallILi11E19rocblas_complex_numIfEPS3_EEvT1_iilPiilS6_bb
; %bb.0:
	s_add_u32 flat_scratch_lo, s6, s9
	s_addc_u32 flat_scratch_hi, s7, 0
	s_add_u32 s0, s0, s9
	s_addc_u32 s1, s1, 0
	v_cmp_gt_u32_e32 vcc, 11, v0
	s_and_saveexec_b64 s[6:7], vcc
	s_cbranch_execz .LBB10_58
; %bb.1:
	s_load_dword s22, s[4:5], 0x38
	s_load_dwordx4 s[16:19], s[4:5], 0x10
	s_load_dwordx4 s[12:15], s[4:5], 0x28
                                        ; implicit-def: $sgpr10_sgpr11
	s_waitcnt lgkmcnt(0)
	s_bitcmp1_b32 s22, 8
	s_cselect_b64 s[20:21], -1, 0
	s_ashr_i32 s9, s8, 31
	s_bfe_u32 s6, s22, 0x10008
	s_cmp_eq_u32 s6, 0
	s_cbranch_scc1 .LBB10_3
; %bb.2:
	s_load_dword s6, s[4:5], 0x20
	s_mul_i32 s7, s8, s13
	s_mul_hi_u32 s10, s8, s12
	s_mul_i32 s11, s9, s12
	s_add_i32 s10, s10, s7
	s_add_i32 s11, s10, s11
	s_mul_i32 s10, s8, s12
	s_waitcnt lgkmcnt(0)
	s_ashr_i32 s7, s6, 31
	s_lshl_b64 s[10:11], s[10:11], 2
	s_add_u32 s10, s18, s10
	s_addc_u32 s11, s19, s11
	s_lshl_b64 s[6:7], s[6:7], 2
	s_add_u32 s10, s10, s6
	s_addc_u32 s11, s11, s7
.LBB10_3:
	s_load_dwordx4 s[4:7], s[4:5], 0x0
	s_mul_i32 s12, s8, s17
	s_mul_hi_u32 s13, s8, s16
	s_add_i32 s17, s13, s12
	v_lshlrev_b32_e32 v28, 3, v0
	s_waitcnt lgkmcnt(0)
	s_ashr_i32 s13, s6, 31
	s_mov_b32 s12, s6
	s_mul_i32 s6, s9, s16
	s_add_i32 s17, s17, s6
	s_mul_i32 s16, s8, s16
	s_lshl_b64 s[16:17], s[16:17], 3
	s_add_u32 s6, s4, s16
	s_addc_u32 s16, s5, s17
	s_lshl_b64 s[4:5], s[12:13], 3
	s_add_u32 s4, s6, s4
	s_addc_u32 s5, s16, s5
	v_mov_b32_e32 v1, s5
	v_add_co_u32_e32 v2, vcc, s4, v28
	s_ashr_i32 s13, s7, 31
	s_mov_b32 s12, s7
	s_add_i32 s6, s7, s7
	v_addc_co_u32_e32 v3, vcc, 0, v1, vcc
	s_lshl_b64 s[12:13], s[12:13], 3
	v_add_u32_e32 v8, s6, v0
	v_mov_b32_e32 v1, s13
	v_add_co_u32_e32 v4, vcc, s12, v2
	v_ashrrev_i32_e32 v9, 31, v8
	v_addc_co_u32_e32 v5, vcc, v3, v1, vcc
	v_lshlrev_b64 v[6:7], 3, v[8:9]
	v_add_u32_e32 v10, s7, v8
	v_mov_b32_e32 v1, s5
	v_add_co_u32_e32 v6, vcc, s4, v6
	v_ashrrev_i32_e32 v11, 31, v10
	v_addc_co_u32_e32 v7, vcc, v1, v7, vcc
	v_lshlrev_b64 v[8:9], 3, v[10:11]
	v_add_u32_e32 v12, s7, v10
	v_add_co_u32_e32 v8, vcc, s4, v8
	v_ashrrev_i32_e32 v13, 31, v12
	v_addc_co_u32_e32 v9, vcc, v1, v9, vcc
	v_lshlrev_b64 v[10:11], 3, v[12:13]
	v_add_u32_e32 v14, s7, v12
	;; [unrolled: 5-line block ×5, first 2 shown]
	v_add_co_u32_e32 v16, vcc, s4, v16
	v_ashrrev_i32_e32 v21, 31, v20
	v_addc_co_u32_e32 v17, vcc, v1, v17, vcc
	v_lshlrev_b64 v[18:19], 3, v[20:21]
	v_add_co_u32_e32 v18, vcc, s4, v18
	global_load_dwordx2 v[24:25], v28, s[4:5]
	global_load_dwordx2 v[26:27], v[4:5], off
	global_load_dwordx2 v[30:31], v[6:7], off
	;; [unrolled: 1-line block ×4, first 2 shown]
	v_addc_co_u32_e32 v19, vcc, v1, v19, vcc
	global_load_dwordx2 v[36:37], v[12:13], off
	global_load_dwordx2 v[38:39], v[14:15], off
	;; [unrolled: 1-line block ×4, first 2 shown]
	v_add_u32_e32 v22, s7, v20
	v_ashrrev_i32_e32 v23, 31, v22
	v_lshlrev_b64 v[20:21], 3, v[22:23]
	v_add_u32_e32 v22, s7, v22
	v_add_co_u32_e32 v20, vcc, s4, v20
	v_ashrrev_i32_e32 v23, 31, v22
	v_addc_co_u32_e32 v21, vcc, v1, v21, vcc
	v_lshlrev_b64 v[22:23], 3, v[22:23]
	global_load_dwordx2 v[44:45], v[20:21], off
	v_add_co_u32_e32 v22, vcc, s4, v22
	v_addc_co_u32_e32 v23, vcc, v1, v23, vcc
	global_load_dwordx2 v[46:47], v[22:23], off
	s_bitcmp0_b32 s22, 0
	s_mov_b64 s[6:7], -1
	s_waitcnt vmcnt(10)
	buffer_store_dword v25, off, s[0:3], 0 offset:4
	buffer_store_dword v24, off, s[0:3], 0
	s_waitcnt vmcnt(11)
	buffer_store_dword v27, off, s[0:3], 0 offset:12
	buffer_store_dword v26, off, s[0:3], 0 offset:8
	s_waitcnt vmcnt(12)
	buffer_store_dword v31, off, s[0:3], 0 offset:20
	buffer_store_dword v30, off, s[0:3], 0 offset:16
	;; [unrolled: 3-line block ×10, first 2 shown]
	s_cbranch_scc1 .LBB10_56
; %bb.4:
	v_cmp_eq_u32_e64 s[4:5], 0, v0
	s_and_saveexec_b64 s[6:7], s[4:5]
	s_cbranch_execz .LBB10_6
; %bb.5:
	v_mov_b32_e32 v1, 0
	ds_write_b32 v1, v1 offset:88
.LBB10_6:
	s_or_b64 exec, exec, s[6:7]
	v_mov_b32_e32 v1, 0
	v_lshl_add_u32 v29, v0, 3, v1
	s_waitcnt lgkmcnt(0)
	; wave barrier
	s_waitcnt lgkmcnt(0)
	buffer_load_dword v1, v29, s[0:3], 0 offen
	buffer_load_dword v24, v29, s[0:3], 0 offen offset:4
	s_waitcnt vmcnt(1)
	v_cmp_eq_f32_e32 vcc, 0, v1
	s_waitcnt vmcnt(0)
	v_cmp_eq_f32_e64 s[6:7], 0, v24
	s_and_b64 s[6:7], vcc, s[6:7]
	s_and_saveexec_b64 s[12:13], s[6:7]
	s_cbranch_execz .LBB10_10
; %bb.7:
	v_mov_b32_e32 v1, 0
	ds_read_b32 v25, v1 offset:88
	v_add_u32_e32 v24, 1, v0
	s_waitcnt lgkmcnt(0)
	v_readfirstlane_b32 s6, v25
	s_cmp_eq_u32 s6, 0
	s_cselect_b64 s[16:17], -1, 0
	v_cmp_gt_i32_e32 vcc, s6, v24
	s_or_b64 s[16:17], s[16:17], vcc
	s_and_b64 exec, exec, s[16:17]
	s_cbranch_execz .LBB10_10
; %bb.8:
	s_mov_b64 s[16:17], 0
	v_mov_b32_e32 v25, s6
.LBB10_9:                               ; =>This Inner Loop Header: Depth=1
	ds_cmpst_rtn_b32 v25, v1, v25, v24 offset:88
	s_waitcnt lgkmcnt(0)
	v_cmp_ne_u32_e32 vcc, 0, v25
	v_cmp_le_i32_e64 s[6:7], v25, v24
	s_and_b64 s[6:7], vcc, s[6:7]
	s_and_b64 s[6:7], exec, s[6:7]
	s_or_b64 s[16:17], s[6:7], s[16:17]
	s_andn2_b64 exec, exec, s[16:17]
	s_cbranch_execnz .LBB10_9
.LBB10_10:
	s_or_b64 exec, exec, s[12:13]
	v_mov_b32_e32 v24, 0
	s_waitcnt lgkmcnt(0)
	; wave barrier
	ds_read_b32 v1, v24 offset:88
	s_and_saveexec_b64 s[6:7], s[4:5]
	s_cbranch_execz .LBB10_12
; %bb.11:
	s_lshl_b64 s[12:13], s[8:9], 2
	s_add_u32 s12, s14, s12
	s_addc_u32 s13, s15, s13
	s_waitcnt lgkmcnt(0)
	global_store_dword v24, v1, s[12:13]
.LBB10_12:
	s_or_b64 exec, exec, s[6:7]
	s_waitcnt lgkmcnt(0)
	v_cmp_ne_u32_e32 vcc, 0, v1
	s_mov_b64 s[6:7], 0
	s_cbranch_vccnz .LBB10_56
; %bb.13:
	buffer_load_dword v30, v29, s[0:3], 0 offen offset:4
	buffer_load_dword v25, v29, s[0:3], 0 offen
	s_waitcnt vmcnt(1)
	v_cmp_gt_f32_e32 vcc, 0, v30
	v_cndmask_b32_e64 v1, v30, -v30, vcc
	s_waitcnt vmcnt(0)
	v_cmp_gt_f32_e32 vcc, 0, v25
	v_cndmask_b32_e64 v24, v25, -v25, vcc
	v_cmp_ngt_f32_e32 vcc, v24, v1
                                        ; implicit-def: $vgpr1
                                        ; implicit-def: $vgpr24
	s_and_saveexec_b64 s[6:7], vcc
	s_xor_b64 s[6:7], exec, s[6:7]
                                        ; implicit-def: $vgpr26_vgpr27
	s_cbranch_execz .LBB10_15
; %bb.14:
	v_div_scale_f32 v1, s[12:13], v30, v30, v25
	v_rcp_f32_e32 v24, v1
	v_div_scale_f32 v26, vcc, v25, v30, v25
	v_fma_f32 v27, -v1, v24, 1.0
	v_fmac_f32_e32 v24, v27, v24
	v_mul_f32_e32 v27, v26, v24
	v_fma_f32 v31, -v1, v27, v26
	v_fmac_f32_e32 v27, v31, v24
	v_fma_f32 v1, -v1, v27, v26
	v_div_fmas_f32 v1, v1, v24, v27
	v_div_fixup_f32 v24, v1, v30, v25
	v_fmac_f32_e32 v30, v25, v24
	v_div_scale_f32 v1, s[12:13], v30, v30, -1.0
	v_rcp_f32_e32 v25, v1
	v_fma_f32 v26, -v1, v25, 1.0
	v_fmac_f32_e32 v25, v26, v25
	v_div_scale_f32 v26, vcc, -1.0, v30, -1.0
	v_mul_f32_e32 v27, v26, v25
	v_fma_f32 v31, -v1, v27, v26
	v_fmac_f32_e32 v27, v31, v25
	v_fma_f32 v1, -v1, v27, v26
	v_div_fmas_f32 v1, v1, v25, v27
	v_div_fixup_f32 v1, v1, v30, -1.0
	v_mul_f32_e32 v24, v24, v1
	v_xor_b32_e32 v26, 0x80000000, v24
                                        ; implicit-def: $vgpr25
                                        ; implicit-def: $vgpr30
.LBB10_15:
	s_andn2_saveexec_b64 s[6:7], s[6:7]
	s_cbranch_execz .LBB10_17
; %bb.16:
	v_div_scale_f32 v1, s[12:13], v25, v25, v30
	v_rcp_f32_e32 v24, v1
	v_div_scale_f32 v26, vcc, v30, v25, v30
	v_fma_f32 v27, -v1, v24, 1.0
	v_fmac_f32_e32 v24, v27, v24
	v_mul_f32_e32 v27, v26, v24
	v_fma_f32 v31, -v1, v27, v26
	v_fmac_f32_e32 v27, v31, v24
	v_fma_f32 v1, -v1, v27, v26
	v_div_fmas_f32 v1, v1, v24, v27
	v_div_fixup_f32 v1, v1, v25, v30
	v_fmac_f32_e32 v25, v30, v1
	v_div_scale_f32 v24, s[12:13], v25, v25, 1.0
	v_rcp_f32_e32 v26, v24
	v_fma_f32 v27, -v24, v26, 1.0
	v_fmac_f32_e32 v26, v27, v26
	v_div_scale_f32 v27, vcc, 1.0, v25, 1.0
	v_mul_f32_e32 v30, v27, v26
	v_fma_f32 v31, -v24, v30, v27
	v_fmac_f32_e32 v30, v31, v26
	v_fma_f32 v24, -v24, v30, v27
	v_div_fmas_f32 v24, v24, v26, v30
	v_div_fixup_f32 v26, v24, v25, 1.0
	v_xor_b32_e32 v24, 0x80000000, v26
	v_mul_f32_e64 v1, v1, -v26
.LBB10_17:
	s_or_b64 exec, exec, s[6:7]
	buffer_store_dword v1, v29, s[0:3], 0 offen offset:4
	buffer_store_dword v26, v29, s[0:3], 0 offen
	buffer_load_dword v27, off, s[0:3], 0 offset:12
	s_nop 0
	buffer_load_dword v26, off, s[0:3], 0 offset:8
	v_xor_b32_e32 v25, 0x80000000, v1
	v_add_u32_e32 v1, 0x60, v28
	s_waitcnt vmcnt(0)
	ds_write2_b64 v28, v[24:25], v[26:27] offset1:12
	s_waitcnt lgkmcnt(0)
	; wave barrier
	s_waitcnt lgkmcnt(0)
	s_and_saveexec_b64 s[6:7], s[4:5]
	s_cbranch_execz .LBB10_19
; %bb.18:
	buffer_load_dword v30, v29, s[0:3], 0 offen offset:4
	buffer_load_dword v31, v29, s[0:3], 0 offen
	ds_read_b64 v[24:25], v1
	v_mov_b32_e32 v26, 0
	ds_read_b64 v[26:27], v26 offset:8
	s_waitcnt vmcnt(1) lgkmcnt(1)
	v_mul_f32_e32 v32, v25, v30
	v_mul_f32_e32 v30, v24, v30
	s_waitcnt vmcnt(0)
	v_fmac_f32_e32 v30, v25, v31
	v_fma_f32 v24, v24, v31, -v32
	v_add_f32_e32 v25, 0, v30
	v_add_f32_e32 v24, 0, v24
	s_waitcnt lgkmcnt(0)
	v_mul_f32_e32 v30, v25, v27
	v_mul_f32_e32 v27, v24, v27
	v_fma_f32 v24, v24, v26, -v30
	v_fmac_f32_e32 v27, v25, v26
	buffer_store_dword v24, off, s[0:3], 0 offset:8
	buffer_store_dword v27, off, s[0:3], 0 offset:12
.LBB10_19:
	s_or_b64 exec, exec, s[6:7]
	s_waitcnt lgkmcnt(0)
	; wave barrier
	buffer_load_dword v24, off, s[0:3], 0 offset:16
	buffer_load_dword v25, off, s[0:3], 0 offset:20
	v_cmp_gt_u32_e32 vcc, 2, v0
	s_waitcnt vmcnt(0)
	ds_write_b64 v1, v[24:25]
	s_waitcnt lgkmcnt(0)
	; wave barrier
	s_waitcnt lgkmcnt(0)
	s_and_saveexec_b64 s[6:7], vcc
	s_cbranch_execz .LBB10_23
; %bb.20:
	buffer_load_dword v26, v29, s[0:3], 0 offen offset:4
	buffer_load_dword v27, v29, s[0:3], 0 offen
	ds_read_b64 v[24:25], v1
	s_waitcnt vmcnt(1) lgkmcnt(0)
	v_mul_f32_e32 v29, v25, v26
	v_mul_f32_e32 v26, v24, v26
	s_waitcnt vmcnt(0)
	v_fma_f32 v24, v24, v27, -v29
	v_fmac_f32_e32 v26, v25, v27
	v_add_f32_e32 v25, 0, v24
	v_add_f32_e32 v24, 0, v26
	s_and_saveexec_b64 s[12:13], s[4:5]
	s_cbranch_execz .LBB10_22
; %bb.21:
	buffer_load_dword v29, off, s[0:3], 0 offset:12
	buffer_load_dword v30, off, s[0:3], 0 offset:8
	v_mov_b32_e32 v26, 0
	ds_read_b64 v[26:27], v26 offset:104
	s_waitcnt vmcnt(1) lgkmcnt(0)
	v_mul_f32_e32 v31, v26, v29
	v_mul_f32_e32 v29, v27, v29
	s_waitcnt vmcnt(0)
	v_fmac_f32_e32 v31, v27, v30
	v_fma_f32 v26, v26, v30, -v29
	v_add_f32_e32 v24, v24, v31
	v_add_f32_e32 v25, v25, v26
.LBB10_22:
	s_or_b64 exec, exec, s[12:13]
	v_mov_b32_e32 v26, 0
	ds_read_b64 v[26:27], v26 offset:16
	s_waitcnt lgkmcnt(0)
	v_mul_f32_e32 v29, v24, v27
	v_mul_f32_e32 v27, v25, v27
	v_fma_f32 v25, v25, v26, -v29
	v_fmac_f32_e32 v27, v24, v26
	buffer_store_dword v25, off, s[0:3], 0 offset:16
	buffer_store_dword v27, off, s[0:3], 0 offset:20
.LBB10_23:
	s_or_b64 exec, exec, s[6:7]
	s_waitcnt lgkmcnt(0)
	; wave barrier
	buffer_load_dword v24, off, s[0:3], 0 offset:24
	buffer_load_dword v25, off, s[0:3], 0 offset:28
	v_cmp_gt_u32_e32 vcc, 3, v0
	s_waitcnt vmcnt(0)
	ds_write_b64 v1, v[24:25]
	v_add_u32_e32 v24, -1, v0
	s_waitcnt lgkmcnt(0)
	; wave barrier
	s_waitcnt lgkmcnt(0)
	s_and_saveexec_b64 s[4:5], vcc
	s_cbranch_execz .LBB10_27
; %bb.24:
	v_add_u32_e32 v26, -1, v0
	v_add_u32_e32 v27, 0x60, v28
	v_add_u32_e32 v29, 0, v28
	s_mov_b64 s[6:7], 0
	v_mov_b32_e32 v25, 0
	v_mov_b32_e32 v30, 0
.LBB10_25:                              ; =>This Inner Loop Header: Depth=1
	buffer_load_dword v31, v29, s[0:3], 0 offen offset:4
	buffer_load_dword v34, v29, s[0:3], 0 offen
	ds_read_b64 v[32:33], v27
	v_add_u32_e32 v26, 1, v26
	v_cmp_lt_u32_e32 vcc, 1, v26
	v_add_u32_e32 v27, 8, v27
	v_add_u32_e32 v29, 8, v29
	s_or_b64 s[6:7], vcc, s[6:7]
	s_waitcnt vmcnt(1) lgkmcnt(0)
	v_mul_f32_e32 v35, v33, v31
	v_mul_f32_e32 v31, v32, v31
	s_waitcnt vmcnt(0)
	v_fma_f32 v32, v32, v34, -v35
	v_fmac_f32_e32 v31, v33, v34
	v_add_f32_e32 v30, v30, v32
	v_add_f32_e32 v25, v25, v31
	s_andn2_b64 exec, exec, s[6:7]
	s_cbranch_execnz .LBB10_25
; %bb.26:
	s_or_b64 exec, exec, s[6:7]
	v_mov_b32_e32 v26, 0
	ds_read_b64 v[26:27], v26 offset:24
	s_waitcnt lgkmcnt(0)
	v_mul_f32_e32 v29, v25, v27
	v_mul_f32_e32 v27, v30, v27
	v_fma_f32 v29, v30, v26, -v29
	v_fmac_f32_e32 v27, v25, v26
	buffer_store_dword v29, off, s[0:3], 0 offset:24
	buffer_store_dword v27, off, s[0:3], 0 offset:28
.LBB10_27:
	s_or_b64 exec, exec, s[4:5]
	s_waitcnt lgkmcnt(0)
	; wave barrier
	buffer_load_dword v26, off, s[0:3], 0 offset:32
	buffer_load_dword v27, off, s[0:3], 0 offset:36
	v_cmp_gt_u32_e32 vcc, 4, v0
	s_waitcnt vmcnt(0)
	ds_write_b64 v1, v[26:27]
	s_waitcnt lgkmcnt(0)
	; wave barrier
	s_waitcnt lgkmcnt(0)
	s_and_saveexec_b64 s[4:5], vcc
	s_cbranch_execz .LBB10_31
; %bb.28:
	v_add_u32_e32 v26, -1, v0
	v_add_u32_e32 v27, 0x60, v28
	v_add_u32_e32 v29, 0, v28
	s_mov_b64 s[6:7], 0
	v_mov_b32_e32 v25, 0
	v_mov_b32_e32 v30, 0
.LBB10_29:                              ; =>This Inner Loop Header: Depth=1
	buffer_load_dword v31, v29, s[0:3], 0 offen offset:4
	buffer_load_dword v34, v29, s[0:3], 0 offen
	ds_read_b64 v[32:33], v27
	v_add_u32_e32 v26, 1, v26
	v_cmp_lt_u32_e32 vcc, 2, v26
	v_add_u32_e32 v27, 8, v27
	v_add_u32_e32 v29, 8, v29
	s_or_b64 s[6:7], vcc, s[6:7]
	s_waitcnt vmcnt(1) lgkmcnt(0)
	v_mul_f32_e32 v35, v33, v31
	v_mul_f32_e32 v31, v32, v31
	s_waitcnt vmcnt(0)
	v_fma_f32 v32, v32, v34, -v35
	v_fmac_f32_e32 v31, v33, v34
	v_add_f32_e32 v30, v30, v32
	v_add_f32_e32 v25, v25, v31
	s_andn2_b64 exec, exec, s[6:7]
	s_cbranch_execnz .LBB10_29
; %bb.30:
	s_or_b64 exec, exec, s[6:7]
	v_mov_b32_e32 v26, 0
	ds_read_b64 v[26:27], v26 offset:32
	s_waitcnt lgkmcnt(0)
	v_mul_f32_e32 v29, v25, v27
	v_mul_f32_e32 v27, v30, v27
	v_fma_f32 v29, v30, v26, -v29
	v_fmac_f32_e32 v27, v25, v26
	buffer_store_dword v29, off, s[0:3], 0 offset:32
	buffer_store_dword v27, off, s[0:3], 0 offset:36
.LBB10_31:
	s_or_b64 exec, exec, s[4:5]
	s_waitcnt lgkmcnt(0)
	; wave barrier
	buffer_load_dword v26, off, s[0:3], 0 offset:40
	buffer_load_dword v27, off, s[0:3], 0 offset:44
	v_cmp_gt_u32_e32 vcc, 5, v0
	s_waitcnt vmcnt(0)
	ds_write_b64 v1, v[26:27]
	;; [unrolled: 51-line block ×6, first 2 shown]
	s_waitcnt lgkmcnt(0)
	; wave barrier
	s_waitcnt lgkmcnt(0)
	s_and_saveexec_b64 s[4:5], vcc
	s_cbranch_execz .LBB10_51
; %bb.48:
	v_add_u32_e32 v26, -1, v0
	v_add_u32_e32 v27, 0x60, v28
	v_add_u32_e32 v29, 0, v28
	s_mov_b64 s[6:7], 0
	v_mov_b32_e32 v25, 0
	v_mov_b32_e32 v30, 0
.LBB10_49:                              ; =>This Inner Loop Header: Depth=1
	buffer_load_dword v31, v29, s[0:3], 0 offen offset:4
	buffer_load_dword v34, v29, s[0:3], 0 offen
	ds_read_b64 v[32:33], v27
	v_add_u32_e32 v26, 1, v26
	v_cmp_lt_u32_e32 vcc, 7, v26
	v_add_u32_e32 v27, 8, v27
	v_add_u32_e32 v29, 8, v29
	s_or_b64 s[6:7], vcc, s[6:7]
	s_waitcnt vmcnt(1) lgkmcnt(0)
	v_mul_f32_e32 v35, v33, v31
	v_mul_f32_e32 v31, v32, v31
	s_waitcnt vmcnt(0)
	v_fma_f32 v32, v32, v34, -v35
	v_fmac_f32_e32 v31, v33, v34
	v_add_f32_e32 v30, v30, v32
	v_add_f32_e32 v25, v25, v31
	s_andn2_b64 exec, exec, s[6:7]
	s_cbranch_execnz .LBB10_49
; %bb.50:
	s_or_b64 exec, exec, s[6:7]
	v_mov_b32_e32 v26, 0
	ds_read_b64 v[26:27], v26 offset:72
	s_waitcnt lgkmcnt(0)
	v_mul_f32_e32 v29, v25, v27
	v_mul_f32_e32 v27, v30, v27
	v_fma_f32 v29, v30, v26, -v29
	v_fmac_f32_e32 v27, v25, v26
	buffer_store_dword v29, off, s[0:3], 0 offset:72
	buffer_store_dword v27, off, s[0:3], 0 offset:76
.LBB10_51:
	s_or_b64 exec, exec, s[4:5]
	s_waitcnt lgkmcnt(0)
	; wave barrier
	buffer_load_dword v26, off, s[0:3], 0 offset:80
	buffer_load_dword v27, off, s[0:3], 0 offset:84
	v_cmp_ne_u32_e32 vcc, 10, v0
	s_waitcnt vmcnt(0)
	ds_write_b64 v1, v[26:27]
	s_waitcnt lgkmcnt(0)
	; wave barrier
	s_waitcnt lgkmcnt(0)
	s_and_saveexec_b64 s[4:5], vcc
	s_cbranch_execz .LBB10_55
; %bb.52:
	v_add_u32_e32 v25, 0x60, v28
	v_add_u32_e32 v26, 0, v28
	s_mov_b64 s[6:7], 0
	v_mov_b32_e32 v1, 0
	v_mov_b32_e32 v27, 0
.LBB10_53:                              ; =>This Inner Loop Header: Depth=1
	buffer_load_dword v30, v26, s[0:3], 0 offen offset:4
	buffer_load_dword v31, v26, s[0:3], 0 offen
	ds_read_b64 v[28:29], v25
	v_add_u32_e32 v24, 1, v24
	v_cmp_lt_u32_e32 vcc, 8, v24
	v_add_u32_e32 v25, 8, v25
	v_add_u32_e32 v26, 8, v26
	s_or_b64 s[6:7], vcc, s[6:7]
	s_waitcnt vmcnt(1) lgkmcnt(0)
	v_mul_f32_e32 v32, v29, v30
	v_mul_f32_e32 v30, v28, v30
	s_waitcnt vmcnt(0)
	v_fma_f32 v28, v28, v31, -v32
	v_fmac_f32_e32 v30, v29, v31
	v_add_f32_e32 v27, v27, v28
	v_add_f32_e32 v1, v1, v30
	s_andn2_b64 exec, exec, s[6:7]
	s_cbranch_execnz .LBB10_53
; %bb.54:
	s_or_b64 exec, exec, s[6:7]
	v_mov_b32_e32 v24, 0
	ds_read_b64 v[24:25], v24 offset:80
	s_waitcnt lgkmcnt(0)
	v_mul_f32_e32 v26, v1, v25
	v_mul_f32_e32 v25, v27, v25
	v_fma_f32 v26, v27, v24, -v26
	v_fmac_f32_e32 v25, v1, v24
	buffer_store_dword v26, off, s[0:3], 0 offset:80
	buffer_store_dword v25, off, s[0:3], 0 offset:84
.LBB10_55:
	s_or_b64 exec, exec, s[4:5]
	s_mov_b64 s[6:7], -1
	s_waitcnt lgkmcnt(0)
	; wave barrier
.LBB10_56:
	s_and_b64 vcc, exec, s[6:7]
	s_cbranch_vccz .LBB10_58
; %bb.57:
	s_lshl_b64 s[4:5], s[8:9], 2
	s_add_u32 s4, s14, s4
	s_addc_u32 s5, s15, s5
	v_mov_b32_e32 v1, 0
	global_load_dword v1, v1, s[4:5]
	s_waitcnt vmcnt(0)
	v_cmp_ne_u32_e32 vcc, 0, v1
	s_cbranch_vccz .LBB10_59
.LBB10_58:
	s_endpgm
.LBB10_59:
	v_mov_b32_e32 v1, 0x60
	v_lshl_add_u32 v1, v0, 3, v1
	v_cmp_eq_u32_e32 vcc, 10, v0
	s_and_saveexec_b64 s[4:5], vcc
	s_cbranch_execz .LBB10_61
; %bb.60:
	buffer_load_dword v24, off, s[0:3], 0 offset:72
	buffer_load_dword v25, off, s[0:3], 0 offset:76
	v_mov_b32_e32 v26, 0
	buffer_store_dword v26, off, s[0:3], 0 offset:72
	buffer_store_dword v26, off, s[0:3], 0 offset:76
	s_waitcnt vmcnt(2)
	ds_write_b64 v1, v[24:25]
.LBB10_61:
	s_or_b64 exec, exec, s[4:5]
	s_waitcnt lgkmcnt(0)
	; wave barrier
	s_waitcnt lgkmcnt(0)
	buffer_load_dword v27, off, s[0:3], 0 offset:84
	buffer_load_dword v26, off, s[0:3], 0 offset:80
	;; [unrolled: 1-line block ×4, first 2 shown]
	v_mov_b32_e32 v24, 0
	ds_read_b64 v[30:31], v24 offset:176
	v_cmp_lt_u32_e32 vcc, 8, v0
	s_waitcnt vmcnt(3)
	v_mov_b32_e32 v32, v27
	s_waitcnt lgkmcnt(0)
	v_pk_mul_f32 v[32:33], v[30:31], v[32:33] op_sel_hi:[1,0]
	s_waitcnt vmcnt(2)
	v_pk_fma_f32 v[34:35], v[30:31], v[26:27], v[32:33] op_sel:[0,0,1] op_sel_hi:[1,1,0] neg_lo:[0,0,1] neg_hi:[0,0,1]
	v_pk_fma_f32 v[26:27], v[30:31], v[26:27], v[32:33] op_sel:[0,0,1] op_sel_hi:[1,0,0]
	v_mov_b32_e32 v35, v27
	v_pk_add_f32 v[26:27], v[34:35], 0 op_sel_hi:[1,0]
	s_waitcnt vmcnt(0)
	v_pk_add_f32 v[26:27], v[28:29], v[26:27] neg_lo:[0,1] neg_hi:[0,1]
	buffer_store_dword v26, off, s[0:3], 0 offset:72
	buffer_store_dword v27, off, s[0:3], 0 offset:76
	s_and_saveexec_b64 s[4:5], vcc
	s_cbranch_execz .LBB10_63
; %bb.62:
	buffer_load_dword v26, off, s[0:3], 0 offset:64
	buffer_load_dword v27, off, s[0:3], 0 offset:68
	s_waitcnt vmcnt(0)
	ds_write_b64 v1, v[26:27]
	buffer_store_dword v24, off, s[0:3], 0 offset:64
	buffer_store_dword v24, off, s[0:3], 0 offset:68
.LBB10_63:
	s_or_b64 exec, exec, s[4:5]
	s_waitcnt lgkmcnt(0)
	; wave barrier
	s_waitcnt lgkmcnt(0)
	buffer_load_dword v29, off, s[0:3], 0 offset:76
	buffer_load_dword v31, off, s[0:3], 0 offset:84
	buffer_load_dword v28, off, s[0:3], 0 offset:72
	buffer_load_dword v30, off, s[0:3], 0 offset:80
	buffer_load_dword v32, off, s[0:3], 0 offset:64
	buffer_load_dword v33, off, s[0:3], 0 offset:68
	ds_read2_b64 v[24:27], v24 offset0:21 offset1:22
	v_cmp_lt_u32_e32 vcc, 7, v0
	s_waitcnt vmcnt(5)
	v_mov_b32_e32 v34, v29
	s_waitcnt vmcnt(4)
	v_mov_b32_e32 v36, v31
	s_waitcnt lgkmcnt(0)
	v_pk_mul_f32 v[34:35], v[24:25], v[34:35] op_sel_hi:[1,0]
	v_pk_mul_f32 v[36:37], v[26:27], v[36:37] op_sel_hi:[1,0]
	s_waitcnt vmcnt(3)
	v_pk_fma_f32 v[38:39], v[24:25], v[28:29], v[34:35] op_sel:[0,0,1] op_sel_hi:[1,1,0] neg_lo:[0,0,1] neg_hi:[0,0,1]
	v_pk_fma_f32 v[24:25], v[24:25], v[28:29], v[34:35] op_sel:[0,0,1] op_sel_hi:[1,0,0]
	s_waitcnt vmcnt(2)
	v_pk_fma_f32 v[28:29], v[26:27], v[30:31], v[36:37] op_sel:[0,0,1] op_sel_hi:[1,1,0] neg_lo:[0,0,1] neg_hi:[0,0,1]
	v_pk_fma_f32 v[26:27], v[26:27], v[30:31], v[36:37] op_sel:[0,0,1] op_sel_hi:[1,0,0]
	v_mov_b32_e32 v39, v25
	v_mov_b32_e32 v29, v27
	v_pk_add_f32 v[24:25], v[38:39], 0 op_sel_hi:[1,0]
	v_pk_add_f32 v[24:25], v[24:25], v[28:29]
	s_waitcnt vmcnt(0)
	v_pk_add_f32 v[24:25], v[32:33], v[24:25] neg_lo:[0,1] neg_hi:[0,1]
	buffer_store_dword v24, off, s[0:3], 0 offset:64
	buffer_store_dword v25, off, s[0:3], 0 offset:68
	s_and_saveexec_b64 s[4:5], vcc
	s_cbranch_execz .LBB10_65
; %bb.64:
	buffer_load_dword v24, off, s[0:3], 0 offset:56
	buffer_load_dword v25, off, s[0:3], 0 offset:60
	v_mov_b32_e32 v26, 0
	buffer_store_dword v26, off, s[0:3], 0 offset:56
	buffer_store_dword v26, off, s[0:3], 0 offset:60
	s_waitcnt vmcnt(2)
	ds_write_b64 v1, v[24:25]
.LBB10_65:
	s_or_b64 exec, exec, s[4:5]
	s_waitcnt lgkmcnt(0)
	; wave barrier
	s_waitcnt lgkmcnt(0)
	buffer_load_dword v31, off, s[0:3], 0 offset:68
	buffer_load_dword v33, off, s[0:3], 0 offset:76
	;; [unrolled: 1-line block ×8, first 2 shown]
	v_mov_b32_e32 v24, 0
	ds_read_b128 v[26:29], v24 offset:160
	ds_read_b64 v[38:39], v24 offset:176
	v_cmp_lt_u32_e32 vcc, 6, v0
	s_waitcnt vmcnt(7)
	v_mov_b32_e32 v40, v31
	s_waitcnt vmcnt(6)
	v_mov_b32_e32 v42, v33
	s_waitcnt lgkmcnt(1)
	v_pk_mul_f32 v[40:41], v[26:27], v[40:41] op_sel_hi:[1,0]
	s_waitcnt vmcnt(5)
	v_mov_b32_e32 v44, v35
	v_pk_mul_f32 v[42:43], v[28:29], v[42:43] op_sel_hi:[1,0]
	s_waitcnt vmcnt(4)
	v_pk_fma_f32 v[46:47], v[26:27], v[30:31], v[40:41] op_sel:[0,0,1] op_sel_hi:[1,1,0] neg_lo:[0,0,1] neg_hi:[0,0,1]
	v_pk_fma_f32 v[26:27], v[26:27], v[30:31], v[40:41] op_sel:[0,0,1] op_sel_hi:[1,0,0]
	s_waitcnt lgkmcnt(0)
	v_pk_mul_f32 v[44:45], v[38:39], v[44:45] op_sel_hi:[1,0]
	s_waitcnt vmcnt(3)
	v_pk_fma_f32 v[30:31], v[28:29], v[32:33], v[42:43] op_sel:[0,0,1] op_sel_hi:[1,1,0] neg_lo:[0,0,1] neg_hi:[0,0,1]
	v_pk_fma_f32 v[28:29], v[28:29], v[32:33], v[42:43] op_sel:[0,0,1] op_sel_hi:[1,0,0]
	v_mov_b32_e32 v47, v27
	s_waitcnt vmcnt(2)
	v_pk_fma_f32 v[32:33], v[38:39], v[34:35], v[44:45] op_sel:[0,0,1] op_sel_hi:[1,1,0] neg_lo:[0,0,1] neg_hi:[0,0,1]
	v_pk_fma_f32 v[34:35], v[38:39], v[34:35], v[44:45] op_sel:[0,0,1] op_sel_hi:[1,0,0]
	v_mov_b32_e32 v31, v29
	v_pk_add_f32 v[26:27], v[46:47], 0 op_sel_hi:[1,0]
	v_mov_b32_e32 v33, v35
	v_pk_add_f32 v[26:27], v[26:27], v[30:31]
	v_pk_add_f32 v[26:27], v[26:27], v[32:33]
	s_waitcnt vmcnt(0)
	v_pk_add_f32 v[26:27], v[36:37], v[26:27] neg_lo:[0,1] neg_hi:[0,1]
	buffer_store_dword v26, off, s[0:3], 0 offset:56
	buffer_store_dword v27, off, s[0:3], 0 offset:60
	s_and_saveexec_b64 s[4:5], vcc
	s_cbranch_execz .LBB10_67
; %bb.66:
	buffer_load_dword v26, off, s[0:3], 0 offset:48
	buffer_load_dword v27, off, s[0:3], 0 offset:52
	s_waitcnt vmcnt(0)
	ds_write_b64 v1, v[26:27]
	buffer_store_dword v24, off, s[0:3], 0 offset:48
	buffer_store_dword v24, off, s[0:3], 0 offset:52
.LBB10_67:
	s_or_b64 exec, exec, s[4:5]
	s_waitcnt lgkmcnt(0)
	; wave barrier
	s_waitcnt lgkmcnt(0)
	buffer_load_dword v35, off, s[0:3], 0 offset:60
	buffer_load_dword v37, off, s[0:3], 0 offset:68
	;; [unrolled: 1-line block ×10, first 2 shown]
	ds_read2_b64 v[26:29], v24 offset0:19 offset1:20
	ds_read2_b64 v[30:33], v24 offset0:21 offset1:22
	v_cmp_lt_u32_e32 vcc, 5, v0
	s_waitcnt vmcnt(9)
	v_mov_b32_e32 v24, v35
	s_waitcnt vmcnt(8)
	v_mov_b32_e32 v44, v37
	s_waitcnt lgkmcnt(1)
	v_pk_mul_f32 v[24:25], v[26:27], v[24:25] op_sel_hi:[1,0]
	s_waitcnt vmcnt(7)
	v_mov_b32_e32 v46, v39
	v_pk_mul_f32 v[44:45], v[28:29], v[44:45] op_sel_hi:[1,0]
	s_waitcnt vmcnt(5)
	v_pk_fma_f32 v[50:51], v[26:27], v[34:35], v[24:25] op_sel:[0,0,1] op_sel_hi:[1,1,0] neg_lo:[0,0,1] neg_hi:[0,0,1]
	v_pk_fma_f32 v[24:25], v[26:27], v[34:35], v[24:25] op_sel:[0,0,1] op_sel_hi:[1,0,0]
	v_mov_b32_e32 v48, v41
	s_waitcnt lgkmcnt(0)
	v_pk_mul_f32 v[46:47], v[30:31], v[46:47] op_sel_hi:[1,0]
	s_waitcnt vmcnt(4)
	v_pk_fma_f32 v[26:27], v[28:29], v[36:37], v[44:45] op_sel:[0,0,1] op_sel_hi:[1,1,0] neg_lo:[0,0,1] neg_hi:[0,0,1]
	v_pk_fma_f32 v[28:29], v[28:29], v[36:37], v[44:45] op_sel:[0,0,1] op_sel_hi:[1,0,0]
	v_mov_b32_e32 v51, v25
	v_pk_mul_f32 v[48:49], v[32:33], v[48:49] op_sel_hi:[1,0]
	s_waitcnt vmcnt(3)
	v_pk_fma_f32 v[34:35], v[30:31], v[38:39], v[46:47] op_sel:[0,0,1] op_sel_hi:[1,1,0] neg_lo:[0,0,1] neg_hi:[0,0,1]
	v_pk_fma_f32 v[30:31], v[30:31], v[38:39], v[46:47] op_sel:[0,0,1] op_sel_hi:[1,0,0]
	v_mov_b32_e32 v27, v29
	v_pk_add_f32 v[24:25], v[50:51], 0 op_sel_hi:[1,0]
	s_waitcnt vmcnt(2)
	v_pk_fma_f32 v[36:37], v[32:33], v[40:41], v[48:49] op_sel:[0,0,1] op_sel_hi:[1,1,0] neg_lo:[0,0,1] neg_hi:[0,0,1]
	v_pk_fma_f32 v[32:33], v[32:33], v[40:41], v[48:49] op_sel:[0,0,1] op_sel_hi:[1,0,0]
	v_mov_b32_e32 v35, v31
	v_pk_add_f32 v[24:25], v[24:25], v[26:27]
	v_mov_b32_e32 v37, v33
	v_pk_add_f32 v[24:25], v[24:25], v[34:35]
	v_pk_add_f32 v[24:25], v[24:25], v[36:37]
	s_waitcnt vmcnt(0)
	v_pk_add_f32 v[24:25], v[42:43], v[24:25] neg_lo:[0,1] neg_hi:[0,1]
	buffer_store_dword v24, off, s[0:3], 0 offset:48
	buffer_store_dword v25, off, s[0:3], 0 offset:52
	s_and_saveexec_b64 s[4:5], vcc
	s_cbranch_execz .LBB10_69
; %bb.68:
	buffer_load_dword v24, off, s[0:3], 0 offset:40
	buffer_load_dword v25, off, s[0:3], 0 offset:44
	v_mov_b32_e32 v26, 0
	buffer_store_dword v26, off, s[0:3], 0 offset:40
	buffer_store_dword v26, off, s[0:3], 0 offset:44
	s_waitcnt vmcnt(2)
	ds_write_b64 v1, v[24:25]
.LBB10_69:
	s_or_b64 exec, exec, s[4:5]
	s_waitcnt lgkmcnt(0)
	; wave barrier
	s_waitcnt lgkmcnt(0)
	buffer_load_dword v35, off, s[0:3], 0 offset:52
	buffer_load_dword v37, off, s[0:3], 0 offset:60
	;; [unrolled: 1-line block ×12, first 2 shown]
	v_mov_b32_e32 v24, 0
	ds_read_b128 v[26:29], v24 offset:144
	ds_read_b128 v[30:33], v24 offset:160
	ds_read_b64 v[46:47], v24 offset:176
	v_cmp_lt_u32_e32 vcc, 4, v0
	s_waitcnt vmcnt(11)
	v_mov_b32_e32 v48, v35
	s_waitcnt vmcnt(10)
	v_mov_b32_e32 v50, v37
	s_waitcnt lgkmcnt(2)
	v_pk_mul_f32 v[48:49], v[26:27], v[48:49] op_sel_hi:[1,0]
	s_waitcnt vmcnt(9)
	v_mov_b32_e32 v52, v39
	v_pk_mul_f32 v[50:51], v[28:29], v[50:51] op_sel_hi:[1,0]
	s_waitcnt vmcnt(6)
	v_pk_fma_f32 v[58:59], v[26:27], v[34:35], v[48:49] op_sel:[0,0,1] op_sel_hi:[1,1,0] neg_lo:[0,0,1] neg_hi:[0,0,1]
	v_pk_fma_f32 v[26:27], v[26:27], v[34:35], v[48:49] op_sel:[0,0,1] op_sel_hi:[1,0,0]
	v_mov_b32_e32 v54, v41
	s_waitcnt lgkmcnt(1)
	v_pk_mul_f32 v[52:53], v[30:31], v[52:53] op_sel_hi:[1,0]
	s_waitcnt vmcnt(5)
	v_pk_fma_f32 v[34:35], v[28:29], v[36:37], v[50:51] op_sel:[0,0,1] op_sel_hi:[1,1,0] neg_lo:[0,0,1] neg_hi:[0,0,1]
	v_pk_fma_f32 v[28:29], v[28:29], v[36:37], v[50:51] op_sel:[0,0,1] op_sel_hi:[1,0,0]
	v_mov_b32_e32 v59, v27
	v_mov_b32_e32 v56, v43
	v_pk_mul_f32 v[54:55], v[32:33], v[54:55] op_sel_hi:[1,0]
	s_waitcnt vmcnt(4)
	v_pk_fma_f32 v[36:37], v[30:31], v[38:39], v[52:53] op_sel:[0,0,1] op_sel_hi:[1,1,0] neg_lo:[0,0,1] neg_hi:[0,0,1]
	v_pk_fma_f32 v[30:31], v[30:31], v[38:39], v[52:53] op_sel:[0,0,1] op_sel_hi:[1,0,0]
	v_mov_b32_e32 v35, v29
	v_pk_add_f32 v[26:27], v[58:59], 0 op_sel_hi:[1,0]
	s_waitcnt lgkmcnt(0)
	v_pk_mul_f32 v[56:57], v[46:47], v[56:57] op_sel_hi:[1,0]
	s_waitcnt vmcnt(3)
	v_pk_fma_f32 v[38:39], v[32:33], v[40:41], v[54:55] op_sel:[0,0,1] op_sel_hi:[1,1,0] neg_lo:[0,0,1] neg_hi:[0,0,1]
	v_pk_fma_f32 v[32:33], v[32:33], v[40:41], v[54:55] op_sel:[0,0,1] op_sel_hi:[1,0,0]
	v_mov_b32_e32 v37, v31
	v_pk_add_f32 v[26:27], v[26:27], v[34:35]
	s_waitcnt vmcnt(2)
	v_pk_fma_f32 v[40:41], v[46:47], v[42:43], v[56:57] op_sel:[0,0,1] op_sel_hi:[1,1,0] neg_lo:[0,0,1] neg_hi:[0,0,1]
	v_pk_fma_f32 v[42:43], v[46:47], v[42:43], v[56:57] op_sel:[0,0,1] op_sel_hi:[1,0,0]
	v_mov_b32_e32 v39, v33
	v_pk_add_f32 v[26:27], v[26:27], v[36:37]
	v_mov_b32_e32 v41, v43
	v_pk_add_f32 v[26:27], v[26:27], v[38:39]
	v_pk_add_f32 v[26:27], v[26:27], v[40:41]
	s_waitcnt vmcnt(0)
	v_pk_add_f32 v[26:27], v[44:45], v[26:27] neg_lo:[0,1] neg_hi:[0,1]
	buffer_store_dword v26, off, s[0:3], 0 offset:40
	buffer_store_dword v27, off, s[0:3], 0 offset:44
	s_and_saveexec_b64 s[4:5], vcc
	s_cbranch_execz .LBB10_71
; %bb.70:
	buffer_load_dword v26, off, s[0:3], 0 offset:32
	buffer_load_dword v27, off, s[0:3], 0 offset:36
	s_waitcnt vmcnt(0)
	ds_write_b64 v1, v[26:27]
	buffer_store_dword v24, off, s[0:3], 0 offset:32
	buffer_store_dword v24, off, s[0:3], 0 offset:36
.LBB10_71:
	s_or_b64 exec, exec, s[4:5]
	s_waitcnt lgkmcnt(0)
	; wave barrier
	s_waitcnt lgkmcnt(0)
	buffer_load_dword v39, off, s[0:3], 0 offset:44
	buffer_load_dword v41, off, s[0:3], 0 offset:52
	;; [unrolled: 1-line block ×14, first 2 shown]
	ds_read2_b64 v[26:29], v24 offset0:17 offset1:18
	ds_read2_b64 v[30:33], v24 offset0:19 offset1:20
	;; [unrolled: 1-line block ×3, first 2 shown]
	v_cmp_lt_u32_e32 vcc, 3, v0
	s_waitcnt vmcnt(13)
	v_mov_b32_e32 v24, v39
	s_waitcnt vmcnt(12)
	v_mov_b32_e32 v52, v41
	s_waitcnt lgkmcnt(2)
	v_pk_mul_f32 v[24:25], v[26:27], v[24:25] op_sel_hi:[1,0]
	s_waitcnt vmcnt(11)
	v_mov_b32_e32 v54, v43
	v_pk_mul_f32 v[52:53], v[28:29], v[52:53] op_sel_hi:[1,0]
	s_waitcnt vmcnt(10)
	v_mov_b32_e32 v56, v45
	s_waitcnt vmcnt(7)
	v_pk_fma_f32 v[62:63], v[26:27], v[38:39], v[24:25] op_sel:[0,0,1] op_sel_hi:[1,1,0] neg_lo:[0,0,1] neg_hi:[0,0,1]
	v_pk_fma_f32 v[24:25], v[26:27], v[38:39], v[24:25] op_sel:[0,0,1] op_sel_hi:[1,0,0]
	s_waitcnt lgkmcnt(1)
	v_pk_mul_f32 v[54:55], v[30:31], v[54:55] op_sel_hi:[1,0]
	s_waitcnt vmcnt(6)
	v_pk_fma_f32 v[26:27], v[28:29], v[40:41], v[52:53] op_sel:[0,0,1] op_sel_hi:[1,1,0] neg_lo:[0,0,1] neg_hi:[0,0,1]
	v_pk_fma_f32 v[28:29], v[28:29], v[40:41], v[52:53] op_sel:[0,0,1] op_sel_hi:[1,0,0]
	v_mov_b32_e32 v63, v25
	v_mov_b32_e32 v58, v47
	v_pk_mul_f32 v[56:57], v[32:33], v[56:57] op_sel_hi:[1,0]
	s_waitcnt vmcnt(5)
	v_pk_fma_f32 v[38:39], v[30:31], v[42:43], v[54:55] op_sel:[0,0,1] op_sel_hi:[1,1,0] neg_lo:[0,0,1] neg_hi:[0,0,1]
	v_pk_fma_f32 v[30:31], v[30:31], v[42:43], v[54:55] op_sel:[0,0,1] op_sel_hi:[1,0,0]
	v_mov_b32_e32 v27, v29
	v_pk_add_f32 v[24:25], v[62:63], 0 op_sel_hi:[1,0]
	v_mov_b32_e32 v60, v49
	s_waitcnt lgkmcnt(0)
	v_pk_mul_f32 v[58:59], v[34:35], v[58:59] op_sel_hi:[1,0]
	s_waitcnt vmcnt(4)
	v_pk_fma_f32 v[40:41], v[32:33], v[44:45], v[56:57] op_sel:[0,0,1] op_sel_hi:[1,1,0] neg_lo:[0,0,1] neg_hi:[0,0,1]
	v_pk_fma_f32 v[32:33], v[32:33], v[44:45], v[56:57] op_sel:[0,0,1] op_sel_hi:[1,0,0]
	v_mov_b32_e32 v39, v31
	v_pk_add_f32 v[24:25], v[24:25], v[26:27]
	v_pk_mul_f32 v[60:61], v[36:37], v[60:61] op_sel_hi:[1,0]
	s_waitcnt vmcnt(3)
	v_pk_fma_f32 v[42:43], v[34:35], v[46:47], v[58:59] op_sel:[0,0,1] op_sel_hi:[1,1,0] neg_lo:[0,0,1] neg_hi:[0,0,1]
	v_pk_fma_f32 v[34:35], v[34:35], v[46:47], v[58:59] op_sel:[0,0,1] op_sel_hi:[1,0,0]
	v_mov_b32_e32 v41, v33
	v_pk_add_f32 v[24:25], v[24:25], v[38:39]
	s_waitcnt vmcnt(2)
	v_pk_fma_f32 v[44:45], v[36:37], v[48:49], v[60:61] op_sel:[0,0,1] op_sel_hi:[1,1,0] neg_lo:[0,0,1] neg_hi:[0,0,1]
	v_pk_fma_f32 v[36:37], v[36:37], v[48:49], v[60:61] op_sel:[0,0,1] op_sel_hi:[1,0,0]
	v_mov_b32_e32 v43, v35
	v_pk_add_f32 v[24:25], v[24:25], v[40:41]
	v_mov_b32_e32 v45, v37
	v_pk_add_f32 v[24:25], v[24:25], v[42:43]
	v_pk_add_f32 v[24:25], v[24:25], v[44:45]
	s_waitcnt vmcnt(0)
	v_pk_add_f32 v[24:25], v[50:51], v[24:25] neg_lo:[0,1] neg_hi:[0,1]
	buffer_store_dword v24, off, s[0:3], 0 offset:32
	buffer_store_dword v25, off, s[0:3], 0 offset:36
	s_and_saveexec_b64 s[4:5], vcc
	s_cbranch_execz .LBB10_73
; %bb.72:
	buffer_load_dword v24, off, s[0:3], 0 offset:24
	buffer_load_dword v25, off, s[0:3], 0 offset:28
	v_mov_b32_e32 v26, 0
	buffer_store_dword v26, off, s[0:3], 0 offset:24
	buffer_store_dword v26, off, s[0:3], 0 offset:28
	s_waitcnt vmcnt(2)
	ds_write_b64 v1, v[24:25]
.LBB10_73:
	s_or_b64 exec, exec, s[4:5]
	s_waitcnt lgkmcnt(0)
	; wave barrier
	s_waitcnt lgkmcnt(0)
	buffer_load_dword v39, off, s[0:3], 0 offset:36
	buffer_load_dword v41, off, s[0:3], 0 offset:44
	;; [unrolled: 1-line block ×16, first 2 shown]
	v_mov_b32_e32 v24, 0
	ds_read_b128 v[26:29], v24 offset:128
	ds_read_b128 v[30:33], v24 offset:144
	;; [unrolled: 1-line block ×3, first 2 shown]
	ds_read_b64 v[54:55], v24 offset:176
	v_cmp_lt_u32_e32 vcc, 2, v0
	s_waitcnt vmcnt(15)
	v_mov_b32_e32 v56, v39
	s_waitcnt vmcnt(14)
	v_mov_b32_e32 v58, v41
	s_waitcnt lgkmcnt(3)
	v_pk_mul_f32 v[56:57], v[26:27], v[56:57] op_sel_hi:[1,0]
	s_waitcnt vmcnt(13)
	v_mov_b32_e32 v60, v43
	v_pk_mul_f32 v[58:59], v[28:29], v[58:59] op_sel_hi:[1,0]
	s_waitcnt vmcnt(12)
	v_mov_b32_e32 v62, v45
	s_waitcnt lgkmcnt(2)
	v_pk_mul_f32 v[60:61], v[30:31], v[60:61] op_sel_hi:[1,0]
	s_waitcnt vmcnt(8)
	v_pk_fma_f32 v[70:71], v[26:27], v[38:39], v[56:57] op_sel:[0,0,1] op_sel_hi:[1,1,0] neg_lo:[0,0,1] neg_hi:[0,0,1]
	v_pk_fma_f32 v[26:27], v[26:27], v[38:39], v[56:57] op_sel:[0,0,1] op_sel_hi:[1,0,0]
	s_waitcnt vmcnt(7)
	v_pk_fma_f32 v[38:39], v[28:29], v[40:41], v[58:59] op_sel:[0,0,1] op_sel_hi:[1,1,0] neg_lo:[0,0,1] neg_hi:[0,0,1]
	v_pk_fma_f32 v[28:29], v[28:29], v[40:41], v[58:59] op_sel:[0,0,1] op_sel_hi:[1,0,0]
	v_mov_b32_e32 v71, v27
	v_mov_b32_e32 v64, v47
	v_pk_mul_f32 v[62:63], v[32:33], v[62:63] op_sel_hi:[1,0]
	s_waitcnt vmcnt(6)
	v_pk_fma_f32 v[40:41], v[30:31], v[42:43], v[60:61] op_sel:[0,0,1] op_sel_hi:[1,1,0] neg_lo:[0,0,1] neg_hi:[0,0,1]
	v_pk_fma_f32 v[30:31], v[30:31], v[42:43], v[60:61] op_sel:[0,0,1] op_sel_hi:[1,0,0]
	v_mov_b32_e32 v39, v29
	v_pk_add_f32 v[26:27], v[70:71], 0 op_sel_hi:[1,0]
	v_mov_b32_e32 v66, v49
	s_waitcnt lgkmcnt(1)
	v_pk_mul_f32 v[64:65], v[34:35], v[64:65] op_sel_hi:[1,0]
	s_waitcnt vmcnt(5)
	v_pk_fma_f32 v[42:43], v[32:33], v[44:45], v[62:63] op_sel:[0,0,1] op_sel_hi:[1,1,0] neg_lo:[0,0,1] neg_hi:[0,0,1]
	v_pk_fma_f32 v[32:33], v[32:33], v[44:45], v[62:63] op_sel:[0,0,1] op_sel_hi:[1,0,0]
	v_mov_b32_e32 v41, v31
	v_pk_add_f32 v[26:27], v[26:27], v[38:39]
	v_mov_b32_e32 v68, v51
	v_pk_mul_f32 v[66:67], v[36:37], v[66:67] op_sel_hi:[1,0]
	s_waitcnt vmcnt(4)
	v_pk_fma_f32 v[44:45], v[34:35], v[46:47], v[64:65] op_sel:[0,0,1] op_sel_hi:[1,1,0] neg_lo:[0,0,1] neg_hi:[0,0,1]
	v_pk_fma_f32 v[34:35], v[34:35], v[46:47], v[64:65] op_sel:[0,0,1] op_sel_hi:[1,0,0]
	v_mov_b32_e32 v43, v33
	v_pk_add_f32 v[26:27], v[26:27], v[40:41]
	s_waitcnt lgkmcnt(0)
	v_pk_mul_f32 v[68:69], v[54:55], v[68:69] op_sel_hi:[1,0]
	s_waitcnt vmcnt(3)
	v_pk_fma_f32 v[46:47], v[36:37], v[48:49], v[66:67] op_sel:[0,0,1] op_sel_hi:[1,1,0] neg_lo:[0,0,1] neg_hi:[0,0,1]
	v_pk_fma_f32 v[36:37], v[36:37], v[48:49], v[66:67] op_sel:[0,0,1] op_sel_hi:[1,0,0]
	v_mov_b32_e32 v45, v35
	v_pk_add_f32 v[26:27], v[26:27], v[42:43]
	s_waitcnt vmcnt(2)
	v_pk_fma_f32 v[48:49], v[54:55], v[50:51], v[68:69] op_sel:[0,0,1] op_sel_hi:[1,1,0] neg_lo:[0,0,1] neg_hi:[0,0,1]
	v_pk_fma_f32 v[50:51], v[54:55], v[50:51], v[68:69] op_sel:[0,0,1] op_sel_hi:[1,0,0]
	v_mov_b32_e32 v47, v37
	v_pk_add_f32 v[26:27], v[26:27], v[44:45]
	v_mov_b32_e32 v49, v51
	v_pk_add_f32 v[26:27], v[26:27], v[46:47]
	v_pk_add_f32 v[26:27], v[26:27], v[48:49]
	s_waitcnt vmcnt(0)
	v_pk_add_f32 v[26:27], v[52:53], v[26:27] neg_lo:[0,1] neg_hi:[0,1]
	buffer_store_dword v26, off, s[0:3], 0 offset:24
	buffer_store_dword v27, off, s[0:3], 0 offset:28
	s_and_saveexec_b64 s[4:5], vcc
	s_cbranch_execz .LBB10_75
; %bb.74:
	buffer_load_dword v26, off, s[0:3], 0 offset:16
	buffer_load_dword v27, off, s[0:3], 0 offset:20
	s_waitcnt vmcnt(0)
	ds_write_b64 v1, v[26:27]
	buffer_store_dword v24, off, s[0:3], 0 offset:16
	buffer_store_dword v24, off, s[0:3], 0 offset:20
.LBB10_75:
	s_or_b64 exec, exec, s[4:5]
	s_waitcnt lgkmcnt(0)
	; wave barrier
	s_waitcnt lgkmcnt(0)
	buffer_load_dword v43, off, s[0:3], 0 offset:28
	buffer_load_dword v45, off, s[0:3], 0 offset:36
	;; [unrolled: 1-line block ×18, first 2 shown]
	ds_read2_b64 v[26:29], v24 offset0:15 offset1:16
	ds_read2_b64 v[30:33], v24 offset0:17 offset1:18
	;; [unrolled: 1-line block ×4, first 2 shown]
	v_cmp_lt_u32_e32 vcc, 1, v0
	s_waitcnt vmcnt(17)
	v_mov_b32_e32 v24, v43
	s_waitcnt vmcnt(16)
	v_mov_b32_e32 v60, v45
	s_waitcnt lgkmcnt(3)
	v_pk_mul_f32 v[24:25], v[26:27], v[24:25] op_sel_hi:[1,0]
	s_waitcnt vmcnt(15)
	v_mov_b32_e32 v62, v47
	v_pk_mul_f32 v[60:61], v[28:29], v[60:61] op_sel_hi:[1,0]
	s_waitcnt vmcnt(14)
	v_mov_b32_e32 v64, v49
	s_waitcnt lgkmcnt(2)
	v_pk_mul_f32 v[62:63], v[30:31], v[62:63] op_sel_hi:[1,0]
	s_waitcnt vmcnt(13)
	v_mov_b32_e32 v66, v51
	s_waitcnt vmcnt(9)
	v_pk_fma_f32 v[74:75], v[26:27], v[42:43], v[24:25] op_sel:[0,0,1] op_sel_hi:[1,1,0] neg_lo:[0,0,1] neg_hi:[0,0,1]
	v_pk_fma_f32 v[24:25], v[26:27], v[42:43], v[24:25] op_sel:[0,0,1] op_sel_hi:[1,0,0]
	s_waitcnt vmcnt(8)
	v_pk_fma_f32 v[26:27], v[28:29], v[44:45], v[60:61] op_sel:[0,0,1] op_sel_hi:[1,1,0] neg_lo:[0,0,1] neg_hi:[0,0,1]
	v_pk_fma_f32 v[28:29], v[28:29], v[44:45], v[60:61] op_sel:[0,0,1] op_sel_hi:[1,0,0]
	v_mov_b32_e32 v75, v25
	v_pk_mul_f32 v[64:65], v[32:33], v[64:65] op_sel_hi:[1,0]
	s_waitcnt vmcnt(7)
	v_pk_fma_f32 v[42:43], v[30:31], v[46:47], v[62:63] op_sel:[0,0,1] op_sel_hi:[1,1,0] neg_lo:[0,0,1] neg_hi:[0,0,1]
	v_pk_fma_f32 v[30:31], v[30:31], v[46:47], v[62:63] op_sel:[0,0,1] op_sel_hi:[1,0,0]
	v_mov_b32_e32 v27, v29
	v_pk_add_f32 v[24:25], v[74:75], 0 op_sel_hi:[1,0]
	v_mov_b32_e32 v68, v53
	s_waitcnt lgkmcnt(1)
	v_pk_mul_f32 v[66:67], v[34:35], v[66:67] op_sel_hi:[1,0]
	s_waitcnt vmcnt(6)
	v_pk_fma_f32 v[44:45], v[32:33], v[48:49], v[64:65] op_sel:[0,0,1] op_sel_hi:[1,1,0] neg_lo:[0,0,1] neg_hi:[0,0,1]
	v_pk_fma_f32 v[32:33], v[32:33], v[48:49], v[64:65] op_sel:[0,0,1] op_sel_hi:[1,0,0]
	v_mov_b32_e32 v43, v31
	v_pk_add_f32 v[24:25], v[24:25], v[26:27]
	v_mov_b32_e32 v70, v55
	v_pk_mul_f32 v[68:69], v[36:37], v[68:69] op_sel_hi:[1,0]
	s_waitcnt vmcnt(5)
	v_pk_fma_f32 v[46:47], v[34:35], v[50:51], v[66:67] op_sel:[0,0,1] op_sel_hi:[1,1,0] neg_lo:[0,0,1] neg_hi:[0,0,1]
	v_pk_fma_f32 v[34:35], v[34:35], v[50:51], v[66:67] op_sel:[0,0,1] op_sel_hi:[1,0,0]
	v_mov_b32_e32 v45, v33
	v_pk_add_f32 v[24:25], v[24:25], v[42:43]
	v_mov_b32_e32 v72, v57
	s_waitcnt lgkmcnt(0)
	v_pk_mul_f32 v[70:71], v[38:39], v[70:71] op_sel_hi:[1,0]
	s_waitcnt vmcnt(4)
	v_pk_fma_f32 v[48:49], v[36:37], v[52:53], v[68:69] op_sel:[0,0,1] op_sel_hi:[1,1,0] neg_lo:[0,0,1] neg_hi:[0,0,1]
	v_pk_fma_f32 v[36:37], v[36:37], v[52:53], v[68:69] op_sel:[0,0,1] op_sel_hi:[1,0,0]
	v_mov_b32_e32 v47, v35
	v_pk_add_f32 v[24:25], v[24:25], v[44:45]
	v_pk_mul_f32 v[72:73], v[40:41], v[72:73] op_sel_hi:[1,0]
	s_waitcnt vmcnt(3)
	v_pk_fma_f32 v[50:51], v[38:39], v[54:55], v[70:71] op_sel:[0,0,1] op_sel_hi:[1,1,0] neg_lo:[0,0,1] neg_hi:[0,0,1]
	v_pk_fma_f32 v[38:39], v[38:39], v[54:55], v[70:71] op_sel:[0,0,1] op_sel_hi:[1,0,0]
	v_mov_b32_e32 v49, v37
	v_pk_add_f32 v[24:25], v[24:25], v[46:47]
	s_waitcnt vmcnt(2)
	v_pk_fma_f32 v[52:53], v[40:41], v[56:57], v[72:73] op_sel:[0,0,1] op_sel_hi:[1,1,0] neg_lo:[0,0,1] neg_hi:[0,0,1]
	v_pk_fma_f32 v[40:41], v[40:41], v[56:57], v[72:73] op_sel:[0,0,1] op_sel_hi:[1,0,0]
	v_mov_b32_e32 v51, v39
	v_pk_add_f32 v[24:25], v[24:25], v[48:49]
	v_mov_b32_e32 v53, v41
	v_pk_add_f32 v[24:25], v[24:25], v[50:51]
	v_pk_add_f32 v[24:25], v[24:25], v[52:53]
	s_waitcnt vmcnt(0)
	v_pk_add_f32 v[24:25], v[58:59], v[24:25] neg_lo:[0,1] neg_hi:[0,1]
	buffer_store_dword v24, off, s[0:3], 0 offset:16
	buffer_store_dword v25, off, s[0:3], 0 offset:20
	s_and_saveexec_b64 s[4:5], vcc
	s_cbranch_execz .LBB10_77
; %bb.76:
	buffer_load_dword v24, off, s[0:3], 0 offset:8
	buffer_load_dword v25, off, s[0:3], 0 offset:12
	v_mov_b32_e32 v26, 0
	buffer_store_dword v26, off, s[0:3], 0 offset:8
	buffer_store_dword v26, off, s[0:3], 0 offset:12
	s_waitcnt vmcnt(2)
	ds_write_b64 v1, v[24:25]
.LBB10_77:
	s_or_b64 exec, exec, s[4:5]
	s_waitcnt lgkmcnt(0)
	; wave barrier
	s_waitcnt lgkmcnt(0)
	buffer_load_dword v25, off, s[0:3], 0 offset:20
	buffer_load_dword v43, off, s[0:3], 0 offset:28
	;; [unrolled: 1-line block ×20, first 2 shown]
	v_mov_b32_e32 v24, 0
	ds_read_b128 v[26:29], v24 offset:112
	ds_read_b128 v[30:33], v24 offset:128
	;; [unrolled: 1-line block ×4, first 2 shown]
	ds_read_b64 v[60:61], v24 offset:176
	v_cmp_ne_u32_e32 vcc, 0, v0
	s_waitcnt vmcnt(19) lgkmcnt(4)
	v_mul_f32_e32 v63, v26, v25
	v_mul_f32_e32 v25, v27, v25
	s_waitcnt vmcnt(18)
	v_mov_b32_e32 v64, v43
	s_waitcnt vmcnt(17)
	v_mov_b32_e32 v66, v45
	;; [unrolled: 2-line block ×8, first 2 shown]
	s_waitcnt vmcnt(10)
	v_fmac_f32_e32 v63, v27, v62
	v_fma_f32 v62, v26, v62, -v25
	v_pk_mul_f32 v[26:27], v[28:29], v[64:65] op_sel_hi:[1,0]
	s_waitcnt lgkmcnt(3)
	v_pk_mul_f32 v[64:65], v[30:31], v[66:67] op_sel_hi:[1,0]
	v_pk_mul_f32 v[66:67], v[32:33], v[68:69] op_sel_hi:[1,0]
	s_waitcnt lgkmcnt(2)
	v_pk_mul_f32 v[68:69], v[34:35], v[70:71] op_sel_hi:[1,0]
	;; [unrolled: 3-line block ×4, first 2 shown]
	s_waitcnt vmcnt(9)
	v_pk_fma_f32 v[78:79], v[28:29], v[42:43], v[26:27] op_sel:[0,0,1] op_sel_hi:[1,1,0] neg_lo:[0,0,1] neg_hi:[0,0,1]
	v_pk_fma_f32 v[26:27], v[28:29], v[42:43], v[26:27] op_sel:[0,0,1] op_sel_hi:[1,0,0]
	v_pk_add_f32 v[62:63], v[62:63], 0 op_sel_hi:[1,0]
	s_waitcnt vmcnt(8)
	v_pk_fma_f32 v[28:29], v[30:31], v[44:45], v[64:65] op_sel:[0,0,1] op_sel_hi:[1,1,0] neg_lo:[0,0,1] neg_hi:[0,0,1]
	v_pk_fma_f32 v[30:31], v[30:31], v[44:45], v[64:65] op_sel:[0,0,1] op_sel_hi:[1,0,0]
	v_mov_b32_e32 v79, v27
	s_waitcnt vmcnt(7)
	v_pk_fma_f32 v[42:43], v[32:33], v[46:47], v[66:67] op_sel:[0,0,1] op_sel_hi:[1,1,0] neg_lo:[0,0,1] neg_hi:[0,0,1]
	v_pk_fma_f32 v[32:33], v[32:33], v[46:47], v[66:67] op_sel:[0,0,1] op_sel_hi:[1,0,0]
	v_mov_b32_e32 v29, v31
	v_pk_add_f32 v[26:27], v[62:63], v[78:79]
	s_waitcnt vmcnt(6)
	v_pk_fma_f32 v[44:45], v[34:35], v[48:49], v[68:69] op_sel:[0,0,1] op_sel_hi:[1,1,0] neg_lo:[0,0,1] neg_hi:[0,0,1]
	v_pk_fma_f32 v[34:35], v[34:35], v[48:49], v[68:69] op_sel:[0,0,1] op_sel_hi:[1,0,0]
	v_mov_b32_e32 v43, v33
	v_pk_add_f32 v[26:27], v[26:27], v[28:29]
	;; [unrolled: 5-line block ×5, first 2 shown]
	v_pk_fma_f32 v[52:53], v[60:61], v[56:57], v[76:77] op_sel:[0,0,1] op_sel_hi:[1,1,0] neg_lo:[0,0,1] neg_hi:[0,0,1]
	v_pk_fma_f32 v[54:55], v[60:61], v[56:57], v[76:77] op_sel:[0,0,1] op_sel_hi:[1,0,0]
	v_mov_b32_e32 v51, v41
	v_pk_add_f32 v[26:27], v[26:27], v[48:49]
	v_mov_b32_e32 v53, v55
	v_pk_add_f32 v[26:27], v[26:27], v[50:51]
	v_pk_add_f32 v[26:27], v[26:27], v[52:53]
	s_waitcnt vmcnt(0)
	v_pk_add_f32 v[26:27], v[58:59], v[26:27] neg_lo:[0,1] neg_hi:[0,1]
	buffer_store_dword v26, off, s[0:3], 0 offset:8
	buffer_store_dword v27, off, s[0:3], 0 offset:12
	s_and_saveexec_b64 s[4:5], vcc
	s_cbranch_execz .LBB10_79
; %bb.78:
	buffer_load_dword v26, off, s[0:3], 0
	buffer_load_dword v27, off, s[0:3], 0 offset:4
	s_waitcnt vmcnt(0)
	ds_write_b64 v1, v[26:27]
	buffer_store_dword v24, off, s[0:3], 0
	buffer_store_dword v24, off, s[0:3], 0 offset:4
.LBB10_79:
	s_or_b64 exec, exec, s[4:5]
	s_waitcnt lgkmcnt(0)
	; wave barrier
	s_waitcnt lgkmcnt(0)
	buffer_load_dword v62, off, s[0:3], 0 offset:12
	buffer_load_dword v64, off, s[0:3], 0 offset:20
	buffer_load_dword v1, off, s[0:3], 0 offset:28
	buffer_load_dword v47, off, s[0:3], 0 offset:36
	buffer_load_dword v49, off, s[0:3], 0 offset:44
	buffer_load_dword v51, off, s[0:3], 0 offset:52
	buffer_load_dword v53, off, s[0:3], 0 offset:60
	buffer_load_dword v55, off, s[0:3], 0 offset:68
	buffer_load_dword v57, off, s[0:3], 0 offset:76
	buffer_load_dword v59, off, s[0:3], 0 offset:84
	buffer_load_dword v65, off, s[0:3], 0 offset:8
	buffer_load_dword v67, off, s[0:3], 0 offset:16
	buffer_load_dword v0, off, s[0:3], 0 offset:24
	buffer_load_dword v46, off, s[0:3], 0 offset:32
	buffer_load_dword v48, off, s[0:3], 0 offset:40
	buffer_load_dword v50, off, s[0:3], 0 offset:48
	buffer_load_dword v52, off, s[0:3], 0 offset:56
	buffer_load_dword v58, off, s[0:3], 0 offset:80
	buffer_load_dword v56, off, s[0:3], 0 offset:72
	buffer_load_dword v54, off, s[0:3], 0 offset:64
	buffer_load_dword v60, off, s[0:3], 0
	buffer_load_dword v61, off, s[0:3], 0 offset:4
	ds_read2_b64 v[26:29], v24 offset0:13 offset1:14
	ds_read2_b64 v[30:33], v24 offset0:15 offset1:16
	;; [unrolled: 1-line block ×5, first 2 shown]
	s_and_b64 vcc, exec, s[20:21]
	s_waitcnt vmcnt(21) lgkmcnt(4)
	v_mul_f32_e32 v25, v26, v62
	s_waitcnt vmcnt(20)
	v_mul_f32_e32 v63, v28, v64
	v_mul_f32_e32 v24, v27, v62
	;; [unrolled: 1-line block ×3, first 2 shown]
	s_waitcnt vmcnt(19)
	v_mov_b32_e32 v64, v1
	s_waitcnt vmcnt(18)
	v_mov_b32_e32 v66, v47
	;; [unrolled: 2-line block ×5, first 2 shown]
	v_mov_b32_e32 v70, v51
	s_waitcnt vmcnt(11)
	v_fmac_f32_e32 v25, v27, v65
	v_fma_f32 v24, v26, v65, -v24
	s_waitcnt lgkmcnt(3)
	v_pk_mul_f32 v[26:27], v[30:31], v[64:65] op_sel_hi:[1,0]
	s_waitcnt vmcnt(10)
	v_fmac_f32_e32 v63, v29, v67
	v_fma_f32 v62, v28, v67, -v62
	v_pk_mul_f32 v[28:29], v[32:33], v[66:67] op_sel_hi:[1,0]
	s_waitcnt lgkmcnt(2)
	v_pk_mul_f32 v[64:65], v[34:35], v[68:69] op_sel_hi:[1,0]
	s_waitcnt lgkmcnt(1)
	;; [unrolled: 2-line block ×3, first 2 shown]
	v_pk_mul_f32 v[72:73], v[42:43], v[76:77] op_sel_hi:[1,0]
	v_pk_add_f32 v[24:25], v[24:25], 0 op_sel_hi:[1,0]
	s_waitcnt vmcnt(9)
	v_pk_fma_f32 v[76:77], v[30:31], v[0:1], v[26:27] op_sel:[0,0,1] op_sel_hi:[1,1,0] neg_lo:[0,0,1] neg_hi:[0,0,1]
	v_pk_fma_f32 v[0:1], v[30:31], v[0:1], v[26:27] op_sel:[0,0,1] op_sel_hi:[1,0,0]
	s_waitcnt vmcnt(8)
	v_pk_fma_f32 v[26:27], v[32:33], v[46:47], v[28:29] op_sel:[0,0,1] op_sel_hi:[1,1,0] neg_lo:[0,0,1] neg_hi:[0,0,1]
	v_pk_fma_f32 v[28:29], v[32:33], v[46:47], v[28:29] op_sel:[0,0,1] op_sel_hi:[1,0,0]
	v_pk_add_f32 v[24:25], v[24:25], v[62:63]
	v_mov_b32_e32 v77, v1
	v_pk_mul_f32 v[66:67], v[36:37], v[70:71] op_sel_hi:[1,0]
	s_waitcnt vmcnt(7)
	v_pk_fma_f32 v[30:31], v[34:35], v[48:49], v[64:65] op_sel:[0,0,1] op_sel_hi:[1,1,0] neg_lo:[0,0,1] neg_hi:[0,0,1]
	v_pk_fma_f32 v[32:33], v[34:35], v[48:49], v[64:65] op_sel:[0,0,1] op_sel_hi:[1,0,0]
	v_mov_b32_e32 v27, v29
	v_pk_add_f32 v[0:1], v[24:25], v[76:77]
	v_mov_b32_e32 v74, v55
	s_waitcnt vmcnt(6)
	v_pk_fma_f32 v[34:35], v[36:37], v[50:51], v[66:67] op_sel:[0,0,1] op_sel_hi:[1,1,0] neg_lo:[0,0,1] neg_hi:[0,0,1]
	v_pk_fma_f32 v[36:37], v[36:37], v[50:51], v[66:67] op_sel:[0,0,1] op_sel_hi:[1,0,0]
	v_mov_b32_e32 v31, v33
	v_pk_add_f32 v[0:1], v[0:1], v[26:27]
	v_pk_mul_f32 v[70:71], v[40:41], v[74:75] op_sel_hi:[1,0]
	s_waitcnt vmcnt(5)
	v_pk_fma_f32 v[46:47], v[38:39], v[52:53], v[68:69] op_sel:[0,0,1] op_sel_hi:[1,1,0] neg_lo:[0,0,1] neg_hi:[0,0,1]
	v_pk_fma_f32 v[38:39], v[38:39], v[52:53], v[68:69] op_sel:[0,0,1] op_sel_hi:[1,0,0]
	v_mov_b32_e32 v35, v37
	v_pk_add_f32 v[0:1], v[0:1], v[30:31]
	v_mov_b32_e32 v78, v59
	s_waitcnt vmcnt(2)
	v_pk_fma_f32 v[48:49], v[40:41], v[54:55], v[70:71] op_sel:[0,0,1] op_sel_hi:[1,1,0] neg_lo:[0,0,1] neg_hi:[0,0,1]
	v_pk_fma_f32 v[40:41], v[40:41], v[54:55], v[70:71] op_sel:[0,0,1] op_sel_hi:[1,0,0]
	v_mov_b32_e32 v47, v39
	v_pk_add_f32 v[0:1], v[0:1], v[34:35]
	v_pk_mul_f32 v[74:75], v[44:45], v[78:79] op_sel_hi:[1,0]
	v_pk_fma_f32 v[50:51], v[42:43], v[56:57], v[72:73] op_sel:[0,0,1] op_sel_hi:[1,1,0] neg_lo:[0,0,1] neg_hi:[0,0,1]
	v_pk_fma_f32 v[42:43], v[42:43], v[56:57], v[72:73] op_sel:[0,0,1] op_sel_hi:[1,0,0]
	v_mov_b32_e32 v49, v41
	v_pk_add_f32 v[0:1], v[0:1], v[46:47]
	v_pk_fma_f32 v[52:53], v[44:45], v[58:59], v[74:75] op_sel:[0,0,1] op_sel_hi:[1,1,0] neg_lo:[0,0,1] neg_hi:[0,0,1]
	v_pk_fma_f32 v[44:45], v[44:45], v[58:59], v[74:75] op_sel:[0,0,1] op_sel_hi:[1,0,0]
	v_mov_b32_e32 v51, v43
	v_pk_add_f32 v[0:1], v[0:1], v[48:49]
	v_mov_b32_e32 v53, v45
	v_pk_add_f32 v[0:1], v[0:1], v[50:51]
	v_pk_add_f32 v[0:1], v[0:1], v[52:53]
	s_waitcnt vmcnt(0)
	v_pk_add_f32 v[0:1], v[60:61], v[0:1] neg_lo:[0,1] neg_hi:[0,1]
	buffer_store_dword v0, off, s[0:3], 0
	buffer_store_dword v1, off, s[0:3], 0 offset:4
	s_cbranch_vccz .LBB10_101
; %bb.80:
	v_pk_mov_b32 v[0:1], s[10:11], s[10:11] op_sel:[0,1]
	flat_load_dword v0, v[0:1] offset:36
	s_waitcnt vmcnt(0) lgkmcnt(0)
	v_add_u32_e32 v0, -1, v0
	v_cmp_ne_u32_e32 vcc, 9, v0
	s_and_saveexec_b64 s[4:5], vcc
	s_cbranch_execz .LBB10_82
; %bb.81:
	v_mov_b32_e32 v1, 0
	v_lshl_add_u32 v0, v0, 3, v1
	buffer_load_dword v1, v0, s[0:3], 0 offen
	buffer_load_dword v24, v0, s[0:3], 0 offen offset:4
	buffer_load_dword v25, off, s[0:3], 0 offset:72
	buffer_load_dword v26, off, s[0:3], 0 offset:76
	s_waitcnt vmcnt(3)
	buffer_store_dword v1, off, s[0:3], 0 offset:72
	s_waitcnt vmcnt(3)
	buffer_store_dword v24, off, s[0:3], 0 offset:76
	s_waitcnt vmcnt(3)
	buffer_store_dword v25, v0, s[0:3], 0 offen
	s_waitcnt vmcnt(3)
	buffer_store_dword v26, v0, s[0:3], 0 offen offset:4
.LBB10_82:
	s_or_b64 exec, exec, s[4:5]
	v_pk_mov_b32 v[0:1], s[10:11], s[10:11] op_sel:[0,1]
	flat_load_dword v0, v[0:1] offset:32
	s_waitcnt vmcnt(0) lgkmcnt(0)
	v_add_u32_e32 v0, -1, v0
	v_cmp_ne_u32_e32 vcc, 8, v0
	s_and_saveexec_b64 s[4:5], vcc
	s_cbranch_execz .LBB10_84
; %bb.83:
	v_mov_b32_e32 v1, 0
	v_lshl_add_u32 v0, v0, 3, v1
	buffer_load_dword v1, v0, s[0:3], 0 offen
	buffer_load_dword v24, v0, s[0:3], 0 offen offset:4
	buffer_load_dword v25, off, s[0:3], 0 offset:68
	buffer_load_dword v26, off, s[0:3], 0 offset:64
	s_waitcnt vmcnt(3)
	buffer_store_dword v1, off, s[0:3], 0 offset:64
	s_waitcnt vmcnt(3)
	buffer_store_dword v24, off, s[0:3], 0 offset:68
	s_waitcnt vmcnt(3)
	buffer_store_dword v25, v0, s[0:3], 0 offen offset:4
	s_waitcnt vmcnt(3)
	buffer_store_dword v26, v0, s[0:3], 0 offen
.LBB10_84:
	s_or_b64 exec, exec, s[4:5]
	v_pk_mov_b32 v[0:1], s[10:11], s[10:11] op_sel:[0,1]
	flat_load_dword v0, v[0:1] offset:28
	s_waitcnt vmcnt(0) lgkmcnt(0)
	v_add_u32_e32 v0, -1, v0
	v_cmp_ne_u32_e32 vcc, 7, v0
	s_and_saveexec_b64 s[4:5], vcc
	s_cbranch_execz .LBB10_86
; %bb.85:
	v_mov_b32_e32 v1, 0
	v_lshl_add_u32 v0, v0, 3, v1
	buffer_load_dword v1, v0, s[0:3], 0 offen
	buffer_load_dword v24, v0, s[0:3], 0 offen offset:4
	buffer_load_dword v25, off, s[0:3], 0 offset:56
	buffer_load_dword v26, off, s[0:3], 0 offset:60
	s_waitcnt vmcnt(3)
	buffer_store_dword v1, off, s[0:3], 0 offset:56
	s_waitcnt vmcnt(3)
	buffer_store_dword v24, off, s[0:3], 0 offset:60
	s_waitcnt vmcnt(3)
	buffer_store_dword v25, v0, s[0:3], 0 offen
	s_waitcnt vmcnt(3)
	buffer_store_dword v26, v0, s[0:3], 0 offen offset:4
.LBB10_86:
	s_or_b64 exec, exec, s[4:5]
	v_pk_mov_b32 v[0:1], s[10:11], s[10:11] op_sel:[0,1]
	flat_load_dword v0, v[0:1] offset:24
	s_waitcnt vmcnt(0) lgkmcnt(0)
	v_add_u32_e32 v0, -1, v0
	v_cmp_ne_u32_e32 vcc, 6, v0
	s_and_saveexec_b64 s[4:5], vcc
	s_cbranch_execz .LBB10_88
; %bb.87:
	v_mov_b32_e32 v1, 0
	v_lshl_add_u32 v0, v0, 3, v1
	buffer_load_dword v1, v0, s[0:3], 0 offen
	buffer_load_dword v24, v0, s[0:3], 0 offen offset:4
	buffer_load_dword v25, off, s[0:3], 0 offset:52
	buffer_load_dword v26, off, s[0:3], 0 offset:48
	s_waitcnt vmcnt(3)
	buffer_store_dword v1, off, s[0:3], 0 offset:48
	s_waitcnt vmcnt(3)
	buffer_store_dword v24, off, s[0:3], 0 offset:52
	s_waitcnt vmcnt(3)
	buffer_store_dword v25, v0, s[0:3], 0 offen offset:4
	s_waitcnt vmcnt(3)
	buffer_store_dword v26, v0, s[0:3], 0 offen
.LBB10_88:
	s_or_b64 exec, exec, s[4:5]
	;; [unrolled: 48-line block ×4, first 2 shown]
	v_pk_mov_b32 v[0:1], s[10:11], s[10:11] op_sel:[0,1]
	flat_load_dword v0, v[0:1] offset:4
	s_waitcnt vmcnt(0) lgkmcnt(0)
	v_add_u32_e32 v0, -1, v0
	v_cmp_ne_u32_e32 vcc, 1, v0
	s_and_saveexec_b64 s[4:5], vcc
	s_cbranch_execz .LBB10_98
; %bb.97:
	v_mov_b32_e32 v1, 0
	v_lshl_add_u32 v0, v0, 3, v1
	buffer_load_dword v1, v0, s[0:3], 0 offen
	buffer_load_dword v24, v0, s[0:3], 0 offen offset:4
	buffer_load_dword v25, off, s[0:3], 0 offset:8
	buffer_load_dword v26, off, s[0:3], 0 offset:12
	s_waitcnt vmcnt(3)
	buffer_store_dword v1, off, s[0:3], 0 offset:8
	s_waitcnt vmcnt(3)
	buffer_store_dword v24, off, s[0:3], 0 offset:12
	s_waitcnt vmcnt(3)
	buffer_store_dword v25, v0, s[0:3], 0 offen
	s_waitcnt vmcnt(3)
	buffer_store_dword v26, v0, s[0:3], 0 offen offset:4
.LBB10_98:
	s_or_b64 exec, exec, s[4:5]
	v_pk_mov_b32 v[0:1], s[10:11], s[10:11] op_sel:[0,1]
	flat_load_dword v24, v[0:1]
	s_nop 0
	buffer_load_dword v0, off, s[0:3], 0
	buffer_load_dword v1, off, s[0:3], 0 offset:4
	s_waitcnt vmcnt(0) lgkmcnt(0)
	v_add_u32_e32 v24, -1, v24
	v_cmp_ne_u32_e32 vcc, 0, v24
	s_and_saveexec_b64 s[4:5], vcc
	s_cbranch_execz .LBB10_100
; %bb.99:
	v_mov_b32_e32 v25, 0
	v_lshl_add_u32 v24, v24, 3, v25
	buffer_load_dword v25, v24, s[0:3], 0 offen offset:4
	buffer_load_dword v26, v24, s[0:3], 0 offen
	s_waitcnt vmcnt(1)
	buffer_store_dword v25, off, s[0:3], 0 offset:4
	s_waitcnt vmcnt(1)
	buffer_store_dword v26, off, s[0:3], 0
	buffer_store_dword v1, v24, s[0:3], 0 offen offset:4
	buffer_store_dword v0, v24, s[0:3], 0 offen
	buffer_load_dword v0, off, s[0:3], 0
	s_nop 0
	buffer_load_dword v1, off, s[0:3], 0 offset:4
.LBB10_100:
	s_or_b64 exec, exec, s[4:5]
.LBB10_101:
	buffer_load_dword v24, off, s[0:3], 0 offset:8
	buffer_load_dword v25, off, s[0:3], 0 offset:12
	;; [unrolled: 1-line block ×20, first 2 shown]
	s_waitcnt vmcnt(20)
	global_store_dwordx2 v[2:3], v[0:1], off
	s_waitcnt vmcnt(19)
	global_store_dwordx2 v[4:5], v[24:25], off
	;; [unrolled: 2-line block ×11, first 2 shown]
	s_endpgm
	.section	.rodata,"a",@progbits
	.p2align	6, 0x0
	.amdhsa_kernel _ZN9rocsolver6v33100L18getri_kernel_smallILi11E19rocblas_complex_numIfEPS3_EEvT1_iilPiilS6_bb
		.amdhsa_group_segment_fixed_size 184
		.amdhsa_private_segment_fixed_size 96
		.amdhsa_kernarg_size 60
		.amdhsa_user_sgpr_count 8
		.amdhsa_user_sgpr_private_segment_buffer 1
		.amdhsa_user_sgpr_dispatch_ptr 0
		.amdhsa_user_sgpr_queue_ptr 0
		.amdhsa_user_sgpr_kernarg_segment_ptr 1
		.amdhsa_user_sgpr_dispatch_id 0
		.amdhsa_user_sgpr_flat_scratch_init 1
		.amdhsa_user_sgpr_kernarg_preload_length 0
		.amdhsa_user_sgpr_kernarg_preload_offset 0
		.amdhsa_user_sgpr_private_segment_size 0
		.amdhsa_uses_dynamic_stack 0
		.amdhsa_system_sgpr_private_segment_wavefront_offset 1
		.amdhsa_system_sgpr_workgroup_id_x 1
		.amdhsa_system_sgpr_workgroup_id_y 0
		.amdhsa_system_sgpr_workgroup_id_z 0
		.amdhsa_system_sgpr_workgroup_info 0
		.amdhsa_system_vgpr_workitem_id 0
		.amdhsa_next_free_vgpr 80
		.amdhsa_next_free_sgpr 23
		.amdhsa_accum_offset 80
		.amdhsa_reserve_vcc 1
		.amdhsa_reserve_flat_scratch 1
		.amdhsa_float_round_mode_32 0
		.amdhsa_float_round_mode_16_64 0
		.amdhsa_float_denorm_mode_32 3
		.amdhsa_float_denorm_mode_16_64 3
		.amdhsa_dx10_clamp 1
		.amdhsa_ieee_mode 1
		.amdhsa_fp16_overflow 0
		.amdhsa_tg_split 0
		.amdhsa_exception_fp_ieee_invalid_op 0
		.amdhsa_exception_fp_denorm_src 0
		.amdhsa_exception_fp_ieee_div_zero 0
		.amdhsa_exception_fp_ieee_overflow 0
		.amdhsa_exception_fp_ieee_underflow 0
		.amdhsa_exception_fp_ieee_inexact 0
		.amdhsa_exception_int_div_zero 0
	.end_amdhsa_kernel
	.section	.text._ZN9rocsolver6v33100L18getri_kernel_smallILi11E19rocblas_complex_numIfEPS3_EEvT1_iilPiilS6_bb,"axG",@progbits,_ZN9rocsolver6v33100L18getri_kernel_smallILi11E19rocblas_complex_numIfEPS3_EEvT1_iilPiilS6_bb,comdat
.Lfunc_end10:
	.size	_ZN9rocsolver6v33100L18getri_kernel_smallILi11E19rocblas_complex_numIfEPS3_EEvT1_iilPiilS6_bb, .Lfunc_end10-_ZN9rocsolver6v33100L18getri_kernel_smallILi11E19rocblas_complex_numIfEPS3_EEvT1_iilPiilS6_bb
                                        ; -- End function
	.section	.AMDGPU.csdata,"",@progbits
; Kernel info:
; codeLenInByte = 10376
; NumSgprs: 29
; NumVgprs: 80
; NumAgprs: 0
; TotalNumVgprs: 80
; ScratchSize: 96
; MemoryBound: 0
; FloatMode: 240
; IeeeMode: 1
; LDSByteSize: 184 bytes/workgroup (compile time only)
; SGPRBlocks: 3
; VGPRBlocks: 9
; NumSGPRsForWavesPerEU: 29
; NumVGPRsForWavesPerEU: 80
; AccumOffset: 80
; Occupancy: 6
; WaveLimiterHint : 1
; COMPUTE_PGM_RSRC2:SCRATCH_EN: 1
; COMPUTE_PGM_RSRC2:USER_SGPR: 8
; COMPUTE_PGM_RSRC2:TRAP_HANDLER: 0
; COMPUTE_PGM_RSRC2:TGID_X_EN: 1
; COMPUTE_PGM_RSRC2:TGID_Y_EN: 0
; COMPUTE_PGM_RSRC2:TGID_Z_EN: 0
; COMPUTE_PGM_RSRC2:TIDIG_COMP_CNT: 0
; COMPUTE_PGM_RSRC3_GFX90A:ACCUM_OFFSET: 19
; COMPUTE_PGM_RSRC3_GFX90A:TG_SPLIT: 0
	.section	.text._ZN9rocsolver6v33100L18getri_kernel_smallILi12E19rocblas_complex_numIfEPS3_EEvT1_iilPiilS6_bb,"axG",@progbits,_ZN9rocsolver6v33100L18getri_kernel_smallILi12E19rocblas_complex_numIfEPS3_EEvT1_iilPiilS6_bb,comdat
	.globl	_ZN9rocsolver6v33100L18getri_kernel_smallILi12E19rocblas_complex_numIfEPS3_EEvT1_iilPiilS6_bb ; -- Begin function _ZN9rocsolver6v33100L18getri_kernel_smallILi12E19rocblas_complex_numIfEPS3_EEvT1_iilPiilS6_bb
	.p2align	8
	.type	_ZN9rocsolver6v33100L18getri_kernel_smallILi12E19rocblas_complex_numIfEPS3_EEvT1_iilPiilS6_bb,@function
_ZN9rocsolver6v33100L18getri_kernel_smallILi12E19rocblas_complex_numIfEPS3_EEvT1_iilPiilS6_bb: ; @_ZN9rocsolver6v33100L18getri_kernel_smallILi12E19rocblas_complex_numIfEPS3_EEvT1_iilPiilS6_bb
; %bb.0:
	s_add_u32 flat_scratch_lo, s6, s9
	s_addc_u32 flat_scratch_hi, s7, 0
	s_add_u32 s0, s0, s9
	s_addc_u32 s1, s1, 0
	v_cmp_gt_u32_e32 vcc, 12, v0
	s_and_saveexec_b64 s[6:7], vcc
	s_cbranch_execz .LBB11_62
; %bb.1:
	s_load_dword s22, s[4:5], 0x38
	s_load_dwordx4 s[16:19], s[4:5], 0x10
	s_load_dwordx4 s[12:15], s[4:5], 0x28
                                        ; implicit-def: $sgpr10_sgpr11
	s_waitcnt lgkmcnt(0)
	s_bitcmp1_b32 s22, 8
	s_cselect_b64 s[20:21], -1, 0
	s_ashr_i32 s9, s8, 31
	s_bfe_u32 s6, s22, 0x10008
	s_cmp_eq_u32 s6, 0
	s_cbranch_scc1 .LBB11_3
; %bb.2:
	s_load_dword s6, s[4:5], 0x20
	s_mul_i32 s7, s8, s13
	s_mul_hi_u32 s10, s8, s12
	s_mul_i32 s11, s9, s12
	s_add_i32 s10, s10, s7
	s_add_i32 s11, s10, s11
	s_mul_i32 s10, s8, s12
	s_waitcnt lgkmcnt(0)
	s_ashr_i32 s7, s6, 31
	s_lshl_b64 s[10:11], s[10:11], 2
	s_add_u32 s10, s18, s10
	s_addc_u32 s11, s19, s11
	s_lshl_b64 s[6:7], s[6:7], 2
	s_add_u32 s10, s10, s6
	s_addc_u32 s11, s11, s7
.LBB11_3:
	s_load_dwordx4 s[4:7], s[4:5], 0x0
	s_mul_i32 s12, s8, s17
	s_mul_hi_u32 s13, s8, s16
	s_add_i32 s17, s13, s12
	v_lshlrev_b32_e32 v30, 3, v0
	s_waitcnt lgkmcnt(0)
	s_ashr_i32 s13, s6, 31
	s_mov_b32 s12, s6
	s_mul_i32 s6, s9, s16
	s_add_i32 s17, s17, s6
	s_mul_i32 s16, s8, s16
	s_lshl_b64 s[16:17], s[16:17], 3
	s_add_u32 s6, s4, s16
	s_addc_u32 s16, s5, s17
	s_lshl_b64 s[4:5], s[12:13], 3
	s_add_u32 s4, s6, s4
	s_addc_u32 s5, s16, s5
	v_mov_b32_e32 v1, s5
	v_add_co_u32_e32 v2, vcc, s4, v30
	s_ashr_i32 s13, s7, 31
	s_mov_b32 s12, s7
	s_add_i32 s6, s7, s7
	v_addc_co_u32_e32 v3, vcc, 0, v1, vcc
	s_lshl_b64 s[12:13], s[12:13], 3
	v_add_u32_e32 v8, s6, v0
	v_mov_b32_e32 v1, s13
	v_add_co_u32_e32 v4, vcc, s12, v2
	v_ashrrev_i32_e32 v9, 31, v8
	v_addc_co_u32_e32 v5, vcc, v3, v1, vcc
	v_lshlrev_b64 v[6:7], 3, v[8:9]
	v_add_u32_e32 v10, s7, v8
	v_mov_b32_e32 v1, s5
	v_add_co_u32_e32 v6, vcc, s4, v6
	v_ashrrev_i32_e32 v11, 31, v10
	v_addc_co_u32_e32 v7, vcc, v1, v7, vcc
	v_lshlrev_b64 v[8:9], 3, v[10:11]
	v_add_u32_e32 v12, s7, v10
	v_add_co_u32_e32 v8, vcc, s4, v8
	v_ashrrev_i32_e32 v13, 31, v12
	v_addc_co_u32_e32 v9, vcc, v1, v9, vcc
	v_lshlrev_b64 v[10:11], 3, v[12:13]
	v_add_u32_e32 v14, s7, v12
	;; [unrolled: 5-line block ×7, first 2 shown]
	v_add_co_u32_e32 v20, vcc, s4, v20
	v_ashrrev_i32_e32 v25, 31, v24
	v_addc_co_u32_e32 v21, vcc, v1, v21, vcc
	v_lshlrev_b64 v[22:23], 3, v[24:25]
	v_add_co_u32_e32 v22, vcc, s4, v22
	global_load_dwordx2 v[26:27], v30, s[4:5]
	global_load_dwordx2 v[28:29], v[4:5], off
	global_load_dwordx2 v[32:33], v[6:7], off
	;; [unrolled: 1-line block ×8, first 2 shown]
	v_addc_co_u32_e32 v23, vcc, v1, v23, vcc
	global_load_dwordx2 v[46:47], v[20:21], off
	global_load_dwordx2 v[48:49], v[22:23], off
	v_add_u32_e32 v24, s7, v24
	v_ashrrev_i32_e32 v25, 31, v24
	v_lshlrev_b64 v[24:25], 3, v[24:25]
	v_add_co_u32_e32 v24, vcc, s4, v24
	v_addc_co_u32_e32 v25, vcc, v1, v25, vcc
	global_load_dwordx2 v[50:51], v[24:25], off
	s_bitcmp0_b32 s22, 0
	s_mov_b64 s[6:7], -1
	s_waitcnt vmcnt(11)
	buffer_store_dword v27, off, s[0:3], 0 offset:4
	buffer_store_dword v26, off, s[0:3], 0
	s_waitcnt vmcnt(12)
	buffer_store_dword v29, off, s[0:3], 0 offset:12
	buffer_store_dword v28, off, s[0:3], 0 offset:8
	s_waitcnt vmcnt(13)
	buffer_store_dword v33, off, s[0:3], 0 offset:20
	buffer_store_dword v32, off, s[0:3], 0 offset:16
	;; [unrolled: 3-line block ×11, first 2 shown]
	s_cbranch_scc1 .LBB11_60
; %bb.4:
	v_cmp_eq_u32_e64 s[4:5], 0, v0
	s_and_saveexec_b64 s[6:7], s[4:5]
	s_cbranch_execz .LBB11_6
; %bb.5:
	v_mov_b32_e32 v1, 0
	ds_write_b32 v1, v1 offset:192
.LBB11_6:
	s_or_b64 exec, exec, s[6:7]
	v_mov_b32_e32 v1, 0
	v_lshl_add_u32 v31, v0, 3, v1
	s_waitcnt lgkmcnt(0)
	; wave barrier
	s_waitcnt lgkmcnt(0)
	buffer_load_dword v1, v31, s[0:3], 0 offen
	buffer_load_dword v26, v31, s[0:3], 0 offen offset:4
	s_waitcnt vmcnt(1)
	v_cmp_eq_f32_e32 vcc, 0, v1
	s_waitcnt vmcnt(0)
	v_cmp_eq_f32_e64 s[6:7], 0, v26
	s_and_b64 s[6:7], vcc, s[6:7]
	s_and_saveexec_b64 s[12:13], s[6:7]
	s_cbranch_execz .LBB11_10
; %bb.7:
	v_mov_b32_e32 v1, 0
	ds_read_b32 v27, v1 offset:192
	v_add_u32_e32 v26, 1, v0
	s_waitcnt lgkmcnt(0)
	v_readfirstlane_b32 s6, v27
	s_cmp_eq_u32 s6, 0
	s_cselect_b64 s[16:17], -1, 0
	v_cmp_gt_i32_e32 vcc, s6, v26
	s_or_b64 s[16:17], s[16:17], vcc
	s_and_b64 exec, exec, s[16:17]
	s_cbranch_execz .LBB11_10
; %bb.8:
	s_mov_b64 s[16:17], 0
	v_mov_b32_e32 v27, s6
.LBB11_9:                               ; =>This Inner Loop Header: Depth=1
	ds_cmpst_rtn_b32 v27, v1, v27, v26 offset:192
	s_waitcnt lgkmcnt(0)
	v_cmp_ne_u32_e32 vcc, 0, v27
	v_cmp_le_i32_e64 s[6:7], v27, v26
	s_and_b64 s[6:7], vcc, s[6:7]
	s_and_b64 s[6:7], exec, s[6:7]
	s_or_b64 s[16:17], s[6:7], s[16:17]
	s_andn2_b64 exec, exec, s[16:17]
	s_cbranch_execnz .LBB11_9
.LBB11_10:
	s_or_b64 exec, exec, s[12:13]
	v_mov_b32_e32 v26, 0
	s_waitcnt lgkmcnt(0)
	; wave barrier
	ds_read_b32 v1, v26 offset:192
	s_and_saveexec_b64 s[6:7], s[4:5]
	s_cbranch_execz .LBB11_12
; %bb.11:
	s_lshl_b64 s[12:13], s[8:9], 2
	s_add_u32 s12, s14, s12
	s_addc_u32 s13, s15, s13
	s_waitcnt lgkmcnt(0)
	global_store_dword v26, v1, s[12:13]
.LBB11_12:
	s_or_b64 exec, exec, s[6:7]
	s_waitcnt lgkmcnt(0)
	v_cmp_ne_u32_e32 vcc, 0, v1
	s_mov_b64 s[6:7], 0
	s_cbranch_vccnz .LBB11_60
; %bb.13:
	buffer_load_dword v32, v31, s[0:3], 0 offen offset:4
	buffer_load_dword v27, v31, s[0:3], 0 offen
	s_waitcnt vmcnt(1)
	v_cmp_gt_f32_e32 vcc, 0, v32
	v_cndmask_b32_e64 v1, v32, -v32, vcc
	s_waitcnt vmcnt(0)
	v_cmp_gt_f32_e32 vcc, 0, v27
	v_cndmask_b32_e64 v26, v27, -v27, vcc
	v_cmp_ngt_f32_e32 vcc, v26, v1
                                        ; implicit-def: $vgpr1
                                        ; implicit-def: $vgpr26
	s_and_saveexec_b64 s[6:7], vcc
	s_xor_b64 s[6:7], exec, s[6:7]
                                        ; implicit-def: $vgpr28_vgpr29
	s_cbranch_execz .LBB11_15
; %bb.14:
	v_div_scale_f32 v1, s[12:13], v32, v32, v27
	v_rcp_f32_e32 v26, v1
	v_div_scale_f32 v28, vcc, v27, v32, v27
	v_fma_f32 v29, -v1, v26, 1.0
	v_fmac_f32_e32 v26, v29, v26
	v_mul_f32_e32 v29, v28, v26
	v_fma_f32 v33, -v1, v29, v28
	v_fmac_f32_e32 v29, v33, v26
	v_fma_f32 v1, -v1, v29, v28
	v_div_fmas_f32 v1, v1, v26, v29
	v_div_fixup_f32 v26, v1, v32, v27
	v_fmac_f32_e32 v32, v27, v26
	v_div_scale_f32 v1, s[12:13], v32, v32, -1.0
	v_rcp_f32_e32 v27, v1
	v_fma_f32 v28, -v1, v27, 1.0
	v_fmac_f32_e32 v27, v28, v27
	v_div_scale_f32 v28, vcc, -1.0, v32, -1.0
	v_mul_f32_e32 v29, v28, v27
	v_fma_f32 v33, -v1, v29, v28
	v_fmac_f32_e32 v29, v33, v27
	v_fma_f32 v1, -v1, v29, v28
	v_div_fmas_f32 v1, v1, v27, v29
	v_div_fixup_f32 v1, v1, v32, -1.0
	v_mul_f32_e32 v26, v26, v1
	v_xor_b32_e32 v28, 0x80000000, v26
                                        ; implicit-def: $vgpr27
                                        ; implicit-def: $vgpr32
.LBB11_15:
	s_andn2_saveexec_b64 s[6:7], s[6:7]
	s_cbranch_execz .LBB11_17
; %bb.16:
	v_div_scale_f32 v1, s[12:13], v27, v27, v32
	v_rcp_f32_e32 v26, v1
	v_div_scale_f32 v28, vcc, v32, v27, v32
	v_fma_f32 v29, -v1, v26, 1.0
	v_fmac_f32_e32 v26, v29, v26
	v_mul_f32_e32 v29, v28, v26
	v_fma_f32 v33, -v1, v29, v28
	v_fmac_f32_e32 v29, v33, v26
	v_fma_f32 v1, -v1, v29, v28
	v_div_fmas_f32 v1, v1, v26, v29
	v_div_fixup_f32 v1, v1, v27, v32
	v_fmac_f32_e32 v27, v32, v1
	v_div_scale_f32 v26, s[12:13], v27, v27, 1.0
	v_rcp_f32_e32 v28, v26
	v_fma_f32 v29, -v26, v28, 1.0
	v_fmac_f32_e32 v28, v29, v28
	v_div_scale_f32 v29, vcc, 1.0, v27, 1.0
	v_mul_f32_e32 v32, v29, v28
	v_fma_f32 v33, -v26, v32, v29
	v_fmac_f32_e32 v32, v33, v28
	v_fma_f32 v26, -v26, v32, v29
	v_div_fmas_f32 v26, v26, v28, v32
	v_div_fixup_f32 v28, v26, v27, 1.0
	v_xor_b32_e32 v26, 0x80000000, v28
	v_mul_f32_e64 v1, v1, -v28
.LBB11_17:
	s_or_b64 exec, exec, s[6:7]
	buffer_store_dword v1, v31, s[0:3], 0 offen offset:4
	buffer_store_dword v28, v31, s[0:3], 0 offen
	buffer_load_dword v29, off, s[0:3], 0 offset:12
	s_nop 0
	buffer_load_dword v28, off, s[0:3], 0 offset:8
	v_xor_b32_e32 v27, 0x80000000, v1
	v_add_u32_e32 v1, 0x60, v30
	s_waitcnt vmcnt(0)
	ds_write2_b64 v30, v[26:27], v[28:29] offset1:12
	s_waitcnt lgkmcnt(0)
	; wave barrier
	s_waitcnt lgkmcnt(0)
	s_and_saveexec_b64 s[6:7], s[4:5]
	s_cbranch_execz .LBB11_19
; %bb.18:
	buffer_load_dword v32, v31, s[0:3], 0 offen offset:4
	buffer_load_dword v33, v31, s[0:3], 0 offen
	ds_read_b64 v[26:27], v1
	v_mov_b32_e32 v28, 0
	ds_read_b64 v[28:29], v28 offset:8
	s_waitcnt vmcnt(1) lgkmcnt(1)
	v_mul_f32_e32 v34, v27, v32
	v_mul_f32_e32 v32, v26, v32
	s_waitcnt vmcnt(0)
	v_fmac_f32_e32 v32, v27, v33
	v_fma_f32 v26, v26, v33, -v34
	v_add_f32_e32 v27, 0, v32
	v_add_f32_e32 v26, 0, v26
	s_waitcnt lgkmcnt(0)
	v_mul_f32_e32 v32, v27, v29
	v_mul_f32_e32 v29, v26, v29
	v_fma_f32 v26, v26, v28, -v32
	v_fmac_f32_e32 v29, v27, v28
	buffer_store_dword v26, off, s[0:3], 0 offset:8
	buffer_store_dword v29, off, s[0:3], 0 offset:12
.LBB11_19:
	s_or_b64 exec, exec, s[6:7]
	s_waitcnt lgkmcnt(0)
	; wave barrier
	buffer_load_dword v26, off, s[0:3], 0 offset:16
	buffer_load_dword v27, off, s[0:3], 0 offset:20
	v_cmp_gt_u32_e32 vcc, 2, v0
	s_waitcnt vmcnt(0)
	ds_write_b64 v1, v[26:27]
	s_waitcnt lgkmcnt(0)
	; wave barrier
	s_waitcnt lgkmcnt(0)
	s_and_saveexec_b64 s[6:7], vcc
	s_cbranch_execz .LBB11_23
; %bb.20:
	buffer_load_dword v28, v31, s[0:3], 0 offen offset:4
	buffer_load_dword v29, v31, s[0:3], 0 offen
	ds_read_b64 v[26:27], v1
	s_waitcnt vmcnt(1) lgkmcnt(0)
	v_mul_f32_e32 v31, v27, v28
	v_mul_f32_e32 v28, v26, v28
	s_waitcnt vmcnt(0)
	v_fma_f32 v26, v26, v29, -v31
	v_fmac_f32_e32 v28, v27, v29
	v_add_f32_e32 v27, 0, v26
	v_add_f32_e32 v26, 0, v28
	s_and_saveexec_b64 s[12:13], s[4:5]
	s_cbranch_execz .LBB11_22
; %bb.21:
	buffer_load_dword v31, off, s[0:3], 0 offset:12
	buffer_load_dword v32, off, s[0:3], 0 offset:8
	v_mov_b32_e32 v28, 0
	ds_read_b64 v[28:29], v28 offset:104
	s_waitcnt vmcnt(1) lgkmcnt(0)
	v_mul_f32_e32 v33, v28, v31
	v_mul_f32_e32 v31, v29, v31
	s_waitcnt vmcnt(0)
	v_fmac_f32_e32 v33, v29, v32
	v_fma_f32 v28, v28, v32, -v31
	v_add_f32_e32 v26, v26, v33
	v_add_f32_e32 v27, v27, v28
.LBB11_22:
	s_or_b64 exec, exec, s[12:13]
	v_mov_b32_e32 v28, 0
	ds_read_b64 v[28:29], v28 offset:16
	s_waitcnt lgkmcnt(0)
	v_mul_f32_e32 v31, v26, v29
	v_mul_f32_e32 v29, v27, v29
	v_fma_f32 v27, v27, v28, -v31
	v_fmac_f32_e32 v29, v26, v28
	buffer_store_dword v27, off, s[0:3], 0 offset:16
	buffer_store_dword v29, off, s[0:3], 0 offset:20
.LBB11_23:
	s_or_b64 exec, exec, s[6:7]
	s_waitcnt lgkmcnt(0)
	; wave barrier
	buffer_load_dword v26, off, s[0:3], 0 offset:24
	buffer_load_dword v27, off, s[0:3], 0 offset:28
	v_cmp_gt_u32_e32 vcc, 3, v0
	s_waitcnt vmcnt(0)
	ds_write_b64 v1, v[26:27]
	v_add_u32_e32 v26, -1, v0
	s_waitcnt lgkmcnt(0)
	; wave barrier
	s_waitcnt lgkmcnt(0)
	s_and_saveexec_b64 s[4:5], vcc
	s_cbranch_execz .LBB11_27
; %bb.24:
	v_add_u32_e32 v28, -1, v0
	v_add_u32_e32 v29, 0x60, v30
	v_add_u32_e32 v31, 0, v30
	s_mov_b64 s[6:7], 0
	v_mov_b32_e32 v27, 0
	v_mov_b32_e32 v32, 0
.LBB11_25:                              ; =>This Inner Loop Header: Depth=1
	buffer_load_dword v33, v31, s[0:3], 0 offen offset:4
	buffer_load_dword v36, v31, s[0:3], 0 offen
	ds_read_b64 v[34:35], v29
	v_add_u32_e32 v28, 1, v28
	v_cmp_lt_u32_e32 vcc, 1, v28
	v_add_u32_e32 v29, 8, v29
	v_add_u32_e32 v31, 8, v31
	s_or_b64 s[6:7], vcc, s[6:7]
	s_waitcnt vmcnt(1) lgkmcnt(0)
	v_mul_f32_e32 v37, v35, v33
	v_mul_f32_e32 v33, v34, v33
	s_waitcnt vmcnt(0)
	v_fma_f32 v34, v34, v36, -v37
	v_fmac_f32_e32 v33, v35, v36
	v_add_f32_e32 v32, v32, v34
	v_add_f32_e32 v27, v27, v33
	s_andn2_b64 exec, exec, s[6:7]
	s_cbranch_execnz .LBB11_25
; %bb.26:
	s_or_b64 exec, exec, s[6:7]
	v_mov_b32_e32 v28, 0
	ds_read_b64 v[28:29], v28 offset:24
	s_waitcnt lgkmcnt(0)
	v_mul_f32_e32 v31, v27, v29
	v_mul_f32_e32 v29, v32, v29
	v_fma_f32 v31, v32, v28, -v31
	v_fmac_f32_e32 v29, v27, v28
	buffer_store_dword v31, off, s[0:3], 0 offset:24
	buffer_store_dword v29, off, s[0:3], 0 offset:28
.LBB11_27:
	s_or_b64 exec, exec, s[4:5]
	s_waitcnt lgkmcnt(0)
	; wave barrier
	buffer_load_dword v28, off, s[0:3], 0 offset:32
	buffer_load_dword v29, off, s[0:3], 0 offset:36
	v_cmp_gt_u32_e32 vcc, 4, v0
	s_waitcnt vmcnt(0)
	ds_write_b64 v1, v[28:29]
	s_waitcnt lgkmcnt(0)
	; wave barrier
	s_waitcnt lgkmcnt(0)
	s_and_saveexec_b64 s[4:5], vcc
	s_cbranch_execz .LBB11_31
; %bb.28:
	v_add_u32_e32 v28, -1, v0
	v_add_u32_e32 v29, 0x60, v30
	v_add_u32_e32 v31, 0, v30
	s_mov_b64 s[6:7], 0
	v_mov_b32_e32 v27, 0
	v_mov_b32_e32 v32, 0
.LBB11_29:                              ; =>This Inner Loop Header: Depth=1
	buffer_load_dword v33, v31, s[0:3], 0 offen offset:4
	buffer_load_dword v36, v31, s[0:3], 0 offen
	ds_read_b64 v[34:35], v29
	v_add_u32_e32 v28, 1, v28
	v_cmp_lt_u32_e32 vcc, 2, v28
	v_add_u32_e32 v29, 8, v29
	v_add_u32_e32 v31, 8, v31
	s_or_b64 s[6:7], vcc, s[6:7]
	s_waitcnt vmcnt(1) lgkmcnt(0)
	v_mul_f32_e32 v37, v35, v33
	v_mul_f32_e32 v33, v34, v33
	s_waitcnt vmcnt(0)
	v_fma_f32 v34, v34, v36, -v37
	v_fmac_f32_e32 v33, v35, v36
	v_add_f32_e32 v32, v32, v34
	v_add_f32_e32 v27, v27, v33
	s_andn2_b64 exec, exec, s[6:7]
	s_cbranch_execnz .LBB11_29
; %bb.30:
	s_or_b64 exec, exec, s[6:7]
	v_mov_b32_e32 v28, 0
	ds_read_b64 v[28:29], v28 offset:32
	s_waitcnt lgkmcnt(0)
	v_mul_f32_e32 v31, v27, v29
	v_mul_f32_e32 v29, v32, v29
	v_fma_f32 v31, v32, v28, -v31
	v_fmac_f32_e32 v29, v27, v28
	buffer_store_dword v31, off, s[0:3], 0 offset:32
	buffer_store_dword v29, off, s[0:3], 0 offset:36
.LBB11_31:
	s_or_b64 exec, exec, s[4:5]
	s_waitcnt lgkmcnt(0)
	; wave barrier
	buffer_load_dword v28, off, s[0:3], 0 offset:40
	buffer_load_dword v29, off, s[0:3], 0 offset:44
	v_cmp_gt_u32_e32 vcc, 5, v0
	s_waitcnt vmcnt(0)
	ds_write_b64 v1, v[28:29]
	;; [unrolled: 51-line block ×7, first 2 shown]
	s_waitcnt lgkmcnt(0)
	; wave barrier
	s_waitcnt lgkmcnt(0)
	s_and_saveexec_b64 s[4:5], vcc
	s_cbranch_execz .LBB11_55
; %bb.52:
	v_add_u32_e32 v28, -1, v0
	v_add_u32_e32 v29, 0x60, v30
	v_add_u32_e32 v31, 0, v30
	s_mov_b64 s[6:7], 0
	v_mov_b32_e32 v27, 0
	v_mov_b32_e32 v32, 0
.LBB11_53:                              ; =>This Inner Loop Header: Depth=1
	buffer_load_dword v33, v31, s[0:3], 0 offen offset:4
	buffer_load_dword v36, v31, s[0:3], 0 offen
	ds_read_b64 v[34:35], v29
	v_add_u32_e32 v28, 1, v28
	v_cmp_lt_u32_e32 vcc, 8, v28
	v_add_u32_e32 v29, 8, v29
	v_add_u32_e32 v31, 8, v31
	s_or_b64 s[6:7], vcc, s[6:7]
	s_waitcnt vmcnt(1) lgkmcnt(0)
	v_mul_f32_e32 v37, v35, v33
	v_mul_f32_e32 v33, v34, v33
	s_waitcnt vmcnt(0)
	v_fma_f32 v34, v34, v36, -v37
	v_fmac_f32_e32 v33, v35, v36
	v_add_f32_e32 v32, v32, v34
	v_add_f32_e32 v27, v27, v33
	s_andn2_b64 exec, exec, s[6:7]
	s_cbranch_execnz .LBB11_53
; %bb.54:
	s_or_b64 exec, exec, s[6:7]
	v_mov_b32_e32 v28, 0
	ds_read_b64 v[28:29], v28 offset:80
	s_waitcnt lgkmcnt(0)
	v_mul_f32_e32 v31, v27, v29
	v_mul_f32_e32 v29, v32, v29
	v_fma_f32 v31, v32, v28, -v31
	v_fmac_f32_e32 v29, v27, v28
	buffer_store_dword v31, off, s[0:3], 0 offset:80
	buffer_store_dword v29, off, s[0:3], 0 offset:84
.LBB11_55:
	s_or_b64 exec, exec, s[4:5]
	s_waitcnt lgkmcnt(0)
	; wave barrier
	buffer_load_dword v28, off, s[0:3], 0 offset:88
	buffer_load_dword v29, off, s[0:3], 0 offset:92
	v_cmp_ne_u32_e32 vcc, 11, v0
	s_waitcnt vmcnt(0)
	ds_write_b64 v1, v[28:29]
	s_waitcnt lgkmcnt(0)
	; wave barrier
	s_waitcnt lgkmcnt(0)
	s_and_saveexec_b64 s[4:5], vcc
	s_cbranch_execz .LBB11_59
; %bb.56:
	v_add_u32_e32 v27, 0x60, v30
	v_add_u32_e32 v28, 0, v30
	s_mov_b64 s[6:7], 0
	v_mov_b32_e32 v1, 0
	v_mov_b32_e32 v29, 0
.LBB11_57:                              ; =>This Inner Loop Header: Depth=1
	buffer_load_dword v32, v28, s[0:3], 0 offen offset:4
	buffer_load_dword v33, v28, s[0:3], 0 offen
	ds_read_b64 v[30:31], v27
	v_add_u32_e32 v26, 1, v26
	v_cmp_lt_u32_e32 vcc, 9, v26
	v_add_u32_e32 v27, 8, v27
	v_add_u32_e32 v28, 8, v28
	s_or_b64 s[6:7], vcc, s[6:7]
	s_waitcnt vmcnt(1) lgkmcnt(0)
	v_mul_f32_e32 v34, v31, v32
	v_mul_f32_e32 v32, v30, v32
	s_waitcnt vmcnt(0)
	v_fma_f32 v30, v30, v33, -v34
	v_fmac_f32_e32 v32, v31, v33
	v_add_f32_e32 v29, v29, v30
	v_add_f32_e32 v1, v1, v32
	s_andn2_b64 exec, exec, s[6:7]
	s_cbranch_execnz .LBB11_57
; %bb.58:
	s_or_b64 exec, exec, s[6:7]
	v_mov_b32_e32 v26, 0
	ds_read_b64 v[26:27], v26 offset:88
	s_waitcnt lgkmcnt(0)
	v_mul_f32_e32 v28, v1, v27
	v_mul_f32_e32 v27, v29, v27
	v_fma_f32 v28, v29, v26, -v28
	v_fmac_f32_e32 v27, v1, v26
	buffer_store_dword v28, off, s[0:3], 0 offset:88
	buffer_store_dword v27, off, s[0:3], 0 offset:92
.LBB11_59:
	s_or_b64 exec, exec, s[4:5]
	s_mov_b64 s[6:7], -1
	s_waitcnt lgkmcnt(0)
	; wave barrier
.LBB11_60:
	s_and_b64 vcc, exec, s[6:7]
	s_cbranch_vccz .LBB11_62
; %bb.61:
	s_lshl_b64 s[4:5], s[8:9], 2
	s_add_u32 s4, s14, s4
	s_addc_u32 s5, s15, s5
	v_mov_b32_e32 v1, 0
	global_load_dword v1, v1, s[4:5]
	s_waitcnt vmcnt(0)
	v_cmp_ne_u32_e32 vcc, 0, v1
	s_cbranch_vccz .LBB11_63
.LBB11_62:
	s_endpgm
.LBB11_63:
	v_mov_b32_e32 v1, 0x60
	v_lshl_add_u32 v1, v0, 3, v1
	v_cmp_eq_u32_e32 vcc, 11, v0
	s_and_saveexec_b64 s[4:5], vcc
	s_cbranch_execz .LBB11_65
; %bb.64:
	buffer_load_dword v26, off, s[0:3], 0 offset:80
	buffer_load_dword v27, off, s[0:3], 0 offset:84
	v_mov_b32_e32 v28, 0
	buffer_store_dword v28, off, s[0:3], 0 offset:80
	buffer_store_dword v28, off, s[0:3], 0 offset:84
	s_waitcnt vmcnt(2)
	ds_write_b64 v1, v[26:27]
.LBB11_65:
	s_or_b64 exec, exec, s[4:5]
	s_waitcnt lgkmcnt(0)
	; wave barrier
	s_waitcnt lgkmcnt(0)
	buffer_load_dword v29, off, s[0:3], 0 offset:92
	buffer_load_dword v28, off, s[0:3], 0 offset:88
	;; [unrolled: 1-line block ×4, first 2 shown]
	v_mov_b32_e32 v26, 0
	ds_read_b64 v[32:33], v26 offset:184
	v_cmp_lt_u32_e32 vcc, 9, v0
	s_waitcnt vmcnt(3)
	v_mov_b32_e32 v34, v29
	s_waitcnt lgkmcnt(0)
	v_pk_mul_f32 v[34:35], v[32:33], v[34:35] op_sel_hi:[1,0]
	s_waitcnt vmcnt(2)
	v_pk_fma_f32 v[36:37], v[32:33], v[28:29], v[34:35] op_sel:[0,0,1] op_sel_hi:[1,1,0] neg_lo:[0,0,1] neg_hi:[0,0,1]
	v_pk_fma_f32 v[28:29], v[32:33], v[28:29], v[34:35] op_sel:[0,0,1] op_sel_hi:[1,0,0]
	v_mov_b32_e32 v37, v29
	v_pk_add_f32 v[28:29], v[36:37], 0 op_sel_hi:[1,0]
	s_waitcnt vmcnt(0)
	v_pk_add_f32 v[28:29], v[30:31], v[28:29] neg_lo:[0,1] neg_hi:[0,1]
	buffer_store_dword v28, off, s[0:3], 0 offset:80
	buffer_store_dword v29, off, s[0:3], 0 offset:84
	s_and_saveexec_b64 s[4:5], vcc
	s_cbranch_execz .LBB11_67
; %bb.66:
	buffer_load_dword v28, off, s[0:3], 0 offset:72
	buffer_load_dword v29, off, s[0:3], 0 offset:76
	s_waitcnt vmcnt(0)
	ds_write_b64 v1, v[28:29]
	buffer_store_dword v26, off, s[0:3], 0 offset:72
	buffer_store_dword v26, off, s[0:3], 0 offset:76
.LBB11_67:
	s_or_b64 exec, exec, s[4:5]
	s_waitcnt lgkmcnt(0)
	; wave barrier
	s_waitcnt lgkmcnt(0)
	buffer_load_dword v31, off, s[0:3], 0 offset:84
	buffer_load_dword v33, off, s[0:3], 0 offset:92
	;; [unrolled: 1-line block ×6, first 2 shown]
	ds_read_b128 v[26:29], v26 offset:176
	v_cmp_lt_u32_e32 vcc, 8, v0
	s_waitcnt vmcnt(5)
	v_mov_b32_e32 v36, v31
	s_waitcnt vmcnt(4)
	v_mov_b32_e32 v38, v33
	s_waitcnt lgkmcnt(0)
	v_pk_mul_f32 v[36:37], v[26:27], v[36:37] op_sel_hi:[1,0]
	v_pk_mul_f32 v[38:39], v[28:29], v[38:39] op_sel_hi:[1,0]
	s_waitcnt vmcnt(3)
	v_pk_fma_f32 v[40:41], v[26:27], v[30:31], v[36:37] op_sel:[0,0,1] op_sel_hi:[1,1,0] neg_lo:[0,0,1] neg_hi:[0,0,1]
	v_pk_fma_f32 v[26:27], v[26:27], v[30:31], v[36:37] op_sel:[0,0,1] op_sel_hi:[1,0,0]
	s_waitcnt vmcnt(2)
	v_pk_fma_f32 v[30:31], v[28:29], v[32:33], v[38:39] op_sel:[0,0,1] op_sel_hi:[1,1,0] neg_lo:[0,0,1] neg_hi:[0,0,1]
	v_pk_fma_f32 v[28:29], v[28:29], v[32:33], v[38:39] op_sel:[0,0,1] op_sel_hi:[1,0,0]
	v_mov_b32_e32 v41, v27
	v_mov_b32_e32 v31, v29
	v_pk_add_f32 v[26:27], v[40:41], 0 op_sel_hi:[1,0]
	v_pk_add_f32 v[26:27], v[26:27], v[30:31]
	s_waitcnt vmcnt(0)
	v_pk_add_f32 v[26:27], v[34:35], v[26:27] neg_lo:[0,1] neg_hi:[0,1]
	buffer_store_dword v26, off, s[0:3], 0 offset:72
	buffer_store_dword v27, off, s[0:3], 0 offset:76
	s_and_saveexec_b64 s[4:5], vcc
	s_cbranch_execz .LBB11_69
; %bb.68:
	buffer_load_dword v26, off, s[0:3], 0 offset:64
	buffer_load_dword v27, off, s[0:3], 0 offset:68
	v_mov_b32_e32 v28, 0
	buffer_store_dword v28, off, s[0:3], 0 offset:64
	buffer_store_dword v28, off, s[0:3], 0 offset:68
	s_waitcnt vmcnt(2)
	ds_write_b64 v1, v[26:27]
.LBB11_69:
	s_or_b64 exec, exec, s[4:5]
	s_waitcnt lgkmcnt(0)
	; wave barrier
	s_waitcnt lgkmcnt(0)
	buffer_load_dword v33, off, s[0:3], 0 offset:76
	buffer_load_dword v35, off, s[0:3], 0 offset:84
	;; [unrolled: 1-line block ×8, first 2 shown]
	v_mov_b32_e32 v26, 0
	ds_read2_b64 v[28:31], v26 offset0:21 offset1:22
	ds_read_b64 v[40:41], v26 offset:184
	v_cmp_lt_u32_e32 vcc, 7, v0
	s_waitcnt vmcnt(7)
	v_mov_b32_e32 v42, v33
	s_waitcnt vmcnt(6)
	v_mov_b32_e32 v44, v35
	s_waitcnt lgkmcnt(1)
	v_pk_mul_f32 v[42:43], v[28:29], v[42:43] op_sel_hi:[1,0]
	s_waitcnt vmcnt(5)
	v_mov_b32_e32 v46, v37
	v_pk_mul_f32 v[44:45], v[30:31], v[44:45] op_sel_hi:[1,0]
	s_waitcnt vmcnt(4)
	v_pk_fma_f32 v[48:49], v[28:29], v[32:33], v[42:43] op_sel:[0,0,1] op_sel_hi:[1,1,0] neg_lo:[0,0,1] neg_hi:[0,0,1]
	v_pk_fma_f32 v[28:29], v[28:29], v[32:33], v[42:43] op_sel:[0,0,1] op_sel_hi:[1,0,0]
	s_waitcnt lgkmcnt(0)
	v_pk_mul_f32 v[46:47], v[40:41], v[46:47] op_sel_hi:[1,0]
	s_waitcnt vmcnt(3)
	v_pk_fma_f32 v[32:33], v[30:31], v[34:35], v[44:45] op_sel:[0,0,1] op_sel_hi:[1,1,0] neg_lo:[0,0,1] neg_hi:[0,0,1]
	v_pk_fma_f32 v[30:31], v[30:31], v[34:35], v[44:45] op_sel:[0,0,1] op_sel_hi:[1,0,0]
	v_mov_b32_e32 v49, v29
	s_waitcnt vmcnt(2)
	v_pk_fma_f32 v[34:35], v[40:41], v[36:37], v[46:47] op_sel:[0,0,1] op_sel_hi:[1,1,0] neg_lo:[0,0,1] neg_hi:[0,0,1]
	v_pk_fma_f32 v[36:37], v[40:41], v[36:37], v[46:47] op_sel:[0,0,1] op_sel_hi:[1,0,0]
	v_mov_b32_e32 v33, v31
	v_pk_add_f32 v[28:29], v[48:49], 0 op_sel_hi:[1,0]
	v_mov_b32_e32 v35, v37
	v_pk_add_f32 v[28:29], v[28:29], v[32:33]
	v_pk_add_f32 v[28:29], v[28:29], v[34:35]
	s_waitcnt vmcnt(0)
	v_pk_add_f32 v[28:29], v[38:39], v[28:29] neg_lo:[0,1] neg_hi:[0,1]
	buffer_store_dword v28, off, s[0:3], 0 offset:64
	buffer_store_dword v29, off, s[0:3], 0 offset:68
	s_and_saveexec_b64 s[4:5], vcc
	s_cbranch_execz .LBB11_71
; %bb.70:
	buffer_load_dword v28, off, s[0:3], 0 offset:56
	buffer_load_dword v29, off, s[0:3], 0 offset:60
	s_waitcnt vmcnt(0)
	ds_write_b64 v1, v[28:29]
	buffer_store_dword v26, off, s[0:3], 0 offset:56
	buffer_store_dword v26, off, s[0:3], 0 offset:60
.LBB11_71:
	s_or_b64 exec, exec, s[4:5]
	s_waitcnt lgkmcnt(0)
	; wave barrier
	s_waitcnt lgkmcnt(0)
	buffer_load_dword v37, off, s[0:3], 0 offset:68
	buffer_load_dword v39, off, s[0:3], 0 offset:76
	;; [unrolled: 1-line block ×10, first 2 shown]
	ds_read_b128 v[28:31], v26 offset:160
	ds_read_b128 v[32:35], v26 offset:176
	v_cmp_lt_u32_e32 vcc, 6, v0
	s_waitcnt vmcnt(9)
	v_mov_b32_e32 v26, v37
	s_waitcnt vmcnt(8)
	v_mov_b32_e32 v46, v39
	s_waitcnt lgkmcnt(1)
	v_pk_mul_f32 v[26:27], v[28:29], v[26:27] op_sel_hi:[1,0]
	s_waitcnt vmcnt(7)
	v_mov_b32_e32 v48, v41
	v_pk_mul_f32 v[46:47], v[30:31], v[46:47] op_sel_hi:[1,0]
	s_waitcnt vmcnt(5)
	v_pk_fma_f32 v[52:53], v[28:29], v[36:37], v[26:27] op_sel:[0,0,1] op_sel_hi:[1,1,0] neg_lo:[0,0,1] neg_hi:[0,0,1]
	v_pk_fma_f32 v[26:27], v[28:29], v[36:37], v[26:27] op_sel:[0,0,1] op_sel_hi:[1,0,0]
	v_mov_b32_e32 v50, v43
	s_waitcnt lgkmcnt(0)
	v_pk_mul_f32 v[48:49], v[32:33], v[48:49] op_sel_hi:[1,0]
	s_waitcnt vmcnt(4)
	v_pk_fma_f32 v[28:29], v[30:31], v[38:39], v[46:47] op_sel:[0,0,1] op_sel_hi:[1,1,0] neg_lo:[0,0,1] neg_hi:[0,0,1]
	v_pk_fma_f32 v[30:31], v[30:31], v[38:39], v[46:47] op_sel:[0,0,1] op_sel_hi:[1,0,0]
	v_mov_b32_e32 v53, v27
	v_pk_mul_f32 v[50:51], v[34:35], v[50:51] op_sel_hi:[1,0]
	s_waitcnt vmcnt(3)
	v_pk_fma_f32 v[36:37], v[32:33], v[40:41], v[48:49] op_sel:[0,0,1] op_sel_hi:[1,1,0] neg_lo:[0,0,1] neg_hi:[0,0,1]
	v_pk_fma_f32 v[32:33], v[32:33], v[40:41], v[48:49] op_sel:[0,0,1] op_sel_hi:[1,0,0]
	v_mov_b32_e32 v29, v31
	v_pk_add_f32 v[26:27], v[52:53], 0 op_sel_hi:[1,0]
	s_waitcnt vmcnt(2)
	v_pk_fma_f32 v[38:39], v[34:35], v[42:43], v[50:51] op_sel:[0,0,1] op_sel_hi:[1,1,0] neg_lo:[0,0,1] neg_hi:[0,0,1]
	v_pk_fma_f32 v[34:35], v[34:35], v[42:43], v[50:51] op_sel:[0,0,1] op_sel_hi:[1,0,0]
	v_mov_b32_e32 v37, v33
	v_pk_add_f32 v[26:27], v[26:27], v[28:29]
	v_mov_b32_e32 v39, v35
	v_pk_add_f32 v[26:27], v[26:27], v[36:37]
	v_pk_add_f32 v[26:27], v[26:27], v[38:39]
	s_waitcnt vmcnt(0)
	v_pk_add_f32 v[26:27], v[44:45], v[26:27] neg_lo:[0,1] neg_hi:[0,1]
	buffer_store_dword v26, off, s[0:3], 0 offset:56
	buffer_store_dword v27, off, s[0:3], 0 offset:60
	s_and_saveexec_b64 s[4:5], vcc
	s_cbranch_execz .LBB11_73
; %bb.72:
	buffer_load_dword v26, off, s[0:3], 0 offset:48
	buffer_load_dword v27, off, s[0:3], 0 offset:52
	v_mov_b32_e32 v28, 0
	buffer_store_dword v28, off, s[0:3], 0 offset:48
	buffer_store_dword v28, off, s[0:3], 0 offset:52
	s_waitcnt vmcnt(2)
	ds_write_b64 v1, v[26:27]
.LBB11_73:
	s_or_b64 exec, exec, s[4:5]
	s_waitcnt lgkmcnt(0)
	; wave barrier
	s_waitcnt lgkmcnt(0)
	buffer_load_dword v37, off, s[0:3], 0 offset:60
	buffer_load_dword v39, off, s[0:3], 0 offset:68
	;; [unrolled: 1-line block ×12, first 2 shown]
	v_mov_b32_e32 v26, 0
	ds_read2_b64 v[28:31], v26 offset0:19 offset1:20
	ds_read2_b64 v[32:35], v26 offset0:21 offset1:22
	ds_read_b64 v[48:49], v26 offset:184
	v_cmp_lt_u32_e32 vcc, 5, v0
	s_waitcnt vmcnt(11)
	v_mov_b32_e32 v50, v37
	s_waitcnt vmcnt(10)
	v_mov_b32_e32 v52, v39
	s_waitcnt lgkmcnt(2)
	v_pk_mul_f32 v[50:51], v[28:29], v[50:51] op_sel_hi:[1,0]
	s_waitcnt vmcnt(9)
	v_mov_b32_e32 v54, v41
	v_pk_mul_f32 v[52:53], v[30:31], v[52:53] op_sel_hi:[1,0]
	s_waitcnt vmcnt(6)
	v_pk_fma_f32 v[60:61], v[28:29], v[36:37], v[50:51] op_sel:[0,0,1] op_sel_hi:[1,1,0] neg_lo:[0,0,1] neg_hi:[0,0,1]
	v_pk_fma_f32 v[28:29], v[28:29], v[36:37], v[50:51] op_sel:[0,0,1] op_sel_hi:[1,0,0]
	v_mov_b32_e32 v56, v43
	s_waitcnt lgkmcnt(1)
	v_pk_mul_f32 v[54:55], v[32:33], v[54:55] op_sel_hi:[1,0]
	s_waitcnt vmcnt(5)
	v_pk_fma_f32 v[36:37], v[30:31], v[38:39], v[52:53] op_sel:[0,0,1] op_sel_hi:[1,1,0] neg_lo:[0,0,1] neg_hi:[0,0,1]
	v_pk_fma_f32 v[30:31], v[30:31], v[38:39], v[52:53] op_sel:[0,0,1] op_sel_hi:[1,0,0]
	v_mov_b32_e32 v61, v29
	v_mov_b32_e32 v58, v45
	v_pk_mul_f32 v[56:57], v[34:35], v[56:57] op_sel_hi:[1,0]
	s_waitcnt vmcnt(4)
	v_pk_fma_f32 v[38:39], v[32:33], v[40:41], v[54:55] op_sel:[0,0,1] op_sel_hi:[1,1,0] neg_lo:[0,0,1] neg_hi:[0,0,1]
	v_pk_fma_f32 v[32:33], v[32:33], v[40:41], v[54:55] op_sel:[0,0,1] op_sel_hi:[1,0,0]
	v_mov_b32_e32 v37, v31
	v_pk_add_f32 v[28:29], v[60:61], 0 op_sel_hi:[1,0]
	s_waitcnt lgkmcnt(0)
	v_pk_mul_f32 v[58:59], v[48:49], v[58:59] op_sel_hi:[1,0]
	s_waitcnt vmcnt(3)
	v_pk_fma_f32 v[40:41], v[34:35], v[42:43], v[56:57] op_sel:[0,0,1] op_sel_hi:[1,1,0] neg_lo:[0,0,1] neg_hi:[0,0,1]
	v_pk_fma_f32 v[34:35], v[34:35], v[42:43], v[56:57] op_sel:[0,0,1] op_sel_hi:[1,0,0]
	v_mov_b32_e32 v39, v33
	v_pk_add_f32 v[28:29], v[28:29], v[36:37]
	s_waitcnt vmcnt(2)
	v_pk_fma_f32 v[42:43], v[48:49], v[44:45], v[58:59] op_sel:[0,0,1] op_sel_hi:[1,1,0] neg_lo:[0,0,1] neg_hi:[0,0,1]
	v_pk_fma_f32 v[44:45], v[48:49], v[44:45], v[58:59] op_sel:[0,0,1] op_sel_hi:[1,0,0]
	v_mov_b32_e32 v41, v35
	v_pk_add_f32 v[28:29], v[28:29], v[38:39]
	v_mov_b32_e32 v43, v45
	v_pk_add_f32 v[28:29], v[28:29], v[40:41]
	v_pk_add_f32 v[28:29], v[28:29], v[42:43]
	s_waitcnt vmcnt(0)
	v_pk_add_f32 v[28:29], v[46:47], v[28:29] neg_lo:[0,1] neg_hi:[0,1]
	buffer_store_dword v28, off, s[0:3], 0 offset:48
	buffer_store_dword v29, off, s[0:3], 0 offset:52
	s_and_saveexec_b64 s[4:5], vcc
	s_cbranch_execz .LBB11_75
; %bb.74:
	buffer_load_dword v28, off, s[0:3], 0 offset:40
	buffer_load_dword v29, off, s[0:3], 0 offset:44
	s_waitcnt vmcnt(0)
	ds_write_b64 v1, v[28:29]
	buffer_store_dword v26, off, s[0:3], 0 offset:40
	buffer_store_dword v26, off, s[0:3], 0 offset:44
.LBB11_75:
	s_or_b64 exec, exec, s[4:5]
	s_waitcnt lgkmcnt(0)
	; wave barrier
	s_waitcnt lgkmcnt(0)
	buffer_load_dword v41, off, s[0:3], 0 offset:52
	buffer_load_dword v43, off, s[0:3], 0 offset:60
	;; [unrolled: 1-line block ×14, first 2 shown]
	ds_read_b128 v[28:31], v26 offset:144
	ds_read_b128 v[32:35], v26 offset:160
	;; [unrolled: 1-line block ×3, first 2 shown]
	v_cmp_lt_u32_e32 vcc, 4, v0
	s_waitcnt vmcnt(13)
	v_mov_b32_e32 v26, v41
	s_waitcnt vmcnt(12)
	v_mov_b32_e32 v54, v43
	s_waitcnt lgkmcnt(2)
	v_pk_mul_f32 v[26:27], v[28:29], v[26:27] op_sel_hi:[1,0]
	s_waitcnt vmcnt(11)
	v_mov_b32_e32 v56, v45
	v_pk_mul_f32 v[54:55], v[30:31], v[54:55] op_sel_hi:[1,0]
	s_waitcnt vmcnt(10)
	v_mov_b32_e32 v58, v47
	s_waitcnt vmcnt(7)
	v_pk_fma_f32 v[64:65], v[28:29], v[40:41], v[26:27] op_sel:[0,0,1] op_sel_hi:[1,1,0] neg_lo:[0,0,1] neg_hi:[0,0,1]
	v_pk_fma_f32 v[26:27], v[28:29], v[40:41], v[26:27] op_sel:[0,0,1] op_sel_hi:[1,0,0]
	s_waitcnt lgkmcnt(1)
	v_pk_mul_f32 v[56:57], v[32:33], v[56:57] op_sel_hi:[1,0]
	s_waitcnt vmcnt(6)
	v_pk_fma_f32 v[28:29], v[30:31], v[42:43], v[54:55] op_sel:[0,0,1] op_sel_hi:[1,1,0] neg_lo:[0,0,1] neg_hi:[0,0,1]
	v_pk_fma_f32 v[30:31], v[30:31], v[42:43], v[54:55] op_sel:[0,0,1] op_sel_hi:[1,0,0]
	v_mov_b32_e32 v65, v27
	v_mov_b32_e32 v60, v49
	v_pk_mul_f32 v[58:59], v[34:35], v[58:59] op_sel_hi:[1,0]
	s_waitcnt vmcnt(5)
	v_pk_fma_f32 v[40:41], v[32:33], v[44:45], v[56:57] op_sel:[0,0,1] op_sel_hi:[1,1,0] neg_lo:[0,0,1] neg_hi:[0,0,1]
	v_pk_fma_f32 v[32:33], v[32:33], v[44:45], v[56:57] op_sel:[0,0,1] op_sel_hi:[1,0,0]
	v_mov_b32_e32 v29, v31
	v_pk_add_f32 v[26:27], v[64:65], 0 op_sel_hi:[1,0]
	v_mov_b32_e32 v62, v51
	s_waitcnt lgkmcnt(0)
	v_pk_mul_f32 v[60:61], v[36:37], v[60:61] op_sel_hi:[1,0]
	s_waitcnt vmcnt(4)
	v_pk_fma_f32 v[42:43], v[34:35], v[46:47], v[58:59] op_sel:[0,0,1] op_sel_hi:[1,1,0] neg_lo:[0,0,1] neg_hi:[0,0,1]
	v_pk_fma_f32 v[34:35], v[34:35], v[46:47], v[58:59] op_sel:[0,0,1] op_sel_hi:[1,0,0]
	v_mov_b32_e32 v41, v33
	v_pk_add_f32 v[26:27], v[26:27], v[28:29]
	v_pk_mul_f32 v[62:63], v[38:39], v[62:63] op_sel_hi:[1,0]
	s_waitcnt vmcnt(3)
	v_pk_fma_f32 v[44:45], v[36:37], v[48:49], v[60:61] op_sel:[0,0,1] op_sel_hi:[1,1,0] neg_lo:[0,0,1] neg_hi:[0,0,1]
	v_pk_fma_f32 v[36:37], v[36:37], v[48:49], v[60:61] op_sel:[0,0,1] op_sel_hi:[1,0,0]
	v_mov_b32_e32 v43, v35
	v_pk_add_f32 v[26:27], v[26:27], v[40:41]
	s_waitcnt vmcnt(2)
	v_pk_fma_f32 v[46:47], v[38:39], v[50:51], v[62:63] op_sel:[0,0,1] op_sel_hi:[1,1,0] neg_lo:[0,0,1] neg_hi:[0,0,1]
	v_pk_fma_f32 v[38:39], v[38:39], v[50:51], v[62:63] op_sel:[0,0,1] op_sel_hi:[1,0,0]
	v_mov_b32_e32 v45, v37
	v_pk_add_f32 v[26:27], v[26:27], v[42:43]
	v_mov_b32_e32 v47, v39
	v_pk_add_f32 v[26:27], v[26:27], v[44:45]
	v_pk_add_f32 v[26:27], v[26:27], v[46:47]
	s_waitcnt vmcnt(0)
	v_pk_add_f32 v[26:27], v[52:53], v[26:27] neg_lo:[0,1] neg_hi:[0,1]
	buffer_store_dword v26, off, s[0:3], 0 offset:40
	buffer_store_dword v27, off, s[0:3], 0 offset:44
	s_and_saveexec_b64 s[4:5], vcc
	s_cbranch_execz .LBB11_77
; %bb.76:
	buffer_load_dword v26, off, s[0:3], 0 offset:32
	buffer_load_dword v27, off, s[0:3], 0 offset:36
	v_mov_b32_e32 v28, 0
	buffer_store_dword v28, off, s[0:3], 0 offset:32
	buffer_store_dword v28, off, s[0:3], 0 offset:36
	s_waitcnt vmcnt(2)
	ds_write_b64 v1, v[26:27]
.LBB11_77:
	s_or_b64 exec, exec, s[4:5]
	s_waitcnt lgkmcnt(0)
	; wave barrier
	s_waitcnt lgkmcnt(0)
	buffer_load_dword v41, off, s[0:3], 0 offset:44
	buffer_load_dword v43, off, s[0:3], 0 offset:52
	;; [unrolled: 1-line block ×16, first 2 shown]
	v_mov_b32_e32 v26, 0
	ds_read2_b64 v[28:31], v26 offset0:17 offset1:18
	ds_read2_b64 v[32:35], v26 offset0:19 offset1:20
	;; [unrolled: 1-line block ×3, first 2 shown]
	ds_read_b64 v[56:57], v26 offset:184
	v_cmp_lt_u32_e32 vcc, 3, v0
	s_waitcnt vmcnt(15)
	v_mov_b32_e32 v58, v41
	s_waitcnt vmcnt(14)
	v_mov_b32_e32 v60, v43
	s_waitcnt lgkmcnt(3)
	v_pk_mul_f32 v[58:59], v[28:29], v[58:59] op_sel_hi:[1,0]
	s_waitcnt vmcnt(13)
	v_mov_b32_e32 v62, v45
	v_pk_mul_f32 v[60:61], v[30:31], v[60:61] op_sel_hi:[1,0]
	s_waitcnt vmcnt(12)
	v_mov_b32_e32 v64, v47
	s_waitcnt lgkmcnt(2)
	v_pk_mul_f32 v[62:63], v[32:33], v[62:63] op_sel_hi:[1,0]
	s_waitcnt vmcnt(8)
	v_pk_fma_f32 v[72:73], v[28:29], v[40:41], v[58:59] op_sel:[0,0,1] op_sel_hi:[1,1,0] neg_lo:[0,0,1] neg_hi:[0,0,1]
	v_pk_fma_f32 v[28:29], v[28:29], v[40:41], v[58:59] op_sel:[0,0,1] op_sel_hi:[1,0,0]
	s_waitcnt vmcnt(7)
	v_pk_fma_f32 v[40:41], v[30:31], v[42:43], v[60:61] op_sel:[0,0,1] op_sel_hi:[1,1,0] neg_lo:[0,0,1] neg_hi:[0,0,1]
	v_pk_fma_f32 v[30:31], v[30:31], v[42:43], v[60:61] op_sel:[0,0,1] op_sel_hi:[1,0,0]
	v_mov_b32_e32 v73, v29
	v_mov_b32_e32 v66, v49
	v_pk_mul_f32 v[64:65], v[34:35], v[64:65] op_sel_hi:[1,0]
	s_waitcnt vmcnt(6)
	v_pk_fma_f32 v[42:43], v[32:33], v[44:45], v[62:63] op_sel:[0,0,1] op_sel_hi:[1,1,0] neg_lo:[0,0,1] neg_hi:[0,0,1]
	v_pk_fma_f32 v[32:33], v[32:33], v[44:45], v[62:63] op_sel:[0,0,1] op_sel_hi:[1,0,0]
	v_mov_b32_e32 v41, v31
	v_pk_add_f32 v[28:29], v[72:73], 0 op_sel_hi:[1,0]
	v_mov_b32_e32 v68, v51
	s_waitcnt lgkmcnt(1)
	v_pk_mul_f32 v[66:67], v[36:37], v[66:67] op_sel_hi:[1,0]
	s_waitcnt vmcnt(5)
	v_pk_fma_f32 v[44:45], v[34:35], v[46:47], v[64:65] op_sel:[0,0,1] op_sel_hi:[1,1,0] neg_lo:[0,0,1] neg_hi:[0,0,1]
	v_pk_fma_f32 v[34:35], v[34:35], v[46:47], v[64:65] op_sel:[0,0,1] op_sel_hi:[1,0,0]
	v_mov_b32_e32 v43, v33
	v_pk_add_f32 v[28:29], v[28:29], v[40:41]
	v_mov_b32_e32 v70, v53
	v_pk_mul_f32 v[68:69], v[38:39], v[68:69] op_sel_hi:[1,0]
	s_waitcnt vmcnt(4)
	v_pk_fma_f32 v[46:47], v[36:37], v[48:49], v[66:67] op_sel:[0,0,1] op_sel_hi:[1,1,0] neg_lo:[0,0,1] neg_hi:[0,0,1]
	v_pk_fma_f32 v[36:37], v[36:37], v[48:49], v[66:67] op_sel:[0,0,1] op_sel_hi:[1,0,0]
	v_mov_b32_e32 v45, v35
	v_pk_add_f32 v[28:29], v[28:29], v[42:43]
	s_waitcnt lgkmcnt(0)
	v_pk_mul_f32 v[70:71], v[56:57], v[70:71] op_sel_hi:[1,0]
	s_waitcnt vmcnt(3)
	v_pk_fma_f32 v[48:49], v[38:39], v[50:51], v[68:69] op_sel:[0,0,1] op_sel_hi:[1,1,0] neg_lo:[0,0,1] neg_hi:[0,0,1]
	v_pk_fma_f32 v[38:39], v[38:39], v[50:51], v[68:69] op_sel:[0,0,1] op_sel_hi:[1,0,0]
	v_mov_b32_e32 v47, v37
	v_pk_add_f32 v[28:29], v[28:29], v[44:45]
	s_waitcnt vmcnt(2)
	v_pk_fma_f32 v[50:51], v[56:57], v[52:53], v[70:71] op_sel:[0,0,1] op_sel_hi:[1,1,0] neg_lo:[0,0,1] neg_hi:[0,0,1]
	v_pk_fma_f32 v[52:53], v[56:57], v[52:53], v[70:71] op_sel:[0,0,1] op_sel_hi:[1,0,0]
	v_mov_b32_e32 v49, v39
	v_pk_add_f32 v[28:29], v[28:29], v[46:47]
	v_mov_b32_e32 v51, v53
	v_pk_add_f32 v[28:29], v[28:29], v[48:49]
	v_pk_add_f32 v[28:29], v[28:29], v[50:51]
	s_waitcnt vmcnt(0)
	v_pk_add_f32 v[28:29], v[54:55], v[28:29] neg_lo:[0,1] neg_hi:[0,1]
	buffer_store_dword v28, off, s[0:3], 0 offset:32
	buffer_store_dword v29, off, s[0:3], 0 offset:36
	s_and_saveexec_b64 s[4:5], vcc
	s_cbranch_execz .LBB11_79
; %bb.78:
	buffer_load_dword v28, off, s[0:3], 0 offset:24
	buffer_load_dword v29, off, s[0:3], 0 offset:28
	s_waitcnt vmcnt(0)
	ds_write_b64 v1, v[28:29]
	buffer_store_dword v26, off, s[0:3], 0 offset:24
	buffer_store_dword v26, off, s[0:3], 0 offset:28
.LBB11_79:
	s_or_b64 exec, exec, s[4:5]
	s_waitcnt lgkmcnt(0)
	; wave barrier
	s_waitcnt lgkmcnt(0)
	buffer_load_dword v45, off, s[0:3], 0 offset:36
	buffer_load_dword v47, off, s[0:3], 0 offset:44
	;; [unrolled: 1-line block ×18, first 2 shown]
	ds_read_b128 v[28:31], v26 offset:128
	ds_read_b128 v[32:35], v26 offset:144
	;; [unrolled: 1-line block ×4, first 2 shown]
	v_cmp_lt_u32_e32 vcc, 2, v0
	s_waitcnt vmcnt(17)
	v_mov_b32_e32 v26, v45
	s_waitcnt vmcnt(16)
	v_mov_b32_e32 v62, v47
	s_waitcnt lgkmcnt(3)
	v_pk_mul_f32 v[26:27], v[28:29], v[26:27] op_sel_hi:[1,0]
	s_waitcnt vmcnt(15)
	v_mov_b32_e32 v64, v49
	v_pk_mul_f32 v[62:63], v[30:31], v[62:63] op_sel_hi:[1,0]
	s_waitcnt vmcnt(14)
	v_mov_b32_e32 v66, v51
	s_waitcnt lgkmcnt(2)
	v_pk_mul_f32 v[64:65], v[32:33], v[64:65] op_sel_hi:[1,0]
	s_waitcnt vmcnt(13)
	v_mov_b32_e32 v68, v53
	s_waitcnt vmcnt(9)
	v_pk_fma_f32 v[76:77], v[28:29], v[44:45], v[26:27] op_sel:[0,0,1] op_sel_hi:[1,1,0] neg_lo:[0,0,1] neg_hi:[0,0,1]
	v_pk_fma_f32 v[26:27], v[28:29], v[44:45], v[26:27] op_sel:[0,0,1] op_sel_hi:[1,0,0]
	s_waitcnt vmcnt(8)
	v_pk_fma_f32 v[28:29], v[30:31], v[46:47], v[62:63] op_sel:[0,0,1] op_sel_hi:[1,1,0] neg_lo:[0,0,1] neg_hi:[0,0,1]
	v_pk_fma_f32 v[30:31], v[30:31], v[46:47], v[62:63] op_sel:[0,0,1] op_sel_hi:[1,0,0]
	v_mov_b32_e32 v77, v27
	v_pk_mul_f32 v[66:67], v[34:35], v[66:67] op_sel_hi:[1,0]
	s_waitcnt vmcnt(7)
	v_pk_fma_f32 v[44:45], v[32:33], v[48:49], v[64:65] op_sel:[0,0,1] op_sel_hi:[1,1,0] neg_lo:[0,0,1] neg_hi:[0,0,1]
	v_pk_fma_f32 v[32:33], v[32:33], v[48:49], v[64:65] op_sel:[0,0,1] op_sel_hi:[1,0,0]
	v_mov_b32_e32 v29, v31
	v_pk_add_f32 v[26:27], v[76:77], 0 op_sel_hi:[1,0]
	v_mov_b32_e32 v70, v55
	s_waitcnt lgkmcnt(1)
	v_pk_mul_f32 v[68:69], v[36:37], v[68:69] op_sel_hi:[1,0]
	s_waitcnt vmcnt(6)
	v_pk_fma_f32 v[46:47], v[34:35], v[50:51], v[66:67] op_sel:[0,0,1] op_sel_hi:[1,1,0] neg_lo:[0,0,1] neg_hi:[0,0,1]
	v_pk_fma_f32 v[34:35], v[34:35], v[50:51], v[66:67] op_sel:[0,0,1] op_sel_hi:[1,0,0]
	v_mov_b32_e32 v45, v33
	v_pk_add_f32 v[26:27], v[26:27], v[28:29]
	v_mov_b32_e32 v72, v57
	v_pk_mul_f32 v[70:71], v[38:39], v[70:71] op_sel_hi:[1,0]
	s_waitcnt vmcnt(5)
	v_pk_fma_f32 v[48:49], v[36:37], v[52:53], v[68:69] op_sel:[0,0,1] op_sel_hi:[1,1,0] neg_lo:[0,0,1] neg_hi:[0,0,1]
	v_pk_fma_f32 v[36:37], v[36:37], v[52:53], v[68:69] op_sel:[0,0,1] op_sel_hi:[1,0,0]
	v_mov_b32_e32 v47, v35
	v_pk_add_f32 v[26:27], v[26:27], v[44:45]
	v_mov_b32_e32 v74, v59
	s_waitcnt lgkmcnt(0)
	v_pk_mul_f32 v[72:73], v[40:41], v[72:73] op_sel_hi:[1,0]
	s_waitcnt vmcnt(4)
	v_pk_fma_f32 v[50:51], v[38:39], v[54:55], v[70:71] op_sel:[0,0,1] op_sel_hi:[1,1,0] neg_lo:[0,0,1] neg_hi:[0,0,1]
	v_pk_fma_f32 v[38:39], v[38:39], v[54:55], v[70:71] op_sel:[0,0,1] op_sel_hi:[1,0,0]
	v_mov_b32_e32 v49, v37
	v_pk_add_f32 v[26:27], v[26:27], v[46:47]
	v_pk_mul_f32 v[74:75], v[42:43], v[74:75] op_sel_hi:[1,0]
	s_waitcnt vmcnt(3)
	v_pk_fma_f32 v[52:53], v[40:41], v[56:57], v[72:73] op_sel:[0,0,1] op_sel_hi:[1,1,0] neg_lo:[0,0,1] neg_hi:[0,0,1]
	v_pk_fma_f32 v[40:41], v[40:41], v[56:57], v[72:73] op_sel:[0,0,1] op_sel_hi:[1,0,0]
	v_mov_b32_e32 v51, v39
	v_pk_add_f32 v[26:27], v[26:27], v[48:49]
	s_waitcnt vmcnt(2)
	v_pk_fma_f32 v[54:55], v[42:43], v[58:59], v[74:75] op_sel:[0,0,1] op_sel_hi:[1,1,0] neg_lo:[0,0,1] neg_hi:[0,0,1]
	v_pk_fma_f32 v[42:43], v[42:43], v[58:59], v[74:75] op_sel:[0,0,1] op_sel_hi:[1,0,0]
	v_mov_b32_e32 v53, v41
	v_pk_add_f32 v[26:27], v[26:27], v[50:51]
	v_mov_b32_e32 v55, v43
	v_pk_add_f32 v[26:27], v[26:27], v[52:53]
	v_pk_add_f32 v[26:27], v[26:27], v[54:55]
	s_waitcnt vmcnt(0)
	v_pk_add_f32 v[26:27], v[60:61], v[26:27] neg_lo:[0,1] neg_hi:[0,1]
	buffer_store_dword v26, off, s[0:3], 0 offset:24
	buffer_store_dword v27, off, s[0:3], 0 offset:28
	s_and_saveexec_b64 s[4:5], vcc
	s_cbranch_execz .LBB11_81
; %bb.80:
	buffer_load_dword v26, off, s[0:3], 0 offset:16
	buffer_load_dword v27, off, s[0:3], 0 offset:20
	v_mov_b32_e32 v28, 0
	buffer_store_dword v28, off, s[0:3], 0 offset:16
	buffer_store_dword v28, off, s[0:3], 0 offset:20
	s_waitcnt vmcnt(2)
	ds_write_b64 v1, v[26:27]
.LBB11_81:
	s_or_b64 exec, exec, s[4:5]
	s_waitcnt lgkmcnt(0)
	; wave barrier
	s_waitcnt lgkmcnt(0)
	buffer_load_dword v27, off, s[0:3], 0 offset:28
	buffer_load_dword v45, off, s[0:3], 0 offset:36
	;; [unrolled: 1-line block ×20, first 2 shown]
	v_mov_b32_e32 v26, 0
	ds_read2_b64 v[28:31], v26 offset0:15 offset1:16
	ds_read2_b64 v[32:35], v26 offset0:17 offset1:18
	;; [unrolled: 1-line block ×4, first 2 shown]
	ds_read_b64 v[62:63], v26 offset:184
	v_cmp_lt_u32_e32 vcc, 1, v0
	s_waitcnt vmcnt(19) lgkmcnt(4)
	v_mul_f32_e32 v65, v28, v27
	v_mul_f32_e32 v27, v29, v27
	s_waitcnt vmcnt(18)
	v_mov_b32_e32 v66, v45
	s_waitcnt vmcnt(17)
	v_mov_b32_e32 v68, v47
	;; [unrolled: 2-line block ×8, first 2 shown]
	s_waitcnt vmcnt(10)
	v_fmac_f32_e32 v65, v29, v64
	v_fma_f32 v64, v28, v64, -v27
	v_pk_mul_f32 v[28:29], v[30:31], v[66:67] op_sel_hi:[1,0]
	s_waitcnt lgkmcnt(3)
	v_pk_mul_f32 v[66:67], v[32:33], v[68:69] op_sel_hi:[1,0]
	v_pk_mul_f32 v[68:69], v[34:35], v[70:71] op_sel_hi:[1,0]
	s_waitcnt lgkmcnt(2)
	v_pk_mul_f32 v[70:71], v[36:37], v[72:73] op_sel_hi:[1,0]
	v_pk_mul_f32 v[72:73], v[38:39], v[74:75] op_sel_hi:[1,0]
	s_waitcnt lgkmcnt(1)
	v_pk_mul_f32 v[74:75], v[40:41], v[76:77] op_sel_hi:[1,0]
	v_pk_mul_f32 v[76:77], v[42:43], v[78:79] op_sel_hi:[1,0]
	s_waitcnt lgkmcnt(0)
	v_pk_mul_f32 v[78:79], v[62:63], v[80:81] op_sel_hi:[1,0]
	s_waitcnt vmcnt(9)
	v_pk_fma_f32 v[80:81], v[30:31], v[44:45], v[28:29] op_sel:[0,0,1] op_sel_hi:[1,1,0] neg_lo:[0,0,1] neg_hi:[0,0,1]
	v_pk_fma_f32 v[28:29], v[30:31], v[44:45], v[28:29] op_sel:[0,0,1] op_sel_hi:[1,0,0]
	v_pk_add_f32 v[64:65], v[64:65], 0 op_sel_hi:[1,0]
	s_waitcnt vmcnt(8)
	v_pk_fma_f32 v[30:31], v[32:33], v[46:47], v[66:67] op_sel:[0,0,1] op_sel_hi:[1,1,0] neg_lo:[0,0,1] neg_hi:[0,0,1]
	v_pk_fma_f32 v[32:33], v[32:33], v[46:47], v[66:67] op_sel:[0,0,1] op_sel_hi:[1,0,0]
	v_mov_b32_e32 v81, v29
	s_waitcnt vmcnt(7)
	v_pk_fma_f32 v[44:45], v[34:35], v[48:49], v[68:69] op_sel:[0,0,1] op_sel_hi:[1,1,0] neg_lo:[0,0,1] neg_hi:[0,0,1]
	v_pk_fma_f32 v[34:35], v[34:35], v[48:49], v[68:69] op_sel:[0,0,1] op_sel_hi:[1,0,0]
	v_mov_b32_e32 v31, v33
	v_pk_add_f32 v[28:29], v[64:65], v[80:81]
	s_waitcnt vmcnt(6)
	v_pk_fma_f32 v[46:47], v[36:37], v[50:51], v[70:71] op_sel:[0,0,1] op_sel_hi:[1,1,0] neg_lo:[0,0,1] neg_hi:[0,0,1]
	v_pk_fma_f32 v[36:37], v[36:37], v[50:51], v[70:71] op_sel:[0,0,1] op_sel_hi:[1,0,0]
	v_mov_b32_e32 v45, v35
	v_pk_add_f32 v[28:29], v[28:29], v[30:31]
	;; [unrolled: 5-line block ×5, first 2 shown]
	v_pk_fma_f32 v[54:55], v[62:63], v[58:59], v[78:79] op_sel:[0,0,1] op_sel_hi:[1,1,0] neg_lo:[0,0,1] neg_hi:[0,0,1]
	v_pk_fma_f32 v[56:57], v[62:63], v[58:59], v[78:79] op_sel:[0,0,1] op_sel_hi:[1,0,0]
	v_mov_b32_e32 v53, v43
	v_pk_add_f32 v[28:29], v[28:29], v[50:51]
	v_mov_b32_e32 v55, v57
	v_pk_add_f32 v[28:29], v[28:29], v[52:53]
	v_pk_add_f32 v[28:29], v[28:29], v[54:55]
	s_waitcnt vmcnt(0)
	v_pk_add_f32 v[28:29], v[60:61], v[28:29] neg_lo:[0,1] neg_hi:[0,1]
	buffer_store_dword v28, off, s[0:3], 0 offset:16
	buffer_store_dword v29, off, s[0:3], 0 offset:20
	s_and_saveexec_b64 s[4:5], vcc
	s_cbranch_execz .LBB11_83
; %bb.82:
	buffer_load_dword v28, off, s[0:3], 0 offset:8
	buffer_load_dword v29, off, s[0:3], 0 offset:12
	s_waitcnt vmcnt(0)
	ds_write_b64 v1, v[28:29]
	buffer_store_dword v26, off, s[0:3], 0 offset:8
	buffer_store_dword v26, off, s[0:3], 0 offset:12
.LBB11_83:
	s_or_b64 exec, exec, s[4:5]
	s_waitcnt lgkmcnt(0)
	; wave barrier
	s_waitcnt lgkmcnt(0)
	buffer_load_dword v66, off, s[0:3], 0 offset:20
	buffer_load_dword v68, off, s[0:3], 0 offset:28
	;; [unrolled: 1-line block ×22, first 2 shown]
	ds_read_b128 v[28:31], v26 offset:112
	ds_read_b128 v[32:35], v26 offset:128
	;; [unrolled: 1-line block ×5, first 2 shown]
	v_cmp_ne_u32_e32 vcc, 0, v0
	s_waitcnt vmcnt(21) lgkmcnt(4)
	v_mul_f32_e32 v27, v28, v66
	s_waitcnt vmcnt(20)
	v_mul_f32_e32 v67, v30, v68
	v_mul_f32_e32 v26, v29, v66
	;; [unrolled: 1-line block ×3, first 2 shown]
	s_waitcnt vmcnt(19)
	v_mov_b32_e32 v68, v49
	s_waitcnt vmcnt(18)
	v_mov_b32_e32 v70, v51
	s_waitcnt vmcnt(17)
	v_mov_b32_e32 v72, v53
	s_waitcnt vmcnt(15)
	v_mov_b32_e32 v76, v57
	s_waitcnt vmcnt(13)
	v_mov_b32_e32 v80, v61
	v_mov_b32_e32 v74, v55
	s_waitcnt vmcnt(11)
	v_fmac_f32_e32 v27, v29, v69
	v_fma_f32 v26, v28, v69, -v26
	s_waitcnt lgkmcnt(3)
	v_pk_mul_f32 v[28:29], v[32:33], v[68:69] op_sel_hi:[1,0]
	s_waitcnt vmcnt(10)
	v_fmac_f32_e32 v67, v31, v71
	v_fma_f32 v66, v30, v71, -v66
	v_pk_mul_f32 v[30:31], v[34:35], v[70:71] op_sel_hi:[1,0]
	s_waitcnt lgkmcnt(2)
	v_pk_mul_f32 v[68:69], v[36:37], v[72:73] op_sel_hi:[1,0]
	s_waitcnt lgkmcnt(1)
	;; [unrolled: 2-line block ×3, first 2 shown]
	v_pk_mul_f32 v[76:77], v[44:45], v[80:81] op_sel_hi:[1,0]
	v_pk_add_f32 v[26:27], v[26:27], 0 op_sel_hi:[1,0]
	s_waitcnt vmcnt(9)
	v_pk_fma_f32 v[80:81], v[32:33], v[48:49], v[28:29] op_sel:[0,0,1] op_sel_hi:[1,1,0] neg_lo:[0,0,1] neg_hi:[0,0,1]
	v_pk_fma_f32 v[28:29], v[32:33], v[48:49], v[28:29] op_sel:[0,0,1] op_sel_hi:[1,0,0]
	s_waitcnt vmcnt(8)
	v_pk_fma_f32 v[32:33], v[34:35], v[50:51], v[30:31] op_sel:[0,0,1] op_sel_hi:[1,1,0] neg_lo:[0,0,1] neg_hi:[0,0,1]
	v_pk_fma_f32 v[30:31], v[34:35], v[50:51], v[30:31] op_sel:[0,0,1] op_sel_hi:[1,0,0]
	v_pk_add_f32 v[26:27], v[26:27], v[66:67]
	v_mov_b32_e32 v81, v29
	v_pk_mul_f32 v[70:71], v[38:39], v[74:75] op_sel_hi:[1,0]
	s_waitcnt vmcnt(7)
	v_pk_fma_f32 v[34:35], v[36:37], v[52:53], v[68:69] op_sel:[0,0,1] op_sel_hi:[1,1,0] neg_lo:[0,0,1] neg_hi:[0,0,1]
	v_pk_fma_f32 v[36:37], v[36:37], v[52:53], v[68:69] op_sel:[0,0,1] op_sel_hi:[1,0,0]
	v_mov_b32_e32 v33, v31
	v_pk_add_f32 v[26:27], v[26:27], v[80:81]
	v_mov_b32_e32 v78, v59
	s_waitcnt vmcnt(6)
	v_pk_fma_f32 v[48:49], v[38:39], v[54:55], v[70:71] op_sel:[0,0,1] op_sel_hi:[1,1,0] neg_lo:[0,0,1] neg_hi:[0,0,1]
	v_pk_fma_f32 v[38:39], v[38:39], v[54:55], v[70:71] op_sel:[0,0,1] op_sel_hi:[1,0,0]
	v_mov_b32_e32 v35, v37
	v_pk_add_f32 v[26:27], v[26:27], v[32:33]
	v_pk_mul_f32 v[74:75], v[42:43], v[78:79] op_sel_hi:[1,0]
	s_waitcnt vmcnt(5)
	v_pk_fma_f32 v[50:51], v[40:41], v[56:57], v[72:73] op_sel:[0,0,1] op_sel_hi:[1,1,0] neg_lo:[0,0,1] neg_hi:[0,0,1]
	v_pk_fma_f32 v[40:41], v[40:41], v[56:57], v[72:73] op_sel:[0,0,1] op_sel_hi:[1,0,0]
	v_mov_b32_e32 v49, v39
	v_pk_add_f32 v[26:27], v[26:27], v[34:35]
	v_mov_b32_e32 v82, v63
	s_waitcnt vmcnt(2)
	v_pk_fma_f32 v[52:53], v[42:43], v[58:59], v[74:75] op_sel:[0,0,1] op_sel_hi:[1,1,0] neg_lo:[0,0,1] neg_hi:[0,0,1]
	v_pk_fma_f32 v[42:43], v[42:43], v[58:59], v[74:75] op_sel:[0,0,1] op_sel_hi:[1,0,0]
	v_mov_b32_e32 v51, v41
	v_pk_add_f32 v[26:27], v[26:27], v[48:49]
	v_pk_mul_f32 v[78:79], v[46:47], v[82:83] op_sel_hi:[1,0]
	v_pk_fma_f32 v[54:55], v[44:45], v[60:61], v[76:77] op_sel:[0,0,1] op_sel_hi:[1,1,0] neg_lo:[0,0,1] neg_hi:[0,0,1]
	v_pk_fma_f32 v[44:45], v[44:45], v[60:61], v[76:77] op_sel:[0,0,1] op_sel_hi:[1,0,0]
	v_mov_b32_e32 v53, v43
	v_pk_add_f32 v[26:27], v[26:27], v[50:51]
	v_pk_fma_f32 v[56:57], v[46:47], v[62:63], v[78:79] op_sel:[0,0,1] op_sel_hi:[1,1,0] neg_lo:[0,0,1] neg_hi:[0,0,1]
	v_pk_fma_f32 v[46:47], v[46:47], v[62:63], v[78:79] op_sel:[0,0,1] op_sel_hi:[1,0,0]
	v_mov_b32_e32 v55, v45
	v_pk_add_f32 v[26:27], v[26:27], v[52:53]
	v_mov_b32_e32 v57, v47
	v_pk_add_f32 v[26:27], v[26:27], v[54:55]
	v_pk_add_f32 v[26:27], v[26:27], v[56:57]
	s_waitcnt vmcnt(0)
	v_pk_add_f32 v[26:27], v[64:65], v[26:27] neg_lo:[0,1] neg_hi:[0,1]
	buffer_store_dword v26, off, s[0:3], 0 offset:8
	buffer_store_dword v27, off, s[0:3], 0 offset:12
	s_and_saveexec_b64 s[4:5], vcc
	s_cbranch_execz .LBB11_85
; %bb.84:
	buffer_load_dword v26, off, s[0:3], 0
	buffer_load_dword v27, off, s[0:3], 0 offset:4
	v_mov_b32_e32 v0, 0
	buffer_store_dword v0, off, s[0:3], 0
	buffer_store_dword v0, off, s[0:3], 0 offset:4
	s_waitcnt vmcnt(2)
	ds_write_b64 v1, v[26:27]
.LBB11_85:
	s_or_b64 exec, exec, s[4:5]
	s_waitcnt lgkmcnt(0)
	; wave barrier
	s_waitcnt lgkmcnt(0)
	buffer_load_dword v64, off, s[0:3], 0 offset:12
	buffer_load_dword v66, off, s[0:3], 0 offset:20
	;; [unrolled: 1-line block ×22, first 2 shown]
	buffer_load_dword v60, off, s[0:3], 0
	buffer_load_dword v61, off, s[0:3], 0 offset:4
	v_mov_b32_e32 v62, 0
	ds_read2_b64 v[26:29], v62 offset0:13 offset1:14
	ds_read2_b64 v[30:33], v62 offset0:15 offset1:16
	;; [unrolled: 1-line block ×5, first 2 shown]
	ds_read_b64 v[62:63], v62 offset:184
	s_and_b64 vcc, exec, s[20:21]
	s_waitcnt vmcnt(23) lgkmcnt(5)
	v_mul_f32_e32 v77, v26, v64
	v_mul_f32_e32 v64, v27, v64
	s_waitcnt vmcnt(22)
	v_mul_f32_e32 v65, v28, v66
	s_waitcnt vmcnt(21) lgkmcnt(4)
	v_mul_f32_e32 v67, v30, v68
	v_mul_f32_e32 v66, v29, v66
	;; [unrolled: 1-line block ×3, first 2 shown]
	s_waitcnt vmcnt(20)
	v_mov_b32_e32 v68, v1
	s_waitcnt vmcnt(19)
	v_mov_b32_e32 v70, v47
	s_waitcnt vmcnt(18)
	v_mov_b32_e32 v72, v49
	s_waitcnt vmcnt(17)
	v_mov_b32_e32 v74, v51
	s_waitcnt vmcnt(16)
	v_mov_b32_e32 v76, v53
	s_waitcnt vmcnt(12)
	v_fmac_f32_e32 v77, v27, v69
	v_fma_f32 v79, v26, v69, -v64
	v_mov_b32_e32 v78, v55
	s_waitcnt vmcnt(11)
	v_fmac_f32_e32 v65, v29, v71
	s_waitcnt vmcnt(10)
	v_fmac_f32_e32 v67, v31, v73
	v_fma_f32 v64, v28, v71, -v66
	v_fma_f32 v66, v30, v73, -v75
	v_pk_mul_f32 v[26:27], v[32:33], v[68:69] op_sel_hi:[1,0]
	s_waitcnt lgkmcnt(3)
	v_pk_mul_f32 v[28:29], v[34:35], v[70:71] op_sel_hi:[1,0]
	v_pk_mul_f32 v[30:31], v[36:37], v[72:73] op_sel_hi:[1,0]
	s_waitcnt lgkmcnt(2)
	v_pk_mul_f32 v[68:69], v[38:39], v[74:75] op_sel_hi:[1,0]
	v_pk_mul_f32 v[70:71], v[40:41], v[76:77] op_sel_hi:[1,0]
	v_add_f32_e32 v77, 0, v77
	v_add_f32_e32 v76, 0, v79
	s_waitcnt lgkmcnt(1)
	v_pk_mul_f32 v[72:73], v[42:43], v[78:79] op_sel_hi:[1,0]
	s_waitcnt vmcnt(9)
	v_pk_fma_f32 v[78:79], v[32:33], v[0:1], v[26:27] op_sel:[0,0,1] op_sel_hi:[1,1,0] neg_lo:[0,0,1] neg_hi:[0,0,1]
	v_pk_fma_f32 v[0:1], v[32:33], v[0:1], v[26:27] op_sel:[0,0,1] op_sel_hi:[1,0,0]
	s_waitcnt vmcnt(8)
	v_pk_fma_f32 v[26:27], v[34:35], v[46:47], v[28:29] op_sel:[0,0,1] op_sel_hi:[1,1,0] neg_lo:[0,0,1] neg_hi:[0,0,1]
	v_pk_fma_f32 v[28:29], v[34:35], v[46:47], v[28:29] op_sel:[0,0,1] op_sel_hi:[1,0,0]
	;; [unrolled: 3-line block ×4, first 2 shown]
	v_pk_add_f32 v[50:51], v[76:77], v[64:65]
	v_mov_b32_e32 v79, v1
	v_pk_add_f32 v[0:1], v[50:51], v[66:67]
	v_mov_b32_e32 v27, v29
	;; [unrolled: 2-line block ×4, first 2 shown]
	s_waitcnt vmcnt(2)
	v_pk_fma_f32 v[38:39], v[40:41], v[52:53], v[70:71] op_sel:[0,0,1] op_sel_hi:[1,1,0] neg_lo:[0,0,1] neg_hi:[0,0,1]
	v_pk_fma_f32 v[40:41], v[40:41], v[52:53], v[70:71] op_sel:[0,0,1] op_sel_hi:[1,0,0]
	v_mov_b32_e32 v35, v37
	v_pk_add_f32 v[0:1], v[0:1], v[32:33]
	v_mov_b32_e32 v82, v59
	v_pk_mul_f32 v[74:75], v[44:45], v[80:81] op_sel_hi:[1,0]
	v_pk_fma_f32 v[46:47], v[42:43], v[54:55], v[72:73] op_sel:[0,0,1] op_sel_hi:[1,1,0] neg_lo:[0,0,1] neg_hi:[0,0,1]
	v_pk_fma_f32 v[42:43], v[42:43], v[54:55], v[72:73] op_sel:[0,0,1] op_sel_hi:[1,0,0]
	v_mov_b32_e32 v39, v41
	v_pk_add_f32 v[0:1], v[0:1], v[34:35]
	v_pk_fma_f32 v[48:49], v[44:45], v[56:57], v[74:75] op_sel:[0,0,1] op_sel_hi:[1,1,0] neg_lo:[0,0,1] neg_hi:[0,0,1]
	v_pk_fma_f32 v[44:45], v[44:45], v[56:57], v[74:75] op_sel:[0,0,1] op_sel_hi:[1,0,0]
	v_mov_b32_e32 v47, v43
	v_pk_add_f32 v[0:1], v[0:1], v[38:39]
	s_waitcnt lgkmcnt(0)
	v_pk_mul_f32 v[26:27], v[62:63], v[82:83] op_sel_hi:[1,0]
	v_mov_b32_e32 v49, v45
	v_pk_add_f32 v[0:1], v[0:1], v[46:47]
	v_pk_fma_f32 v[28:29], v[62:63], v[58:59], v[26:27] op_sel:[0,0,1] op_sel_hi:[1,1,0] neg_lo:[0,0,1] neg_hi:[0,0,1]
	v_pk_fma_f32 v[26:27], v[62:63], v[58:59], v[26:27] op_sel:[0,0,1] op_sel_hi:[1,0,0]
	v_pk_add_f32 v[0:1], v[0:1], v[48:49]
	v_mov_b32_e32 v29, v27
	v_pk_add_f32 v[0:1], v[0:1], v[28:29]
	s_waitcnt vmcnt(0)
	v_pk_add_f32 v[0:1], v[60:61], v[0:1] neg_lo:[0,1] neg_hi:[0,1]
	buffer_store_dword v1, off, s[0:3], 0 offset:4
	buffer_store_dword v0, off, s[0:3], 0
	s_cbranch_vccz .LBB11_109
; %bb.86:
	v_pk_mov_b32 v[0:1], s[10:11], s[10:11] op_sel:[0,1]
	flat_load_dword v0, v[0:1] offset:40
	s_waitcnt vmcnt(0) lgkmcnt(0)
	v_add_u32_e32 v0, -1, v0
	v_cmp_ne_u32_e32 vcc, 10, v0
	s_and_saveexec_b64 s[4:5], vcc
	s_cbranch_execz .LBB11_88
; %bb.87:
	v_mov_b32_e32 v1, 0
	v_lshl_add_u32 v0, v0, 3, v1
	buffer_load_dword v1, v0, s[0:3], 0 offen
	buffer_load_dword v26, v0, s[0:3], 0 offen offset:4
	buffer_load_dword v27, off, s[0:3], 0 offset:84
	buffer_load_dword v28, off, s[0:3], 0 offset:80
	s_waitcnt vmcnt(3)
	buffer_store_dword v1, off, s[0:3], 0 offset:80
	s_waitcnt vmcnt(3)
	buffer_store_dword v26, off, s[0:3], 0 offset:84
	s_waitcnt vmcnt(3)
	buffer_store_dword v27, v0, s[0:3], 0 offen offset:4
	s_waitcnt vmcnt(3)
	buffer_store_dword v28, v0, s[0:3], 0 offen
.LBB11_88:
	s_or_b64 exec, exec, s[4:5]
	v_pk_mov_b32 v[0:1], s[10:11], s[10:11] op_sel:[0,1]
	flat_load_dword v0, v[0:1] offset:36
	s_waitcnt vmcnt(0) lgkmcnt(0)
	v_add_u32_e32 v0, -1, v0
	v_cmp_ne_u32_e32 vcc, 9, v0
	s_and_saveexec_b64 s[4:5], vcc
	s_cbranch_execz .LBB11_90
; %bb.89:
	v_mov_b32_e32 v1, 0
	v_lshl_add_u32 v0, v0, 3, v1
	buffer_load_dword v1, v0, s[0:3], 0 offen
	buffer_load_dword v26, v0, s[0:3], 0 offen offset:4
	buffer_load_dword v27, off, s[0:3], 0 offset:72
	buffer_load_dword v28, off, s[0:3], 0 offset:76
	s_waitcnt vmcnt(3)
	buffer_store_dword v1, off, s[0:3], 0 offset:72
	s_waitcnt vmcnt(3)
	buffer_store_dword v26, off, s[0:3], 0 offset:76
	s_waitcnt vmcnt(3)
	buffer_store_dword v27, v0, s[0:3], 0 offen
	s_waitcnt vmcnt(3)
	buffer_store_dword v28, v0, s[0:3], 0 offen offset:4
.LBB11_90:
	s_or_b64 exec, exec, s[4:5]
	v_pk_mov_b32 v[0:1], s[10:11], s[10:11] op_sel:[0,1]
	flat_load_dword v0, v[0:1] offset:32
	s_waitcnt vmcnt(0) lgkmcnt(0)
	v_add_u32_e32 v0, -1, v0
	v_cmp_ne_u32_e32 vcc, 8, v0
	s_and_saveexec_b64 s[4:5], vcc
	s_cbranch_execz .LBB11_92
; %bb.91:
	v_mov_b32_e32 v1, 0
	v_lshl_add_u32 v0, v0, 3, v1
	buffer_load_dword v1, v0, s[0:3], 0 offen
	buffer_load_dword v26, v0, s[0:3], 0 offen offset:4
	buffer_load_dword v27, off, s[0:3], 0 offset:68
	buffer_load_dword v28, off, s[0:3], 0 offset:64
	s_waitcnt vmcnt(3)
	buffer_store_dword v1, off, s[0:3], 0 offset:64
	s_waitcnt vmcnt(3)
	buffer_store_dword v26, off, s[0:3], 0 offset:68
	s_waitcnt vmcnt(3)
	buffer_store_dword v27, v0, s[0:3], 0 offen offset:4
	s_waitcnt vmcnt(3)
	buffer_store_dword v28, v0, s[0:3], 0 offen
.LBB11_92:
	s_or_b64 exec, exec, s[4:5]
	v_pk_mov_b32 v[0:1], s[10:11], s[10:11] op_sel:[0,1]
	flat_load_dword v0, v[0:1] offset:28
	s_waitcnt vmcnt(0) lgkmcnt(0)
	v_add_u32_e32 v0, -1, v0
	v_cmp_ne_u32_e32 vcc, 7, v0
	s_and_saveexec_b64 s[4:5], vcc
	s_cbranch_execz .LBB11_94
; %bb.93:
	v_mov_b32_e32 v1, 0
	v_lshl_add_u32 v0, v0, 3, v1
	buffer_load_dword v1, v0, s[0:3], 0 offen
	buffer_load_dword v26, v0, s[0:3], 0 offen offset:4
	buffer_load_dword v27, off, s[0:3], 0 offset:56
	buffer_load_dword v28, off, s[0:3], 0 offset:60
	s_waitcnt vmcnt(3)
	buffer_store_dword v1, off, s[0:3], 0 offset:56
	s_waitcnt vmcnt(3)
	buffer_store_dword v26, off, s[0:3], 0 offset:60
	s_waitcnt vmcnt(3)
	buffer_store_dword v27, v0, s[0:3], 0 offen
	s_waitcnt vmcnt(3)
	buffer_store_dword v28, v0, s[0:3], 0 offen offset:4
.LBB11_94:
	s_or_b64 exec, exec, s[4:5]
	;; [unrolled: 48-line block ×5, first 2 shown]
	v_pk_mov_b32 v[0:1], s[10:11], s[10:11] op_sel:[0,1]
	flat_load_dword v26, v[0:1]
	s_nop 0
	buffer_load_dword v0, off, s[0:3], 0
	buffer_load_dword v1, off, s[0:3], 0 offset:4
	s_waitcnt vmcnt(0) lgkmcnt(0)
	v_add_u32_e32 v26, -1, v26
	v_cmp_ne_u32_e32 vcc, 0, v26
	s_and_saveexec_b64 s[4:5], vcc
	s_cbranch_execz .LBB11_108
; %bb.107:
	v_mov_b32_e32 v27, 0
	v_lshl_add_u32 v26, v26, 3, v27
	buffer_load_dword v27, v26, s[0:3], 0 offen offset:4
	buffer_load_dword v28, v26, s[0:3], 0 offen
	s_waitcnt vmcnt(1)
	buffer_store_dword v27, off, s[0:3], 0 offset:4
	s_waitcnt vmcnt(1)
	buffer_store_dword v28, off, s[0:3], 0
	buffer_store_dword v1, v26, s[0:3], 0 offen offset:4
	buffer_store_dword v0, v26, s[0:3], 0 offen
	buffer_load_dword v0, off, s[0:3], 0
	s_nop 0
	buffer_load_dword v1, off, s[0:3], 0 offset:4
.LBB11_108:
	s_or_b64 exec, exec, s[4:5]
.LBB11_109:
	buffer_load_dword v26, off, s[0:3], 0 offset:8
	buffer_load_dword v27, off, s[0:3], 0 offset:12
	buffer_load_dword v28, off, s[0:3], 0 offset:16
	buffer_load_dword v29, off, s[0:3], 0 offset:20
	buffer_load_dword v30, off, s[0:3], 0 offset:24
	buffer_load_dword v31, off, s[0:3], 0 offset:28
	buffer_load_dword v32, off, s[0:3], 0 offset:32
	buffer_load_dword v33, off, s[0:3], 0 offset:36
	buffer_load_dword v34, off, s[0:3], 0 offset:40
	buffer_load_dword v35, off, s[0:3], 0 offset:44
	buffer_load_dword v36, off, s[0:3], 0 offset:48
	buffer_load_dword v37, off, s[0:3], 0 offset:52
	buffer_load_dword v38, off, s[0:3], 0 offset:56
	buffer_load_dword v39, off, s[0:3], 0 offset:60
	buffer_load_dword v40, off, s[0:3], 0 offset:64
	buffer_load_dword v41, off, s[0:3], 0 offset:68
	buffer_load_dword v42, off, s[0:3], 0 offset:72
	buffer_load_dword v43, off, s[0:3], 0 offset:76
	buffer_load_dword v44, off, s[0:3], 0 offset:80
	buffer_load_dword v45, off, s[0:3], 0 offset:84
	buffer_load_dword v46, off, s[0:3], 0 offset:88
	buffer_load_dword v47, off, s[0:3], 0 offset:92
	s_waitcnt vmcnt(22)
	global_store_dwordx2 v[2:3], v[0:1], off
	s_waitcnt vmcnt(21)
	global_store_dwordx2 v[4:5], v[26:27], off
	s_waitcnt vmcnt(20)
	global_store_dwordx2 v[6:7], v[28:29], off
	s_waitcnt vmcnt(19)
	global_store_dwordx2 v[8:9], v[30:31], off
	s_waitcnt vmcnt(18)
	global_store_dwordx2 v[10:11], v[32:33], off
	s_waitcnt vmcnt(17)
	global_store_dwordx2 v[12:13], v[34:35], off
	s_waitcnt vmcnt(16)
	global_store_dwordx2 v[14:15], v[36:37], off
	s_waitcnt vmcnt(15)
	global_store_dwordx2 v[16:17], v[38:39], off
	s_waitcnt vmcnt(14)
	global_store_dwordx2 v[18:19], v[40:41], off
	s_waitcnt vmcnt(13)
	global_store_dwordx2 v[20:21], v[42:43], off
	s_waitcnt vmcnt(12)
	global_store_dwordx2 v[22:23], v[44:45], off
	s_waitcnt vmcnt(11)
	global_store_dwordx2 v[24:25], v[46:47], off
	s_endpgm
	.section	.rodata,"a",@progbits
	.p2align	6, 0x0
	.amdhsa_kernel _ZN9rocsolver6v33100L18getri_kernel_smallILi12E19rocblas_complex_numIfEPS3_EEvT1_iilPiilS6_bb
		.amdhsa_group_segment_fixed_size 196
		.amdhsa_private_segment_fixed_size 112
		.amdhsa_kernarg_size 60
		.amdhsa_user_sgpr_count 8
		.amdhsa_user_sgpr_private_segment_buffer 1
		.amdhsa_user_sgpr_dispatch_ptr 0
		.amdhsa_user_sgpr_queue_ptr 0
		.amdhsa_user_sgpr_kernarg_segment_ptr 1
		.amdhsa_user_sgpr_dispatch_id 0
		.amdhsa_user_sgpr_flat_scratch_init 1
		.amdhsa_user_sgpr_kernarg_preload_length 0
		.amdhsa_user_sgpr_kernarg_preload_offset 0
		.amdhsa_user_sgpr_private_segment_size 0
		.amdhsa_uses_dynamic_stack 0
		.amdhsa_system_sgpr_private_segment_wavefront_offset 1
		.amdhsa_system_sgpr_workgroup_id_x 1
		.amdhsa_system_sgpr_workgroup_id_y 0
		.amdhsa_system_sgpr_workgroup_id_z 0
		.amdhsa_system_sgpr_workgroup_info 0
		.amdhsa_system_vgpr_workitem_id 0
		.amdhsa_next_free_vgpr 84
		.amdhsa_next_free_sgpr 23
		.amdhsa_accum_offset 84
		.amdhsa_reserve_vcc 1
		.amdhsa_reserve_flat_scratch 1
		.amdhsa_float_round_mode_32 0
		.amdhsa_float_round_mode_16_64 0
		.amdhsa_float_denorm_mode_32 3
		.amdhsa_float_denorm_mode_16_64 3
		.amdhsa_dx10_clamp 1
		.amdhsa_ieee_mode 1
		.amdhsa_fp16_overflow 0
		.amdhsa_tg_split 0
		.amdhsa_exception_fp_ieee_invalid_op 0
		.amdhsa_exception_fp_denorm_src 0
		.amdhsa_exception_fp_ieee_div_zero 0
		.amdhsa_exception_fp_ieee_overflow 0
		.amdhsa_exception_fp_ieee_underflow 0
		.amdhsa_exception_fp_ieee_inexact 0
		.amdhsa_exception_int_div_zero 0
	.end_amdhsa_kernel
	.section	.text._ZN9rocsolver6v33100L18getri_kernel_smallILi12E19rocblas_complex_numIfEPS3_EEvT1_iilPiilS6_bb,"axG",@progbits,_ZN9rocsolver6v33100L18getri_kernel_smallILi12E19rocblas_complex_numIfEPS3_EEvT1_iilPiilS6_bb,comdat
.Lfunc_end11:
	.size	_ZN9rocsolver6v33100L18getri_kernel_smallILi12E19rocblas_complex_numIfEPS3_EEvT1_iilPiilS6_bb, .Lfunc_end11-_ZN9rocsolver6v33100L18getri_kernel_smallILi12E19rocblas_complex_numIfEPS3_EEvT1_iilPiilS6_bb
                                        ; -- End function
	.section	.AMDGPU.csdata,"",@progbits
; Kernel info:
; codeLenInByte = 11644
; NumSgprs: 29
; NumVgprs: 84
; NumAgprs: 0
; TotalNumVgprs: 84
; ScratchSize: 112
; MemoryBound: 0
; FloatMode: 240
; IeeeMode: 1
; LDSByteSize: 196 bytes/workgroup (compile time only)
; SGPRBlocks: 3
; VGPRBlocks: 10
; NumSGPRsForWavesPerEU: 29
; NumVGPRsForWavesPerEU: 84
; AccumOffset: 84
; Occupancy: 5
; WaveLimiterHint : 1
; COMPUTE_PGM_RSRC2:SCRATCH_EN: 1
; COMPUTE_PGM_RSRC2:USER_SGPR: 8
; COMPUTE_PGM_RSRC2:TRAP_HANDLER: 0
; COMPUTE_PGM_RSRC2:TGID_X_EN: 1
; COMPUTE_PGM_RSRC2:TGID_Y_EN: 0
; COMPUTE_PGM_RSRC2:TGID_Z_EN: 0
; COMPUTE_PGM_RSRC2:TIDIG_COMP_CNT: 0
; COMPUTE_PGM_RSRC3_GFX90A:ACCUM_OFFSET: 20
; COMPUTE_PGM_RSRC3_GFX90A:TG_SPLIT: 0
	.section	.text._ZN9rocsolver6v33100L18getri_kernel_smallILi13E19rocblas_complex_numIfEPS3_EEvT1_iilPiilS6_bb,"axG",@progbits,_ZN9rocsolver6v33100L18getri_kernel_smallILi13E19rocblas_complex_numIfEPS3_EEvT1_iilPiilS6_bb,comdat
	.globl	_ZN9rocsolver6v33100L18getri_kernel_smallILi13E19rocblas_complex_numIfEPS3_EEvT1_iilPiilS6_bb ; -- Begin function _ZN9rocsolver6v33100L18getri_kernel_smallILi13E19rocblas_complex_numIfEPS3_EEvT1_iilPiilS6_bb
	.p2align	8
	.type	_ZN9rocsolver6v33100L18getri_kernel_smallILi13E19rocblas_complex_numIfEPS3_EEvT1_iilPiilS6_bb,@function
_ZN9rocsolver6v33100L18getri_kernel_smallILi13E19rocblas_complex_numIfEPS3_EEvT1_iilPiilS6_bb: ; @_ZN9rocsolver6v33100L18getri_kernel_smallILi13E19rocblas_complex_numIfEPS3_EEvT1_iilPiilS6_bb
; %bb.0:
	s_add_u32 flat_scratch_lo, s6, s9
	s_addc_u32 flat_scratch_hi, s7, 0
	s_add_u32 s0, s0, s9
	s_addc_u32 s1, s1, 0
	v_cmp_gt_u32_e32 vcc, 13, v0
	s_and_saveexec_b64 s[6:7], vcc
	s_cbranch_execz .LBB12_66
; %bb.1:
	s_load_dword s22, s[4:5], 0x38
	s_load_dwordx4 s[16:19], s[4:5], 0x10
	s_load_dwordx4 s[12:15], s[4:5], 0x28
                                        ; implicit-def: $sgpr10_sgpr11
	s_waitcnt lgkmcnt(0)
	s_bitcmp1_b32 s22, 8
	s_cselect_b64 s[20:21], -1, 0
	s_ashr_i32 s9, s8, 31
	s_bfe_u32 s6, s22, 0x10008
	s_cmp_eq_u32 s6, 0
	s_cbranch_scc1 .LBB12_3
; %bb.2:
	s_load_dword s6, s[4:5], 0x20
	s_mul_i32 s7, s8, s13
	s_mul_hi_u32 s10, s8, s12
	s_mul_i32 s11, s9, s12
	s_add_i32 s10, s10, s7
	s_add_i32 s11, s10, s11
	s_mul_i32 s10, s8, s12
	s_waitcnt lgkmcnt(0)
	s_ashr_i32 s7, s6, 31
	s_lshl_b64 s[10:11], s[10:11], 2
	s_add_u32 s10, s18, s10
	s_addc_u32 s11, s19, s11
	s_lshl_b64 s[6:7], s[6:7], 2
	s_add_u32 s10, s10, s6
	s_addc_u32 s11, s11, s7
.LBB12_3:
	s_load_dwordx4 s[4:7], s[4:5], 0x0
	s_mul_i32 s12, s8, s17
	s_mul_hi_u32 s13, s8, s16
	s_add_i32 s17, s13, s12
	v_lshlrev_b32_e32 v32, 3, v0
	s_waitcnt lgkmcnt(0)
	s_ashr_i32 s13, s6, 31
	s_mov_b32 s12, s6
	s_mul_i32 s6, s9, s16
	s_add_i32 s17, s17, s6
	s_mul_i32 s16, s8, s16
	s_lshl_b64 s[16:17], s[16:17], 3
	s_add_u32 s6, s4, s16
	s_addc_u32 s16, s5, s17
	s_lshl_b64 s[4:5], s[12:13], 3
	s_add_u32 s4, s6, s4
	s_addc_u32 s5, s16, s5
	v_mov_b32_e32 v1, s5
	v_add_co_u32_e32 v2, vcc, s4, v32
	s_ashr_i32 s13, s7, 31
	s_mov_b32 s12, s7
	s_add_i32 s6, s7, s7
	v_addc_co_u32_e32 v3, vcc, 0, v1, vcc
	s_lshl_b64 s[12:13], s[12:13], 3
	v_add_u32_e32 v8, s6, v0
	v_mov_b32_e32 v1, s13
	v_add_co_u32_e32 v4, vcc, s12, v2
	v_ashrrev_i32_e32 v9, 31, v8
	v_addc_co_u32_e32 v5, vcc, v3, v1, vcc
	v_lshlrev_b64 v[6:7], 3, v[8:9]
	v_add_u32_e32 v10, s7, v8
	v_mov_b32_e32 v1, s5
	v_add_co_u32_e32 v6, vcc, s4, v6
	v_ashrrev_i32_e32 v11, 31, v10
	v_addc_co_u32_e32 v7, vcc, v1, v7, vcc
	v_lshlrev_b64 v[8:9], 3, v[10:11]
	v_add_u32_e32 v12, s7, v10
	v_add_co_u32_e32 v8, vcc, s4, v8
	v_ashrrev_i32_e32 v13, 31, v12
	v_addc_co_u32_e32 v9, vcc, v1, v9, vcc
	v_lshlrev_b64 v[10:11], 3, v[12:13]
	v_add_u32_e32 v14, s7, v12
	;; [unrolled: 5-line block ×8, first 2 shown]
	v_add_co_u32_e32 v22, vcc, s4, v22
	v_ashrrev_i32_e32 v27, 31, v26
	v_addc_co_u32_e32 v23, vcc, v1, v23, vcc
	v_lshlrev_b64 v[24:25], 3, v[26:27]
	v_add_co_u32_e32 v24, vcc, s4, v24
	global_load_dwordx2 v[28:29], v32, s[4:5]
	global_load_dwordx2 v[30:31], v[4:5], off
	global_load_dwordx2 v[34:35], v[6:7], off
	;; [unrolled: 1-line block ×8, first 2 shown]
	v_addc_co_u32_e32 v25, vcc, v1, v25, vcc
	global_load_dwordx2 v[48:49], v[20:21], off
	global_load_dwordx2 v[50:51], v[22:23], off
	;; [unrolled: 1-line block ×3, first 2 shown]
	v_add_u32_e32 v26, s7, v26
	v_ashrrev_i32_e32 v27, 31, v26
	v_lshlrev_b64 v[26:27], 3, v[26:27]
	v_add_co_u32_e32 v26, vcc, s4, v26
	v_addc_co_u32_e32 v27, vcc, v1, v27, vcc
	global_load_dwordx2 v[54:55], v[26:27], off
	s_bitcmp0_b32 s22, 0
	s_mov_b64 s[6:7], -1
	s_waitcnt vmcnt(12)
	buffer_store_dword v29, off, s[0:3], 0 offset:4
	buffer_store_dword v28, off, s[0:3], 0
	s_waitcnt vmcnt(13)
	buffer_store_dword v31, off, s[0:3], 0 offset:12
	buffer_store_dword v30, off, s[0:3], 0 offset:8
	s_waitcnt vmcnt(14)
	buffer_store_dword v35, off, s[0:3], 0 offset:20
	buffer_store_dword v34, off, s[0:3], 0 offset:16
	;; [unrolled: 3-line block ×12, first 2 shown]
	s_cbranch_scc1 .LBB12_64
; %bb.4:
	v_cmp_eq_u32_e64 s[4:5], 0, v0
	s_and_saveexec_b64 s[6:7], s[4:5]
	s_cbranch_execz .LBB12_6
; %bb.5:
	v_mov_b32_e32 v1, 0
	ds_write_b32 v1, v1 offset:104
.LBB12_6:
	s_or_b64 exec, exec, s[6:7]
	v_mov_b32_e32 v1, 0
	v_lshl_add_u32 v33, v0, 3, v1
	s_waitcnt lgkmcnt(0)
	; wave barrier
	s_waitcnt lgkmcnt(0)
	buffer_load_dword v1, v33, s[0:3], 0 offen
	buffer_load_dword v28, v33, s[0:3], 0 offen offset:4
	s_waitcnt vmcnt(1)
	v_cmp_eq_f32_e32 vcc, 0, v1
	s_waitcnt vmcnt(0)
	v_cmp_eq_f32_e64 s[6:7], 0, v28
	s_and_b64 s[6:7], vcc, s[6:7]
	s_and_saveexec_b64 s[12:13], s[6:7]
	s_cbranch_execz .LBB12_10
; %bb.7:
	v_mov_b32_e32 v1, 0
	ds_read_b32 v29, v1 offset:104
	v_add_u32_e32 v28, 1, v0
	s_waitcnt lgkmcnt(0)
	v_readfirstlane_b32 s6, v29
	s_cmp_eq_u32 s6, 0
	s_cselect_b64 s[16:17], -1, 0
	v_cmp_gt_i32_e32 vcc, s6, v28
	s_or_b64 s[16:17], s[16:17], vcc
	s_and_b64 exec, exec, s[16:17]
	s_cbranch_execz .LBB12_10
; %bb.8:
	s_mov_b64 s[16:17], 0
	v_mov_b32_e32 v29, s6
.LBB12_9:                               ; =>This Inner Loop Header: Depth=1
	ds_cmpst_rtn_b32 v29, v1, v29, v28 offset:104
	s_waitcnt lgkmcnt(0)
	v_cmp_ne_u32_e32 vcc, 0, v29
	v_cmp_le_i32_e64 s[6:7], v29, v28
	s_and_b64 s[6:7], vcc, s[6:7]
	s_and_b64 s[6:7], exec, s[6:7]
	s_or_b64 s[16:17], s[6:7], s[16:17]
	s_andn2_b64 exec, exec, s[16:17]
	s_cbranch_execnz .LBB12_9
.LBB12_10:
	s_or_b64 exec, exec, s[12:13]
	v_mov_b32_e32 v28, 0
	s_waitcnt lgkmcnt(0)
	; wave barrier
	ds_read_b32 v1, v28 offset:104
	s_and_saveexec_b64 s[6:7], s[4:5]
	s_cbranch_execz .LBB12_12
; %bb.11:
	s_lshl_b64 s[12:13], s[8:9], 2
	s_add_u32 s12, s14, s12
	s_addc_u32 s13, s15, s13
	s_waitcnt lgkmcnt(0)
	global_store_dword v28, v1, s[12:13]
.LBB12_12:
	s_or_b64 exec, exec, s[6:7]
	s_waitcnt lgkmcnt(0)
	v_cmp_ne_u32_e32 vcc, 0, v1
	s_mov_b64 s[6:7], 0
	s_cbranch_vccnz .LBB12_64
; %bb.13:
	buffer_load_dword v34, v33, s[0:3], 0 offen offset:4
	buffer_load_dword v29, v33, s[0:3], 0 offen
	s_waitcnt vmcnt(1)
	v_cmp_gt_f32_e32 vcc, 0, v34
	v_cndmask_b32_e64 v1, v34, -v34, vcc
	s_waitcnt vmcnt(0)
	v_cmp_gt_f32_e32 vcc, 0, v29
	v_cndmask_b32_e64 v28, v29, -v29, vcc
	v_cmp_ngt_f32_e32 vcc, v28, v1
                                        ; implicit-def: $vgpr1
                                        ; implicit-def: $vgpr28
	s_and_saveexec_b64 s[6:7], vcc
	s_xor_b64 s[6:7], exec, s[6:7]
                                        ; implicit-def: $vgpr30_vgpr31
	s_cbranch_execz .LBB12_15
; %bb.14:
	v_div_scale_f32 v1, s[12:13], v34, v34, v29
	v_rcp_f32_e32 v28, v1
	v_div_scale_f32 v30, vcc, v29, v34, v29
	v_fma_f32 v31, -v1, v28, 1.0
	v_fmac_f32_e32 v28, v31, v28
	v_mul_f32_e32 v31, v30, v28
	v_fma_f32 v35, -v1, v31, v30
	v_fmac_f32_e32 v31, v35, v28
	v_fma_f32 v1, -v1, v31, v30
	v_div_fmas_f32 v1, v1, v28, v31
	v_div_fixup_f32 v28, v1, v34, v29
	v_fmac_f32_e32 v34, v29, v28
	v_div_scale_f32 v1, s[12:13], v34, v34, -1.0
	v_rcp_f32_e32 v29, v1
	v_fma_f32 v30, -v1, v29, 1.0
	v_fmac_f32_e32 v29, v30, v29
	v_div_scale_f32 v30, vcc, -1.0, v34, -1.0
	v_mul_f32_e32 v31, v30, v29
	v_fma_f32 v35, -v1, v31, v30
	v_fmac_f32_e32 v31, v35, v29
	v_fma_f32 v1, -v1, v31, v30
	v_div_fmas_f32 v1, v1, v29, v31
	v_div_fixup_f32 v1, v1, v34, -1.0
	v_mul_f32_e32 v28, v28, v1
	v_xor_b32_e32 v30, 0x80000000, v28
                                        ; implicit-def: $vgpr29
                                        ; implicit-def: $vgpr34
.LBB12_15:
	s_andn2_saveexec_b64 s[6:7], s[6:7]
	s_cbranch_execz .LBB12_17
; %bb.16:
	v_div_scale_f32 v1, s[12:13], v29, v29, v34
	v_rcp_f32_e32 v28, v1
	v_div_scale_f32 v30, vcc, v34, v29, v34
	v_fma_f32 v31, -v1, v28, 1.0
	v_fmac_f32_e32 v28, v31, v28
	v_mul_f32_e32 v31, v30, v28
	v_fma_f32 v35, -v1, v31, v30
	v_fmac_f32_e32 v31, v35, v28
	v_fma_f32 v1, -v1, v31, v30
	v_div_fmas_f32 v1, v1, v28, v31
	v_div_fixup_f32 v1, v1, v29, v34
	v_fmac_f32_e32 v29, v34, v1
	v_div_scale_f32 v28, s[12:13], v29, v29, 1.0
	v_rcp_f32_e32 v30, v28
	v_fma_f32 v31, -v28, v30, 1.0
	v_fmac_f32_e32 v30, v31, v30
	v_div_scale_f32 v31, vcc, 1.0, v29, 1.0
	v_mul_f32_e32 v34, v31, v30
	v_fma_f32 v35, -v28, v34, v31
	v_fmac_f32_e32 v34, v35, v30
	v_fma_f32 v28, -v28, v34, v31
	v_div_fmas_f32 v28, v28, v30, v34
	v_div_fixup_f32 v30, v28, v29, 1.0
	v_xor_b32_e32 v28, 0x80000000, v30
	v_mul_f32_e64 v1, v1, -v30
.LBB12_17:
	s_or_b64 exec, exec, s[6:7]
	buffer_store_dword v1, v33, s[0:3], 0 offen offset:4
	buffer_store_dword v30, v33, s[0:3], 0 offen
	buffer_load_dword v31, off, s[0:3], 0 offset:12
	s_nop 0
	buffer_load_dword v30, off, s[0:3], 0 offset:8
	v_xor_b32_e32 v29, 0x80000000, v1
	v_add_u32_e32 v1, 0x70, v32
	s_waitcnt vmcnt(0)
	ds_write2_b64 v32, v[28:29], v[30:31] offset1:14
	s_waitcnt lgkmcnt(0)
	; wave barrier
	s_waitcnt lgkmcnt(0)
	s_and_saveexec_b64 s[6:7], s[4:5]
	s_cbranch_execz .LBB12_19
; %bb.18:
	buffer_load_dword v34, v33, s[0:3], 0 offen offset:4
	buffer_load_dword v35, v33, s[0:3], 0 offen
	ds_read_b64 v[28:29], v1
	v_mov_b32_e32 v30, 0
	ds_read_b64 v[30:31], v30 offset:8
	s_waitcnt vmcnt(1) lgkmcnt(1)
	v_mul_f32_e32 v36, v29, v34
	v_mul_f32_e32 v34, v28, v34
	s_waitcnt vmcnt(0)
	v_fmac_f32_e32 v34, v29, v35
	v_fma_f32 v28, v28, v35, -v36
	v_add_f32_e32 v29, 0, v34
	v_add_f32_e32 v28, 0, v28
	s_waitcnt lgkmcnt(0)
	v_mul_f32_e32 v34, v29, v31
	v_mul_f32_e32 v31, v28, v31
	v_fma_f32 v28, v28, v30, -v34
	v_fmac_f32_e32 v31, v29, v30
	buffer_store_dword v28, off, s[0:3], 0 offset:8
	buffer_store_dword v31, off, s[0:3], 0 offset:12
.LBB12_19:
	s_or_b64 exec, exec, s[6:7]
	s_waitcnt lgkmcnt(0)
	; wave barrier
	buffer_load_dword v28, off, s[0:3], 0 offset:16
	buffer_load_dword v29, off, s[0:3], 0 offset:20
	v_cmp_gt_u32_e32 vcc, 2, v0
	s_waitcnt vmcnt(0)
	ds_write_b64 v1, v[28:29]
	s_waitcnt lgkmcnt(0)
	; wave barrier
	s_waitcnt lgkmcnt(0)
	s_and_saveexec_b64 s[6:7], vcc
	s_cbranch_execz .LBB12_23
; %bb.20:
	buffer_load_dword v30, v33, s[0:3], 0 offen offset:4
	buffer_load_dword v31, v33, s[0:3], 0 offen
	ds_read_b64 v[28:29], v1
	s_waitcnt vmcnt(1) lgkmcnt(0)
	v_mul_f32_e32 v33, v29, v30
	v_mul_f32_e32 v30, v28, v30
	s_waitcnt vmcnt(0)
	v_fma_f32 v28, v28, v31, -v33
	v_fmac_f32_e32 v30, v29, v31
	v_add_f32_e32 v29, 0, v28
	v_add_f32_e32 v28, 0, v30
	s_and_saveexec_b64 s[12:13], s[4:5]
	s_cbranch_execz .LBB12_22
; %bb.21:
	buffer_load_dword v33, off, s[0:3], 0 offset:12
	buffer_load_dword v34, off, s[0:3], 0 offset:8
	v_mov_b32_e32 v30, 0
	ds_read_b64 v[30:31], v30 offset:120
	s_waitcnt vmcnt(1) lgkmcnt(0)
	v_mul_f32_e32 v35, v30, v33
	v_mul_f32_e32 v33, v31, v33
	s_waitcnt vmcnt(0)
	v_fmac_f32_e32 v35, v31, v34
	v_fma_f32 v30, v30, v34, -v33
	v_add_f32_e32 v28, v28, v35
	v_add_f32_e32 v29, v29, v30
.LBB12_22:
	s_or_b64 exec, exec, s[12:13]
	v_mov_b32_e32 v30, 0
	ds_read_b64 v[30:31], v30 offset:16
	s_waitcnt lgkmcnt(0)
	v_mul_f32_e32 v33, v28, v31
	v_mul_f32_e32 v31, v29, v31
	v_fma_f32 v29, v29, v30, -v33
	v_fmac_f32_e32 v31, v28, v30
	buffer_store_dword v29, off, s[0:3], 0 offset:16
	buffer_store_dword v31, off, s[0:3], 0 offset:20
.LBB12_23:
	s_or_b64 exec, exec, s[6:7]
	s_waitcnt lgkmcnt(0)
	; wave barrier
	buffer_load_dword v28, off, s[0:3], 0 offset:24
	buffer_load_dword v29, off, s[0:3], 0 offset:28
	v_cmp_gt_u32_e32 vcc, 3, v0
	s_waitcnt vmcnt(0)
	ds_write_b64 v1, v[28:29]
	v_add_u32_e32 v28, -1, v0
	s_waitcnt lgkmcnt(0)
	; wave barrier
	s_waitcnt lgkmcnt(0)
	s_and_saveexec_b64 s[4:5], vcc
	s_cbranch_execz .LBB12_27
; %bb.24:
	v_add_u32_e32 v30, -1, v0
	v_add_u32_e32 v31, 0x70, v32
	v_add_u32_e32 v33, 0, v32
	s_mov_b64 s[6:7], 0
	v_mov_b32_e32 v29, 0
	v_mov_b32_e32 v34, 0
.LBB12_25:                              ; =>This Inner Loop Header: Depth=1
	buffer_load_dword v35, v33, s[0:3], 0 offen offset:4
	buffer_load_dword v38, v33, s[0:3], 0 offen
	ds_read_b64 v[36:37], v31
	v_add_u32_e32 v30, 1, v30
	v_cmp_lt_u32_e32 vcc, 1, v30
	v_add_u32_e32 v31, 8, v31
	v_add_u32_e32 v33, 8, v33
	s_or_b64 s[6:7], vcc, s[6:7]
	s_waitcnt vmcnt(1) lgkmcnt(0)
	v_mul_f32_e32 v39, v37, v35
	v_mul_f32_e32 v35, v36, v35
	s_waitcnt vmcnt(0)
	v_fma_f32 v36, v36, v38, -v39
	v_fmac_f32_e32 v35, v37, v38
	v_add_f32_e32 v34, v34, v36
	v_add_f32_e32 v29, v29, v35
	s_andn2_b64 exec, exec, s[6:7]
	s_cbranch_execnz .LBB12_25
; %bb.26:
	s_or_b64 exec, exec, s[6:7]
	v_mov_b32_e32 v30, 0
	ds_read_b64 v[30:31], v30 offset:24
	s_waitcnt lgkmcnt(0)
	v_mul_f32_e32 v33, v29, v31
	v_mul_f32_e32 v31, v34, v31
	v_fma_f32 v33, v34, v30, -v33
	v_fmac_f32_e32 v31, v29, v30
	buffer_store_dword v33, off, s[0:3], 0 offset:24
	buffer_store_dword v31, off, s[0:3], 0 offset:28
.LBB12_27:
	s_or_b64 exec, exec, s[4:5]
	s_waitcnt lgkmcnt(0)
	; wave barrier
	buffer_load_dword v30, off, s[0:3], 0 offset:32
	buffer_load_dword v31, off, s[0:3], 0 offset:36
	v_cmp_gt_u32_e32 vcc, 4, v0
	s_waitcnt vmcnt(0)
	ds_write_b64 v1, v[30:31]
	s_waitcnt lgkmcnt(0)
	; wave barrier
	s_waitcnt lgkmcnt(0)
	s_and_saveexec_b64 s[4:5], vcc
	s_cbranch_execz .LBB12_31
; %bb.28:
	v_add_u32_e32 v30, -1, v0
	v_add_u32_e32 v31, 0x70, v32
	v_add_u32_e32 v33, 0, v32
	s_mov_b64 s[6:7], 0
	v_mov_b32_e32 v29, 0
	v_mov_b32_e32 v34, 0
.LBB12_29:                              ; =>This Inner Loop Header: Depth=1
	buffer_load_dword v35, v33, s[0:3], 0 offen offset:4
	buffer_load_dword v38, v33, s[0:3], 0 offen
	ds_read_b64 v[36:37], v31
	v_add_u32_e32 v30, 1, v30
	v_cmp_lt_u32_e32 vcc, 2, v30
	v_add_u32_e32 v31, 8, v31
	v_add_u32_e32 v33, 8, v33
	s_or_b64 s[6:7], vcc, s[6:7]
	s_waitcnt vmcnt(1) lgkmcnt(0)
	v_mul_f32_e32 v39, v37, v35
	v_mul_f32_e32 v35, v36, v35
	s_waitcnt vmcnt(0)
	v_fma_f32 v36, v36, v38, -v39
	v_fmac_f32_e32 v35, v37, v38
	v_add_f32_e32 v34, v34, v36
	v_add_f32_e32 v29, v29, v35
	s_andn2_b64 exec, exec, s[6:7]
	s_cbranch_execnz .LBB12_29
; %bb.30:
	s_or_b64 exec, exec, s[6:7]
	v_mov_b32_e32 v30, 0
	ds_read_b64 v[30:31], v30 offset:32
	s_waitcnt lgkmcnt(0)
	v_mul_f32_e32 v33, v29, v31
	v_mul_f32_e32 v31, v34, v31
	v_fma_f32 v33, v34, v30, -v33
	v_fmac_f32_e32 v31, v29, v30
	buffer_store_dword v33, off, s[0:3], 0 offset:32
	buffer_store_dword v31, off, s[0:3], 0 offset:36
.LBB12_31:
	s_or_b64 exec, exec, s[4:5]
	s_waitcnt lgkmcnt(0)
	; wave barrier
	buffer_load_dword v30, off, s[0:3], 0 offset:40
	buffer_load_dword v31, off, s[0:3], 0 offset:44
	v_cmp_gt_u32_e32 vcc, 5, v0
	s_waitcnt vmcnt(0)
	ds_write_b64 v1, v[30:31]
	;; [unrolled: 51-line block ×8, first 2 shown]
	s_waitcnt lgkmcnt(0)
	; wave barrier
	s_waitcnt lgkmcnt(0)
	s_and_saveexec_b64 s[4:5], vcc
	s_cbranch_execz .LBB12_59
; %bb.56:
	v_add_u32_e32 v30, -1, v0
	v_add_u32_e32 v31, 0x70, v32
	v_add_u32_e32 v33, 0, v32
	s_mov_b64 s[6:7], 0
	v_mov_b32_e32 v29, 0
	v_mov_b32_e32 v34, 0
.LBB12_57:                              ; =>This Inner Loop Header: Depth=1
	buffer_load_dword v35, v33, s[0:3], 0 offen offset:4
	buffer_load_dword v38, v33, s[0:3], 0 offen
	ds_read_b64 v[36:37], v31
	v_add_u32_e32 v30, 1, v30
	v_cmp_lt_u32_e32 vcc, 9, v30
	v_add_u32_e32 v31, 8, v31
	v_add_u32_e32 v33, 8, v33
	s_or_b64 s[6:7], vcc, s[6:7]
	s_waitcnt vmcnt(1) lgkmcnt(0)
	v_mul_f32_e32 v39, v37, v35
	v_mul_f32_e32 v35, v36, v35
	s_waitcnt vmcnt(0)
	v_fma_f32 v36, v36, v38, -v39
	v_fmac_f32_e32 v35, v37, v38
	v_add_f32_e32 v34, v34, v36
	v_add_f32_e32 v29, v29, v35
	s_andn2_b64 exec, exec, s[6:7]
	s_cbranch_execnz .LBB12_57
; %bb.58:
	s_or_b64 exec, exec, s[6:7]
	v_mov_b32_e32 v30, 0
	ds_read_b64 v[30:31], v30 offset:88
	s_waitcnt lgkmcnt(0)
	v_mul_f32_e32 v33, v29, v31
	v_mul_f32_e32 v31, v34, v31
	v_fma_f32 v33, v34, v30, -v33
	v_fmac_f32_e32 v31, v29, v30
	buffer_store_dword v33, off, s[0:3], 0 offset:88
	buffer_store_dword v31, off, s[0:3], 0 offset:92
.LBB12_59:
	s_or_b64 exec, exec, s[4:5]
	s_waitcnt lgkmcnt(0)
	; wave barrier
	buffer_load_dword v30, off, s[0:3], 0 offset:96
	buffer_load_dword v31, off, s[0:3], 0 offset:100
	v_cmp_ne_u32_e32 vcc, 12, v0
	s_waitcnt vmcnt(0)
	ds_write_b64 v1, v[30:31]
	s_waitcnt lgkmcnt(0)
	; wave barrier
	s_waitcnt lgkmcnt(0)
	s_and_saveexec_b64 s[4:5], vcc
	s_cbranch_execz .LBB12_63
; %bb.60:
	v_add_u32_e32 v29, 0x70, v32
	v_add_u32_e32 v30, 0, v32
	s_mov_b64 s[6:7], 0
	v_mov_b32_e32 v1, 0
	v_mov_b32_e32 v31, 0
.LBB12_61:                              ; =>This Inner Loop Header: Depth=1
	buffer_load_dword v34, v30, s[0:3], 0 offen offset:4
	buffer_load_dword v35, v30, s[0:3], 0 offen
	ds_read_b64 v[32:33], v29
	v_add_u32_e32 v28, 1, v28
	v_cmp_lt_u32_e32 vcc, 10, v28
	v_add_u32_e32 v29, 8, v29
	v_add_u32_e32 v30, 8, v30
	s_or_b64 s[6:7], vcc, s[6:7]
	s_waitcnt vmcnt(1) lgkmcnt(0)
	v_mul_f32_e32 v36, v33, v34
	v_mul_f32_e32 v34, v32, v34
	s_waitcnt vmcnt(0)
	v_fma_f32 v32, v32, v35, -v36
	v_fmac_f32_e32 v34, v33, v35
	v_add_f32_e32 v31, v31, v32
	v_add_f32_e32 v1, v1, v34
	s_andn2_b64 exec, exec, s[6:7]
	s_cbranch_execnz .LBB12_61
; %bb.62:
	s_or_b64 exec, exec, s[6:7]
	v_mov_b32_e32 v28, 0
	ds_read_b64 v[28:29], v28 offset:96
	s_waitcnt lgkmcnt(0)
	v_mul_f32_e32 v30, v1, v29
	v_mul_f32_e32 v29, v31, v29
	v_fma_f32 v30, v31, v28, -v30
	v_fmac_f32_e32 v29, v1, v28
	buffer_store_dword v30, off, s[0:3], 0 offset:96
	buffer_store_dword v29, off, s[0:3], 0 offset:100
.LBB12_63:
	s_or_b64 exec, exec, s[4:5]
	s_mov_b64 s[6:7], -1
	s_waitcnt lgkmcnt(0)
	; wave barrier
.LBB12_64:
	s_and_b64 vcc, exec, s[6:7]
	s_cbranch_vccz .LBB12_66
; %bb.65:
	s_lshl_b64 s[4:5], s[8:9], 2
	s_add_u32 s4, s14, s4
	s_addc_u32 s5, s15, s5
	v_mov_b32_e32 v1, 0
	global_load_dword v1, v1, s[4:5]
	s_waitcnt vmcnt(0)
	v_cmp_ne_u32_e32 vcc, 0, v1
	s_cbranch_vccz .LBB12_67
.LBB12_66:
	s_endpgm
.LBB12_67:
	v_mov_b32_e32 v1, 0x70
	v_lshl_add_u32 v1, v0, 3, v1
	v_cmp_eq_u32_e32 vcc, 12, v0
	s_and_saveexec_b64 s[4:5], vcc
	s_cbranch_execz .LBB12_69
; %bb.68:
	buffer_load_dword v28, off, s[0:3], 0 offset:88
	buffer_load_dword v29, off, s[0:3], 0 offset:92
	v_mov_b32_e32 v30, 0
	buffer_store_dword v30, off, s[0:3], 0 offset:88
	buffer_store_dword v30, off, s[0:3], 0 offset:92
	s_waitcnt vmcnt(2)
	ds_write_b64 v1, v[28:29]
.LBB12_69:
	s_or_b64 exec, exec, s[4:5]
	s_waitcnt lgkmcnt(0)
	; wave barrier
	s_waitcnt lgkmcnt(0)
	buffer_load_dword v31, off, s[0:3], 0 offset:100
	buffer_load_dword v30, off, s[0:3], 0 offset:96
	;; [unrolled: 1-line block ×4, first 2 shown]
	v_mov_b32_e32 v28, 0
	ds_read_b64 v[34:35], v28 offset:208
	v_cmp_lt_u32_e32 vcc, 10, v0
	s_waitcnt vmcnt(3)
	v_mov_b32_e32 v36, v31
	s_waitcnt lgkmcnt(0)
	v_pk_mul_f32 v[36:37], v[34:35], v[36:37] op_sel_hi:[1,0]
	s_waitcnt vmcnt(2)
	v_pk_fma_f32 v[38:39], v[34:35], v[30:31], v[36:37] op_sel:[0,0,1] op_sel_hi:[1,1,0] neg_lo:[0,0,1] neg_hi:[0,0,1]
	v_pk_fma_f32 v[30:31], v[34:35], v[30:31], v[36:37] op_sel:[0,0,1] op_sel_hi:[1,0,0]
	v_mov_b32_e32 v39, v31
	v_pk_add_f32 v[30:31], v[38:39], 0 op_sel_hi:[1,0]
	s_waitcnt vmcnt(0)
	v_pk_add_f32 v[30:31], v[32:33], v[30:31] neg_lo:[0,1] neg_hi:[0,1]
	buffer_store_dword v30, off, s[0:3], 0 offset:88
	buffer_store_dword v31, off, s[0:3], 0 offset:92
	s_and_saveexec_b64 s[4:5], vcc
	s_cbranch_execz .LBB12_71
; %bb.70:
	buffer_load_dword v30, off, s[0:3], 0 offset:80
	buffer_load_dword v31, off, s[0:3], 0 offset:84
	s_waitcnt vmcnt(0)
	ds_write_b64 v1, v[30:31]
	buffer_store_dword v28, off, s[0:3], 0 offset:80
	buffer_store_dword v28, off, s[0:3], 0 offset:84
.LBB12_71:
	s_or_b64 exec, exec, s[4:5]
	s_waitcnt lgkmcnt(0)
	; wave barrier
	s_waitcnt lgkmcnt(0)
	buffer_load_dword v33, off, s[0:3], 0 offset:92
	buffer_load_dword v35, off, s[0:3], 0 offset:100
	;; [unrolled: 1-line block ×6, first 2 shown]
	ds_read2_b64 v[28:31], v28 offset0:25 offset1:26
	v_cmp_lt_u32_e32 vcc, 9, v0
	s_waitcnt vmcnt(5)
	v_mov_b32_e32 v38, v33
	s_waitcnt vmcnt(4)
	v_mov_b32_e32 v40, v35
	s_waitcnt lgkmcnt(0)
	v_pk_mul_f32 v[38:39], v[28:29], v[38:39] op_sel_hi:[1,0]
	v_pk_mul_f32 v[40:41], v[30:31], v[40:41] op_sel_hi:[1,0]
	s_waitcnt vmcnt(3)
	v_pk_fma_f32 v[42:43], v[28:29], v[32:33], v[38:39] op_sel:[0,0,1] op_sel_hi:[1,1,0] neg_lo:[0,0,1] neg_hi:[0,0,1]
	v_pk_fma_f32 v[28:29], v[28:29], v[32:33], v[38:39] op_sel:[0,0,1] op_sel_hi:[1,0,0]
	s_waitcnt vmcnt(2)
	v_pk_fma_f32 v[32:33], v[30:31], v[34:35], v[40:41] op_sel:[0,0,1] op_sel_hi:[1,1,0] neg_lo:[0,0,1] neg_hi:[0,0,1]
	v_pk_fma_f32 v[30:31], v[30:31], v[34:35], v[40:41] op_sel:[0,0,1] op_sel_hi:[1,0,0]
	v_mov_b32_e32 v43, v29
	v_mov_b32_e32 v33, v31
	v_pk_add_f32 v[28:29], v[42:43], 0 op_sel_hi:[1,0]
	v_pk_add_f32 v[28:29], v[28:29], v[32:33]
	s_waitcnt vmcnt(0)
	v_pk_add_f32 v[28:29], v[36:37], v[28:29] neg_lo:[0,1] neg_hi:[0,1]
	buffer_store_dword v28, off, s[0:3], 0 offset:80
	buffer_store_dword v29, off, s[0:3], 0 offset:84
	s_and_saveexec_b64 s[4:5], vcc
	s_cbranch_execz .LBB12_73
; %bb.72:
	buffer_load_dword v28, off, s[0:3], 0 offset:72
	buffer_load_dword v29, off, s[0:3], 0 offset:76
	v_mov_b32_e32 v30, 0
	buffer_store_dword v30, off, s[0:3], 0 offset:72
	buffer_store_dword v30, off, s[0:3], 0 offset:76
	s_waitcnt vmcnt(2)
	ds_write_b64 v1, v[28:29]
.LBB12_73:
	s_or_b64 exec, exec, s[4:5]
	s_waitcnt lgkmcnt(0)
	; wave barrier
	s_waitcnt lgkmcnt(0)
	buffer_load_dword v35, off, s[0:3], 0 offset:84
	buffer_load_dword v37, off, s[0:3], 0 offset:92
	;; [unrolled: 1-line block ×8, first 2 shown]
	v_mov_b32_e32 v28, 0
	ds_read_b128 v[30:33], v28 offset:192
	ds_read_b64 v[42:43], v28 offset:208
	v_cmp_lt_u32_e32 vcc, 8, v0
	s_waitcnt vmcnt(7)
	v_mov_b32_e32 v44, v35
	s_waitcnt vmcnt(6)
	v_mov_b32_e32 v46, v37
	s_waitcnt lgkmcnt(1)
	v_pk_mul_f32 v[44:45], v[30:31], v[44:45] op_sel_hi:[1,0]
	s_waitcnt vmcnt(5)
	v_mov_b32_e32 v48, v39
	v_pk_mul_f32 v[46:47], v[32:33], v[46:47] op_sel_hi:[1,0]
	s_waitcnt vmcnt(4)
	v_pk_fma_f32 v[50:51], v[30:31], v[34:35], v[44:45] op_sel:[0,0,1] op_sel_hi:[1,1,0] neg_lo:[0,0,1] neg_hi:[0,0,1]
	v_pk_fma_f32 v[30:31], v[30:31], v[34:35], v[44:45] op_sel:[0,0,1] op_sel_hi:[1,0,0]
	s_waitcnt lgkmcnt(0)
	v_pk_mul_f32 v[48:49], v[42:43], v[48:49] op_sel_hi:[1,0]
	s_waitcnt vmcnt(3)
	v_pk_fma_f32 v[34:35], v[32:33], v[36:37], v[46:47] op_sel:[0,0,1] op_sel_hi:[1,1,0] neg_lo:[0,0,1] neg_hi:[0,0,1]
	v_pk_fma_f32 v[32:33], v[32:33], v[36:37], v[46:47] op_sel:[0,0,1] op_sel_hi:[1,0,0]
	v_mov_b32_e32 v51, v31
	s_waitcnt vmcnt(2)
	v_pk_fma_f32 v[36:37], v[42:43], v[38:39], v[48:49] op_sel:[0,0,1] op_sel_hi:[1,1,0] neg_lo:[0,0,1] neg_hi:[0,0,1]
	v_pk_fma_f32 v[38:39], v[42:43], v[38:39], v[48:49] op_sel:[0,0,1] op_sel_hi:[1,0,0]
	v_mov_b32_e32 v35, v33
	v_pk_add_f32 v[30:31], v[50:51], 0 op_sel_hi:[1,0]
	v_mov_b32_e32 v37, v39
	v_pk_add_f32 v[30:31], v[30:31], v[34:35]
	v_pk_add_f32 v[30:31], v[30:31], v[36:37]
	s_waitcnt vmcnt(0)
	v_pk_add_f32 v[30:31], v[40:41], v[30:31] neg_lo:[0,1] neg_hi:[0,1]
	buffer_store_dword v30, off, s[0:3], 0 offset:72
	buffer_store_dword v31, off, s[0:3], 0 offset:76
	s_and_saveexec_b64 s[4:5], vcc
	s_cbranch_execz .LBB12_75
; %bb.74:
	buffer_load_dword v30, off, s[0:3], 0 offset:64
	buffer_load_dword v31, off, s[0:3], 0 offset:68
	s_waitcnt vmcnt(0)
	ds_write_b64 v1, v[30:31]
	buffer_store_dword v28, off, s[0:3], 0 offset:64
	buffer_store_dword v28, off, s[0:3], 0 offset:68
.LBB12_75:
	s_or_b64 exec, exec, s[4:5]
	s_waitcnt lgkmcnt(0)
	; wave barrier
	s_waitcnt lgkmcnt(0)
	buffer_load_dword v39, off, s[0:3], 0 offset:76
	buffer_load_dword v41, off, s[0:3], 0 offset:84
	;; [unrolled: 1-line block ×10, first 2 shown]
	ds_read2_b64 v[30:33], v28 offset0:23 offset1:24
	ds_read2_b64 v[34:37], v28 offset0:25 offset1:26
	v_cmp_lt_u32_e32 vcc, 7, v0
	s_waitcnt vmcnt(9)
	v_mov_b32_e32 v28, v39
	s_waitcnt vmcnt(8)
	v_mov_b32_e32 v48, v41
	s_waitcnt lgkmcnt(1)
	v_pk_mul_f32 v[28:29], v[30:31], v[28:29] op_sel_hi:[1,0]
	s_waitcnt vmcnt(7)
	v_mov_b32_e32 v50, v43
	v_pk_mul_f32 v[48:49], v[32:33], v[48:49] op_sel_hi:[1,0]
	s_waitcnt vmcnt(5)
	v_pk_fma_f32 v[54:55], v[30:31], v[38:39], v[28:29] op_sel:[0,0,1] op_sel_hi:[1,1,0] neg_lo:[0,0,1] neg_hi:[0,0,1]
	v_pk_fma_f32 v[28:29], v[30:31], v[38:39], v[28:29] op_sel:[0,0,1] op_sel_hi:[1,0,0]
	v_mov_b32_e32 v52, v45
	s_waitcnt lgkmcnt(0)
	v_pk_mul_f32 v[50:51], v[34:35], v[50:51] op_sel_hi:[1,0]
	s_waitcnt vmcnt(4)
	v_pk_fma_f32 v[30:31], v[32:33], v[40:41], v[48:49] op_sel:[0,0,1] op_sel_hi:[1,1,0] neg_lo:[0,0,1] neg_hi:[0,0,1]
	v_pk_fma_f32 v[32:33], v[32:33], v[40:41], v[48:49] op_sel:[0,0,1] op_sel_hi:[1,0,0]
	v_mov_b32_e32 v55, v29
	v_pk_mul_f32 v[52:53], v[36:37], v[52:53] op_sel_hi:[1,0]
	s_waitcnt vmcnt(3)
	v_pk_fma_f32 v[38:39], v[34:35], v[42:43], v[50:51] op_sel:[0,0,1] op_sel_hi:[1,1,0] neg_lo:[0,0,1] neg_hi:[0,0,1]
	v_pk_fma_f32 v[34:35], v[34:35], v[42:43], v[50:51] op_sel:[0,0,1] op_sel_hi:[1,0,0]
	v_mov_b32_e32 v31, v33
	v_pk_add_f32 v[28:29], v[54:55], 0 op_sel_hi:[1,0]
	s_waitcnt vmcnt(2)
	v_pk_fma_f32 v[40:41], v[36:37], v[44:45], v[52:53] op_sel:[0,0,1] op_sel_hi:[1,1,0] neg_lo:[0,0,1] neg_hi:[0,0,1]
	v_pk_fma_f32 v[36:37], v[36:37], v[44:45], v[52:53] op_sel:[0,0,1] op_sel_hi:[1,0,0]
	v_mov_b32_e32 v39, v35
	v_pk_add_f32 v[28:29], v[28:29], v[30:31]
	v_mov_b32_e32 v41, v37
	v_pk_add_f32 v[28:29], v[28:29], v[38:39]
	v_pk_add_f32 v[28:29], v[28:29], v[40:41]
	s_waitcnt vmcnt(0)
	v_pk_add_f32 v[28:29], v[46:47], v[28:29] neg_lo:[0,1] neg_hi:[0,1]
	buffer_store_dword v28, off, s[0:3], 0 offset:64
	buffer_store_dword v29, off, s[0:3], 0 offset:68
	s_and_saveexec_b64 s[4:5], vcc
	s_cbranch_execz .LBB12_77
; %bb.76:
	buffer_load_dword v28, off, s[0:3], 0 offset:56
	buffer_load_dword v29, off, s[0:3], 0 offset:60
	v_mov_b32_e32 v30, 0
	buffer_store_dword v30, off, s[0:3], 0 offset:56
	buffer_store_dword v30, off, s[0:3], 0 offset:60
	s_waitcnt vmcnt(2)
	ds_write_b64 v1, v[28:29]
.LBB12_77:
	s_or_b64 exec, exec, s[4:5]
	s_waitcnt lgkmcnt(0)
	; wave barrier
	s_waitcnt lgkmcnt(0)
	buffer_load_dword v39, off, s[0:3], 0 offset:68
	buffer_load_dword v41, off, s[0:3], 0 offset:76
	;; [unrolled: 1-line block ×12, first 2 shown]
	v_mov_b32_e32 v28, 0
	ds_read_b128 v[30:33], v28 offset:176
	ds_read_b128 v[34:37], v28 offset:192
	ds_read_b64 v[50:51], v28 offset:208
	v_cmp_lt_u32_e32 vcc, 6, v0
	s_waitcnt vmcnt(11)
	v_mov_b32_e32 v52, v39
	s_waitcnt vmcnt(10)
	v_mov_b32_e32 v54, v41
	s_waitcnt lgkmcnt(2)
	v_pk_mul_f32 v[52:53], v[30:31], v[52:53] op_sel_hi:[1,0]
	s_waitcnt vmcnt(9)
	v_mov_b32_e32 v56, v43
	v_pk_mul_f32 v[54:55], v[32:33], v[54:55] op_sel_hi:[1,0]
	s_waitcnt vmcnt(6)
	v_pk_fma_f32 v[62:63], v[30:31], v[38:39], v[52:53] op_sel:[0,0,1] op_sel_hi:[1,1,0] neg_lo:[0,0,1] neg_hi:[0,0,1]
	v_pk_fma_f32 v[30:31], v[30:31], v[38:39], v[52:53] op_sel:[0,0,1] op_sel_hi:[1,0,0]
	v_mov_b32_e32 v58, v45
	s_waitcnt lgkmcnt(1)
	v_pk_mul_f32 v[56:57], v[34:35], v[56:57] op_sel_hi:[1,0]
	s_waitcnt vmcnt(5)
	v_pk_fma_f32 v[38:39], v[32:33], v[40:41], v[54:55] op_sel:[0,0,1] op_sel_hi:[1,1,0] neg_lo:[0,0,1] neg_hi:[0,0,1]
	v_pk_fma_f32 v[32:33], v[32:33], v[40:41], v[54:55] op_sel:[0,0,1] op_sel_hi:[1,0,0]
	v_mov_b32_e32 v63, v31
	v_mov_b32_e32 v60, v47
	v_pk_mul_f32 v[58:59], v[36:37], v[58:59] op_sel_hi:[1,0]
	s_waitcnt vmcnt(4)
	v_pk_fma_f32 v[40:41], v[34:35], v[42:43], v[56:57] op_sel:[0,0,1] op_sel_hi:[1,1,0] neg_lo:[0,0,1] neg_hi:[0,0,1]
	v_pk_fma_f32 v[34:35], v[34:35], v[42:43], v[56:57] op_sel:[0,0,1] op_sel_hi:[1,0,0]
	v_mov_b32_e32 v39, v33
	v_pk_add_f32 v[30:31], v[62:63], 0 op_sel_hi:[1,0]
	s_waitcnt lgkmcnt(0)
	v_pk_mul_f32 v[60:61], v[50:51], v[60:61] op_sel_hi:[1,0]
	s_waitcnt vmcnt(3)
	v_pk_fma_f32 v[42:43], v[36:37], v[44:45], v[58:59] op_sel:[0,0,1] op_sel_hi:[1,1,0] neg_lo:[0,0,1] neg_hi:[0,0,1]
	v_pk_fma_f32 v[36:37], v[36:37], v[44:45], v[58:59] op_sel:[0,0,1] op_sel_hi:[1,0,0]
	v_mov_b32_e32 v41, v35
	v_pk_add_f32 v[30:31], v[30:31], v[38:39]
	s_waitcnt vmcnt(2)
	v_pk_fma_f32 v[44:45], v[50:51], v[46:47], v[60:61] op_sel:[0,0,1] op_sel_hi:[1,1,0] neg_lo:[0,0,1] neg_hi:[0,0,1]
	v_pk_fma_f32 v[46:47], v[50:51], v[46:47], v[60:61] op_sel:[0,0,1] op_sel_hi:[1,0,0]
	v_mov_b32_e32 v43, v37
	v_pk_add_f32 v[30:31], v[30:31], v[40:41]
	v_mov_b32_e32 v45, v47
	v_pk_add_f32 v[30:31], v[30:31], v[42:43]
	v_pk_add_f32 v[30:31], v[30:31], v[44:45]
	s_waitcnt vmcnt(0)
	v_pk_add_f32 v[30:31], v[48:49], v[30:31] neg_lo:[0,1] neg_hi:[0,1]
	buffer_store_dword v30, off, s[0:3], 0 offset:56
	buffer_store_dword v31, off, s[0:3], 0 offset:60
	s_and_saveexec_b64 s[4:5], vcc
	s_cbranch_execz .LBB12_79
; %bb.78:
	buffer_load_dword v30, off, s[0:3], 0 offset:48
	buffer_load_dword v31, off, s[0:3], 0 offset:52
	s_waitcnt vmcnt(0)
	ds_write_b64 v1, v[30:31]
	buffer_store_dword v28, off, s[0:3], 0 offset:48
	buffer_store_dword v28, off, s[0:3], 0 offset:52
.LBB12_79:
	s_or_b64 exec, exec, s[4:5]
	s_waitcnt lgkmcnt(0)
	; wave barrier
	s_waitcnt lgkmcnt(0)
	buffer_load_dword v43, off, s[0:3], 0 offset:60
	buffer_load_dword v45, off, s[0:3], 0 offset:68
	;; [unrolled: 1-line block ×14, first 2 shown]
	ds_read2_b64 v[30:33], v28 offset0:21 offset1:22
	ds_read2_b64 v[34:37], v28 offset0:23 offset1:24
	ds_read2_b64 v[38:41], v28 offset0:25 offset1:26
	v_cmp_lt_u32_e32 vcc, 5, v0
	s_waitcnt vmcnt(13)
	v_mov_b32_e32 v28, v43
	s_waitcnt vmcnt(12)
	v_mov_b32_e32 v56, v45
	s_waitcnt lgkmcnt(2)
	v_pk_mul_f32 v[28:29], v[30:31], v[28:29] op_sel_hi:[1,0]
	s_waitcnt vmcnt(11)
	v_mov_b32_e32 v58, v47
	v_pk_mul_f32 v[56:57], v[32:33], v[56:57] op_sel_hi:[1,0]
	s_waitcnt vmcnt(10)
	v_mov_b32_e32 v60, v49
	s_waitcnt vmcnt(7)
	v_pk_fma_f32 v[66:67], v[30:31], v[42:43], v[28:29] op_sel:[0,0,1] op_sel_hi:[1,1,0] neg_lo:[0,0,1] neg_hi:[0,0,1]
	v_pk_fma_f32 v[28:29], v[30:31], v[42:43], v[28:29] op_sel:[0,0,1] op_sel_hi:[1,0,0]
	s_waitcnt lgkmcnt(1)
	v_pk_mul_f32 v[58:59], v[34:35], v[58:59] op_sel_hi:[1,0]
	s_waitcnt vmcnt(6)
	v_pk_fma_f32 v[30:31], v[32:33], v[44:45], v[56:57] op_sel:[0,0,1] op_sel_hi:[1,1,0] neg_lo:[0,0,1] neg_hi:[0,0,1]
	v_pk_fma_f32 v[32:33], v[32:33], v[44:45], v[56:57] op_sel:[0,0,1] op_sel_hi:[1,0,0]
	v_mov_b32_e32 v67, v29
	v_mov_b32_e32 v62, v51
	v_pk_mul_f32 v[60:61], v[36:37], v[60:61] op_sel_hi:[1,0]
	s_waitcnt vmcnt(5)
	v_pk_fma_f32 v[42:43], v[34:35], v[46:47], v[58:59] op_sel:[0,0,1] op_sel_hi:[1,1,0] neg_lo:[0,0,1] neg_hi:[0,0,1]
	v_pk_fma_f32 v[34:35], v[34:35], v[46:47], v[58:59] op_sel:[0,0,1] op_sel_hi:[1,0,0]
	v_mov_b32_e32 v31, v33
	v_pk_add_f32 v[28:29], v[66:67], 0 op_sel_hi:[1,0]
	v_mov_b32_e32 v64, v53
	s_waitcnt lgkmcnt(0)
	v_pk_mul_f32 v[62:63], v[38:39], v[62:63] op_sel_hi:[1,0]
	s_waitcnt vmcnt(4)
	v_pk_fma_f32 v[44:45], v[36:37], v[48:49], v[60:61] op_sel:[0,0,1] op_sel_hi:[1,1,0] neg_lo:[0,0,1] neg_hi:[0,0,1]
	v_pk_fma_f32 v[36:37], v[36:37], v[48:49], v[60:61] op_sel:[0,0,1] op_sel_hi:[1,0,0]
	v_mov_b32_e32 v43, v35
	v_pk_add_f32 v[28:29], v[28:29], v[30:31]
	v_pk_mul_f32 v[64:65], v[40:41], v[64:65] op_sel_hi:[1,0]
	s_waitcnt vmcnt(3)
	v_pk_fma_f32 v[46:47], v[38:39], v[50:51], v[62:63] op_sel:[0,0,1] op_sel_hi:[1,1,0] neg_lo:[0,0,1] neg_hi:[0,0,1]
	v_pk_fma_f32 v[38:39], v[38:39], v[50:51], v[62:63] op_sel:[0,0,1] op_sel_hi:[1,0,0]
	v_mov_b32_e32 v45, v37
	v_pk_add_f32 v[28:29], v[28:29], v[42:43]
	s_waitcnt vmcnt(2)
	v_pk_fma_f32 v[48:49], v[40:41], v[52:53], v[64:65] op_sel:[0,0,1] op_sel_hi:[1,1,0] neg_lo:[0,0,1] neg_hi:[0,0,1]
	v_pk_fma_f32 v[40:41], v[40:41], v[52:53], v[64:65] op_sel:[0,0,1] op_sel_hi:[1,0,0]
	v_mov_b32_e32 v47, v39
	v_pk_add_f32 v[28:29], v[28:29], v[44:45]
	v_mov_b32_e32 v49, v41
	v_pk_add_f32 v[28:29], v[28:29], v[46:47]
	v_pk_add_f32 v[28:29], v[28:29], v[48:49]
	s_waitcnt vmcnt(0)
	v_pk_add_f32 v[28:29], v[54:55], v[28:29] neg_lo:[0,1] neg_hi:[0,1]
	buffer_store_dword v28, off, s[0:3], 0 offset:48
	buffer_store_dword v29, off, s[0:3], 0 offset:52
	s_and_saveexec_b64 s[4:5], vcc
	s_cbranch_execz .LBB12_81
; %bb.80:
	buffer_load_dword v28, off, s[0:3], 0 offset:40
	buffer_load_dword v29, off, s[0:3], 0 offset:44
	v_mov_b32_e32 v30, 0
	buffer_store_dword v30, off, s[0:3], 0 offset:40
	buffer_store_dword v30, off, s[0:3], 0 offset:44
	s_waitcnt vmcnt(2)
	ds_write_b64 v1, v[28:29]
.LBB12_81:
	s_or_b64 exec, exec, s[4:5]
	s_waitcnt lgkmcnt(0)
	; wave barrier
	s_waitcnt lgkmcnt(0)
	buffer_load_dword v43, off, s[0:3], 0 offset:52
	buffer_load_dword v45, off, s[0:3], 0 offset:60
	;; [unrolled: 1-line block ×16, first 2 shown]
	v_mov_b32_e32 v28, 0
	ds_read_b128 v[30:33], v28 offset:160
	ds_read_b128 v[34:37], v28 offset:176
	;; [unrolled: 1-line block ×3, first 2 shown]
	ds_read_b64 v[58:59], v28 offset:208
	v_cmp_lt_u32_e32 vcc, 4, v0
	s_waitcnt vmcnt(15)
	v_mov_b32_e32 v60, v43
	s_waitcnt vmcnt(14)
	v_mov_b32_e32 v62, v45
	s_waitcnt lgkmcnt(3)
	v_pk_mul_f32 v[60:61], v[30:31], v[60:61] op_sel_hi:[1,0]
	s_waitcnt vmcnt(13)
	v_mov_b32_e32 v64, v47
	v_pk_mul_f32 v[62:63], v[32:33], v[62:63] op_sel_hi:[1,0]
	s_waitcnt vmcnt(12)
	v_mov_b32_e32 v66, v49
	s_waitcnt lgkmcnt(2)
	v_pk_mul_f32 v[64:65], v[34:35], v[64:65] op_sel_hi:[1,0]
	s_waitcnt vmcnt(8)
	v_pk_fma_f32 v[74:75], v[30:31], v[42:43], v[60:61] op_sel:[0,0,1] op_sel_hi:[1,1,0] neg_lo:[0,0,1] neg_hi:[0,0,1]
	v_pk_fma_f32 v[30:31], v[30:31], v[42:43], v[60:61] op_sel:[0,0,1] op_sel_hi:[1,0,0]
	s_waitcnt vmcnt(7)
	v_pk_fma_f32 v[42:43], v[32:33], v[44:45], v[62:63] op_sel:[0,0,1] op_sel_hi:[1,1,0] neg_lo:[0,0,1] neg_hi:[0,0,1]
	v_pk_fma_f32 v[32:33], v[32:33], v[44:45], v[62:63] op_sel:[0,0,1] op_sel_hi:[1,0,0]
	v_mov_b32_e32 v75, v31
	v_mov_b32_e32 v68, v51
	v_pk_mul_f32 v[66:67], v[36:37], v[66:67] op_sel_hi:[1,0]
	s_waitcnt vmcnt(6)
	v_pk_fma_f32 v[44:45], v[34:35], v[46:47], v[64:65] op_sel:[0,0,1] op_sel_hi:[1,1,0] neg_lo:[0,0,1] neg_hi:[0,0,1]
	v_pk_fma_f32 v[34:35], v[34:35], v[46:47], v[64:65] op_sel:[0,0,1] op_sel_hi:[1,0,0]
	v_mov_b32_e32 v43, v33
	v_pk_add_f32 v[30:31], v[74:75], 0 op_sel_hi:[1,0]
	v_mov_b32_e32 v70, v53
	s_waitcnt lgkmcnt(1)
	v_pk_mul_f32 v[68:69], v[38:39], v[68:69] op_sel_hi:[1,0]
	s_waitcnt vmcnt(5)
	v_pk_fma_f32 v[46:47], v[36:37], v[48:49], v[66:67] op_sel:[0,0,1] op_sel_hi:[1,1,0] neg_lo:[0,0,1] neg_hi:[0,0,1]
	v_pk_fma_f32 v[36:37], v[36:37], v[48:49], v[66:67] op_sel:[0,0,1] op_sel_hi:[1,0,0]
	v_mov_b32_e32 v45, v35
	v_pk_add_f32 v[30:31], v[30:31], v[42:43]
	v_mov_b32_e32 v72, v55
	v_pk_mul_f32 v[70:71], v[40:41], v[70:71] op_sel_hi:[1,0]
	s_waitcnt vmcnt(4)
	v_pk_fma_f32 v[48:49], v[38:39], v[50:51], v[68:69] op_sel:[0,0,1] op_sel_hi:[1,1,0] neg_lo:[0,0,1] neg_hi:[0,0,1]
	v_pk_fma_f32 v[38:39], v[38:39], v[50:51], v[68:69] op_sel:[0,0,1] op_sel_hi:[1,0,0]
	v_mov_b32_e32 v47, v37
	v_pk_add_f32 v[30:31], v[30:31], v[44:45]
	s_waitcnt lgkmcnt(0)
	v_pk_mul_f32 v[72:73], v[58:59], v[72:73] op_sel_hi:[1,0]
	s_waitcnt vmcnt(3)
	v_pk_fma_f32 v[50:51], v[40:41], v[52:53], v[70:71] op_sel:[0,0,1] op_sel_hi:[1,1,0] neg_lo:[0,0,1] neg_hi:[0,0,1]
	v_pk_fma_f32 v[40:41], v[40:41], v[52:53], v[70:71] op_sel:[0,0,1] op_sel_hi:[1,0,0]
	v_mov_b32_e32 v49, v39
	v_pk_add_f32 v[30:31], v[30:31], v[46:47]
	s_waitcnt vmcnt(2)
	v_pk_fma_f32 v[52:53], v[58:59], v[54:55], v[72:73] op_sel:[0,0,1] op_sel_hi:[1,1,0] neg_lo:[0,0,1] neg_hi:[0,0,1]
	v_pk_fma_f32 v[54:55], v[58:59], v[54:55], v[72:73] op_sel:[0,0,1] op_sel_hi:[1,0,0]
	v_mov_b32_e32 v51, v41
	v_pk_add_f32 v[30:31], v[30:31], v[48:49]
	v_mov_b32_e32 v53, v55
	v_pk_add_f32 v[30:31], v[30:31], v[50:51]
	v_pk_add_f32 v[30:31], v[30:31], v[52:53]
	s_waitcnt vmcnt(0)
	v_pk_add_f32 v[30:31], v[56:57], v[30:31] neg_lo:[0,1] neg_hi:[0,1]
	buffer_store_dword v30, off, s[0:3], 0 offset:40
	buffer_store_dword v31, off, s[0:3], 0 offset:44
	s_and_saveexec_b64 s[4:5], vcc
	s_cbranch_execz .LBB12_83
; %bb.82:
	buffer_load_dword v30, off, s[0:3], 0 offset:32
	buffer_load_dword v31, off, s[0:3], 0 offset:36
	s_waitcnt vmcnt(0)
	ds_write_b64 v1, v[30:31]
	buffer_store_dword v28, off, s[0:3], 0 offset:32
	buffer_store_dword v28, off, s[0:3], 0 offset:36
.LBB12_83:
	s_or_b64 exec, exec, s[4:5]
	s_waitcnt lgkmcnt(0)
	; wave barrier
	s_waitcnt lgkmcnt(0)
	buffer_load_dword v47, off, s[0:3], 0 offset:44
	buffer_load_dword v49, off, s[0:3], 0 offset:52
	;; [unrolled: 1-line block ×18, first 2 shown]
	ds_read2_b64 v[30:33], v28 offset0:19 offset1:20
	ds_read2_b64 v[34:37], v28 offset0:21 offset1:22
	;; [unrolled: 1-line block ×4, first 2 shown]
	v_cmp_lt_u32_e32 vcc, 3, v0
	s_waitcnt vmcnt(17)
	v_mov_b32_e32 v28, v47
	s_waitcnt vmcnt(16)
	v_mov_b32_e32 v64, v49
	s_waitcnt lgkmcnt(3)
	v_pk_mul_f32 v[28:29], v[30:31], v[28:29] op_sel_hi:[1,0]
	s_waitcnt vmcnt(15)
	v_mov_b32_e32 v66, v51
	v_pk_mul_f32 v[64:65], v[32:33], v[64:65] op_sel_hi:[1,0]
	s_waitcnt vmcnt(14)
	v_mov_b32_e32 v68, v53
	s_waitcnt lgkmcnt(2)
	v_pk_mul_f32 v[66:67], v[34:35], v[66:67] op_sel_hi:[1,0]
	s_waitcnt vmcnt(13)
	v_mov_b32_e32 v70, v55
	s_waitcnt vmcnt(9)
	v_pk_fma_f32 v[78:79], v[30:31], v[46:47], v[28:29] op_sel:[0,0,1] op_sel_hi:[1,1,0] neg_lo:[0,0,1] neg_hi:[0,0,1]
	v_pk_fma_f32 v[28:29], v[30:31], v[46:47], v[28:29] op_sel:[0,0,1] op_sel_hi:[1,0,0]
	s_waitcnt vmcnt(8)
	v_pk_fma_f32 v[30:31], v[32:33], v[48:49], v[64:65] op_sel:[0,0,1] op_sel_hi:[1,1,0] neg_lo:[0,0,1] neg_hi:[0,0,1]
	v_pk_fma_f32 v[32:33], v[32:33], v[48:49], v[64:65] op_sel:[0,0,1] op_sel_hi:[1,0,0]
	v_mov_b32_e32 v79, v29
	v_pk_mul_f32 v[68:69], v[36:37], v[68:69] op_sel_hi:[1,0]
	s_waitcnt vmcnt(7)
	v_pk_fma_f32 v[46:47], v[34:35], v[50:51], v[66:67] op_sel:[0,0,1] op_sel_hi:[1,1,0] neg_lo:[0,0,1] neg_hi:[0,0,1]
	v_pk_fma_f32 v[34:35], v[34:35], v[50:51], v[66:67] op_sel:[0,0,1] op_sel_hi:[1,0,0]
	v_mov_b32_e32 v31, v33
	v_pk_add_f32 v[28:29], v[78:79], 0 op_sel_hi:[1,0]
	v_mov_b32_e32 v72, v57
	s_waitcnt lgkmcnt(1)
	v_pk_mul_f32 v[70:71], v[38:39], v[70:71] op_sel_hi:[1,0]
	s_waitcnt vmcnt(6)
	v_pk_fma_f32 v[48:49], v[36:37], v[52:53], v[68:69] op_sel:[0,0,1] op_sel_hi:[1,1,0] neg_lo:[0,0,1] neg_hi:[0,0,1]
	v_pk_fma_f32 v[36:37], v[36:37], v[52:53], v[68:69] op_sel:[0,0,1] op_sel_hi:[1,0,0]
	v_mov_b32_e32 v47, v35
	v_pk_add_f32 v[28:29], v[28:29], v[30:31]
	v_mov_b32_e32 v74, v59
	v_pk_mul_f32 v[72:73], v[40:41], v[72:73] op_sel_hi:[1,0]
	s_waitcnt vmcnt(5)
	v_pk_fma_f32 v[50:51], v[38:39], v[54:55], v[70:71] op_sel:[0,0,1] op_sel_hi:[1,1,0] neg_lo:[0,0,1] neg_hi:[0,0,1]
	v_pk_fma_f32 v[38:39], v[38:39], v[54:55], v[70:71] op_sel:[0,0,1] op_sel_hi:[1,0,0]
	v_mov_b32_e32 v49, v37
	v_pk_add_f32 v[28:29], v[28:29], v[46:47]
	v_mov_b32_e32 v76, v61
	s_waitcnt lgkmcnt(0)
	v_pk_mul_f32 v[74:75], v[42:43], v[74:75] op_sel_hi:[1,0]
	s_waitcnt vmcnt(4)
	v_pk_fma_f32 v[52:53], v[40:41], v[56:57], v[72:73] op_sel:[0,0,1] op_sel_hi:[1,1,0] neg_lo:[0,0,1] neg_hi:[0,0,1]
	v_pk_fma_f32 v[40:41], v[40:41], v[56:57], v[72:73] op_sel:[0,0,1] op_sel_hi:[1,0,0]
	v_mov_b32_e32 v51, v39
	v_pk_add_f32 v[28:29], v[28:29], v[48:49]
	v_pk_mul_f32 v[76:77], v[44:45], v[76:77] op_sel_hi:[1,0]
	s_waitcnt vmcnt(3)
	v_pk_fma_f32 v[54:55], v[42:43], v[58:59], v[74:75] op_sel:[0,0,1] op_sel_hi:[1,1,0] neg_lo:[0,0,1] neg_hi:[0,0,1]
	v_pk_fma_f32 v[42:43], v[42:43], v[58:59], v[74:75] op_sel:[0,0,1] op_sel_hi:[1,0,0]
	v_mov_b32_e32 v53, v41
	v_pk_add_f32 v[28:29], v[28:29], v[50:51]
	s_waitcnt vmcnt(2)
	v_pk_fma_f32 v[56:57], v[44:45], v[60:61], v[76:77] op_sel:[0,0,1] op_sel_hi:[1,1,0] neg_lo:[0,0,1] neg_hi:[0,0,1]
	v_pk_fma_f32 v[44:45], v[44:45], v[60:61], v[76:77] op_sel:[0,0,1] op_sel_hi:[1,0,0]
	v_mov_b32_e32 v55, v43
	v_pk_add_f32 v[28:29], v[28:29], v[52:53]
	v_mov_b32_e32 v57, v45
	v_pk_add_f32 v[28:29], v[28:29], v[54:55]
	v_pk_add_f32 v[28:29], v[28:29], v[56:57]
	s_waitcnt vmcnt(0)
	v_pk_add_f32 v[28:29], v[62:63], v[28:29] neg_lo:[0,1] neg_hi:[0,1]
	buffer_store_dword v28, off, s[0:3], 0 offset:32
	buffer_store_dword v29, off, s[0:3], 0 offset:36
	s_and_saveexec_b64 s[4:5], vcc
	s_cbranch_execz .LBB12_85
; %bb.84:
	buffer_load_dword v28, off, s[0:3], 0 offset:24
	buffer_load_dword v29, off, s[0:3], 0 offset:28
	v_mov_b32_e32 v30, 0
	buffer_store_dword v30, off, s[0:3], 0 offset:24
	buffer_store_dword v30, off, s[0:3], 0 offset:28
	s_waitcnt vmcnt(2)
	ds_write_b64 v1, v[28:29]
.LBB12_85:
	s_or_b64 exec, exec, s[4:5]
	s_waitcnt lgkmcnt(0)
	; wave barrier
	s_waitcnt lgkmcnt(0)
	buffer_load_dword v29, off, s[0:3], 0 offset:36
	buffer_load_dword v47, off, s[0:3], 0 offset:44
	;; [unrolled: 1-line block ×20, first 2 shown]
	v_mov_b32_e32 v28, 0
	ds_read_b128 v[30:33], v28 offset:144
	ds_read_b128 v[34:37], v28 offset:160
	;; [unrolled: 1-line block ×4, first 2 shown]
	ds_read_b64 v[64:65], v28 offset:208
	v_cmp_lt_u32_e32 vcc, 2, v0
	s_waitcnt vmcnt(19) lgkmcnt(4)
	v_mul_f32_e32 v67, v30, v29
	v_mul_f32_e32 v29, v31, v29
	s_waitcnt vmcnt(18)
	v_mov_b32_e32 v68, v47
	s_waitcnt vmcnt(17)
	v_mov_b32_e32 v70, v49
	;; [unrolled: 2-line block ×8, first 2 shown]
	s_waitcnt vmcnt(10)
	v_fmac_f32_e32 v67, v31, v66
	v_fma_f32 v66, v30, v66, -v29
	v_pk_mul_f32 v[30:31], v[32:33], v[68:69] op_sel_hi:[1,0]
	s_waitcnt lgkmcnt(3)
	v_pk_mul_f32 v[68:69], v[34:35], v[70:71] op_sel_hi:[1,0]
	v_pk_mul_f32 v[70:71], v[36:37], v[72:73] op_sel_hi:[1,0]
	s_waitcnt lgkmcnt(2)
	v_pk_mul_f32 v[72:73], v[38:39], v[74:75] op_sel_hi:[1,0]
	;; [unrolled: 3-line block ×4, first 2 shown]
	s_waitcnt vmcnt(9)
	v_pk_fma_f32 v[82:83], v[32:33], v[46:47], v[30:31] op_sel:[0,0,1] op_sel_hi:[1,1,0] neg_lo:[0,0,1] neg_hi:[0,0,1]
	v_pk_fma_f32 v[30:31], v[32:33], v[46:47], v[30:31] op_sel:[0,0,1] op_sel_hi:[1,0,0]
	v_pk_add_f32 v[66:67], v[66:67], 0 op_sel_hi:[1,0]
	s_waitcnt vmcnt(8)
	v_pk_fma_f32 v[32:33], v[34:35], v[48:49], v[68:69] op_sel:[0,0,1] op_sel_hi:[1,1,0] neg_lo:[0,0,1] neg_hi:[0,0,1]
	v_pk_fma_f32 v[34:35], v[34:35], v[48:49], v[68:69] op_sel:[0,0,1] op_sel_hi:[1,0,0]
	v_mov_b32_e32 v83, v31
	s_waitcnt vmcnt(7)
	v_pk_fma_f32 v[46:47], v[36:37], v[50:51], v[70:71] op_sel:[0,0,1] op_sel_hi:[1,1,0] neg_lo:[0,0,1] neg_hi:[0,0,1]
	v_pk_fma_f32 v[36:37], v[36:37], v[50:51], v[70:71] op_sel:[0,0,1] op_sel_hi:[1,0,0]
	v_mov_b32_e32 v33, v35
	v_pk_add_f32 v[30:31], v[66:67], v[82:83]
	s_waitcnt vmcnt(6)
	v_pk_fma_f32 v[48:49], v[38:39], v[52:53], v[72:73] op_sel:[0,0,1] op_sel_hi:[1,1,0] neg_lo:[0,0,1] neg_hi:[0,0,1]
	v_pk_fma_f32 v[38:39], v[38:39], v[52:53], v[72:73] op_sel:[0,0,1] op_sel_hi:[1,0,0]
	v_mov_b32_e32 v47, v37
	v_pk_add_f32 v[30:31], v[30:31], v[32:33]
	;; [unrolled: 5-line block ×5, first 2 shown]
	v_pk_fma_f32 v[56:57], v[64:65], v[60:61], v[80:81] op_sel:[0,0,1] op_sel_hi:[1,1,0] neg_lo:[0,0,1] neg_hi:[0,0,1]
	v_pk_fma_f32 v[58:59], v[64:65], v[60:61], v[80:81] op_sel:[0,0,1] op_sel_hi:[1,0,0]
	v_mov_b32_e32 v55, v45
	v_pk_add_f32 v[30:31], v[30:31], v[52:53]
	v_mov_b32_e32 v57, v59
	v_pk_add_f32 v[30:31], v[30:31], v[54:55]
	v_pk_add_f32 v[30:31], v[30:31], v[56:57]
	s_waitcnt vmcnt(0)
	v_pk_add_f32 v[30:31], v[62:63], v[30:31] neg_lo:[0,1] neg_hi:[0,1]
	buffer_store_dword v30, off, s[0:3], 0 offset:24
	buffer_store_dword v31, off, s[0:3], 0 offset:28
	s_and_saveexec_b64 s[4:5], vcc
	s_cbranch_execz .LBB12_87
; %bb.86:
	buffer_load_dword v30, off, s[0:3], 0 offset:16
	buffer_load_dword v31, off, s[0:3], 0 offset:20
	s_waitcnt vmcnt(0)
	ds_write_b64 v1, v[30:31]
	buffer_store_dword v28, off, s[0:3], 0 offset:16
	buffer_store_dword v28, off, s[0:3], 0 offset:20
.LBB12_87:
	s_or_b64 exec, exec, s[4:5]
	s_waitcnt lgkmcnt(0)
	; wave barrier
	s_waitcnt lgkmcnt(0)
	buffer_load_dword v68, off, s[0:3], 0 offset:28
	buffer_load_dword v70, off, s[0:3], 0 offset:36
	;; [unrolled: 1-line block ×22, first 2 shown]
	ds_read2_b64 v[30:33], v28 offset0:17 offset1:18
	ds_read2_b64 v[34:37], v28 offset0:19 offset1:20
	;; [unrolled: 1-line block ×5, first 2 shown]
	v_cmp_lt_u32_e32 vcc, 1, v0
	s_waitcnt vmcnt(21) lgkmcnt(4)
	v_mul_f32_e32 v29, v30, v68
	s_waitcnt vmcnt(20)
	v_mul_f32_e32 v69, v32, v70
	v_mul_f32_e32 v28, v31, v68
	v_mul_f32_e32 v68, v33, v70
	s_waitcnt vmcnt(19)
	v_mov_b32_e32 v70, v51
	s_waitcnt vmcnt(18)
	v_mov_b32_e32 v72, v53
	;; [unrolled: 2-line block ×5, first 2 shown]
	v_mov_b32_e32 v76, v57
	s_waitcnt vmcnt(11)
	v_fmac_f32_e32 v29, v31, v71
	v_fma_f32 v28, v30, v71, -v28
	s_waitcnt lgkmcnt(3)
	v_pk_mul_f32 v[30:31], v[34:35], v[70:71] op_sel_hi:[1,0]
	s_waitcnt vmcnt(10)
	v_fmac_f32_e32 v69, v33, v73
	v_fma_f32 v68, v32, v73, -v68
	v_pk_mul_f32 v[32:33], v[36:37], v[72:73] op_sel_hi:[1,0]
	s_waitcnt lgkmcnt(2)
	v_pk_mul_f32 v[70:71], v[38:39], v[74:75] op_sel_hi:[1,0]
	s_waitcnt lgkmcnt(1)
	;; [unrolled: 2-line block ×3, first 2 shown]
	v_pk_mul_f32 v[78:79], v[46:47], v[82:83] op_sel_hi:[1,0]
	v_pk_add_f32 v[28:29], v[28:29], 0 op_sel_hi:[1,0]
	s_waitcnt vmcnt(9)
	v_pk_fma_f32 v[82:83], v[34:35], v[50:51], v[30:31] op_sel:[0,0,1] op_sel_hi:[1,1,0] neg_lo:[0,0,1] neg_hi:[0,0,1]
	v_pk_fma_f32 v[30:31], v[34:35], v[50:51], v[30:31] op_sel:[0,0,1] op_sel_hi:[1,0,0]
	s_waitcnt vmcnt(8)
	v_pk_fma_f32 v[34:35], v[36:37], v[52:53], v[32:33] op_sel:[0,0,1] op_sel_hi:[1,1,0] neg_lo:[0,0,1] neg_hi:[0,0,1]
	v_pk_fma_f32 v[32:33], v[36:37], v[52:53], v[32:33] op_sel:[0,0,1] op_sel_hi:[1,0,0]
	v_pk_add_f32 v[28:29], v[28:29], v[68:69]
	v_mov_b32_e32 v83, v31
	v_pk_mul_f32 v[72:73], v[40:41], v[76:77] op_sel_hi:[1,0]
	s_waitcnt vmcnt(7)
	v_pk_fma_f32 v[36:37], v[38:39], v[54:55], v[70:71] op_sel:[0,0,1] op_sel_hi:[1,1,0] neg_lo:[0,0,1] neg_hi:[0,0,1]
	v_pk_fma_f32 v[38:39], v[38:39], v[54:55], v[70:71] op_sel:[0,0,1] op_sel_hi:[1,0,0]
	v_mov_b32_e32 v35, v33
	v_pk_add_f32 v[28:29], v[28:29], v[82:83]
	v_mov_b32_e32 v80, v61
	s_waitcnt vmcnt(6)
	v_pk_fma_f32 v[50:51], v[40:41], v[56:57], v[72:73] op_sel:[0,0,1] op_sel_hi:[1,1,0] neg_lo:[0,0,1] neg_hi:[0,0,1]
	v_pk_fma_f32 v[40:41], v[40:41], v[56:57], v[72:73] op_sel:[0,0,1] op_sel_hi:[1,0,0]
	v_mov_b32_e32 v37, v39
	v_pk_add_f32 v[28:29], v[28:29], v[34:35]
	v_pk_mul_f32 v[76:77], v[44:45], v[80:81] op_sel_hi:[1,0]
	s_waitcnt vmcnt(5)
	v_pk_fma_f32 v[52:53], v[42:43], v[58:59], v[74:75] op_sel:[0,0,1] op_sel_hi:[1,1,0] neg_lo:[0,0,1] neg_hi:[0,0,1]
	v_pk_fma_f32 v[42:43], v[42:43], v[58:59], v[74:75] op_sel:[0,0,1] op_sel_hi:[1,0,0]
	v_mov_b32_e32 v51, v41
	v_pk_add_f32 v[28:29], v[28:29], v[36:37]
	v_mov_b32_e32 v84, v65
	s_waitcnt vmcnt(2)
	v_pk_fma_f32 v[54:55], v[44:45], v[60:61], v[76:77] op_sel:[0,0,1] op_sel_hi:[1,1,0] neg_lo:[0,0,1] neg_hi:[0,0,1]
	v_pk_fma_f32 v[44:45], v[44:45], v[60:61], v[76:77] op_sel:[0,0,1] op_sel_hi:[1,0,0]
	v_mov_b32_e32 v53, v43
	v_pk_add_f32 v[28:29], v[28:29], v[50:51]
	v_pk_mul_f32 v[80:81], v[48:49], v[84:85] op_sel_hi:[1,0]
	v_pk_fma_f32 v[56:57], v[46:47], v[62:63], v[78:79] op_sel:[0,0,1] op_sel_hi:[1,1,0] neg_lo:[0,0,1] neg_hi:[0,0,1]
	v_pk_fma_f32 v[46:47], v[46:47], v[62:63], v[78:79] op_sel:[0,0,1] op_sel_hi:[1,0,0]
	v_mov_b32_e32 v55, v45
	v_pk_add_f32 v[28:29], v[28:29], v[52:53]
	v_pk_fma_f32 v[58:59], v[48:49], v[64:65], v[80:81] op_sel:[0,0,1] op_sel_hi:[1,1,0] neg_lo:[0,0,1] neg_hi:[0,0,1]
	v_pk_fma_f32 v[48:49], v[48:49], v[64:65], v[80:81] op_sel:[0,0,1] op_sel_hi:[1,0,0]
	v_mov_b32_e32 v57, v47
	v_pk_add_f32 v[28:29], v[28:29], v[54:55]
	v_mov_b32_e32 v59, v49
	v_pk_add_f32 v[28:29], v[28:29], v[56:57]
	v_pk_add_f32 v[28:29], v[28:29], v[58:59]
	s_waitcnt vmcnt(0)
	v_pk_add_f32 v[28:29], v[66:67], v[28:29] neg_lo:[0,1] neg_hi:[0,1]
	buffer_store_dword v28, off, s[0:3], 0 offset:16
	buffer_store_dword v29, off, s[0:3], 0 offset:20
	s_and_saveexec_b64 s[4:5], vcc
	s_cbranch_execz .LBB12_89
; %bb.88:
	buffer_load_dword v28, off, s[0:3], 0 offset:8
	buffer_load_dword v29, off, s[0:3], 0 offset:12
	v_mov_b32_e32 v30, 0
	buffer_store_dword v30, off, s[0:3], 0 offset:8
	buffer_store_dword v30, off, s[0:3], 0 offset:12
	s_waitcnt vmcnt(2)
	ds_write_b64 v1, v[28:29]
.LBB12_89:
	s_or_b64 exec, exec, s[4:5]
	s_waitcnt lgkmcnt(0)
	; wave barrier
	s_waitcnt lgkmcnt(0)
	buffer_load_dword v29, off, s[0:3], 0 offset:20
	buffer_load_dword v70, off, s[0:3], 0 offset:28
	;; [unrolled: 1-line block ×24, first 2 shown]
	v_mov_b32_e32 v28, 0
	ds_read_b128 v[30:33], v28 offset:128
	ds_read_b128 v[34:37], v28 offset:144
	;; [unrolled: 1-line block ×5, first 2 shown]
	ds_read_b64 v[68:69], v28 offset:208
	v_cmp_ne_u32_e32 vcc, 0, v0
	s_waitcnt vmcnt(23) lgkmcnt(5)
	v_mul_f32_e32 v83, v30, v29
	v_mul_f32_e32 v29, v31, v29
	s_waitcnt vmcnt(22)
	v_mul_f32_e32 v71, v32, v70
	s_waitcnt vmcnt(21) lgkmcnt(4)
	v_mul_f32_e32 v73, v34, v72
	v_mul_f32_e32 v70, v33, v70
	;; [unrolled: 1-line block ×3, first 2 shown]
	s_waitcnt vmcnt(20)
	v_mov_b32_e32 v74, v51
	s_waitcnt vmcnt(19)
	v_mov_b32_e32 v76, v53
	;; [unrolled: 2-line block ×5, first 2 shown]
	s_waitcnt vmcnt(12)
	v_fmac_f32_e32 v83, v31, v75
	v_fma_f32 v29, v30, v75, -v29
	v_mov_b32_e32 v84, v61
	s_waitcnt vmcnt(11)
	v_fmac_f32_e32 v71, v33, v77
	s_waitcnt vmcnt(10)
	v_fmac_f32_e32 v73, v35, v79
	v_fma_f32 v70, v32, v77, -v70
	v_fma_f32 v72, v34, v79, -v72
	v_pk_mul_f32 v[30:31], v[36:37], v[74:75] op_sel_hi:[1,0]
	s_waitcnt lgkmcnt(3)
	v_pk_mul_f32 v[32:33], v[38:39], v[76:77] op_sel_hi:[1,0]
	v_pk_mul_f32 v[34:35], v[40:41], v[78:79] op_sel_hi:[1,0]
	s_waitcnt lgkmcnt(2)
	v_pk_mul_f32 v[74:75], v[42:43], v[80:81] op_sel_hi:[1,0]
	v_pk_mul_f32 v[76:77], v[44:45], v[82:83] op_sel_hi:[1,0]
	v_add_f32_e32 v83, 0, v83
	v_add_f32_e32 v82, 0, v29
	s_waitcnt lgkmcnt(1)
	v_pk_mul_f32 v[78:79], v[46:47], v[84:85] op_sel_hi:[1,0]
	s_waitcnt vmcnt(9)
	v_pk_fma_f32 v[84:85], v[36:37], v[50:51], v[30:31] op_sel:[0,0,1] op_sel_hi:[1,1,0] neg_lo:[0,0,1] neg_hi:[0,0,1]
	v_pk_fma_f32 v[30:31], v[36:37], v[50:51], v[30:31] op_sel:[0,0,1] op_sel_hi:[1,0,0]
	s_waitcnt vmcnt(8)
	v_pk_fma_f32 v[36:37], v[38:39], v[52:53], v[32:33] op_sel:[0,0,1] op_sel_hi:[1,1,0] neg_lo:[0,0,1] neg_hi:[0,0,1]
	v_pk_fma_f32 v[32:33], v[38:39], v[52:53], v[32:33] op_sel:[0,0,1] op_sel_hi:[1,0,0]
	s_waitcnt vmcnt(7)
	v_pk_fma_f32 v[38:39], v[40:41], v[54:55], v[34:35] op_sel:[0,0,1] op_sel_hi:[1,1,0] neg_lo:[0,0,1] neg_hi:[0,0,1]
	v_pk_fma_f32 v[34:35], v[40:41], v[54:55], v[34:35] op_sel:[0,0,1] op_sel_hi:[1,0,0]
	s_waitcnt vmcnt(6)
	v_pk_fma_f32 v[40:41], v[42:43], v[56:57], v[74:75] op_sel:[0,0,1] op_sel_hi:[1,1,0] neg_lo:[0,0,1] neg_hi:[0,0,1]
	v_pk_fma_f32 v[42:43], v[42:43], v[56:57], v[74:75] op_sel:[0,0,1] op_sel_hi:[1,0,0]
	v_pk_add_f32 v[56:57], v[82:83], v[70:71]
	v_mov_b32_e32 v85, v31
	v_pk_add_f32 v[30:31], v[56:57], v[72:73]
	v_mov_b32_e32 v37, v33
	;; [unrolled: 2-line block ×4, first 2 shown]
	s_waitcnt vmcnt(2)
	v_pk_fma_f32 v[50:51], v[44:45], v[58:59], v[76:77] op_sel:[0,0,1] op_sel_hi:[1,1,0] neg_lo:[0,0,1] neg_hi:[0,0,1]
	v_pk_fma_f32 v[44:45], v[44:45], v[58:59], v[76:77] op_sel:[0,0,1] op_sel_hi:[1,0,0]
	v_mov_b32_e32 v41, v43
	v_pk_add_f32 v[30:31], v[30:31], v[38:39]
	v_mov_b32_e32 v88, v65
	v_pk_mul_f32 v[80:81], v[48:49], v[86:87] op_sel_hi:[1,0]
	v_pk_fma_f32 v[52:53], v[46:47], v[60:61], v[78:79] op_sel:[0,0,1] op_sel_hi:[1,1,0] neg_lo:[0,0,1] neg_hi:[0,0,1]
	v_pk_fma_f32 v[46:47], v[46:47], v[60:61], v[78:79] op_sel:[0,0,1] op_sel_hi:[1,0,0]
	v_mov_b32_e32 v51, v45
	v_pk_add_f32 v[30:31], v[30:31], v[40:41]
	v_pk_fma_f32 v[54:55], v[48:49], v[62:63], v[80:81] op_sel:[0,0,1] op_sel_hi:[1,1,0] neg_lo:[0,0,1] neg_hi:[0,0,1]
	v_pk_fma_f32 v[48:49], v[48:49], v[62:63], v[80:81] op_sel:[0,0,1] op_sel_hi:[1,0,0]
	v_mov_b32_e32 v53, v47
	v_pk_add_f32 v[30:31], v[30:31], v[50:51]
	s_waitcnt lgkmcnt(0)
	v_pk_mul_f32 v[32:33], v[68:69], v[88:89] op_sel_hi:[1,0]
	v_mov_b32_e32 v55, v49
	v_pk_add_f32 v[30:31], v[30:31], v[52:53]
	v_pk_fma_f32 v[34:35], v[68:69], v[64:65], v[32:33] op_sel:[0,0,1] op_sel_hi:[1,1,0] neg_lo:[0,0,1] neg_hi:[0,0,1]
	v_pk_fma_f32 v[32:33], v[68:69], v[64:65], v[32:33] op_sel:[0,0,1] op_sel_hi:[1,0,0]
	v_pk_add_f32 v[30:31], v[30:31], v[54:55]
	v_mov_b32_e32 v35, v33
	v_pk_add_f32 v[30:31], v[30:31], v[34:35]
	s_waitcnt vmcnt(0)
	v_pk_add_f32 v[30:31], v[66:67], v[30:31] neg_lo:[0,1] neg_hi:[0,1]
	buffer_store_dword v31, off, s[0:3], 0 offset:12
	buffer_store_dword v30, off, s[0:3], 0 offset:8
	s_and_saveexec_b64 s[4:5], vcc
	s_cbranch_execz .LBB12_91
; %bb.90:
	buffer_load_dword v30, off, s[0:3], 0
	buffer_load_dword v31, off, s[0:3], 0 offset:4
	s_waitcnt vmcnt(0)
	ds_write_b64 v1, v[30:31]
	buffer_store_dword v28, off, s[0:3], 0
	buffer_store_dword v28, off, s[0:3], 0 offset:4
.LBB12_91:
	s_or_b64 exec, exec, s[4:5]
	s_waitcnt lgkmcnt(0)
	; wave barrier
	s_waitcnt lgkmcnt(0)
	buffer_load_dword v70, off, s[0:3], 0 offset:12
	buffer_load_dword v72, off, s[0:3], 0 offset:20
	;; [unrolled: 1-line block ×24, first 2 shown]
	buffer_load_dword v68, off, s[0:3], 0
	buffer_load_dword v69, off, s[0:3], 0 offset:4
	ds_read2_b64 v[30:33], v28 offset0:15 offset1:16
	ds_read2_b64 v[34:37], v28 offset0:17 offset1:18
	;; [unrolled: 1-line block ×6, first 2 shown]
	s_and_b64 vcc, exec, s[20:21]
	s_waitcnt vmcnt(25) lgkmcnt(5)
	v_mul_f32_e32 v83, v30, v70
	v_mul_f32_e32 v28, v31, v70
	s_waitcnt vmcnt(24)
	v_mul_f32_e32 v84, v32, v72
	s_waitcnt vmcnt(23) lgkmcnt(4)
	v_mul_f32_e32 v29, v34, v73
	s_waitcnt vmcnt(22)
	v_mul_f32_e32 v71, v36, v74
	v_mul_f32_e32 v70, v33, v72
	;; [unrolled: 1-line block ×4, first 2 shown]
	s_waitcnt vmcnt(21)
	v_mov_b32_e32 v72, v1
	s_waitcnt vmcnt(20)
	v_mov_b32_e32 v74, v55
	;; [unrolled: 2-line block ×3, first 2 shown]
	s_waitcnt vmcnt(15)
	v_fmac_f32_e32 v83, v31, v75
	v_fma_f32 v86, v30, v75, -v28
	v_mov_b32_e32 v76, v57
	s_waitcnt vmcnt(14)
	v_fmac_f32_e32 v84, v33, v77
	s_waitcnt vmcnt(13)
	v_fmac_f32_e32 v29, v35, v79
	s_waitcnt vmcnt(12)
	v_fmac_f32_e32 v71, v37, v81
	v_fma_f32 v87, v32, v77, -v70
	v_fma_f32 v28, v34, v79, -v73
	;; [unrolled: 1-line block ×3, first 2 shown]
	s_waitcnt lgkmcnt(3)
	v_pk_mul_f32 v[30:31], v[38:39], v[72:73] op_sel_hi:[1,0]
	v_pk_mul_f32 v[32:33], v[40:41], v[74:75] op_sel_hi:[1,0]
	s_waitcnt lgkmcnt(2)
	v_pk_mul_f32 v[36:37], v[44:45], v[78:79] op_sel_hi:[1,0]
	v_add_f32_e32 v78, 0, v83
	v_add_f32_e32 v79, 0, v86
	v_pk_mul_f32 v[34:35], v[42:43], v[76:77] op_sel_hi:[1,0]
	s_waitcnt vmcnt(11)
	v_pk_fma_f32 v[76:77], v[38:39], v[0:1], v[30:31] op_sel:[0,0,1] op_sel_hi:[1,1,0] neg_lo:[0,0,1] neg_hi:[0,0,1]
	v_pk_fma_f32 v[0:1], v[38:39], v[0:1], v[30:31] op_sel:[0,0,1] op_sel_hi:[1,0,0]
	s_waitcnt vmcnt(10)
	v_pk_fma_f32 v[30:31], v[40:41], v[54:55], v[32:33] op_sel:[0,0,1] op_sel_hi:[1,1,0] neg_lo:[0,0,1] neg_hi:[0,0,1]
	v_pk_fma_f32 v[32:33], v[40:41], v[54:55], v[32:33] op_sel:[0,0,1] op_sel_hi:[1,0,0]
	v_add_f32_e32 v55, v78, v84
	v_add_f32_e32 v54, v79, v87
	v_mov_b32_e32 v77, v1
	v_pk_add_f32 v[0:1], v[54:55], v[28:29]
	v_pk_add_f32 v[0:1], v[0:1], v[70:71]
	v_mov_b32_e32 v80, v61
	s_waitcnt vmcnt(9)
	v_pk_fma_f32 v[38:39], v[42:43], v[56:57], v[34:35] op_sel:[0,0,1] op_sel_hi:[1,1,0] neg_lo:[0,0,1] neg_hi:[0,0,1]
	v_pk_fma_f32 v[34:35], v[42:43], v[56:57], v[34:35] op_sel:[0,0,1] op_sel_hi:[1,0,0]
	v_mov_b32_e32 v31, v33
	v_pk_add_f32 v[0:1], v[0:1], v[76:77]
	v_mov_b32_e32 v82, v63
	s_waitcnt lgkmcnt(1)
	v_pk_mul_f32 v[72:73], v[46:47], v[80:81] op_sel_hi:[1,0]
	s_waitcnt vmcnt(5)
	v_pk_fma_f32 v[40:41], v[44:45], v[58:59], v[36:37] op_sel:[0,0,1] op_sel_hi:[1,1,0] neg_lo:[0,0,1] neg_hi:[0,0,1]
	v_pk_fma_f32 v[36:37], v[44:45], v[58:59], v[36:37] op_sel:[0,0,1] op_sel_hi:[1,0,0]
	v_mov_b32_e32 v39, v35
	v_pk_add_f32 v[0:1], v[0:1], v[30:31]
	s_waitcnt vmcnt(4)
	v_mov_b32_e32 v28, v65
	v_pk_mul_f32 v[74:75], v[48:49], v[82:83] op_sel_hi:[1,0]
	v_pk_fma_f32 v[42:43], v[46:47], v[60:61], v[72:73] op_sel:[0,0,1] op_sel_hi:[1,1,0] neg_lo:[0,0,1] neg_hi:[0,0,1]
	v_pk_fma_f32 v[44:45], v[46:47], v[60:61], v[72:73] op_sel:[0,0,1] op_sel_hi:[1,0,0]
	v_mov_b32_e32 v41, v37
	v_pk_add_f32 v[0:1], v[0:1], v[38:39]
	s_waitcnt lgkmcnt(0)
	v_pk_mul_f32 v[28:29], v[50:51], v[28:29] op_sel_hi:[1,0]
	v_pk_fma_f32 v[46:47], v[48:49], v[62:63], v[74:75] op_sel:[0,0,1] op_sel_hi:[1,1,0] neg_lo:[0,0,1] neg_hi:[0,0,1]
	v_pk_fma_f32 v[48:49], v[48:49], v[62:63], v[74:75] op_sel:[0,0,1] op_sel_hi:[1,0,0]
	v_mov_b32_e32 v43, v45
	v_pk_add_f32 v[0:1], v[0:1], v[40:41]
	v_pk_fma_f32 v[30:31], v[50:51], v[64:65], v[28:29] op_sel:[0,0,1] op_sel_hi:[1,1,0] neg_lo:[0,0,1] neg_hi:[0,0,1]
	v_pk_fma_f32 v[28:29], v[50:51], v[64:65], v[28:29] op_sel:[0,0,1] op_sel_hi:[1,0,0]
	v_mov_b32_e32 v47, v49
	v_pk_add_f32 v[0:1], v[0:1], v[42:43]
	s_waitcnt vmcnt(3)
	v_mov_b32_e32 v28, v67
	v_pk_add_f32 v[0:1], v[0:1], v[46:47]
	v_mov_b32_e32 v31, v29
	v_pk_mul_f32 v[28:29], v[52:53], v[28:29] op_sel_hi:[1,0]
	v_pk_add_f32 v[0:1], v[0:1], v[30:31]
	s_waitcnt vmcnt(2)
	v_pk_fma_f32 v[30:31], v[52:53], v[66:67], v[28:29] op_sel:[0,0,1] op_sel_hi:[1,1,0] neg_lo:[0,0,1] neg_hi:[0,0,1]
	v_pk_fma_f32 v[28:29], v[52:53], v[66:67], v[28:29] op_sel:[0,0,1] op_sel_hi:[1,0,0]
	v_mov_b32_e32 v31, v29
	v_pk_add_f32 v[0:1], v[0:1], v[30:31]
	s_waitcnt vmcnt(0)
	v_pk_add_f32 v[0:1], v[68:69], v[0:1] neg_lo:[0,1] neg_hi:[0,1]
	buffer_store_dword v1, off, s[0:3], 0 offset:4
	buffer_store_dword v0, off, s[0:3], 0
	s_cbranch_vccz .LBB12_117
; %bb.92:
	v_pk_mov_b32 v[0:1], s[10:11], s[10:11] op_sel:[0,1]
	flat_load_dword v0, v[0:1] offset:44
	s_waitcnt vmcnt(0) lgkmcnt(0)
	v_add_u32_e32 v0, -1, v0
	v_cmp_ne_u32_e32 vcc, 11, v0
	s_and_saveexec_b64 s[4:5], vcc
	s_cbranch_execz .LBB12_94
; %bb.93:
	v_mov_b32_e32 v1, 0
	v_lshl_add_u32 v0, v0, 3, v1
	buffer_load_dword v1, v0, s[0:3], 0 offen
	buffer_load_dword v28, v0, s[0:3], 0 offen offset:4
	buffer_load_dword v29, off, s[0:3], 0 offset:88
	buffer_load_dword v30, off, s[0:3], 0 offset:92
	s_waitcnt vmcnt(3)
	buffer_store_dword v1, off, s[0:3], 0 offset:88
	s_waitcnt vmcnt(3)
	buffer_store_dword v28, off, s[0:3], 0 offset:92
	s_waitcnt vmcnt(3)
	buffer_store_dword v29, v0, s[0:3], 0 offen
	s_waitcnt vmcnt(3)
	buffer_store_dword v30, v0, s[0:3], 0 offen offset:4
.LBB12_94:
	s_or_b64 exec, exec, s[4:5]
	v_pk_mov_b32 v[0:1], s[10:11], s[10:11] op_sel:[0,1]
	flat_load_dword v0, v[0:1] offset:40
	s_waitcnt vmcnt(0) lgkmcnt(0)
	v_add_u32_e32 v0, -1, v0
	v_cmp_ne_u32_e32 vcc, 10, v0
	s_and_saveexec_b64 s[4:5], vcc
	s_cbranch_execz .LBB12_96
; %bb.95:
	v_mov_b32_e32 v1, 0
	v_lshl_add_u32 v0, v0, 3, v1
	buffer_load_dword v1, v0, s[0:3], 0 offen
	buffer_load_dword v28, v0, s[0:3], 0 offen offset:4
	buffer_load_dword v29, off, s[0:3], 0 offset:84
	buffer_load_dword v30, off, s[0:3], 0 offset:80
	s_waitcnt vmcnt(3)
	buffer_store_dword v1, off, s[0:3], 0 offset:80
	s_waitcnt vmcnt(3)
	buffer_store_dword v28, off, s[0:3], 0 offset:84
	s_waitcnt vmcnt(3)
	buffer_store_dword v29, v0, s[0:3], 0 offen offset:4
	s_waitcnt vmcnt(3)
	buffer_store_dword v30, v0, s[0:3], 0 offen
.LBB12_96:
	s_or_b64 exec, exec, s[4:5]
	v_pk_mov_b32 v[0:1], s[10:11], s[10:11] op_sel:[0,1]
	flat_load_dword v0, v[0:1] offset:36
	s_waitcnt vmcnt(0) lgkmcnt(0)
	v_add_u32_e32 v0, -1, v0
	v_cmp_ne_u32_e32 vcc, 9, v0
	s_and_saveexec_b64 s[4:5], vcc
	s_cbranch_execz .LBB12_98
; %bb.97:
	v_mov_b32_e32 v1, 0
	v_lshl_add_u32 v0, v0, 3, v1
	buffer_load_dword v1, v0, s[0:3], 0 offen
	buffer_load_dword v28, v0, s[0:3], 0 offen offset:4
	buffer_load_dword v29, off, s[0:3], 0 offset:72
	buffer_load_dword v30, off, s[0:3], 0 offset:76
	s_waitcnt vmcnt(3)
	buffer_store_dword v1, off, s[0:3], 0 offset:72
	s_waitcnt vmcnt(3)
	buffer_store_dword v28, off, s[0:3], 0 offset:76
	s_waitcnt vmcnt(3)
	buffer_store_dword v29, v0, s[0:3], 0 offen
	s_waitcnt vmcnt(3)
	buffer_store_dword v30, v0, s[0:3], 0 offen offset:4
.LBB12_98:
	s_or_b64 exec, exec, s[4:5]
	v_pk_mov_b32 v[0:1], s[10:11], s[10:11] op_sel:[0,1]
	flat_load_dword v0, v[0:1] offset:32
	s_waitcnt vmcnt(0) lgkmcnt(0)
	v_add_u32_e32 v0, -1, v0
	v_cmp_ne_u32_e32 vcc, 8, v0
	s_and_saveexec_b64 s[4:5], vcc
	s_cbranch_execz .LBB12_100
; %bb.99:
	v_mov_b32_e32 v1, 0
	v_lshl_add_u32 v0, v0, 3, v1
	buffer_load_dword v1, v0, s[0:3], 0 offen
	buffer_load_dword v28, v0, s[0:3], 0 offen offset:4
	buffer_load_dword v29, off, s[0:3], 0 offset:68
	buffer_load_dword v30, off, s[0:3], 0 offset:64
	s_waitcnt vmcnt(3)
	buffer_store_dword v1, off, s[0:3], 0 offset:64
	s_waitcnt vmcnt(3)
	buffer_store_dword v28, off, s[0:3], 0 offset:68
	s_waitcnt vmcnt(3)
	buffer_store_dword v29, v0, s[0:3], 0 offen offset:4
	s_waitcnt vmcnt(3)
	buffer_store_dword v30, v0, s[0:3], 0 offen
.LBB12_100:
	s_or_b64 exec, exec, s[4:5]
	;; [unrolled: 48-line block ×5, first 2 shown]
	v_pk_mov_b32 v[0:1], s[10:11], s[10:11] op_sel:[0,1]
	flat_load_dword v0, v[0:1] offset:4
	s_waitcnt vmcnt(0) lgkmcnt(0)
	v_add_u32_e32 v0, -1, v0
	v_cmp_ne_u32_e32 vcc, 1, v0
	s_and_saveexec_b64 s[4:5], vcc
	s_cbranch_execz .LBB12_114
; %bb.113:
	v_mov_b32_e32 v1, 0
	v_lshl_add_u32 v0, v0, 3, v1
	buffer_load_dword v1, v0, s[0:3], 0 offen
	buffer_load_dword v28, v0, s[0:3], 0 offen offset:4
	buffer_load_dword v29, off, s[0:3], 0 offset:8
	buffer_load_dword v30, off, s[0:3], 0 offset:12
	s_waitcnt vmcnt(3)
	buffer_store_dword v1, off, s[0:3], 0 offset:8
	s_waitcnt vmcnt(3)
	buffer_store_dword v28, off, s[0:3], 0 offset:12
	s_waitcnt vmcnt(3)
	buffer_store_dword v29, v0, s[0:3], 0 offen
	s_waitcnt vmcnt(3)
	buffer_store_dword v30, v0, s[0:3], 0 offen offset:4
.LBB12_114:
	s_or_b64 exec, exec, s[4:5]
	v_pk_mov_b32 v[0:1], s[10:11], s[10:11] op_sel:[0,1]
	flat_load_dword v28, v[0:1]
	s_nop 0
	buffer_load_dword v0, off, s[0:3], 0
	buffer_load_dword v1, off, s[0:3], 0 offset:4
	s_waitcnt vmcnt(0) lgkmcnt(0)
	v_add_u32_e32 v28, -1, v28
	v_cmp_ne_u32_e32 vcc, 0, v28
	s_and_saveexec_b64 s[4:5], vcc
	s_cbranch_execz .LBB12_116
; %bb.115:
	v_mov_b32_e32 v29, 0
	v_lshl_add_u32 v28, v28, 3, v29
	buffer_load_dword v29, v28, s[0:3], 0 offen offset:4
	buffer_load_dword v30, v28, s[0:3], 0 offen
	s_waitcnt vmcnt(1)
	buffer_store_dword v29, off, s[0:3], 0 offset:4
	s_waitcnt vmcnt(1)
	buffer_store_dword v30, off, s[0:3], 0
	buffer_store_dword v1, v28, s[0:3], 0 offen offset:4
	buffer_store_dword v0, v28, s[0:3], 0 offen
	buffer_load_dword v0, off, s[0:3], 0
	s_nop 0
	buffer_load_dword v1, off, s[0:3], 0 offset:4
.LBB12_116:
	s_or_b64 exec, exec, s[4:5]
.LBB12_117:
	buffer_load_dword v28, off, s[0:3], 0 offset:8
	buffer_load_dword v29, off, s[0:3], 0 offset:12
	;; [unrolled: 1-line block ×24, first 2 shown]
	s_waitcnt vmcnt(24)
	global_store_dwordx2 v[2:3], v[0:1], off
	s_waitcnt vmcnt(23)
	global_store_dwordx2 v[4:5], v[28:29], off
	;; [unrolled: 2-line block ×13, first 2 shown]
	s_endpgm
	.section	.rodata,"a",@progbits
	.p2align	6, 0x0
	.amdhsa_kernel _ZN9rocsolver6v33100L18getri_kernel_smallILi13E19rocblas_complex_numIfEPS3_EEvT1_iilPiilS6_bb
		.amdhsa_group_segment_fixed_size 216
		.amdhsa_private_segment_fixed_size 112
		.amdhsa_kernarg_size 60
		.amdhsa_user_sgpr_count 8
		.amdhsa_user_sgpr_private_segment_buffer 1
		.amdhsa_user_sgpr_dispatch_ptr 0
		.amdhsa_user_sgpr_queue_ptr 0
		.amdhsa_user_sgpr_kernarg_segment_ptr 1
		.amdhsa_user_sgpr_dispatch_id 0
		.amdhsa_user_sgpr_flat_scratch_init 1
		.amdhsa_user_sgpr_kernarg_preload_length 0
		.amdhsa_user_sgpr_kernarg_preload_offset 0
		.amdhsa_user_sgpr_private_segment_size 0
		.amdhsa_uses_dynamic_stack 0
		.amdhsa_system_sgpr_private_segment_wavefront_offset 1
		.amdhsa_system_sgpr_workgroup_id_x 1
		.amdhsa_system_sgpr_workgroup_id_y 0
		.amdhsa_system_sgpr_workgroup_id_z 0
		.amdhsa_system_sgpr_workgroup_info 0
		.amdhsa_system_vgpr_workitem_id 0
		.amdhsa_next_free_vgpr 90
		.amdhsa_next_free_sgpr 23
		.amdhsa_accum_offset 92
		.amdhsa_reserve_vcc 1
		.amdhsa_reserve_flat_scratch 1
		.amdhsa_float_round_mode_32 0
		.amdhsa_float_round_mode_16_64 0
		.amdhsa_float_denorm_mode_32 3
		.amdhsa_float_denorm_mode_16_64 3
		.amdhsa_dx10_clamp 1
		.amdhsa_ieee_mode 1
		.amdhsa_fp16_overflow 0
		.amdhsa_tg_split 0
		.amdhsa_exception_fp_ieee_invalid_op 0
		.amdhsa_exception_fp_denorm_src 0
		.amdhsa_exception_fp_ieee_div_zero 0
		.amdhsa_exception_fp_ieee_overflow 0
		.amdhsa_exception_fp_ieee_underflow 0
		.amdhsa_exception_fp_ieee_inexact 0
		.amdhsa_exception_int_div_zero 0
	.end_amdhsa_kernel
	.section	.text._ZN9rocsolver6v33100L18getri_kernel_smallILi13E19rocblas_complex_numIfEPS3_EEvT1_iilPiilS6_bb,"axG",@progbits,_ZN9rocsolver6v33100L18getri_kernel_smallILi13E19rocblas_complex_numIfEPS3_EEvT1_iilPiilS6_bb,comdat
.Lfunc_end12:
	.size	_ZN9rocsolver6v33100L18getri_kernel_smallILi13E19rocblas_complex_numIfEPS3_EEvT1_iilPiilS6_bb, .Lfunc_end12-_ZN9rocsolver6v33100L18getri_kernel_smallILi13E19rocblas_complex_numIfEPS3_EEvT1_iilPiilS6_bb
                                        ; -- End function
	.section	.AMDGPU.csdata,"",@progbits
; Kernel info:
; codeLenInByte = 12956
; NumSgprs: 29
; NumVgprs: 90
; NumAgprs: 0
; TotalNumVgprs: 90
; ScratchSize: 112
; MemoryBound: 0
; FloatMode: 240
; IeeeMode: 1
; LDSByteSize: 216 bytes/workgroup (compile time only)
; SGPRBlocks: 3
; VGPRBlocks: 11
; NumSGPRsForWavesPerEU: 29
; NumVGPRsForWavesPerEU: 90
; AccumOffset: 92
; Occupancy: 5
; WaveLimiterHint : 1
; COMPUTE_PGM_RSRC2:SCRATCH_EN: 1
; COMPUTE_PGM_RSRC2:USER_SGPR: 8
; COMPUTE_PGM_RSRC2:TRAP_HANDLER: 0
; COMPUTE_PGM_RSRC2:TGID_X_EN: 1
; COMPUTE_PGM_RSRC2:TGID_Y_EN: 0
; COMPUTE_PGM_RSRC2:TGID_Z_EN: 0
; COMPUTE_PGM_RSRC2:TIDIG_COMP_CNT: 0
; COMPUTE_PGM_RSRC3_GFX90A:ACCUM_OFFSET: 22
; COMPUTE_PGM_RSRC3_GFX90A:TG_SPLIT: 0
	.section	.text._ZN9rocsolver6v33100L18getri_kernel_smallILi14E19rocblas_complex_numIfEPS3_EEvT1_iilPiilS6_bb,"axG",@progbits,_ZN9rocsolver6v33100L18getri_kernel_smallILi14E19rocblas_complex_numIfEPS3_EEvT1_iilPiilS6_bb,comdat
	.globl	_ZN9rocsolver6v33100L18getri_kernel_smallILi14E19rocblas_complex_numIfEPS3_EEvT1_iilPiilS6_bb ; -- Begin function _ZN9rocsolver6v33100L18getri_kernel_smallILi14E19rocblas_complex_numIfEPS3_EEvT1_iilPiilS6_bb
	.p2align	8
	.type	_ZN9rocsolver6v33100L18getri_kernel_smallILi14E19rocblas_complex_numIfEPS3_EEvT1_iilPiilS6_bb,@function
_ZN9rocsolver6v33100L18getri_kernel_smallILi14E19rocblas_complex_numIfEPS3_EEvT1_iilPiilS6_bb: ; @_ZN9rocsolver6v33100L18getri_kernel_smallILi14E19rocblas_complex_numIfEPS3_EEvT1_iilPiilS6_bb
; %bb.0:
	s_add_u32 flat_scratch_lo, s6, s9
	s_addc_u32 flat_scratch_hi, s7, 0
	s_add_u32 s0, s0, s9
	s_addc_u32 s1, s1, 0
	v_cmp_gt_u32_e32 vcc, 14, v0
	s_and_saveexec_b64 s[6:7], vcc
	s_cbranch_execz .LBB13_70
; %bb.1:
	s_load_dword s22, s[4:5], 0x38
	s_load_dwordx4 s[16:19], s[4:5], 0x10
	s_load_dwordx4 s[12:15], s[4:5], 0x28
                                        ; implicit-def: $sgpr10_sgpr11
	s_waitcnt lgkmcnt(0)
	s_bitcmp1_b32 s22, 8
	s_cselect_b64 s[20:21], -1, 0
	s_ashr_i32 s9, s8, 31
	s_bfe_u32 s6, s22, 0x10008
	s_cmp_eq_u32 s6, 0
	s_cbranch_scc1 .LBB13_3
; %bb.2:
	s_load_dword s6, s[4:5], 0x20
	s_mul_i32 s7, s8, s13
	s_mul_hi_u32 s10, s8, s12
	s_mul_i32 s11, s9, s12
	s_add_i32 s10, s10, s7
	s_add_i32 s11, s10, s11
	s_mul_i32 s10, s8, s12
	s_waitcnt lgkmcnt(0)
	s_ashr_i32 s7, s6, 31
	s_lshl_b64 s[10:11], s[10:11], 2
	s_add_u32 s10, s18, s10
	s_addc_u32 s11, s19, s11
	s_lshl_b64 s[6:7], s[6:7], 2
	s_add_u32 s10, s10, s6
	s_addc_u32 s11, s11, s7
.LBB13_3:
	s_load_dwordx4 s[4:7], s[4:5], 0x0
	s_mul_i32 s12, s8, s17
	s_mul_hi_u32 s13, s8, s16
	s_add_i32 s17, s13, s12
	v_lshlrev_b32_e32 v34, 3, v0
	s_waitcnt lgkmcnt(0)
	s_ashr_i32 s13, s6, 31
	s_mov_b32 s12, s6
	s_mul_i32 s6, s9, s16
	s_add_i32 s17, s17, s6
	s_mul_i32 s16, s8, s16
	s_lshl_b64 s[16:17], s[16:17], 3
	s_add_u32 s6, s4, s16
	s_addc_u32 s16, s5, s17
	s_lshl_b64 s[4:5], s[12:13], 3
	s_add_u32 s4, s6, s4
	s_addc_u32 s5, s16, s5
	v_mov_b32_e32 v1, s5
	v_add_co_u32_e32 v2, vcc, s4, v34
	s_ashr_i32 s13, s7, 31
	s_mov_b32 s12, s7
	s_add_i32 s6, s7, s7
	v_addc_co_u32_e32 v3, vcc, 0, v1, vcc
	s_lshl_b64 s[12:13], s[12:13], 3
	v_add_u32_e32 v8, s6, v0
	v_mov_b32_e32 v1, s13
	v_add_co_u32_e32 v4, vcc, s12, v2
	v_ashrrev_i32_e32 v9, 31, v8
	v_addc_co_u32_e32 v5, vcc, v3, v1, vcc
	v_lshlrev_b64 v[6:7], 3, v[8:9]
	v_add_u32_e32 v10, s7, v8
	v_mov_b32_e32 v1, s5
	v_add_co_u32_e32 v6, vcc, s4, v6
	v_ashrrev_i32_e32 v11, 31, v10
	v_addc_co_u32_e32 v7, vcc, v1, v7, vcc
	v_lshlrev_b64 v[8:9], 3, v[10:11]
	v_add_u32_e32 v12, s7, v10
	v_add_co_u32_e32 v8, vcc, s4, v8
	v_ashrrev_i32_e32 v13, 31, v12
	v_addc_co_u32_e32 v9, vcc, v1, v9, vcc
	v_lshlrev_b64 v[10:11], 3, v[12:13]
	v_add_u32_e32 v14, s7, v12
	v_add_co_u32_e32 v10, vcc, s4, v10
	v_ashrrev_i32_e32 v15, 31, v14
	v_addc_co_u32_e32 v11, vcc, v1, v11, vcc
	v_lshlrev_b64 v[12:13], 3, v[14:15]
	v_add_u32_e32 v16, s7, v14
	v_add_co_u32_e32 v12, vcc, s4, v12
	v_ashrrev_i32_e32 v17, 31, v16
	v_addc_co_u32_e32 v13, vcc, v1, v13, vcc
	v_lshlrev_b64 v[14:15], 3, v[16:17]
	v_add_u32_e32 v18, s7, v16
	v_add_co_u32_e32 v14, vcc, s4, v14
	v_ashrrev_i32_e32 v19, 31, v18
	v_addc_co_u32_e32 v15, vcc, v1, v15, vcc
	v_lshlrev_b64 v[16:17], 3, v[18:19]
	v_add_u32_e32 v20, s7, v18
	v_add_co_u32_e32 v16, vcc, s4, v16
	v_ashrrev_i32_e32 v21, 31, v20
	v_addc_co_u32_e32 v17, vcc, v1, v17, vcc
	v_lshlrev_b64 v[18:19], 3, v[20:21]
	v_add_u32_e32 v22, s7, v20
	v_add_co_u32_e32 v18, vcc, s4, v18
	v_ashrrev_i32_e32 v23, 31, v22
	v_addc_co_u32_e32 v19, vcc, v1, v19, vcc
	v_lshlrev_b64 v[20:21], 3, v[22:23]
	v_add_u32_e32 v24, s7, v22
	v_add_co_u32_e32 v20, vcc, s4, v20
	v_ashrrev_i32_e32 v25, 31, v24
	v_addc_co_u32_e32 v21, vcc, v1, v21, vcc
	v_lshlrev_b64 v[22:23], 3, v[24:25]
	v_add_u32_e32 v26, s7, v24
	v_add_co_u32_e32 v22, vcc, s4, v22
	v_ashrrev_i32_e32 v27, 31, v26
	v_addc_co_u32_e32 v23, vcc, v1, v23, vcc
	v_lshlrev_b64 v[24:25], 3, v[26:27]
	v_add_u32_e32 v28, s7, v26
	v_add_co_u32_e32 v24, vcc, s4, v24
	v_ashrrev_i32_e32 v29, 31, v28
	v_addc_co_u32_e32 v25, vcc, v1, v25, vcc
	v_lshlrev_b64 v[26:27], 3, v[28:29]
	v_add_co_u32_e32 v26, vcc, s4, v26
	global_load_dwordx2 v[30:31], v34, s[4:5]
	global_load_dwordx2 v[32:33], v[4:5], off
	global_load_dwordx2 v[36:37], v[6:7], off
	;; [unrolled: 1-line block ×8, first 2 shown]
	v_addc_co_u32_e32 v27, vcc, v1, v27, vcc
	global_load_dwordx2 v[50:51], v[20:21], off
	global_load_dwordx2 v[52:53], v[22:23], off
	;; [unrolled: 1-line block ×4, first 2 shown]
	v_add_u32_e32 v28, s7, v28
	v_ashrrev_i32_e32 v29, 31, v28
	v_lshlrev_b64 v[28:29], 3, v[28:29]
	v_add_co_u32_e32 v28, vcc, s4, v28
	v_addc_co_u32_e32 v29, vcc, v1, v29, vcc
	global_load_dwordx2 v[58:59], v[28:29], off
	s_bitcmp0_b32 s22, 0
	s_mov_b64 s[6:7], -1
	s_waitcnt vmcnt(13)
	buffer_store_dword v31, off, s[0:3], 0 offset:4
	buffer_store_dword v30, off, s[0:3], 0
	s_waitcnt vmcnt(14)
	buffer_store_dword v33, off, s[0:3], 0 offset:12
	buffer_store_dword v32, off, s[0:3], 0 offset:8
	s_waitcnt vmcnt(15)
	buffer_store_dword v37, off, s[0:3], 0 offset:20
	buffer_store_dword v36, off, s[0:3], 0 offset:16
	;; [unrolled: 3-line block ×13, first 2 shown]
	s_cbranch_scc1 .LBB13_68
; %bb.4:
	v_cmp_eq_u32_e64 s[4:5], 0, v0
	s_and_saveexec_b64 s[6:7], s[4:5]
	s_cbranch_execz .LBB13_6
; %bb.5:
	v_mov_b32_e32 v1, 0
	ds_write_b32 v1, v1 offset:224
.LBB13_6:
	s_or_b64 exec, exec, s[6:7]
	v_mov_b32_e32 v1, 0
	v_lshl_add_u32 v35, v0, 3, v1
	s_waitcnt lgkmcnt(0)
	; wave barrier
	s_waitcnt lgkmcnt(0)
	buffer_load_dword v1, v35, s[0:3], 0 offen
	buffer_load_dword v30, v35, s[0:3], 0 offen offset:4
	s_waitcnt vmcnt(1)
	v_cmp_eq_f32_e32 vcc, 0, v1
	s_waitcnt vmcnt(0)
	v_cmp_eq_f32_e64 s[6:7], 0, v30
	s_and_b64 s[6:7], vcc, s[6:7]
	s_and_saveexec_b64 s[12:13], s[6:7]
	s_cbranch_execz .LBB13_10
; %bb.7:
	v_mov_b32_e32 v1, 0
	ds_read_b32 v31, v1 offset:224
	v_add_u32_e32 v30, 1, v0
	s_waitcnt lgkmcnt(0)
	v_readfirstlane_b32 s6, v31
	s_cmp_eq_u32 s6, 0
	s_cselect_b64 s[16:17], -1, 0
	v_cmp_gt_i32_e32 vcc, s6, v30
	s_or_b64 s[16:17], s[16:17], vcc
	s_and_b64 exec, exec, s[16:17]
	s_cbranch_execz .LBB13_10
; %bb.8:
	s_mov_b64 s[16:17], 0
	v_mov_b32_e32 v31, s6
.LBB13_9:                               ; =>This Inner Loop Header: Depth=1
	ds_cmpst_rtn_b32 v31, v1, v31, v30 offset:224
	s_waitcnt lgkmcnt(0)
	v_cmp_ne_u32_e32 vcc, 0, v31
	v_cmp_le_i32_e64 s[6:7], v31, v30
	s_and_b64 s[6:7], vcc, s[6:7]
	s_and_b64 s[6:7], exec, s[6:7]
	s_or_b64 s[16:17], s[6:7], s[16:17]
	s_andn2_b64 exec, exec, s[16:17]
	s_cbranch_execnz .LBB13_9
.LBB13_10:
	s_or_b64 exec, exec, s[12:13]
	v_mov_b32_e32 v30, 0
	s_waitcnt lgkmcnt(0)
	; wave barrier
	ds_read_b32 v1, v30 offset:224
	s_and_saveexec_b64 s[6:7], s[4:5]
	s_cbranch_execz .LBB13_12
; %bb.11:
	s_lshl_b64 s[12:13], s[8:9], 2
	s_add_u32 s12, s14, s12
	s_addc_u32 s13, s15, s13
	s_waitcnt lgkmcnt(0)
	global_store_dword v30, v1, s[12:13]
.LBB13_12:
	s_or_b64 exec, exec, s[6:7]
	s_waitcnt lgkmcnt(0)
	v_cmp_ne_u32_e32 vcc, 0, v1
	s_mov_b64 s[6:7], 0
	s_cbranch_vccnz .LBB13_68
; %bb.13:
	buffer_load_dword v36, v35, s[0:3], 0 offen offset:4
	buffer_load_dword v31, v35, s[0:3], 0 offen
	s_waitcnt vmcnt(1)
	v_cmp_gt_f32_e32 vcc, 0, v36
	v_cndmask_b32_e64 v1, v36, -v36, vcc
	s_waitcnt vmcnt(0)
	v_cmp_gt_f32_e32 vcc, 0, v31
	v_cndmask_b32_e64 v30, v31, -v31, vcc
	v_cmp_ngt_f32_e32 vcc, v30, v1
                                        ; implicit-def: $vgpr1
                                        ; implicit-def: $vgpr30
	s_and_saveexec_b64 s[6:7], vcc
	s_xor_b64 s[6:7], exec, s[6:7]
                                        ; implicit-def: $vgpr32_vgpr33
	s_cbranch_execz .LBB13_15
; %bb.14:
	v_div_scale_f32 v1, s[12:13], v36, v36, v31
	v_rcp_f32_e32 v30, v1
	v_div_scale_f32 v32, vcc, v31, v36, v31
	v_fma_f32 v33, -v1, v30, 1.0
	v_fmac_f32_e32 v30, v33, v30
	v_mul_f32_e32 v33, v32, v30
	v_fma_f32 v37, -v1, v33, v32
	v_fmac_f32_e32 v33, v37, v30
	v_fma_f32 v1, -v1, v33, v32
	v_div_fmas_f32 v1, v1, v30, v33
	v_div_fixup_f32 v30, v1, v36, v31
	v_fmac_f32_e32 v36, v31, v30
	v_div_scale_f32 v1, s[12:13], v36, v36, -1.0
	v_rcp_f32_e32 v31, v1
	v_fma_f32 v32, -v1, v31, 1.0
	v_fmac_f32_e32 v31, v32, v31
	v_div_scale_f32 v32, vcc, -1.0, v36, -1.0
	v_mul_f32_e32 v33, v32, v31
	v_fma_f32 v37, -v1, v33, v32
	v_fmac_f32_e32 v33, v37, v31
	v_fma_f32 v1, -v1, v33, v32
	v_div_fmas_f32 v1, v1, v31, v33
	v_div_fixup_f32 v1, v1, v36, -1.0
	v_mul_f32_e32 v30, v30, v1
	v_xor_b32_e32 v32, 0x80000000, v30
                                        ; implicit-def: $vgpr31
                                        ; implicit-def: $vgpr36
.LBB13_15:
	s_andn2_saveexec_b64 s[6:7], s[6:7]
	s_cbranch_execz .LBB13_17
; %bb.16:
	v_div_scale_f32 v1, s[12:13], v31, v31, v36
	v_rcp_f32_e32 v30, v1
	v_div_scale_f32 v32, vcc, v36, v31, v36
	v_fma_f32 v33, -v1, v30, 1.0
	v_fmac_f32_e32 v30, v33, v30
	v_mul_f32_e32 v33, v32, v30
	v_fma_f32 v37, -v1, v33, v32
	v_fmac_f32_e32 v33, v37, v30
	v_fma_f32 v1, -v1, v33, v32
	v_div_fmas_f32 v1, v1, v30, v33
	v_div_fixup_f32 v1, v1, v31, v36
	v_fmac_f32_e32 v31, v36, v1
	v_div_scale_f32 v30, s[12:13], v31, v31, 1.0
	v_rcp_f32_e32 v32, v30
	v_fma_f32 v33, -v30, v32, 1.0
	v_fmac_f32_e32 v32, v33, v32
	v_div_scale_f32 v33, vcc, 1.0, v31, 1.0
	v_mul_f32_e32 v36, v33, v32
	v_fma_f32 v37, -v30, v36, v33
	v_fmac_f32_e32 v36, v37, v32
	v_fma_f32 v30, -v30, v36, v33
	v_div_fmas_f32 v30, v30, v32, v36
	v_div_fixup_f32 v32, v30, v31, 1.0
	v_xor_b32_e32 v30, 0x80000000, v32
	v_mul_f32_e64 v1, v1, -v32
.LBB13_17:
	s_or_b64 exec, exec, s[6:7]
	buffer_store_dword v1, v35, s[0:3], 0 offen offset:4
	buffer_store_dword v32, v35, s[0:3], 0 offen
	buffer_load_dword v33, off, s[0:3], 0 offset:12
	s_nop 0
	buffer_load_dword v32, off, s[0:3], 0 offset:8
	v_xor_b32_e32 v31, 0x80000000, v1
	v_add_u32_e32 v1, 0x70, v34
	s_waitcnt vmcnt(0)
	ds_write2_b64 v34, v[30:31], v[32:33] offset1:14
	s_waitcnt lgkmcnt(0)
	; wave barrier
	s_waitcnt lgkmcnt(0)
	s_and_saveexec_b64 s[6:7], s[4:5]
	s_cbranch_execz .LBB13_19
; %bb.18:
	buffer_load_dword v36, v35, s[0:3], 0 offen offset:4
	buffer_load_dword v37, v35, s[0:3], 0 offen
	ds_read_b64 v[30:31], v1
	v_mov_b32_e32 v32, 0
	ds_read_b64 v[32:33], v32 offset:8
	s_waitcnt vmcnt(1) lgkmcnt(1)
	v_mul_f32_e32 v38, v31, v36
	v_mul_f32_e32 v36, v30, v36
	s_waitcnt vmcnt(0)
	v_fmac_f32_e32 v36, v31, v37
	v_fma_f32 v30, v30, v37, -v38
	v_add_f32_e32 v31, 0, v36
	v_add_f32_e32 v30, 0, v30
	s_waitcnt lgkmcnt(0)
	v_mul_f32_e32 v36, v31, v33
	v_mul_f32_e32 v33, v30, v33
	v_fma_f32 v30, v30, v32, -v36
	v_fmac_f32_e32 v33, v31, v32
	buffer_store_dword v30, off, s[0:3], 0 offset:8
	buffer_store_dword v33, off, s[0:3], 0 offset:12
.LBB13_19:
	s_or_b64 exec, exec, s[6:7]
	s_waitcnt lgkmcnt(0)
	; wave barrier
	buffer_load_dword v30, off, s[0:3], 0 offset:16
	buffer_load_dword v31, off, s[0:3], 0 offset:20
	v_cmp_gt_u32_e32 vcc, 2, v0
	s_waitcnt vmcnt(0)
	ds_write_b64 v1, v[30:31]
	s_waitcnt lgkmcnt(0)
	; wave barrier
	s_waitcnt lgkmcnt(0)
	s_and_saveexec_b64 s[6:7], vcc
	s_cbranch_execz .LBB13_23
; %bb.20:
	buffer_load_dword v32, v35, s[0:3], 0 offen offset:4
	buffer_load_dword v33, v35, s[0:3], 0 offen
	ds_read_b64 v[30:31], v1
	s_waitcnt vmcnt(1) lgkmcnt(0)
	v_mul_f32_e32 v35, v31, v32
	v_mul_f32_e32 v32, v30, v32
	s_waitcnt vmcnt(0)
	v_fma_f32 v30, v30, v33, -v35
	v_fmac_f32_e32 v32, v31, v33
	v_add_f32_e32 v31, 0, v30
	v_add_f32_e32 v30, 0, v32
	s_and_saveexec_b64 s[12:13], s[4:5]
	s_cbranch_execz .LBB13_22
; %bb.21:
	buffer_load_dword v35, off, s[0:3], 0 offset:12
	buffer_load_dword v36, off, s[0:3], 0 offset:8
	v_mov_b32_e32 v32, 0
	ds_read_b64 v[32:33], v32 offset:120
	s_waitcnt vmcnt(1) lgkmcnt(0)
	v_mul_f32_e32 v37, v32, v35
	v_mul_f32_e32 v35, v33, v35
	s_waitcnt vmcnt(0)
	v_fmac_f32_e32 v37, v33, v36
	v_fma_f32 v32, v32, v36, -v35
	v_add_f32_e32 v30, v30, v37
	v_add_f32_e32 v31, v31, v32
.LBB13_22:
	s_or_b64 exec, exec, s[12:13]
	v_mov_b32_e32 v32, 0
	ds_read_b64 v[32:33], v32 offset:16
	s_waitcnt lgkmcnt(0)
	v_mul_f32_e32 v35, v30, v33
	v_mul_f32_e32 v33, v31, v33
	v_fma_f32 v31, v31, v32, -v35
	v_fmac_f32_e32 v33, v30, v32
	buffer_store_dword v31, off, s[0:3], 0 offset:16
	buffer_store_dword v33, off, s[0:3], 0 offset:20
.LBB13_23:
	s_or_b64 exec, exec, s[6:7]
	s_waitcnt lgkmcnt(0)
	; wave barrier
	buffer_load_dword v30, off, s[0:3], 0 offset:24
	buffer_load_dword v31, off, s[0:3], 0 offset:28
	v_cmp_gt_u32_e32 vcc, 3, v0
	s_waitcnt vmcnt(0)
	ds_write_b64 v1, v[30:31]
	v_add_u32_e32 v30, -1, v0
	s_waitcnt lgkmcnt(0)
	; wave barrier
	s_waitcnt lgkmcnt(0)
	s_and_saveexec_b64 s[4:5], vcc
	s_cbranch_execz .LBB13_27
; %bb.24:
	v_add_u32_e32 v32, -1, v0
	v_add_u32_e32 v33, 0x70, v34
	v_add_u32_e32 v35, 0, v34
	s_mov_b64 s[6:7], 0
	v_mov_b32_e32 v31, 0
	v_mov_b32_e32 v36, 0
.LBB13_25:                              ; =>This Inner Loop Header: Depth=1
	buffer_load_dword v37, v35, s[0:3], 0 offen offset:4
	buffer_load_dword v40, v35, s[0:3], 0 offen
	ds_read_b64 v[38:39], v33
	v_add_u32_e32 v32, 1, v32
	v_cmp_lt_u32_e32 vcc, 1, v32
	v_add_u32_e32 v33, 8, v33
	v_add_u32_e32 v35, 8, v35
	s_or_b64 s[6:7], vcc, s[6:7]
	s_waitcnt vmcnt(1) lgkmcnt(0)
	v_mul_f32_e32 v41, v39, v37
	v_mul_f32_e32 v37, v38, v37
	s_waitcnt vmcnt(0)
	v_fma_f32 v38, v38, v40, -v41
	v_fmac_f32_e32 v37, v39, v40
	v_add_f32_e32 v36, v36, v38
	v_add_f32_e32 v31, v31, v37
	s_andn2_b64 exec, exec, s[6:7]
	s_cbranch_execnz .LBB13_25
; %bb.26:
	s_or_b64 exec, exec, s[6:7]
	v_mov_b32_e32 v32, 0
	ds_read_b64 v[32:33], v32 offset:24
	s_waitcnt lgkmcnt(0)
	v_mul_f32_e32 v35, v31, v33
	v_mul_f32_e32 v33, v36, v33
	v_fma_f32 v35, v36, v32, -v35
	v_fmac_f32_e32 v33, v31, v32
	buffer_store_dword v35, off, s[0:3], 0 offset:24
	buffer_store_dword v33, off, s[0:3], 0 offset:28
.LBB13_27:
	s_or_b64 exec, exec, s[4:5]
	s_waitcnt lgkmcnt(0)
	; wave barrier
	buffer_load_dword v32, off, s[0:3], 0 offset:32
	buffer_load_dword v33, off, s[0:3], 0 offset:36
	v_cmp_gt_u32_e32 vcc, 4, v0
	s_waitcnt vmcnt(0)
	ds_write_b64 v1, v[32:33]
	s_waitcnt lgkmcnt(0)
	; wave barrier
	s_waitcnt lgkmcnt(0)
	s_and_saveexec_b64 s[4:5], vcc
	s_cbranch_execz .LBB13_31
; %bb.28:
	v_add_u32_e32 v32, -1, v0
	v_add_u32_e32 v33, 0x70, v34
	v_add_u32_e32 v35, 0, v34
	s_mov_b64 s[6:7], 0
	v_mov_b32_e32 v31, 0
	v_mov_b32_e32 v36, 0
.LBB13_29:                              ; =>This Inner Loop Header: Depth=1
	buffer_load_dword v37, v35, s[0:3], 0 offen offset:4
	buffer_load_dword v40, v35, s[0:3], 0 offen
	ds_read_b64 v[38:39], v33
	v_add_u32_e32 v32, 1, v32
	v_cmp_lt_u32_e32 vcc, 2, v32
	v_add_u32_e32 v33, 8, v33
	v_add_u32_e32 v35, 8, v35
	s_or_b64 s[6:7], vcc, s[6:7]
	s_waitcnt vmcnt(1) lgkmcnt(0)
	v_mul_f32_e32 v41, v39, v37
	v_mul_f32_e32 v37, v38, v37
	s_waitcnt vmcnt(0)
	v_fma_f32 v38, v38, v40, -v41
	v_fmac_f32_e32 v37, v39, v40
	v_add_f32_e32 v36, v36, v38
	v_add_f32_e32 v31, v31, v37
	s_andn2_b64 exec, exec, s[6:7]
	s_cbranch_execnz .LBB13_29
; %bb.30:
	s_or_b64 exec, exec, s[6:7]
	v_mov_b32_e32 v32, 0
	ds_read_b64 v[32:33], v32 offset:32
	s_waitcnt lgkmcnt(0)
	v_mul_f32_e32 v35, v31, v33
	v_mul_f32_e32 v33, v36, v33
	v_fma_f32 v35, v36, v32, -v35
	v_fmac_f32_e32 v33, v31, v32
	buffer_store_dword v35, off, s[0:3], 0 offset:32
	buffer_store_dword v33, off, s[0:3], 0 offset:36
.LBB13_31:
	s_or_b64 exec, exec, s[4:5]
	s_waitcnt lgkmcnt(0)
	; wave barrier
	buffer_load_dword v32, off, s[0:3], 0 offset:40
	buffer_load_dword v33, off, s[0:3], 0 offset:44
	v_cmp_gt_u32_e32 vcc, 5, v0
	s_waitcnt vmcnt(0)
	ds_write_b64 v1, v[32:33]
	s_waitcnt lgkmcnt(0)
	; wave barrier
	s_waitcnt lgkmcnt(0)
	s_and_saveexec_b64 s[4:5], vcc
	s_cbranch_execz .LBB13_35
; %bb.32:
	v_add_u32_e32 v32, -1, v0
	v_add_u32_e32 v33, 0x70, v34
	v_add_u32_e32 v35, 0, v34
	s_mov_b64 s[6:7], 0
	v_mov_b32_e32 v31, 0
	v_mov_b32_e32 v36, 0
.LBB13_33:                              ; =>This Inner Loop Header: Depth=1
	buffer_load_dword v37, v35, s[0:3], 0 offen offset:4
	buffer_load_dword v40, v35, s[0:3], 0 offen
	ds_read_b64 v[38:39], v33
	v_add_u32_e32 v32, 1, v32
	v_cmp_lt_u32_e32 vcc, 3, v32
	v_add_u32_e32 v33, 8, v33
	v_add_u32_e32 v35, 8, v35
	s_or_b64 s[6:7], vcc, s[6:7]
	s_waitcnt vmcnt(1) lgkmcnt(0)
	v_mul_f32_e32 v41, v39, v37
	v_mul_f32_e32 v37, v38, v37
	s_waitcnt vmcnt(0)
	v_fma_f32 v38, v38, v40, -v41
	v_fmac_f32_e32 v37, v39, v40
	v_add_f32_e32 v36, v36, v38
	v_add_f32_e32 v31, v31, v37
	s_andn2_b64 exec, exec, s[6:7]
	s_cbranch_execnz .LBB13_33
; %bb.34:
	s_or_b64 exec, exec, s[6:7]
	v_mov_b32_e32 v32, 0
	ds_read_b64 v[32:33], v32 offset:40
	s_waitcnt lgkmcnt(0)
	v_mul_f32_e32 v35, v31, v33
	v_mul_f32_e32 v33, v36, v33
	v_fma_f32 v35, v36, v32, -v35
	v_fmac_f32_e32 v33, v31, v32
	buffer_store_dword v35, off, s[0:3], 0 offset:40
	buffer_store_dword v33, off, s[0:3], 0 offset:44
.LBB13_35:
	s_or_b64 exec, exec, s[4:5]
	s_waitcnt lgkmcnt(0)
	; wave barrier
	buffer_load_dword v32, off, s[0:3], 0 offset:48
	buffer_load_dword v33, off, s[0:3], 0 offset:52
	v_cmp_gt_u32_e32 vcc, 6, v0
	s_waitcnt vmcnt(0)
	ds_write_b64 v1, v[32:33]
	s_waitcnt lgkmcnt(0)
	; wave barrier
	s_waitcnt lgkmcnt(0)
	s_and_saveexec_b64 s[4:5], vcc
	s_cbranch_execz .LBB13_39
; %bb.36:
	v_add_u32_e32 v32, -1, v0
	v_add_u32_e32 v33, 0x70, v34
	v_add_u32_e32 v35, 0, v34
	s_mov_b64 s[6:7], 0
	v_mov_b32_e32 v31, 0
	v_mov_b32_e32 v36, 0
.LBB13_37:                              ; =>This Inner Loop Header: Depth=1
	buffer_load_dword v37, v35, s[0:3], 0 offen offset:4
	buffer_load_dword v40, v35, s[0:3], 0 offen
	ds_read_b64 v[38:39], v33
	v_add_u32_e32 v32, 1, v32
	v_cmp_lt_u32_e32 vcc, 4, v32
	v_add_u32_e32 v33, 8, v33
	v_add_u32_e32 v35, 8, v35
	s_or_b64 s[6:7], vcc, s[6:7]
	s_waitcnt vmcnt(1) lgkmcnt(0)
	v_mul_f32_e32 v41, v39, v37
	v_mul_f32_e32 v37, v38, v37
	s_waitcnt vmcnt(0)
	v_fma_f32 v38, v38, v40, -v41
	v_fmac_f32_e32 v37, v39, v40
	v_add_f32_e32 v36, v36, v38
	v_add_f32_e32 v31, v31, v37
	s_andn2_b64 exec, exec, s[6:7]
	s_cbranch_execnz .LBB13_37
; %bb.38:
	s_or_b64 exec, exec, s[6:7]
	v_mov_b32_e32 v32, 0
	ds_read_b64 v[32:33], v32 offset:48
	s_waitcnt lgkmcnt(0)
	v_mul_f32_e32 v35, v31, v33
	v_mul_f32_e32 v33, v36, v33
	v_fma_f32 v35, v36, v32, -v35
	v_fmac_f32_e32 v33, v31, v32
	buffer_store_dword v35, off, s[0:3], 0 offset:48
	buffer_store_dword v33, off, s[0:3], 0 offset:52
.LBB13_39:
	s_or_b64 exec, exec, s[4:5]
	s_waitcnt lgkmcnt(0)
	; wave barrier
	buffer_load_dword v32, off, s[0:3], 0 offset:56
	buffer_load_dword v33, off, s[0:3], 0 offset:60
	v_cmp_gt_u32_e32 vcc, 7, v0
	s_waitcnt vmcnt(0)
	ds_write_b64 v1, v[32:33]
	s_waitcnt lgkmcnt(0)
	; wave barrier
	s_waitcnt lgkmcnt(0)
	s_and_saveexec_b64 s[4:5], vcc
	s_cbranch_execz .LBB13_43
; %bb.40:
	v_add_u32_e32 v32, -1, v0
	v_add_u32_e32 v33, 0x70, v34
	v_add_u32_e32 v35, 0, v34
	s_mov_b64 s[6:7], 0
	v_mov_b32_e32 v31, 0
	v_mov_b32_e32 v36, 0
.LBB13_41:                              ; =>This Inner Loop Header: Depth=1
	buffer_load_dword v37, v35, s[0:3], 0 offen offset:4
	buffer_load_dword v40, v35, s[0:3], 0 offen
	ds_read_b64 v[38:39], v33
	v_add_u32_e32 v32, 1, v32
	v_cmp_lt_u32_e32 vcc, 5, v32
	v_add_u32_e32 v33, 8, v33
	v_add_u32_e32 v35, 8, v35
	s_or_b64 s[6:7], vcc, s[6:7]
	s_waitcnt vmcnt(1) lgkmcnt(0)
	v_mul_f32_e32 v41, v39, v37
	v_mul_f32_e32 v37, v38, v37
	s_waitcnt vmcnt(0)
	v_fma_f32 v38, v38, v40, -v41
	v_fmac_f32_e32 v37, v39, v40
	v_add_f32_e32 v36, v36, v38
	v_add_f32_e32 v31, v31, v37
	s_andn2_b64 exec, exec, s[6:7]
	s_cbranch_execnz .LBB13_41
; %bb.42:
	s_or_b64 exec, exec, s[6:7]
	v_mov_b32_e32 v32, 0
	ds_read_b64 v[32:33], v32 offset:56
	s_waitcnt lgkmcnt(0)
	v_mul_f32_e32 v35, v31, v33
	v_mul_f32_e32 v33, v36, v33
	v_fma_f32 v35, v36, v32, -v35
	v_fmac_f32_e32 v33, v31, v32
	buffer_store_dword v35, off, s[0:3], 0 offset:56
	buffer_store_dword v33, off, s[0:3], 0 offset:60
.LBB13_43:
	s_or_b64 exec, exec, s[4:5]
	s_waitcnt lgkmcnt(0)
	; wave barrier
	buffer_load_dword v32, off, s[0:3], 0 offset:64
	buffer_load_dword v33, off, s[0:3], 0 offset:68
	v_cmp_gt_u32_e32 vcc, 8, v0
	s_waitcnt vmcnt(0)
	ds_write_b64 v1, v[32:33]
	s_waitcnt lgkmcnt(0)
	; wave barrier
	s_waitcnt lgkmcnt(0)
	s_and_saveexec_b64 s[4:5], vcc
	s_cbranch_execz .LBB13_47
; %bb.44:
	v_add_u32_e32 v32, -1, v0
	v_add_u32_e32 v33, 0x70, v34
	v_add_u32_e32 v35, 0, v34
	s_mov_b64 s[6:7], 0
	v_mov_b32_e32 v31, 0
	v_mov_b32_e32 v36, 0
.LBB13_45:                              ; =>This Inner Loop Header: Depth=1
	buffer_load_dword v37, v35, s[0:3], 0 offen offset:4
	buffer_load_dword v40, v35, s[0:3], 0 offen
	ds_read_b64 v[38:39], v33
	v_add_u32_e32 v32, 1, v32
	v_cmp_lt_u32_e32 vcc, 6, v32
	v_add_u32_e32 v33, 8, v33
	v_add_u32_e32 v35, 8, v35
	s_or_b64 s[6:7], vcc, s[6:7]
	s_waitcnt vmcnt(1) lgkmcnt(0)
	v_mul_f32_e32 v41, v39, v37
	v_mul_f32_e32 v37, v38, v37
	s_waitcnt vmcnt(0)
	v_fma_f32 v38, v38, v40, -v41
	v_fmac_f32_e32 v37, v39, v40
	v_add_f32_e32 v36, v36, v38
	v_add_f32_e32 v31, v31, v37
	s_andn2_b64 exec, exec, s[6:7]
	s_cbranch_execnz .LBB13_45
; %bb.46:
	s_or_b64 exec, exec, s[6:7]
	v_mov_b32_e32 v32, 0
	ds_read_b64 v[32:33], v32 offset:64
	s_waitcnt lgkmcnt(0)
	v_mul_f32_e32 v35, v31, v33
	v_mul_f32_e32 v33, v36, v33
	v_fma_f32 v35, v36, v32, -v35
	v_fmac_f32_e32 v33, v31, v32
	buffer_store_dword v35, off, s[0:3], 0 offset:64
	buffer_store_dword v33, off, s[0:3], 0 offset:68
.LBB13_47:
	s_or_b64 exec, exec, s[4:5]
	s_waitcnt lgkmcnt(0)
	; wave barrier
	buffer_load_dword v32, off, s[0:3], 0 offset:72
	buffer_load_dword v33, off, s[0:3], 0 offset:76
	v_cmp_gt_u32_e32 vcc, 9, v0
	s_waitcnt vmcnt(0)
	ds_write_b64 v1, v[32:33]
	s_waitcnt lgkmcnt(0)
	; wave barrier
	s_waitcnt lgkmcnt(0)
	s_and_saveexec_b64 s[4:5], vcc
	s_cbranch_execz .LBB13_51
; %bb.48:
	v_add_u32_e32 v32, -1, v0
	v_add_u32_e32 v33, 0x70, v34
	v_add_u32_e32 v35, 0, v34
	s_mov_b64 s[6:7], 0
	v_mov_b32_e32 v31, 0
	v_mov_b32_e32 v36, 0
.LBB13_49:                              ; =>This Inner Loop Header: Depth=1
	buffer_load_dword v37, v35, s[0:3], 0 offen offset:4
	buffer_load_dword v40, v35, s[0:3], 0 offen
	ds_read_b64 v[38:39], v33
	v_add_u32_e32 v32, 1, v32
	v_cmp_lt_u32_e32 vcc, 7, v32
	v_add_u32_e32 v33, 8, v33
	v_add_u32_e32 v35, 8, v35
	s_or_b64 s[6:7], vcc, s[6:7]
	s_waitcnt vmcnt(1) lgkmcnt(0)
	v_mul_f32_e32 v41, v39, v37
	v_mul_f32_e32 v37, v38, v37
	s_waitcnt vmcnt(0)
	v_fma_f32 v38, v38, v40, -v41
	v_fmac_f32_e32 v37, v39, v40
	v_add_f32_e32 v36, v36, v38
	v_add_f32_e32 v31, v31, v37
	s_andn2_b64 exec, exec, s[6:7]
	s_cbranch_execnz .LBB13_49
; %bb.50:
	s_or_b64 exec, exec, s[6:7]
	v_mov_b32_e32 v32, 0
	ds_read_b64 v[32:33], v32 offset:72
	s_waitcnt lgkmcnt(0)
	v_mul_f32_e32 v35, v31, v33
	v_mul_f32_e32 v33, v36, v33
	v_fma_f32 v35, v36, v32, -v35
	v_fmac_f32_e32 v33, v31, v32
	buffer_store_dword v35, off, s[0:3], 0 offset:72
	buffer_store_dword v33, off, s[0:3], 0 offset:76
.LBB13_51:
	s_or_b64 exec, exec, s[4:5]
	s_waitcnt lgkmcnt(0)
	; wave barrier
	buffer_load_dword v32, off, s[0:3], 0 offset:80
	buffer_load_dword v33, off, s[0:3], 0 offset:84
	v_cmp_gt_u32_e32 vcc, 10, v0
	s_waitcnt vmcnt(0)
	ds_write_b64 v1, v[32:33]
	s_waitcnt lgkmcnt(0)
	; wave barrier
	s_waitcnt lgkmcnt(0)
	s_and_saveexec_b64 s[4:5], vcc
	s_cbranch_execz .LBB13_55
; %bb.52:
	v_add_u32_e32 v32, -1, v0
	v_add_u32_e32 v33, 0x70, v34
	v_add_u32_e32 v35, 0, v34
	s_mov_b64 s[6:7], 0
	v_mov_b32_e32 v31, 0
	v_mov_b32_e32 v36, 0
.LBB13_53:                              ; =>This Inner Loop Header: Depth=1
	buffer_load_dword v37, v35, s[0:3], 0 offen offset:4
	buffer_load_dword v40, v35, s[0:3], 0 offen
	ds_read_b64 v[38:39], v33
	v_add_u32_e32 v32, 1, v32
	v_cmp_lt_u32_e32 vcc, 8, v32
	v_add_u32_e32 v33, 8, v33
	v_add_u32_e32 v35, 8, v35
	s_or_b64 s[6:7], vcc, s[6:7]
	s_waitcnt vmcnt(1) lgkmcnt(0)
	v_mul_f32_e32 v41, v39, v37
	v_mul_f32_e32 v37, v38, v37
	s_waitcnt vmcnt(0)
	v_fma_f32 v38, v38, v40, -v41
	v_fmac_f32_e32 v37, v39, v40
	v_add_f32_e32 v36, v36, v38
	v_add_f32_e32 v31, v31, v37
	s_andn2_b64 exec, exec, s[6:7]
	s_cbranch_execnz .LBB13_53
; %bb.54:
	s_or_b64 exec, exec, s[6:7]
	v_mov_b32_e32 v32, 0
	ds_read_b64 v[32:33], v32 offset:80
	s_waitcnt lgkmcnt(0)
	v_mul_f32_e32 v35, v31, v33
	v_mul_f32_e32 v33, v36, v33
	v_fma_f32 v35, v36, v32, -v35
	v_fmac_f32_e32 v33, v31, v32
	buffer_store_dword v35, off, s[0:3], 0 offset:80
	buffer_store_dword v33, off, s[0:3], 0 offset:84
.LBB13_55:
	s_or_b64 exec, exec, s[4:5]
	s_waitcnt lgkmcnt(0)
	; wave barrier
	buffer_load_dword v32, off, s[0:3], 0 offset:88
	buffer_load_dword v33, off, s[0:3], 0 offset:92
	v_cmp_gt_u32_e32 vcc, 11, v0
	s_waitcnt vmcnt(0)
	ds_write_b64 v1, v[32:33]
	s_waitcnt lgkmcnt(0)
	; wave barrier
	s_waitcnt lgkmcnt(0)
	s_and_saveexec_b64 s[4:5], vcc
	s_cbranch_execz .LBB13_59
; %bb.56:
	v_add_u32_e32 v32, -1, v0
	v_add_u32_e32 v33, 0x70, v34
	v_add_u32_e32 v35, 0, v34
	s_mov_b64 s[6:7], 0
	v_mov_b32_e32 v31, 0
	v_mov_b32_e32 v36, 0
.LBB13_57:                              ; =>This Inner Loop Header: Depth=1
	buffer_load_dword v37, v35, s[0:3], 0 offen offset:4
	buffer_load_dword v40, v35, s[0:3], 0 offen
	ds_read_b64 v[38:39], v33
	v_add_u32_e32 v32, 1, v32
	v_cmp_lt_u32_e32 vcc, 9, v32
	v_add_u32_e32 v33, 8, v33
	v_add_u32_e32 v35, 8, v35
	s_or_b64 s[6:7], vcc, s[6:7]
	s_waitcnt vmcnt(1) lgkmcnt(0)
	v_mul_f32_e32 v41, v39, v37
	v_mul_f32_e32 v37, v38, v37
	s_waitcnt vmcnt(0)
	v_fma_f32 v38, v38, v40, -v41
	v_fmac_f32_e32 v37, v39, v40
	v_add_f32_e32 v36, v36, v38
	v_add_f32_e32 v31, v31, v37
	s_andn2_b64 exec, exec, s[6:7]
	s_cbranch_execnz .LBB13_57
; %bb.58:
	s_or_b64 exec, exec, s[6:7]
	v_mov_b32_e32 v32, 0
	ds_read_b64 v[32:33], v32 offset:88
	s_waitcnt lgkmcnt(0)
	v_mul_f32_e32 v35, v31, v33
	v_mul_f32_e32 v33, v36, v33
	v_fma_f32 v35, v36, v32, -v35
	v_fmac_f32_e32 v33, v31, v32
	buffer_store_dword v35, off, s[0:3], 0 offset:88
	buffer_store_dword v33, off, s[0:3], 0 offset:92
.LBB13_59:
	s_or_b64 exec, exec, s[4:5]
	s_waitcnt lgkmcnt(0)
	; wave barrier
	buffer_load_dword v32, off, s[0:3], 0 offset:96
	buffer_load_dword v33, off, s[0:3], 0 offset:100
	v_cmp_gt_u32_e32 vcc, 12, v0
	s_waitcnt vmcnt(0)
	ds_write_b64 v1, v[32:33]
	s_waitcnt lgkmcnt(0)
	; wave barrier
	s_waitcnt lgkmcnt(0)
	s_and_saveexec_b64 s[4:5], vcc
	s_cbranch_execz .LBB13_63
; %bb.60:
	v_add_u32_e32 v32, -1, v0
	v_add_u32_e32 v33, 0x70, v34
	v_add_u32_e32 v35, 0, v34
	s_mov_b64 s[6:7], 0
	v_mov_b32_e32 v31, 0
	v_mov_b32_e32 v36, 0
.LBB13_61:                              ; =>This Inner Loop Header: Depth=1
	buffer_load_dword v37, v35, s[0:3], 0 offen offset:4
	buffer_load_dword v40, v35, s[0:3], 0 offen
	ds_read_b64 v[38:39], v33
	v_add_u32_e32 v32, 1, v32
	v_cmp_lt_u32_e32 vcc, 10, v32
	v_add_u32_e32 v33, 8, v33
	v_add_u32_e32 v35, 8, v35
	s_or_b64 s[6:7], vcc, s[6:7]
	s_waitcnt vmcnt(1) lgkmcnt(0)
	v_mul_f32_e32 v41, v39, v37
	v_mul_f32_e32 v37, v38, v37
	s_waitcnt vmcnt(0)
	v_fma_f32 v38, v38, v40, -v41
	v_fmac_f32_e32 v37, v39, v40
	v_add_f32_e32 v36, v36, v38
	v_add_f32_e32 v31, v31, v37
	s_andn2_b64 exec, exec, s[6:7]
	s_cbranch_execnz .LBB13_61
; %bb.62:
	s_or_b64 exec, exec, s[6:7]
	v_mov_b32_e32 v32, 0
	ds_read_b64 v[32:33], v32 offset:96
	s_waitcnt lgkmcnt(0)
	v_mul_f32_e32 v35, v31, v33
	v_mul_f32_e32 v33, v36, v33
	v_fma_f32 v35, v36, v32, -v35
	v_fmac_f32_e32 v33, v31, v32
	buffer_store_dword v35, off, s[0:3], 0 offset:96
	buffer_store_dword v33, off, s[0:3], 0 offset:100
.LBB13_63:
	s_or_b64 exec, exec, s[4:5]
	s_waitcnt lgkmcnt(0)
	; wave barrier
	buffer_load_dword v32, off, s[0:3], 0 offset:104
	buffer_load_dword v33, off, s[0:3], 0 offset:108
	v_cmp_ne_u32_e32 vcc, 13, v0
	s_waitcnt vmcnt(0)
	ds_write_b64 v1, v[32:33]
	s_waitcnt lgkmcnt(0)
	; wave barrier
	s_waitcnt lgkmcnt(0)
	s_and_saveexec_b64 s[4:5], vcc
	s_cbranch_execz .LBB13_67
; %bb.64:
	v_add_u32_e32 v31, 0x70, v34
	v_add_u32_e32 v32, 0, v34
	s_mov_b64 s[6:7], 0
	v_mov_b32_e32 v1, 0
	v_mov_b32_e32 v33, 0
.LBB13_65:                              ; =>This Inner Loop Header: Depth=1
	buffer_load_dword v36, v32, s[0:3], 0 offen offset:4
	buffer_load_dword v37, v32, s[0:3], 0 offen
	ds_read_b64 v[34:35], v31
	v_add_u32_e32 v30, 1, v30
	v_cmp_lt_u32_e32 vcc, 11, v30
	v_add_u32_e32 v31, 8, v31
	v_add_u32_e32 v32, 8, v32
	s_or_b64 s[6:7], vcc, s[6:7]
	s_waitcnt vmcnt(1) lgkmcnt(0)
	v_mul_f32_e32 v38, v35, v36
	v_mul_f32_e32 v36, v34, v36
	s_waitcnt vmcnt(0)
	v_fma_f32 v34, v34, v37, -v38
	v_fmac_f32_e32 v36, v35, v37
	v_add_f32_e32 v33, v33, v34
	v_add_f32_e32 v1, v1, v36
	s_andn2_b64 exec, exec, s[6:7]
	s_cbranch_execnz .LBB13_65
; %bb.66:
	s_or_b64 exec, exec, s[6:7]
	v_mov_b32_e32 v30, 0
	ds_read_b64 v[30:31], v30 offset:104
	s_waitcnt lgkmcnt(0)
	v_mul_f32_e32 v32, v1, v31
	v_mul_f32_e32 v31, v33, v31
	v_fma_f32 v32, v33, v30, -v32
	v_fmac_f32_e32 v31, v1, v30
	buffer_store_dword v32, off, s[0:3], 0 offset:104
	buffer_store_dword v31, off, s[0:3], 0 offset:108
.LBB13_67:
	s_or_b64 exec, exec, s[4:5]
	s_mov_b64 s[6:7], -1
	s_waitcnt lgkmcnt(0)
	; wave barrier
.LBB13_68:
	s_and_b64 vcc, exec, s[6:7]
	s_cbranch_vccz .LBB13_70
; %bb.69:
	s_lshl_b64 s[4:5], s[8:9], 2
	s_add_u32 s4, s14, s4
	s_addc_u32 s5, s15, s5
	v_mov_b32_e32 v1, 0
	global_load_dword v1, v1, s[4:5]
	s_waitcnt vmcnt(0)
	v_cmp_ne_u32_e32 vcc, 0, v1
	s_cbranch_vccz .LBB13_71
.LBB13_70:
	s_endpgm
.LBB13_71:
	v_mov_b32_e32 v1, 0x70
	v_lshl_add_u32 v1, v0, 3, v1
	v_cmp_eq_u32_e32 vcc, 13, v0
	s_and_saveexec_b64 s[4:5], vcc
	s_cbranch_execz .LBB13_73
; %bb.72:
	buffer_load_dword v30, off, s[0:3], 0 offset:96
	buffer_load_dword v31, off, s[0:3], 0 offset:100
	v_mov_b32_e32 v32, 0
	buffer_store_dword v32, off, s[0:3], 0 offset:96
	buffer_store_dword v32, off, s[0:3], 0 offset:100
	s_waitcnt vmcnt(2)
	ds_write_b64 v1, v[30:31]
.LBB13_73:
	s_or_b64 exec, exec, s[4:5]
	s_waitcnt lgkmcnt(0)
	; wave barrier
	s_waitcnt lgkmcnt(0)
	buffer_load_dword v33, off, s[0:3], 0 offset:108
	buffer_load_dword v32, off, s[0:3], 0 offset:104
	;; [unrolled: 1-line block ×4, first 2 shown]
	v_mov_b32_e32 v30, 0
	ds_read_b64 v[36:37], v30 offset:216
	v_cmp_lt_u32_e32 vcc, 11, v0
	s_waitcnt vmcnt(3)
	v_mov_b32_e32 v38, v33
	s_waitcnt lgkmcnt(0)
	v_pk_mul_f32 v[38:39], v[36:37], v[38:39] op_sel_hi:[1,0]
	s_waitcnt vmcnt(2)
	v_pk_fma_f32 v[40:41], v[36:37], v[32:33], v[38:39] op_sel:[0,0,1] op_sel_hi:[1,1,0] neg_lo:[0,0,1] neg_hi:[0,0,1]
	v_pk_fma_f32 v[32:33], v[36:37], v[32:33], v[38:39] op_sel:[0,0,1] op_sel_hi:[1,0,0]
	v_mov_b32_e32 v41, v33
	v_pk_add_f32 v[32:33], v[40:41], 0 op_sel_hi:[1,0]
	s_waitcnt vmcnt(0)
	v_pk_add_f32 v[32:33], v[34:35], v[32:33] neg_lo:[0,1] neg_hi:[0,1]
	buffer_store_dword v32, off, s[0:3], 0 offset:96
	buffer_store_dword v33, off, s[0:3], 0 offset:100
	s_and_saveexec_b64 s[4:5], vcc
	s_cbranch_execz .LBB13_75
; %bb.74:
	buffer_load_dword v32, off, s[0:3], 0 offset:88
	buffer_load_dword v33, off, s[0:3], 0 offset:92
	s_waitcnt vmcnt(0)
	ds_write_b64 v1, v[32:33]
	buffer_store_dword v30, off, s[0:3], 0 offset:88
	buffer_store_dword v30, off, s[0:3], 0 offset:92
.LBB13_75:
	s_or_b64 exec, exec, s[4:5]
	s_waitcnt lgkmcnt(0)
	; wave barrier
	s_waitcnt lgkmcnt(0)
	buffer_load_dword v35, off, s[0:3], 0 offset:100
	buffer_load_dword v37, off, s[0:3], 0 offset:108
	;; [unrolled: 1-line block ×6, first 2 shown]
	ds_read_b128 v[30:33], v30 offset:208
	v_cmp_lt_u32_e32 vcc, 10, v0
	s_waitcnt vmcnt(5)
	v_mov_b32_e32 v40, v35
	s_waitcnt vmcnt(4)
	v_mov_b32_e32 v42, v37
	s_waitcnt lgkmcnt(0)
	v_pk_mul_f32 v[40:41], v[30:31], v[40:41] op_sel_hi:[1,0]
	v_pk_mul_f32 v[42:43], v[32:33], v[42:43] op_sel_hi:[1,0]
	s_waitcnt vmcnt(3)
	v_pk_fma_f32 v[44:45], v[30:31], v[34:35], v[40:41] op_sel:[0,0,1] op_sel_hi:[1,1,0] neg_lo:[0,0,1] neg_hi:[0,0,1]
	v_pk_fma_f32 v[30:31], v[30:31], v[34:35], v[40:41] op_sel:[0,0,1] op_sel_hi:[1,0,0]
	s_waitcnt vmcnt(2)
	v_pk_fma_f32 v[34:35], v[32:33], v[36:37], v[42:43] op_sel:[0,0,1] op_sel_hi:[1,1,0] neg_lo:[0,0,1] neg_hi:[0,0,1]
	v_pk_fma_f32 v[32:33], v[32:33], v[36:37], v[42:43] op_sel:[0,0,1] op_sel_hi:[1,0,0]
	v_mov_b32_e32 v45, v31
	v_mov_b32_e32 v35, v33
	v_pk_add_f32 v[30:31], v[44:45], 0 op_sel_hi:[1,0]
	v_pk_add_f32 v[30:31], v[30:31], v[34:35]
	s_waitcnt vmcnt(0)
	v_pk_add_f32 v[30:31], v[38:39], v[30:31] neg_lo:[0,1] neg_hi:[0,1]
	buffer_store_dword v30, off, s[0:3], 0 offset:88
	buffer_store_dword v31, off, s[0:3], 0 offset:92
	s_and_saveexec_b64 s[4:5], vcc
	s_cbranch_execz .LBB13_77
; %bb.76:
	buffer_load_dword v30, off, s[0:3], 0 offset:80
	buffer_load_dword v31, off, s[0:3], 0 offset:84
	v_mov_b32_e32 v32, 0
	buffer_store_dword v32, off, s[0:3], 0 offset:80
	buffer_store_dword v32, off, s[0:3], 0 offset:84
	s_waitcnt vmcnt(2)
	ds_write_b64 v1, v[30:31]
.LBB13_77:
	s_or_b64 exec, exec, s[4:5]
	s_waitcnt lgkmcnt(0)
	; wave barrier
	s_waitcnt lgkmcnt(0)
	buffer_load_dword v37, off, s[0:3], 0 offset:92
	buffer_load_dword v39, off, s[0:3], 0 offset:100
	;; [unrolled: 1-line block ×8, first 2 shown]
	v_mov_b32_e32 v30, 0
	ds_read2_b64 v[32:35], v30 offset0:25 offset1:26
	ds_read_b64 v[44:45], v30 offset:216
	v_cmp_lt_u32_e32 vcc, 9, v0
	s_waitcnt vmcnt(7)
	v_mov_b32_e32 v46, v37
	s_waitcnt vmcnt(6)
	v_mov_b32_e32 v48, v39
	s_waitcnt lgkmcnt(1)
	v_pk_mul_f32 v[46:47], v[32:33], v[46:47] op_sel_hi:[1,0]
	s_waitcnt vmcnt(5)
	v_mov_b32_e32 v50, v41
	v_pk_mul_f32 v[48:49], v[34:35], v[48:49] op_sel_hi:[1,0]
	s_waitcnt vmcnt(4)
	v_pk_fma_f32 v[52:53], v[32:33], v[36:37], v[46:47] op_sel:[0,0,1] op_sel_hi:[1,1,0] neg_lo:[0,0,1] neg_hi:[0,0,1]
	v_pk_fma_f32 v[32:33], v[32:33], v[36:37], v[46:47] op_sel:[0,0,1] op_sel_hi:[1,0,0]
	s_waitcnt lgkmcnt(0)
	v_pk_mul_f32 v[50:51], v[44:45], v[50:51] op_sel_hi:[1,0]
	s_waitcnt vmcnt(3)
	v_pk_fma_f32 v[36:37], v[34:35], v[38:39], v[48:49] op_sel:[0,0,1] op_sel_hi:[1,1,0] neg_lo:[0,0,1] neg_hi:[0,0,1]
	v_pk_fma_f32 v[34:35], v[34:35], v[38:39], v[48:49] op_sel:[0,0,1] op_sel_hi:[1,0,0]
	v_mov_b32_e32 v53, v33
	s_waitcnt vmcnt(2)
	v_pk_fma_f32 v[38:39], v[44:45], v[40:41], v[50:51] op_sel:[0,0,1] op_sel_hi:[1,1,0] neg_lo:[0,0,1] neg_hi:[0,0,1]
	v_pk_fma_f32 v[40:41], v[44:45], v[40:41], v[50:51] op_sel:[0,0,1] op_sel_hi:[1,0,0]
	v_mov_b32_e32 v37, v35
	v_pk_add_f32 v[32:33], v[52:53], 0 op_sel_hi:[1,0]
	v_mov_b32_e32 v39, v41
	v_pk_add_f32 v[32:33], v[32:33], v[36:37]
	v_pk_add_f32 v[32:33], v[32:33], v[38:39]
	s_waitcnt vmcnt(0)
	v_pk_add_f32 v[32:33], v[42:43], v[32:33] neg_lo:[0,1] neg_hi:[0,1]
	buffer_store_dword v32, off, s[0:3], 0 offset:80
	buffer_store_dword v33, off, s[0:3], 0 offset:84
	s_and_saveexec_b64 s[4:5], vcc
	s_cbranch_execz .LBB13_79
; %bb.78:
	buffer_load_dword v32, off, s[0:3], 0 offset:72
	buffer_load_dword v33, off, s[0:3], 0 offset:76
	s_waitcnt vmcnt(0)
	ds_write_b64 v1, v[32:33]
	buffer_store_dword v30, off, s[0:3], 0 offset:72
	buffer_store_dword v30, off, s[0:3], 0 offset:76
.LBB13_79:
	s_or_b64 exec, exec, s[4:5]
	s_waitcnt lgkmcnt(0)
	; wave barrier
	s_waitcnt lgkmcnt(0)
	buffer_load_dword v41, off, s[0:3], 0 offset:84
	buffer_load_dword v43, off, s[0:3], 0 offset:92
	;; [unrolled: 1-line block ×10, first 2 shown]
	ds_read_b128 v[32:35], v30 offset:192
	ds_read_b128 v[36:39], v30 offset:208
	v_cmp_lt_u32_e32 vcc, 8, v0
	s_waitcnt vmcnt(9)
	v_mov_b32_e32 v30, v41
	s_waitcnt vmcnt(8)
	v_mov_b32_e32 v50, v43
	s_waitcnt lgkmcnt(1)
	v_pk_mul_f32 v[30:31], v[32:33], v[30:31] op_sel_hi:[1,0]
	s_waitcnt vmcnt(7)
	v_mov_b32_e32 v52, v45
	v_pk_mul_f32 v[50:51], v[34:35], v[50:51] op_sel_hi:[1,0]
	s_waitcnt vmcnt(5)
	v_pk_fma_f32 v[56:57], v[32:33], v[40:41], v[30:31] op_sel:[0,0,1] op_sel_hi:[1,1,0] neg_lo:[0,0,1] neg_hi:[0,0,1]
	v_pk_fma_f32 v[30:31], v[32:33], v[40:41], v[30:31] op_sel:[0,0,1] op_sel_hi:[1,0,0]
	v_mov_b32_e32 v54, v47
	s_waitcnt lgkmcnt(0)
	v_pk_mul_f32 v[52:53], v[36:37], v[52:53] op_sel_hi:[1,0]
	s_waitcnt vmcnt(4)
	v_pk_fma_f32 v[32:33], v[34:35], v[42:43], v[50:51] op_sel:[0,0,1] op_sel_hi:[1,1,0] neg_lo:[0,0,1] neg_hi:[0,0,1]
	v_pk_fma_f32 v[34:35], v[34:35], v[42:43], v[50:51] op_sel:[0,0,1] op_sel_hi:[1,0,0]
	v_mov_b32_e32 v57, v31
	v_pk_mul_f32 v[54:55], v[38:39], v[54:55] op_sel_hi:[1,0]
	s_waitcnt vmcnt(3)
	v_pk_fma_f32 v[40:41], v[36:37], v[44:45], v[52:53] op_sel:[0,0,1] op_sel_hi:[1,1,0] neg_lo:[0,0,1] neg_hi:[0,0,1]
	v_pk_fma_f32 v[36:37], v[36:37], v[44:45], v[52:53] op_sel:[0,0,1] op_sel_hi:[1,0,0]
	v_mov_b32_e32 v33, v35
	v_pk_add_f32 v[30:31], v[56:57], 0 op_sel_hi:[1,0]
	s_waitcnt vmcnt(2)
	v_pk_fma_f32 v[42:43], v[38:39], v[46:47], v[54:55] op_sel:[0,0,1] op_sel_hi:[1,1,0] neg_lo:[0,0,1] neg_hi:[0,0,1]
	v_pk_fma_f32 v[38:39], v[38:39], v[46:47], v[54:55] op_sel:[0,0,1] op_sel_hi:[1,0,0]
	v_mov_b32_e32 v41, v37
	v_pk_add_f32 v[30:31], v[30:31], v[32:33]
	v_mov_b32_e32 v43, v39
	v_pk_add_f32 v[30:31], v[30:31], v[40:41]
	v_pk_add_f32 v[30:31], v[30:31], v[42:43]
	s_waitcnt vmcnt(0)
	v_pk_add_f32 v[30:31], v[48:49], v[30:31] neg_lo:[0,1] neg_hi:[0,1]
	buffer_store_dword v30, off, s[0:3], 0 offset:72
	buffer_store_dword v31, off, s[0:3], 0 offset:76
	s_and_saveexec_b64 s[4:5], vcc
	s_cbranch_execz .LBB13_81
; %bb.80:
	buffer_load_dword v30, off, s[0:3], 0 offset:64
	buffer_load_dword v31, off, s[0:3], 0 offset:68
	v_mov_b32_e32 v32, 0
	buffer_store_dword v32, off, s[0:3], 0 offset:64
	buffer_store_dword v32, off, s[0:3], 0 offset:68
	s_waitcnt vmcnt(2)
	ds_write_b64 v1, v[30:31]
.LBB13_81:
	s_or_b64 exec, exec, s[4:5]
	s_waitcnt lgkmcnt(0)
	; wave barrier
	s_waitcnt lgkmcnt(0)
	buffer_load_dword v41, off, s[0:3], 0 offset:76
	buffer_load_dword v43, off, s[0:3], 0 offset:84
	buffer_load_dword v45, off, s[0:3], 0 offset:92
	buffer_load_dword v47, off, s[0:3], 0 offset:100
	buffer_load_dword v49, off, s[0:3], 0 offset:108
	buffer_load_dword v40, off, s[0:3], 0 offset:72
	buffer_load_dword v42, off, s[0:3], 0 offset:80
	buffer_load_dword v44, off, s[0:3], 0 offset:88
	buffer_load_dword v46, off, s[0:3], 0 offset:96
	buffer_load_dword v48, off, s[0:3], 0 offset:104
	buffer_load_dword v50, off, s[0:3], 0 offset:64
	buffer_load_dword v51, off, s[0:3], 0 offset:68
	v_mov_b32_e32 v30, 0
	ds_read2_b64 v[32:35], v30 offset0:23 offset1:24
	ds_read2_b64 v[36:39], v30 offset0:25 offset1:26
	ds_read_b64 v[52:53], v30 offset:216
	v_cmp_lt_u32_e32 vcc, 7, v0
	s_waitcnt vmcnt(11)
	v_mov_b32_e32 v54, v41
	s_waitcnt vmcnt(10)
	v_mov_b32_e32 v56, v43
	s_waitcnt lgkmcnt(2)
	v_pk_mul_f32 v[54:55], v[32:33], v[54:55] op_sel_hi:[1,0]
	s_waitcnt vmcnt(9)
	v_mov_b32_e32 v58, v45
	v_pk_mul_f32 v[56:57], v[34:35], v[56:57] op_sel_hi:[1,0]
	s_waitcnt vmcnt(6)
	v_pk_fma_f32 v[64:65], v[32:33], v[40:41], v[54:55] op_sel:[0,0,1] op_sel_hi:[1,1,0] neg_lo:[0,0,1] neg_hi:[0,0,1]
	v_pk_fma_f32 v[32:33], v[32:33], v[40:41], v[54:55] op_sel:[0,0,1] op_sel_hi:[1,0,0]
	v_mov_b32_e32 v60, v47
	s_waitcnt lgkmcnt(1)
	v_pk_mul_f32 v[58:59], v[36:37], v[58:59] op_sel_hi:[1,0]
	s_waitcnt vmcnt(5)
	v_pk_fma_f32 v[40:41], v[34:35], v[42:43], v[56:57] op_sel:[0,0,1] op_sel_hi:[1,1,0] neg_lo:[0,0,1] neg_hi:[0,0,1]
	v_pk_fma_f32 v[34:35], v[34:35], v[42:43], v[56:57] op_sel:[0,0,1] op_sel_hi:[1,0,0]
	v_mov_b32_e32 v65, v33
	v_mov_b32_e32 v62, v49
	v_pk_mul_f32 v[60:61], v[38:39], v[60:61] op_sel_hi:[1,0]
	s_waitcnt vmcnt(4)
	v_pk_fma_f32 v[42:43], v[36:37], v[44:45], v[58:59] op_sel:[0,0,1] op_sel_hi:[1,1,0] neg_lo:[0,0,1] neg_hi:[0,0,1]
	v_pk_fma_f32 v[36:37], v[36:37], v[44:45], v[58:59] op_sel:[0,0,1] op_sel_hi:[1,0,0]
	v_mov_b32_e32 v41, v35
	v_pk_add_f32 v[32:33], v[64:65], 0 op_sel_hi:[1,0]
	s_waitcnt lgkmcnt(0)
	v_pk_mul_f32 v[62:63], v[52:53], v[62:63] op_sel_hi:[1,0]
	s_waitcnt vmcnt(3)
	v_pk_fma_f32 v[44:45], v[38:39], v[46:47], v[60:61] op_sel:[0,0,1] op_sel_hi:[1,1,0] neg_lo:[0,0,1] neg_hi:[0,0,1]
	v_pk_fma_f32 v[38:39], v[38:39], v[46:47], v[60:61] op_sel:[0,0,1] op_sel_hi:[1,0,0]
	v_mov_b32_e32 v43, v37
	v_pk_add_f32 v[32:33], v[32:33], v[40:41]
	s_waitcnt vmcnt(2)
	v_pk_fma_f32 v[46:47], v[52:53], v[48:49], v[62:63] op_sel:[0,0,1] op_sel_hi:[1,1,0] neg_lo:[0,0,1] neg_hi:[0,0,1]
	v_pk_fma_f32 v[48:49], v[52:53], v[48:49], v[62:63] op_sel:[0,0,1] op_sel_hi:[1,0,0]
	v_mov_b32_e32 v45, v39
	v_pk_add_f32 v[32:33], v[32:33], v[42:43]
	v_mov_b32_e32 v47, v49
	v_pk_add_f32 v[32:33], v[32:33], v[44:45]
	v_pk_add_f32 v[32:33], v[32:33], v[46:47]
	s_waitcnt vmcnt(0)
	v_pk_add_f32 v[32:33], v[50:51], v[32:33] neg_lo:[0,1] neg_hi:[0,1]
	buffer_store_dword v32, off, s[0:3], 0 offset:64
	buffer_store_dword v33, off, s[0:3], 0 offset:68
	s_and_saveexec_b64 s[4:5], vcc
	s_cbranch_execz .LBB13_83
; %bb.82:
	buffer_load_dword v32, off, s[0:3], 0 offset:56
	buffer_load_dword v33, off, s[0:3], 0 offset:60
	s_waitcnt vmcnt(0)
	ds_write_b64 v1, v[32:33]
	buffer_store_dword v30, off, s[0:3], 0 offset:56
	buffer_store_dword v30, off, s[0:3], 0 offset:60
.LBB13_83:
	s_or_b64 exec, exec, s[4:5]
	s_waitcnt lgkmcnt(0)
	; wave barrier
	s_waitcnt lgkmcnt(0)
	buffer_load_dword v45, off, s[0:3], 0 offset:68
	buffer_load_dword v47, off, s[0:3], 0 offset:76
	;; [unrolled: 1-line block ×14, first 2 shown]
	ds_read_b128 v[32:35], v30 offset:176
	ds_read_b128 v[36:39], v30 offset:192
	ds_read_b128 v[40:43], v30 offset:208
	v_cmp_lt_u32_e32 vcc, 6, v0
	s_waitcnt vmcnt(13)
	v_mov_b32_e32 v30, v45
	s_waitcnt vmcnt(12)
	v_mov_b32_e32 v58, v47
	s_waitcnt lgkmcnt(2)
	v_pk_mul_f32 v[30:31], v[32:33], v[30:31] op_sel_hi:[1,0]
	s_waitcnt vmcnt(11)
	v_mov_b32_e32 v60, v49
	v_pk_mul_f32 v[58:59], v[34:35], v[58:59] op_sel_hi:[1,0]
	s_waitcnt vmcnt(10)
	v_mov_b32_e32 v62, v51
	s_waitcnt vmcnt(7)
	v_pk_fma_f32 v[68:69], v[32:33], v[44:45], v[30:31] op_sel:[0,0,1] op_sel_hi:[1,1,0] neg_lo:[0,0,1] neg_hi:[0,0,1]
	v_pk_fma_f32 v[30:31], v[32:33], v[44:45], v[30:31] op_sel:[0,0,1] op_sel_hi:[1,0,0]
	s_waitcnt lgkmcnt(1)
	v_pk_mul_f32 v[60:61], v[36:37], v[60:61] op_sel_hi:[1,0]
	s_waitcnt vmcnt(6)
	v_pk_fma_f32 v[32:33], v[34:35], v[46:47], v[58:59] op_sel:[0,0,1] op_sel_hi:[1,1,0] neg_lo:[0,0,1] neg_hi:[0,0,1]
	v_pk_fma_f32 v[34:35], v[34:35], v[46:47], v[58:59] op_sel:[0,0,1] op_sel_hi:[1,0,0]
	v_mov_b32_e32 v69, v31
	v_mov_b32_e32 v64, v53
	v_pk_mul_f32 v[62:63], v[38:39], v[62:63] op_sel_hi:[1,0]
	s_waitcnt vmcnt(5)
	v_pk_fma_f32 v[44:45], v[36:37], v[48:49], v[60:61] op_sel:[0,0,1] op_sel_hi:[1,1,0] neg_lo:[0,0,1] neg_hi:[0,0,1]
	v_pk_fma_f32 v[36:37], v[36:37], v[48:49], v[60:61] op_sel:[0,0,1] op_sel_hi:[1,0,0]
	v_mov_b32_e32 v33, v35
	v_pk_add_f32 v[30:31], v[68:69], 0 op_sel_hi:[1,0]
	v_mov_b32_e32 v66, v55
	s_waitcnt lgkmcnt(0)
	v_pk_mul_f32 v[64:65], v[40:41], v[64:65] op_sel_hi:[1,0]
	s_waitcnt vmcnt(4)
	v_pk_fma_f32 v[46:47], v[38:39], v[50:51], v[62:63] op_sel:[0,0,1] op_sel_hi:[1,1,0] neg_lo:[0,0,1] neg_hi:[0,0,1]
	v_pk_fma_f32 v[38:39], v[38:39], v[50:51], v[62:63] op_sel:[0,0,1] op_sel_hi:[1,0,0]
	v_mov_b32_e32 v45, v37
	v_pk_add_f32 v[30:31], v[30:31], v[32:33]
	v_pk_mul_f32 v[66:67], v[42:43], v[66:67] op_sel_hi:[1,0]
	s_waitcnt vmcnt(3)
	v_pk_fma_f32 v[48:49], v[40:41], v[52:53], v[64:65] op_sel:[0,0,1] op_sel_hi:[1,1,0] neg_lo:[0,0,1] neg_hi:[0,0,1]
	v_pk_fma_f32 v[40:41], v[40:41], v[52:53], v[64:65] op_sel:[0,0,1] op_sel_hi:[1,0,0]
	v_mov_b32_e32 v47, v39
	v_pk_add_f32 v[30:31], v[30:31], v[44:45]
	s_waitcnt vmcnt(2)
	v_pk_fma_f32 v[50:51], v[42:43], v[54:55], v[66:67] op_sel:[0,0,1] op_sel_hi:[1,1,0] neg_lo:[0,0,1] neg_hi:[0,0,1]
	v_pk_fma_f32 v[42:43], v[42:43], v[54:55], v[66:67] op_sel:[0,0,1] op_sel_hi:[1,0,0]
	v_mov_b32_e32 v49, v41
	v_pk_add_f32 v[30:31], v[30:31], v[46:47]
	v_mov_b32_e32 v51, v43
	v_pk_add_f32 v[30:31], v[30:31], v[48:49]
	v_pk_add_f32 v[30:31], v[30:31], v[50:51]
	s_waitcnt vmcnt(0)
	v_pk_add_f32 v[30:31], v[56:57], v[30:31] neg_lo:[0,1] neg_hi:[0,1]
	buffer_store_dword v30, off, s[0:3], 0 offset:56
	buffer_store_dword v31, off, s[0:3], 0 offset:60
	s_and_saveexec_b64 s[4:5], vcc
	s_cbranch_execz .LBB13_85
; %bb.84:
	buffer_load_dword v30, off, s[0:3], 0 offset:48
	buffer_load_dword v31, off, s[0:3], 0 offset:52
	v_mov_b32_e32 v32, 0
	buffer_store_dword v32, off, s[0:3], 0 offset:48
	buffer_store_dword v32, off, s[0:3], 0 offset:52
	s_waitcnt vmcnt(2)
	ds_write_b64 v1, v[30:31]
.LBB13_85:
	s_or_b64 exec, exec, s[4:5]
	s_waitcnt lgkmcnt(0)
	; wave barrier
	s_waitcnt lgkmcnt(0)
	buffer_load_dword v45, off, s[0:3], 0 offset:60
	buffer_load_dword v47, off, s[0:3], 0 offset:68
	;; [unrolled: 1-line block ×16, first 2 shown]
	v_mov_b32_e32 v30, 0
	ds_read2_b64 v[32:35], v30 offset0:21 offset1:22
	ds_read2_b64 v[36:39], v30 offset0:23 offset1:24
	;; [unrolled: 1-line block ×3, first 2 shown]
	ds_read_b64 v[60:61], v30 offset:216
	v_cmp_lt_u32_e32 vcc, 5, v0
	s_waitcnt vmcnt(15)
	v_mov_b32_e32 v62, v45
	s_waitcnt vmcnt(14)
	v_mov_b32_e32 v64, v47
	s_waitcnt lgkmcnt(3)
	v_pk_mul_f32 v[62:63], v[32:33], v[62:63] op_sel_hi:[1,0]
	s_waitcnt vmcnt(13)
	v_mov_b32_e32 v66, v49
	v_pk_mul_f32 v[64:65], v[34:35], v[64:65] op_sel_hi:[1,0]
	s_waitcnt vmcnt(12)
	v_mov_b32_e32 v68, v51
	s_waitcnt lgkmcnt(2)
	v_pk_mul_f32 v[66:67], v[36:37], v[66:67] op_sel_hi:[1,0]
	s_waitcnt vmcnt(8)
	v_pk_fma_f32 v[76:77], v[32:33], v[44:45], v[62:63] op_sel:[0,0,1] op_sel_hi:[1,1,0] neg_lo:[0,0,1] neg_hi:[0,0,1]
	v_pk_fma_f32 v[32:33], v[32:33], v[44:45], v[62:63] op_sel:[0,0,1] op_sel_hi:[1,0,0]
	s_waitcnt vmcnt(7)
	v_pk_fma_f32 v[44:45], v[34:35], v[46:47], v[64:65] op_sel:[0,0,1] op_sel_hi:[1,1,0] neg_lo:[0,0,1] neg_hi:[0,0,1]
	v_pk_fma_f32 v[34:35], v[34:35], v[46:47], v[64:65] op_sel:[0,0,1] op_sel_hi:[1,0,0]
	v_mov_b32_e32 v77, v33
	v_mov_b32_e32 v70, v53
	v_pk_mul_f32 v[68:69], v[38:39], v[68:69] op_sel_hi:[1,0]
	s_waitcnt vmcnt(6)
	v_pk_fma_f32 v[46:47], v[36:37], v[48:49], v[66:67] op_sel:[0,0,1] op_sel_hi:[1,1,0] neg_lo:[0,0,1] neg_hi:[0,0,1]
	v_pk_fma_f32 v[36:37], v[36:37], v[48:49], v[66:67] op_sel:[0,0,1] op_sel_hi:[1,0,0]
	v_mov_b32_e32 v45, v35
	v_pk_add_f32 v[32:33], v[76:77], 0 op_sel_hi:[1,0]
	v_mov_b32_e32 v72, v55
	s_waitcnt lgkmcnt(1)
	v_pk_mul_f32 v[70:71], v[40:41], v[70:71] op_sel_hi:[1,0]
	s_waitcnt vmcnt(5)
	v_pk_fma_f32 v[48:49], v[38:39], v[50:51], v[68:69] op_sel:[0,0,1] op_sel_hi:[1,1,0] neg_lo:[0,0,1] neg_hi:[0,0,1]
	v_pk_fma_f32 v[38:39], v[38:39], v[50:51], v[68:69] op_sel:[0,0,1] op_sel_hi:[1,0,0]
	v_mov_b32_e32 v47, v37
	v_pk_add_f32 v[32:33], v[32:33], v[44:45]
	v_mov_b32_e32 v74, v57
	v_pk_mul_f32 v[72:73], v[42:43], v[72:73] op_sel_hi:[1,0]
	s_waitcnt vmcnt(4)
	v_pk_fma_f32 v[50:51], v[40:41], v[52:53], v[70:71] op_sel:[0,0,1] op_sel_hi:[1,1,0] neg_lo:[0,0,1] neg_hi:[0,0,1]
	v_pk_fma_f32 v[40:41], v[40:41], v[52:53], v[70:71] op_sel:[0,0,1] op_sel_hi:[1,0,0]
	v_mov_b32_e32 v49, v39
	v_pk_add_f32 v[32:33], v[32:33], v[46:47]
	s_waitcnt lgkmcnt(0)
	v_pk_mul_f32 v[74:75], v[60:61], v[74:75] op_sel_hi:[1,0]
	s_waitcnt vmcnt(3)
	v_pk_fma_f32 v[52:53], v[42:43], v[54:55], v[72:73] op_sel:[0,0,1] op_sel_hi:[1,1,0] neg_lo:[0,0,1] neg_hi:[0,0,1]
	v_pk_fma_f32 v[42:43], v[42:43], v[54:55], v[72:73] op_sel:[0,0,1] op_sel_hi:[1,0,0]
	v_mov_b32_e32 v51, v41
	v_pk_add_f32 v[32:33], v[32:33], v[48:49]
	s_waitcnt vmcnt(2)
	v_pk_fma_f32 v[54:55], v[60:61], v[56:57], v[74:75] op_sel:[0,0,1] op_sel_hi:[1,1,0] neg_lo:[0,0,1] neg_hi:[0,0,1]
	v_pk_fma_f32 v[56:57], v[60:61], v[56:57], v[74:75] op_sel:[0,0,1] op_sel_hi:[1,0,0]
	v_mov_b32_e32 v53, v43
	v_pk_add_f32 v[32:33], v[32:33], v[50:51]
	v_mov_b32_e32 v55, v57
	v_pk_add_f32 v[32:33], v[32:33], v[52:53]
	v_pk_add_f32 v[32:33], v[32:33], v[54:55]
	s_waitcnt vmcnt(0)
	v_pk_add_f32 v[32:33], v[58:59], v[32:33] neg_lo:[0,1] neg_hi:[0,1]
	buffer_store_dword v32, off, s[0:3], 0 offset:48
	buffer_store_dword v33, off, s[0:3], 0 offset:52
	s_and_saveexec_b64 s[4:5], vcc
	s_cbranch_execz .LBB13_87
; %bb.86:
	buffer_load_dword v32, off, s[0:3], 0 offset:40
	buffer_load_dword v33, off, s[0:3], 0 offset:44
	s_waitcnt vmcnt(0)
	ds_write_b64 v1, v[32:33]
	buffer_store_dword v30, off, s[0:3], 0 offset:40
	buffer_store_dword v30, off, s[0:3], 0 offset:44
.LBB13_87:
	s_or_b64 exec, exec, s[4:5]
	s_waitcnt lgkmcnt(0)
	; wave barrier
	s_waitcnt lgkmcnt(0)
	buffer_load_dword v49, off, s[0:3], 0 offset:52
	buffer_load_dword v51, off, s[0:3], 0 offset:60
	;; [unrolled: 1-line block ×18, first 2 shown]
	ds_read_b128 v[32:35], v30 offset:160
	ds_read_b128 v[36:39], v30 offset:176
	;; [unrolled: 1-line block ×4, first 2 shown]
	v_cmp_lt_u32_e32 vcc, 4, v0
	s_waitcnt vmcnt(17)
	v_mov_b32_e32 v30, v49
	s_waitcnt vmcnt(16)
	v_mov_b32_e32 v66, v51
	s_waitcnt lgkmcnt(3)
	v_pk_mul_f32 v[30:31], v[32:33], v[30:31] op_sel_hi:[1,0]
	s_waitcnt vmcnt(15)
	v_mov_b32_e32 v68, v53
	v_pk_mul_f32 v[66:67], v[34:35], v[66:67] op_sel_hi:[1,0]
	s_waitcnt vmcnt(14)
	v_mov_b32_e32 v70, v55
	s_waitcnt lgkmcnt(2)
	v_pk_mul_f32 v[68:69], v[36:37], v[68:69] op_sel_hi:[1,0]
	s_waitcnt vmcnt(13)
	v_mov_b32_e32 v72, v57
	s_waitcnt vmcnt(9)
	v_pk_fma_f32 v[80:81], v[32:33], v[48:49], v[30:31] op_sel:[0,0,1] op_sel_hi:[1,1,0] neg_lo:[0,0,1] neg_hi:[0,0,1]
	v_pk_fma_f32 v[30:31], v[32:33], v[48:49], v[30:31] op_sel:[0,0,1] op_sel_hi:[1,0,0]
	s_waitcnt vmcnt(8)
	v_pk_fma_f32 v[32:33], v[34:35], v[50:51], v[66:67] op_sel:[0,0,1] op_sel_hi:[1,1,0] neg_lo:[0,0,1] neg_hi:[0,0,1]
	v_pk_fma_f32 v[34:35], v[34:35], v[50:51], v[66:67] op_sel:[0,0,1] op_sel_hi:[1,0,0]
	v_mov_b32_e32 v81, v31
	v_pk_mul_f32 v[70:71], v[38:39], v[70:71] op_sel_hi:[1,0]
	s_waitcnt vmcnt(7)
	v_pk_fma_f32 v[48:49], v[36:37], v[52:53], v[68:69] op_sel:[0,0,1] op_sel_hi:[1,1,0] neg_lo:[0,0,1] neg_hi:[0,0,1]
	v_pk_fma_f32 v[36:37], v[36:37], v[52:53], v[68:69] op_sel:[0,0,1] op_sel_hi:[1,0,0]
	v_mov_b32_e32 v33, v35
	v_pk_add_f32 v[30:31], v[80:81], 0 op_sel_hi:[1,0]
	v_mov_b32_e32 v74, v59
	s_waitcnt lgkmcnt(1)
	v_pk_mul_f32 v[72:73], v[40:41], v[72:73] op_sel_hi:[1,0]
	s_waitcnt vmcnt(6)
	v_pk_fma_f32 v[50:51], v[38:39], v[54:55], v[70:71] op_sel:[0,0,1] op_sel_hi:[1,1,0] neg_lo:[0,0,1] neg_hi:[0,0,1]
	v_pk_fma_f32 v[38:39], v[38:39], v[54:55], v[70:71] op_sel:[0,0,1] op_sel_hi:[1,0,0]
	v_mov_b32_e32 v49, v37
	v_pk_add_f32 v[30:31], v[30:31], v[32:33]
	v_mov_b32_e32 v76, v61
	v_pk_mul_f32 v[74:75], v[42:43], v[74:75] op_sel_hi:[1,0]
	s_waitcnt vmcnt(5)
	v_pk_fma_f32 v[52:53], v[40:41], v[56:57], v[72:73] op_sel:[0,0,1] op_sel_hi:[1,1,0] neg_lo:[0,0,1] neg_hi:[0,0,1]
	v_pk_fma_f32 v[40:41], v[40:41], v[56:57], v[72:73] op_sel:[0,0,1] op_sel_hi:[1,0,0]
	v_mov_b32_e32 v51, v39
	v_pk_add_f32 v[30:31], v[30:31], v[48:49]
	v_mov_b32_e32 v78, v63
	s_waitcnt lgkmcnt(0)
	v_pk_mul_f32 v[76:77], v[44:45], v[76:77] op_sel_hi:[1,0]
	s_waitcnt vmcnt(4)
	v_pk_fma_f32 v[54:55], v[42:43], v[58:59], v[74:75] op_sel:[0,0,1] op_sel_hi:[1,1,0] neg_lo:[0,0,1] neg_hi:[0,0,1]
	v_pk_fma_f32 v[42:43], v[42:43], v[58:59], v[74:75] op_sel:[0,0,1] op_sel_hi:[1,0,0]
	v_mov_b32_e32 v53, v41
	v_pk_add_f32 v[30:31], v[30:31], v[50:51]
	v_pk_mul_f32 v[78:79], v[46:47], v[78:79] op_sel_hi:[1,0]
	s_waitcnt vmcnt(3)
	v_pk_fma_f32 v[56:57], v[44:45], v[60:61], v[76:77] op_sel:[0,0,1] op_sel_hi:[1,1,0] neg_lo:[0,0,1] neg_hi:[0,0,1]
	v_pk_fma_f32 v[44:45], v[44:45], v[60:61], v[76:77] op_sel:[0,0,1] op_sel_hi:[1,0,0]
	v_mov_b32_e32 v55, v43
	v_pk_add_f32 v[30:31], v[30:31], v[52:53]
	s_waitcnt vmcnt(2)
	v_pk_fma_f32 v[58:59], v[46:47], v[62:63], v[78:79] op_sel:[0,0,1] op_sel_hi:[1,1,0] neg_lo:[0,0,1] neg_hi:[0,0,1]
	v_pk_fma_f32 v[46:47], v[46:47], v[62:63], v[78:79] op_sel:[0,0,1] op_sel_hi:[1,0,0]
	v_mov_b32_e32 v57, v45
	v_pk_add_f32 v[30:31], v[30:31], v[54:55]
	v_mov_b32_e32 v59, v47
	v_pk_add_f32 v[30:31], v[30:31], v[56:57]
	v_pk_add_f32 v[30:31], v[30:31], v[58:59]
	s_waitcnt vmcnt(0)
	v_pk_add_f32 v[30:31], v[64:65], v[30:31] neg_lo:[0,1] neg_hi:[0,1]
	buffer_store_dword v30, off, s[0:3], 0 offset:40
	buffer_store_dword v31, off, s[0:3], 0 offset:44
	s_and_saveexec_b64 s[4:5], vcc
	s_cbranch_execz .LBB13_89
; %bb.88:
	buffer_load_dword v30, off, s[0:3], 0 offset:32
	buffer_load_dword v31, off, s[0:3], 0 offset:36
	v_mov_b32_e32 v32, 0
	buffer_store_dword v32, off, s[0:3], 0 offset:32
	buffer_store_dword v32, off, s[0:3], 0 offset:36
	s_waitcnt vmcnt(2)
	ds_write_b64 v1, v[30:31]
.LBB13_89:
	s_or_b64 exec, exec, s[4:5]
	s_waitcnt lgkmcnt(0)
	; wave barrier
	s_waitcnt lgkmcnt(0)
	buffer_load_dword v31, off, s[0:3], 0 offset:44
	buffer_load_dword v49, off, s[0:3], 0 offset:52
	;; [unrolled: 1-line block ×20, first 2 shown]
	v_mov_b32_e32 v30, 0
	ds_read2_b64 v[32:35], v30 offset0:19 offset1:20
	ds_read2_b64 v[36:39], v30 offset0:21 offset1:22
	ds_read2_b64 v[40:43], v30 offset0:23 offset1:24
	ds_read2_b64 v[44:47], v30 offset0:25 offset1:26
	ds_read_b64 v[66:67], v30 offset:216
	v_cmp_lt_u32_e32 vcc, 3, v0
	s_waitcnt vmcnt(19) lgkmcnt(4)
	v_mul_f32_e32 v69, v32, v31
	v_mul_f32_e32 v31, v33, v31
	s_waitcnt vmcnt(18)
	v_mov_b32_e32 v70, v49
	s_waitcnt vmcnt(17)
	v_mov_b32_e32 v72, v51
	;; [unrolled: 2-line block ×8, first 2 shown]
	s_waitcnt vmcnt(10)
	v_fmac_f32_e32 v69, v33, v68
	v_fma_f32 v68, v32, v68, -v31
	v_pk_mul_f32 v[32:33], v[34:35], v[70:71] op_sel_hi:[1,0]
	s_waitcnt lgkmcnt(3)
	v_pk_mul_f32 v[70:71], v[36:37], v[72:73] op_sel_hi:[1,0]
	v_pk_mul_f32 v[72:73], v[38:39], v[74:75] op_sel_hi:[1,0]
	s_waitcnt lgkmcnt(2)
	v_pk_mul_f32 v[74:75], v[40:41], v[76:77] op_sel_hi:[1,0]
	;; [unrolled: 3-line block ×4, first 2 shown]
	s_waitcnt vmcnt(9)
	v_pk_fma_f32 v[84:85], v[34:35], v[48:49], v[32:33] op_sel:[0,0,1] op_sel_hi:[1,1,0] neg_lo:[0,0,1] neg_hi:[0,0,1]
	v_pk_fma_f32 v[32:33], v[34:35], v[48:49], v[32:33] op_sel:[0,0,1] op_sel_hi:[1,0,0]
	v_pk_add_f32 v[68:69], v[68:69], 0 op_sel_hi:[1,0]
	s_waitcnt vmcnt(8)
	v_pk_fma_f32 v[34:35], v[36:37], v[50:51], v[70:71] op_sel:[0,0,1] op_sel_hi:[1,1,0] neg_lo:[0,0,1] neg_hi:[0,0,1]
	v_pk_fma_f32 v[36:37], v[36:37], v[50:51], v[70:71] op_sel:[0,0,1] op_sel_hi:[1,0,0]
	v_mov_b32_e32 v85, v33
	s_waitcnt vmcnt(7)
	v_pk_fma_f32 v[48:49], v[38:39], v[52:53], v[72:73] op_sel:[0,0,1] op_sel_hi:[1,1,0] neg_lo:[0,0,1] neg_hi:[0,0,1]
	v_pk_fma_f32 v[38:39], v[38:39], v[52:53], v[72:73] op_sel:[0,0,1] op_sel_hi:[1,0,0]
	v_mov_b32_e32 v35, v37
	v_pk_add_f32 v[32:33], v[68:69], v[84:85]
	s_waitcnt vmcnt(6)
	v_pk_fma_f32 v[50:51], v[40:41], v[54:55], v[74:75] op_sel:[0,0,1] op_sel_hi:[1,1,0] neg_lo:[0,0,1] neg_hi:[0,0,1]
	v_pk_fma_f32 v[40:41], v[40:41], v[54:55], v[74:75] op_sel:[0,0,1] op_sel_hi:[1,0,0]
	v_mov_b32_e32 v49, v39
	v_pk_add_f32 v[32:33], v[32:33], v[34:35]
	;; [unrolled: 5-line block ×5, first 2 shown]
	v_pk_fma_f32 v[58:59], v[66:67], v[62:63], v[82:83] op_sel:[0,0,1] op_sel_hi:[1,1,0] neg_lo:[0,0,1] neg_hi:[0,0,1]
	v_pk_fma_f32 v[60:61], v[66:67], v[62:63], v[82:83] op_sel:[0,0,1] op_sel_hi:[1,0,0]
	v_mov_b32_e32 v57, v47
	v_pk_add_f32 v[32:33], v[32:33], v[54:55]
	v_mov_b32_e32 v59, v61
	v_pk_add_f32 v[32:33], v[32:33], v[56:57]
	v_pk_add_f32 v[32:33], v[32:33], v[58:59]
	s_waitcnt vmcnt(0)
	v_pk_add_f32 v[32:33], v[64:65], v[32:33] neg_lo:[0,1] neg_hi:[0,1]
	buffer_store_dword v32, off, s[0:3], 0 offset:32
	buffer_store_dword v33, off, s[0:3], 0 offset:36
	s_and_saveexec_b64 s[4:5], vcc
	s_cbranch_execz .LBB13_91
; %bb.90:
	buffer_load_dword v32, off, s[0:3], 0 offset:24
	buffer_load_dword v33, off, s[0:3], 0 offset:28
	s_waitcnt vmcnt(0)
	ds_write_b64 v1, v[32:33]
	buffer_store_dword v30, off, s[0:3], 0 offset:24
	buffer_store_dword v30, off, s[0:3], 0 offset:28
.LBB13_91:
	s_or_b64 exec, exec, s[4:5]
	s_waitcnt lgkmcnt(0)
	; wave barrier
	s_waitcnt lgkmcnt(0)
	buffer_load_dword v70, off, s[0:3], 0 offset:36
	buffer_load_dword v72, off, s[0:3], 0 offset:44
	;; [unrolled: 1-line block ×22, first 2 shown]
	ds_read_b128 v[32:35], v30 offset:144
	ds_read_b128 v[36:39], v30 offset:160
	;; [unrolled: 1-line block ×5, first 2 shown]
	v_cmp_lt_u32_e32 vcc, 2, v0
	s_waitcnt vmcnt(21) lgkmcnt(4)
	v_mul_f32_e32 v31, v32, v70
	s_waitcnt vmcnt(20)
	v_mul_f32_e32 v71, v34, v72
	v_mul_f32_e32 v30, v33, v70
	;; [unrolled: 1-line block ×3, first 2 shown]
	s_waitcnt vmcnt(19)
	v_mov_b32_e32 v72, v53
	s_waitcnt vmcnt(18)
	v_mov_b32_e32 v74, v55
	;; [unrolled: 2-line block ×5, first 2 shown]
	v_mov_b32_e32 v78, v59
	s_waitcnt vmcnt(11)
	v_fmac_f32_e32 v31, v33, v73
	v_fma_f32 v30, v32, v73, -v30
	s_waitcnt lgkmcnt(3)
	v_pk_mul_f32 v[32:33], v[36:37], v[72:73] op_sel_hi:[1,0]
	s_waitcnt vmcnt(10)
	v_fmac_f32_e32 v71, v35, v75
	v_fma_f32 v70, v34, v75, -v70
	v_pk_mul_f32 v[34:35], v[38:39], v[74:75] op_sel_hi:[1,0]
	s_waitcnt lgkmcnt(2)
	v_pk_mul_f32 v[72:73], v[40:41], v[76:77] op_sel_hi:[1,0]
	s_waitcnt lgkmcnt(1)
	;; [unrolled: 2-line block ×3, first 2 shown]
	v_pk_mul_f32 v[80:81], v[48:49], v[84:85] op_sel_hi:[1,0]
	v_pk_add_f32 v[30:31], v[30:31], 0 op_sel_hi:[1,0]
	s_waitcnt vmcnt(9)
	v_pk_fma_f32 v[84:85], v[36:37], v[52:53], v[32:33] op_sel:[0,0,1] op_sel_hi:[1,1,0] neg_lo:[0,0,1] neg_hi:[0,0,1]
	v_pk_fma_f32 v[32:33], v[36:37], v[52:53], v[32:33] op_sel:[0,0,1] op_sel_hi:[1,0,0]
	s_waitcnt vmcnt(8)
	v_pk_fma_f32 v[36:37], v[38:39], v[54:55], v[34:35] op_sel:[0,0,1] op_sel_hi:[1,1,0] neg_lo:[0,0,1] neg_hi:[0,0,1]
	v_pk_fma_f32 v[34:35], v[38:39], v[54:55], v[34:35] op_sel:[0,0,1] op_sel_hi:[1,0,0]
	v_pk_add_f32 v[30:31], v[30:31], v[70:71]
	v_mov_b32_e32 v85, v33
	v_pk_mul_f32 v[74:75], v[42:43], v[78:79] op_sel_hi:[1,0]
	s_waitcnt vmcnt(7)
	v_pk_fma_f32 v[38:39], v[40:41], v[56:57], v[72:73] op_sel:[0,0,1] op_sel_hi:[1,1,0] neg_lo:[0,0,1] neg_hi:[0,0,1]
	v_pk_fma_f32 v[40:41], v[40:41], v[56:57], v[72:73] op_sel:[0,0,1] op_sel_hi:[1,0,0]
	v_mov_b32_e32 v37, v35
	v_pk_add_f32 v[30:31], v[30:31], v[84:85]
	v_mov_b32_e32 v82, v63
	s_waitcnt vmcnt(6)
	v_pk_fma_f32 v[52:53], v[42:43], v[58:59], v[74:75] op_sel:[0,0,1] op_sel_hi:[1,1,0] neg_lo:[0,0,1] neg_hi:[0,0,1]
	v_pk_fma_f32 v[42:43], v[42:43], v[58:59], v[74:75] op_sel:[0,0,1] op_sel_hi:[1,0,0]
	v_mov_b32_e32 v39, v41
	v_pk_add_f32 v[30:31], v[30:31], v[36:37]
	v_pk_mul_f32 v[78:79], v[46:47], v[82:83] op_sel_hi:[1,0]
	s_waitcnt vmcnt(5)
	v_pk_fma_f32 v[54:55], v[44:45], v[60:61], v[76:77] op_sel:[0,0,1] op_sel_hi:[1,1,0] neg_lo:[0,0,1] neg_hi:[0,0,1]
	v_pk_fma_f32 v[44:45], v[44:45], v[60:61], v[76:77] op_sel:[0,0,1] op_sel_hi:[1,0,0]
	v_mov_b32_e32 v53, v43
	v_pk_add_f32 v[30:31], v[30:31], v[38:39]
	v_mov_b32_e32 v86, v67
	s_waitcnt vmcnt(2)
	v_pk_fma_f32 v[56:57], v[46:47], v[62:63], v[78:79] op_sel:[0,0,1] op_sel_hi:[1,1,0] neg_lo:[0,0,1] neg_hi:[0,0,1]
	v_pk_fma_f32 v[46:47], v[46:47], v[62:63], v[78:79] op_sel:[0,0,1] op_sel_hi:[1,0,0]
	v_mov_b32_e32 v55, v45
	v_pk_add_f32 v[30:31], v[30:31], v[52:53]
	v_pk_mul_f32 v[82:83], v[50:51], v[86:87] op_sel_hi:[1,0]
	v_pk_fma_f32 v[58:59], v[48:49], v[64:65], v[80:81] op_sel:[0,0,1] op_sel_hi:[1,1,0] neg_lo:[0,0,1] neg_hi:[0,0,1]
	v_pk_fma_f32 v[48:49], v[48:49], v[64:65], v[80:81] op_sel:[0,0,1] op_sel_hi:[1,0,0]
	v_mov_b32_e32 v57, v47
	v_pk_add_f32 v[30:31], v[30:31], v[54:55]
	v_pk_fma_f32 v[60:61], v[50:51], v[66:67], v[82:83] op_sel:[0,0,1] op_sel_hi:[1,1,0] neg_lo:[0,0,1] neg_hi:[0,0,1]
	v_pk_fma_f32 v[50:51], v[50:51], v[66:67], v[82:83] op_sel:[0,0,1] op_sel_hi:[1,0,0]
	v_mov_b32_e32 v59, v49
	v_pk_add_f32 v[30:31], v[30:31], v[56:57]
	v_mov_b32_e32 v61, v51
	v_pk_add_f32 v[30:31], v[30:31], v[58:59]
	v_pk_add_f32 v[30:31], v[30:31], v[60:61]
	s_waitcnt vmcnt(0)
	v_pk_add_f32 v[30:31], v[68:69], v[30:31] neg_lo:[0,1] neg_hi:[0,1]
	buffer_store_dword v30, off, s[0:3], 0 offset:24
	buffer_store_dword v31, off, s[0:3], 0 offset:28
	s_and_saveexec_b64 s[4:5], vcc
	s_cbranch_execz .LBB13_93
; %bb.92:
	buffer_load_dword v30, off, s[0:3], 0 offset:16
	buffer_load_dword v31, off, s[0:3], 0 offset:20
	v_mov_b32_e32 v32, 0
	buffer_store_dword v32, off, s[0:3], 0 offset:16
	buffer_store_dword v32, off, s[0:3], 0 offset:20
	s_waitcnt vmcnt(2)
	ds_write_b64 v1, v[30:31]
.LBB13_93:
	s_or_b64 exec, exec, s[4:5]
	s_waitcnt lgkmcnt(0)
	; wave barrier
	s_waitcnt lgkmcnt(0)
	buffer_load_dword v31, off, s[0:3], 0 offset:28
	buffer_load_dword v72, off, s[0:3], 0 offset:36
	;; [unrolled: 1-line block ×24, first 2 shown]
	v_mov_b32_e32 v30, 0
	ds_read2_b64 v[32:35], v30 offset0:17 offset1:18
	ds_read2_b64 v[36:39], v30 offset0:19 offset1:20
	;; [unrolled: 1-line block ×5, first 2 shown]
	ds_read_b64 v[70:71], v30 offset:216
	v_cmp_lt_u32_e32 vcc, 1, v0
	s_waitcnt vmcnt(23) lgkmcnt(5)
	v_mul_f32_e32 v85, v32, v31
	v_mul_f32_e32 v31, v33, v31
	s_waitcnt vmcnt(22)
	v_mul_f32_e32 v73, v34, v72
	s_waitcnt vmcnt(21) lgkmcnt(4)
	v_mul_f32_e32 v75, v36, v74
	v_mul_f32_e32 v72, v35, v72
	;; [unrolled: 1-line block ×3, first 2 shown]
	s_waitcnt vmcnt(20)
	v_mov_b32_e32 v76, v53
	s_waitcnt vmcnt(19)
	v_mov_b32_e32 v78, v55
	;; [unrolled: 2-line block ×5, first 2 shown]
	s_waitcnt vmcnt(12)
	v_fmac_f32_e32 v85, v33, v77
	v_fma_f32 v31, v32, v77, -v31
	v_mov_b32_e32 v86, v63
	s_waitcnt vmcnt(11)
	v_fmac_f32_e32 v73, v35, v79
	s_waitcnt vmcnt(10)
	v_fmac_f32_e32 v75, v37, v81
	v_fma_f32 v72, v34, v79, -v72
	v_fma_f32 v74, v36, v81, -v74
	v_pk_mul_f32 v[32:33], v[38:39], v[76:77] op_sel_hi:[1,0]
	s_waitcnt lgkmcnt(3)
	v_pk_mul_f32 v[34:35], v[40:41], v[78:79] op_sel_hi:[1,0]
	v_pk_mul_f32 v[36:37], v[42:43], v[80:81] op_sel_hi:[1,0]
	s_waitcnt lgkmcnt(2)
	v_pk_mul_f32 v[76:77], v[44:45], v[82:83] op_sel_hi:[1,0]
	v_pk_mul_f32 v[78:79], v[46:47], v[84:85] op_sel_hi:[1,0]
	v_add_f32_e32 v85, 0, v85
	v_add_f32_e32 v84, 0, v31
	s_waitcnt lgkmcnt(1)
	v_pk_mul_f32 v[80:81], v[48:49], v[86:87] op_sel_hi:[1,0]
	s_waitcnt vmcnt(9)
	v_pk_fma_f32 v[86:87], v[38:39], v[52:53], v[32:33] op_sel:[0,0,1] op_sel_hi:[1,1,0] neg_lo:[0,0,1] neg_hi:[0,0,1]
	v_pk_fma_f32 v[32:33], v[38:39], v[52:53], v[32:33] op_sel:[0,0,1] op_sel_hi:[1,0,0]
	s_waitcnt vmcnt(8)
	v_pk_fma_f32 v[38:39], v[40:41], v[54:55], v[34:35] op_sel:[0,0,1] op_sel_hi:[1,1,0] neg_lo:[0,0,1] neg_hi:[0,0,1]
	v_pk_fma_f32 v[34:35], v[40:41], v[54:55], v[34:35] op_sel:[0,0,1] op_sel_hi:[1,0,0]
	;; [unrolled: 3-line block ×4, first 2 shown]
	v_pk_add_f32 v[58:59], v[84:85], v[72:73]
	v_mov_b32_e32 v87, v33
	v_pk_add_f32 v[32:33], v[58:59], v[74:75]
	v_mov_b32_e32 v39, v35
	;; [unrolled: 2-line block ×4, first 2 shown]
	s_waitcnt vmcnt(2)
	v_pk_fma_f32 v[52:53], v[46:47], v[60:61], v[78:79] op_sel:[0,0,1] op_sel_hi:[1,1,0] neg_lo:[0,0,1] neg_hi:[0,0,1]
	v_pk_fma_f32 v[46:47], v[46:47], v[60:61], v[78:79] op_sel:[0,0,1] op_sel_hi:[1,0,0]
	v_mov_b32_e32 v43, v45
	v_pk_add_f32 v[32:33], v[32:33], v[40:41]
	v_mov_b32_e32 v90, v67
	v_pk_mul_f32 v[82:83], v[50:51], v[88:89] op_sel_hi:[1,0]
	v_pk_fma_f32 v[54:55], v[48:49], v[62:63], v[80:81] op_sel:[0,0,1] op_sel_hi:[1,1,0] neg_lo:[0,0,1] neg_hi:[0,0,1]
	v_pk_fma_f32 v[48:49], v[48:49], v[62:63], v[80:81] op_sel:[0,0,1] op_sel_hi:[1,0,0]
	v_mov_b32_e32 v53, v47
	v_pk_add_f32 v[32:33], v[32:33], v[42:43]
	v_pk_fma_f32 v[56:57], v[50:51], v[64:65], v[82:83] op_sel:[0,0,1] op_sel_hi:[1,1,0] neg_lo:[0,0,1] neg_hi:[0,0,1]
	v_pk_fma_f32 v[50:51], v[50:51], v[64:65], v[82:83] op_sel:[0,0,1] op_sel_hi:[1,0,0]
	v_mov_b32_e32 v55, v49
	v_pk_add_f32 v[32:33], v[32:33], v[52:53]
	s_waitcnt lgkmcnt(0)
	v_pk_mul_f32 v[34:35], v[70:71], v[90:91] op_sel_hi:[1,0]
	v_mov_b32_e32 v57, v51
	v_pk_add_f32 v[32:33], v[32:33], v[54:55]
	v_pk_fma_f32 v[36:37], v[70:71], v[66:67], v[34:35] op_sel:[0,0,1] op_sel_hi:[1,1,0] neg_lo:[0,0,1] neg_hi:[0,0,1]
	v_pk_fma_f32 v[34:35], v[70:71], v[66:67], v[34:35] op_sel:[0,0,1] op_sel_hi:[1,0,0]
	v_pk_add_f32 v[32:33], v[32:33], v[56:57]
	v_mov_b32_e32 v37, v35
	v_pk_add_f32 v[32:33], v[32:33], v[36:37]
	s_waitcnt vmcnt(0)
	v_pk_add_f32 v[32:33], v[68:69], v[32:33] neg_lo:[0,1] neg_hi:[0,1]
	buffer_store_dword v33, off, s[0:3], 0 offset:20
	buffer_store_dword v32, off, s[0:3], 0 offset:16
	s_and_saveexec_b64 s[4:5], vcc
	s_cbranch_execz .LBB13_95
; %bb.94:
	buffer_load_dword v32, off, s[0:3], 0 offset:8
	buffer_load_dword v33, off, s[0:3], 0 offset:12
	s_waitcnt vmcnt(0)
	ds_write_b64 v1, v[32:33]
	buffer_store_dword v30, off, s[0:3], 0 offset:8
	buffer_store_dword v30, off, s[0:3], 0 offset:12
.LBB13_95:
	s_or_b64 exec, exec, s[4:5]
	s_waitcnt lgkmcnt(0)
	; wave barrier
	s_waitcnt lgkmcnt(0)
	buffer_load_dword v74, off, s[0:3], 0 offset:20
	buffer_load_dword v76, off, s[0:3], 0 offset:28
	;; [unrolled: 1-line block ×26, first 2 shown]
	ds_read_b128 v[32:35], v30 offset:128
	ds_read_b128 v[36:39], v30 offset:144
	;; [unrolled: 1-line block ×6, first 2 shown]
	v_cmp_ne_u32_e32 vcc, 0, v0
	s_waitcnt vmcnt(25) lgkmcnt(5)
	v_mul_f32_e32 v87, v32, v74
	v_mul_f32_e32 v30, v33, v74
	s_waitcnt vmcnt(24)
	v_mul_f32_e32 v88, v34, v76
	s_waitcnt vmcnt(23) lgkmcnt(4)
	v_mul_f32_e32 v31, v36, v77
	s_waitcnt vmcnt(22)
	v_mul_f32_e32 v75, v38, v78
	v_mul_f32_e32 v74, v35, v76
	;; [unrolled: 1-line block ×4, first 2 shown]
	s_waitcnt vmcnt(21)
	v_mov_b32_e32 v76, v57
	s_waitcnt vmcnt(20)
	v_mov_b32_e32 v78, v59
	s_waitcnt vmcnt(18)
	v_mov_b32_e32 v82, v63
	s_waitcnt vmcnt(15)
	v_fmac_f32_e32 v87, v33, v79
	v_fma_f32 v90, v32, v79, -v30
	v_mov_b32_e32 v80, v61
	s_waitcnt vmcnt(14)
	v_fmac_f32_e32 v88, v35, v81
	s_waitcnt vmcnt(13)
	v_fmac_f32_e32 v31, v37, v83
	;; [unrolled: 2-line block ×3, first 2 shown]
	v_fma_f32 v91, v34, v81, -v74
	v_fma_f32 v30, v36, v83, -v77
	;; [unrolled: 1-line block ×3, first 2 shown]
	s_waitcnt lgkmcnt(3)
	v_pk_mul_f32 v[32:33], v[40:41], v[76:77] op_sel_hi:[1,0]
	v_pk_mul_f32 v[34:35], v[42:43], v[78:79] op_sel_hi:[1,0]
	s_waitcnt lgkmcnt(2)
	v_pk_mul_f32 v[38:39], v[46:47], v[82:83] op_sel_hi:[1,0]
	v_add_f32_e32 v82, 0, v87
	v_add_f32_e32 v83, 0, v90
	v_pk_mul_f32 v[36:37], v[44:45], v[80:81] op_sel_hi:[1,0]
	s_waitcnt vmcnt(11)
	v_pk_fma_f32 v[80:81], v[40:41], v[56:57], v[32:33] op_sel:[0,0,1] op_sel_hi:[1,1,0] neg_lo:[0,0,1] neg_hi:[0,0,1]
	v_pk_fma_f32 v[32:33], v[40:41], v[56:57], v[32:33] op_sel:[0,0,1] op_sel_hi:[1,0,0]
	s_waitcnt vmcnt(10)
	v_pk_fma_f32 v[40:41], v[42:43], v[58:59], v[34:35] op_sel:[0,0,1] op_sel_hi:[1,1,0] neg_lo:[0,0,1] neg_hi:[0,0,1]
	v_pk_fma_f32 v[34:35], v[42:43], v[58:59], v[34:35] op_sel:[0,0,1] op_sel_hi:[1,0,0]
	v_add_f32_e32 v59, v82, v88
	v_add_f32_e32 v58, v83, v91
	v_pk_add_f32 v[30:31], v[58:59], v[30:31]
	v_mov_b32_e32 v81, v33
	v_pk_add_f32 v[30:31], v[30:31], v[74:75]
	v_mov_b32_e32 v84, v65
	s_waitcnt vmcnt(9)
	v_pk_fma_f32 v[42:43], v[44:45], v[60:61], v[36:37] op_sel:[0,0,1] op_sel_hi:[1,1,0] neg_lo:[0,0,1] neg_hi:[0,0,1]
	v_pk_fma_f32 v[36:37], v[44:45], v[60:61], v[36:37] op_sel:[0,0,1] op_sel_hi:[1,0,0]
	v_mov_b32_e32 v41, v35
	v_pk_add_f32 v[30:31], v[30:31], v[80:81]
	v_mov_b32_e32 v86, v67
	s_waitcnt lgkmcnt(1)
	v_pk_mul_f32 v[76:77], v[48:49], v[84:85] op_sel_hi:[1,0]
	s_waitcnt vmcnt(5)
	v_pk_fma_f32 v[44:45], v[46:47], v[62:63], v[38:39] op_sel:[0,0,1] op_sel_hi:[1,1,0] neg_lo:[0,0,1] neg_hi:[0,0,1]
	v_pk_fma_f32 v[38:39], v[46:47], v[62:63], v[38:39] op_sel:[0,0,1] op_sel_hi:[1,0,0]
	v_mov_b32_e32 v43, v37
	v_pk_add_f32 v[30:31], v[30:31], v[40:41]
	s_waitcnt vmcnt(4)
	v_mov_b32_e32 v32, v69
	v_pk_mul_f32 v[78:79], v[50:51], v[86:87] op_sel_hi:[1,0]
	v_pk_fma_f32 v[46:47], v[48:49], v[64:65], v[76:77] op_sel:[0,0,1] op_sel_hi:[1,1,0] neg_lo:[0,0,1] neg_hi:[0,0,1]
	v_pk_fma_f32 v[48:49], v[48:49], v[64:65], v[76:77] op_sel:[0,0,1] op_sel_hi:[1,0,0]
	v_mov_b32_e32 v45, v39
	v_pk_add_f32 v[30:31], v[30:31], v[42:43]
	s_waitcnt lgkmcnt(0)
	v_pk_mul_f32 v[32:33], v[52:53], v[32:33] op_sel_hi:[1,0]
	v_pk_fma_f32 v[56:57], v[50:51], v[66:67], v[78:79] op_sel:[0,0,1] op_sel_hi:[1,1,0] neg_lo:[0,0,1] neg_hi:[0,0,1]
	v_pk_fma_f32 v[50:51], v[50:51], v[66:67], v[78:79] op_sel:[0,0,1] op_sel_hi:[1,0,0]
	v_mov_b32_e32 v47, v49
	v_pk_add_f32 v[30:31], v[30:31], v[44:45]
	v_pk_fma_f32 v[34:35], v[52:53], v[68:69], v[32:33] op_sel:[0,0,1] op_sel_hi:[1,1,0] neg_lo:[0,0,1] neg_hi:[0,0,1]
	v_pk_fma_f32 v[32:33], v[52:53], v[68:69], v[32:33] op_sel:[0,0,1] op_sel_hi:[1,0,0]
	v_mov_b32_e32 v57, v51
	v_pk_add_f32 v[30:31], v[30:31], v[46:47]
	s_waitcnt vmcnt(3)
	v_mov_b32_e32 v32, v71
	v_pk_add_f32 v[30:31], v[30:31], v[56:57]
	v_mov_b32_e32 v35, v33
	v_pk_mul_f32 v[32:33], v[54:55], v[32:33] op_sel_hi:[1,0]
	v_pk_add_f32 v[30:31], v[30:31], v[34:35]
	s_waitcnt vmcnt(2)
	v_pk_fma_f32 v[34:35], v[54:55], v[70:71], v[32:33] op_sel:[0,0,1] op_sel_hi:[1,1,0] neg_lo:[0,0,1] neg_hi:[0,0,1]
	v_pk_fma_f32 v[32:33], v[54:55], v[70:71], v[32:33] op_sel:[0,0,1] op_sel_hi:[1,0,0]
	v_mov_b32_e32 v35, v33
	v_pk_add_f32 v[30:31], v[30:31], v[34:35]
	s_waitcnt vmcnt(0)
	v_pk_add_f32 v[30:31], v[72:73], v[30:31] neg_lo:[0,1] neg_hi:[0,1]
	buffer_store_dword v31, off, s[0:3], 0 offset:12
	buffer_store_dword v30, off, s[0:3], 0 offset:8
	s_and_saveexec_b64 s[4:5], vcc
	s_cbranch_execz .LBB13_97
; %bb.96:
	buffer_load_dword v30, off, s[0:3], 0
	buffer_load_dword v31, off, s[0:3], 0 offset:4
	v_mov_b32_e32 v0, 0
	buffer_store_dword v0, off, s[0:3], 0
	buffer_store_dword v0, off, s[0:3], 0 offset:4
	s_waitcnt vmcnt(2)
	ds_write_b64 v1, v[30:31]
.LBB13_97:
	s_or_b64 exec, exec, s[4:5]
	s_waitcnt lgkmcnt(0)
	; wave barrier
	s_waitcnt lgkmcnt(0)
	buffer_load_dword v72, off, s[0:3], 0 offset:12
	buffer_load_dword v74, off, s[0:3], 0 offset:20
	;; [unrolled: 1-line block ×26, first 2 shown]
	buffer_load_dword v68, off, s[0:3], 0
	buffer_load_dword v69, off, s[0:3], 0 offset:4
	v_mov_b32_e32 v70, 0
	ds_read2_b64 v[30:33], v70 offset0:15 offset1:16
	ds_read2_b64 v[34:37], v70 offset0:17 offset1:18
	;; [unrolled: 1-line block ×6, first 2 shown]
	ds_read_b64 v[70:71], v70 offset:216
	s_and_b64 vcc, exec, s[20:21]
	s_waitcnt vmcnt(27) lgkmcnt(6)
	v_mul_f32_e32 v87, v30, v72
	s_waitcnt vmcnt(26)
	v_mul_f32_e32 v88, v32, v74
	v_mul_f32_e32 v72, v31, v72
	;; [unrolled: 1-line block ×3, first 2 shown]
	s_waitcnt vmcnt(23) lgkmcnt(4)
	v_mul_f32_e32 v75, v38, v78
	v_mul_f32_e32 v89, v34, v76
	;; [unrolled: 1-line block ×6, first 2 shown]
	s_waitcnt vmcnt(22)
	v_mov_b32_e32 v76, v1
	s_waitcnt vmcnt(21)
	v_mov_b32_e32 v78, v55
	s_waitcnt vmcnt(17)
	v_fmac_f32_e32 v87, v31, v79
	s_waitcnt vmcnt(16)
	v_fmac_f32_e32 v88, v33, v81
	;; [unrolled: 2-line block ×3, first 2 shown]
	v_fma_f32 v39, v30, v79, -v72
	v_fma_f32 v79, v32, v81, -v74
	v_pk_mul_f32 v[30:31], v[40:41], v[76:77] op_sel_hi:[1,0]
	s_waitcnt lgkmcnt(3)
	v_pk_mul_f32 v[32:33], v[42:43], v[78:79] op_sel_hi:[1,0]
	v_fma_f32 v72, v36, v85, -v77
	v_fma_f32 v74, v38, v86, -v91
	v_add_f32_e32 v76, 0, v87
	v_add_f32_e32 v77, 0, v39
	s_waitcnt vmcnt(12)
	v_pk_fma_f32 v[38:39], v[40:41], v[0:1], v[30:31] op_sel:[0,0,1] op_sel_hi:[1,1,0] neg_lo:[0,0,1] neg_hi:[0,0,1]
	v_pk_fma_f32 v[0:1], v[40:41], v[0:1], v[30:31] op_sel:[0,0,1] op_sel_hi:[1,0,0]
	s_waitcnt vmcnt(11)
	v_pk_fma_f32 v[30:31], v[42:43], v[54:55], v[32:33] op_sel:[0,0,1] op_sel_hi:[1,1,0] neg_lo:[0,0,1] neg_hi:[0,0,1]
	v_pk_fma_f32 v[32:33], v[42:43], v[54:55], v[32:33] op_sel:[0,0,1] op_sel_hi:[1,0,0]
	v_fmac_f32_e32 v89, v35, v83
	v_fma_f32 v81, v34, v83, -v90
	v_add_f32_e32 v0, v76, v88
	v_add_f32_e32 v32, v77, v79
	v_fmac_f32_e32 v73, v37, v85
	v_mov_b32_e32 v39, v1
	v_add_f32_e32 v1, v0, v89
	v_add_f32_e32 v0, v32, v81
	v_pk_add_f32 v[0:1], v[0:1], v[72:73]
	v_mov_b32_e32 v80, v57
	v_pk_add_f32 v[0:1], v[0:1], v[74:75]
	v_mov_b32_e32 v82, v59
	v_mov_b32_e32 v84, v61
	v_pk_mul_f32 v[34:35], v[44:45], v[80:81] op_sel_hi:[1,0]
	v_mov_b32_e32 v31, v33
	v_pk_add_f32 v[0:1], v[0:1], v[38:39]
	s_waitcnt lgkmcnt(2)
	v_pk_mul_f32 v[36:37], v[46:47], v[82:83] op_sel_hi:[1,0]
	s_waitcnt vmcnt(7)
	v_pk_fma_f32 v[40:41], v[44:45], v[56:57], v[34:35] op_sel:[0,0,1] op_sel_hi:[1,1,0] neg_lo:[0,0,1] neg_hi:[0,0,1]
	v_pk_fma_f32 v[34:35], v[44:45], v[56:57], v[34:35] op_sel:[0,0,1] op_sel_hi:[1,0,0]
	v_pk_add_f32 v[0:1], v[0:1], v[30:31]
	v_pk_mul_f32 v[30:31], v[48:49], v[84:85] op_sel_hi:[1,0]
	v_pk_fma_f32 v[42:43], v[46:47], v[58:59], v[36:37] op_sel:[0,0,1] op_sel_hi:[1,1,0] neg_lo:[0,0,1] neg_hi:[0,0,1]
	v_pk_fma_f32 v[36:37], v[46:47], v[58:59], v[36:37] op_sel:[0,0,1] op_sel_hi:[1,0,0]
	v_mov_b32_e32 v41, v35
	v_pk_fma_f32 v[32:33], v[48:49], v[60:61], v[30:31] op_sel:[0,0,1] op_sel_hi:[1,1,0] neg_lo:[0,0,1] neg_hi:[0,0,1]
	v_pk_fma_f32 v[30:31], v[48:49], v[60:61], v[30:31] op_sel:[0,0,1] op_sel_hi:[1,0,0]
	v_mov_b32_e32 v43, v37
	v_pk_add_f32 v[0:1], v[0:1], v[40:41]
	s_waitcnt vmcnt(6)
	v_mov_b32_e32 v30, v63
	v_pk_add_f32 v[0:1], v[0:1], v[42:43]
	v_mov_b32_e32 v33, v31
	s_waitcnt lgkmcnt(1)
	v_pk_mul_f32 v[30:31], v[50:51], v[30:31] op_sel_hi:[1,0]
	v_pk_add_f32 v[0:1], v[0:1], v[32:33]
	v_pk_fma_f32 v[32:33], v[50:51], v[62:63], v[30:31] op_sel:[0,0,1] op_sel_hi:[1,1,0] neg_lo:[0,0,1] neg_hi:[0,0,1]
	v_pk_fma_f32 v[30:31], v[50:51], v[62:63], v[30:31] op_sel:[0,0,1] op_sel_hi:[1,0,0]
	s_waitcnt vmcnt(5)
	v_mov_b32_e32 v30, v65
	v_mov_b32_e32 v33, v31
	v_pk_mul_f32 v[30:31], v[52:53], v[30:31] op_sel_hi:[1,0]
	v_pk_add_f32 v[0:1], v[0:1], v[32:33]
	s_waitcnt vmcnt(3)
	v_pk_fma_f32 v[32:33], v[52:53], v[64:65], v[30:31] op_sel:[0,0,1] op_sel_hi:[1,1,0] neg_lo:[0,0,1] neg_hi:[0,0,1]
	v_pk_fma_f32 v[30:31], v[52:53], v[64:65], v[30:31] op_sel:[0,0,1] op_sel_hi:[1,0,0]
	s_waitcnt vmcnt(2)
	v_mov_b32_e32 v30, v67
	v_mov_b32_e32 v33, v31
	s_waitcnt lgkmcnt(0)
	v_pk_mul_f32 v[30:31], v[70:71], v[30:31] op_sel_hi:[1,0]
	v_pk_add_f32 v[0:1], v[0:1], v[32:33]
	v_pk_fma_f32 v[32:33], v[70:71], v[66:67], v[30:31] op_sel:[0,0,1] op_sel_hi:[1,1,0] neg_lo:[0,0,1] neg_hi:[0,0,1]
	v_pk_fma_f32 v[30:31], v[70:71], v[66:67], v[30:31] op_sel:[0,0,1] op_sel_hi:[1,0,0]
	v_mov_b32_e32 v33, v31
	v_pk_add_f32 v[0:1], v[0:1], v[32:33]
	s_waitcnt vmcnt(0)
	v_pk_add_f32 v[0:1], v[68:69], v[0:1] neg_lo:[0,1] neg_hi:[0,1]
	buffer_store_dword v1, off, s[0:3], 0 offset:4
	buffer_store_dword v0, off, s[0:3], 0
	s_cbranch_vccz .LBB13_125
; %bb.98:
	v_pk_mov_b32 v[0:1], s[10:11], s[10:11] op_sel:[0,1]
	flat_load_dword v0, v[0:1] offset:48
	s_waitcnt vmcnt(0) lgkmcnt(0)
	v_add_u32_e32 v0, -1, v0
	v_cmp_ne_u32_e32 vcc, 12, v0
	s_and_saveexec_b64 s[4:5], vcc
	s_cbranch_execz .LBB13_100
; %bb.99:
	v_mov_b32_e32 v1, 0
	v_lshl_add_u32 v0, v0, 3, v1
	buffer_load_dword v1, v0, s[0:3], 0 offen
	buffer_load_dword v30, v0, s[0:3], 0 offen offset:4
	buffer_load_dword v31, off, s[0:3], 0 offset:100
	buffer_load_dword v32, off, s[0:3], 0 offset:96
	s_waitcnt vmcnt(3)
	buffer_store_dword v1, off, s[0:3], 0 offset:96
	s_waitcnt vmcnt(3)
	buffer_store_dword v30, off, s[0:3], 0 offset:100
	s_waitcnt vmcnt(3)
	buffer_store_dword v31, v0, s[0:3], 0 offen offset:4
	s_waitcnt vmcnt(3)
	buffer_store_dword v32, v0, s[0:3], 0 offen
.LBB13_100:
	s_or_b64 exec, exec, s[4:5]
	v_pk_mov_b32 v[0:1], s[10:11], s[10:11] op_sel:[0,1]
	flat_load_dword v0, v[0:1] offset:44
	s_waitcnt vmcnt(0) lgkmcnt(0)
	v_add_u32_e32 v0, -1, v0
	v_cmp_ne_u32_e32 vcc, 11, v0
	s_and_saveexec_b64 s[4:5], vcc
	s_cbranch_execz .LBB13_102
; %bb.101:
	v_mov_b32_e32 v1, 0
	v_lshl_add_u32 v0, v0, 3, v1
	buffer_load_dword v1, v0, s[0:3], 0 offen
	buffer_load_dword v30, v0, s[0:3], 0 offen offset:4
	buffer_load_dword v31, off, s[0:3], 0 offset:88
	buffer_load_dword v32, off, s[0:3], 0 offset:92
	s_waitcnt vmcnt(3)
	buffer_store_dword v1, off, s[0:3], 0 offset:88
	s_waitcnt vmcnt(3)
	buffer_store_dword v30, off, s[0:3], 0 offset:92
	s_waitcnt vmcnt(3)
	buffer_store_dword v31, v0, s[0:3], 0 offen
	s_waitcnt vmcnt(3)
	buffer_store_dword v32, v0, s[0:3], 0 offen offset:4
.LBB13_102:
	s_or_b64 exec, exec, s[4:5]
	v_pk_mov_b32 v[0:1], s[10:11], s[10:11] op_sel:[0,1]
	flat_load_dword v0, v[0:1] offset:40
	s_waitcnt vmcnt(0) lgkmcnt(0)
	v_add_u32_e32 v0, -1, v0
	v_cmp_ne_u32_e32 vcc, 10, v0
	s_and_saveexec_b64 s[4:5], vcc
	s_cbranch_execz .LBB13_104
; %bb.103:
	v_mov_b32_e32 v1, 0
	v_lshl_add_u32 v0, v0, 3, v1
	buffer_load_dword v1, v0, s[0:3], 0 offen
	buffer_load_dword v30, v0, s[0:3], 0 offen offset:4
	buffer_load_dword v31, off, s[0:3], 0 offset:84
	buffer_load_dword v32, off, s[0:3], 0 offset:80
	s_waitcnt vmcnt(3)
	buffer_store_dword v1, off, s[0:3], 0 offset:80
	s_waitcnt vmcnt(3)
	buffer_store_dword v30, off, s[0:3], 0 offset:84
	s_waitcnt vmcnt(3)
	buffer_store_dword v31, v0, s[0:3], 0 offen offset:4
	s_waitcnt vmcnt(3)
	buffer_store_dword v32, v0, s[0:3], 0 offen
.LBB13_104:
	s_or_b64 exec, exec, s[4:5]
	v_pk_mov_b32 v[0:1], s[10:11], s[10:11] op_sel:[0,1]
	flat_load_dword v0, v[0:1] offset:36
	s_waitcnt vmcnt(0) lgkmcnt(0)
	v_add_u32_e32 v0, -1, v0
	v_cmp_ne_u32_e32 vcc, 9, v0
	s_and_saveexec_b64 s[4:5], vcc
	s_cbranch_execz .LBB13_106
; %bb.105:
	v_mov_b32_e32 v1, 0
	v_lshl_add_u32 v0, v0, 3, v1
	buffer_load_dword v1, v0, s[0:3], 0 offen
	buffer_load_dword v30, v0, s[0:3], 0 offen offset:4
	buffer_load_dword v31, off, s[0:3], 0 offset:72
	buffer_load_dword v32, off, s[0:3], 0 offset:76
	s_waitcnt vmcnt(3)
	buffer_store_dword v1, off, s[0:3], 0 offset:72
	s_waitcnt vmcnt(3)
	buffer_store_dword v30, off, s[0:3], 0 offset:76
	s_waitcnt vmcnt(3)
	buffer_store_dword v31, v0, s[0:3], 0 offen
	s_waitcnt vmcnt(3)
	buffer_store_dword v32, v0, s[0:3], 0 offen offset:4
.LBB13_106:
	s_or_b64 exec, exec, s[4:5]
	;; [unrolled: 48-line block ×6, first 2 shown]
	v_pk_mov_b32 v[0:1], s[10:11], s[10:11] op_sel:[0,1]
	flat_load_dword v30, v[0:1]
	s_nop 0
	buffer_load_dword v0, off, s[0:3], 0
	buffer_load_dword v1, off, s[0:3], 0 offset:4
	s_waitcnt vmcnt(0) lgkmcnt(0)
	v_add_u32_e32 v30, -1, v30
	v_cmp_ne_u32_e32 vcc, 0, v30
	s_and_saveexec_b64 s[4:5], vcc
	s_cbranch_execz .LBB13_124
; %bb.123:
	v_mov_b32_e32 v31, 0
	v_lshl_add_u32 v30, v30, 3, v31
	buffer_load_dword v31, v30, s[0:3], 0 offen offset:4
	buffer_load_dword v32, v30, s[0:3], 0 offen
	s_waitcnt vmcnt(1)
	buffer_store_dword v31, off, s[0:3], 0 offset:4
	s_waitcnt vmcnt(1)
	buffer_store_dword v32, off, s[0:3], 0
	buffer_store_dword v1, v30, s[0:3], 0 offen offset:4
	buffer_store_dword v0, v30, s[0:3], 0 offen
	buffer_load_dword v0, off, s[0:3], 0
	s_nop 0
	buffer_load_dword v1, off, s[0:3], 0 offset:4
.LBB13_124:
	s_or_b64 exec, exec, s[4:5]
.LBB13_125:
	buffer_load_dword v30, off, s[0:3], 0 offset:8
	buffer_load_dword v31, off, s[0:3], 0 offset:12
	;; [unrolled: 1-line block ×26, first 2 shown]
	s_waitcnt vmcnt(26)
	global_store_dwordx2 v[2:3], v[0:1], off
	s_waitcnt vmcnt(25)
	global_store_dwordx2 v[4:5], v[30:31], off
	;; [unrolled: 2-line block ×14, first 2 shown]
	s_endpgm
	.section	.rodata,"a",@progbits
	.p2align	6, 0x0
	.amdhsa_kernel _ZN9rocsolver6v33100L18getri_kernel_smallILi14E19rocblas_complex_numIfEPS3_EEvT1_iilPiilS6_bb
		.amdhsa_group_segment_fixed_size 228
		.amdhsa_private_segment_fixed_size 128
		.amdhsa_kernarg_size 60
		.amdhsa_user_sgpr_count 8
		.amdhsa_user_sgpr_private_segment_buffer 1
		.amdhsa_user_sgpr_dispatch_ptr 0
		.amdhsa_user_sgpr_queue_ptr 0
		.amdhsa_user_sgpr_kernarg_segment_ptr 1
		.amdhsa_user_sgpr_dispatch_id 0
		.amdhsa_user_sgpr_flat_scratch_init 1
		.amdhsa_user_sgpr_kernarg_preload_length 0
		.amdhsa_user_sgpr_kernarg_preload_offset 0
		.amdhsa_user_sgpr_private_segment_size 0
		.amdhsa_uses_dynamic_stack 0
		.amdhsa_system_sgpr_private_segment_wavefront_offset 1
		.amdhsa_system_sgpr_workgroup_id_x 1
		.amdhsa_system_sgpr_workgroup_id_y 0
		.amdhsa_system_sgpr_workgroup_id_z 0
		.amdhsa_system_sgpr_workgroup_info 0
		.amdhsa_system_vgpr_workitem_id 0
		.amdhsa_next_free_vgpr 92
		.amdhsa_next_free_sgpr 23
		.amdhsa_accum_offset 92
		.amdhsa_reserve_vcc 1
		.amdhsa_reserve_flat_scratch 1
		.amdhsa_float_round_mode_32 0
		.amdhsa_float_round_mode_16_64 0
		.amdhsa_float_denorm_mode_32 3
		.amdhsa_float_denorm_mode_16_64 3
		.amdhsa_dx10_clamp 1
		.amdhsa_ieee_mode 1
		.amdhsa_fp16_overflow 0
		.amdhsa_tg_split 0
		.amdhsa_exception_fp_ieee_invalid_op 0
		.amdhsa_exception_fp_denorm_src 0
		.amdhsa_exception_fp_ieee_div_zero 0
		.amdhsa_exception_fp_ieee_overflow 0
		.amdhsa_exception_fp_ieee_underflow 0
		.amdhsa_exception_fp_ieee_inexact 0
		.amdhsa_exception_int_div_zero 0
	.end_amdhsa_kernel
	.section	.text._ZN9rocsolver6v33100L18getri_kernel_smallILi14E19rocblas_complex_numIfEPS3_EEvT1_iilPiilS6_bb,"axG",@progbits,_ZN9rocsolver6v33100L18getri_kernel_smallILi14E19rocblas_complex_numIfEPS3_EEvT1_iilPiilS6_bb,comdat
.Lfunc_end13:
	.size	_ZN9rocsolver6v33100L18getri_kernel_smallILi14E19rocblas_complex_numIfEPS3_EEvT1_iilPiilS6_bb, .Lfunc_end13-_ZN9rocsolver6v33100L18getri_kernel_smallILi14E19rocblas_complex_numIfEPS3_EEvT1_iilPiilS6_bb
                                        ; -- End function
	.section	.AMDGPU.csdata,"",@progbits
; Kernel info:
; codeLenInByte = 14316
; NumSgprs: 29
; NumVgprs: 92
; NumAgprs: 0
; TotalNumVgprs: 92
; ScratchSize: 128
; MemoryBound: 0
; FloatMode: 240
; IeeeMode: 1
; LDSByteSize: 228 bytes/workgroup (compile time only)
; SGPRBlocks: 3
; VGPRBlocks: 11
; NumSGPRsForWavesPerEU: 29
; NumVGPRsForWavesPerEU: 92
; AccumOffset: 92
; Occupancy: 5
; WaveLimiterHint : 1
; COMPUTE_PGM_RSRC2:SCRATCH_EN: 1
; COMPUTE_PGM_RSRC2:USER_SGPR: 8
; COMPUTE_PGM_RSRC2:TRAP_HANDLER: 0
; COMPUTE_PGM_RSRC2:TGID_X_EN: 1
; COMPUTE_PGM_RSRC2:TGID_Y_EN: 0
; COMPUTE_PGM_RSRC2:TGID_Z_EN: 0
; COMPUTE_PGM_RSRC2:TIDIG_COMP_CNT: 0
; COMPUTE_PGM_RSRC3_GFX90A:ACCUM_OFFSET: 22
; COMPUTE_PGM_RSRC3_GFX90A:TG_SPLIT: 0
	.section	.text._ZN9rocsolver6v33100L18getri_kernel_smallILi15E19rocblas_complex_numIfEPS3_EEvT1_iilPiilS6_bb,"axG",@progbits,_ZN9rocsolver6v33100L18getri_kernel_smallILi15E19rocblas_complex_numIfEPS3_EEvT1_iilPiilS6_bb,comdat
	.globl	_ZN9rocsolver6v33100L18getri_kernel_smallILi15E19rocblas_complex_numIfEPS3_EEvT1_iilPiilS6_bb ; -- Begin function _ZN9rocsolver6v33100L18getri_kernel_smallILi15E19rocblas_complex_numIfEPS3_EEvT1_iilPiilS6_bb
	.p2align	8
	.type	_ZN9rocsolver6v33100L18getri_kernel_smallILi15E19rocblas_complex_numIfEPS3_EEvT1_iilPiilS6_bb,@function
_ZN9rocsolver6v33100L18getri_kernel_smallILi15E19rocblas_complex_numIfEPS3_EEvT1_iilPiilS6_bb: ; @_ZN9rocsolver6v33100L18getri_kernel_smallILi15E19rocblas_complex_numIfEPS3_EEvT1_iilPiilS6_bb
; %bb.0:
	s_add_u32 flat_scratch_lo, s6, s9
	s_addc_u32 flat_scratch_hi, s7, 0
	s_add_u32 s0, s0, s9
	s_addc_u32 s1, s1, 0
	v_cmp_gt_u32_e32 vcc, 15, v0
	s_and_saveexec_b64 s[6:7], vcc
	s_cbranch_execz .LBB14_74
; %bb.1:
	s_load_dword s22, s[4:5], 0x38
	s_load_dwordx4 s[16:19], s[4:5], 0x10
	s_load_dwordx4 s[12:15], s[4:5], 0x28
                                        ; implicit-def: $sgpr10_sgpr11
	s_waitcnt lgkmcnt(0)
	s_bitcmp1_b32 s22, 8
	s_cselect_b64 s[20:21], -1, 0
	s_ashr_i32 s9, s8, 31
	s_bfe_u32 s6, s22, 0x10008
	s_cmp_eq_u32 s6, 0
	s_cbranch_scc1 .LBB14_3
; %bb.2:
	s_load_dword s6, s[4:5], 0x20
	s_mul_i32 s7, s8, s13
	s_mul_hi_u32 s10, s8, s12
	s_mul_i32 s11, s9, s12
	s_add_i32 s10, s10, s7
	s_add_i32 s11, s10, s11
	s_mul_i32 s10, s8, s12
	s_waitcnt lgkmcnt(0)
	s_ashr_i32 s7, s6, 31
	s_lshl_b64 s[10:11], s[10:11], 2
	s_add_u32 s10, s18, s10
	s_addc_u32 s11, s19, s11
	s_lshl_b64 s[6:7], s[6:7], 2
	s_add_u32 s10, s10, s6
	s_addc_u32 s11, s11, s7
.LBB14_3:
	s_load_dwordx4 s[4:7], s[4:5], 0x0
	s_mul_i32 s12, s8, s17
	s_mul_hi_u32 s13, s8, s16
	s_add_i32 s17, s13, s12
	v_lshlrev_b32_e32 v36, 3, v0
	s_waitcnt lgkmcnt(0)
	s_ashr_i32 s13, s6, 31
	s_mov_b32 s12, s6
	s_mul_i32 s6, s9, s16
	s_add_i32 s17, s17, s6
	s_mul_i32 s16, s8, s16
	s_lshl_b64 s[16:17], s[16:17], 3
	s_add_u32 s6, s4, s16
	s_addc_u32 s16, s5, s17
	s_lshl_b64 s[4:5], s[12:13], 3
	s_add_u32 s4, s6, s4
	s_addc_u32 s5, s16, s5
	v_mov_b32_e32 v1, s5
	v_add_co_u32_e32 v2, vcc, s4, v36
	s_ashr_i32 s13, s7, 31
	s_mov_b32 s12, s7
	s_add_i32 s6, s7, s7
	v_addc_co_u32_e32 v3, vcc, 0, v1, vcc
	s_lshl_b64 s[12:13], s[12:13], 3
	v_add_u32_e32 v8, s6, v0
	v_mov_b32_e32 v1, s13
	v_add_co_u32_e32 v4, vcc, s12, v2
	v_ashrrev_i32_e32 v9, 31, v8
	v_addc_co_u32_e32 v5, vcc, v3, v1, vcc
	v_lshlrev_b64 v[6:7], 3, v[8:9]
	v_add_u32_e32 v10, s7, v8
	v_mov_b32_e32 v1, s5
	v_add_co_u32_e32 v6, vcc, s4, v6
	v_ashrrev_i32_e32 v11, 31, v10
	v_addc_co_u32_e32 v7, vcc, v1, v7, vcc
	v_lshlrev_b64 v[8:9], 3, v[10:11]
	v_add_u32_e32 v12, s7, v10
	v_add_co_u32_e32 v8, vcc, s4, v8
	v_ashrrev_i32_e32 v13, 31, v12
	v_addc_co_u32_e32 v9, vcc, v1, v9, vcc
	v_lshlrev_b64 v[10:11], 3, v[12:13]
	v_add_u32_e32 v14, s7, v12
	;; [unrolled: 5-line block ×10, first 2 shown]
	v_add_co_u32_e32 v26, vcc, s4, v26
	v_ashrrev_i32_e32 v31, 31, v30
	v_addc_co_u32_e32 v27, vcc, v1, v27, vcc
	v_lshlrev_b64 v[28:29], 3, v[30:31]
	v_add_co_u32_e32 v28, vcc, s4, v28
	global_load_dwordx2 v[32:33], v36, s[4:5]
	global_load_dwordx2 v[34:35], v[4:5], off
	global_load_dwordx2 v[38:39], v[6:7], off
	;; [unrolled: 1-line block ×8, first 2 shown]
	v_addc_co_u32_e32 v29, vcc, v1, v29, vcc
	global_load_dwordx2 v[52:53], v[20:21], off
	global_load_dwordx2 v[54:55], v[22:23], off
	;; [unrolled: 1-line block ×5, first 2 shown]
	v_add_u32_e32 v30, s7, v30
	v_ashrrev_i32_e32 v31, 31, v30
	v_lshlrev_b64 v[30:31], 3, v[30:31]
	v_add_co_u32_e32 v30, vcc, s4, v30
	v_addc_co_u32_e32 v31, vcc, v1, v31, vcc
	global_load_dwordx2 v[62:63], v[30:31], off
	s_bitcmp0_b32 s22, 0
	s_mov_b64 s[6:7], -1
	s_waitcnt vmcnt(14)
	buffer_store_dword v33, off, s[0:3], 0 offset:4
	buffer_store_dword v32, off, s[0:3], 0
	s_waitcnt vmcnt(15)
	buffer_store_dword v35, off, s[0:3], 0 offset:12
	buffer_store_dword v34, off, s[0:3], 0 offset:8
	s_waitcnt vmcnt(16)
	buffer_store_dword v39, off, s[0:3], 0 offset:20
	buffer_store_dword v38, off, s[0:3], 0 offset:16
	;; [unrolled: 3-line block ×14, first 2 shown]
	s_cbranch_scc1 .LBB14_72
; %bb.4:
	v_cmp_eq_u32_e64 s[4:5], 0, v0
	s_and_saveexec_b64 s[6:7], s[4:5]
	s_cbranch_execz .LBB14_6
; %bb.5:
	v_mov_b32_e32 v1, 0
	ds_write_b32 v1, v1 offset:120
.LBB14_6:
	s_or_b64 exec, exec, s[6:7]
	v_mov_b32_e32 v1, 0
	v_lshl_add_u32 v37, v0, 3, v1
	s_waitcnt lgkmcnt(0)
	; wave barrier
	s_waitcnt lgkmcnt(0)
	buffer_load_dword v1, v37, s[0:3], 0 offen
	buffer_load_dword v32, v37, s[0:3], 0 offen offset:4
	s_waitcnt vmcnt(1)
	v_cmp_eq_f32_e32 vcc, 0, v1
	s_waitcnt vmcnt(0)
	v_cmp_eq_f32_e64 s[6:7], 0, v32
	s_and_b64 s[6:7], vcc, s[6:7]
	s_and_saveexec_b64 s[12:13], s[6:7]
	s_cbranch_execz .LBB14_10
; %bb.7:
	v_mov_b32_e32 v1, 0
	ds_read_b32 v33, v1 offset:120
	v_add_u32_e32 v32, 1, v0
	s_waitcnt lgkmcnt(0)
	v_readfirstlane_b32 s6, v33
	s_cmp_eq_u32 s6, 0
	s_cselect_b64 s[16:17], -1, 0
	v_cmp_gt_i32_e32 vcc, s6, v32
	s_or_b64 s[16:17], s[16:17], vcc
	s_and_b64 exec, exec, s[16:17]
	s_cbranch_execz .LBB14_10
; %bb.8:
	s_mov_b64 s[16:17], 0
	v_mov_b32_e32 v33, s6
.LBB14_9:                               ; =>This Inner Loop Header: Depth=1
	ds_cmpst_rtn_b32 v33, v1, v33, v32 offset:120
	s_waitcnt lgkmcnt(0)
	v_cmp_ne_u32_e32 vcc, 0, v33
	v_cmp_le_i32_e64 s[6:7], v33, v32
	s_and_b64 s[6:7], vcc, s[6:7]
	s_and_b64 s[6:7], exec, s[6:7]
	s_or_b64 s[16:17], s[6:7], s[16:17]
	s_andn2_b64 exec, exec, s[16:17]
	s_cbranch_execnz .LBB14_9
.LBB14_10:
	s_or_b64 exec, exec, s[12:13]
	v_mov_b32_e32 v32, 0
	s_waitcnt lgkmcnt(0)
	; wave barrier
	ds_read_b32 v1, v32 offset:120
	s_and_saveexec_b64 s[6:7], s[4:5]
	s_cbranch_execz .LBB14_12
; %bb.11:
	s_lshl_b64 s[12:13], s[8:9], 2
	s_add_u32 s12, s14, s12
	s_addc_u32 s13, s15, s13
	s_waitcnt lgkmcnt(0)
	global_store_dword v32, v1, s[12:13]
.LBB14_12:
	s_or_b64 exec, exec, s[6:7]
	s_waitcnt lgkmcnt(0)
	v_cmp_ne_u32_e32 vcc, 0, v1
	s_mov_b64 s[6:7], 0
	s_cbranch_vccnz .LBB14_72
; %bb.13:
	buffer_load_dword v38, v37, s[0:3], 0 offen offset:4
	buffer_load_dword v33, v37, s[0:3], 0 offen
	s_waitcnt vmcnt(1)
	v_cmp_gt_f32_e32 vcc, 0, v38
	v_cndmask_b32_e64 v1, v38, -v38, vcc
	s_waitcnt vmcnt(0)
	v_cmp_gt_f32_e32 vcc, 0, v33
	v_cndmask_b32_e64 v32, v33, -v33, vcc
	v_cmp_ngt_f32_e32 vcc, v32, v1
                                        ; implicit-def: $vgpr1
                                        ; implicit-def: $vgpr32
	s_and_saveexec_b64 s[6:7], vcc
	s_xor_b64 s[6:7], exec, s[6:7]
                                        ; implicit-def: $vgpr34_vgpr35
	s_cbranch_execz .LBB14_15
; %bb.14:
	v_div_scale_f32 v1, s[12:13], v38, v38, v33
	v_rcp_f32_e32 v32, v1
	v_div_scale_f32 v34, vcc, v33, v38, v33
	v_fma_f32 v35, -v1, v32, 1.0
	v_fmac_f32_e32 v32, v35, v32
	v_mul_f32_e32 v35, v34, v32
	v_fma_f32 v39, -v1, v35, v34
	v_fmac_f32_e32 v35, v39, v32
	v_fma_f32 v1, -v1, v35, v34
	v_div_fmas_f32 v1, v1, v32, v35
	v_div_fixup_f32 v32, v1, v38, v33
	v_fmac_f32_e32 v38, v33, v32
	v_div_scale_f32 v1, s[12:13], v38, v38, -1.0
	v_rcp_f32_e32 v33, v1
	v_fma_f32 v34, -v1, v33, 1.0
	v_fmac_f32_e32 v33, v34, v33
	v_div_scale_f32 v34, vcc, -1.0, v38, -1.0
	v_mul_f32_e32 v35, v34, v33
	v_fma_f32 v39, -v1, v35, v34
	v_fmac_f32_e32 v35, v39, v33
	v_fma_f32 v1, -v1, v35, v34
	v_div_fmas_f32 v1, v1, v33, v35
	v_div_fixup_f32 v1, v1, v38, -1.0
	v_mul_f32_e32 v32, v32, v1
	v_xor_b32_e32 v34, 0x80000000, v32
                                        ; implicit-def: $vgpr33
                                        ; implicit-def: $vgpr38
.LBB14_15:
	s_andn2_saveexec_b64 s[6:7], s[6:7]
	s_cbranch_execz .LBB14_17
; %bb.16:
	v_div_scale_f32 v1, s[12:13], v33, v33, v38
	v_rcp_f32_e32 v32, v1
	v_div_scale_f32 v34, vcc, v38, v33, v38
	v_fma_f32 v35, -v1, v32, 1.0
	v_fmac_f32_e32 v32, v35, v32
	v_mul_f32_e32 v35, v34, v32
	v_fma_f32 v39, -v1, v35, v34
	v_fmac_f32_e32 v35, v39, v32
	v_fma_f32 v1, -v1, v35, v34
	v_div_fmas_f32 v1, v1, v32, v35
	v_div_fixup_f32 v1, v1, v33, v38
	v_fmac_f32_e32 v33, v38, v1
	v_div_scale_f32 v32, s[12:13], v33, v33, 1.0
	v_rcp_f32_e32 v34, v32
	v_fma_f32 v35, -v32, v34, 1.0
	v_fmac_f32_e32 v34, v35, v34
	v_div_scale_f32 v35, vcc, 1.0, v33, 1.0
	v_mul_f32_e32 v38, v35, v34
	v_fma_f32 v39, -v32, v38, v35
	v_fmac_f32_e32 v38, v39, v34
	v_fma_f32 v32, -v32, v38, v35
	v_div_fmas_f32 v32, v32, v34, v38
	v_div_fixup_f32 v34, v32, v33, 1.0
	v_xor_b32_e32 v32, 0x80000000, v34
	v_mul_f32_e64 v1, v1, -v34
.LBB14_17:
	s_or_b64 exec, exec, s[6:7]
	buffer_store_dword v1, v37, s[0:3], 0 offen offset:4
	buffer_store_dword v34, v37, s[0:3], 0 offen
	buffer_load_dword v35, off, s[0:3], 0 offset:12
	s_nop 0
	buffer_load_dword v34, off, s[0:3], 0 offset:8
	v_xor_b32_e32 v33, 0x80000000, v1
	v_add_u32_e32 v1, 0x80, v36
	s_waitcnt vmcnt(0)
	ds_write2_b64 v36, v[32:33], v[34:35] offset1:16
	s_waitcnt lgkmcnt(0)
	; wave barrier
	s_waitcnt lgkmcnt(0)
	s_and_saveexec_b64 s[6:7], s[4:5]
	s_cbranch_execz .LBB14_19
; %bb.18:
	buffer_load_dword v38, v37, s[0:3], 0 offen offset:4
	buffer_load_dword v39, v37, s[0:3], 0 offen
	ds_read_b64 v[32:33], v1
	v_mov_b32_e32 v34, 0
	ds_read_b64 v[34:35], v34 offset:8
	s_waitcnt vmcnt(1) lgkmcnt(1)
	v_mul_f32_e32 v40, v33, v38
	v_mul_f32_e32 v38, v32, v38
	s_waitcnt vmcnt(0)
	v_fmac_f32_e32 v38, v33, v39
	v_fma_f32 v32, v32, v39, -v40
	v_add_f32_e32 v33, 0, v38
	v_add_f32_e32 v32, 0, v32
	s_waitcnt lgkmcnt(0)
	v_mul_f32_e32 v38, v33, v35
	v_mul_f32_e32 v35, v32, v35
	v_fma_f32 v32, v32, v34, -v38
	v_fmac_f32_e32 v35, v33, v34
	buffer_store_dword v32, off, s[0:3], 0 offset:8
	buffer_store_dword v35, off, s[0:3], 0 offset:12
.LBB14_19:
	s_or_b64 exec, exec, s[6:7]
	s_waitcnt lgkmcnt(0)
	; wave barrier
	buffer_load_dword v32, off, s[0:3], 0 offset:16
	buffer_load_dword v33, off, s[0:3], 0 offset:20
	v_cmp_gt_u32_e32 vcc, 2, v0
	s_waitcnt vmcnt(0)
	ds_write_b64 v1, v[32:33]
	s_waitcnt lgkmcnt(0)
	; wave barrier
	s_waitcnt lgkmcnt(0)
	s_and_saveexec_b64 s[6:7], vcc
	s_cbranch_execz .LBB14_23
; %bb.20:
	buffer_load_dword v34, v37, s[0:3], 0 offen offset:4
	buffer_load_dword v35, v37, s[0:3], 0 offen
	ds_read_b64 v[32:33], v1
	s_waitcnt vmcnt(1) lgkmcnt(0)
	v_mul_f32_e32 v37, v33, v34
	v_mul_f32_e32 v34, v32, v34
	s_waitcnt vmcnt(0)
	v_fma_f32 v32, v32, v35, -v37
	v_fmac_f32_e32 v34, v33, v35
	v_add_f32_e32 v33, 0, v32
	v_add_f32_e32 v32, 0, v34
	s_and_saveexec_b64 s[12:13], s[4:5]
	s_cbranch_execz .LBB14_22
; %bb.21:
	buffer_load_dword v37, off, s[0:3], 0 offset:12
	buffer_load_dword v38, off, s[0:3], 0 offset:8
	v_mov_b32_e32 v34, 0
	ds_read_b64 v[34:35], v34 offset:136
	s_waitcnt vmcnt(1) lgkmcnt(0)
	v_mul_f32_e32 v39, v34, v37
	v_mul_f32_e32 v37, v35, v37
	s_waitcnt vmcnt(0)
	v_fmac_f32_e32 v39, v35, v38
	v_fma_f32 v34, v34, v38, -v37
	v_add_f32_e32 v32, v32, v39
	v_add_f32_e32 v33, v33, v34
.LBB14_22:
	s_or_b64 exec, exec, s[12:13]
	v_mov_b32_e32 v34, 0
	ds_read_b64 v[34:35], v34 offset:16
	s_waitcnt lgkmcnt(0)
	v_mul_f32_e32 v37, v32, v35
	v_mul_f32_e32 v35, v33, v35
	v_fma_f32 v33, v33, v34, -v37
	v_fmac_f32_e32 v35, v32, v34
	buffer_store_dword v33, off, s[0:3], 0 offset:16
	buffer_store_dword v35, off, s[0:3], 0 offset:20
.LBB14_23:
	s_or_b64 exec, exec, s[6:7]
	s_waitcnt lgkmcnt(0)
	; wave barrier
	buffer_load_dword v32, off, s[0:3], 0 offset:24
	buffer_load_dword v33, off, s[0:3], 0 offset:28
	v_cmp_gt_u32_e32 vcc, 3, v0
	s_waitcnt vmcnt(0)
	ds_write_b64 v1, v[32:33]
	v_add_u32_e32 v32, -1, v0
	s_waitcnt lgkmcnt(0)
	; wave barrier
	s_waitcnt lgkmcnt(0)
	s_and_saveexec_b64 s[4:5], vcc
	s_cbranch_execz .LBB14_27
; %bb.24:
	v_add_u32_e32 v34, -1, v0
	v_add_u32_e32 v35, 0x80, v36
	v_add_u32_e32 v37, 0, v36
	s_mov_b64 s[6:7], 0
	v_mov_b32_e32 v33, 0
	v_mov_b32_e32 v38, 0
.LBB14_25:                              ; =>This Inner Loop Header: Depth=1
	buffer_load_dword v39, v37, s[0:3], 0 offen offset:4
	buffer_load_dword v42, v37, s[0:3], 0 offen
	ds_read_b64 v[40:41], v35
	v_add_u32_e32 v34, 1, v34
	v_cmp_lt_u32_e32 vcc, 1, v34
	v_add_u32_e32 v35, 8, v35
	v_add_u32_e32 v37, 8, v37
	s_or_b64 s[6:7], vcc, s[6:7]
	s_waitcnt vmcnt(1) lgkmcnt(0)
	v_mul_f32_e32 v43, v41, v39
	v_mul_f32_e32 v39, v40, v39
	s_waitcnt vmcnt(0)
	v_fma_f32 v40, v40, v42, -v43
	v_fmac_f32_e32 v39, v41, v42
	v_add_f32_e32 v38, v38, v40
	v_add_f32_e32 v33, v33, v39
	s_andn2_b64 exec, exec, s[6:7]
	s_cbranch_execnz .LBB14_25
; %bb.26:
	s_or_b64 exec, exec, s[6:7]
	v_mov_b32_e32 v34, 0
	ds_read_b64 v[34:35], v34 offset:24
	s_waitcnt lgkmcnt(0)
	v_mul_f32_e32 v37, v33, v35
	v_mul_f32_e32 v35, v38, v35
	v_fma_f32 v37, v38, v34, -v37
	v_fmac_f32_e32 v35, v33, v34
	buffer_store_dword v37, off, s[0:3], 0 offset:24
	buffer_store_dword v35, off, s[0:3], 0 offset:28
.LBB14_27:
	s_or_b64 exec, exec, s[4:5]
	s_waitcnt lgkmcnt(0)
	; wave barrier
	buffer_load_dword v34, off, s[0:3], 0 offset:32
	buffer_load_dword v35, off, s[0:3], 0 offset:36
	v_cmp_gt_u32_e32 vcc, 4, v0
	s_waitcnt vmcnt(0)
	ds_write_b64 v1, v[34:35]
	s_waitcnt lgkmcnt(0)
	; wave barrier
	s_waitcnt lgkmcnt(0)
	s_and_saveexec_b64 s[4:5], vcc
	s_cbranch_execz .LBB14_31
; %bb.28:
	v_add_u32_e32 v34, -1, v0
	v_add_u32_e32 v35, 0x80, v36
	v_add_u32_e32 v37, 0, v36
	s_mov_b64 s[6:7], 0
	v_mov_b32_e32 v33, 0
	v_mov_b32_e32 v38, 0
.LBB14_29:                              ; =>This Inner Loop Header: Depth=1
	buffer_load_dword v39, v37, s[0:3], 0 offen offset:4
	buffer_load_dword v42, v37, s[0:3], 0 offen
	ds_read_b64 v[40:41], v35
	v_add_u32_e32 v34, 1, v34
	v_cmp_lt_u32_e32 vcc, 2, v34
	v_add_u32_e32 v35, 8, v35
	v_add_u32_e32 v37, 8, v37
	s_or_b64 s[6:7], vcc, s[6:7]
	s_waitcnt vmcnt(1) lgkmcnt(0)
	v_mul_f32_e32 v43, v41, v39
	v_mul_f32_e32 v39, v40, v39
	s_waitcnt vmcnt(0)
	v_fma_f32 v40, v40, v42, -v43
	v_fmac_f32_e32 v39, v41, v42
	v_add_f32_e32 v38, v38, v40
	v_add_f32_e32 v33, v33, v39
	s_andn2_b64 exec, exec, s[6:7]
	s_cbranch_execnz .LBB14_29
; %bb.30:
	s_or_b64 exec, exec, s[6:7]
	v_mov_b32_e32 v34, 0
	ds_read_b64 v[34:35], v34 offset:32
	s_waitcnt lgkmcnt(0)
	v_mul_f32_e32 v37, v33, v35
	v_mul_f32_e32 v35, v38, v35
	v_fma_f32 v37, v38, v34, -v37
	v_fmac_f32_e32 v35, v33, v34
	buffer_store_dword v37, off, s[0:3], 0 offset:32
	buffer_store_dword v35, off, s[0:3], 0 offset:36
.LBB14_31:
	s_or_b64 exec, exec, s[4:5]
	s_waitcnt lgkmcnt(0)
	; wave barrier
	buffer_load_dword v34, off, s[0:3], 0 offset:40
	buffer_load_dword v35, off, s[0:3], 0 offset:44
	v_cmp_gt_u32_e32 vcc, 5, v0
	s_waitcnt vmcnt(0)
	ds_write_b64 v1, v[34:35]
	;; [unrolled: 51-line block ×10, first 2 shown]
	s_waitcnt lgkmcnt(0)
	; wave barrier
	s_waitcnt lgkmcnt(0)
	s_and_saveexec_b64 s[4:5], vcc
	s_cbranch_execz .LBB14_67
; %bb.64:
	v_add_u32_e32 v34, -1, v0
	v_add_u32_e32 v35, 0x80, v36
	v_add_u32_e32 v37, 0, v36
	s_mov_b64 s[6:7], 0
	v_mov_b32_e32 v33, 0
	v_mov_b32_e32 v38, 0
.LBB14_65:                              ; =>This Inner Loop Header: Depth=1
	buffer_load_dword v39, v37, s[0:3], 0 offen offset:4
	buffer_load_dword v42, v37, s[0:3], 0 offen
	ds_read_b64 v[40:41], v35
	v_add_u32_e32 v34, 1, v34
	v_cmp_lt_u32_e32 vcc, 11, v34
	v_add_u32_e32 v35, 8, v35
	v_add_u32_e32 v37, 8, v37
	s_or_b64 s[6:7], vcc, s[6:7]
	s_waitcnt vmcnt(1) lgkmcnt(0)
	v_mul_f32_e32 v43, v41, v39
	v_mul_f32_e32 v39, v40, v39
	s_waitcnt vmcnt(0)
	v_fma_f32 v40, v40, v42, -v43
	v_fmac_f32_e32 v39, v41, v42
	v_add_f32_e32 v38, v38, v40
	v_add_f32_e32 v33, v33, v39
	s_andn2_b64 exec, exec, s[6:7]
	s_cbranch_execnz .LBB14_65
; %bb.66:
	s_or_b64 exec, exec, s[6:7]
	v_mov_b32_e32 v34, 0
	ds_read_b64 v[34:35], v34 offset:104
	s_waitcnt lgkmcnt(0)
	v_mul_f32_e32 v37, v33, v35
	v_mul_f32_e32 v35, v38, v35
	v_fma_f32 v37, v38, v34, -v37
	v_fmac_f32_e32 v35, v33, v34
	buffer_store_dword v37, off, s[0:3], 0 offset:104
	buffer_store_dword v35, off, s[0:3], 0 offset:108
.LBB14_67:
	s_or_b64 exec, exec, s[4:5]
	s_waitcnt lgkmcnt(0)
	; wave barrier
	buffer_load_dword v34, off, s[0:3], 0 offset:112
	buffer_load_dword v35, off, s[0:3], 0 offset:116
	v_cmp_ne_u32_e32 vcc, 14, v0
	s_waitcnt vmcnt(0)
	ds_write_b64 v1, v[34:35]
	s_waitcnt lgkmcnt(0)
	; wave barrier
	s_waitcnt lgkmcnt(0)
	s_and_saveexec_b64 s[4:5], vcc
	s_cbranch_execz .LBB14_71
; %bb.68:
	v_add_u32_e32 v33, 0x80, v36
	v_add_u32_e32 v34, 0, v36
	s_mov_b64 s[6:7], 0
	v_mov_b32_e32 v1, 0
	v_mov_b32_e32 v35, 0
.LBB14_69:                              ; =>This Inner Loop Header: Depth=1
	buffer_load_dword v38, v34, s[0:3], 0 offen offset:4
	buffer_load_dword v39, v34, s[0:3], 0 offen
	ds_read_b64 v[36:37], v33
	v_add_u32_e32 v32, 1, v32
	v_cmp_lt_u32_e32 vcc, 12, v32
	v_add_u32_e32 v33, 8, v33
	v_add_u32_e32 v34, 8, v34
	s_or_b64 s[6:7], vcc, s[6:7]
	s_waitcnt vmcnt(1) lgkmcnt(0)
	v_mul_f32_e32 v40, v37, v38
	v_mul_f32_e32 v38, v36, v38
	s_waitcnt vmcnt(0)
	v_fma_f32 v36, v36, v39, -v40
	v_fmac_f32_e32 v38, v37, v39
	v_add_f32_e32 v35, v35, v36
	v_add_f32_e32 v1, v1, v38
	s_andn2_b64 exec, exec, s[6:7]
	s_cbranch_execnz .LBB14_69
; %bb.70:
	s_or_b64 exec, exec, s[6:7]
	v_mov_b32_e32 v32, 0
	ds_read_b64 v[32:33], v32 offset:112
	s_waitcnt lgkmcnt(0)
	v_mul_f32_e32 v34, v1, v33
	v_mul_f32_e32 v33, v35, v33
	v_fma_f32 v34, v35, v32, -v34
	v_fmac_f32_e32 v33, v1, v32
	buffer_store_dword v34, off, s[0:3], 0 offset:112
	buffer_store_dword v33, off, s[0:3], 0 offset:116
.LBB14_71:
	s_or_b64 exec, exec, s[4:5]
	s_mov_b64 s[6:7], -1
	s_waitcnt lgkmcnt(0)
	; wave barrier
.LBB14_72:
	s_and_b64 vcc, exec, s[6:7]
	s_cbranch_vccz .LBB14_74
; %bb.73:
	s_lshl_b64 s[4:5], s[8:9], 2
	s_add_u32 s4, s14, s4
	s_addc_u32 s5, s15, s5
	v_mov_b32_e32 v1, 0
	global_load_dword v1, v1, s[4:5]
	s_waitcnt vmcnt(0)
	v_cmp_ne_u32_e32 vcc, 0, v1
	s_cbranch_vccz .LBB14_75
.LBB14_74:
	s_endpgm
.LBB14_75:
	v_mov_b32_e32 v1, 0x80
	v_lshl_add_u32 v1, v0, 3, v1
	v_cmp_eq_u32_e32 vcc, 14, v0
	s_and_saveexec_b64 s[4:5], vcc
	s_cbranch_execz .LBB14_77
; %bb.76:
	buffer_load_dword v32, off, s[0:3], 0 offset:104
	buffer_load_dword v33, off, s[0:3], 0 offset:108
	v_mov_b32_e32 v34, 0
	buffer_store_dword v34, off, s[0:3], 0 offset:104
	buffer_store_dword v34, off, s[0:3], 0 offset:108
	s_waitcnt vmcnt(2)
	ds_write_b64 v1, v[32:33]
.LBB14_77:
	s_or_b64 exec, exec, s[4:5]
	s_waitcnt lgkmcnt(0)
	; wave barrier
	s_waitcnt lgkmcnt(0)
	buffer_load_dword v35, off, s[0:3], 0 offset:116
	buffer_load_dword v34, off, s[0:3], 0 offset:112
	;; [unrolled: 1-line block ×4, first 2 shown]
	v_mov_b32_e32 v32, 0
	ds_read_b64 v[38:39], v32 offset:240
	v_cmp_lt_u32_e32 vcc, 12, v0
	s_waitcnt vmcnt(3)
	v_mov_b32_e32 v40, v35
	s_waitcnt lgkmcnt(0)
	v_pk_mul_f32 v[40:41], v[38:39], v[40:41] op_sel_hi:[1,0]
	s_waitcnt vmcnt(2)
	v_pk_fma_f32 v[42:43], v[38:39], v[34:35], v[40:41] op_sel:[0,0,1] op_sel_hi:[1,1,0] neg_lo:[0,0,1] neg_hi:[0,0,1]
	v_pk_fma_f32 v[34:35], v[38:39], v[34:35], v[40:41] op_sel:[0,0,1] op_sel_hi:[1,0,0]
	v_mov_b32_e32 v43, v35
	v_pk_add_f32 v[34:35], v[42:43], 0 op_sel_hi:[1,0]
	s_waitcnt vmcnt(0)
	v_pk_add_f32 v[34:35], v[36:37], v[34:35] neg_lo:[0,1] neg_hi:[0,1]
	buffer_store_dword v34, off, s[0:3], 0 offset:104
	buffer_store_dword v35, off, s[0:3], 0 offset:108
	s_and_saveexec_b64 s[4:5], vcc
	s_cbranch_execz .LBB14_79
; %bb.78:
	buffer_load_dword v34, off, s[0:3], 0 offset:96
	buffer_load_dword v35, off, s[0:3], 0 offset:100
	s_waitcnt vmcnt(0)
	ds_write_b64 v1, v[34:35]
	buffer_store_dword v32, off, s[0:3], 0 offset:96
	buffer_store_dword v32, off, s[0:3], 0 offset:100
.LBB14_79:
	s_or_b64 exec, exec, s[4:5]
	s_waitcnt lgkmcnt(0)
	; wave barrier
	s_waitcnt lgkmcnt(0)
	buffer_load_dword v37, off, s[0:3], 0 offset:108
	buffer_load_dword v39, off, s[0:3], 0 offset:116
	;; [unrolled: 1-line block ×6, first 2 shown]
	ds_read2_b64 v[32:35], v32 offset0:29 offset1:30
	v_cmp_lt_u32_e32 vcc, 11, v0
	s_waitcnt vmcnt(5)
	v_mov_b32_e32 v42, v37
	s_waitcnt vmcnt(4)
	v_mov_b32_e32 v44, v39
	s_waitcnt lgkmcnt(0)
	v_pk_mul_f32 v[42:43], v[32:33], v[42:43] op_sel_hi:[1,0]
	v_pk_mul_f32 v[44:45], v[34:35], v[44:45] op_sel_hi:[1,0]
	s_waitcnt vmcnt(3)
	v_pk_fma_f32 v[46:47], v[32:33], v[36:37], v[42:43] op_sel:[0,0,1] op_sel_hi:[1,1,0] neg_lo:[0,0,1] neg_hi:[0,0,1]
	v_pk_fma_f32 v[32:33], v[32:33], v[36:37], v[42:43] op_sel:[0,0,1] op_sel_hi:[1,0,0]
	s_waitcnt vmcnt(2)
	v_pk_fma_f32 v[36:37], v[34:35], v[38:39], v[44:45] op_sel:[0,0,1] op_sel_hi:[1,1,0] neg_lo:[0,0,1] neg_hi:[0,0,1]
	v_pk_fma_f32 v[34:35], v[34:35], v[38:39], v[44:45] op_sel:[0,0,1] op_sel_hi:[1,0,0]
	v_mov_b32_e32 v47, v33
	v_mov_b32_e32 v37, v35
	v_pk_add_f32 v[32:33], v[46:47], 0 op_sel_hi:[1,0]
	v_pk_add_f32 v[32:33], v[32:33], v[36:37]
	s_waitcnt vmcnt(0)
	v_pk_add_f32 v[32:33], v[40:41], v[32:33] neg_lo:[0,1] neg_hi:[0,1]
	buffer_store_dword v32, off, s[0:3], 0 offset:96
	buffer_store_dword v33, off, s[0:3], 0 offset:100
	s_and_saveexec_b64 s[4:5], vcc
	s_cbranch_execz .LBB14_81
; %bb.80:
	buffer_load_dword v32, off, s[0:3], 0 offset:88
	buffer_load_dword v33, off, s[0:3], 0 offset:92
	v_mov_b32_e32 v34, 0
	buffer_store_dword v34, off, s[0:3], 0 offset:88
	buffer_store_dword v34, off, s[0:3], 0 offset:92
	s_waitcnt vmcnt(2)
	ds_write_b64 v1, v[32:33]
.LBB14_81:
	s_or_b64 exec, exec, s[4:5]
	s_waitcnt lgkmcnt(0)
	; wave barrier
	s_waitcnt lgkmcnt(0)
	buffer_load_dword v39, off, s[0:3], 0 offset:100
	buffer_load_dword v41, off, s[0:3], 0 offset:108
	;; [unrolled: 1-line block ×8, first 2 shown]
	v_mov_b32_e32 v32, 0
	ds_read_b128 v[34:37], v32 offset:224
	ds_read_b64 v[46:47], v32 offset:240
	v_cmp_lt_u32_e32 vcc, 10, v0
	s_waitcnt vmcnt(7)
	v_mov_b32_e32 v48, v39
	s_waitcnt vmcnt(6)
	v_mov_b32_e32 v50, v41
	s_waitcnt lgkmcnt(1)
	v_pk_mul_f32 v[48:49], v[34:35], v[48:49] op_sel_hi:[1,0]
	s_waitcnt vmcnt(5)
	v_mov_b32_e32 v52, v43
	v_pk_mul_f32 v[50:51], v[36:37], v[50:51] op_sel_hi:[1,0]
	s_waitcnt vmcnt(4)
	v_pk_fma_f32 v[54:55], v[34:35], v[38:39], v[48:49] op_sel:[0,0,1] op_sel_hi:[1,1,0] neg_lo:[0,0,1] neg_hi:[0,0,1]
	v_pk_fma_f32 v[34:35], v[34:35], v[38:39], v[48:49] op_sel:[0,0,1] op_sel_hi:[1,0,0]
	s_waitcnt lgkmcnt(0)
	v_pk_mul_f32 v[52:53], v[46:47], v[52:53] op_sel_hi:[1,0]
	s_waitcnt vmcnt(3)
	v_pk_fma_f32 v[38:39], v[36:37], v[40:41], v[50:51] op_sel:[0,0,1] op_sel_hi:[1,1,0] neg_lo:[0,0,1] neg_hi:[0,0,1]
	v_pk_fma_f32 v[36:37], v[36:37], v[40:41], v[50:51] op_sel:[0,0,1] op_sel_hi:[1,0,0]
	v_mov_b32_e32 v55, v35
	s_waitcnt vmcnt(2)
	v_pk_fma_f32 v[40:41], v[46:47], v[42:43], v[52:53] op_sel:[0,0,1] op_sel_hi:[1,1,0] neg_lo:[0,0,1] neg_hi:[0,0,1]
	v_pk_fma_f32 v[42:43], v[46:47], v[42:43], v[52:53] op_sel:[0,0,1] op_sel_hi:[1,0,0]
	v_mov_b32_e32 v39, v37
	v_pk_add_f32 v[34:35], v[54:55], 0 op_sel_hi:[1,0]
	v_mov_b32_e32 v41, v43
	v_pk_add_f32 v[34:35], v[34:35], v[38:39]
	v_pk_add_f32 v[34:35], v[34:35], v[40:41]
	s_waitcnt vmcnt(0)
	v_pk_add_f32 v[34:35], v[44:45], v[34:35] neg_lo:[0,1] neg_hi:[0,1]
	buffer_store_dword v34, off, s[0:3], 0 offset:88
	buffer_store_dword v35, off, s[0:3], 0 offset:92
	s_and_saveexec_b64 s[4:5], vcc
	s_cbranch_execz .LBB14_83
; %bb.82:
	buffer_load_dword v34, off, s[0:3], 0 offset:80
	buffer_load_dword v35, off, s[0:3], 0 offset:84
	s_waitcnt vmcnt(0)
	ds_write_b64 v1, v[34:35]
	buffer_store_dword v32, off, s[0:3], 0 offset:80
	buffer_store_dword v32, off, s[0:3], 0 offset:84
.LBB14_83:
	s_or_b64 exec, exec, s[4:5]
	s_waitcnt lgkmcnt(0)
	; wave barrier
	s_waitcnt lgkmcnt(0)
	buffer_load_dword v43, off, s[0:3], 0 offset:92
	buffer_load_dword v45, off, s[0:3], 0 offset:100
	;; [unrolled: 1-line block ×10, first 2 shown]
	ds_read2_b64 v[34:37], v32 offset0:27 offset1:28
	ds_read2_b64 v[38:41], v32 offset0:29 offset1:30
	v_cmp_lt_u32_e32 vcc, 9, v0
	s_waitcnt vmcnt(9)
	v_mov_b32_e32 v32, v43
	s_waitcnt vmcnt(8)
	v_mov_b32_e32 v52, v45
	s_waitcnt lgkmcnt(1)
	v_pk_mul_f32 v[32:33], v[34:35], v[32:33] op_sel_hi:[1,0]
	s_waitcnt vmcnt(7)
	v_mov_b32_e32 v54, v47
	v_pk_mul_f32 v[52:53], v[36:37], v[52:53] op_sel_hi:[1,0]
	s_waitcnt vmcnt(5)
	v_pk_fma_f32 v[58:59], v[34:35], v[42:43], v[32:33] op_sel:[0,0,1] op_sel_hi:[1,1,0] neg_lo:[0,0,1] neg_hi:[0,0,1]
	v_pk_fma_f32 v[32:33], v[34:35], v[42:43], v[32:33] op_sel:[0,0,1] op_sel_hi:[1,0,0]
	v_mov_b32_e32 v56, v49
	s_waitcnt lgkmcnt(0)
	v_pk_mul_f32 v[54:55], v[38:39], v[54:55] op_sel_hi:[1,0]
	s_waitcnt vmcnt(4)
	v_pk_fma_f32 v[34:35], v[36:37], v[44:45], v[52:53] op_sel:[0,0,1] op_sel_hi:[1,1,0] neg_lo:[0,0,1] neg_hi:[0,0,1]
	v_pk_fma_f32 v[36:37], v[36:37], v[44:45], v[52:53] op_sel:[0,0,1] op_sel_hi:[1,0,0]
	v_mov_b32_e32 v59, v33
	v_pk_mul_f32 v[56:57], v[40:41], v[56:57] op_sel_hi:[1,0]
	s_waitcnt vmcnt(3)
	v_pk_fma_f32 v[42:43], v[38:39], v[46:47], v[54:55] op_sel:[0,0,1] op_sel_hi:[1,1,0] neg_lo:[0,0,1] neg_hi:[0,0,1]
	v_pk_fma_f32 v[38:39], v[38:39], v[46:47], v[54:55] op_sel:[0,0,1] op_sel_hi:[1,0,0]
	v_mov_b32_e32 v35, v37
	v_pk_add_f32 v[32:33], v[58:59], 0 op_sel_hi:[1,0]
	s_waitcnt vmcnt(2)
	v_pk_fma_f32 v[44:45], v[40:41], v[48:49], v[56:57] op_sel:[0,0,1] op_sel_hi:[1,1,0] neg_lo:[0,0,1] neg_hi:[0,0,1]
	v_pk_fma_f32 v[40:41], v[40:41], v[48:49], v[56:57] op_sel:[0,0,1] op_sel_hi:[1,0,0]
	v_mov_b32_e32 v43, v39
	v_pk_add_f32 v[32:33], v[32:33], v[34:35]
	v_mov_b32_e32 v45, v41
	v_pk_add_f32 v[32:33], v[32:33], v[42:43]
	v_pk_add_f32 v[32:33], v[32:33], v[44:45]
	s_waitcnt vmcnt(0)
	v_pk_add_f32 v[32:33], v[50:51], v[32:33] neg_lo:[0,1] neg_hi:[0,1]
	buffer_store_dword v32, off, s[0:3], 0 offset:80
	buffer_store_dword v33, off, s[0:3], 0 offset:84
	s_and_saveexec_b64 s[4:5], vcc
	s_cbranch_execz .LBB14_85
; %bb.84:
	buffer_load_dword v32, off, s[0:3], 0 offset:72
	buffer_load_dword v33, off, s[0:3], 0 offset:76
	v_mov_b32_e32 v34, 0
	buffer_store_dword v34, off, s[0:3], 0 offset:72
	buffer_store_dword v34, off, s[0:3], 0 offset:76
	s_waitcnt vmcnt(2)
	ds_write_b64 v1, v[32:33]
.LBB14_85:
	s_or_b64 exec, exec, s[4:5]
	s_waitcnt lgkmcnt(0)
	; wave barrier
	s_waitcnt lgkmcnt(0)
	buffer_load_dword v43, off, s[0:3], 0 offset:84
	buffer_load_dword v45, off, s[0:3], 0 offset:92
	buffer_load_dword v47, off, s[0:3], 0 offset:100
	buffer_load_dword v49, off, s[0:3], 0 offset:108
	buffer_load_dword v51, off, s[0:3], 0 offset:116
	buffer_load_dword v42, off, s[0:3], 0 offset:80
	buffer_load_dword v44, off, s[0:3], 0 offset:88
	buffer_load_dword v46, off, s[0:3], 0 offset:96
	buffer_load_dword v48, off, s[0:3], 0 offset:104
	buffer_load_dword v50, off, s[0:3], 0 offset:112
	buffer_load_dword v52, off, s[0:3], 0 offset:72
	buffer_load_dword v53, off, s[0:3], 0 offset:76
	v_mov_b32_e32 v32, 0
	ds_read_b128 v[34:37], v32 offset:208
	ds_read_b128 v[38:41], v32 offset:224
	ds_read_b64 v[54:55], v32 offset:240
	v_cmp_lt_u32_e32 vcc, 8, v0
	s_waitcnt vmcnt(11)
	v_mov_b32_e32 v56, v43
	s_waitcnt vmcnt(10)
	v_mov_b32_e32 v58, v45
	s_waitcnt lgkmcnt(2)
	v_pk_mul_f32 v[56:57], v[34:35], v[56:57] op_sel_hi:[1,0]
	s_waitcnt vmcnt(9)
	v_mov_b32_e32 v60, v47
	v_pk_mul_f32 v[58:59], v[36:37], v[58:59] op_sel_hi:[1,0]
	s_waitcnt vmcnt(6)
	v_pk_fma_f32 v[66:67], v[34:35], v[42:43], v[56:57] op_sel:[0,0,1] op_sel_hi:[1,1,0] neg_lo:[0,0,1] neg_hi:[0,0,1]
	v_pk_fma_f32 v[34:35], v[34:35], v[42:43], v[56:57] op_sel:[0,0,1] op_sel_hi:[1,0,0]
	v_mov_b32_e32 v62, v49
	s_waitcnt lgkmcnt(1)
	v_pk_mul_f32 v[60:61], v[38:39], v[60:61] op_sel_hi:[1,0]
	s_waitcnt vmcnt(5)
	v_pk_fma_f32 v[42:43], v[36:37], v[44:45], v[58:59] op_sel:[0,0,1] op_sel_hi:[1,1,0] neg_lo:[0,0,1] neg_hi:[0,0,1]
	v_pk_fma_f32 v[36:37], v[36:37], v[44:45], v[58:59] op_sel:[0,0,1] op_sel_hi:[1,0,0]
	v_mov_b32_e32 v67, v35
	v_mov_b32_e32 v64, v51
	v_pk_mul_f32 v[62:63], v[40:41], v[62:63] op_sel_hi:[1,0]
	s_waitcnt vmcnt(4)
	v_pk_fma_f32 v[44:45], v[38:39], v[46:47], v[60:61] op_sel:[0,0,1] op_sel_hi:[1,1,0] neg_lo:[0,0,1] neg_hi:[0,0,1]
	v_pk_fma_f32 v[38:39], v[38:39], v[46:47], v[60:61] op_sel:[0,0,1] op_sel_hi:[1,0,0]
	v_mov_b32_e32 v43, v37
	v_pk_add_f32 v[34:35], v[66:67], 0 op_sel_hi:[1,0]
	s_waitcnt lgkmcnt(0)
	v_pk_mul_f32 v[64:65], v[54:55], v[64:65] op_sel_hi:[1,0]
	s_waitcnt vmcnt(3)
	v_pk_fma_f32 v[46:47], v[40:41], v[48:49], v[62:63] op_sel:[0,0,1] op_sel_hi:[1,1,0] neg_lo:[0,0,1] neg_hi:[0,0,1]
	v_pk_fma_f32 v[40:41], v[40:41], v[48:49], v[62:63] op_sel:[0,0,1] op_sel_hi:[1,0,0]
	v_mov_b32_e32 v45, v39
	v_pk_add_f32 v[34:35], v[34:35], v[42:43]
	s_waitcnt vmcnt(2)
	v_pk_fma_f32 v[48:49], v[54:55], v[50:51], v[64:65] op_sel:[0,0,1] op_sel_hi:[1,1,0] neg_lo:[0,0,1] neg_hi:[0,0,1]
	v_pk_fma_f32 v[50:51], v[54:55], v[50:51], v[64:65] op_sel:[0,0,1] op_sel_hi:[1,0,0]
	v_mov_b32_e32 v47, v41
	v_pk_add_f32 v[34:35], v[34:35], v[44:45]
	v_mov_b32_e32 v49, v51
	v_pk_add_f32 v[34:35], v[34:35], v[46:47]
	v_pk_add_f32 v[34:35], v[34:35], v[48:49]
	s_waitcnt vmcnt(0)
	v_pk_add_f32 v[34:35], v[52:53], v[34:35] neg_lo:[0,1] neg_hi:[0,1]
	buffer_store_dword v34, off, s[0:3], 0 offset:72
	buffer_store_dword v35, off, s[0:3], 0 offset:76
	s_and_saveexec_b64 s[4:5], vcc
	s_cbranch_execz .LBB14_87
; %bb.86:
	buffer_load_dword v34, off, s[0:3], 0 offset:64
	buffer_load_dword v35, off, s[0:3], 0 offset:68
	s_waitcnt vmcnt(0)
	ds_write_b64 v1, v[34:35]
	buffer_store_dword v32, off, s[0:3], 0 offset:64
	buffer_store_dword v32, off, s[0:3], 0 offset:68
.LBB14_87:
	s_or_b64 exec, exec, s[4:5]
	s_waitcnt lgkmcnt(0)
	; wave barrier
	s_waitcnt lgkmcnt(0)
	buffer_load_dword v47, off, s[0:3], 0 offset:76
	buffer_load_dword v49, off, s[0:3], 0 offset:84
	;; [unrolled: 1-line block ×14, first 2 shown]
	ds_read2_b64 v[34:37], v32 offset0:25 offset1:26
	ds_read2_b64 v[38:41], v32 offset0:27 offset1:28
	;; [unrolled: 1-line block ×3, first 2 shown]
	v_cmp_lt_u32_e32 vcc, 7, v0
	s_waitcnt vmcnt(13)
	v_mov_b32_e32 v32, v47
	s_waitcnt vmcnt(12)
	v_mov_b32_e32 v60, v49
	s_waitcnt lgkmcnt(2)
	v_pk_mul_f32 v[32:33], v[34:35], v[32:33] op_sel_hi:[1,0]
	s_waitcnt vmcnt(11)
	v_mov_b32_e32 v62, v51
	v_pk_mul_f32 v[60:61], v[36:37], v[60:61] op_sel_hi:[1,0]
	s_waitcnt vmcnt(10)
	v_mov_b32_e32 v64, v53
	s_waitcnt vmcnt(7)
	v_pk_fma_f32 v[70:71], v[34:35], v[46:47], v[32:33] op_sel:[0,0,1] op_sel_hi:[1,1,0] neg_lo:[0,0,1] neg_hi:[0,0,1]
	v_pk_fma_f32 v[32:33], v[34:35], v[46:47], v[32:33] op_sel:[0,0,1] op_sel_hi:[1,0,0]
	s_waitcnt lgkmcnt(1)
	v_pk_mul_f32 v[62:63], v[38:39], v[62:63] op_sel_hi:[1,0]
	s_waitcnt vmcnt(6)
	v_pk_fma_f32 v[34:35], v[36:37], v[48:49], v[60:61] op_sel:[0,0,1] op_sel_hi:[1,1,0] neg_lo:[0,0,1] neg_hi:[0,0,1]
	v_pk_fma_f32 v[36:37], v[36:37], v[48:49], v[60:61] op_sel:[0,0,1] op_sel_hi:[1,0,0]
	v_mov_b32_e32 v71, v33
	v_mov_b32_e32 v66, v55
	v_pk_mul_f32 v[64:65], v[40:41], v[64:65] op_sel_hi:[1,0]
	s_waitcnt vmcnt(5)
	v_pk_fma_f32 v[46:47], v[38:39], v[50:51], v[62:63] op_sel:[0,0,1] op_sel_hi:[1,1,0] neg_lo:[0,0,1] neg_hi:[0,0,1]
	v_pk_fma_f32 v[38:39], v[38:39], v[50:51], v[62:63] op_sel:[0,0,1] op_sel_hi:[1,0,0]
	v_mov_b32_e32 v35, v37
	v_pk_add_f32 v[32:33], v[70:71], 0 op_sel_hi:[1,0]
	v_mov_b32_e32 v68, v57
	s_waitcnt lgkmcnt(0)
	v_pk_mul_f32 v[66:67], v[42:43], v[66:67] op_sel_hi:[1,0]
	s_waitcnt vmcnt(4)
	v_pk_fma_f32 v[48:49], v[40:41], v[52:53], v[64:65] op_sel:[0,0,1] op_sel_hi:[1,1,0] neg_lo:[0,0,1] neg_hi:[0,0,1]
	v_pk_fma_f32 v[40:41], v[40:41], v[52:53], v[64:65] op_sel:[0,0,1] op_sel_hi:[1,0,0]
	v_mov_b32_e32 v47, v39
	v_pk_add_f32 v[32:33], v[32:33], v[34:35]
	v_pk_mul_f32 v[68:69], v[44:45], v[68:69] op_sel_hi:[1,0]
	s_waitcnt vmcnt(3)
	v_pk_fma_f32 v[50:51], v[42:43], v[54:55], v[66:67] op_sel:[0,0,1] op_sel_hi:[1,1,0] neg_lo:[0,0,1] neg_hi:[0,0,1]
	v_pk_fma_f32 v[42:43], v[42:43], v[54:55], v[66:67] op_sel:[0,0,1] op_sel_hi:[1,0,0]
	v_mov_b32_e32 v49, v41
	v_pk_add_f32 v[32:33], v[32:33], v[46:47]
	s_waitcnt vmcnt(2)
	v_pk_fma_f32 v[52:53], v[44:45], v[56:57], v[68:69] op_sel:[0,0,1] op_sel_hi:[1,1,0] neg_lo:[0,0,1] neg_hi:[0,0,1]
	v_pk_fma_f32 v[44:45], v[44:45], v[56:57], v[68:69] op_sel:[0,0,1] op_sel_hi:[1,0,0]
	v_mov_b32_e32 v51, v43
	v_pk_add_f32 v[32:33], v[32:33], v[48:49]
	v_mov_b32_e32 v53, v45
	v_pk_add_f32 v[32:33], v[32:33], v[50:51]
	v_pk_add_f32 v[32:33], v[32:33], v[52:53]
	s_waitcnt vmcnt(0)
	v_pk_add_f32 v[32:33], v[58:59], v[32:33] neg_lo:[0,1] neg_hi:[0,1]
	buffer_store_dword v32, off, s[0:3], 0 offset:64
	buffer_store_dword v33, off, s[0:3], 0 offset:68
	s_and_saveexec_b64 s[4:5], vcc
	s_cbranch_execz .LBB14_89
; %bb.88:
	buffer_load_dword v32, off, s[0:3], 0 offset:56
	buffer_load_dword v33, off, s[0:3], 0 offset:60
	v_mov_b32_e32 v34, 0
	buffer_store_dword v34, off, s[0:3], 0 offset:56
	buffer_store_dword v34, off, s[0:3], 0 offset:60
	s_waitcnt vmcnt(2)
	ds_write_b64 v1, v[32:33]
.LBB14_89:
	s_or_b64 exec, exec, s[4:5]
	s_waitcnt lgkmcnt(0)
	; wave barrier
	s_waitcnt lgkmcnt(0)
	buffer_load_dword v47, off, s[0:3], 0 offset:68
	buffer_load_dword v49, off, s[0:3], 0 offset:76
	;; [unrolled: 1-line block ×16, first 2 shown]
	v_mov_b32_e32 v32, 0
	ds_read_b128 v[34:37], v32 offset:192
	ds_read_b128 v[38:41], v32 offset:208
	;; [unrolled: 1-line block ×3, first 2 shown]
	ds_read_b64 v[62:63], v32 offset:240
	v_cmp_lt_u32_e32 vcc, 6, v0
	s_waitcnt vmcnt(15)
	v_mov_b32_e32 v64, v47
	s_waitcnt vmcnt(14)
	v_mov_b32_e32 v66, v49
	s_waitcnt lgkmcnt(3)
	v_pk_mul_f32 v[64:65], v[34:35], v[64:65] op_sel_hi:[1,0]
	s_waitcnt vmcnt(13)
	v_mov_b32_e32 v68, v51
	v_pk_mul_f32 v[66:67], v[36:37], v[66:67] op_sel_hi:[1,0]
	s_waitcnt vmcnt(12)
	v_mov_b32_e32 v70, v53
	s_waitcnt lgkmcnt(2)
	v_pk_mul_f32 v[68:69], v[38:39], v[68:69] op_sel_hi:[1,0]
	s_waitcnt vmcnt(8)
	v_pk_fma_f32 v[78:79], v[34:35], v[46:47], v[64:65] op_sel:[0,0,1] op_sel_hi:[1,1,0] neg_lo:[0,0,1] neg_hi:[0,0,1]
	v_pk_fma_f32 v[34:35], v[34:35], v[46:47], v[64:65] op_sel:[0,0,1] op_sel_hi:[1,0,0]
	s_waitcnt vmcnt(7)
	v_pk_fma_f32 v[46:47], v[36:37], v[48:49], v[66:67] op_sel:[0,0,1] op_sel_hi:[1,1,0] neg_lo:[0,0,1] neg_hi:[0,0,1]
	v_pk_fma_f32 v[36:37], v[36:37], v[48:49], v[66:67] op_sel:[0,0,1] op_sel_hi:[1,0,0]
	v_mov_b32_e32 v79, v35
	v_mov_b32_e32 v72, v55
	v_pk_mul_f32 v[70:71], v[40:41], v[70:71] op_sel_hi:[1,0]
	s_waitcnt vmcnt(6)
	v_pk_fma_f32 v[48:49], v[38:39], v[50:51], v[68:69] op_sel:[0,0,1] op_sel_hi:[1,1,0] neg_lo:[0,0,1] neg_hi:[0,0,1]
	v_pk_fma_f32 v[38:39], v[38:39], v[50:51], v[68:69] op_sel:[0,0,1] op_sel_hi:[1,0,0]
	v_mov_b32_e32 v47, v37
	v_pk_add_f32 v[34:35], v[78:79], 0 op_sel_hi:[1,0]
	v_mov_b32_e32 v74, v57
	s_waitcnt lgkmcnt(1)
	v_pk_mul_f32 v[72:73], v[42:43], v[72:73] op_sel_hi:[1,0]
	s_waitcnt vmcnt(5)
	v_pk_fma_f32 v[50:51], v[40:41], v[52:53], v[70:71] op_sel:[0,0,1] op_sel_hi:[1,1,0] neg_lo:[0,0,1] neg_hi:[0,0,1]
	v_pk_fma_f32 v[40:41], v[40:41], v[52:53], v[70:71] op_sel:[0,0,1] op_sel_hi:[1,0,0]
	v_mov_b32_e32 v49, v39
	v_pk_add_f32 v[34:35], v[34:35], v[46:47]
	v_mov_b32_e32 v76, v59
	v_pk_mul_f32 v[74:75], v[44:45], v[74:75] op_sel_hi:[1,0]
	s_waitcnt vmcnt(4)
	v_pk_fma_f32 v[52:53], v[42:43], v[54:55], v[72:73] op_sel:[0,0,1] op_sel_hi:[1,1,0] neg_lo:[0,0,1] neg_hi:[0,0,1]
	v_pk_fma_f32 v[42:43], v[42:43], v[54:55], v[72:73] op_sel:[0,0,1] op_sel_hi:[1,0,0]
	v_mov_b32_e32 v51, v41
	v_pk_add_f32 v[34:35], v[34:35], v[48:49]
	s_waitcnt lgkmcnt(0)
	v_pk_mul_f32 v[76:77], v[62:63], v[76:77] op_sel_hi:[1,0]
	s_waitcnt vmcnt(3)
	v_pk_fma_f32 v[54:55], v[44:45], v[56:57], v[74:75] op_sel:[0,0,1] op_sel_hi:[1,1,0] neg_lo:[0,0,1] neg_hi:[0,0,1]
	v_pk_fma_f32 v[44:45], v[44:45], v[56:57], v[74:75] op_sel:[0,0,1] op_sel_hi:[1,0,0]
	v_mov_b32_e32 v53, v43
	v_pk_add_f32 v[34:35], v[34:35], v[50:51]
	s_waitcnt vmcnt(2)
	v_pk_fma_f32 v[56:57], v[62:63], v[58:59], v[76:77] op_sel:[0,0,1] op_sel_hi:[1,1,0] neg_lo:[0,0,1] neg_hi:[0,0,1]
	v_pk_fma_f32 v[58:59], v[62:63], v[58:59], v[76:77] op_sel:[0,0,1] op_sel_hi:[1,0,0]
	v_mov_b32_e32 v55, v45
	v_pk_add_f32 v[34:35], v[34:35], v[52:53]
	v_mov_b32_e32 v57, v59
	v_pk_add_f32 v[34:35], v[34:35], v[54:55]
	v_pk_add_f32 v[34:35], v[34:35], v[56:57]
	s_waitcnt vmcnt(0)
	v_pk_add_f32 v[34:35], v[60:61], v[34:35] neg_lo:[0,1] neg_hi:[0,1]
	buffer_store_dword v34, off, s[0:3], 0 offset:56
	buffer_store_dword v35, off, s[0:3], 0 offset:60
	s_and_saveexec_b64 s[4:5], vcc
	s_cbranch_execz .LBB14_91
; %bb.90:
	buffer_load_dword v34, off, s[0:3], 0 offset:48
	buffer_load_dword v35, off, s[0:3], 0 offset:52
	s_waitcnt vmcnt(0)
	ds_write_b64 v1, v[34:35]
	buffer_store_dword v32, off, s[0:3], 0 offset:48
	buffer_store_dword v32, off, s[0:3], 0 offset:52
.LBB14_91:
	s_or_b64 exec, exec, s[4:5]
	s_waitcnt lgkmcnt(0)
	; wave barrier
	s_waitcnt lgkmcnt(0)
	buffer_load_dword v51, off, s[0:3], 0 offset:60
	buffer_load_dword v53, off, s[0:3], 0 offset:68
	;; [unrolled: 1-line block ×18, first 2 shown]
	ds_read2_b64 v[34:37], v32 offset0:23 offset1:24
	ds_read2_b64 v[38:41], v32 offset0:25 offset1:26
	;; [unrolled: 1-line block ×4, first 2 shown]
	v_cmp_lt_u32_e32 vcc, 5, v0
	s_waitcnt vmcnt(17)
	v_mov_b32_e32 v32, v51
	s_waitcnt vmcnt(16)
	v_mov_b32_e32 v68, v53
	s_waitcnt lgkmcnt(3)
	v_pk_mul_f32 v[32:33], v[34:35], v[32:33] op_sel_hi:[1,0]
	s_waitcnt vmcnt(15)
	v_mov_b32_e32 v70, v55
	v_pk_mul_f32 v[68:69], v[36:37], v[68:69] op_sel_hi:[1,0]
	s_waitcnt vmcnt(14)
	v_mov_b32_e32 v72, v57
	s_waitcnt lgkmcnt(2)
	v_pk_mul_f32 v[70:71], v[38:39], v[70:71] op_sel_hi:[1,0]
	s_waitcnt vmcnt(13)
	v_mov_b32_e32 v74, v59
	s_waitcnt vmcnt(9)
	v_pk_fma_f32 v[82:83], v[34:35], v[50:51], v[32:33] op_sel:[0,0,1] op_sel_hi:[1,1,0] neg_lo:[0,0,1] neg_hi:[0,0,1]
	v_pk_fma_f32 v[32:33], v[34:35], v[50:51], v[32:33] op_sel:[0,0,1] op_sel_hi:[1,0,0]
	s_waitcnt vmcnt(8)
	v_pk_fma_f32 v[34:35], v[36:37], v[52:53], v[68:69] op_sel:[0,0,1] op_sel_hi:[1,1,0] neg_lo:[0,0,1] neg_hi:[0,0,1]
	v_pk_fma_f32 v[36:37], v[36:37], v[52:53], v[68:69] op_sel:[0,0,1] op_sel_hi:[1,0,0]
	v_mov_b32_e32 v83, v33
	v_pk_mul_f32 v[72:73], v[40:41], v[72:73] op_sel_hi:[1,0]
	s_waitcnt vmcnt(7)
	v_pk_fma_f32 v[50:51], v[38:39], v[54:55], v[70:71] op_sel:[0,0,1] op_sel_hi:[1,1,0] neg_lo:[0,0,1] neg_hi:[0,0,1]
	v_pk_fma_f32 v[38:39], v[38:39], v[54:55], v[70:71] op_sel:[0,0,1] op_sel_hi:[1,0,0]
	v_mov_b32_e32 v35, v37
	v_pk_add_f32 v[32:33], v[82:83], 0 op_sel_hi:[1,0]
	v_mov_b32_e32 v76, v61
	s_waitcnt lgkmcnt(1)
	v_pk_mul_f32 v[74:75], v[42:43], v[74:75] op_sel_hi:[1,0]
	s_waitcnt vmcnt(6)
	v_pk_fma_f32 v[52:53], v[40:41], v[56:57], v[72:73] op_sel:[0,0,1] op_sel_hi:[1,1,0] neg_lo:[0,0,1] neg_hi:[0,0,1]
	v_pk_fma_f32 v[40:41], v[40:41], v[56:57], v[72:73] op_sel:[0,0,1] op_sel_hi:[1,0,0]
	v_mov_b32_e32 v51, v39
	v_pk_add_f32 v[32:33], v[32:33], v[34:35]
	v_mov_b32_e32 v78, v63
	v_pk_mul_f32 v[76:77], v[44:45], v[76:77] op_sel_hi:[1,0]
	s_waitcnt vmcnt(5)
	v_pk_fma_f32 v[54:55], v[42:43], v[58:59], v[74:75] op_sel:[0,0,1] op_sel_hi:[1,1,0] neg_lo:[0,0,1] neg_hi:[0,0,1]
	v_pk_fma_f32 v[42:43], v[42:43], v[58:59], v[74:75] op_sel:[0,0,1] op_sel_hi:[1,0,0]
	v_mov_b32_e32 v53, v41
	v_pk_add_f32 v[32:33], v[32:33], v[50:51]
	v_mov_b32_e32 v80, v65
	s_waitcnt lgkmcnt(0)
	v_pk_mul_f32 v[78:79], v[46:47], v[78:79] op_sel_hi:[1,0]
	s_waitcnt vmcnt(4)
	v_pk_fma_f32 v[56:57], v[44:45], v[60:61], v[76:77] op_sel:[0,0,1] op_sel_hi:[1,1,0] neg_lo:[0,0,1] neg_hi:[0,0,1]
	v_pk_fma_f32 v[44:45], v[44:45], v[60:61], v[76:77] op_sel:[0,0,1] op_sel_hi:[1,0,0]
	v_mov_b32_e32 v55, v43
	v_pk_add_f32 v[32:33], v[32:33], v[52:53]
	v_pk_mul_f32 v[80:81], v[48:49], v[80:81] op_sel_hi:[1,0]
	s_waitcnt vmcnt(3)
	v_pk_fma_f32 v[58:59], v[46:47], v[62:63], v[78:79] op_sel:[0,0,1] op_sel_hi:[1,1,0] neg_lo:[0,0,1] neg_hi:[0,0,1]
	v_pk_fma_f32 v[46:47], v[46:47], v[62:63], v[78:79] op_sel:[0,0,1] op_sel_hi:[1,0,0]
	v_mov_b32_e32 v57, v45
	v_pk_add_f32 v[32:33], v[32:33], v[54:55]
	s_waitcnt vmcnt(2)
	v_pk_fma_f32 v[60:61], v[48:49], v[64:65], v[80:81] op_sel:[0,0,1] op_sel_hi:[1,1,0] neg_lo:[0,0,1] neg_hi:[0,0,1]
	v_pk_fma_f32 v[48:49], v[48:49], v[64:65], v[80:81] op_sel:[0,0,1] op_sel_hi:[1,0,0]
	v_mov_b32_e32 v59, v47
	v_pk_add_f32 v[32:33], v[32:33], v[56:57]
	v_mov_b32_e32 v61, v49
	v_pk_add_f32 v[32:33], v[32:33], v[58:59]
	v_pk_add_f32 v[32:33], v[32:33], v[60:61]
	s_waitcnt vmcnt(0)
	v_pk_add_f32 v[32:33], v[66:67], v[32:33] neg_lo:[0,1] neg_hi:[0,1]
	buffer_store_dword v32, off, s[0:3], 0 offset:48
	buffer_store_dword v33, off, s[0:3], 0 offset:52
	s_and_saveexec_b64 s[4:5], vcc
	s_cbranch_execz .LBB14_93
; %bb.92:
	buffer_load_dword v32, off, s[0:3], 0 offset:40
	buffer_load_dword v33, off, s[0:3], 0 offset:44
	v_mov_b32_e32 v34, 0
	buffer_store_dword v34, off, s[0:3], 0 offset:40
	buffer_store_dword v34, off, s[0:3], 0 offset:44
	s_waitcnt vmcnt(2)
	ds_write_b64 v1, v[32:33]
.LBB14_93:
	s_or_b64 exec, exec, s[4:5]
	s_waitcnt lgkmcnt(0)
	; wave barrier
	s_waitcnt lgkmcnt(0)
	buffer_load_dword v33, off, s[0:3], 0 offset:52
	buffer_load_dword v51, off, s[0:3], 0 offset:60
	;; [unrolled: 1-line block ×20, first 2 shown]
	v_mov_b32_e32 v32, 0
	ds_read_b128 v[34:37], v32 offset:176
	ds_read_b128 v[38:41], v32 offset:192
	;; [unrolled: 1-line block ×4, first 2 shown]
	ds_read_b64 v[68:69], v32 offset:240
	v_cmp_lt_u32_e32 vcc, 4, v0
	s_waitcnt vmcnt(19) lgkmcnt(4)
	v_mul_f32_e32 v71, v34, v33
	v_mul_f32_e32 v33, v35, v33
	s_waitcnt vmcnt(18)
	v_mov_b32_e32 v72, v51
	s_waitcnt vmcnt(17)
	v_mov_b32_e32 v74, v53
	;; [unrolled: 2-line block ×8, first 2 shown]
	s_waitcnt vmcnt(10)
	v_fmac_f32_e32 v71, v35, v70
	v_fma_f32 v70, v34, v70, -v33
	v_pk_mul_f32 v[34:35], v[36:37], v[72:73] op_sel_hi:[1,0]
	s_waitcnt lgkmcnt(3)
	v_pk_mul_f32 v[72:73], v[38:39], v[74:75] op_sel_hi:[1,0]
	v_pk_mul_f32 v[74:75], v[40:41], v[76:77] op_sel_hi:[1,0]
	s_waitcnt lgkmcnt(2)
	v_pk_mul_f32 v[76:77], v[42:43], v[78:79] op_sel_hi:[1,0]
	;; [unrolled: 3-line block ×4, first 2 shown]
	s_waitcnt vmcnt(9)
	v_pk_fma_f32 v[86:87], v[36:37], v[50:51], v[34:35] op_sel:[0,0,1] op_sel_hi:[1,1,0] neg_lo:[0,0,1] neg_hi:[0,0,1]
	v_pk_fma_f32 v[34:35], v[36:37], v[50:51], v[34:35] op_sel:[0,0,1] op_sel_hi:[1,0,0]
	v_pk_add_f32 v[70:71], v[70:71], 0 op_sel_hi:[1,0]
	s_waitcnt vmcnt(8)
	v_pk_fma_f32 v[36:37], v[38:39], v[52:53], v[72:73] op_sel:[0,0,1] op_sel_hi:[1,1,0] neg_lo:[0,0,1] neg_hi:[0,0,1]
	v_pk_fma_f32 v[38:39], v[38:39], v[52:53], v[72:73] op_sel:[0,0,1] op_sel_hi:[1,0,0]
	v_mov_b32_e32 v87, v35
	s_waitcnt vmcnt(7)
	v_pk_fma_f32 v[50:51], v[40:41], v[54:55], v[74:75] op_sel:[0,0,1] op_sel_hi:[1,1,0] neg_lo:[0,0,1] neg_hi:[0,0,1]
	v_pk_fma_f32 v[40:41], v[40:41], v[54:55], v[74:75] op_sel:[0,0,1] op_sel_hi:[1,0,0]
	v_mov_b32_e32 v37, v39
	v_pk_add_f32 v[34:35], v[70:71], v[86:87]
	s_waitcnt vmcnt(6)
	v_pk_fma_f32 v[52:53], v[42:43], v[56:57], v[76:77] op_sel:[0,0,1] op_sel_hi:[1,1,0] neg_lo:[0,0,1] neg_hi:[0,0,1]
	v_pk_fma_f32 v[42:43], v[42:43], v[56:57], v[76:77] op_sel:[0,0,1] op_sel_hi:[1,0,0]
	v_mov_b32_e32 v51, v41
	v_pk_add_f32 v[34:35], v[34:35], v[36:37]
	;; [unrolled: 5-line block ×5, first 2 shown]
	v_pk_fma_f32 v[60:61], v[68:69], v[64:65], v[84:85] op_sel:[0,0,1] op_sel_hi:[1,1,0] neg_lo:[0,0,1] neg_hi:[0,0,1]
	v_pk_fma_f32 v[62:63], v[68:69], v[64:65], v[84:85] op_sel:[0,0,1] op_sel_hi:[1,0,0]
	v_mov_b32_e32 v59, v49
	v_pk_add_f32 v[34:35], v[34:35], v[56:57]
	v_mov_b32_e32 v61, v63
	v_pk_add_f32 v[34:35], v[34:35], v[58:59]
	v_pk_add_f32 v[34:35], v[34:35], v[60:61]
	s_waitcnt vmcnt(0)
	v_pk_add_f32 v[34:35], v[66:67], v[34:35] neg_lo:[0,1] neg_hi:[0,1]
	buffer_store_dword v34, off, s[0:3], 0 offset:40
	buffer_store_dword v35, off, s[0:3], 0 offset:44
	s_and_saveexec_b64 s[4:5], vcc
	s_cbranch_execz .LBB14_95
; %bb.94:
	buffer_load_dword v34, off, s[0:3], 0 offset:32
	buffer_load_dword v35, off, s[0:3], 0 offset:36
	s_waitcnt vmcnt(0)
	ds_write_b64 v1, v[34:35]
	buffer_store_dword v32, off, s[0:3], 0 offset:32
	buffer_store_dword v32, off, s[0:3], 0 offset:36
.LBB14_95:
	s_or_b64 exec, exec, s[4:5]
	s_waitcnt lgkmcnt(0)
	; wave barrier
	s_waitcnt lgkmcnt(0)
	buffer_load_dword v72, off, s[0:3], 0 offset:44
	buffer_load_dword v74, off, s[0:3], 0 offset:52
	;; [unrolled: 1-line block ×22, first 2 shown]
	ds_read2_b64 v[34:37], v32 offset0:21 offset1:22
	ds_read2_b64 v[38:41], v32 offset0:23 offset1:24
	;; [unrolled: 1-line block ×5, first 2 shown]
	v_cmp_lt_u32_e32 vcc, 3, v0
	s_waitcnt vmcnt(21) lgkmcnt(4)
	v_mul_f32_e32 v33, v34, v72
	s_waitcnt vmcnt(20)
	v_mul_f32_e32 v73, v36, v74
	v_mul_f32_e32 v32, v35, v72
	;; [unrolled: 1-line block ×3, first 2 shown]
	s_waitcnt vmcnt(19)
	v_mov_b32_e32 v74, v55
	s_waitcnt vmcnt(18)
	v_mov_b32_e32 v76, v57
	;; [unrolled: 2-line block ×5, first 2 shown]
	v_mov_b32_e32 v80, v61
	s_waitcnt vmcnt(11)
	v_fmac_f32_e32 v33, v35, v75
	v_fma_f32 v32, v34, v75, -v32
	s_waitcnt lgkmcnt(3)
	v_pk_mul_f32 v[34:35], v[38:39], v[74:75] op_sel_hi:[1,0]
	s_waitcnt vmcnt(10)
	v_fmac_f32_e32 v73, v37, v77
	v_fma_f32 v72, v36, v77, -v72
	v_pk_mul_f32 v[36:37], v[40:41], v[76:77] op_sel_hi:[1,0]
	s_waitcnt lgkmcnt(2)
	v_pk_mul_f32 v[74:75], v[42:43], v[78:79] op_sel_hi:[1,0]
	s_waitcnt lgkmcnt(1)
	;; [unrolled: 2-line block ×3, first 2 shown]
	v_pk_mul_f32 v[82:83], v[50:51], v[86:87] op_sel_hi:[1,0]
	v_pk_add_f32 v[32:33], v[32:33], 0 op_sel_hi:[1,0]
	s_waitcnt vmcnt(9)
	v_pk_fma_f32 v[86:87], v[38:39], v[54:55], v[34:35] op_sel:[0,0,1] op_sel_hi:[1,1,0] neg_lo:[0,0,1] neg_hi:[0,0,1]
	v_pk_fma_f32 v[34:35], v[38:39], v[54:55], v[34:35] op_sel:[0,0,1] op_sel_hi:[1,0,0]
	s_waitcnt vmcnt(8)
	v_pk_fma_f32 v[38:39], v[40:41], v[56:57], v[36:37] op_sel:[0,0,1] op_sel_hi:[1,1,0] neg_lo:[0,0,1] neg_hi:[0,0,1]
	v_pk_fma_f32 v[36:37], v[40:41], v[56:57], v[36:37] op_sel:[0,0,1] op_sel_hi:[1,0,0]
	v_pk_add_f32 v[32:33], v[32:33], v[72:73]
	v_mov_b32_e32 v87, v35
	v_pk_mul_f32 v[76:77], v[44:45], v[80:81] op_sel_hi:[1,0]
	s_waitcnt vmcnt(7)
	v_pk_fma_f32 v[40:41], v[42:43], v[58:59], v[74:75] op_sel:[0,0,1] op_sel_hi:[1,1,0] neg_lo:[0,0,1] neg_hi:[0,0,1]
	v_pk_fma_f32 v[42:43], v[42:43], v[58:59], v[74:75] op_sel:[0,0,1] op_sel_hi:[1,0,0]
	v_mov_b32_e32 v39, v37
	v_pk_add_f32 v[32:33], v[32:33], v[86:87]
	v_mov_b32_e32 v84, v65
	s_waitcnt vmcnt(6)
	v_pk_fma_f32 v[54:55], v[44:45], v[60:61], v[76:77] op_sel:[0,0,1] op_sel_hi:[1,1,0] neg_lo:[0,0,1] neg_hi:[0,0,1]
	v_pk_fma_f32 v[44:45], v[44:45], v[60:61], v[76:77] op_sel:[0,0,1] op_sel_hi:[1,0,0]
	v_mov_b32_e32 v41, v43
	v_pk_add_f32 v[32:33], v[32:33], v[38:39]
	v_pk_mul_f32 v[80:81], v[48:49], v[84:85] op_sel_hi:[1,0]
	s_waitcnt vmcnt(5)
	v_pk_fma_f32 v[56:57], v[46:47], v[62:63], v[78:79] op_sel:[0,0,1] op_sel_hi:[1,1,0] neg_lo:[0,0,1] neg_hi:[0,0,1]
	v_pk_fma_f32 v[46:47], v[46:47], v[62:63], v[78:79] op_sel:[0,0,1] op_sel_hi:[1,0,0]
	v_mov_b32_e32 v55, v45
	v_pk_add_f32 v[32:33], v[32:33], v[40:41]
	v_mov_b32_e32 v88, v69
	s_waitcnt vmcnt(2)
	v_pk_fma_f32 v[58:59], v[48:49], v[64:65], v[80:81] op_sel:[0,0,1] op_sel_hi:[1,1,0] neg_lo:[0,0,1] neg_hi:[0,0,1]
	v_pk_fma_f32 v[48:49], v[48:49], v[64:65], v[80:81] op_sel:[0,0,1] op_sel_hi:[1,0,0]
	v_mov_b32_e32 v57, v47
	v_pk_add_f32 v[32:33], v[32:33], v[54:55]
	v_pk_mul_f32 v[84:85], v[52:53], v[88:89] op_sel_hi:[1,0]
	v_pk_fma_f32 v[60:61], v[50:51], v[66:67], v[82:83] op_sel:[0,0,1] op_sel_hi:[1,1,0] neg_lo:[0,0,1] neg_hi:[0,0,1]
	v_pk_fma_f32 v[50:51], v[50:51], v[66:67], v[82:83] op_sel:[0,0,1] op_sel_hi:[1,0,0]
	v_mov_b32_e32 v59, v49
	v_pk_add_f32 v[32:33], v[32:33], v[56:57]
	v_pk_fma_f32 v[62:63], v[52:53], v[68:69], v[84:85] op_sel:[0,0,1] op_sel_hi:[1,1,0] neg_lo:[0,0,1] neg_hi:[0,0,1]
	v_pk_fma_f32 v[52:53], v[52:53], v[68:69], v[84:85] op_sel:[0,0,1] op_sel_hi:[1,0,0]
	v_mov_b32_e32 v61, v51
	v_pk_add_f32 v[32:33], v[32:33], v[58:59]
	v_mov_b32_e32 v63, v53
	v_pk_add_f32 v[32:33], v[32:33], v[60:61]
	v_pk_add_f32 v[32:33], v[32:33], v[62:63]
	s_waitcnt vmcnt(0)
	v_pk_add_f32 v[32:33], v[70:71], v[32:33] neg_lo:[0,1] neg_hi:[0,1]
	buffer_store_dword v32, off, s[0:3], 0 offset:32
	buffer_store_dword v33, off, s[0:3], 0 offset:36
	s_and_saveexec_b64 s[4:5], vcc
	s_cbranch_execz .LBB14_97
; %bb.96:
	buffer_load_dword v32, off, s[0:3], 0 offset:24
	buffer_load_dword v33, off, s[0:3], 0 offset:28
	v_mov_b32_e32 v34, 0
	buffer_store_dword v34, off, s[0:3], 0 offset:24
	buffer_store_dword v34, off, s[0:3], 0 offset:28
	s_waitcnt vmcnt(2)
	ds_write_b64 v1, v[32:33]
.LBB14_97:
	s_or_b64 exec, exec, s[4:5]
	s_waitcnt lgkmcnt(0)
	; wave barrier
	s_waitcnt lgkmcnt(0)
	buffer_load_dword v33, off, s[0:3], 0 offset:36
	buffer_load_dword v74, off, s[0:3], 0 offset:44
	;; [unrolled: 1-line block ×24, first 2 shown]
	v_mov_b32_e32 v32, 0
	ds_read_b128 v[34:37], v32 offset:160
	ds_read_b128 v[38:41], v32 offset:176
	;; [unrolled: 1-line block ×5, first 2 shown]
	ds_read_b64 v[72:73], v32 offset:240
	v_cmp_lt_u32_e32 vcc, 2, v0
	s_waitcnt vmcnt(23) lgkmcnt(5)
	v_mul_f32_e32 v87, v34, v33
	v_mul_f32_e32 v33, v35, v33
	s_waitcnt vmcnt(22)
	v_mul_f32_e32 v75, v36, v74
	s_waitcnt vmcnt(21) lgkmcnt(4)
	v_mul_f32_e32 v77, v38, v76
	v_mul_f32_e32 v74, v37, v74
	;; [unrolled: 1-line block ×3, first 2 shown]
	s_waitcnt vmcnt(20)
	v_mov_b32_e32 v78, v55
	s_waitcnt vmcnt(19)
	v_mov_b32_e32 v80, v57
	;; [unrolled: 2-line block ×5, first 2 shown]
	s_waitcnt vmcnt(12)
	v_fmac_f32_e32 v87, v35, v79
	v_fma_f32 v33, v34, v79, -v33
	v_mov_b32_e32 v88, v65
	s_waitcnt vmcnt(11)
	v_fmac_f32_e32 v75, v37, v81
	s_waitcnt vmcnt(10)
	v_fmac_f32_e32 v77, v39, v83
	v_fma_f32 v74, v36, v81, -v74
	v_fma_f32 v76, v38, v83, -v76
	v_pk_mul_f32 v[34:35], v[40:41], v[78:79] op_sel_hi:[1,0]
	s_waitcnt lgkmcnt(3)
	v_pk_mul_f32 v[36:37], v[42:43], v[80:81] op_sel_hi:[1,0]
	v_pk_mul_f32 v[38:39], v[44:45], v[82:83] op_sel_hi:[1,0]
	s_waitcnt lgkmcnt(2)
	v_pk_mul_f32 v[78:79], v[46:47], v[84:85] op_sel_hi:[1,0]
	v_pk_mul_f32 v[80:81], v[48:49], v[86:87] op_sel_hi:[1,0]
	v_add_f32_e32 v87, 0, v87
	v_add_f32_e32 v86, 0, v33
	s_waitcnt lgkmcnt(1)
	v_pk_mul_f32 v[82:83], v[50:51], v[88:89] op_sel_hi:[1,0]
	s_waitcnt vmcnt(9)
	v_pk_fma_f32 v[88:89], v[40:41], v[54:55], v[34:35] op_sel:[0,0,1] op_sel_hi:[1,1,0] neg_lo:[0,0,1] neg_hi:[0,0,1]
	v_pk_fma_f32 v[34:35], v[40:41], v[54:55], v[34:35] op_sel:[0,0,1] op_sel_hi:[1,0,0]
	s_waitcnt vmcnt(8)
	v_pk_fma_f32 v[40:41], v[42:43], v[56:57], v[36:37] op_sel:[0,0,1] op_sel_hi:[1,1,0] neg_lo:[0,0,1] neg_hi:[0,0,1]
	v_pk_fma_f32 v[36:37], v[42:43], v[56:57], v[36:37] op_sel:[0,0,1] op_sel_hi:[1,0,0]
	;; [unrolled: 3-line block ×4, first 2 shown]
	v_pk_add_f32 v[60:61], v[86:87], v[74:75]
	v_mov_b32_e32 v89, v35
	v_pk_add_f32 v[34:35], v[60:61], v[76:77]
	v_mov_b32_e32 v41, v37
	;; [unrolled: 2-line block ×4, first 2 shown]
	s_waitcnt vmcnt(2)
	v_pk_fma_f32 v[54:55], v[48:49], v[62:63], v[80:81] op_sel:[0,0,1] op_sel_hi:[1,1,0] neg_lo:[0,0,1] neg_hi:[0,0,1]
	v_pk_fma_f32 v[48:49], v[48:49], v[62:63], v[80:81] op_sel:[0,0,1] op_sel_hi:[1,0,0]
	v_mov_b32_e32 v45, v47
	v_pk_add_f32 v[34:35], v[34:35], v[42:43]
	v_mov_b32_e32 v92, v69
	v_pk_mul_f32 v[84:85], v[52:53], v[90:91] op_sel_hi:[1,0]
	v_pk_fma_f32 v[56:57], v[50:51], v[64:65], v[82:83] op_sel:[0,0,1] op_sel_hi:[1,1,0] neg_lo:[0,0,1] neg_hi:[0,0,1]
	v_pk_fma_f32 v[50:51], v[50:51], v[64:65], v[82:83] op_sel:[0,0,1] op_sel_hi:[1,0,0]
	v_mov_b32_e32 v55, v49
	v_pk_add_f32 v[34:35], v[34:35], v[44:45]
	v_pk_fma_f32 v[58:59], v[52:53], v[66:67], v[84:85] op_sel:[0,0,1] op_sel_hi:[1,1,0] neg_lo:[0,0,1] neg_hi:[0,0,1]
	v_pk_fma_f32 v[52:53], v[52:53], v[66:67], v[84:85] op_sel:[0,0,1] op_sel_hi:[1,0,0]
	v_mov_b32_e32 v57, v51
	v_pk_add_f32 v[34:35], v[34:35], v[54:55]
	s_waitcnt lgkmcnt(0)
	v_pk_mul_f32 v[36:37], v[72:73], v[92:93] op_sel_hi:[1,0]
	v_mov_b32_e32 v59, v53
	v_pk_add_f32 v[34:35], v[34:35], v[56:57]
	v_pk_fma_f32 v[38:39], v[72:73], v[68:69], v[36:37] op_sel:[0,0,1] op_sel_hi:[1,1,0] neg_lo:[0,0,1] neg_hi:[0,0,1]
	v_pk_fma_f32 v[36:37], v[72:73], v[68:69], v[36:37] op_sel:[0,0,1] op_sel_hi:[1,0,0]
	v_pk_add_f32 v[34:35], v[34:35], v[58:59]
	v_mov_b32_e32 v39, v37
	v_pk_add_f32 v[34:35], v[34:35], v[38:39]
	s_waitcnt vmcnt(0)
	v_pk_add_f32 v[34:35], v[70:71], v[34:35] neg_lo:[0,1] neg_hi:[0,1]
	buffer_store_dword v35, off, s[0:3], 0 offset:28
	buffer_store_dword v34, off, s[0:3], 0 offset:24
	s_and_saveexec_b64 s[4:5], vcc
	s_cbranch_execz .LBB14_99
; %bb.98:
	buffer_load_dword v34, off, s[0:3], 0 offset:16
	buffer_load_dword v35, off, s[0:3], 0 offset:20
	s_waitcnt vmcnt(0)
	ds_write_b64 v1, v[34:35]
	buffer_store_dword v32, off, s[0:3], 0 offset:16
	buffer_store_dword v32, off, s[0:3], 0 offset:20
.LBB14_99:
	s_or_b64 exec, exec, s[4:5]
	s_waitcnt lgkmcnt(0)
	; wave barrier
	s_waitcnt lgkmcnt(0)
	buffer_load_dword v76, off, s[0:3], 0 offset:28
	buffer_load_dword v78, off, s[0:3], 0 offset:36
	;; [unrolled: 1-line block ×26, first 2 shown]
	ds_read2_b64 v[34:37], v32 offset0:19 offset1:20
	ds_read2_b64 v[38:41], v32 offset0:21 offset1:22
	;; [unrolled: 1-line block ×6, first 2 shown]
	v_cmp_lt_u32_e32 vcc, 1, v0
	s_waitcnt vmcnt(25) lgkmcnt(5)
	v_mul_f32_e32 v89, v34, v76
	v_mul_f32_e32 v32, v35, v76
	s_waitcnt vmcnt(24)
	v_mul_f32_e32 v90, v36, v78
	s_waitcnt vmcnt(23) lgkmcnt(4)
	v_mul_f32_e32 v33, v38, v79
	s_waitcnt vmcnt(22)
	v_mul_f32_e32 v77, v40, v80
	v_mul_f32_e32 v76, v37, v78
	;; [unrolled: 1-line block ×4, first 2 shown]
	s_waitcnt vmcnt(21)
	v_mov_b32_e32 v78, v59
	s_waitcnt vmcnt(20)
	v_mov_b32_e32 v80, v61
	;; [unrolled: 2-line block ×3, first 2 shown]
	s_waitcnt vmcnt(15)
	v_fmac_f32_e32 v89, v35, v81
	v_fma_f32 v92, v34, v81, -v32
	v_mov_b32_e32 v82, v63
	s_waitcnt vmcnt(14)
	v_fmac_f32_e32 v90, v37, v83
	s_waitcnt vmcnt(13)
	v_fmac_f32_e32 v33, v39, v85
	s_waitcnt vmcnt(12)
	v_fmac_f32_e32 v77, v41, v87
	v_fma_f32 v93, v36, v83, -v76
	v_fma_f32 v32, v38, v85, -v79
	;; [unrolled: 1-line block ×3, first 2 shown]
	s_waitcnt lgkmcnt(3)
	v_pk_mul_f32 v[34:35], v[42:43], v[78:79] op_sel_hi:[1,0]
	v_pk_mul_f32 v[36:37], v[44:45], v[80:81] op_sel_hi:[1,0]
	s_waitcnt lgkmcnt(2)
	v_pk_mul_f32 v[40:41], v[48:49], v[84:85] op_sel_hi:[1,0]
	v_add_f32_e32 v84, 0, v89
	v_add_f32_e32 v85, 0, v92
	v_pk_mul_f32 v[38:39], v[46:47], v[82:83] op_sel_hi:[1,0]
	s_waitcnt vmcnt(11)
	v_pk_fma_f32 v[82:83], v[42:43], v[58:59], v[34:35] op_sel:[0,0,1] op_sel_hi:[1,1,0] neg_lo:[0,0,1] neg_hi:[0,0,1]
	v_pk_fma_f32 v[34:35], v[42:43], v[58:59], v[34:35] op_sel:[0,0,1] op_sel_hi:[1,0,0]
	s_waitcnt vmcnt(10)
	v_pk_fma_f32 v[42:43], v[44:45], v[60:61], v[36:37] op_sel:[0,0,1] op_sel_hi:[1,1,0] neg_lo:[0,0,1] neg_hi:[0,0,1]
	v_pk_fma_f32 v[36:37], v[44:45], v[60:61], v[36:37] op_sel:[0,0,1] op_sel_hi:[1,0,0]
	v_add_f32_e32 v61, v84, v90
	v_add_f32_e32 v60, v85, v93
	v_pk_add_f32 v[32:33], v[60:61], v[32:33]
	v_mov_b32_e32 v83, v35
	v_pk_add_f32 v[32:33], v[32:33], v[76:77]
	v_mov_b32_e32 v86, v67
	s_waitcnt vmcnt(9)
	v_pk_fma_f32 v[44:45], v[46:47], v[62:63], v[38:39] op_sel:[0,0,1] op_sel_hi:[1,1,0] neg_lo:[0,0,1] neg_hi:[0,0,1]
	v_pk_fma_f32 v[38:39], v[46:47], v[62:63], v[38:39] op_sel:[0,0,1] op_sel_hi:[1,0,0]
	v_mov_b32_e32 v43, v37
	v_pk_add_f32 v[32:33], v[32:33], v[82:83]
	v_mov_b32_e32 v88, v69
	s_waitcnt lgkmcnt(1)
	v_pk_mul_f32 v[78:79], v[50:51], v[86:87] op_sel_hi:[1,0]
	s_waitcnt vmcnt(5)
	v_pk_fma_f32 v[46:47], v[48:49], v[64:65], v[40:41] op_sel:[0,0,1] op_sel_hi:[1,1,0] neg_lo:[0,0,1] neg_hi:[0,0,1]
	v_pk_fma_f32 v[40:41], v[48:49], v[64:65], v[40:41] op_sel:[0,0,1] op_sel_hi:[1,0,0]
	v_mov_b32_e32 v45, v39
	v_pk_add_f32 v[32:33], v[32:33], v[42:43]
	s_waitcnt vmcnt(4)
	v_mov_b32_e32 v34, v71
	v_pk_mul_f32 v[80:81], v[52:53], v[88:89] op_sel_hi:[1,0]
	v_pk_fma_f32 v[48:49], v[50:51], v[66:67], v[78:79] op_sel:[0,0,1] op_sel_hi:[1,1,0] neg_lo:[0,0,1] neg_hi:[0,0,1]
	v_pk_fma_f32 v[50:51], v[50:51], v[66:67], v[78:79] op_sel:[0,0,1] op_sel_hi:[1,0,0]
	v_mov_b32_e32 v47, v41
	v_pk_add_f32 v[32:33], v[32:33], v[44:45]
	s_waitcnt lgkmcnt(0)
	v_pk_mul_f32 v[34:35], v[54:55], v[34:35] op_sel_hi:[1,0]
	v_pk_fma_f32 v[58:59], v[52:53], v[68:69], v[80:81] op_sel:[0,0,1] op_sel_hi:[1,1,0] neg_lo:[0,0,1] neg_hi:[0,0,1]
	v_pk_fma_f32 v[52:53], v[52:53], v[68:69], v[80:81] op_sel:[0,0,1] op_sel_hi:[1,0,0]
	v_mov_b32_e32 v49, v51
	v_pk_add_f32 v[32:33], v[32:33], v[46:47]
	v_pk_fma_f32 v[36:37], v[54:55], v[70:71], v[34:35] op_sel:[0,0,1] op_sel_hi:[1,1,0] neg_lo:[0,0,1] neg_hi:[0,0,1]
	v_pk_fma_f32 v[34:35], v[54:55], v[70:71], v[34:35] op_sel:[0,0,1] op_sel_hi:[1,0,0]
	v_mov_b32_e32 v59, v53
	v_pk_add_f32 v[32:33], v[32:33], v[48:49]
	s_waitcnt vmcnt(3)
	v_mov_b32_e32 v34, v73
	v_pk_add_f32 v[32:33], v[32:33], v[58:59]
	v_mov_b32_e32 v37, v35
	v_pk_mul_f32 v[34:35], v[56:57], v[34:35] op_sel_hi:[1,0]
	v_pk_add_f32 v[32:33], v[32:33], v[36:37]
	s_waitcnt vmcnt(2)
	v_pk_fma_f32 v[36:37], v[56:57], v[72:73], v[34:35] op_sel:[0,0,1] op_sel_hi:[1,1,0] neg_lo:[0,0,1] neg_hi:[0,0,1]
	v_pk_fma_f32 v[34:35], v[56:57], v[72:73], v[34:35] op_sel:[0,0,1] op_sel_hi:[1,0,0]
	v_mov_b32_e32 v37, v35
	v_pk_add_f32 v[32:33], v[32:33], v[36:37]
	s_waitcnt vmcnt(0)
	v_pk_add_f32 v[32:33], v[74:75], v[32:33] neg_lo:[0,1] neg_hi:[0,1]
	buffer_store_dword v33, off, s[0:3], 0 offset:20
	buffer_store_dword v32, off, s[0:3], 0 offset:16
	s_and_saveexec_b64 s[4:5], vcc
	s_cbranch_execz .LBB14_101
; %bb.100:
	buffer_load_dword v32, off, s[0:3], 0 offset:8
	buffer_load_dword v33, off, s[0:3], 0 offset:12
	v_mov_b32_e32 v34, 0
	buffer_store_dword v34, off, s[0:3], 0 offset:8
	buffer_store_dword v34, off, s[0:3], 0 offset:12
	s_waitcnt vmcnt(2)
	ds_write_b64 v1, v[32:33]
.LBB14_101:
	s_or_b64 exec, exec, s[4:5]
	s_waitcnt lgkmcnt(0)
	; wave barrier
	s_waitcnt lgkmcnt(0)
	buffer_load_dword v33, off, s[0:3], 0 offset:20
	buffer_load_dword v78, off, s[0:3], 0 offset:28
	;; [unrolled: 1-line block ×28, first 2 shown]
	v_mov_b32_e32 v32, 0
	ds_read_b128 v[34:37], v32 offset:144
	ds_read_b128 v[38:41], v32 offset:160
	;; [unrolled: 1-line block ×6, first 2 shown]
	ds_read_b64 v[76:77], v32 offset:240
	v_cmp_ne_u32_e32 vcc, 0, v0
	s_waitcnt vmcnt(27) lgkmcnt(6)
	v_mul_f32_e32 v93, v34, v33
	v_mul_f32_e32 v33, v35, v33
	s_waitcnt vmcnt(26)
	v_mul_f32_e32 v94, v36, v78
	s_waitcnt vmcnt(24) lgkmcnt(5)
	v_mul_f32_e32 v79, v40, v82
	s_waitcnt vmcnt(23) lgkmcnt(4)
	v_mul_f32_e32 v81, v42, v83
	v_mul_f32_e32 v96, v41, v82
	;; [unrolled: 1-line block ×3, first 2 shown]
	s_waitcnt vmcnt(22)
	v_mov_b32_e32 v82, v59
	v_mul_f32_e32 v95, v38, v80
	v_mul_f32_e32 v78, v37, v78
	;; [unrolled: 1-line block ×3, first 2 shown]
	s_waitcnt vmcnt(17)
	v_fmac_f32_e32 v93, v35, v85
	v_fma_f32 v33, v34, v85, -v33
	v_pk_mul_f32 v[34:35], v[44:45], v[82:83] op_sel_hi:[1,0]
	s_waitcnt vmcnt(16)
	v_fmac_f32_e32 v94, v37, v87
	s_waitcnt vmcnt(13)
	v_fmac_f32_e32 v81, v43, v92
	v_fma_f32 v85, v36, v87, -v78
	v_fma_f32 v87, v38, v89, -v80
	;; [unrolled: 1-line block ×3, first 2 shown]
	v_add_f32_e32 v82, 0, v93
	v_add_f32_e32 v33, 0, v33
	s_waitcnt vmcnt(12)
	v_pk_fma_f32 v[42:43], v[44:45], v[58:59], v[34:35] op_sel:[0,0,1] op_sel_hi:[1,1,0] neg_lo:[0,0,1] neg_hi:[0,0,1]
	v_pk_fma_f32 v[34:35], v[44:45], v[58:59], v[34:35] op_sel:[0,0,1] op_sel_hi:[1,0,0]
	v_fmac_f32_e32 v95, v39, v89
	v_add_f32_e32 v34, v82, v94
	v_add_f32_e32 v33, v33, v85
	v_mov_b32_e32 v84, v61
	v_fmac_f32_e32 v79, v41, v91
	v_fma_f32 v78, v40, v91, -v96
	v_mov_b32_e32 v43, v35
	v_add_f32_e32 v35, v34, v95
	v_add_f32_e32 v34, v33, v87
	v_mov_b32_e32 v86, v63
	s_waitcnt lgkmcnt(3)
	v_pk_mul_f32 v[36:37], v[46:47], v[84:85] op_sel_hi:[1,0]
	v_pk_add_f32 v[34:35], v[34:35], v[78:79]
	v_mov_b32_e32 v88, v65
	v_mov_b32_e32 v90, v67
	v_pk_mul_f32 v[38:39], v[48:49], v[86:87] op_sel_hi:[1,0]
	s_waitcnt vmcnt(11)
	v_pk_fma_f32 v[44:45], v[46:47], v[60:61], v[36:37] op_sel:[0,0,1] op_sel_hi:[1,1,0] neg_lo:[0,0,1] neg_hi:[0,0,1]
	v_pk_fma_f32 v[36:37], v[46:47], v[60:61], v[36:37] op_sel:[0,0,1] op_sel_hi:[1,0,0]
	v_pk_add_f32 v[34:35], v[34:35], v[80:81]
	s_waitcnt lgkmcnt(2)
	v_pk_mul_f32 v[40:41], v[50:51], v[88:89] op_sel_hi:[1,0]
	s_waitcnt vmcnt(10)
	v_pk_fma_f32 v[46:47], v[48:49], v[62:63], v[38:39] op_sel:[0,0,1] op_sel_hi:[1,1,0] neg_lo:[0,0,1] neg_hi:[0,0,1]
	v_pk_fma_f32 v[38:39], v[48:49], v[62:63], v[38:39] op_sel:[0,0,1] op_sel_hi:[1,0,0]
	v_mov_b32_e32 v45, v37
	v_pk_add_f32 v[34:35], v[34:35], v[42:43]
	v_pk_mul_f32 v[36:37], v[52:53], v[90:91] op_sel_hi:[1,0]
	s_waitcnt vmcnt(9)
	v_pk_fma_f32 v[48:49], v[50:51], v[64:65], v[40:41] op_sel:[0,0,1] op_sel_hi:[1,1,0] neg_lo:[0,0,1] neg_hi:[0,0,1]
	v_pk_fma_f32 v[40:41], v[50:51], v[64:65], v[40:41] op_sel:[0,0,1] op_sel_hi:[1,0,0]
	v_mov_b32_e32 v47, v39
	v_pk_add_f32 v[34:35], v[34:35], v[44:45]
	s_waitcnt vmcnt(8)
	v_pk_fma_f32 v[38:39], v[52:53], v[66:67], v[36:37] op_sel:[0,0,1] op_sel_hi:[1,1,0] neg_lo:[0,0,1] neg_hi:[0,0,1]
	v_pk_fma_f32 v[36:37], v[52:53], v[66:67], v[36:37] op_sel:[0,0,1] op_sel_hi:[1,0,0]
	v_mov_b32_e32 v49, v41
	v_pk_add_f32 v[34:35], v[34:35], v[46:47]
	s_waitcnt vmcnt(7)
	v_mov_b32_e32 v36, v69
	v_pk_add_f32 v[34:35], v[34:35], v[48:49]
	v_mov_b32_e32 v39, v37
	s_waitcnt lgkmcnt(1)
	v_pk_mul_f32 v[36:37], v[54:55], v[36:37] op_sel_hi:[1,0]
	v_pk_add_f32 v[34:35], v[34:35], v[38:39]
	s_waitcnt vmcnt(6)
	v_pk_fma_f32 v[38:39], v[54:55], v[68:69], v[36:37] op_sel:[0,0,1] op_sel_hi:[1,1,0] neg_lo:[0,0,1] neg_hi:[0,0,1]
	v_pk_fma_f32 v[36:37], v[54:55], v[68:69], v[36:37] op_sel:[0,0,1] op_sel_hi:[1,0,0]
	s_waitcnt vmcnt(5)
	v_mov_b32_e32 v36, v71
	v_mov_b32_e32 v39, v37
	v_pk_mul_f32 v[36:37], v[56:57], v[36:37] op_sel_hi:[1,0]
	v_pk_add_f32 v[34:35], v[34:35], v[38:39]
	s_waitcnt vmcnt(4)
	v_pk_fma_f32 v[38:39], v[56:57], v[70:71], v[36:37] op_sel:[0,0,1] op_sel_hi:[1,1,0] neg_lo:[0,0,1] neg_hi:[0,0,1]
	v_pk_fma_f32 v[36:37], v[56:57], v[70:71], v[36:37] op_sel:[0,0,1] op_sel_hi:[1,0,0]
	s_waitcnt vmcnt(2)
	v_mov_b32_e32 v36, v73
	v_mov_b32_e32 v39, v37
	s_waitcnt lgkmcnt(0)
	v_pk_mul_f32 v[36:37], v[76:77], v[36:37] op_sel_hi:[1,0]
	v_pk_add_f32 v[34:35], v[34:35], v[38:39]
	v_pk_fma_f32 v[38:39], v[76:77], v[72:73], v[36:37] op_sel:[0,0,1] op_sel_hi:[1,1,0] neg_lo:[0,0,1] neg_hi:[0,0,1]
	v_pk_fma_f32 v[36:37], v[76:77], v[72:73], v[36:37] op_sel:[0,0,1] op_sel_hi:[1,0,0]
	v_mov_b32_e32 v39, v37
	v_pk_add_f32 v[34:35], v[34:35], v[38:39]
	s_waitcnt vmcnt(0)
	v_pk_add_f32 v[34:35], v[74:75], v[34:35] neg_lo:[0,1] neg_hi:[0,1]
	buffer_store_dword v35, off, s[0:3], 0 offset:12
	buffer_store_dword v34, off, s[0:3], 0 offset:8
	s_and_saveexec_b64 s[4:5], vcc
	s_cbranch_execz .LBB14_103
; %bb.102:
	buffer_load_dword v34, off, s[0:3], 0
	buffer_load_dword v35, off, s[0:3], 0 offset:4
	s_waitcnt vmcnt(0)
	ds_write_b64 v1, v[34:35]
	buffer_store_dword v32, off, s[0:3], 0
	buffer_store_dword v32, off, s[0:3], 0 offset:4
.LBB14_103:
	s_or_b64 exec, exec, s[4:5]
	s_waitcnt lgkmcnt(0)
	; wave barrier
	s_waitcnt lgkmcnt(0)
	buffer_load_dword v78, off, s[0:3], 0 offset:12
	buffer_load_dword v80, off, s[0:3], 0 offset:20
	;; [unrolled: 1-line block ×27, first 2 shown]
	buffer_load_dword v76, off, s[0:3], 0
	buffer_load_dword v77, off, s[0:3], 0 offset:4
	buffer_load_dword v73, off, s[0:3], 0 offset:116
	ds_read2_b64 v[34:37], v32 offset0:17 offset1:18
	ds_read2_b64 v[38:41], v32 offset0:19 offset1:20
	;; [unrolled: 1-line block ×7, first 2 shown]
	s_and_b64 vcc, exec, s[20:21]
	s_waitcnt vmcnt(29) lgkmcnt(6)
	v_mul_f32_e32 v91, v34, v78
	s_waitcnt vmcnt(28)
	v_mul_f32_e32 v92, v36, v80
	s_waitcnt vmcnt(27) lgkmcnt(5)
	v_mul_f32_e32 v93, v38, v81
	v_mul_f32_e32 v81, v39, v81
	s_waitcnt vmcnt(26)
	v_mul_f32_e32 v94, v40, v82
	s_waitcnt vmcnt(25) lgkmcnt(4)
	v_mul_f32_e32 v33, v42, v83
	s_waitcnt vmcnt(24)
	v_mul_f32_e32 v79, v44, v84
	v_mul_f32_e32 v32, v35, v78
	;; [unrolled: 1-line block ×5, first 2 shown]
	s_waitcnt vmcnt(23)
	v_mov_b32_e32 v80, v1
	s_waitcnt vmcnt(22)
	v_mov_b32_e32 v82, v63
	s_waitcnt vmcnt(18)
	v_fma_f32 v81, v38, v87, -v81
	v_mul_f32_e32 v96, v45, v84
	v_fmac_f32_e32 v91, v35, v85
	v_fmac_f32_e32 v92, v37, v86
	s_waitcnt vmcnt(17)
	v_fmac_f32_e32 v94, v41, v88
	s_waitcnt vmcnt(15)
	v_fmac_f32_e32 v79, v45, v90
	v_fma_f32 v41, v34, v85, -v32
	v_fma_f32 v45, v36, v86, -v78
	s_waitcnt lgkmcnt(3)
	v_pk_mul_f32 v[34:35], v[46:47], v[80:81] op_sel_hi:[1,0]
	v_pk_mul_f32 v[36:37], v[48:49], v[82:83] op_sel_hi:[1,0]
	v_fma_f32 v85, v40, v88, -v95
	v_fma_f32 v78, v44, v90, -v96
	v_add_f32_e32 v44, 0, v91
	v_add_f32_e32 v80, 0, v41
	s_waitcnt vmcnt(14)
	v_pk_fma_f32 v[40:41], v[46:47], v[0:1], v[34:35] op_sel:[0,0,1] op_sel_hi:[1,1,0] neg_lo:[0,0,1] neg_hi:[0,0,1]
	v_pk_fma_f32 v[0:1], v[46:47], v[0:1], v[34:35] op_sel:[0,0,1] op_sel_hi:[1,0,0]
	s_waitcnt vmcnt(10)
	v_pk_fma_f32 v[34:35], v[48:49], v[62:63], v[36:37] op_sel:[0,0,1] op_sel_hi:[1,1,0] neg_lo:[0,0,1] neg_hi:[0,0,1]
	v_pk_fma_f32 v[36:37], v[48:49], v[62:63], v[36:37] op_sel:[0,0,1] op_sel_hi:[1,0,0]
	v_fmac_f32_e32 v93, v39, v87
	v_add_f32_e32 v0, v44, v92
	v_add_f32_e32 v36, v80, v45
	;; [unrolled: 1-line block ×4, first 2 shown]
	v_fmac_f32_e32 v33, v43, v89
	v_fma_f32 v32, v42, v89, -v83
	v_mov_b32_e32 v41, v1
	v_add_f32_e32 v1, v0, v94
	v_add_f32_e32 v0, v36, v85
	v_pk_add_f32 v[0:1], v[0:1], v[32:33]
	v_mov_b32_e32 v84, v65
	v_pk_add_f32 v[0:1], v[0:1], v[78:79]
	s_waitcnt vmcnt(9)
	v_mov_b32_e32 v32, v69
	s_waitcnt lgkmcnt(2)
	v_pk_mul_f32 v[38:39], v[50:51], v[84:85] op_sel_hi:[1,0]
	v_mov_b32_e32 v35, v37
	v_pk_add_f32 v[0:1], v[0:1], v[40:41]
	v_pk_mul_f32 v[32:33], v[52:53], v[32:33] op_sel_hi:[1,0]
	v_pk_fma_f32 v[42:43], v[50:51], v[64:65], v[38:39] op_sel:[0,0,1] op_sel_hi:[1,1,0] neg_lo:[0,0,1] neg_hi:[0,0,1]
	v_pk_fma_f32 v[38:39], v[50:51], v[64:65], v[38:39] op_sel:[0,0,1] op_sel_hi:[1,0,0]
	v_pk_add_f32 v[0:1], v[0:1], v[34:35]
	v_pk_fma_f32 v[34:35], v[52:53], v[68:69], v[32:33] op_sel:[0,0,1] op_sel_hi:[1,1,0] neg_lo:[0,0,1] neg_hi:[0,0,1]
	v_pk_fma_f32 v[32:33], v[52:53], v[68:69], v[32:33] op_sel:[0,0,1] op_sel_hi:[1,0,0]
	v_mov_b32_e32 v43, v39
	s_waitcnt vmcnt(8)
	v_mov_b32_e32 v32, v67
	v_pk_add_f32 v[0:1], v[0:1], v[42:43]
	v_mov_b32_e32 v35, v33
	s_waitcnt lgkmcnt(1)
	v_pk_mul_f32 v[32:33], v[54:55], v[32:33] op_sel_hi:[1,0]
	v_pk_add_f32 v[0:1], v[0:1], v[34:35]
	v_pk_fma_f32 v[34:35], v[54:55], v[66:67], v[32:33] op_sel:[0,0,1] op_sel_hi:[1,1,0] neg_lo:[0,0,1] neg_hi:[0,0,1]
	v_pk_fma_f32 v[32:33], v[54:55], v[66:67], v[32:33] op_sel:[0,0,1] op_sel_hi:[1,0,0]
	s_waitcnt vmcnt(7)
	v_mov_b32_e32 v32, v71
	v_mov_b32_e32 v35, v33
	v_pk_mul_f32 v[32:33], v[56:57], v[32:33] op_sel_hi:[1,0]
	v_pk_add_f32 v[0:1], v[0:1], v[34:35]
	s_waitcnt vmcnt(4)
	v_pk_fma_f32 v[34:35], v[56:57], v[70:71], v[32:33] op_sel:[0,0,1] op_sel_hi:[1,1,0] neg_lo:[0,0,1] neg_hi:[0,0,1]
	v_pk_fma_f32 v[32:33], v[56:57], v[70:71], v[32:33] op_sel:[0,0,1] op_sel_hi:[1,0,0]
	s_waitcnt vmcnt(3)
	v_mov_b32_e32 v32, v75
	v_mov_b32_e32 v35, v33
	s_waitcnt lgkmcnt(0)
	v_pk_mul_f32 v[32:33], v[58:59], v[32:33] op_sel_hi:[1,0]
	v_pk_add_f32 v[0:1], v[0:1], v[34:35]
	v_pk_fma_f32 v[34:35], v[58:59], v[74:75], v[32:33] op_sel:[0,0,1] op_sel_hi:[1,1,0] neg_lo:[0,0,1] neg_hi:[0,0,1]
	v_pk_fma_f32 v[32:33], v[58:59], v[74:75], v[32:33] op_sel:[0,0,1] op_sel_hi:[1,0,0]
	s_waitcnt vmcnt(0)
	v_mov_b32_e32 v32, v73
	v_mov_b32_e32 v35, v33
	v_pk_mul_f32 v[32:33], v[60:61], v[32:33] op_sel_hi:[1,0]
	v_pk_add_f32 v[0:1], v[0:1], v[34:35]
	v_pk_fma_f32 v[34:35], v[60:61], v[72:73], v[32:33] op_sel:[0,0,1] op_sel_hi:[1,1,0] neg_lo:[0,0,1] neg_hi:[0,0,1]
	v_pk_fma_f32 v[32:33], v[60:61], v[72:73], v[32:33] op_sel:[0,0,1] op_sel_hi:[1,0,0]
	v_mov_b32_e32 v35, v33
	v_pk_add_f32 v[0:1], v[0:1], v[34:35]
	v_pk_add_f32 v[0:1], v[76:77], v[0:1] neg_lo:[0,1] neg_hi:[0,1]
	buffer_store_dword v1, off, s[0:3], 0 offset:4
	buffer_store_dword v0, off, s[0:3], 0
	s_cbranch_vccz .LBB14_133
; %bb.104:
	v_pk_mov_b32 v[0:1], s[10:11], s[10:11] op_sel:[0,1]
	flat_load_dword v0, v[0:1] offset:52
	s_waitcnt vmcnt(0) lgkmcnt(0)
	v_add_u32_e32 v0, -1, v0
	v_cmp_ne_u32_e32 vcc, 13, v0
	s_and_saveexec_b64 s[4:5], vcc
	s_cbranch_execz .LBB14_106
; %bb.105:
	v_mov_b32_e32 v1, 0
	v_lshl_add_u32 v0, v0, 3, v1
	buffer_load_dword v1, v0, s[0:3], 0 offen
	buffer_load_dword v32, v0, s[0:3], 0 offen offset:4
	buffer_load_dword v33, off, s[0:3], 0 offset:104
	buffer_load_dword v34, off, s[0:3], 0 offset:108
	s_waitcnt vmcnt(3)
	buffer_store_dword v1, off, s[0:3], 0 offset:104
	s_waitcnt vmcnt(3)
	buffer_store_dword v32, off, s[0:3], 0 offset:108
	s_waitcnt vmcnt(3)
	buffer_store_dword v33, v0, s[0:3], 0 offen
	s_waitcnt vmcnt(3)
	buffer_store_dword v34, v0, s[0:3], 0 offen offset:4
.LBB14_106:
	s_or_b64 exec, exec, s[4:5]
	v_pk_mov_b32 v[0:1], s[10:11], s[10:11] op_sel:[0,1]
	flat_load_dword v0, v[0:1] offset:48
	s_waitcnt vmcnt(0) lgkmcnt(0)
	v_add_u32_e32 v0, -1, v0
	v_cmp_ne_u32_e32 vcc, 12, v0
	s_and_saveexec_b64 s[4:5], vcc
	s_cbranch_execz .LBB14_108
; %bb.107:
	v_mov_b32_e32 v1, 0
	v_lshl_add_u32 v0, v0, 3, v1
	buffer_load_dword v1, v0, s[0:3], 0 offen
	buffer_load_dword v32, v0, s[0:3], 0 offen offset:4
	buffer_load_dword v33, off, s[0:3], 0 offset:100
	buffer_load_dword v34, off, s[0:3], 0 offset:96
	s_waitcnt vmcnt(3)
	buffer_store_dword v1, off, s[0:3], 0 offset:96
	s_waitcnt vmcnt(3)
	buffer_store_dword v32, off, s[0:3], 0 offset:100
	s_waitcnt vmcnt(3)
	buffer_store_dword v33, v0, s[0:3], 0 offen offset:4
	s_waitcnt vmcnt(3)
	buffer_store_dword v34, v0, s[0:3], 0 offen
.LBB14_108:
	s_or_b64 exec, exec, s[4:5]
	v_pk_mov_b32 v[0:1], s[10:11], s[10:11] op_sel:[0,1]
	flat_load_dword v0, v[0:1] offset:44
	s_waitcnt vmcnt(0) lgkmcnt(0)
	v_add_u32_e32 v0, -1, v0
	v_cmp_ne_u32_e32 vcc, 11, v0
	s_and_saveexec_b64 s[4:5], vcc
	s_cbranch_execz .LBB14_110
; %bb.109:
	v_mov_b32_e32 v1, 0
	v_lshl_add_u32 v0, v0, 3, v1
	buffer_load_dword v1, v0, s[0:3], 0 offen
	buffer_load_dword v32, v0, s[0:3], 0 offen offset:4
	buffer_load_dword v33, off, s[0:3], 0 offset:88
	buffer_load_dword v34, off, s[0:3], 0 offset:92
	s_waitcnt vmcnt(3)
	buffer_store_dword v1, off, s[0:3], 0 offset:88
	s_waitcnt vmcnt(3)
	buffer_store_dword v32, off, s[0:3], 0 offset:92
	s_waitcnt vmcnt(3)
	buffer_store_dword v33, v0, s[0:3], 0 offen
	s_waitcnt vmcnt(3)
	buffer_store_dword v34, v0, s[0:3], 0 offen offset:4
.LBB14_110:
	s_or_b64 exec, exec, s[4:5]
	v_pk_mov_b32 v[0:1], s[10:11], s[10:11] op_sel:[0,1]
	flat_load_dword v0, v[0:1] offset:40
	s_waitcnt vmcnt(0) lgkmcnt(0)
	v_add_u32_e32 v0, -1, v0
	v_cmp_ne_u32_e32 vcc, 10, v0
	s_and_saveexec_b64 s[4:5], vcc
	s_cbranch_execz .LBB14_112
; %bb.111:
	v_mov_b32_e32 v1, 0
	v_lshl_add_u32 v0, v0, 3, v1
	buffer_load_dword v1, v0, s[0:3], 0 offen
	buffer_load_dword v32, v0, s[0:3], 0 offen offset:4
	buffer_load_dword v33, off, s[0:3], 0 offset:84
	buffer_load_dword v34, off, s[0:3], 0 offset:80
	s_waitcnt vmcnt(3)
	buffer_store_dword v1, off, s[0:3], 0 offset:80
	s_waitcnt vmcnt(3)
	buffer_store_dword v32, off, s[0:3], 0 offset:84
	s_waitcnt vmcnt(3)
	buffer_store_dword v33, v0, s[0:3], 0 offen offset:4
	s_waitcnt vmcnt(3)
	buffer_store_dword v34, v0, s[0:3], 0 offen
.LBB14_112:
	s_or_b64 exec, exec, s[4:5]
	;; [unrolled: 48-line block ×6, first 2 shown]
	v_pk_mov_b32 v[0:1], s[10:11], s[10:11] op_sel:[0,1]
	flat_load_dword v0, v[0:1] offset:4
	s_waitcnt vmcnt(0) lgkmcnt(0)
	v_add_u32_e32 v0, -1, v0
	v_cmp_ne_u32_e32 vcc, 1, v0
	s_and_saveexec_b64 s[4:5], vcc
	s_cbranch_execz .LBB14_130
; %bb.129:
	v_mov_b32_e32 v1, 0
	v_lshl_add_u32 v0, v0, 3, v1
	buffer_load_dword v1, v0, s[0:3], 0 offen
	buffer_load_dword v32, v0, s[0:3], 0 offen offset:4
	buffer_load_dword v33, off, s[0:3], 0 offset:8
	buffer_load_dword v34, off, s[0:3], 0 offset:12
	s_waitcnt vmcnt(3)
	buffer_store_dword v1, off, s[0:3], 0 offset:8
	s_waitcnt vmcnt(3)
	buffer_store_dword v32, off, s[0:3], 0 offset:12
	s_waitcnt vmcnt(3)
	buffer_store_dword v33, v0, s[0:3], 0 offen
	s_waitcnt vmcnt(3)
	buffer_store_dword v34, v0, s[0:3], 0 offen offset:4
.LBB14_130:
	s_or_b64 exec, exec, s[4:5]
	v_pk_mov_b32 v[0:1], s[10:11], s[10:11] op_sel:[0,1]
	flat_load_dword v32, v[0:1]
	s_nop 0
	buffer_load_dword v0, off, s[0:3], 0
	buffer_load_dword v1, off, s[0:3], 0 offset:4
	s_waitcnt vmcnt(0) lgkmcnt(0)
	v_add_u32_e32 v32, -1, v32
	v_cmp_ne_u32_e32 vcc, 0, v32
	s_and_saveexec_b64 s[4:5], vcc
	s_cbranch_execz .LBB14_132
; %bb.131:
	v_mov_b32_e32 v33, 0
	v_lshl_add_u32 v32, v32, 3, v33
	buffer_load_dword v33, v32, s[0:3], 0 offen offset:4
	buffer_load_dword v34, v32, s[0:3], 0 offen
	s_waitcnt vmcnt(1)
	buffer_store_dword v33, off, s[0:3], 0 offset:4
	s_waitcnt vmcnt(1)
	buffer_store_dword v34, off, s[0:3], 0
	buffer_store_dword v1, v32, s[0:3], 0 offen offset:4
	buffer_store_dword v0, v32, s[0:3], 0 offen
	buffer_load_dword v0, off, s[0:3], 0
	s_nop 0
	buffer_load_dword v1, off, s[0:3], 0 offset:4
.LBB14_132:
	s_or_b64 exec, exec, s[4:5]
.LBB14_133:
	buffer_load_dword v32, off, s[0:3], 0 offset:8
	buffer_load_dword v33, off, s[0:3], 0 offset:12
	;; [unrolled: 1-line block ×28, first 2 shown]
	s_waitcnt vmcnt(28)
	global_store_dwordx2 v[2:3], v[0:1], off
	s_waitcnt vmcnt(27)
	global_store_dwordx2 v[4:5], v[32:33], off
	;; [unrolled: 2-line block ×15, first 2 shown]
	s_endpgm
	.section	.rodata,"a",@progbits
	.p2align	6, 0x0
	.amdhsa_kernel _ZN9rocsolver6v33100L18getri_kernel_smallILi15E19rocblas_complex_numIfEPS3_EEvT1_iilPiilS6_bb
		.amdhsa_group_segment_fixed_size 248
		.amdhsa_private_segment_fixed_size 128
		.amdhsa_kernarg_size 60
		.amdhsa_user_sgpr_count 8
		.amdhsa_user_sgpr_private_segment_buffer 1
		.amdhsa_user_sgpr_dispatch_ptr 0
		.amdhsa_user_sgpr_queue_ptr 0
		.amdhsa_user_sgpr_kernarg_segment_ptr 1
		.amdhsa_user_sgpr_dispatch_id 0
		.amdhsa_user_sgpr_flat_scratch_init 1
		.amdhsa_user_sgpr_kernarg_preload_length 0
		.amdhsa_user_sgpr_kernarg_preload_offset 0
		.amdhsa_user_sgpr_private_segment_size 0
		.amdhsa_uses_dynamic_stack 0
		.amdhsa_system_sgpr_private_segment_wavefront_offset 1
		.amdhsa_system_sgpr_workgroup_id_x 1
		.amdhsa_system_sgpr_workgroup_id_y 0
		.amdhsa_system_sgpr_workgroup_id_z 0
		.amdhsa_system_sgpr_workgroup_info 0
		.amdhsa_system_vgpr_workitem_id 0
		.amdhsa_next_free_vgpr 97
		.amdhsa_next_free_sgpr 23
		.amdhsa_accum_offset 100
		.amdhsa_reserve_vcc 1
		.amdhsa_reserve_flat_scratch 1
		.amdhsa_float_round_mode_32 0
		.amdhsa_float_round_mode_16_64 0
		.amdhsa_float_denorm_mode_32 3
		.amdhsa_float_denorm_mode_16_64 3
		.amdhsa_dx10_clamp 1
		.amdhsa_ieee_mode 1
		.amdhsa_fp16_overflow 0
		.amdhsa_tg_split 0
		.amdhsa_exception_fp_ieee_invalid_op 0
		.amdhsa_exception_fp_denorm_src 0
		.amdhsa_exception_fp_ieee_div_zero 0
		.amdhsa_exception_fp_ieee_overflow 0
		.amdhsa_exception_fp_ieee_underflow 0
		.amdhsa_exception_fp_ieee_inexact 0
		.amdhsa_exception_int_div_zero 0
	.end_amdhsa_kernel
	.section	.text._ZN9rocsolver6v33100L18getri_kernel_smallILi15E19rocblas_complex_numIfEPS3_EEvT1_iilPiilS6_bb,"axG",@progbits,_ZN9rocsolver6v33100L18getri_kernel_smallILi15E19rocblas_complex_numIfEPS3_EEvT1_iilPiilS6_bb,comdat
.Lfunc_end14:
	.size	_ZN9rocsolver6v33100L18getri_kernel_smallILi15E19rocblas_complex_numIfEPS3_EEvT1_iilPiilS6_bb, .Lfunc_end14-_ZN9rocsolver6v33100L18getri_kernel_smallILi15E19rocblas_complex_numIfEPS3_EEvT1_iilPiilS6_bb
                                        ; -- End function
	.section	.AMDGPU.csdata,"",@progbits
; Kernel info:
; codeLenInByte = 15736
; NumSgprs: 29
; NumVgprs: 97
; NumAgprs: 0
; TotalNumVgprs: 97
; ScratchSize: 128
; MemoryBound: 0
; FloatMode: 240
; IeeeMode: 1
; LDSByteSize: 248 bytes/workgroup (compile time only)
; SGPRBlocks: 3
; VGPRBlocks: 12
; NumSGPRsForWavesPerEU: 29
; NumVGPRsForWavesPerEU: 97
; AccumOffset: 100
; Occupancy: 4
; WaveLimiterHint : 1
; COMPUTE_PGM_RSRC2:SCRATCH_EN: 1
; COMPUTE_PGM_RSRC2:USER_SGPR: 8
; COMPUTE_PGM_RSRC2:TRAP_HANDLER: 0
; COMPUTE_PGM_RSRC2:TGID_X_EN: 1
; COMPUTE_PGM_RSRC2:TGID_Y_EN: 0
; COMPUTE_PGM_RSRC2:TGID_Z_EN: 0
; COMPUTE_PGM_RSRC2:TIDIG_COMP_CNT: 0
; COMPUTE_PGM_RSRC3_GFX90A:ACCUM_OFFSET: 24
; COMPUTE_PGM_RSRC3_GFX90A:TG_SPLIT: 0
	.section	.text._ZN9rocsolver6v33100L18getri_kernel_smallILi16E19rocblas_complex_numIfEPS3_EEvT1_iilPiilS6_bb,"axG",@progbits,_ZN9rocsolver6v33100L18getri_kernel_smallILi16E19rocblas_complex_numIfEPS3_EEvT1_iilPiilS6_bb,comdat
	.globl	_ZN9rocsolver6v33100L18getri_kernel_smallILi16E19rocblas_complex_numIfEPS3_EEvT1_iilPiilS6_bb ; -- Begin function _ZN9rocsolver6v33100L18getri_kernel_smallILi16E19rocblas_complex_numIfEPS3_EEvT1_iilPiilS6_bb
	.p2align	8
	.type	_ZN9rocsolver6v33100L18getri_kernel_smallILi16E19rocblas_complex_numIfEPS3_EEvT1_iilPiilS6_bb,@function
_ZN9rocsolver6v33100L18getri_kernel_smallILi16E19rocblas_complex_numIfEPS3_EEvT1_iilPiilS6_bb: ; @_ZN9rocsolver6v33100L18getri_kernel_smallILi16E19rocblas_complex_numIfEPS3_EEvT1_iilPiilS6_bb
; %bb.0:
	s_add_u32 flat_scratch_lo, s6, s9
	s_addc_u32 flat_scratch_hi, s7, 0
	s_add_u32 s0, s0, s9
	s_addc_u32 s1, s1, 0
	v_cmp_gt_u32_e32 vcc, 16, v0
	s_and_saveexec_b64 s[6:7], vcc
	s_cbranch_execz .LBB15_78
; %bb.1:
	s_load_dword s22, s[4:5], 0x38
	s_load_dwordx4 s[16:19], s[4:5], 0x10
	s_load_dwordx4 s[12:15], s[4:5], 0x28
                                        ; implicit-def: $sgpr10_sgpr11
	s_waitcnt lgkmcnt(0)
	s_bitcmp1_b32 s22, 8
	s_cselect_b64 s[20:21], -1, 0
	s_ashr_i32 s9, s8, 31
	s_bfe_u32 s6, s22, 0x10008
	s_cmp_eq_u32 s6, 0
	s_cbranch_scc1 .LBB15_3
; %bb.2:
	s_load_dword s6, s[4:5], 0x20
	s_mul_i32 s7, s8, s13
	s_mul_hi_u32 s10, s8, s12
	s_mul_i32 s11, s9, s12
	s_add_i32 s10, s10, s7
	s_add_i32 s11, s10, s11
	s_mul_i32 s10, s8, s12
	s_waitcnt lgkmcnt(0)
	s_ashr_i32 s7, s6, 31
	s_lshl_b64 s[10:11], s[10:11], 2
	s_add_u32 s10, s18, s10
	s_addc_u32 s11, s19, s11
	s_lshl_b64 s[6:7], s[6:7], 2
	s_add_u32 s10, s10, s6
	s_addc_u32 s11, s11, s7
.LBB15_3:
	s_load_dwordx4 s[4:7], s[4:5], 0x0
	s_mul_i32 s12, s8, s17
	s_mul_hi_u32 s13, s8, s16
	s_add_i32 s17, s13, s12
	v_lshlrev_b32_e32 v38, 3, v0
	s_waitcnt lgkmcnt(0)
	s_ashr_i32 s13, s6, 31
	s_mov_b32 s12, s6
	s_mul_i32 s6, s9, s16
	s_add_i32 s17, s17, s6
	s_mul_i32 s16, s8, s16
	s_lshl_b64 s[16:17], s[16:17], 3
	s_add_u32 s6, s4, s16
	s_addc_u32 s16, s5, s17
	s_lshl_b64 s[4:5], s[12:13], 3
	s_add_u32 s4, s6, s4
	s_addc_u32 s5, s16, s5
	v_mov_b32_e32 v1, s5
	v_add_co_u32_e32 v2, vcc, s4, v38
	s_ashr_i32 s13, s7, 31
	s_mov_b32 s12, s7
	s_add_i32 s6, s7, s7
	v_addc_co_u32_e32 v3, vcc, 0, v1, vcc
	s_lshl_b64 s[12:13], s[12:13], 3
	v_add_u32_e32 v6, s6, v0
	v_mov_b32_e32 v1, s13
	v_add_co_u32_e32 v4, vcc, s12, v2
	v_ashrrev_i32_e32 v7, 31, v6
	v_addc_co_u32_e32 v5, vcc, v3, v1, vcc
	v_add_u32_e32 v8, s7, v6
	v_lshlrev_b64 v[6:7], 3, v[6:7]
	v_mov_b32_e32 v1, s5
	v_ashrrev_i32_e32 v9, 31, v8
	v_add_co_u32_e32 v6, vcc, s4, v6
	v_add_u32_e32 v10, s7, v8
	v_addc_co_u32_e32 v7, vcc, v1, v7, vcc
	v_lshlrev_b64 v[8:9], 3, v[8:9]
	v_mov_b32_e32 v13, s5
	v_ashrrev_i32_e32 v11, 31, v10
	v_add_co_u32_e32 v8, vcc, s4, v8
	v_add_u32_e32 v12, s7, v10
	v_addc_co_u32_e32 v9, vcc, v13, v9, vcc
	;; [unrolled: 6-line block ×4, first 2 shown]
	v_lshlrev_b64 v[14:15], 3, v[14:15]
	v_mov_b32_e32 v19, s5
	v_add_co_u32_e32 v14, vcc, s4, v14
	v_ashrrev_i32_e32 v17, 31, v16
	v_add_u32_e32 v18, s7, v16
	v_addc_co_u32_e32 v15, vcc, v19, v15, vcc
	v_lshlrev_b64 v[16:17], 3, v[16:17]
	v_add_co_u32_e32 v16, vcc, s4, v16
	v_ashrrev_i32_e32 v19, 31, v18
	v_add_u32_e32 v20, s7, v18
	v_addc_co_u32_e32 v17, vcc, v1, v17, vcc
	v_lshlrev_b64 v[18:19], 3, v[18:19]
	v_add_co_u32_e32 v18, vcc, s4, v18
	v_ashrrev_i32_e32 v21, 31, v20
	v_add_u32_e32 v22, s7, v20
	v_addc_co_u32_e32 v19, vcc, v1, v19, vcc
	v_lshlrev_b64 v[20:21], 3, v[20:21]
	v_add_co_u32_e32 v20, vcc, s4, v20
	v_ashrrev_i32_e32 v23, 31, v22
	v_add_u32_e32 v24, s7, v22
	v_addc_co_u32_e32 v21, vcc, v1, v21, vcc
	v_lshlrev_b64 v[22:23], 3, v[22:23]
	v_add_co_u32_e32 v22, vcc, s4, v22
	v_ashrrev_i32_e32 v25, 31, v24
	v_add_u32_e32 v26, s7, v24
	v_addc_co_u32_e32 v23, vcc, v1, v23, vcc
	v_lshlrev_b64 v[24:25], 3, v[24:25]
	v_add_co_u32_e32 v24, vcc, s4, v24
	v_ashrrev_i32_e32 v27, 31, v26
	v_add_u32_e32 v28, s7, v26
	v_addc_co_u32_e32 v25, vcc, v1, v25, vcc
	v_lshlrev_b64 v[26:27], 3, v[26:27]
	v_add_co_u32_e32 v26, vcc, s4, v26
	v_ashrrev_i32_e32 v29, 31, v28
	v_add_u32_e32 v30, s7, v28
	v_addc_co_u32_e32 v27, vcc, v1, v27, vcc
	v_lshlrev_b64 v[28:29], 3, v[28:29]
	v_add_co_u32_e32 v28, vcc, s4, v28
	v_ashrrev_i32_e32 v31, 31, v30
	v_add_u32_e32 v32, s7, v30
	v_addc_co_u32_e32 v29, vcc, v1, v29, vcc
	v_lshlrev_b64 v[30:31], 3, v[30:31]
	v_add_co_u32_e32 v30, vcc, s4, v30
	global_load_dwordx2 v[34:35], v38, s[4:5]
	global_load_dwordx2 v[36:37], v[4:5], off
	global_load_dwordx2 v[40:41], v[6:7], off
	;; [unrolled: 1-line block ×10, first 2 shown]
	v_addc_co_u32_e32 v31, vcc, v1, v31, vcc
	global_load_dwordx2 v[58:59], v[24:25], off
	global_load_dwordx2 v[60:61], v[26:27], off
	global_load_dwordx2 v[62:63], v[28:29], off
	global_load_dwordx2 v[64:65], v[30:31], off
	v_ashrrev_i32_e32 v33, 31, v32
	v_lshlrev_b64 v[32:33], 3, v[32:33]
	v_mov_b32_e32 v39, s5
	v_add_co_u32_e32 v32, vcc, s4, v32
	v_addc_co_u32_e32 v33, vcc, v39, v33, vcc
	global_load_dwordx2 v[66:67], v[32:33], off
	s_bitcmp0_b32 s22, 0
	s_mov_b64 s[6:7], -1
	s_waitcnt vmcnt(15)
	buffer_store_dword v35, off, s[0:3], 0 offset:4
	buffer_store_dword v34, off, s[0:3], 0
	s_waitcnt vmcnt(16)
	buffer_store_dword v37, off, s[0:3], 0 offset:12
	buffer_store_dword v36, off, s[0:3], 0 offset:8
	s_waitcnt vmcnt(17)
	buffer_store_dword v41, off, s[0:3], 0 offset:20
	buffer_store_dword v40, off, s[0:3], 0 offset:16
	s_waitcnt vmcnt(18)
	buffer_store_dword v43, off, s[0:3], 0 offset:28
	buffer_store_dword v42, off, s[0:3], 0 offset:24
	s_waitcnt vmcnt(19)
	buffer_store_dword v45, off, s[0:3], 0 offset:36
	buffer_store_dword v44, off, s[0:3], 0 offset:32
	s_waitcnt vmcnt(20)
	buffer_store_dword v47, off, s[0:3], 0 offset:44
	buffer_store_dword v46, off, s[0:3], 0 offset:40
	s_waitcnt vmcnt(21)
	buffer_store_dword v49, off, s[0:3], 0 offset:52
	buffer_store_dword v48, off, s[0:3], 0 offset:48
	s_waitcnt vmcnt(22)
	buffer_store_dword v51, off, s[0:3], 0 offset:60
	buffer_store_dword v50, off, s[0:3], 0 offset:56
	s_waitcnt vmcnt(23)
	buffer_store_dword v53, off, s[0:3], 0 offset:68
	buffer_store_dword v52, off, s[0:3], 0 offset:64
	s_waitcnt vmcnt(24)
	buffer_store_dword v54, off, s[0:3], 0 offset:72
	buffer_store_dword v55, off, s[0:3], 0 offset:76
	s_waitcnt vmcnt(25)
	buffer_store_dword v56, off, s[0:3], 0 offset:80
	buffer_store_dword v57, off, s[0:3], 0 offset:84
	s_waitcnt vmcnt(26)
	buffer_store_dword v58, off, s[0:3], 0 offset:88
	buffer_store_dword v59, off, s[0:3], 0 offset:92
	s_waitcnt vmcnt(27)
	buffer_store_dword v60, off, s[0:3], 0 offset:96
	buffer_store_dword v61, off, s[0:3], 0 offset:100
	s_waitcnt vmcnt(28)
	buffer_store_dword v62, off, s[0:3], 0 offset:104
	buffer_store_dword v63, off, s[0:3], 0 offset:108
	s_waitcnt vmcnt(29)
	buffer_store_dword v65, off, s[0:3], 0 offset:116
	buffer_store_dword v64, off, s[0:3], 0 offset:112
	s_waitcnt vmcnt(30)
	buffer_store_dword v66, off, s[0:3], 0 offset:120
	buffer_store_dword v67, off, s[0:3], 0 offset:124
	s_cbranch_scc1 .LBB15_76
; %bb.4:
	v_cmp_eq_u32_e64 s[4:5], 0, v0
	s_and_saveexec_b64 s[6:7], s[4:5]
	s_cbranch_execz .LBB15_6
; %bb.5:
	v_mov_b32_e32 v1, 0
	ds_write_b32 v1, v1 offset:256
.LBB15_6:
	s_or_b64 exec, exec, s[6:7]
	v_mov_b32_e32 v1, 0
	v_lshl_add_u32 v39, v0, 3, v1
	s_waitcnt lgkmcnt(0)
	; wave barrier
	s_waitcnt lgkmcnt(0)
	buffer_load_dword v1, v39, s[0:3], 0 offen
	buffer_load_dword v34, v39, s[0:3], 0 offen offset:4
	s_waitcnt vmcnt(1)
	v_cmp_eq_f32_e32 vcc, 0, v1
	s_waitcnt vmcnt(0)
	v_cmp_eq_f32_e64 s[6:7], 0, v34
	s_and_b64 s[6:7], vcc, s[6:7]
	s_and_saveexec_b64 s[12:13], s[6:7]
	s_cbranch_execz .LBB15_10
; %bb.7:
	v_mov_b32_e32 v1, 0
	ds_read_b32 v35, v1 offset:256
	v_add_u32_e32 v34, 1, v0
	s_waitcnt lgkmcnt(0)
	v_readfirstlane_b32 s6, v35
	s_cmp_eq_u32 s6, 0
	s_cselect_b64 s[16:17], -1, 0
	v_cmp_gt_i32_e32 vcc, s6, v34
	s_or_b64 s[16:17], s[16:17], vcc
	s_and_b64 exec, exec, s[16:17]
	s_cbranch_execz .LBB15_10
; %bb.8:
	s_mov_b64 s[16:17], 0
	v_mov_b32_e32 v35, s6
.LBB15_9:                               ; =>This Inner Loop Header: Depth=1
	ds_cmpst_rtn_b32 v35, v1, v35, v34 offset:256
	s_waitcnt lgkmcnt(0)
	v_cmp_ne_u32_e32 vcc, 0, v35
	v_cmp_le_i32_e64 s[6:7], v35, v34
	s_and_b64 s[6:7], vcc, s[6:7]
	s_and_b64 s[6:7], exec, s[6:7]
	s_or_b64 s[16:17], s[6:7], s[16:17]
	s_andn2_b64 exec, exec, s[16:17]
	s_cbranch_execnz .LBB15_9
.LBB15_10:
	s_or_b64 exec, exec, s[12:13]
	v_mov_b32_e32 v34, 0
	s_waitcnt lgkmcnt(0)
	; wave barrier
	ds_read_b32 v1, v34 offset:256
	s_and_saveexec_b64 s[6:7], s[4:5]
	s_cbranch_execz .LBB15_12
; %bb.11:
	s_lshl_b64 s[12:13], s[8:9], 2
	s_add_u32 s12, s14, s12
	s_addc_u32 s13, s15, s13
	s_waitcnt lgkmcnt(0)
	global_store_dword v34, v1, s[12:13]
.LBB15_12:
	s_or_b64 exec, exec, s[6:7]
	s_waitcnt lgkmcnt(0)
	v_cmp_ne_u32_e32 vcc, 0, v1
	s_mov_b64 s[6:7], 0
	s_cbranch_vccnz .LBB15_76
; %bb.13:
	buffer_load_dword v40, v39, s[0:3], 0 offen offset:4
	buffer_load_dword v35, v39, s[0:3], 0 offen
	s_waitcnt vmcnt(1)
	v_cmp_gt_f32_e32 vcc, 0, v40
	v_cndmask_b32_e64 v1, v40, -v40, vcc
	s_waitcnt vmcnt(0)
	v_cmp_gt_f32_e32 vcc, 0, v35
	v_cndmask_b32_e64 v34, v35, -v35, vcc
	v_cmp_ngt_f32_e32 vcc, v34, v1
                                        ; implicit-def: $vgpr1
                                        ; implicit-def: $vgpr34
	s_and_saveexec_b64 s[6:7], vcc
	s_xor_b64 s[6:7], exec, s[6:7]
                                        ; implicit-def: $vgpr36_vgpr37
	s_cbranch_execz .LBB15_15
; %bb.14:
	v_div_scale_f32 v1, s[12:13], v40, v40, v35
	v_rcp_f32_e32 v34, v1
	v_div_scale_f32 v36, vcc, v35, v40, v35
	v_fma_f32 v37, -v1, v34, 1.0
	v_fmac_f32_e32 v34, v37, v34
	v_mul_f32_e32 v37, v36, v34
	v_fma_f32 v41, -v1, v37, v36
	v_fmac_f32_e32 v37, v41, v34
	v_fma_f32 v1, -v1, v37, v36
	v_div_fmas_f32 v1, v1, v34, v37
	v_div_fixup_f32 v34, v1, v40, v35
	v_fmac_f32_e32 v40, v35, v34
	v_div_scale_f32 v1, s[12:13], v40, v40, -1.0
	v_rcp_f32_e32 v35, v1
	v_fma_f32 v36, -v1, v35, 1.0
	v_fmac_f32_e32 v35, v36, v35
	v_div_scale_f32 v36, vcc, -1.0, v40, -1.0
	v_mul_f32_e32 v37, v36, v35
	v_fma_f32 v41, -v1, v37, v36
	v_fmac_f32_e32 v37, v41, v35
	v_fma_f32 v1, -v1, v37, v36
	v_div_fmas_f32 v1, v1, v35, v37
	v_div_fixup_f32 v1, v1, v40, -1.0
	v_mul_f32_e32 v34, v34, v1
	v_xor_b32_e32 v36, 0x80000000, v34
                                        ; implicit-def: $vgpr35
                                        ; implicit-def: $vgpr40
.LBB15_15:
	s_andn2_saveexec_b64 s[6:7], s[6:7]
	s_cbranch_execz .LBB15_17
; %bb.16:
	v_div_scale_f32 v1, s[12:13], v35, v35, v40
	v_rcp_f32_e32 v34, v1
	v_div_scale_f32 v36, vcc, v40, v35, v40
	v_fma_f32 v37, -v1, v34, 1.0
	v_fmac_f32_e32 v34, v37, v34
	v_mul_f32_e32 v37, v36, v34
	v_fma_f32 v41, -v1, v37, v36
	v_fmac_f32_e32 v37, v41, v34
	v_fma_f32 v1, -v1, v37, v36
	v_div_fmas_f32 v1, v1, v34, v37
	v_div_fixup_f32 v1, v1, v35, v40
	v_fmac_f32_e32 v35, v40, v1
	v_div_scale_f32 v34, s[12:13], v35, v35, 1.0
	v_rcp_f32_e32 v36, v34
	v_fma_f32 v37, -v34, v36, 1.0
	v_fmac_f32_e32 v36, v37, v36
	v_div_scale_f32 v37, vcc, 1.0, v35, 1.0
	v_mul_f32_e32 v40, v37, v36
	v_fma_f32 v41, -v34, v40, v37
	v_fmac_f32_e32 v40, v41, v36
	v_fma_f32 v34, -v34, v40, v37
	v_div_fmas_f32 v34, v34, v36, v40
	v_div_fixup_f32 v36, v34, v35, 1.0
	v_xor_b32_e32 v34, 0x80000000, v36
	v_mul_f32_e64 v1, v1, -v36
.LBB15_17:
	s_or_b64 exec, exec, s[6:7]
	buffer_store_dword v1, v39, s[0:3], 0 offen offset:4
	buffer_store_dword v36, v39, s[0:3], 0 offen
	buffer_load_dword v37, off, s[0:3], 0 offset:12
	s_nop 0
	buffer_load_dword v36, off, s[0:3], 0 offset:8
	v_xor_b32_e32 v35, 0x80000000, v1
	v_add_u32_e32 v1, 0x80, v38
	s_waitcnt vmcnt(0)
	ds_write2_b64 v38, v[34:35], v[36:37] offset1:16
	s_waitcnt lgkmcnt(0)
	; wave barrier
	s_waitcnt lgkmcnt(0)
	s_and_saveexec_b64 s[6:7], s[4:5]
	s_cbranch_execz .LBB15_19
; %bb.18:
	buffer_load_dword v40, v39, s[0:3], 0 offen offset:4
	buffer_load_dword v41, v39, s[0:3], 0 offen
	ds_read_b64 v[34:35], v1
	v_mov_b32_e32 v36, 0
	ds_read_b64 v[36:37], v36 offset:8
	s_waitcnt vmcnt(1) lgkmcnt(1)
	v_mul_f32_e32 v42, v35, v40
	v_mul_f32_e32 v40, v34, v40
	s_waitcnt vmcnt(0)
	v_fmac_f32_e32 v40, v35, v41
	v_fma_f32 v34, v34, v41, -v42
	v_add_f32_e32 v35, 0, v40
	v_add_f32_e32 v34, 0, v34
	s_waitcnt lgkmcnt(0)
	v_mul_f32_e32 v40, v35, v37
	v_mul_f32_e32 v37, v34, v37
	v_fma_f32 v34, v34, v36, -v40
	v_fmac_f32_e32 v37, v35, v36
	buffer_store_dword v34, off, s[0:3], 0 offset:8
	buffer_store_dword v37, off, s[0:3], 0 offset:12
.LBB15_19:
	s_or_b64 exec, exec, s[6:7]
	s_waitcnt lgkmcnt(0)
	; wave barrier
	buffer_load_dword v34, off, s[0:3], 0 offset:16
	buffer_load_dword v35, off, s[0:3], 0 offset:20
	v_cmp_gt_u32_e32 vcc, 2, v0
	s_waitcnt vmcnt(0)
	ds_write_b64 v1, v[34:35]
	s_waitcnt lgkmcnt(0)
	; wave barrier
	s_waitcnt lgkmcnt(0)
	s_and_saveexec_b64 s[6:7], vcc
	s_cbranch_execz .LBB15_23
; %bb.20:
	buffer_load_dword v36, v39, s[0:3], 0 offen offset:4
	buffer_load_dword v37, v39, s[0:3], 0 offen
	ds_read_b64 v[34:35], v1
	s_waitcnt vmcnt(1) lgkmcnt(0)
	v_mul_f32_e32 v39, v35, v36
	v_mul_f32_e32 v36, v34, v36
	s_waitcnt vmcnt(0)
	v_fma_f32 v34, v34, v37, -v39
	v_fmac_f32_e32 v36, v35, v37
	v_add_f32_e32 v35, 0, v34
	v_add_f32_e32 v34, 0, v36
	s_and_saveexec_b64 s[12:13], s[4:5]
	s_cbranch_execz .LBB15_22
; %bb.21:
	buffer_load_dword v39, off, s[0:3], 0 offset:12
	buffer_load_dword v40, off, s[0:3], 0 offset:8
	v_mov_b32_e32 v36, 0
	ds_read_b64 v[36:37], v36 offset:136
	s_waitcnt vmcnt(1) lgkmcnt(0)
	v_mul_f32_e32 v41, v36, v39
	v_mul_f32_e32 v39, v37, v39
	s_waitcnt vmcnt(0)
	v_fmac_f32_e32 v41, v37, v40
	v_fma_f32 v36, v36, v40, -v39
	v_add_f32_e32 v34, v34, v41
	v_add_f32_e32 v35, v35, v36
.LBB15_22:
	s_or_b64 exec, exec, s[12:13]
	v_mov_b32_e32 v36, 0
	ds_read_b64 v[36:37], v36 offset:16
	s_waitcnt lgkmcnt(0)
	v_mul_f32_e32 v39, v34, v37
	v_mul_f32_e32 v37, v35, v37
	v_fma_f32 v35, v35, v36, -v39
	v_fmac_f32_e32 v37, v34, v36
	buffer_store_dword v35, off, s[0:3], 0 offset:16
	buffer_store_dword v37, off, s[0:3], 0 offset:20
.LBB15_23:
	s_or_b64 exec, exec, s[6:7]
	s_waitcnt lgkmcnt(0)
	; wave barrier
	buffer_load_dword v34, off, s[0:3], 0 offset:24
	buffer_load_dword v35, off, s[0:3], 0 offset:28
	v_cmp_gt_u32_e32 vcc, 3, v0
	s_waitcnt vmcnt(0)
	ds_write_b64 v1, v[34:35]
	v_add_u32_e32 v34, -1, v0
	s_waitcnt lgkmcnt(0)
	; wave barrier
	s_waitcnt lgkmcnt(0)
	s_and_saveexec_b64 s[4:5], vcc
	s_cbranch_execz .LBB15_27
; %bb.24:
	v_add_u32_e32 v36, -1, v0
	v_add_u32_e32 v37, 0x80, v38
	v_add_u32_e32 v39, 0, v38
	s_mov_b64 s[6:7], 0
	v_mov_b32_e32 v35, 0
	v_mov_b32_e32 v40, 0
.LBB15_25:                              ; =>This Inner Loop Header: Depth=1
	buffer_load_dword v41, v39, s[0:3], 0 offen offset:4
	buffer_load_dword v44, v39, s[0:3], 0 offen
	ds_read_b64 v[42:43], v37
	v_add_u32_e32 v36, 1, v36
	v_cmp_lt_u32_e32 vcc, 1, v36
	v_add_u32_e32 v37, 8, v37
	v_add_u32_e32 v39, 8, v39
	s_or_b64 s[6:7], vcc, s[6:7]
	s_waitcnt vmcnt(1) lgkmcnt(0)
	v_mul_f32_e32 v45, v43, v41
	v_mul_f32_e32 v41, v42, v41
	s_waitcnt vmcnt(0)
	v_fma_f32 v42, v42, v44, -v45
	v_fmac_f32_e32 v41, v43, v44
	v_add_f32_e32 v40, v40, v42
	v_add_f32_e32 v35, v35, v41
	s_andn2_b64 exec, exec, s[6:7]
	s_cbranch_execnz .LBB15_25
; %bb.26:
	s_or_b64 exec, exec, s[6:7]
	v_mov_b32_e32 v36, 0
	ds_read_b64 v[36:37], v36 offset:24
	s_waitcnt lgkmcnt(0)
	v_mul_f32_e32 v39, v35, v37
	v_mul_f32_e32 v37, v40, v37
	v_fma_f32 v39, v40, v36, -v39
	v_fmac_f32_e32 v37, v35, v36
	buffer_store_dword v39, off, s[0:3], 0 offset:24
	buffer_store_dword v37, off, s[0:3], 0 offset:28
.LBB15_27:
	s_or_b64 exec, exec, s[4:5]
	s_waitcnt lgkmcnt(0)
	; wave barrier
	buffer_load_dword v36, off, s[0:3], 0 offset:32
	buffer_load_dword v37, off, s[0:3], 0 offset:36
	v_cmp_gt_u32_e32 vcc, 4, v0
	s_waitcnt vmcnt(0)
	ds_write_b64 v1, v[36:37]
	s_waitcnt lgkmcnt(0)
	; wave barrier
	s_waitcnt lgkmcnt(0)
	s_and_saveexec_b64 s[4:5], vcc
	s_cbranch_execz .LBB15_31
; %bb.28:
	v_add_u32_e32 v36, -1, v0
	v_add_u32_e32 v37, 0x80, v38
	v_add_u32_e32 v39, 0, v38
	s_mov_b64 s[6:7], 0
	v_mov_b32_e32 v35, 0
	v_mov_b32_e32 v40, 0
.LBB15_29:                              ; =>This Inner Loop Header: Depth=1
	buffer_load_dword v41, v39, s[0:3], 0 offen offset:4
	buffer_load_dword v44, v39, s[0:3], 0 offen
	ds_read_b64 v[42:43], v37
	v_add_u32_e32 v36, 1, v36
	v_cmp_lt_u32_e32 vcc, 2, v36
	v_add_u32_e32 v37, 8, v37
	v_add_u32_e32 v39, 8, v39
	s_or_b64 s[6:7], vcc, s[6:7]
	s_waitcnt vmcnt(1) lgkmcnt(0)
	v_mul_f32_e32 v45, v43, v41
	v_mul_f32_e32 v41, v42, v41
	s_waitcnt vmcnt(0)
	v_fma_f32 v42, v42, v44, -v45
	v_fmac_f32_e32 v41, v43, v44
	v_add_f32_e32 v40, v40, v42
	v_add_f32_e32 v35, v35, v41
	s_andn2_b64 exec, exec, s[6:7]
	s_cbranch_execnz .LBB15_29
; %bb.30:
	s_or_b64 exec, exec, s[6:7]
	v_mov_b32_e32 v36, 0
	ds_read_b64 v[36:37], v36 offset:32
	s_waitcnt lgkmcnt(0)
	v_mul_f32_e32 v39, v35, v37
	v_mul_f32_e32 v37, v40, v37
	v_fma_f32 v39, v40, v36, -v39
	v_fmac_f32_e32 v37, v35, v36
	buffer_store_dword v39, off, s[0:3], 0 offset:32
	buffer_store_dword v37, off, s[0:3], 0 offset:36
.LBB15_31:
	s_or_b64 exec, exec, s[4:5]
	s_waitcnt lgkmcnt(0)
	; wave barrier
	buffer_load_dword v36, off, s[0:3], 0 offset:40
	buffer_load_dword v37, off, s[0:3], 0 offset:44
	v_cmp_gt_u32_e32 vcc, 5, v0
	s_waitcnt vmcnt(0)
	ds_write_b64 v1, v[36:37]
	;; [unrolled: 51-line block ×11, first 2 shown]
	s_waitcnt lgkmcnt(0)
	; wave barrier
	s_waitcnt lgkmcnt(0)
	s_and_saveexec_b64 s[4:5], vcc
	s_cbranch_execz .LBB15_71
; %bb.68:
	v_add_u32_e32 v36, -1, v0
	v_add_u32_e32 v37, 0x80, v38
	v_add_u32_e32 v39, 0, v38
	s_mov_b64 s[6:7], 0
	v_mov_b32_e32 v35, 0
	v_mov_b32_e32 v40, 0
.LBB15_69:                              ; =>This Inner Loop Header: Depth=1
	buffer_load_dword v41, v39, s[0:3], 0 offen offset:4
	buffer_load_dword v44, v39, s[0:3], 0 offen
	ds_read_b64 v[42:43], v37
	v_add_u32_e32 v36, 1, v36
	v_cmp_lt_u32_e32 vcc, 12, v36
	v_add_u32_e32 v37, 8, v37
	v_add_u32_e32 v39, 8, v39
	s_or_b64 s[6:7], vcc, s[6:7]
	s_waitcnt vmcnt(1) lgkmcnt(0)
	v_mul_f32_e32 v45, v43, v41
	v_mul_f32_e32 v41, v42, v41
	s_waitcnt vmcnt(0)
	v_fma_f32 v42, v42, v44, -v45
	v_fmac_f32_e32 v41, v43, v44
	v_add_f32_e32 v40, v40, v42
	v_add_f32_e32 v35, v35, v41
	s_andn2_b64 exec, exec, s[6:7]
	s_cbranch_execnz .LBB15_69
; %bb.70:
	s_or_b64 exec, exec, s[6:7]
	v_mov_b32_e32 v36, 0
	ds_read_b64 v[36:37], v36 offset:112
	s_waitcnt lgkmcnt(0)
	v_mul_f32_e32 v39, v35, v37
	v_mul_f32_e32 v37, v40, v37
	v_fma_f32 v39, v40, v36, -v39
	v_fmac_f32_e32 v37, v35, v36
	buffer_store_dword v39, off, s[0:3], 0 offset:112
	buffer_store_dword v37, off, s[0:3], 0 offset:116
.LBB15_71:
	s_or_b64 exec, exec, s[4:5]
	s_waitcnt lgkmcnt(0)
	; wave barrier
	buffer_load_dword v36, off, s[0:3], 0 offset:120
	buffer_load_dword v37, off, s[0:3], 0 offset:124
	v_cmp_ne_u32_e32 vcc, 15, v0
	s_waitcnt vmcnt(0)
	ds_write_b64 v1, v[36:37]
	s_waitcnt lgkmcnt(0)
	; wave barrier
	s_waitcnt lgkmcnt(0)
	s_and_saveexec_b64 s[4:5], vcc
	s_cbranch_execz .LBB15_75
; %bb.72:
	v_add_u32_e32 v35, 0x80, v38
	v_add_u32_e32 v36, 0, v38
	s_mov_b64 s[6:7], 0
	v_mov_b32_e32 v1, 0
	v_mov_b32_e32 v37, 0
.LBB15_73:                              ; =>This Inner Loop Header: Depth=1
	buffer_load_dword v40, v36, s[0:3], 0 offen offset:4
	buffer_load_dword v41, v36, s[0:3], 0 offen
	ds_read_b64 v[38:39], v35
	v_add_u32_e32 v34, 1, v34
	v_cmp_lt_u32_e32 vcc, 13, v34
	v_add_u32_e32 v35, 8, v35
	v_add_u32_e32 v36, 8, v36
	s_or_b64 s[6:7], vcc, s[6:7]
	s_waitcnt vmcnt(1) lgkmcnt(0)
	v_mul_f32_e32 v42, v39, v40
	v_mul_f32_e32 v40, v38, v40
	s_waitcnt vmcnt(0)
	v_fma_f32 v38, v38, v41, -v42
	v_fmac_f32_e32 v40, v39, v41
	v_add_f32_e32 v37, v37, v38
	v_add_f32_e32 v1, v1, v40
	s_andn2_b64 exec, exec, s[6:7]
	s_cbranch_execnz .LBB15_73
; %bb.74:
	s_or_b64 exec, exec, s[6:7]
	v_mov_b32_e32 v34, 0
	ds_read_b64 v[34:35], v34 offset:120
	s_waitcnt lgkmcnt(0)
	v_mul_f32_e32 v36, v1, v35
	v_mul_f32_e32 v35, v37, v35
	v_fma_f32 v36, v37, v34, -v36
	v_fmac_f32_e32 v35, v1, v34
	buffer_store_dword v36, off, s[0:3], 0 offset:120
	buffer_store_dword v35, off, s[0:3], 0 offset:124
.LBB15_75:
	s_or_b64 exec, exec, s[4:5]
	s_mov_b64 s[6:7], -1
	s_waitcnt lgkmcnt(0)
	; wave barrier
.LBB15_76:
	s_and_b64 vcc, exec, s[6:7]
	s_cbranch_vccz .LBB15_78
; %bb.77:
	s_lshl_b64 s[4:5], s[8:9], 2
	s_add_u32 s4, s14, s4
	s_addc_u32 s5, s15, s5
	v_mov_b32_e32 v1, 0
	global_load_dword v1, v1, s[4:5]
	s_waitcnt vmcnt(0)
	v_cmp_ne_u32_e32 vcc, 0, v1
	s_cbranch_vccz .LBB15_79
.LBB15_78:
	s_endpgm
.LBB15_79:
	v_mov_b32_e32 v1, 0x80
	v_lshl_add_u32 v1, v0, 3, v1
	v_cmp_eq_u32_e32 vcc, 15, v0
	s_and_saveexec_b64 s[4:5], vcc
	s_cbranch_execz .LBB15_81
; %bb.80:
	buffer_load_dword v34, off, s[0:3], 0 offset:112
	buffer_load_dword v35, off, s[0:3], 0 offset:116
	v_mov_b32_e32 v36, 0
	buffer_store_dword v36, off, s[0:3], 0 offset:112
	buffer_store_dword v36, off, s[0:3], 0 offset:116
	s_waitcnt vmcnt(2)
	ds_write_b64 v1, v[34:35]
.LBB15_81:
	s_or_b64 exec, exec, s[4:5]
	s_waitcnt lgkmcnt(0)
	; wave barrier
	s_waitcnt lgkmcnt(0)
	buffer_load_dword v37, off, s[0:3], 0 offset:124
	buffer_load_dword v36, off, s[0:3], 0 offset:120
	;; [unrolled: 1-line block ×4, first 2 shown]
	v_mov_b32_e32 v34, 0
	ds_read_b64 v[40:41], v34 offset:248
	v_cmp_lt_u32_e32 vcc, 13, v0
	s_waitcnt vmcnt(3)
	v_mov_b32_e32 v42, v37
	s_waitcnt lgkmcnt(0)
	v_pk_mul_f32 v[42:43], v[40:41], v[42:43] op_sel_hi:[1,0]
	s_waitcnt vmcnt(2)
	v_pk_fma_f32 v[44:45], v[40:41], v[36:37], v[42:43] op_sel:[0,0,1] op_sel_hi:[1,1,0] neg_lo:[0,0,1] neg_hi:[0,0,1]
	v_pk_fma_f32 v[36:37], v[40:41], v[36:37], v[42:43] op_sel:[0,0,1] op_sel_hi:[1,0,0]
	v_mov_b32_e32 v45, v37
	v_pk_add_f32 v[36:37], v[44:45], 0 op_sel_hi:[1,0]
	s_waitcnt vmcnt(0)
	v_pk_add_f32 v[36:37], v[38:39], v[36:37] neg_lo:[0,1] neg_hi:[0,1]
	buffer_store_dword v36, off, s[0:3], 0 offset:112
	buffer_store_dword v37, off, s[0:3], 0 offset:116
	s_and_saveexec_b64 s[4:5], vcc
	s_cbranch_execz .LBB15_83
; %bb.82:
	buffer_load_dword v36, off, s[0:3], 0 offset:104
	buffer_load_dword v37, off, s[0:3], 0 offset:108
	s_waitcnt vmcnt(0)
	ds_write_b64 v1, v[36:37]
	buffer_store_dword v34, off, s[0:3], 0 offset:104
	buffer_store_dword v34, off, s[0:3], 0 offset:108
.LBB15_83:
	s_or_b64 exec, exec, s[4:5]
	s_waitcnt lgkmcnt(0)
	; wave barrier
	s_waitcnt lgkmcnt(0)
	buffer_load_dword v39, off, s[0:3], 0 offset:116
	buffer_load_dword v41, off, s[0:3], 0 offset:124
	;; [unrolled: 1-line block ×6, first 2 shown]
	ds_read_b128 v[34:37], v34 offset:240
	v_cmp_lt_u32_e32 vcc, 12, v0
	s_waitcnt vmcnt(5)
	v_mov_b32_e32 v44, v39
	s_waitcnt vmcnt(4)
	v_mov_b32_e32 v46, v41
	s_waitcnt lgkmcnt(0)
	v_pk_mul_f32 v[44:45], v[34:35], v[44:45] op_sel_hi:[1,0]
	v_pk_mul_f32 v[46:47], v[36:37], v[46:47] op_sel_hi:[1,0]
	s_waitcnt vmcnt(3)
	v_pk_fma_f32 v[48:49], v[34:35], v[38:39], v[44:45] op_sel:[0,0,1] op_sel_hi:[1,1,0] neg_lo:[0,0,1] neg_hi:[0,0,1]
	v_pk_fma_f32 v[34:35], v[34:35], v[38:39], v[44:45] op_sel:[0,0,1] op_sel_hi:[1,0,0]
	s_waitcnt vmcnt(2)
	v_pk_fma_f32 v[38:39], v[36:37], v[40:41], v[46:47] op_sel:[0,0,1] op_sel_hi:[1,1,0] neg_lo:[0,0,1] neg_hi:[0,0,1]
	v_pk_fma_f32 v[36:37], v[36:37], v[40:41], v[46:47] op_sel:[0,0,1] op_sel_hi:[1,0,0]
	v_mov_b32_e32 v49, v35
	v_mov_b32_e32 v39, v37
	v_pk_add_f32 v[34:35], v[48:49], 0 op_sel_hi:[1,0]
	v_pk_add_f32 v[34:35], v[34:35], v[38:39]
	s_waitcnt vmcnt(0)
	v_pk_add_f32 v[34:35], v[42:43], v[34:35] neg_lo:[0,1] neg_hi:[0,1]
	buffer_store_dword v34, off, s[0:3], 0 offset:104
	buffer_store_dword v35, off, s[0:3], 0 offset:108
	s_and_saveexec_b64 s[4:5], vcc
	s_cbranch_execz .LBB15_85
; %bb.84:
	buffer_load_dword v34, off, s[0:3], 0 offset:96
	buffer_load_dword v35, off, s[0:3], 0 offset:100
	v_mov_b32_e32 v36, 0
	buffer_store_dword v36, off, s[0:3], 0 offset:96
	buffer_store_dword v36, off, s[0:3], 0 offset:100
	s_waitcnt vmcnt(2)
	ds_write_b64 v1, v[34:35]
.LBB15_85:
	s_or_b64 exec, exec, s[4:5]
	s_waitcnt lgkmcnt(0)
	; wave barrier
	s_waitcnt lgkmcnt(0)
	buffer_load_dword v41, off, s[0:3], 0 offset:108
	buffer_load_dword v43, off, s[0:3], 0 offset:116
	;; [unrolled: 1-line block ×8, first 2 shown]
	v_mov_b32_e32 v34, 0
	ds_read2_b64 v[36:39], v34 offset0:29 offset1:30
	ds_read_b64 v[48:49], v34 offset:248
	v_cmp_lt_u32_e32 vcc, 11, v0
	s_waitcnt vmcnt(7)
	v_mov_b32_e32 v50, v41
	s_waitcnt vmcnt(6)
	v_mov_b32_e32 v52, v43
	s_waitcnt lgkmcnt(1)
	v_pk_mul_f32 v[50:51], v[36:37], v[50:51] op_sel_hi:[1,0]
	s_waitcnt vmcnt(5)
	v_mov_b32_e32 v54, v45
	v_pk_mul_f32 v[52:53], v[38:39], v[52:53] op_sel_hi:[1,0]
	s_waitcnt vmcnt(4)
	v_pk_fma_f32 v[56:57], v[36:37], v[40:41], v[50:51] op_sel:[0,0,1] op_sel_hi:[1,1,0] neg_lo:[0,0,1] neg_hi:[0,0,1]
	v_pk_fma_f32 v[36:37], v[36:37], v[40:41], v[50:51] op_sel:[0,0,1] op_sel_hi:[1,0,0]
	s_waitcnt lgkmcnt(0)
	v_pk_mul_f32 v[54:55], v[48:49], v[54:55] op_sel_hi:[1,0]
	s_waitcnt vmcnt(3)
	v_pk_fma_f32 v[40:41], v[38:39], v[42:43], v[52:53] op_sel:[0,0,1] op_sel_hi:[1,1,0] neg_lo:[0,0,1] neg_hi:[0,0,1]
	v_pk_fma_f32 v[38:39], v[38:39], v[42:43], v[52:53] op_sel:[0,0,1] op_sel_hi:[1,0,0]
	v_mov_b32_e32 v57, v37
	s_waitcnt vmcnt(2)
	v_pk_fma_f32 v[42:43], v[48:49], v[44:45], v[54:55] op_sel:[0,0,1] op_sel_hi:[1,1,0] neg_lo:[0,0,1] neg_hi:[0,0,1]
	v_pk_fma_f32 v[44:45], v[48:49], v[44:45], v[54:55] op_sel:[0,0,1] op_sel_hi:[1,0,0]
	v_mov_b32_e32 v41, v39
	v_pk_add_f32 v[36:37], v[56:57], 0 op_sel_hi:[1,0]
	v_mov_b32_e32 v43, v45
	v_pk_add_f32 v[36:37], v[36:37], v[40:41]
	v_pk_add_f32 v[36:37], v[36:37], v[42:43]
	s_waitcnt vmcnt(0)
	v_pk_add_f32 v[36:37], v[46:47], v[36:37] neg_lo:[0,1] neg_hi:[0,1]
	buffer_store_dword v36, off, s[0:3], 0 offset:96
	buffer_store_dword v37, off, s[0:3], 0 offset:100
	s_and_saveexec_b64 s[4:5], vcc
	s_cbranch_execz .LBB15_87
; %bb.86:
	buffer_load_dword v36, off, s[0:3], 0 offset:88
	buffer_load_dword v37, off, s[0:3], 0 offset:92
	s_waitcnt vmcnt(0)
	ds_write_b64 v1, v[36:37]
	buffer_store_dword v34, off, s[0:3], 0 offset:88
	buffer_store_dword v34, off, s[0:3], 0 offset:92
.LBB15_87:
	s_or_b64 exec, exec, s[4:5]
	s_waitcnt lgkmcnt(0)
	; wave barrier
	s_waitcnt lgkmcnt(0)
	buffer_load_dword v45, off, s[0:3], 0 offset:100
	buffer_load_dword v47, off, s[0:3], 0 offset:108
	;; [unrolled: 1-line block ×10, first 2 shown]
	ds_read_b128 v[36:39], v34 offset:224
	ds_read_b128 v[40:43], v34 offset:240
	v_cmp_lt_u32_e32 vcc, 10, v0
	s_waitcnt vmcnt(9)
	v_mov_b32_e32 v34, v45
	s_waitcnt vmcnt(8)
	v_mov_b32_e32 v54, v47
	s_waitcnt lgkmcnt(1)
	v_pk_mul_f32 v[34:35], v[36:37], v[34:35] op_sel_hi:[1,0]
	s_waitcnt vmcnt(7)
	v_mov_b32_e32 v56, v49
	v_pk_mul_f32 v[54:55], v[38:39], v[54:55] op_sel_hi:[1,0]
	s_waitcnt vmcnt(5)
	v_pk_fma_f32 v[60:61], v[36:37], v[44:45], v[34:35] op_sel:[0,0,1] op_sel_hi:[1,1,0] neg_lo:[0,0,1] neg_hi:[0,0,1]
	v_pk_fma_f32 v[34:35], v[36:37], v[44:45], v[34:35] op_sel:[0,0,1] op_sel_hi:[1,0,0]
	v_mov_b32_e32 v58, v51
	s_waitcnt lgkmcnt(0)
	v_pk_mul_f32 v[56:57], v[40:41], v[56:57] op_sel_hi:[1,0]
	s_waitcnt vmcnt(4)
	v_pk_fma_f32 v[36:37], v[38:39], v[46:47], v[54:55] op_sel:[0,0,1] op_sel_hi:[1,1,0] neg_lo:[0,0,1] neg_hi:[0,0,1]
	v_pk_fma_f32 v[38:39], v[38:39], v[46:47], v[54:55] op_sel:[0,0,1] op_sel_hi:[1,0,0]
	v_mov_b32_e32 v61, v35
	v_pk_mul_f32 v[58:59], v[42:43], v[58:59] op_sel_hi:[1,0]
	s_waitcnt vmcnt(3)
	v_pk_fma_f32 v[44:45], v[40:41], v[48:49], v[56:57] op_sel:[0,0,1] op_sel_hi:[1,1,0] neg_lo:[0,0,1] neg_hi:[0,0,1]
	v_pk_fma_f32 v[40:41], v[40:41], v[48:49], v[56:57] op_sel:[0,0,1] op_sel_hi:[1,0,0]
	v_mov_b32_e32 v37, v39
	v_pk_add_f32 v[34:35], v[60:61], 0 op_sel_hi:[1,0]
	s_waitcnt vmcnt(2)
	v_pk_fma_f32 v[46:47], v[42:43], v[50:51], v[58:59] op_sel:[0,0,1] op_sel_hi:[1,1,0] neg_lo:[0,0,1] neg_hi:[0,0,1]
	v_pk_fma_f32 v[42:43], v[42:43], v[50:51], v[58:59] op_sel:[0,0,1] op_sel_hi:[1,0,0]
	v_mov_b32_e32 v45, v41
	v_pk_add_f32 v[34:35], v[34:35], v[36:37]
	v_mov_b32_e32 v47, v43
	v_pk_add_f32 v[34:35], v[34:35], v[44:45]
	v_pk_add_f32 v[34:35], v[34:35], v[46:47]
	s_waitcnt vmcnt(0)
	v_pk_add_f32 v[34:35], v[52:53], v[34:35] neg_lo:[0,1] neg_hi:[0,1]
	buffer_store_dword v34, off, s[0:3], 0 offset:88
	buffer_store_dword v35, off, s[0:3], 0 offset:92
	s_and_saveexec_b64 s[4:5], vcc
	s_cbranch_execz .LBB15_89
; %bb.88:
	buffer_load_dword v34, off, s[0:3], 0 offset:80
	buffer_load_dword v35, off, s[0:3], 0 offset:84
	v_mov_b32_e32 v36, 0
	buffer_store_dword v36, off, s[0:3], 0 offset:80
	buffer_store_dword v36, off, s[0:3], 0 offset:84
	s_waitcnt vmcnt(2)
	ds_write_b64 v1, v[34:35]
.LBB15_89:
	s_or_b64 exec, exec, s[4:5]
	s_waitcnt lgkmcnt(0)
	; wave barrier
	s_waitcnt lgkmcnt(0)
	buffer_load_dword v45, off, s[0:3], 0 offset:92
	buffer_load_dword v47, off, s[0:3], 0 offset:100
	buffer_load_dword v49, off, s[0:3], 0 offset:108
	buffer_load_dword v51, off, s[0:3], 0 offset:116
	buffer_load_dword v53, off, s[0:3], 0 offset:124
	buffer_load_dword v44, off, s[0:3], 0 offset:88
	buffer_load_dword v46, off, s[0:3], 0 offset:96
	buffer_load_dword v48, off, s[0:3], 0 offset:104
	buffer_load_dword v50, off, s[0:3], 0 offset:112
	buffer_load_dword v52, off, s[0:3], 0 offset:120
	buffer_load_dword v54, off, s[0:3], 0 offset:80
	buffer_load_dword v55, off, s[0:3], 0 offset:84
	v_mov_b32_e32 v34, 0
	ds_read2_b64 v[36:39], v34 offset0:27 offset1:28
	ds_read2_b64 v[40:43], v34 offset0:29 offset1:30
	ds_read_b64 v[56:57], v34 offset:248
	v_cmp_lt_u32_e32 vcc, 9, v0
	s_waitcnt vmcnt(11)
	v_mov_b32_e32 v58, v45
	s_waitcnt vmcnt(10)
	v_mov_b32_e32 v60, v47
	s_waitcnt lgkmcnt(2)
	v_pk_mul_f32 v[58:59], v[36:37], v[58:59] op_sel_hi:[1,0]
	s_waitcnt vmcnt(9)
	v_mov_b32_e32 v62, v49
	v_pk_mul_f32 v[60:61], v[38:39], v[60:61] op_sel_hi:[1,0]
	s_waitcnt vmcnt(6)
	v_pk_fma_f32 v[68:69], v[36:37], v[44:45], v[58:59] op_sel:[0,0,1] op_sel_hi:[1,1,0] neg_lo:[0,0,1] neg_hi:[0,0,1]
	v_pk_fma_f32 v[36:37], v[36:37], v[44:45], v[58:59] op_sel:[0,0,1] op_sel_hi:[1,0,0]
	v_mov_b32_e32 v64, v51
	s_waitcnt lgkmcnt(1)
	v_pk_mul_f32 v[62:63], v[40:41], v[62:63] op_sel_hi:[1,0]
	s_waitcnt vmcnt(5)
	v_pk_fma_f32 v[44:45], v[38:39], v[46:47], v[60:61] op_sel:[0,0,1] op_sel_hi:[1,1,0] neg_lo:[0,0,1] neg_hi:[0,0,1]
	v_pk_fma_f32 v[38:39], v[38:39], v[46:47], v[60:61] op_sel:[0,0,1] op_sel_hi:[1,0,0]
	v_mov_b32_e32 v69, v37
	v_mov_b32_e32 v66, v53
	v_pk_mul_f32 v[64:65], v[42:43], v[64:65] op_sel_hi:[1,0]
	s_waitcnt vmcnt(4)
	v_pk_fma_f32 v[46:47], v[40:41], v[48:49], v[62:63] op_sel:[0,0,1] op_sel_hi:[1,1,0] neg_lo:[0,0,1] neg_hi:[0,0,1]
	v_pk_fma_f32 v[40:41], v[40:41], v[48:49], v[62:63] op_sel:[0,0,1] op_sel_hi:[1,0,0]
	v_mov_b32_e32 v45, v39
	v_pk_add_f32 v[36:37], v[68:69], 0 op_sel_hi:[1,0]
	s_waitcnt lgkmcnt(0)
	v_pk_mul_f32 v[66:67], v[56:57], v[66:67] op_sel_hi:[1,0]
	s_waitcnt vmcnt(3)
	v_pk_fma_f32 v[48:49], v[42:43], v[50:51], v[64:65] op_sel:[0,0,1] op_sel_hi:[1,1,0] neg_lo:[0,0,1] neg_hi:[0,0,1]
	v_pk_fma_f32 v[42:43], v[42:43], v[50:51], v[64:65] op_sel:[0,0,1] op_sel_hi:[1,0,0]
	v_mov_b32_e32 v47, v41
	v_pk_add_f32 v[36:37], v[36:37], v[44:45]
	s_waitcnt vmcnt(2)
	v_pk_fma_f32 v[50:51], v[56:57], v[52:53], v[66:67] op_sel:[0,0,1] op_sel_hi:[1,1,0] neg_lo:[0,0,1] neg_hi:[0,0,1]
	v_pk_fma_f32 v[52:53], v[56:57], v[52:53], v[66:67] op_sel:[0,0,1] op_sel_hi:[1,0,0]
	v_mov_b32_e32 v49, v43
	v_pk_add_f32 v[36:37], v[36:37], v[46:47]
	v_mov_b32_e32 v51, v53
	v_pk_add_f32 v[36:37], v[36:37], v[48:49]
	v_pk_add_f32 v[36:37], v[36:37], v[50:51]
	s_waitcnt vmcnt(0)
	v_pk_add_f32 v[36:37], v[54:55], v[36:37] neg_lo:[0,1] neg_hi:[0,1]
	buffer_store_dword v36, off, s[0:3], 0 offset:80
	buffer_store_dword v37, off, s[0:3], 0 offset:84
	s_and_saveexec_b64 s[4:5], vcc
	s_cbranch_execz .LBB15_91
; %bb.90:
	buffer_load_dword v36, off, s[0:3], 0 offset:72
	buffer_load_dword v37, off, s[0:3], 0 offset:76
	s_waitcnt vmcnt(0)
	ds_write_b64 v1, v[36:37]
	buffer_store_dword v34, off, s[0:3], 0 offset:72
	buffer_store_dword v34, off, s[0:3], 0 offset:76
.LBB15_91:
	s_or_b64 exec, exec, s[4:5]
	s_waitcnt lgkmcnt(0)
	; wave barrier
	s_waitcnt lgkmcnt(0)
	buffer_load_dword v49, off, s[0:3], 0 offset:84
	buffer_load_dword v51, off, s[0:3], 0 offset:92
	;; [unrolled: 1-line block ×14, first 2 shown]
	ds_read_b128 v[36:39], v34 offset:208
	ds_read_b128 v[40:43], v34 offset:224
	;; [unrolled: 1-line block ×3, first 2 shown]
	v_cmp_lt_u32_e32 vcc, 8, v0
	s_waitcnt vmcnt(13)
	v_mov_b32_e32 v34, v49
	s_waitcnt vmcnt(12)
	v_mov_b32_e32 v62, v51
	s_waitcnt lgkmcnt(2)
	v_pk_mul_f32 v[34:35], v[36:37], v[34:35] op_sel_hi:[1,0]
	s_waitcnt vmcnt(11)
	v_mov_b32_e32 v64, v53
	v_pk_mul_f32 v[62:63], v[38:39], v[62:63] op_sel_hi:[1,0]
	s_waitcnt vmcnt(10)
	v_mov_b32_e32 v66, v55
	s_waitcnt vmcnt(7)
	v_pk_fma_f32 v[72:73], v[36:37], v[48:49], v[34:35] op_sel:[0,0,1] op_sel_hi:[1,1,0] neg_lo:[0,0,1] neg_hi:[0,0,1]
	v_pk_fma_f32 v[34:35], v[36:37], v[48:49], v[34:35] op_sel:[0,0,1] op_sel_hi:[1,0,0]
	s_waitcnt lgkmcnt(1)
	v_pk_mul_f32 v[64:65], v[40:41], v[64:65] op_sel_hi:[1,0]
	s_waitcnt vmcnt(6)
	v_pk_fma_f32 v[36:37], v[38:39], v[50:51], v[62:63] op_sel:[0,0,1] op_sel_hi:[1,1,0] neg_lo:[0,0,1] neg_hi:[0,0,1]
	v_pk_fma_f32 v[38:39], v[38:39], v[50:51], v[62:63] op_sel:[0,0,1] op_sel_hi:[1,0,0]
	v_mov_b32_e32 v73, v35
	v_mov_b32_e32 v68, v57
	v_pk_mul_f32 v[66:67], v[42:43], v[66:67] op_sel_hi:[1,0]
	s_waitcnt vmcnt(5)
	v_pk_fma_f32 v[48:49], v[40:41], v[52:53], v[64:65] op_sel:[0,0,1] op_sel_hi:[1,1,0] neg_lo:[0,0,1] neg_hi:[0,0,1]
	v_pk_fma_f32 v[40:41], v[40:41], v[52:53], v[64:65] op_sel:[0,0,1] op_sel_hi:[1,0,0]
	v_mov_b32_e32 v37, v39
	v_pk_add_f32 v[34:35], v[72:73], 0 op_sel_hi:[1,0]
	v_mov_b32_e32 v70, v59
	s_waitcnt lgkmcnt(0)
	v_pk_mul_f32 v[68:69], v[44:45], v[68:69] op_sel_hi:[1,0]
	s_waitcnt vmcnt(4)
	v_pk_fma_f32 v[50:51], v[42:43], v[54:55], v[66:67] op_sel:[0,0,1] op_sel_hi:[1,1,0] neg_lo:[0,0,1] neg_hi:[0,0,1]
	v_pk_fma_f32 v[42:43], v[42:43], v[54:55], v[66:67] op_sel:[0,0,1] op_sel_hi:[1,0,0]
	v_mov_b32_e32 v49, v41
	v_pk_add_f32 v[34:35], v[34:35], v[36:37]
	v_pk_mul_f32 v[70:71], v[46:47], v[70:71] op_sel_hi:[1,0]
	s_waitcnt vmcnt(3)
	v_pk_fma_f32 v[52:53], v[44:45], v[56:57], v[68:69] op_sel:[0,0,1] op_sel_hi:[1,1,0] neg_lo:[0,0,1] neg_hi:[0,0,1]
	v_pk_fma_f32 v[44:45], v[44:45], v[56:57], v[68:69] op_sel:[0,0,1] op_sel_hi:[1,0,0]
	v_mov_b32_e32 v51, v43
	v_pk_add_f32 v[34:35], v[34:35], v[48:49]
	s_waitcnt vmcnt(2)
	v_pk_fma_f32 v[54:55], v[46:47], v[58:59], v[70:71] op_sel:[0,0,1] op_sel_hi:[1,1,0] neg_lo:[0,0,1] neg_hi:[0,0,1]
	v_pk_fma_f32 v[46:47], v[46:47], v[58:59], v[70:71] op_sel:[0,0,1] op_sel_hi:[1,0,0]
	v_mov_b32_e32 v53, v45
	v_pk_add_f32 v[34:35], v[34:35], v[50:51]
	v_mov_b32_e32 v55, v47
	v_pk_add_f32 v[34:35], v[34:35], v[52:53]
	v_pk_add_f32 v[34:35], v[34:35], v[54:55]
	s_waitcnt vmcnt(0)
	v_pk_add_f32 v[34:35], v[60:61], v[34:35] neg_lo:[0,1] neg_hi:[0,1]
	buffer_store_dword v34, off, s[0:3], 0 offset:72
	buffer_store_dword v35, off, s[0:3], 0 offset:76
	s_and_saveexec_b64 s[4:5], vcc
	s_cbranch_execz .LBB15_93
; %bb.92:
	buffer_load_dword v34, off, s[0:3], 0 offset:64
	buffer_load_dword v35, off, s[0:3], 0 offset:68
	v_mov_b32_e32 v36, 0
	buffer_store_dword v36, off, s[0:3], 0 offset:64
	buffer_store_dword v36, off, s[0:3], 0 offset:68
	s_waitcnt vmcnt(2)
	ds_write_b64 v1, v[34:35]
.LBB15_93:
	s_or_b64 exec, exec, s[4:5]
	s_waitcnt lgkmcnt(0)
	; wave barrier
	s_waitcnt lgkmcnt(0)
	buffer_load_dword v49, off, s[0:3], 0 offset:76
	buffer_load_dword v51, off, s[0:3], 0 offset:84
	buffer_load_dword v53, off, s[0:3], 0 offset:92
	buffer_load_dword v55, off, s[0:3], 0 offset:100
	buffer_load_dword v57, off, s[0:3], 0 offset:108
	buffer_load_dword v59, off, s[0:3], 0 offset:116
	buffer_load_dword v61, off, s[0:3], 0 offset:124
	buffer_load_dword v48, off, s[0:3], 0 offset:72
	buffer_load_dword v50, off, s[0:3], 0 offset:80
	buffer_load_dword v52, off, s[0:3], 0 offset:88
	buffer_load_dword v54, off, s[0:3], 0 offset:96
	buffer_load_dword v56, off, s[0:3], 0 offset:104
	buffer_load_dword v58, off, s[0:3], 0 offset:112
	buffer_load_dword v60, off, s[0:3], 0 offset:120
	buffer_load_dword v62, off, s[0:3], 0 offset:64
	buffer_load_dword v63, off, s[0:3], 0 offset:68
	v_mov_b32_e32 v34, 0
	ds_read2_b64 v[36:39], v34 offset0:25 offset1:26
	ds_read2_b64 v[40:43], v34 offset0:27 offset1:28
	ds_read2_b64 v[44:47], v34 offset0:29 offset1:30
	ds_read_b64 v[64:65], v34 offset:248
	v_cmp_lt_u32_e32 vcc, 7, v0
	s_waitcnt vmcnt(15)
	v_mov_b32_e32 v66, v49
	s_waitcnt vmcnt(14)
	v_mov_b32_e32 v68, v51
	s_waitcnt lgkmcnt(3)
	v_pk_mul_f32 v[66:67], v[36:37], v[66:67] op_sel_hi:[1,0]
	s_waitcnt vmcnt(13)
	v_mov_b32_e32 v70, v53
	v_pk_mul_f32 v[68:69], v[38:39], v[68:69] op_sel_hi:[1,0]
	s_waitcnt vmcnt(12)
	v_mov_b32_e32 v72, v55
	s_waitcnt lgkmcnt(2)
	v_pk_mul_f32 v[70:71], v[40:41], v[70:71] op_sel_hi:[1,0]
	s_waitcnt vmcnt(8)
	v_pk_fma_f32 v[80:81], v[36:37], v[48:49], v[66:67] op_sel:[0,0,1] op_sel_hi:[1,1,0] neg_lo:[0,0,1] neg_hi:[0,0,1]
	v_pk_fma_f32 v[36:37], v[36:37], v[48:49], v[66:67] op_sel:[0,0,1] op_sel_hi:[1,0,0]
	s_waitcnt vmcnt(7)
	v_pk_fma_f32 v[48:49], v[38:39], v[50:51], v[68:69] op_sel:[0,0,1] op_sel_hi:[1,1,0] neg_lo:[0,0,1] neg_hi:[0,0,1]
	v_pk_fma_f32 v[38:39], v[38:39], v[50:51], v[68:69] op_sel:[0,0,1] op_sel_hi:[1,0,0]
	v_mov_b32_e32 v81, v37
	v_mov_b32_e32 v74, v57
	v_pk_mul_f32 v[72:73], v[42:43], v[72:73] op_sel_hi:[1,0]
	s_waitcnt vmcnt(6)
	v_pk_fma_f32 v[50:51], v[40:41], v[52:53], v[70:71] op_sel:[0,0,1] op_sel_hi:[1,1,0] neg_lo:[0,0,1] neg_hi:[0,0,1]
	v_pk_fma_f32 v[40:41], v[40:41], v[52:53], v[70:71] op_sel:[0,0,1] op_sel_hi:[1,0,0]
	v_mov_b32_e32 v49, v39
	v_pk_add_f32 v[36:37], v[80:81], 0 op_sel_hi:[1,0]
	v_mov_b32_e32 v76, v59
	s_waitcnt lgkmcnt(1)
	v_pk_mul_f32 v[74:75], v[44:45], v[74:75] op_sel_hi:[1,0]
	s_waitcnt vmcnt(5)
	v_pk_fma_f32 v[52:53], v[42:43], v[54:55], v[72:73] op_sel:[0,0,1] op_sel_hi:[1,1,0] neg_lo:[0,0,1] neg_hi:[0,0,1]
	v_pk_fma_f32 v[42:43], v[42:43], v[54:55], v[72:73] op_sel:[0,0,1] op_sel_hi:[1,0,0]
	v_mov_b32_e32 v51, v41
	v_pk_add_f32 v[36:37], v[36:37], v[48:49]
	v_mov_b32_e32 v78, v61
	v_pk_mul_f32 v[76:77], v[46:47], v[76:77] op_sel_hi:[1,0]
	s_waitcnt vmcnt(4)
	v_pk_fma_f32 v[54:55], v[44:45], v[56:57], v[74:75] op_sel:[0,0,1] op_sel_hi:[1,1,0] neg_lo:[0,0,1] neg_hi:[0,0,1]
	v_pk_fma_f32 v[44:45], v[44:45], v[56:57], v[74:75] op_sel:[0,0,1] op_sel_hi:[1,0,0]
	v_mov_b32_e32 v53, v43
	v_pk_add_f32 v[36:37], v[36:37], v[50:51]
	s_waitcnt lgkmcnt(0)
	v_pk_mul_f32 v[78:79], v[64:65], v[78:79] op_sel_hi:[1,0]
	s_waitcnt vmcnt(3)
	v_pk_fma_f32 v[56:57], v[46:47], v[58:59], v[76:77] op_sel:[0,0,1] op_sel_hi:[1,1,0] neg_lo:[0,0,1] neg_hi:[0,0,1]
	v_pk_fma_f32 v[46:47], v[46:47], v[58:59], v[76:77] op_sel:[0,0,1] op_sel_hi:[1,0,0]
	v_mov_b32_e32 v55, v45
	v_pk_add_f32 v[36:37], v[36:37], v[52:53]
	s_waitcnt vmcnt(2)
	v_pk_fma_f32 v[58:59], v[64:65], v[60:61], v[78:79] op_sel:[0,0,1] op_sel_hi:[1,1,0] neg_lo:[0,0,1] neg_hi:[0,0,1]
	v_pk_fma_f32 v[60:61], v[64:65], v[60:61], v[78:79] op_sel:[0,0,1] op_sel_hi:[1,0,0]
	v_mov_b32_e32 v57, v47
	v_pk_add_f32 v[36:37], v[36:37], v[54:55]
	v_mov_b32_e32 v59, v61
	v_pk_add_f32 v[36:37], v[36:37], v[56:57]
	v_pk_add_f32 v[36:37], v[36:37], v[58:59]
	s_waitcnt vmcnt(0)
	v_pk_add_f32 v[36:37], v[62:63], v[36:37] neg_lo:[0,1] neg_hi:[0,1]
	buffer_store_dword v36, off, s[0:3], 0 offset:64
	buffer_store_dword v37, off, s[0:3], 0 offset:68
	s_and_saveexec_b64 s[4:5], vcc
	s_cbranch_execz .LBB15_95
; %bb.94:
	buffer_load_dword v36, off, s[0:3], 0 offset:56
	buffer_load_dword v37, off, s[0:3], 0 offset:60
	s_waitcnt vmcnt(0)
	ds_write_b64 v1, v[36:37]
	buffer_store_dword v34, off, s[0:3], 0 offset:56
	buffer_store_dword v34, off, s[0:3], 0 offset:60
.LBB15_95:
	s_or_b64 exec, exec, s[4:5]
	s_waitcnt lgkmcnt(0)
	; wave barrier
	s_waitcnt lgkmcnt(0)
	buffer_load_dword v53, off, s[0:3], 0 offset:68
	buffer_load_dword v55, off, s[0:3], 0 offset:76
	;; [unrolled: 1-line block ×18, first 2 shown]
	ds_read_b128 v[36:39], v34 offset:192
	ds_read_b128 v[40:43], v34 offset:208
	;; [unrolled: 1-line block ×4, first 2 shown]
	v_cmp_lt_u32_e32 vcc, 6, v0
	s_waitcnt vmcnt(17)
	v_mov_b32_e32 v34, v53
	s_waitcnt vmcnt(16)
	v_mov_b32_e32 v70, v55
	s_waitcnt lgkmcnt(3)
	v_pk_mul_f32 v[34:35], v[36:37], v[34:35] op_sel_hi:[1,0]
	s_waitcnt vmcnt(15)
	v_mov_b32_e32 v72, v57
	v_pk_mul_f32 v[70:71], v[38:39], v[70:71] op_sel_hi:[1,0]
	s_waitcnt vmcnt(14)
	v_mov_b32_e32 v74, v59
	s_waitcnt lgkmcnt(2)
	v_pk_mul_f32 v[72:73], v[40:41], v[72:73] op_sel_hi:[1,0]
	s_waitcnt vmcnt(13)
	v_mov_b32_e32 v76, v61
	s_waitcnt vmcnt(9)
	v_pk_fma_f32 v[84:85], v[36:37], v[52:53], v[34:35] op_sel:[0,0,1] op_sel_hi:[1,1,0] neg_lo:[0,0,1] neg_hi:[0,0,1]
	v_pk_fma_f32 v[34:35], v[36:37], v[52:53], v[34:35] op_sel:[0,0,1] op_sel_hi:[1,0,0]
	s_waitcnt vmcnt(8)
	v_pk_fma_f32 v[36:37], v[38:39], v[54:55], v[70:71] op_sel:[0,0,1] op_sel_hi:[1,1,0] neg_lo:[0,0,1] neg_hi:[0,0,1]
	v_pk_fma_f32 v[38:39], v[38:39], v[54:55], v[70:71] op_sel:[0,0,1] op_sel_hi:[1,0,0]
	v_mov_b32_e32 v85, v35
	v_pk_mul_f32 v[74:75], v[42:43], v[74:75] op_sel_hi:[1,0]
	s_waitcnt vmcnt(7)
	v_pk_fma_f32 v[52:53], v[40:41], v[56:57], v[72:73] op_sel:[0,0,1] op_sel_hi:[1,1,0] neg_lo:[0,0,1] neg_hi:[0,0,1]
	v_pk_fma_f32 v[40:41], v[40:41], v[56:57], v[72:73] op_sel:[0,0,1] op_sel_hi:[1,0,0]
	v_mov_b32_e32 v37, v39
	v_pk_add_f32 v[34:35], v[84:85], 0 op_sel_hi:[1,0]
	v_mov_b32_e32 v78, v63
	s_waitcnt lgkmcnt(1)
	v_pk_mul_f32 v[76:77], v[44:45], v[76:77] op_sel_hi:[1,0]
	s_waitcnt vmcnt(6)
	v_pk_fma_f32 v[54:55], v[42:43], v[58:59], v[74:75] op_sel:[0,0,1] op_sel_hi:[1,1,0] neg_lo:[0,0,1] neg_hi:[0,0,1]
	v_pk_fma_f32 v[42:43], v[42:43], v[58:59], v[74:75] op_sel:[0,0,1] op_sel_hi:[1,0,0]
	v_mov_b32_e32 v53, v41
	v_pk_add_f32 v[34:35], v[34:35], v[36:37]
	v_mov_b32_e32 v80, v65
	v_pk_mul_f32 v[78:79], v[46:47], v[78:79] op_sel_hi:[1,0]
	s_waitcnt vmcnt(5)
	v_pk_fma_f32 v[56:57], v[44:45], v[60:61], v[76:77] op_sel:[0,0,1] op_sel_hi:[1,1,0] neg_lo:[0,0,1] neg_hi:[0,0,1]
	v_pk_fma_f32 v[44:45], v[44:45], v[60:61], v[76:77] op_sel:[0,0,1] op_sel_hi:[1,0,0]
	v_mov_b32_e32 v55, v43
	v_pk_add_f32 v[34:35], v[34:35], v[52:53]
	v_mov_b32_e32 v82, v67
	s_waitcnt lgkmcnt(0)
	v_pk_mul_f32 v[80:81], v[48:49], v[80:81] op_sel_hi:[1,0]
	s_waitcnt vmcnt(4)
	v_pk_fma_f32 v[58:59], v[46:47], v[62:63], v[78:79] op_sel:[0,0,1] op_sel_hi:[1,1,0] neg_lo:[0,0,1] neg_hi:[0,0,1]
	v_pk_fma_f32 v[46:47], v[46:47], v[62:63], v[78:79] op_sel:[0,0,1] op_sel_hi:[1,0,0]
	v_mov_b32_e32 v57, v45
	v_pk_add_f32 v[34:35], v[34:35], v[54:55]
	v_pk_mul_f32 v[82:83], v[50:51], v[82:83] op_sel_hi:[1,0]
	s_waitcnt vmcnt(3)
	v_pk_fma_f32 v[60:61], v[48:49], v[64:65], v[80:81] op_sel:[0,0,1] op_sel_hi:[1,1,0] neg_lo:[0,0,1] neg_hi:[0,0,1]
	v_pk_fma_f32 v[48:49], v[48:49], v[64:65], v[80:81] op_sel:[0,0,1] op_sel_hi:[1,0,0]
	v_mov_b32_e32 v59, v47
	v_pk_add_f32 v[34:35], v[34:35], v[56:57]
	s_waitcnt vmcnt(2)
	v_pk_fma_f32 v[62:63], v[50:51], v[66:67], v[82:83] op_sel:[0,0,1] op_sel_hi:[1,1,0] neg_lo:[0,0,1] neg_hi:[0,0,1]
	v_pk_fma_f32 v[50:51], v[50:51], v[66:67], v[82:83] op_sel:[0,0,1] op_sel_hi:[1,0,0]
	v_mov_b32_e32 v61, v49
	v_pk_add_f32 v[34:35], v[34:35], v[58:59]
	v_mov_b32_e32 v63, v51
	v_pk_add_f32 v[34:35], v[34:35], v[60:61]
	v_pk_add_f32 v[34:35], v[34:35], v[62:63]
	s_waitcnt vmcnt(0)
	v_pk_add_f32 v[34:35], v[68:69], v[34:35] neg_lo:[0,1] neg_hi:[0,1]
	buffer_store_dword v34, off, s[0:3], 0 offset:56
	buffer_store_dword v35, off, s[0:3], 0 offset:60
	s_and_saveexec_b64 s[4:5], vcc
	s_cbranch_execz .LBB15_97
; %bb.96:
	buffer_load_dword v34, off, s[0:3], 0 offset:48
	buffer_load_dword v35, off, s[0:3], 0 offset:52
	v_mov_b32_e32 v36, 0
	buffer_store_dword v36, off, s[0:3], 0 offset:48
	buffer_store_dword v36, off, s[0:3], 0 offset:52
	s_waitcnt vmcnt(2)
	ds_write_b64 v1, v[34:35]
.LBB15_97:
	s_or_b64 exec, exec, s[4:5]
	s_waitcnt lgkmcnt(0)
	; wave barrier
	s_waitcnt lgkmcnt(0)
	buffer_load_dword v35, off, s[0:3], 0 offset:60
	buffer_load_dword v53, off, s[0:3], 0 offset:68
	;; [unrolled: 1-line block ×20, first 2 shown]
	v_mov_b32_e32 v34, 0
	ds_read2_b64 v[36:39], v34 offset0:23 offset1:24
	ds_read2_b64 v[40:43], v34 offset0:25 offset1:26
	;; [unrolled: 1-line block ×4, first 2 shown]
	ds_read_b64 v[70:71], v34 offset:248
	v_cmp_lt_u32_e32 vcc, 5, v0
	s_waitcnt vmcnt(19) lgkmcnt(4)
	v_mul_f32_e32 v73, v36, v35
	v_mul_f32_e32 v35, v37, v35
	s_waitcnt vmcnt(18)
	v_mov_b32_e32 v74, v53
	s_waitcnt vmcnt(17)
	v_mov_b32_e32 v76, v55
	;; [unrolled: 2-line block ×8, first 2 shown]
	s_waitcnt vmcnt(10)
	v_fmac_f32_e32 v73, v37, v72
	v_fma_f32 v72, v36, v72, -v35
	v_pk_mul_f32 v[36:37], v[38:39], v[74:75] op_sel_hi:[1,0]
	s_waitcnt lgkmcnt(3)
	v_pk_mul_f32 v[74:75], v[40:41], v[76:77] op_sel_hi:[1,0]
	v_pk_mul_f32 v[76:77], v[42:43], v[78:79] op_sel_hi:[1,0]
	s_waitcnt lgkmcnt(2)
	v_pk_mul_f32 v[78:79], v[44:45], v[80:81] op_sel_hi:[1,0]
	;; [unrolled: 3-line block ×4, first 2 shown]
	s_waitcnt vmcnt(9)
	v_pk_fma_f32 v[88:89], v[38:39], v[52:53], v[36:37] op_sel:[0,0,1] op_sel_hi:[1,1,0] neg_lo:[0,0,1] neg_hi:[0,0,1]
	v_pk_fma_f32 v[36:37], v[38:39], v[52:53], v[36:37] op_sel:[0,0,1] op_sel_hi:[1,0,0]
	v_pk_add_f32 v[72:73], v[72:73], 0 op_sel_hi:[1,0]
	s_waitcnt vmcnt(8)
	v_pk_fma_f32 v[38:39], v[40:41], v[54:55], v[74:75] op_sel:[0,0,1] op_sel_hi:[1,1,0] neg_lo:[0,0,1] neg_hi:[0,0,1]
	v_pk_fma_f32 v[40:41], v[40:41], v[54:55], v[74:75] op_sel:[0,0,1] op_sel_hi:[1,0,0]
	v_mov_b32_e32 v89, v37
	s_waitcnt vmcnt(7)
	v_pk_fma_f32 v[52:53], v[42:43], v[56:57], v[76:77] op_sel:[0,0,1] op_sel_hi:[1,1,0] neg_lo:[0,0,1] neg_hi:[0,0,1]
	v_pk_fma_f32 v[42:43], v[42:43], v[56:57], v[76:77] op_sel:[0,0,1] op_sel_hi:[1,0,0]
	v_mov_b32_e32 v39, v41
	v_pk_add_f32 v[36:37], v[72:73], v[88:89]
	s_waitcnt vmcnt(6)
	v_pk_fma_f32 v[54:55], v[44:45], v[58:59], v[78:79] op_sel:[0,0,1] op_sel_hi:[1,1,0] neg_lo:[0,0,1] neg_hi:[0,0,1]
	v_pk_fma_f32 v[44:45], v[44:45], v[58:59], v[78:79] op_sel:[0,0,1] op_sel_hi:[1,0,0]
	v_mov_b32_e32 v53, v43
	v_pk_add_f32 v[36:37], v[36:37], v[38:39]
	;; [unrolled: 5-line block ×5, first 2 shown]
	v_pk_fma_f32 v[62:63], v[70:71], v[66:67], v[86:87] op_sel:[0,0,1] op_sel_hi:[1,1,0] neg_lo:[0,0,1] neg_hi:[0,0,1]
	v_pk_fma_f32 v[64:65], v[70:71], v[66:67], v[86:87] op_sel:[0,0,1] op_sel_hi:[1,0,0]
	v_mov_b32_e32 v61, v51
	v_pk_add_f32 v[36:37], v[36:37], v[58:59]
	v_mov_b32_e32 v63, v65
	v_pk_add_f32 v[36:37], v[36:37], v[60:61]
	v_pk_add_f32 v[36:37], v[36:37], v[62:63]
	s_waitcnt vmcnt(0)
	v_pk_add_f32 v[36:37], v[68:69], v[36:37] neg_lo:[0,1] neg_hi:[0,1]
	buffer_store_dword v36, off, s[0:3], 0 offset:48
	buffer_store_dword v37, off, s[0:3], 0 offset:52
	s_and_saveexec_b64 s[4:5], vcc
	s_cbranch_execz .LBB15_99
; %bb.98:
	buffer_load_dword v36, off, s[0:3], 0 offset:40
	buffer_load_dword v37, off, s[0:3], 0 offset:44
	s_waitcnt vmcnt(0)
	ds_write_b64 v1, v[36:37]
	buffer_store_dword v34, off, s[0:3], 0 offset:40
	buffer_store_dword v34, off, s[0:3], 0 offset:44
.LBB15_99:
	s_or_b64 exec, exec, s[4:5]
	s_waitcnt lgkmcnt(0)
	; wave barrier
	s_waitcnt lgkmcnt(0)
	buffer_load_dword v74, off, s[0:3], 0 offset:52
	buffer_load_dword v76, off, s[0:3], 0 offset:60
	;; [unrolled: 1-line block ×22, first 2 shown]
	ds_read_b128 v[36:39], v34 offset:176
	ds_read_b128 v[40:43], v34 offset:192
	;; [unrolled: 1-line block ×5, first 2 shown]
	v_cmp_lt_u32_e32 vcc, 4, v0
	s_waitcnt vmcnt(21) lgkmcnt(4)
	v_mul_f32_e32 v35, v36, v74
	s_waitcnt vmcnt(20)
	v_mul_f32_e32 v75, v38, v76
	v_mul_f32_e32 v34, v37, v74
	;; [unrolled: 1-line block ×3, first 2 shown]
	s_waitcnt vmcnt(19)
	v_mov_b32_e32 v76, v57
	s_waitcnt vmcnt(18)
	v_mov_b32_e32 v78, v59
	;; [unrolled: 2-line block ×5, first 2 shown]
	v_mov_b32_e32 v82, v63
	s_waitcnt vmcnt(11)
	v_fmac_f32_e32 v35, v37, v77
	v_fma_f32 v34, v36, v77, -v34
	s_waitcnt lgkmcnt(3)
	v_pk_mul_f32 v[36:37], v[40:41], v[76:77] op_sel_hi:[1,0]
	s_waitcnt vmcnt(10)
	v_fmac_f32_e32 v75, v39, v79
	v_fma_f32 v74, v38, v79, -v74
	v_pk_mul_f32 v[38:39], v[42:43], v[78:79] op_sel_hi:[1,0]
	s_waitcnt lgkmcnt(2)
	v_pk_mul_f32 v[76:77], v[44:45], v[80:81] op_sel_hi:[1,0]
	s_waitcnt lgkmcnt(1)
	;; [unrolled: 2-line block ×3, first 2 shown]
	v_pk_mul_f32 v[84:85], v[52:53], v[88:89] op_sel_hi:[1,0]
	v_pk_add_f32 v[34:35], v[34:35], 0 op_sel_hi:[1,0]
	s_waitcnt vmcnt(9)
	v_pk_fma_f32 v[88:89], v[40:41], v[56:57], v[36:37] op_sel:[0,0,1] op_sel_hi:[1,1,0] neg_lo:[0,0,1] neg_hi:[0,0,1]
	v_pk_fma_f32 v[36:37], v[40:41], v[56:57], v[36:37] op_sel:[0,0,1] op_sel_hi:[1,0,0]
	s_waitcnt vmcnt(8)
	v_pk_fma_f32 v[40:41], v[42:43], v[58:59], v[38:39] op_sel:[0,0,1] op_sel_hi:[1,1,0] neg_lo:[0,0,1] neg_hi:[0,0,1]
	v_pk_fma_f32 v[38:39], v[42:43], v[58:59], v[38:39] op_sel:[0,0,1] op_sel_hi:[1,0,0]
	v_pk_add_f32 v[34:35], v[34:35], v[74:75]
	v_mov_b32_e32 v89, v37
	v_pk_mul_f32 v[78:79], v[46:47], v[82:83] op_sel_hi:[1,0]
	s_waitcnt vmcnt(7)
	v_pk_fma_f32 v[42:43], v[44:45], v[60:61], v[76:77] op_sel:[0,0,1] op_sel_hi:[1,1,0] neg_lo:[0,0,1] neg_hi:[0,0,1]
	v_pk_fma_f32 v[44:45], v[44:45], v[60:61], v[76:77] op_sel:[0,0,1] op_sel_hi:[1,0,0]
	v_mov_b32_e32 v41, v39
	v_pk_add_f32 v[34:35], v[34:35], v[88:89]
	v_mov_b32_e32 v86, v67
	s_waitcnt vmcnt(6)
	v_pk_fma_f32 v[56:57], v[46:47], v[62:63], v[78:79] op_sel:[0,0,1] op_sel_hi:[1,1,0] neg_lo:[0,0,1] neg_hi:[0,0,1]
	v_pk_fma_f32 v[46:47], v[46:47], v[62:63], v[78:79] op_sel:[0,0,1] op_sel_hi:[1,0,0]
	v_mov_b32_e32 v43, v45
	v_pk_add_f32 v[34:35], v[34:35], v[40:41]
	v_pk_mul_f32 v[82:83], v[50:51], v[86:87] op_sel_hi:[1,0]
	s_waitcnt vmcnt(5)
	v_pk_fma_f32 v[58:59], v[48:49], v[64:65], v[80:81] op_sel:[0,0,1] op_sel_hi:[1,1,0] neg_lo:[0,0,1] neg_hi:[0,0,1]
	v_pk_fma_f32 v[48:49], v[48:49], v[64:65], v[80:81] op_sel:[0,0,1] op_sel_hi:[1,0,0]
	v_mov_b32_e32 v57, v47
	v_pk_add_f32 v[34:35], v[34:35], v[42:43]
	v_mov_b32_e32 v90, v71
	s_waitcnt vmcnt(2)
	v_pk_fma_f32 v[60:61], v[50:51], v[66:67], v[82:83] op_sel:[0,0,1] op_sel_hi:[1,1,0] neg_lo:[0,0,1] neg_hi:[0,0,1]
	v_pk_fma_f32 v[50:51], v[50:51], v[66:67], v[82:83] op_sel:[0,0,1] op_sel_hi:[1,0,0]
	v_mov_b32_e32 v59, v49
	v_pk_add_f32 v[34:35], v[34:35], v[56:57]
	v_pk_mul_f32 v[86:87], v[54:55], v[90:91] op_sel_hi:[1,0]
	v_pk_fma_f32 v[62:63], v[52:53], v[68:69], v[84:85] op_sel:[0,0,1] op_sel_hi:[1,1,0] neg_lo:[0,0,1] neg_hi:[0,0,1]
	v_pk_fma_f32 v[52:53], v[52:53], v[68:69], v[84:85] op_sel:[0,0,1] op_sel_hi:[1,0,0]
	v_mov_b32_e32 v61, v51
	v_pk_add_f32 v[34:35], v[34:35], v[58:59]
	v_pk_fma_f32 v[64:65], v[54:55], v[70:71], v[86:87] op_sel:[0,0,1] op_sel_hi:[1,1,0] neg_lo:[0,0,1] neg_hi:[0,0,1]
	v_pk_fma_f32 v[54:55], v[54:55], v[70:71], v[86:87] op_sel:[0,0,1] op_sel_hi:[1,0,0]
	v_mov_b32_e32 v63, v53
	v_pk_add_f32 v[34:35], v[34:35], v[60:61]
	v_mov_b32_e32 v65, v55
	v_pk_add_f32 v[34:35], v[34:35], v[62:63]
	v_pk_add_f32 v[34:35], v[34:35], v[64:65]
	s_waitcnt vmcnt(0)
	v_pk_add_f32 v[34:35], v[72:73], v[34:35] neg_lo:[0,1] neg_hi:[0,1]
	buffer_store_dword v34, off, s[0:3], 0 offset:40
	buffer_store_dword v35, off, s[0:3], 0 offset:44
	s_and_saveexec_b64 s[4:5], vcc
	s_cbranch_execz .LBB15_101
; %bb.100:
	buffer_load_dword v34, off, s[0:3], 0 offset:32
	buffer_load_dword v35, off, s[0:3], 0 offset:36
	v_mov_b32_e32 v36, 0
	buffer_store_dword v36, off, s[0:3], 0 offset:32
	buffer_store_dword v36, off, s[0:3], 0 offset:36
	s_waitcnt vmcnt(2)
	ds_write_b64 v1, v[34:35]
.LBB15_101:
	s_or_b64 exec, exec, s[4:5]
	s_waitcnt lgkmcnt(0)
	; wave barrier
	s_waitcnt lgkmcnt(0)
	buffer_load_dword v35, off, s[0:3], 0 offset:44
	buffer_load_dword v76, off, s[0:3], 0 offset:52
	;; [unrolled: 1-line block ×24, first 2 shown]
	v_mov_b32_e32 v34, 0
	ds_read2_b64 v[36:39], v34 offset0:21 offset1:22
	ds_read2_b64 v[40:43], v34 offset0:23 offset1:24
	;; [unrolled: 1-line block ×5, first 2 shown]
	ds_read_b64 v[74:75], v34 offset:248
	v_cmp_lt_u32_e32 vcc, 3, v0
	s_waitcnt vmcnt(23) lgkmcnt(5)
	v_mul_f32_e32 v89, v36, v35
	v_mul_f32_e32 v35, v37, v35
	s_waitcnt vmcnt(22)
	v_mul_f32_e32 v77, v38, v76
	s_waitcnt vmcnt(21) lgkmcnt(4)
	v_mul_f32_e32 v79, v40, v78
	v_mul_f32_e32 v76, v39, v76
	;; [unrolled: 1-line block ×3, first 2 shown]
	s_waitcnt vmcnt(20)
	v_mov_b32_e32 v80, v57
	s_waitcnt vmcnt(19)
	v_mov_b32_e32 v82, v59
	s_waitcnt vmcnt(18)
	v_mov_b32_e32 v84, v61
	s_waitcnt vmcnt(17)
	v_mov_b32_e32 v86, v63
	s_waitcnt vmcnt(16)
	v_mov_b32_e32 v88, v65
	s_waitcnt vmcnt(12)
	v_fmac_f32_e32 v89, v37, v81
	v_fma_f32 v35, v36, v81, -v35
	v_mov_b32_e32 v90, v67
	s_waitcnt vmcnt(11)
	v_fmac_f32_e32 v77, v39, v83
	s_waitcnt vmcnt(10)
	v_fmac_f32_e32 v79, v41, v85
	v_fma_f32 v76, v38, v83, -v76
	v_fma_f32 v78, v40, v85, -v78
	v_pk_mul_f32 v[36:37], v[42:43], v[80:81] op_sel_hi:[1,0]
	s_waitcnt lgkmcnt(3)
	v_pk_mul_f32 v[38:39], v[44:45], v[82:83] op_sel_hi:[1,0]
	v_pk_mul_f32 v[40:41], v[46:47], v[84:85] op_sel_hi:[1,0]
	s_waitcnt lgkmcnt(2)
	v_pk_mul_f32 v[80:81], v[48:49], v[86:87] op_sel_hi:[1,0]
	v_pk_mul_f32 v[82:83], v[50:51], v[88:89] op_sel_hi:[1,0]
	v_add_f32_e32 v89, 0, v89
	v_add_f32_e32 v88, 0, v35
	s_waitcnt lgkmcnt(1)
	v_pk_mul_f32 v[84:85], v[52:53], v[90:91] op_sel_hi:[1,0]
	s_waitcnt vmcnt(9)
	v_pk_fma_f32 v[90:91], v[42:43], v[56:57], v[36:37] op_sel:[0,0,1] op_sel_hi:[1,1,0] neg_lo:[0,0,1] neg_hi:[0,0,1]
	v_pk_fma_f32 v[36:37], v[42:43], v[56:57], v[36:37] op_sel:[0,0,1] op_sel_hi:[1,0,0]
	s_waitcnt vmcnt(8)
	v_pk_fma_f32 v[42:43], v[44:45], v[58:59], v[38:39] op_sel:[0,0,1] op_sel_hi:[1,1,0] neg_lo:[0,0,1] neg_hi:[0,0,1]
	v_pk_fma_f32 v[38:39], v[44:45], v[58:59], v[38:39] op_sel:[0,0,1] op_sel_hi:[1,0,0]
	;; [unrolled: 3-line block ×4, first 2 shown]
	v_pk_add_f32 v[62:63], v[88:89], v[76:77]
	v_mov_b32_e32 v91, v37
	v_pk_add_f32 v[36:37], v[62:63], v[78:79]
	v_mov_b32_e32 v43, v39
	;; [unrolled: 2-line block ×4, first 2 shown]
	s_waitcnt vmcnt(2)
	v_pk_fma_f32 v[56:57], v[50:51], v[64:65], v[82:83] op_sel:[0,0,1] op_sel_hi:[1,1,0] neg_lo:[0,0,1] neg_hi:[0,0,1]
	v_pk_fma_f32 v[50:51], v[50:51], v[64:65], v[82:83] op_sel:[0,0,1] op_sel_hi:[1,0,0]
	v_mov_b32_e32 v47, v49
	v_pk_add_f32 v[36:37], v[36:37], v[44:45]
	v_mov_b32_e32 v94, v71
	v_pk_mul_f32 v[86:87], v[54:55], v[92:93] op_sel_hi:[1,0]
	v_pk_fma_f32 v[58:59], v[52:53], v[66:67], v[84:85] op_sel:[0,0,1] op_sel_hi:[1,1,0] neg_lo:[0,0,1] neg_hi:[0,0,1]
	v_pk_fma_f32 v[52:53], v[52:53], v[66:67], v[84:85] op_sel:[0,0,1] op_sel_hi:[1,0,0]
	v_mov_b32_e32 v57, v51
	v_pk_add_f32 v[36:37], v[36:37], v[46:47]
	v_pk_fma_f32 v[60:61], v[54:55], v[68:69], v[86:87] op_sel:[0,0,1] op_sel_hi:[1,1,0] neg_lo:[0,0,1] neg_hi:[0,0,1]
	v_pk_fma_f32 v[54:55], v[54:55], v[68:69], v[86:87] op_sel:[0,0,1] op_sel_hi:[1,0,0]
	v_mov_b32_e32 v59, v53
	v_pk_add_f32 v[36:37], v[36:37], v[56:57]
	s_waitcnt lgkmcnt(0)
	v_pk_mul_f32 v[38:39], v[74:75], v[94:95] op_sel_hi:[1,0]
	v_mov_b32_e32 v61, v55
	v_pk_add_f32 v[36:37], v[36:37], v[58:59]
	v_pk_fma_f32 v[40:41], v[74:75], v[70:71], v[38:39] op_sel:[0,0,1] op_sel_hi:[1,1,0] neg_lo:[0,0,1] neg_hi:[0,0,1]
	v_pk_fma_f32 v[38:39], v[74:75], v[70:71], v[38:39] op_sel:[0,0,1] op_sel_hi:[1,0,0]
	v_pk_add_f32 v[36:37], v[36:37], v[60:61]
	v_mov_b32_e32 v41, v39
	v_pk_add_f32 v[36:37], v[36:37], v[40:41]
	s_waitcnt vmcnt(0)
	v_pk_add_f32 v[36:37], v[72:73], v[36:37] neg_lo:[0,1] neg_hi:[0,1]
	buffer_store_dword v37, off, s[0:3], 0 offset:36
	buffer_store_dword v36, off, s[0:3], 0 offset:32
	s_and_saveexec_b64 s[4:5], vcc
	s_cbranch_execz .LBB15_103
; %bb.102:
	buffer_load_dword v36, off, s[0:3], 0 offset:24
	buffer_load_dword v37, off, s[0:3], 0 offset:28
	s_waitcnt vmcnt(0)
	ds_write_b64 v1, v[36:37]
	buffer_store_dword v34, off, s[0:3], 0 offset:24
	buffer_store_dword v34, off, s[0:3], 0 offset:28
.LBB15_103:
	s_or_b64 exec, exec, s[4:5]
	s_waitcnt lgkmcnt(0)
	; wave barrier
	s_waitcnt lgkmcnt(0)
	buffer_load_dword v78, off, s[0:3], 0 offset:36
	buffer_load_dword v80, off, s[0:3], 0 offset:44
	;; [unrolled: 1-line block ×26, first 2 shown]
	ds_read_b128 v[36:39], v34 offset:160
	ds_read_b128 v[40:43], v34 offset:176
	;; [unrolled: 1-line block ×6, first 2 shown]
	v_cmp_lt_u32_e32 vcc, 2, v0
	s_waitcnt vmcnt(25) lgkmcnt(5)
	v_mul_f32_e32 v91, v36, v78
	v_mul_f32_e32 v34, v37, v78
	s_waitcnt vmcnt(24)
	v_mul_f32_e32 v92, v38, v80
	s_waitcnt vmcnt(23) lgkmcnt(4)
	v_mul_f32_e32 v35, v40, v81
	s_waitcnt vmcnt(22)
	v_mul_f32_e32 v79, v42, v82
	v_mul_f32_e32 v78, v39, v80
	;; [unrolled: 1-line block ×4, first 2 shown]
	s_waitcnt vmcnt(21)
	v_mov_b32_e32 v80, v61
	s_waitcnt vmcnt(20)
	v_mov_b32_e32 v82, v63
	;; [unrolled: 2-line block ×3, first 2 shown]
	s_waitcnt vmcnt(15)
	v_fmac_f32_e32 v91, v37, v83
	v_fma_f32 v94, v36, v83, -v34
	v_mov_b32_e32 v84, v65
	s_waitcnt vmcnt(14)
	v_fmac_f32_e32 v92, v39, v85
	s_waitcnt vmcnt(13)
	v_fmac_f32_e32 v35, v41, v87
	;; [unrolled: 2-line block ×3, first 2 shown]
	v_fma_f32 v95, v38, v85, -v78
	v_fma_f32 v34, v40, v87, -v81
	;; [unrolled: 1-line block ×3, first 2 shown]
	s_waitcnt lgkmcnt(3)
	v_pk_mul_f32 v[36:37], v[44:45], v[80:81] op_sel_hi:[1,0]
	v_pk_mul_f32 v[38:39], v[46:47], v[82:83] op_sel_hi:[1,0]
	s_waitcnt lgkmcnt(2)
	v_pk_mul_f32 v[42:43], v[50:51], v[86:87] op_sel_hi:[1,0]
	v_add_f32_e32 v86, 0, v91
	v_add_f32_e32 v87, 0, v94
	v_pk_mul_f32 v[40:41], v[48:49], v[84:85] op_sel_hi:[1,0]
	s_waitcnt vmcnt(11)
	v_pk_fma_f32 v[84:85], v[44:45], v[60:61], v[36:37] op_sel:[0,0,1] op_sel_hi:[1,1,0] neg_lo:[0,0,1] neg_hi:[0,0,1]
	v_pk_fma_f32 v[36:37], v[44:45], v[60:61], v[36:37] op_sel:[0,0,1] op_sel_hi:[1,0,0]
	s_waitcnt vmcnt(10)
	v_pk_fma_f32 v[44:45], v[46:47], v[62:63], v[38:39] op_sel:[0,0,1] op_sel_hi:[1,1,0] neg_lo:[0,0,1] neg_hi:[0,0,1]
	v_pk_fma_f32 v[38:39], v[46:47], v[62:63], v[38:39] op_sel:[0,0,1] op_sel_hi:[1,0,0]
	v_add_f32_e32 v63, v86, v92
	v_add_f32_e32 v62, v87, v95
	v_pk_add_f32 v[34:35], v[62:63], v[34:35]
	v_mov_b32_e32 v85, v37
	v_pk_add_f32 v[34:35], v[34:35], v[78:79]
	v_mov_b32_e32 v88, v69
	s_waitcnt vmcnt(9)
	v_pk_fma_f32 v[46:47], v[48:49], v[64:65], v[40:41] op_sel:[0,0,1] op_sel_hi:[1,1,0] neg_lo:[0,0,1] neg_hi:[0,0,1]
	v_pk_fma_f32 v[40:41], v[48:49], v[64:65], v[40:41] op_sel:[0,0,1] op_sel_hi:[1,0,0]
	v_mov_b32_e32 v45, v39
	v_pk_add_f32 v[34:35], v[34:35], v[84:85]
	v_mov_b32_e32 v90, v71
	s_waitcnt lgkmcnt(1)
	v_pk_mul_f32 v[80:81], v[52:53], v[88:89] op_sel_hi:[1,0]
	s_waitcnt vmcnt(5)
	v_pk_fma_f32 v[48:49], v[50:51], v[66:67], v[42:43] op_sel:[0,0,1] op_sel_hi:[1,1,0] neg_lo:[0,0,1] neg_hi:[0,0,1]
	v_pk_fma_f32 v[42:43], v[50:51], v[66:67], v[42:43] op_sel:[0,0,1] op_sel_hi:[1,0,0]
	v_mov_b32_e32 v47, v41
	v_pk_add_f32 v[34:35], v[34:35], v[44:45]
	s_waitcnt vmcnt(4)
	v_mov_b32_e32 v36, v73
	v_pk_mul_f32 v[82:83], v[54:55], v[90:91] op_sel_hi:[1,0]
	v_pk_fma_f32 v[50:51], v[52:53], v[68:69], v[80:81] op_sel:[0,0,1] op_sel_hi:[1,1,0] neg_lo:[0,0,1] neg_hi:[0,0,1]
	v_pk_fma_f32 v[52:53], v[52:53], v[68:69], v[80:81] op_sel:[0,0,1] op_sel_hi:[1,0,0]
	v_mov_b32_e32 v49, v43
	v_pk_add_f32 v[34:35], v[34:35], v[46:47]
	s_waitcnt lgkmcnt(0)
	v_pk_mul_f32 v[36:37], v[56:57], v[36:37] op_sel_hi:[1,0]
	v_pk_fma_f32 v[60:61], v[54:55], v[70:71], v[82:83] op_sel:[0,0,1] op_sel_hi:[1,1,0] neg_lo:[0,0,1] neg_hi:[0,0,1]
	v_pk_fma_f32 v[54:55], v[54:55], v[70:71], v[82:83] op_sel:[0,0,1] op_sel_hi:[1,0,0]
	v_mov_b32_e32 v51, v53
	v_pk_add_f32 v[34:35], v[34:35], v[48:49]
	v_pk_fma_f32 v[38:39], v[56:57], v[72:73], v[36:37] op_sel:[0,0,1] op_sel_hi:[1,1,0] neg_lo:[0,0,1] neg_hi:[0,0,1]
	v_pk_fma_f32 v[36:37], v[56:57], v[72:73], v[36:37] op_sel:[0,0,1] op_sel_hi:[1,0,0]
	v_mov_b32_e32 v61, v55
	v_pk_add_f32 v[34:35], v[34:35], v[50:51]
	s_waitcnt vmcnt(3)
	v_mov_b32_e32 v36, v75
	v_pk_add_f32 v[34:35], v[34:35], v[60:61]
	v_mov_b32_e32 v39, v37
	v_pk_mul_f32 v[36:37], v[58:59], v[36:37] op_sel_hi:[1,0]
	v_pk_add_f32 v[34:35], v[34:35], v[38:39]
	s_waitcnt vmcnt(2)
	v_pk_fma_f32 v[38:39], v[58:59], v[74:75], v[36:37] op_sel:[0,0,1] op_sel_hi:[1,1,0] neg_lo:[0,0,1] neg_hi:[0,0,1]
	v_pk_fma_f32 v[36:37], v[58:59], v[74:75], v[36:37] op_sel:[0,0,1] op_sel_hi:[1,0,0]
	v_mov_b32_e32 v39, v37
	v_pk_add_f32 v[34:35], v[34:35], v[38:39]
	s_waitcnt vmcnt(0)
	v_pk_add_f32 v[34:35], v[76:77], v[34:35] neg_lo:[0,1] neg_hi:[0,1]
	buffer_store_dword v35, off, s[0:3], 0 offset:28
	buffer_store_dword v34, off, s[0:3], 0 offset:24
	s_and_saveexec_b64 s[4:5], vcc
	s_cbranch_execz .LBB15_105
; %bb.104:
	buffer_load_dword v34, off, s[0:3], 0 offset:16
	buffer_load_dword v35, off, s[0:3], 0 offset:20
	v_mov_b32_e32 v36, 0
	buffer_store_dword v36, off, s[0:3], 0 offset:16
	buffer_store_dword v36, off, s[0:3], 0 offset:20
	s_waitcnt vmcnt(2)
	ds_write_b64 v1, v[34:35]
.LBB15_105:
	s_or_b64 exec, exec, s[4:5]
	s_waitcnt lgkmcnt(0)
	; wave barrier
	s_waitcnt lgkmcnt(0)
	buffer_load_dword v35, off, s[0:3], 0 offset:28
	buffer_load_dword v80, off, s[0:3], 0 offset:36
	;; [unrolled: 1-line block ×28, first 2 shown]
	v_mov_b32_e32 v34, 0
	ds_read2_b64 v[36:39], v34 offset0:19 offset1:20
	ds_read2_b64 v[40:43], v34 offset0:21 offset1:22
	ds_read2_b64 v[44:47], v34 offset0:23 offset1:24
	ds_read2_b64 v[48:51], v34 offset0:25 offset1:26
	ds_read2_b64 v[52:55], v34 offset0:27 offset1:28
	ds_read2_b64 v[56:59], v34 offset0:29 offset1:30
	ds_read_b64 v[78:79], v34 offset:248
	v_cmp_lt_u32_e32 vcc, 1, v0
	s_waitcnt vmcnt(27) lgkmcnt(6)
	v_mul_f32_e32 v95, v36, v35
	v_mul_f32_e32 v35, v37, v35
	s_waitcnt vmcnt(26)
	v_mul_f32_e32 v96, v38, v80
	s_waitcnt vmcnt(24) lgkmcnt(5)
	v_mul_f32_e32 v81, v42, v84
	s_waitcnt vmcnt(23) lgkmcnt(4)
	v_mul_f32_e32 v83, v44, v85
	v_mul_f32_e32 v98, v43, v84
	;; [unrolled: 1-line block ×3, first 2 shown]
	s_waitcnt vmcnt(22)
	v_mov_b32_e32 v84, v61
	v_mul_f32_e32 v97, v40, v82
	v_mul_f32_e32 v80, v39, v80
	;; [unrolled: 1-line block ×3, first 2 shown]
	s_waitcnt vmcnt(17)
	v_fmac_f32_e32 v95, v37, v87
	v_fma_f32 v35, v36, v87, -v35
	v_pk_mul_f32 v[36:37], v[46:47], v[84:85] op_sel_hi:[1,0]
	s_waitcnt vmcnt(16)
	v_fmac_f32_e32 v96, v39, v89
	s_waitcnt vmcnt(13)
	v_fmac_f32_e32 v83, v45, v94
	v_fma_f32 v87, v38, v89, -v80
	v_fma_f32 v89, v40, v91, -v82
	;; [unrolled: 1-line block ×3, first 2 shown]
	v_add_f32_e32 v84, 0, v95
	v_add_f32_e32 v35, 0, v35
	s_waitcnt vmcnt(12)
	v_pk_fma_f32 v[44:45], v[46:47], v[60:61], v[36:37] op_sel:[0,0,1] op_sel_hi:[1,1,0] neg_lo:[0,0,1] neg_hi:[0,0,1]
	v_pk_fma_f32 v[36:37], v[46:47], v[60:61], v[36:37] op_sel:[0,0,1] op_sel_hi:[1,0,0]
	v_fmac_f32_e32 v97, v41, v91
	v_add_f32_e32 v36, v84, v96
	v_add_f32_e32 v35, v35, v87
	v_mov_b32_e32 v86, v63
	v_fmac_f32_e32 v81, v43, v93
	v_fma_f32 v80, v42, v93, -v98
	v_mov_b32_e32 v45, v37
	v_add_f32_e32 v37, v36, v97
	v_add_f32_e32 v36, v35, v89
	v_mov_b32_e32 v88, v65
	s_waitcnt lgkmcnt(3)
	v_pk_mul_f32 v[38:39], v[48:49], v[86:87] op_sel_hi:[1,0]
	v_pk_add_f32 v[36:37], v[36:37], v[80:81]
	v_mov_b32_e32 v90, v67
	v_mov_b32_e32 v92, v69
	v_pk_mul_f32 v[40:41], v[50:51], v[88:89] op_sel_hi:[1,0]
	s_waitcnt vmcnt(11)
	v_pk_fma_f32 v[46:47], v[48:49], v[62:63], v[38:39] op_sel:[0,0,1] op_sel_hi:[1,1,0] neg_lo:[0,0,1] neg_hi:[0,0,1]
	v_pk_fma_f32 v[38:39], v[48:49], v[62:63], v[38:39] op_sel:[0,0,1] op_sel_hi:[1,0,0]
	v_pk_add_f32 v[36:37], v[36:37], v[82:83]
	s_waitcnt lgkmcnt(2)
	v_pk_mul_f32 v[42:43], v[52:53], v[90:91] op_sel_hi:[1,0]
	s_waitcnt vmcnt(10)
	v_pk_fma_f32 v[48:49], v[50:51], v[64:65], v[40:41] op_sel:[0,0,1] op_sel_hi:[1,1,0] neg_lo:[0,0,1] neg_hi:[0,0,1]
	v_pk_fma_f32 v[40:41], v[50:51], v[64:65], v[40:41] op_sel:[0,0,1] op_sel_hi:[1,0,0]
	v_mov_b32_e32 v47, v39
	v_pk_add_f32 v[36:37], v[36:37], v[44:45]
	v_pk_mul_f32 v[38:39], v[54:55], v[92:93] op_sel_hi:[1,0]
	s_waitcnt vmcnt(9)
	v_pk_fma_f32 v[50:51], v[52:53], v[66:67], v[42:43] op_sel:[0,0,1] op_sel_hi:[1,1,0] neg_lo:[0,0,1] neg_hi:[0,0,1]
	v_pk_fma_f32 v[42:43], v[52:53], v[66:67], v[42:43] op_sel:[0,0,1] op_sel_hi:[1,0,0]
	v_mov_b32_e32 v49, v41
	v_pk_add_f32 v[36:37], v[36:37], v[46:47]
	s_waitcnt vmcnt(8)
	v_pk_fma_f32 v[40:41], v[54:55], v[68:69], v[38:39] op_sel:[0,0,1] op_sel_hi:[1,1,0] neg_lo:[0,0,1] neg_hi:[0,0,1]
	v_pk_fma_f32 v[38:39], v[54:55], v[68:69], v[38:39] op_sel:[0,0,1] op_sel_hi:[1,0,0]
	v_mov_b32_e32 v51, v43
	v_pk_add_f32 v[36:37], v[36:37], v[48:49]
	s_waitcnt vmcnt(7)
	v_mov_b32_e32 v38, v71
	v_pk_add_f32 v[36:37], v[36:37], v[50:51]
	v_mov_b32_e32 v41, v39
	s_waitcnt lgkmcnt(1)
	v_pk_mul_f32 v[38:39], v[56:57], v[38:39] op_sel_hi:[1,0]
	v_pk_add_f32 v[36:37], v[36:37], v[40:41]
	s_waitcnt vmcnt(6)
	v_pk_fma_f32 v[40:41], v[56:57], v[70:71], v[38:39] op_sel:[0,0,1] op_sel_hi:[1,1,0] neg_lo:[0,0,1] neg_hi:[0,0,1]
	v_pk_fma_f32 v[38:39], v[56:57], v[70:71], v[38:39] op_sel:[0,0,1] op_sel_hi:[1,0,0]
	s_waitcnt vmcnt(5)
	v_mov_b32_e32 v38, v73
	v_mov_b32_e32 v41, v39
	v_pk_mul_f32 v[38:39], v[58:59], v[38:39] op_sel_hi:[1,0]
	v_pk_add_f32 v[36:37], v[36:37], v[40:41]
	s_waitcnt vmcnt(4)
	v_pk_fma_f32 v[40:41], v[58:59], v[72:73], v[38:39] op_sel:[0,0,1] op_sel_hi:[1,1,0] neg_lo:[0,0,1] neg_hi:[0,0,1]
	v_pk_fma_f32 v[38:39], v[58:59], v[72:73], v[38:39] op_sel:[0,0,1] op_sel_hi:[1,0,0]
	s_waitcnt vmcnt(2)
	v_mov_b32_e32 v38, v75
	v_mov_b32_e32 v41, v39
	s_waitcnt lgkmcnt(0)
	v_pk_mul_f32 v[38:39], v[78:79], v[38:39] op_sel_hi:[1,0]
	v_pk_add_f32 v[36:37], v[36:37], v[40:41]
	v_pk_fma_f32 v[40:41], v[78:79], v[74:75], v[38:39] op_sel:[0,0,1] op_sel_hi:[1,1,0] neg_lo:[0,0,1] neg_hi:[0,0,1]
	v_pk_fma_f32 v[38:39], v[78:79], v[74:75], v[38:39] op_sel:[0,0,1] op_sel_hi:[1,0,0]
	v_mov_b32_e32 v41, v39
	v_pk_add_f32 v[36:37], v[36:37], v[40:41]
	s_waitcnt vmcnt(0)
	v_pk_add_f32 v[36:37], v[76:77], v[36:37] neg_lo:[0,1] neg_hi:[0,1]
	buffer_store_dword v37, off, s[0:3], 0 offset:20
	buffer_store_dword v36, off, s[0:3], 0 offset:16
	s_and_saveexec_b64 s[4:5], vcc
	s_cbranch_execz .LBB15_107
; %bb.106:
	buffer_load_dword v36, off, s[0:3], 0 offset:8
	buffer_load_dword v37, off, s[0:3], 0 offset:12
	s_waitcnt vmcnt(0)
	ds_write_b64 v1, v[36:37]
	buffer_store_dword v34, off, s[0:3], 0 offset:8
	buffer_store_dword v34, off, s[0:3], 0 offset:12
.LBB15_107:
	s_or_b64 exec, exec, s[4:5]
	s_waitcnt lgkmcnt(0)
	; wave barrier
	s_waitcnt lgkmcnt(0)
	buffer_load_dword v82, off, s[0:3], 0 offset:20
	buffer_load_dword v84, off, s[0:3], 0 offset:28
	;; [unrolled: 1-line block ×30, first 2 shown]
	ds_read_b128 v[36:39], v34 offset:144
	ds_read_b128 v[40:43], v34 offset:160
	;; [unrolled: 1-line block ×7, first 2 shown]
	v_cmp_ne_u32_e32 vcc, 0, v0
	s_waitcnt vmcnt(29) lgkmcnt(6)
	v_mul_f32_e32 v95, v36, v82
	s_waitcnt vmcnt(28)
	v_mul_f32_e32 v96, v38, v84
	s_waitcnt vmcnt(27) lgkmcnt(5)
	v_mul_f32_e32 v97, v40, v85
	v_mul_f32_e32 v85, v41, v85
	s_waitcnt vmcnt(26)
	v_mul_f32_e32 v98, v42, v86
	s_waitcnt vmcnt(25) lgkmcnt(4)
	v_mul_f32_e32 v35, v44, v87
	v_mul_f32_e32 v34, v37, v82
	;; [unrolled: 1-line block ×5, first 2 shown]
	s_waitcnt vmcnt(23)
	v_mov_b32_e32 v84, v65
	s_waitcnt vmcnt(22)
	v_mov_b32_e32 v86, v67
	s_waitcnt vmcnt(18)
	v_fma_f32 v85, v40, v91, -v85
	v_fmac_f32_e32 v95, v37, v89
	v_fmac_f32_e32 v96, v39, v90
	s_waitcnt vmcnt(17)
	v_fmac_f32_e32 v98, v43, v92
	v_fma_f32 v43, v36, v89, -v34
	v_fma_f32 v89, v38, v90, -v82
	s_waitcnt lgkmcnt(3)
	v_pk_mul_f32 v[36:37], v[48:49], v[84:85] op_sel_hi:[1,0]
	v_pk_mul_f32 v[38:39], v[50:51], v[86:87] op_sel_hi:[1,0]
	s_waitcnt vmcnt(16)
	v_fmac_f32_e32 v35, v45, v93
	v_fma_f32 v90, v42, v92, -v99
	v_fma_f32 v34, v44, v93, -v87
	v_add_f32_e32 v84, 0, v95
	v_add_f32_e32 v86, 0, v43
	s_waitcnt vmcnt(14)
	v_pk_fma_f32 v[42:43], v[48:49], v[64:65], v[36:37] op_sel:[0,0,1] op_sel_hi:[1,1,0] neg_lo:[0,0,1] neg_hi:[0,0,1]
	v_pk_fma_f32 v[36:37], v[48:49], v[64:65], v[36:37] op_sel:[0,0,1] op_sel_hi:[1,0,0]
	s_waitcnt vmcnt(10)
	v_pk_fma_f32 v[44:45], v[50:51], v[66:67], v[38:39] op_sel:[0,0,1] op_sel_hi:[1,1,0] neg_lo:[0,0,1] neg_hi:[0,0,1]
	v_pk_fma_f32 v[38:39], v[50:51], v[66:67], v[38:39] op_sel:[0,0,1] op_sel_hi:[1,0,0]
	v_fmac_f32_e32 v97, v41, v91
	v_add_f32_e32 v36, v84, v96
	v_add_f32_e32 v38, v86, v89
	;; [unrolled: 1-line block ×4, first 2 shown]
	v_mul_f32_e32 v83, v46, v88
	v_mul_f32_e32 v100, v47, v88
	v_mov_b32_e32 v43, v37
	v_add_f32_e32 v37, v36, v98
	v_add_f32_e32 v36, v38, v90
	v_mov_b32_e32 v88, v69
	v_fmac_f32_e32 v83, v47, v94
	v_fma_f32 v82, v46, v94, -v100
	v_pk_add_f32 v[34:35], v[36:37], v[34:35]
	s_waitcnt vmcnt(9)
	v_mov_b32_e32 v36, v73
	s_waitcnt lgkmcnt(2)
	v_pk_mul_f32 v[40:41], v[52:53], v[88:89] op_sel_hi:[1,0]
	v_pk_add_f32 v[34:35], v[34:35], v[82:83]
	v_pk_mul_f32 v[36:37], v[54:55], v[36:37] op_sel_hi:[1,0]
	v_pk_fma_f32 v[46:47], v[52:53], v[68:69], v[40:41] op_sel:[0,0,1] op_sel_hi:[1,1,0] neg_lo:[0,0,1] neg_hi:[0,0,1]
	v_pk_fma_f32 v[40:41], v[52:53], v[68:69], v[40:41] op_sel:[0,0,1] op_sel_hi:[1,0,0]
	v_mov_b32_e32 v45, v39
	v_pk_add_f32 v[34:35], v[34:35], v[42:43]
	v_pk_fma_f32 v[38:39], v[54:55], v[72:73], v[36:37] op_sel:[0,0,1] op_sel_hi:[1,1,0] neg_lo:[0,0,1] neg_hi:[0,0,1]
	v_pk_fma_f32 v[36:37], v[54:55], v[72:73], v[36:37] op_sel:[0,0,1] op_sel_hi:[1,0,0]
	v_mov_b32_e32 v47, v41
	v_pk_add_f32 v[34:35], v[34:35], v[44:45]
	s_waitcnt vmcnt(8)
	v_mov_b32_e32 v36, v71
	v_pk_add_f32 v[34:35], v[34:35], v[46:47]
	v_mov_b32_e32 v39, v37
	s_waitcnt lgkmcnt(1)
	v_pk_mul_f32 v[36:37], v[56:57], v[36:37] op_sel_hi:[1,0]
	v_pk_add_f32 v[34:35], v[34:35], v[38:39]
	v_pk_fma_f32 v[38:39], v[56:57], v[70:71], v[36:37] op_sel:[0,0,1] op_sel_hi:[1,1,0] neg_lo:[0,0,1] neg_hi:[0,0,1]
	v_pk_fma_f32 v[36:37], v[56:57], v[70:71], v[36:37] op_sel:[0,0,1] op_sel_hi:[1,0,0]
	s_waitcnt vmcnt(7)
	v_mov_b32_e32 v36, v75
	v_mov_b32_e32 v39, v37
	v_pk_mul_f32 v[36:37], v[58:59], v[36:37] op_sel_hi:[1,0]
	v_pk_add_f32 v[34:35], v[34:35], v[38:39]
	s_waitcnt vmcnt(4)
	v_pk_fma_f32 v[38:39], v[58:59], v[74:75], v[36:37] op_sel:[0,0,1] op_sel_hi:[1,1,0] neg_lo:[0,0,1] neg_hi:[0,0,1]
	v_pk_fma_f32 v[36:37], v[58:59], v[74:75], v[36:37] op_sel:[0,0,1] op_sel_hi:[1,0,0]
	s_waitcnt vmcnt(3)
	v_mov_b32_e32 v36, v79
	v_mov_b32_e32 v39, v37
	s_waitcnt lgkmcnt(0)
	v_pk_mul_f32 v[36:37], v[60:61], v[36:37] op_sel_hi:[1,0]
	v_pk_add_f32 v[34:35], v[34:35], v[38:39]
	v_pk_fma_f32 v[38:39], v[60:61], v[78:79], v[36:37] op_sel:[0,0,1] op_sel_hi:[1,1,0] neg_lo:[0,0,1] neg_hi:[0,0,1]
	v_pk_fma_f32 v[36:37], v[60:61], v[78:79], v[36:37] op_sel:[0,0,1] op_sel_hi:[1,0,0]
	s_waitcnt vmcnt(0)
	v_mov_b32_e32 v36, v77
	v_mov_b32_e32 v39, v37
	v_pk_mul_f32 v[36:37], v[62:63], v[36:37] op_sel_hi:[1,0]
	v_pk_add_f32 v[34:35], v[34:35], v[38:39]
	v_pk_fma_f32 v[38:39], v[62:63], v[76:77], v[36:37] op_sel:[0,0,1] op_sel_hi:[1,1,0] neg_lo:[0,0,1] neg_hi:[0,0,1]
	v_pk_fma_f32 v[36:37], v[62:63], v[76:77], v[36:37] op_sel:[0,0,1] op_sel_hi:[1,0,0]
	v_mov_b32_e32 v39, v37
	v_pk_add_f32 v[34:35], v[34:35], v[38:39]
	v_pk_add_f32 v[34:35], v[80:81], v[34:35] neg_lo:[0,1] neg_hi:[0,1]
	buffer_store_dword v35, off, s[0:3], 0 offset:12
	buffer_store_dword v34, off, s[0:3], 0 offset:8
	s_and_saveexec_b64 s[4:5], vcc
	s_cbranch_execz .LBB15_109
; %bb.108:
	buffer_load_dword v34, off, s[0:3], 0
	buffer_load_dword v35, off, s[0:3], 0 offset:4
	v_mov_b32_e32 v0, 0
	buffer_store_dword v0, off, s[0:3], 0
	buffer_store_dword v0, off, s[0:3], 0 offset:4
	s_waitcnt vmcnt(2)
	ds_write_b64 v1, v[34:35]
.LBB15_109:
	s_or_b64 exec, exec, s[4:5]
	s_waitcnt lgkmcnt(0)
	; wave barrier
	s_waitcnt lgkmcnt(0)
	buffer_load_dword v80, off, s[0:3], 0 offset:12
	buffer_load_dword v82, off, s[0:3], 0 offset:20
	;; [unrolled: 1-line block ×29, first 2 shown]
	buffer_load_dword v76, off, s[0:3], 0
	buffer_load_dword v77, off, s[0:3], 0 offset:4
	buffer_load_dword v71, off, s[0:3], 0 offset:124
	v_mov_b32_e32 v78, 0
	ds_read2_b64 v[34:37], v78 offset0:17 offset1:18
	ds_read2_b64 v[38:41], v78 offset0:19 offset1:20
	;; [unrolled: 1-line block ×7, first 2 shown]
	ds_read_b64 v[78:79], v78 offset:248
	s_and_b64 vcc, exec, s[20:21]
	s_waitcnt vmcnt(31) lgkmcnt(7)
	v_mul_f32_e32 v96, v34, v80
	s_waitcnt vmcnt(30)
	v_mul_f32_e32 v97, v36, v82
	s_waitcnt vmcnt(29) lgkmcnt(6)
	v_mul_f32_e32 v98, v38, v84
	s_waitcnt vmcnt(28)
	v_mul_f32_e32 v99, v40, v85
	v_mul_f32_e32 v80, v35, v80
	;; [unrolled: 1-line block ×4, first 2 shown]
	s_waitcnt vmcnt(24)
	v_mov_b32_e32 v84, v1
	s_waitcnt lgkmcnt(5)
	v_mul_f32_e32 v100, v42, v86
	v_mul_f32_e32 v82, v37, v82
	;; [unrolled: 1-line block ×3, first 2 shown]
	s_waitcnt vmcnt(22)
	v_fmac_f32_e32 v96, v35, v89
	s_waitcnt vmcnt(21)
	v_fmac_f32_e32 v97, v37, v90
	v_fma_f32 v37, v34, v89, -v80
	s_waitcnt lgkmcnt(4)
	v_pk_mul_f32 v[34:35], v[48:49], v[84:85] op_sel_hi:[1,0]
	s_waitcnt vmcnt(20)
	v_fmac_f32_e32 v98, v39, v91
	s_waitcnt vmcnt(19)
	v_fmac_f32_e32 v99, v41, v92
	;; [unrolled: 2-line block ×3, first 2 shown]
	v_fma_f32 v39, v36, v90, -v82
	v_fma_f32 v41, v42, v93, -v102
	v_add_f32_e32 v42, 0, v96
	v_add_f32_e32 v43, 0, v37
	s_waitcnt vmcnt(12)
	v_pk_fma_f32 v[36:37], v[48:49], v[0:1], v[34:35] op_sel:[0,0,1] op_sel_hi:[1,1,0] neg_lo:[0,0,1] neg_hi:[0,0,1]
	v_pk_fma_f32 v[0:1], v[48:49], v[0:1], v[34:35] op_sel:[0,0,1] op_sel_hi:[1,0,0]
	v_fma_f32 v38, v38, v91, -v101
	v_add_f32_e32 v0, v42, v97
	v_add_f32_e32 v34, v43, v39
	v_fma_f32 v40, v40, v92, -v85
	v_mov_b32_e32 v37, v1
	v_add_f32_e32 v0, v0, v98
	v_add_f32_e32 v1, v34, v38
	v_mul_f32_e32 v81, v44, v87
	v_mul_f32_e32 v87, v45, v87
	v_add_f32_e32 v0, v0, v99
	v_add_f32_e32 v34, v1, v40
	v_mul_f32_e32 v83, v46, v88
	v_mul_f32_e32 v88, v47, v88
	v_fmac_f32_e32 v81, v45, v94
	v_fma_f32 v80, v44, v94, -v87
	v_add_f32_e32 v1, v0, v100
	v_add_f32_e32 v0, v34, v41
	v_mov_b32_e32 v86, v63
	v_fmac_f32_e32 v83, v47, v95
	v_fma_f32 v82, v46, v95, -v88
	v_pk_add_f32 v[0:1], v[0:1], v[80:81]
	v_pk_add_f32 v[0:1], v[0:1], v[82:83]
	s_waitcnt lgkmcnt(3)
	v_pk_mul_f32 v[34:35], v[50:51], v[86:87] op_sel_hi:[1,0]
	v_pk_add_f32 v[0:1], v[0:1], v[36:37]
	v_pk_fma_f32 v[36:37], v[50:51], v[62:63], v[34:35] op_sel:[0,0,1] op_sel_hi:[1,1,0] neg_lo:[0,0,1] neg_hi:[0,0,1]
	v_pk_fma_f32 v[34:35], v[50:51], v[62:63], v[34:35] op_sel:[0,0,1] op_sel_hi:[1,0,0]
	s_waitcnt vmcnt(11)
	v_mov_b32_e32 v34, v67
	v_mov_b32_e32 v37, v35
	v_pk_mul_f32 v[34:35], v[52:53], v[34:35] op_sel_hi:[1,0]
	v_pk_add_f32 v[0:1], v[0:1], v[36:37]
	v_pk_fma_f32 v[36:37], v[52:53], v[66:67], v[34:35] op_sel:[0,0,1] op_sel_hi:[1,1,0] neg_lo:[0,0,1] neg_hi:[0,0,1]
	v_pk_fma_f32 v[34:35], v[52:53], v[66:67], v[34:35] op_sel:[0,0,1] op_sel_hi:[1,0,0]
	s_waitcnt vmcnt(10)
	v_mov_b32_e32 v34, v65
	v_mov_b32_e32 v37, v35
	s_waitcnt lgkmcnt(2)
	v_pk_mul_f32 v[34:35], v[54:55], v[34:35] op_sel_hi:[1,0]
	v_pk_add_f32 v[0:1], v[0:1], v[36:37]
	v_pk_fma_f32 v[36:37], v[54:55], v[64:65], v[34:35] op_sel:[0,0,1] op_sel_hi:[1,1,0] neg_lo:[0,0,1] neg_hi:[0,0,1]
	v_pk_fma_f32 v[34:35], v[54:55], v[64:65], v[34:35] op_sel:[0,0,1] op_sel_hi:[1,0,0]
	s_waitcnt vmcnt(9)
	v_mov_b32_e32 v34, v69
	v_mov_b32_e32 v37, v35
	v_pk_mul_f32 v[34:35], v[56:57], v[34:35] op_sel_hi:[1,0]
	v_pk_add_f32 v[0:1], v[0:1], v[36:37]
	s_waitcnt vmcnt(4)
	v_pk_fma_f32 v[36:37], v[56:57], v[68:69], v[34:35] op_sel:[0,0,1] op_sel_hi:[1,1,0] neg_lo:[0,0,1] neg_hi:[0,0,1]
	v_pk_fma_f32 v[34:35], v[56:57], v[68:69], v[34:35] op_sel:[0,0,1] op_sel_hi:[1,0,0]
	v_mov_b32_e32 v34, v75
	v_mov_b32_e32 v37, v35
	s_waitcnt lgkmcnt(1)
	v_pk_mul_f32 v[34:35], v[58:59], v[34:35] op_sel_hi:[1,0]
	v_pk_add_f32 v[0:1], v[0:1], v[36:37]
	v_pk_fma_f32 v[36:37], v[58:59], v[74:75], v[34:35] op_sel:[0,0,1] op_sel_hi:[1,1,0] neg_lo:[0,0,1] neg_hi:[0,0,1]
	v_pk_fma_f32 v[34:35], v[58:59], v[74:75], v[34:35] op_sel:[0,0,1] op_sel_hi:[1,0,0]
	s_waitcnt vmcnt(3)
	v_mov_b32_e32 v34, v73
	v_mov_b32_e32 v37, v35
	v_pk_mul_f32 v[34:35], v[60:61], v[34:35] op_sel_hi:[1,0]
	v_pk_add_f32 v[0:1], v[0:1], v[36:37]
	v_pk_fma_f32 v[36:37], v[60:61], v[72:73], v[34:35] op_sel:[0,0,1] op_sel_hi:[1,1,0] neg_lo:[0,0,1] neg_hi:[0,0,1]
	v_pk_fma_f32 v[34:35], v[60:61], v[72:73], v[34:35] op_sel:[0,0,1] op_sel_hi:[1,0,0]
	s_waitcnt vmcnt(0)
	v_mov_b32_e32 v34, v71
	v_mov_b32_e32 v37, v35
	s_waitcnt lgkmcnt(0)
	v_pk_mul_f32 v[34:35], v[78:79], v[34:35] op_sel_hi:[1,0]
	v_pk_add_f32 v[0:1], v[0:1], v[36:37]
	v_pk_fma_f32 v[36:37], v[78:79], v[70:71], v[34:35] op_sel:[0,0,1] op_sel_hi:[1,1,0] neg_lo:[0,0,1] neg_hi:[0,0,1]
	v_pk_fma_f32 v[34:35], v[78:79], v[70:71], v[34:35] op_sel:[0,0,1] op_sel_hi:[1,0,0]
	v_mov_b32_e32 v37, v35
	v_pk_add_f32 v[0:1], v[0:1], v[36:37]
	v_pk_add_f32 v[0:1], v[76:77], v[0:1] neg_lo:[0,1] neg_hi:[0,1]
	buffer_store_dword v1, off, s[0:3], 0 offset:4
	buffer_store_dword v0, off, s[0:3], 0
	s_cbranch_vccz .LBB15_141
; %bb.110:
	v_pk_mov_b32 v[0:1], s[10:11], s[10:11] op_sel:[0,1]
	flat_load_dword v0, v[0:1] offset:56
	s_waitcnt vmcnt(0) lgkmcnt(0)
	v_add_u32_e32 v0, -1, v0
	v_cmp_ne_u32_e32 vcc, 14, v0
	s_and_saveexec_b64 s[4:5], vcc
	s_cbranch_execz .LBB15_112
; %bb.111:
	v_mov_b32_e32 v1, 0
	v_lshl_add_u32 v0, v0, 3, v1
	buffer_load_dword v1, v0, s[0:3], 0 offen
	buffer_load_dword v34, v0, s[0:3], 0 offen offset:4
	buffer_load_dword v35, off, s[0:3], 0 offset:116
	buffer_load_dword v36, off, s[0:3], 0 offset:112
	s_waitcnt vmcnt(3)
	buffer_store_dword v1, off, s[0:3], 0 offset:112
	s_waitcnt vmcnt(3)
	buffer_store_dword v34, off, s[0:3], 0 offset:116
	s_waitcnt vmcnt(3)
	buffer_store_dword v35, v0, s[0:3], 0 offen offset:4
	s_waitcnt vmcnt(3)
	buffer_store_dword v36, v0, s[0:3], 0 offen
.LBB15_112:
	s_or_b64 exec, exec, s[4:5]
	v_pk_mov_b32 v[0:1], s[10:11], s[10:11] op_sel:[0,1]
	flat_load_dword v0, v[0:1] offset:52
	s_waitcnt vmcnt(0) lgkmcnt(0)
	v_add_u32_e32 v0, -1, v0
	v_cmp_ne_u32_e32 vcc, 13, v0
	s_and_saveexec_b64 s[4:5], vcc
	s_cbranch_execz .LBB15_114
; %bb.113:
	v_mov_b32_e32 v1, 0
	v_lshl_add_u32 v0, v0, 3, v1
	buffer_load_dword v1, v0, s[0:3], 0 offen
	buffer_load_dword v34, v0, s[0:3], 0 offen offset:4
	buffer_load_dword v35, off, s[0:3], 0 offset:104
	buffer_load_dword v36, off, s[0:3], 0 offset:108
	s_waitcnt vmcnt(3)
	buffer_store_dword v1, off, s[0:3], 0 offset:104
	s_waitcnt vmcnt(3)
	buffer_store_dword v34, off, s[0:3], 0 offset:108
	s_waitcnt vmcnt(3)
	buffer_store_dword v35, v0, s[0:3], 0 offen
	s_waitcnt vmcnt(3)
	buffer_store_dword v36, v0, s[0:3], 0 offen offset:4
.LBB15_114:
	s_or_b64 exec, exec, s[4:5]
	v_pk_mov_b32 v[0:1], s[10:11], s[10:11] op_sel:[0,1]
	flat_load_dword v0, v[0:1] offset:48
	s_waitcnt vmcnt(0) lgkmcnt(0)
	v_add_u32_e32 v0, -1, v0
	v_cmp_ne_u32_e32 vcc, 12, v0
	s_and_saveexec_b64 s[4:5], vcc
	s_cbranch_execz .LBB15_116
; %bb.115:
	v_mov_b32_e32 v1, 0
	v_lshl_add_u32 v0, v0, 3, v1
	buffer_load_dword v1, v0, s[0:3], 0 offen
	buffer_load_dword v34, v0, s[0:3], 0 offen offset:4
	buffer_load_dword v35, off, s[0:3], 0 offset:100
	buffer_load_dword v36, off, s[0:3], 0 offset:96
	s_waitcnt vmcnt(3)
	buffer_store_dword v1, off, s[0:3], 0 offset:96
	s_waitcnt vmcnt(3)
	buffer_store_dword v34, off, s[0:3], 0 offset:100
	s_waitcnt vmcnt(3)
	buffer_store_dword v35, v0, s[0:3], 0 offen offset:4
	s_waitcnt vmcnt(3)
	buffer_store_dword v36, v0, s[0:3], 0 offen
.LBB15_116:
	s_or_b64 exec, exec, s[4:5]
	v_pk_mov_b32 v[0:1], s[10:11], s[10:11] op_sel:[0,1]
	flat_load_dword v0, v[0:1] offset:44
	s_waitcnt vmcnt(0) lgkmcnt(0)
	v_add_u32_e32 v0, -1, v0
	v_cmp_ne_u32_e32 vcc, 11, v0
	s_and_saveexec_b64 s[4:5], vcc
	s_cbranch_execz .LBB15_118
; %bb.117:
	v_mov_b32_e32 v1, 0
	v_lshl_add_u32 v0, v0, 3, v1
	buffer_load_dword v1, v0, s[0:3], 0 offen
	buffer_load_dword v34, v0, s[0:3], 0 offen offset:4
	buffer_load_dword v35, off, s[0:3], 0 offset:88
	buffer_load_dword v36, off, s[0:3], 0 offset:92
	s_waitcnt vmcnt(3)
	buffer_store_dword v1, off, s[0:3], 0 offset:88
	s_waitcnt vmcnt(3)
	buffer_store_dword v34, off, s[0:3], 0 offset:92
	s_waitcnt vmcnt(3)
	buffer_store_dword v35, v0, s[0:3], 0 offen
	s_waitcnt vmcnt(3)
	buffer_store_dword v36, v0, s[0:3], 0 offen offset:4
.LBB15_118:
	s_or_b64 exec, exec, s[4:5]
	;; [unrolled: 48-line block ×7, first 2 shown]
	v_pk_mov_b32 v[0:1], s[10:11], s[10:11] op_sel:[0,1]
	flat_load_dword v34, v[0:1]
	s_nop 0
	buffer_load_dword v0, off, s[0:3], 0
	buffer_load_dword v1, off, s[0:3], 0 offset:4
	s_waitcnt vmcnt(0) lgkmcnt(0)
	v_add_u32_e32 v34, -1, v34
	v_cmp_ne_u32_e32 vcc, 0, v34
	s_and_saveexec_b64 s[4:5], vcc
	s_cbranch_execz .LBB15_140
; %bb.139:
	v_mov_b32_e32 v35, 0
	v_lshl_add_u32 v34, v34, 3, v35
	buffer_load_dword v35, v34, s[0:3], 0 offen offset:4
	buffer_load_dword v36, v34, s[0:3], 0 offen
	s_waitcnt vmcnt(1)
	buffer_store_dword v35, off, s[0:3], 0 offset:4
	s_waitcnt vmcnt(1)
	buffer_store_dword v36, off, s[0:3], 0
	buffer_store_dword v1, v34, s[0:3], 0 offen offset:4
	buffer_store_dword v0, v34, s[0:3], 0 offen
	buffer_load_dword v0, off, s[0:3], 0
	s_nop 0
	buffer_load_dword v1, off, s[0:3], 0 offset:4
.LBB15_140:
	s_or_b64 exec, exec, s[4:5]
.LBB15_141:
	buffer_load_dword v34, off, s[0:3], 0 offset:8
	buffer_load_dword v35, off, s[0:3], 0 offset:12
	buffer_load_dword v36, off, s[0:3], 0 offset:16
	buffer_load_dword v37, off, s[0:3], 0 offset:20
	buffer_load_dword v38, off, s[0:3], 0 offset:24
	buffer_load_dword v39, off, s[0:3], 0 offset:28
	buffer_load_dword v40, off, s[0:3], 0 offset:32
	buffer_load_dword v41, off, s[0:3], 0 offset:36
	buffer_load_dword v42, off, s[0:3], 0 offset:40
	buffer_load_dword v43, off, s[0:3], 0 offset:44
	buffer_load_dword v44, off, s[0:3], 0 offset:48
	buffer_load_dword v45, off, s[0:3], 0 offset:52
	buffer_load_dword v46, off, s[0:3], 0 offset:56
	buffer_load_dword v47, off, s[0:3], 0 offset:60
	buffer_load_dword v48, off, s[0:3], 0 offset:64
	buffer_load_dword v49, off, s[0:3], 0 offset:68
	buffer_load_dword v50, off, s[0:3], 0 offset:72
	buffer_load_dword v51, off, s[0:3], 0 offset:76
	buffer_load_dword v52, off, s[0:3], 0 offset:80
	buffer_load_dword v53, off, s[0:3], 0 offset:84
	buffer_load_dword v54, off, s[0:3], 0 offset:88
	buffer_load_dword v55, off, s[0:3], 0 offset:92
	buffer_load_dword v56, off, s[0:3], 0 offset:96
	buffer_load_dword v57, off, s[0:3], 0 offset:100
	buffer_load_dword v58, off, s[0:3], 0 offset:104
	buffer_load_dword v59, off, s[0:3], 0 offset:108
	buffer_load_dword v60, off, s[0:3], 0 offset:112
	buffer_load_dword v61, off, s[0:3], 0 offset:116
	buffer_load_dword v62, off, s[0:3], 0 offset:120
	buffer_load_dword v63, off, s[0:3], 0 offset:124
	s_waitcnt vmcnt(30)
	global_store_dwordx2 v[2:3], v[0:1], off
	s_waitcnt vmcnt(29)
	global_store_dwordx2 v[4:5], v[34:35], off
	;; [unrolled: 2-line block ×16, first 2 shown]
	s_endpgm
	.section	.rodata,"a",@progbits
	.p2align	6, 0x0
	.amdhsa_kernel _ZN9rocsolver6v33100L18getri_kernel_smallILi16E19rocblas_complex_numIfEPS3_EEvT1_iilPiilS6_bb
		.amdhsa_group_segment_fixed_size 260
		.amdhsa_private_segment_fixed_size 144
		.amdhsa_kernarg_size 60
		.amdhsa_user_sgpr_count 8
		.amdhsa_user_sgpr_private_segment_buffer 1
		.amdhsa_user_sgpr_dispatch_ptr 0
		.amdhsa_user_sgpr_queue_ptr 0
		.amdhsa_user_sgpr_kernarg_segment_ptr 1
		.amdhsa_user_sgpr_dispatch_id 0
		.amdhsa_user_sgpr_flat_scratch_init 1
		.amdhsa_user_sgpr_kernarg_preload_length 0
		.amdhsa_user_sgpr_kernarg_preload_offset 0
		.amdhsa_user_sgpr_private_segment_size 0
		.amdhsa_uses_dynamic_stack 0
		.amdhsa_system_sgpr_private_segment_wavefront_offset 1
		.amdhsa_system_sgpr_workgroup_id_x 1
		.amdhsa_system_sgpr_workgroup_id_y 0
		.amdhsa_system_sgpr_workgroup_id_z 0
		.amdhsa_system_sgpr_workgroup_info 0
		.amdhsa_system_vgpr_workitem_id 0
		.amdhsa_next_free_vgpr 103
		.amdhsa_next_free_sgpr 23
		.amdhsa_accum_offset 104
		.amdhsa_reserve_vcc 1
		.amdhsa_reserve_flat_scratch 1
		.amdhsa_float_round_mode_32 0
		.amdhsa_float_round_mode_16_64 0
		.amdhsa_float_denorm_mode_32 3
		.amdhsa_float_denorm_mode_16_64 3
		.amdhsa_dx10_clamp 1
		.amdhsa_ieee_mode 1
		.amdhsa_fp16_overflow 0
		.amdhsa_tg_split 0
		.amdhsa_exception_fp_ieee_invalid_op 0
		.amdhsa_exception_fp_denorm_src 0
		.amdhsa_exception_fp_ieee_div_zero 0
		.amdhsa_exception_fp_ieee_overflow 0
		.amdhsa_exception_fp_ieee_underflow 0
		.amdhsa_exception_fp_ieee_inexact 0
		.amdhsa_exception_int_div_zero 0
	.end_amdhsa_kernel
	.section	.text._ZN9rocsolver6v33100L18getri_kernel_smallILi16E19rocblas_complex_numIfEPS3_EEvT1_iilPiilS6_bb,"axG",@progbits,_ZN9rocsolver6v33100L18getri_kernel_smallILi16E19rocblas_complex_numIfEPS3_EEvT1_iilPiilS6_bb,comdat
.Lfunc_end15:
	.size	_ZN9rocsolver6v33100L18getri_kernel_smallILi16E19rocblas_complex_numIfEPS3_EEvT1_iilPiilS6_bb, .Lfunc_end15-_ZN9rocsolver6v33100L18getri_kernel_smallILi16E19rocblas_complex_numIfEPS3_EEvT1_iilPiilS6_bb
                                        ; -- End function
	.section	.AMDGPU.csdata,"",@progbits
; Kernel info:
; codeLenInByte = 17220
; NumSgprs: 29
; NumVgprs: 103
; NumAgprs: 0
; TotalNumVgprs: 103
; ScratchSize: 144
; MemoryBound: 0
; FloatMode: 240
; IeeeMode: 1
; LDSByteSize: 260 bytes/workgroup (compile time only)
; SGPRBlocks: 3
; VGPRBlocks: 12
; NumSGPRsForWavesPerEU: 29
; NumVGPRsForWavesPerEU: 103
; AccumOffset: 104
; Occupancy: 4
; WaveLimiterHint : 1
; COMPUTE_PGM_RSRC2:SCRATCH_EN: 1
; COMPUTE_PGM_RSRC2:USER_SGPR: 8
; COMPUTE_PGM_RSRC2:TRAP_HANDLER: 0
; COMPUTE_PGM_RSRC2:TGID_X_EN: 1
; COMPUTE_PGM_RSRC2:TGID_Y_EN: 0
; COMPUTE_PGM_RSRC2:TGID_Z_EN: 0
; COMPUTE_PGM_RSRC2:TIDIG_COMP_CNT: 0
; COMPUTE_PGM_RSRC3_GFX90A:ACCUM_OFFSET: 25
; COMPUTE_PGM_RSRC3_GFX90A:TG_SPLIT: 0
	.section	.text._ZN9rocsolver6v33100L18getri_kernel_smallILi17E19rocblas_complex_numIfEPS3_EEvT1_iilPiilS6_bb,"axG",@progbits,_ZN9rocsolver6v33100L18getri_kernel_smallILi17E19rocblas_complex_numIfEPS3_EEvT1_iilPiilS6_bb,comdat
	.globl	_ZN9rocsolver6v33100L18getri_kernel_smallILi17E19rocblas_complex_numIfEPS3_EEvT1_iilPiilS6_bb ; -- Begin function _ZN9rocsolver6v33100L18getri_kernel_smallILi17E19rocblas_complex_numIfEPS3_EEvT1_iilPiilS6_bb
	.p2align	8
	.type	_ZN9rocsolver6v33100L18getri_kernel_smallILi17E19rocblas_complex_numIfEPS3_EEvT1_iilPiilS6_bb,@function
_ZN9rocsolver6v33100L18getri_kernel_smallILi17E19rocblas_complex_numIfEPS3_EEvT1_iilPiilS6_bb: ; @_ZN9rocsolver6v33100L18getri_kernel_smallILi17E19rocblas_complex_numIfEPS3_EEvT1_iilPiilS6_bb
; %bb.0:
	s_add_u32 flat_scratch_lo, s6, s9
	s_addc_u32 flat_scratch_hi, s7, 0
	s_add_u32 s0, s0, s9
	s_addc_u32 s1, s1, 0
	v_cmp_gt_u32_e32 vcc, 17, v0
	s_and_saveexec_b64 s[6:7], vcc
	s_cbranch_execz .LBB16_82
; %bb.1:
	s_load_dword s22, s[4:5], 0x38
	s_load_dwordx4 s[16:19], s[4:5], 0x10
	s_load_dwordx4 s[12:15], s[4:5], 0x28
                                        ; implicit-def: $sgpr10_sgpr11
	s_waitcnt lgkmcnt(0)
	s_bitcmp1_b32 s22, 8
	s_cselect_b64 s[20:21], -1, 0
	s_ashr_i32 s9, s8, 31
	s_bfe_u32 s6, s22, 0x10008
	s_cmp_eq_u32 s6, 0
	s_cbranch_scc1 .LBB16_3
; %bb.2:
	s_load_dword s6, s[4:5], 0x20
	s_mul_i32 s7, s8, s13
	s_mul_hi_u32 s10, s8, s12
	s_mul_i32 s11, s9, s12
	s_add_i32 s10, s10, s7
	s_add_i32 s11, s10, s11
	s_mul_i32 s10, s8, s12
	s_waitcnt lgkmcnt(0)
	s_ashr_i32 s7, s6, 31
	s_lshl_b64 s[10:11], s[10:11], 2
	s_add_u32 s10, s18, s10
	s_addc_u32 s11, s19, s11
	s_lshl_b64 s[6:7], s[6:7], 2
	s_add_u32 s10, s10, s6
	s_addc_u32 s11, s11, s7
.LBB16_3:
	s_load_dwordx4 s[4:7], s[4:5], 0x0
	s_mul_i32 s12, s8, s17
	s_mul_hi_u32 s13, s8, s16
	s_add_i32 s17, s13, s12
	v_lshlrev_b32_e32 v40, 3, v0
	s_waitcnt lgkmcnt(0)
	s_ashr_i32 s13, s6, 31
	s_mov_b32 s12, s6
	s_mul_i32 s6, s9, s16
	s_add_i32 s17, s17, s6
	s_mul_i32 s16, s8, s16
	s_lshl_b64 s[16:17], s[16:17], 3
	s_add_u32 s6, s4, s16
	s_addc_u32 s16, s5, s17
	s_lshl_b64 s[4:5], s[12:13], 3
	s_add_u32 s4, s6, s4
	s_addc_u32 s5, s16, s5
	v_mov_b32_e32 v1, s5
	v_add_co_u32_e32 v2, vcc, s4, v40
	s_ashr_i32 s13, s7, 31
	s_mov_b32 s12, s7
	s_add_i32 s6, s7, s7
	v_addc_co_u32_e32 v3, vcc, 0, v1, vcc
	s_lshl_b64 s[12:13], s[12:13], 3
	v_add_u32_e32 v8, s6, v0
	v_mov_b32_e32 v1, s13
	v_add_co_u32_e32 v4, vcc, s12, v2
	v_ashrrev_i32_e32 v9, 31, v8
	v_addc_co_u32_e32 v5, vcc, v3, v1, vcc
	v_lshlrev_b64 v[6:7], 3, v[8:9]
	v_add_u32_e32 v10, s7, v8
	v_mov_b32_e32 v1, s5
	v_add_co_u32_e32 v6, vcc, s4, v6
	v_ashrrev_i32_e32 v11, 31, v10
	v_addc_co_u32_e32 v7, vcc, v1, v7, vcc
	v_lshlrev_b64 v[8:9], 3, v[10:11]
	v_add_u32_e32 v10, s7, v10
	v_add_co_u32_e32 v8, vcc, s4, v8
	v_ashrrev_i32_e32 v11, 31, v10
	v_addc_co_u32_e32 v9, vcc, v1, v9, vcc
	v_add_u32_e32 v12, s7, v10
	v_lshlrev_b64 v[10:11], 3, v[10:11]
	v_ashrrev_i32_e32 v13, 31, v12
	v_add_co_u32_e32 v10, vcc, s4, v10
	v_add_u32_e32 v14, s7, v12
	v_addc_co_u32_e32 v11, vcc, v1, v11, vcc
	v_lshlrev_b64 v[12:13], 3, v[12:13]
	v_mov_b32_e32 v17, s5
	v_ashrrev_i32_e32 v15, 31, v14
	v_add_co_u32_e32 v12, vcc, s4, v12
	v_add_u32_e32 v16, s7, v14
	v_addc_co_u32_e32 v13, vcc, v17, v13, vcc
	v_lshlrev_b64 v[14:15], 3, v[14:15]
	v_mov_b32_e32 v18, s5
	;; [unrolled: 6-line block ×3, first 2 shown]
	v_ashrrev_i32_e32 v21, 31, v20
	v_add_co_u32_e32 v16, vcc, s4, v16
	v_addc_co_u32_e32 v17, vcc, v19, v17, vcc
	v_lshlrev_b64 v[18:19], 3, v[20:21]
	v_mov_b32_e32 v22, s5
	v_add_co_u32_e32 v18, vcc, s4, v18
	v_addc_co_u32_e32 v19, vcc, v22, v19, vcc
	v_add_u32_e32 v22, s7, v20
	v_ashrrev_i32_e32 v23, 31, v22
	v_lshlrev_b64 v[20:21], 3, v[22:23]
	v_add_u32_e32 v24, s7, v22
	v_add_co_u32_e32 v20, vcc, s4, v20
	v_ashrrev_i32_e32 v25, 31, v24
	v_addc_co_u32_e32 v21, vcc, v1, v21, vcc
	v_lshlrev_b64 v[22:23], 3, v[24:25]
	v_add_u32_e32 v26, s7, v24
	v_add_co_u32_e32 v22, vcc, s4, v22
	v_ashrrev_i32_e32 v27, 31, v26
	v_addc_co_u32_e32 v23, vcc, v1, v23, vcc
	;; [unrolled: 5-line block ×6, first 2 shown]
	v_lshlrev_b64 v[32:33], 3, v[34:35]
	v_add_co_u32_e32 v32, vcc, s4, v32
	global_load_dwordx2 v[36:37], v40, s[4:5]
	global_load_dwordx2 v[38:39], v[4:5], off
	global_load_dwordx2 v[42:43], v[6:7], off
	;; [unrolled: 1-line block ×12, first 2 shown]
	v_addc_co_u32_e32 v33, vcc, v1, v33, vcc
	global_load_dwordx2 v[64:65], v[28:29], off
	global_load_dwordx2 v[66:67], v[30:31], off
	;; [unrolled: 1-line block ×3, first 2 shown]
	v_add_u32_e32 v34, s7, v34
	v_ashrrev_i32_e32 v35, 31, v34
	v_lshlrev_b64 v[34:35], 3, v[34:35]
	v_add_co_u32_e32 v34, vcc, s4, v34
	v_addc_co_u32_e32 v35, vcc, v1, v35, vcc
	global_load_dwordx2 v[70:71], v[34:35], off
	s_bitcmp0_b32 s22, 0
	s_mov_b64 s[6:7], -1
	s_waitcnt vmcnt(16)
	buffer_store_dword v37, off, s[0:3], 0 offset:4
	buffer_store_dword v36, off, s[0:3], 0
	s_waitcnt vmcnt(17)
	buffer_store_dword v39, off, s[0:3], 0 offset:12
	buffer_store_dword v38, off, s[0:3], 0 offset:8
	s_waitcnt vmcnt(18)
	buffer_store_dword v43, off, s[0:3], 0 offset:20
	buffer_store_dword v42, off, s[0:3], 0 offset:16
	;; [unrolled: 3-line block ×16, first 2 shown]
	s_cbranch_scc1 .LBB16_80
; %bb.4:
	v_cmp_eq_u32_e64 s[4:5], 0, v0
	s_and_saveexec_b64 s[6:7], s[4:5]
	s_cbranch_execz .LBB16_6
; %bb.5:
	v_mov_b32_e32 v1, 0
	ds_write_b32 v1, v1 offset:136
.LBB16_6:
	s_or_b64 exec, exec, s[6:7]
	v_mov_b32_e32 v1, 0
	v_lshl_add_u32 v41, v0, 3, v1
	s_waitcnt lgkmcnt(0)
	; wave barrier
	s_waitcnt lgkmcnt(0)
	buffer_load_dword v1, v41, s[0:3], 0 offen
	buffer_load_dword v36, v41, s[0:3], 0 offen offset:4
	s_waitcnt vmcnt(1)
	v_cmp_eq_f32_e32 vcc, 0, v1
	s_waitcnt vmcnt(0)
	v_cmp_eq_f32_e64 s[6:7], 0, v36
	s_and_b64 s[6:7], vcc, s[6:7]
	s_and_saveexec_b64 s[12:13], s[6:7]
	s_cbranch_execz .LBB16_10
; %bb.7:
	v_mov_b32_e32 v1, 0
	ds_read_b32 v37, v1 offset:136
	v_add_u32_e32 v36, 1, v0
	s_waitcnt lgkmcnt(0)
	v_readfirstlane_b32 s6, v37
	s_cmp_eq_u32 s6, 0
	s_cselect_b64 s[16:17], -1, 0
	v_cmp_gt_i32_e32 vcc, s6, v36
	s_or_b64 s[16:17], s[16:17], vcc
	s_and_b64 exec, exec, s[16:17]
	s_cbranch_execz .LBB16_10
; %bb.8:
	s_mov_b64 s[16:17], 0
	v_mov_b32_e32 v37, s6
.LBB16_9:                               ; =>This Inner Loop Header: Depth=1
	ds_cmpst_rtn_b32 v37, v1, v37, v36 offset:136
	s_waitcnt lgkmcnt(0)
	v_cmp_ne_u32_e32 vcc, 0, v37
	v_cmp_le_i32_e64 s[6:7], v37, v36
	s_and_b64 s[6:7], vcc, s[6:7]
	s_and_b64 s[6:7], exec, s[6:7]
	s_or_b64 s[16:17], s[6:7], s[16:17]
	s_andn2_b64 exec, exec, s[16:17]
	s_cbranch_execnz .LBB16_9
.LBB16_10:
	s_or_b64 exec, exec, s[12:13]
	v_mov_b32_e32 v36, 0
	s_waitcnt lgkmcnt(0)
	; wave barrier
	ds_read_b32 v1, v36 offset:136
	s_and_saveexec_b64 s[6:7], s[4:5]
	s_cbranch_execz .LBB16_12
; %bb.11:
	s_lshl_b64 s[12:13], s[8:9], 2
	s_add_u32 s12, s14, s12
	s_addc_u32 s13, s15, s13
	s_waitcnt lgkmcnt(0)
	global_store_dword v36, v1, s[12:13]
.LBB16_12:
	s_or_b64 exec, exec, s[6:7]
	s_waitcnt lgkmcnt(0)
	v_cmp_ne_u32_e32 vcc, 0, v1
	s_mov_b64 s[6:7], 0
	s_cbranch_vccnz .LBB16_80
; %bb.13:
	buffer_load_dword v42, v41, s[0:3], 0 offen offset:4
	buffer_load_dword v37, v41, s[0:3], 0 offen
	s_waitcnt vmcnt(1)
	v_cmp_gt_f32_e32 vcc, 0, v42
	v_cndmask_b32_e64 v1, v42, -v42, vcc
	s_waitcnt vmcnt(0)
	v_cmp_gt_f32_e32 vcc, 0, v37
	v_cndmask_b32_e64 v36, v37, -v37, vcc
	v_cmp_ngt_f32_e32 vcc, v36, v1
                                        ; implicit-def: $vgpr1
                                        ; implicit-def: $vgpr36
	s_and_saveexec_b64 s[6:7], vcc
	s_xor_b64 s[6:7], exec, s[6:7]
                                        ; implicit-def: $vgpr38_vgpr39
	s_cbranch_execz .LBB16_15
; %bb.14:
	v_div_scale_f32 v1, s[12:13], v42, v42, v37
	v_rcp_f32_e32 v36, v1
	v_div_scale_f32 v38, vcc, v37, v42, v37
	v_fma_f32 v39, -v1, v36, 1.0
	v_fmac_f32_e32 v36, v39, v36
	v_mul_f32_e32 v39, v38, v36
	v_fma_f32 v43, -v1, v39, v38
	v_fmac_f32_e32 v39, v43, v36
	v_fma_f32 v1, -v1, v39, v38
	v_div_fmas_f32 v1, v1, v36, v39
	v_div_fixup_f32 v36, v1, v42, v37
	v_fmac_f32_e32 v42, v37, v36
	v_div_scale_f32 v1, s[12:13], v42, v42, -1.0
	v_rcp_f32_e32 v37, v1
	v_fma_f32 v38, -v1, v37, 1.0
	v_fmac_f32_e32 v37, v38, v37
	v_div_scale_f32 v38, vcc, -1.0, v42, -1.0
	v_mul_f32_e32 v39, v38, v37
	v_fma_f32 v43, -v1, v39, v38
	v_fmac_f32_e32 v39, v43, v37
	v_fma_f32 v1, -v1, v39, v38
	v_div_fmas_f32 v1, v1, v37, v39
	v_div_fixup_f32 v1, v1, v42, -1.0
	v_mul_f32_e32 v36, v36, v1
	v_xor_b32_e32 v38, 0x80000000, v36
                                        ; implicit-def: $vgpr37
                                        ; implicit-def: $vgpr42
.LBB16_15:
	s_andn2_saveexec_b64 s[6:7], s[6:7]
	s_cbranch_execz .LBB16_17
; %bb.16:
	v_div_scale_f32 v1, s[12:13], v37, v37, v42
	v_rcp_f32_e32 v36, v1
	v_div_scale_f32 v38, vcc, v42, v37, v42
	v_fma_f32 v39, -v1, v36, 1.0
	v_fmac_f32_e32 v36, v39, v36
	v_mul_f32_e32 v39, v38, v36
	v_fma_f32 v43, -v1, v39, v38
	v_fmac_f32_e32 v39, v43, v36
	v_fma_f32 v1, -v1, v39, v38
	v_div_fmas_f32 v1, v1, v36, v39
	v_div_fixup_f32 v1, v1, v37, v42
	v_fmac_f32_e32 v37, v42, v1
	v_div_scale_f32 v36, s[12:13], v37, v37, 1.0
	v_rcp_f32_e32 v38, v36
	v_fma_f32 v39, -v36, v38, 1.0
	v_fmac_f32_e32 v38, v39, v38
	v_div_scale_f32 v39, vcc, 1.0, v37, 1.0
	v_mul_f32_e32 v42, v39, v38
	v_fma_f32 v43, -v36, v42, v39
	v_fmac_f32_e32 v42, v43, v38
	v_fma_f32 v36, -v36, v42, v39
	v_div_fmas_f32 v36, v36, v38, v42
	v_div_fixup_f32 v38, v36, v37, 1.0
	v_xor_b32_e32 v36, 0x80000000, v38
	v_mul_f32_e64 v1, v1, -v38
.LBB16_17:
	s_or_b64 exec, exec, s[6:7]
	buffer_store_dword v1, v41, s[0:3], 0 offen offset:4
	buffer_store_dword v38, v41, s[0:3], 0 offen
	buffer_load_dword v39, off, s[0:3], 0 offset:12
	s_nop 0
	buffer_load_dword v38, off, s[0:3], 0 offset:8
	v_xor_b32_e32 v37, 0x80000000, v1
	v_add_u32_e32 v1, 0x90, v40
	s_waitcnt vmcnt(0)
	ds_write2_b64 v40, v[36:37], v[38:39] offset1:18
	s_waitcnt lgkmcnt(0)
	; wave barrier
	s_waitcnt lgkmcnt(0)
	s_and_saveexec_b64 s[6:7], s[4:5]
	s_cbranch_execz .LBB16_19
; %bb.18:
	buffer_load_dword v42, v41, s[0:3], 0 offen offset:4
	buffer_load_dword v43, v41, s[0:3], 0 offen
	ds_read_b64 v[36:37], v1
	v_mov_b32_e32 v38, 0
	ds_read_b64 v[38:39], v38 offset:8
	s_waitcnt vmcnt(1) lgkmcnt(1)
	v_mul_f32_e32 v44, v37, v42
	v_mul_f32_e32 v42, v36, v42
	s_waitcnt vmcnt(0)
	v_fmac_f32_e32 v42, v37, v43
	v_fma_f32 v36, v36, v43, -v44
	v_add_f32_e32 v37, 0, v42
	v_add_f32_e32 v36, 0, v36
	s_waitcnt lgkmcnt(0)
	v_mul_f32_e32 v42, v37, v39
	v_mul_f32_e32 v39, v36, v39
	v_fma_f32 v36, v36, v38, -v42
	v_fmac_f32_e32 v39, v37, v38
	buffer_store_dword v36, off, s[0:3], 0 offset:8
	buffer_store_dword v39, off, s[0:3], 0 offset:12
.LBB16_19:
	s_or_b64 exec, exec, s[6:7]
	s_waitcnt lgkmcnt(0)
	; wave barrier
	buffer_load_dword v36, off, s[0:3], 0 offset:16
	buffer_load_dword v37, off, s[0:3], 0 offset:20
	v_cmp_gt_u32_e32 vcc, 2, v0
	s_waitcnt vmcnt(0)
	ds_write_b64 v1, v[36:37]
	s_waitcnt lgkmcnt(0)
	; wave barrier
	s_waitcnt lgkmcnt(0)
	s_and_saveexec_b64 s[6:7], vcc
	s_cbranch_execz .LBB16_23
; %bb.20:
	buffer_load_dword v38, v41, s[0:3], 0 offen offset:4
	buffer_load_dword v39, v41, s[0:3], 0 offen
	ds_read_b64 v[36:37], v1
	s_waitcnt vmcnt(1) lgkmcnt(0)
	v_mul_f32_e32 v41, v37, v38
	v_mul_f32_e32 v38, v36, v38
	s_waitcnt vmcnt(0)
	v_fma_f32 v36, v36, v39, -v41
	v_fmac_f32_e32 v38, v37, v39
	v_add_f32_e32 v37, 0, v36
	v_add_f32_e32 v36, 0, v38
	s_and_saveexec_b64 s[12:13], s[4:5]
	s_cbranch_execz .LBB16_22
; %bb.21:
	buffer_load_dword v41, off, s[0:3], 0 offset:12
	buffer_load_dword v42, off, s[0:3], 0 offset:8
	v_mov_b32_e32 v38, 0
	ds_read_b64 v[38:39], v38 offset:152
	s_waitcnt vmcnt(1) lgkmcnt(0)
	v_mul_f32_e32 v43, v38, v41
	v_mul_f32_e32 v41, v39, v41
	s_waitcnt vmcnt(0)
	v_fmac_f32_e32 v43, v39, v42
	v_fma_f32 v38, v38, v42, -v41
	v_add_f32_e32 v36, v36, v43
	v_add_f32_e32 v37, v37, v38
.LBB16_22:
	s_or_b64 exec, exec, s[12:13]
	v_mov_b32_e32 v38, 0
	ds_read_b64 v[38:39], v38 offset:16
	s_waitcnt lgkmcnt(0)
	v_mul_f32_e32 v41, v36, v39
	v_mul_f32_e32 v39, v37, v39
	v_fma_f32 v37, v37, v38, -v41
	v_fmac_f32_e32 v39, v36, v38
	buffer_store_dword v37, off, s[0:3], 0 offset:16
	buffer_store_dword v39, off, s[0:3], 0 offset:20
.LBB16_23:
	s_or_b64 exec, exec, s[6:7]
	s_waitcnt lgkmcnt(0)
	; wave barrier
	buffer_load_dword v36, off, s[0:3], 0 offset:24
	buffer_load_dword v37, off, s[0:3], 0 offset:28
	v_cmp_gt_u32_e32 vcc, 3, v0
	s_waitcnt vmcnt(0)
	ds_write_b64 v1, v[36:37]
	v_add_u32_e32 v36, -1, v0
	s_waitcnt lgkmcnt(0)
	; wave barrier
	s_waitcnt lgkmcnt(0)
	s_and_saveexec_b64 s[4:5], vcc
	s_cbranch_execz .LBB16_27
; %bb.24:
	v_add_u32_e32 v38, -1, v0
	v_add_u32_e32 v39, 0x90, v40
	v_add_u32_e32 v41, 0, v40
	s_mov_b64 s[6:7], 0
	v_mov_b32_e32 v37, 0
	v_mov_b32_e32 v42, 0
.LBB16_25:                              ; =>This Inner Loop Header: Depth=1
	buffer_load_dword v43, v41, s[0:3], 0 offen offset:4
	buffer_load_dword v46, v41, s[0:3], 0 offen
	ds_read_b64 v[44:45], v39
	v_add_u32_e32 v38, 1, v38
	v_cmp_lt_u32_e32 vcc, 1, v38
	v_add_u32_e32 v39, 8, v39
	v_add_u32_e32 v41, 8, v41
	s_or_b64 s[6:7], vcc, s[6:7]
	s_waitcnt vmcnt(1) lgkmcnt(0)
	v_mul_f32_e32 v47, v45, v43
	v_mul_f32_e32 v43, v44, v43
	s_waitcnt vmcnt(0)
	v_fma_f32 v44, v44, v46, -v47
	v_fmac_f32_e32 v43, v45, v46
	v_add_f32_e32 v42, v42, v44
	v_add_f32_e32 v37, v37, v43
	s_andn2_b64 exec, exec, s[6:7]
	s_cbranch_execnz .LBB16_25
; %bb.26:
	s_or_b64 exec, exec, s[6:7]
	v_mov_b32_e32 v38, 0
	ds_read_b64 v[38:39], v38 offset:24
	s_waitcnt lgkmcnt(0)
	v_mul_f32_e32 v41, v37, v39
	v_mul_f32_e32 v39, v42, v39
	v_fma_f32 v41, v42, v38, -v41
	v_fmac_f32_e32 v39, v37, v38
	buffer_store_dword v41, off, s[0:3], 0 offset:24
	buffer_store_dword v39, off, s[0:3], 0 offset:28
.LBB16_27:
	s_or_b64 exec, exec, s[4:5]
	s_waitcnt lgkmcnt(0)
	; wave barrier
	buffer_load_dword v38, off, s[0:3], 0 offset:32
	buffer_load_dword v39, off, s[0:3], 0 offset:36
	v_cmp_gt_u32_e32 vcc, 4, v0
	s_waitcnt vmcnt(0)
	ds_write_b64 v1, v[38:39]
	s_waitcnt lgkmcnt(0)
	; wave barrier
	s_waitcnt lgkmcnt(0)
	s_and_saveexec_b64 s[4:5], vcc
	s_cbranch_execz .LBB16_31
; %bb.28:
	v_add_u32_e32 v38, -1, v0
	v_add_u32_e32 v39, 0x90, v40
	v_add_u32_e32 v41, 0, v40
	s_mov_b64 s[6:7], 0
	v_mov_b32_e32 v37, 0
	v_mov_b32_e32 v42, 0
.LBB16_29:                              ; =>This Inner Loop Header: Depth=1
	buffer_load_dword v43, v41, s[0:3], 0 offen offset:4
	buffer_load_dword v46, v41, s[0:3], 0 offen
	ds_read_b64 v[44:45], v39
	v_add_u32_e32 v38, 1, v38
	v_cmp_lt_u32_e32 vcc, 2, v38
	v_add_u32_e32 v39, 8, v39
	v_add_u32_e32 v41, 8, v41
	s_or_b64 s[6:7], vcc, s[6:7]
	s_waitcnt vmcnt(1) lgkmcnt(0)
	v_mul_f32_e32 v47, v45, v43
	v_mul_f32_e32 v43, v44, v43
	s_waitcnt vmcnt(0)
	v_fma_f32 v44, v44, v46, -v47
	v_fmac_f32_e32 v43, v45, v46
	v_add_f32_e32 v42, v42, v44
	v_add_f32_e32 v37, v37, v43
	s_andn2_b64 exec, exec, s[6:7]
	s_cbranch_execnz .LBB16_29
; %bb.30:
	s_or_b64 exec, exec, s[6:7]
	v_mov_b32_e32 v38, 0
	ds_read_b64 v[38:39], v38 offset:32
	s_waitcnt lgkmcnt(0)
	v_mul_f32_e32 v41, v37, v39
	v_mul_f32_e32 v39, v42, v39
	v_fma_f32 v41, v42, v38, -v41
	v_fmac_f32_e32 v39, v37, v38
	buffer_store_dword v41, off, s[0:3], 0 offset:32
	buffer_store_dword v39, off, s[0:3], 0 offset:36
.LBB16_31:
	s_or_b64 exec, exec, s[4:5]
	s_waitcnt lgkmcnt(0)
	; wave barrier
	buffer_load_dword v38, off, s[0:3], 0 offset:40
	buffer_load_dword v39, off, s[0:3], 0 offset:44
	v_cmp_gt_u32_e32 vcc, 5, v0
	s_waitcnt vmcnt(0)
	ds_write_b64 v1, v[38:39]
	s_waitcnt lgkmcnt(0)
	; wave barrier
	s_waitcnt lgkmcnt(0)
	s_and_saveexec_b64 s[4:5], vcc
	s_cbranch_execz .LBB16_35
; %bb.32:
	v_add_u32_e32 v38, -1, v0
	v_add_u32_e32 v39, 0x90, v40
	v_add_u32_e32 v41, 0, v40
	s_mov_b64 s[6:7], 0
	v_mov_b32_e32 v37, 0
	v_mov_b32_e32 v42, 0
.LBB16_33:                              ; =>This Inner Loop Header: Depth=1
	buffer_load_dword v43, v41, s[0:3], 0 offen offset:4
	buffer_load_dword v46, v41, s[0:3], 0 offen
	ds_read_b64 v[44:45], v39
	v_add_u32_e32 v38, 1, v38
	v_cmp_lt_u32_e32 vcc, 3, v38
	v_add_u32_e32 v39, 8, v39
	v_add_u32_e32 v41, 8, v41
	s_or_b64 s[6:7], vcc, s[6:7]
	s_waitcnt vmcnt(1) lgkmcnt(0)
	v_mul_f32_e32 v47, v45, v43
	v_mul_f32_e32 v43, v44, v43
	s_waitcnt vmcnt(0)
	v_fma_f32 v44, v44, v46, -v47
	v_fmac_f32_e32 v43, v45, v46
	v_add_f32_e32 v42, v42, v44
	v_add_f32_e32 v37, v37, v43
	s_andn2_b64 exec, exec, s[6:7]
	s_cbranch_execnz .LBB16_33
; %bb.34:
	s_or_b64 exec, exec, s[6:7]
	v_mov_b32_e32 v38, 0
	ds_read_b64 v[38:39], v38 offset:40
	s_waitcnt lgkmcnt(0)
	v_mul_f32_e32 v41, v37, v39
	v_mul_f32_e32 v39, v42, v39
	v_fma_f32 v41, v42, v38, -v41
	v_fmac_f32_e32 v39, v37, v38
	buffer_store_dword v41, off, s[0:3], 0 offset:40
	buffer_store_dword v39, off, s[0:3], 0 offset:44
.LBB16_35:
	s_or_b64 exec, exec, s[4:5]
	s_waitcnt lgkmcnt(0)
	; wave barrier
	buffer_load_dword v38, off, s[0:3], 0 offset:48
	buffer_load_dword v39, off, s[0:3], 0 offset:52
	v_cmp_gt_u32_e32 vcc, 6, v0
	s_waitcnt vmcnt(0)
	ds_write_b64 v1, v[38:39]
	s_waitcnt lgkmcnt(0)
	; wave barrier
	s_waitcnt lgkmcnt(0)
	s_and_saveexec_b64 s[4:5], vcc
	s_cbranch_execz .LBB16_39
; %bb.36:
	v_add_u32_e32 v38, -1, v0
	v_add_u32_e32 v39, 0x90, v40
	v_add_u32_e32 v41, 0, v40
	s_mov_b64 s[6:7], 0
	v_mov_b32_e32 v37, 0
	v_mov_b32_e32 v42, 0
.LBB16_37:                              ; =>This Inner Loop Header: Depth=1
	buffer_load_dword v43, v41, s[0:3], 0 offen offset:4
	buffer_load_dword v46, v41, s[0:3], 0 offen
	ds_read_b64 v[44:45], v39
	v_add_u32_e32 v38, 1, v38
	v_cmp_lt_u32_e32 vcc, 4, v38
	v_add_u32_e32 v39, 8, v39
	v_add_u32_e32 v41, 8, v41
	s_or_b64 s[6:7], vcc, s[6:7]
	s_waitcnt vmcnt(1) lgkmcnt(0)
	v_mul_f32_e32 v47, v45, v43
	v_mul_f32_e32 v43, v44, v43
	s_waitcnt vmcnt(0)
	v_fma_f32 v44, v44, v46, -v47
	v_fmac_f32_e32 v43, v45, v46
	v_add_f32_e32 v42, v42, v44
	v_add_f32_e32 v37, v37, v43
	s_andn2_b64 exec, exec, s[6:7]
	s_cbranch_execnz .LBB16_37
; %bb.38:
	s_or_b64 exec, exec, s[6:7]
	v_mov_b32_e32 v38, 0
	ds_read_b64 v[38:39], v38 offset:48
	s_waitcnt lgkmcnt(0)
	v_mul_f32_e32 v41, v37, v39
	v_mul_f32_e32 v39, v42, v39
	v_fma_f32 v41, v42, v38, -v41
	v_fmac_f32_e32 v39, v37, v38
	buffer_store_dword v41, off, s[0:3], 0 offset:48
	buffer_store_dword v39, off, s[0:3], 0 offset:52
.LBB16_39:
	s_or_b64 exec, exec, s[4:5]
	s_waitcnt lgkmcnt(0)
	; wave barrier
	buffer_load_dword v38, off, s[0:3], 0 offset:56
	buffer_load_dword v39, off, s[0:3], 0 offset:60
	v_cmp_gt_u32_e32 vcc, 7, v0
	s_waitcnt vmcnt(0)
	ds_write_b64 v1, v[38:39]
	s_waitcnt lgkmcnt(0)
	; wave barrier
	s_waitcnt lgkmcnt(0)
	s_and_saveexec_b64 s[4:5], vcc
	s_cbranch_execz .LBB16_43
; %bb.40:
	v_add_u32_e32 v38, -1, v0
	v_add_u32_e32 v39, 0x90, v40
	v_add_u32_e32 v41, 0, v40
	s_mov_b64 s[6:7], 0
	v_mov_b32_e32 v37, 0
	v_mov_b32_e32 v42, 0
.LBB16_41:                              ; =>This Inner Loop Header: Depth=1
	buffer_load_dword v43, v41, s[0:3], 0 offen offset:4
	buffer_load_dword v46, v41, s[0:3], 0 offen
	ds_read_b64 v[44:45], v39
	v_add_u32_e32 v38, 1, v38
	v_cmp_lt_u32_e32 vcc, 5, v38
	v_add_u32_e32 v39, 8, v39
	v_add_u32_e32 v41, 8, v41
	s_or_b64 s[6:7], vcc, s[6:7]
	s_waitcnt vmcnt(1) lgkmcnt(0)
	v_mul_f32_e32 v47, v45, v43
	v_mul_f32_e32 v43, v44, v43
	s_waitcnt vmcnt(0)
	v_fma_f32 v44, v44, v46, -v47
	v_fmac_f32_e32 v43, v45, v46
	v_add_f32_e32 v42, v42, v44
	v_add_f32_e32 v37, v37, v43
	s_andn2_b64 exec, exec, s[6:7]
	s_cbranch_execnz .LBB16_41
; %bb.42:
	s_or_b64 exec, exec, s[6:7]
	v_mov_b32_e32 v38, 0
	ds_read_b64 v[38:39], v38 offset:56
	s_waitcnt lgkmcnt(0)
	v_mul_f32_e32 v41, v37, v39
	v_mul_f32_e32 v39, v42, v39
	v_fma_f32 v41, v42, v38, -v41
	v_fmac_f32_e32 v39, v37, v38
	buffer_store_dword v41, off, s[0:3], 0 offset:56
	buffer_store_dword v39, off, s[0:3], 0 offset:60
.LBB16_43:
	s_or_b64 exec, exec, s[4:5]
	s_waitcnt lgkmcnt(0)
	; wave barrier
	buffer_load_dword v38, off, s[0:3], 0 offset:64
	buffer_load_dword v39, off, s[0:3], 0 offset:68
	v_cmp_gt_u32_e32 vcc, 8, v0
	s_waitcnt vmcnt(0)
	ds_write_b64 v1, v[38:39]
	s_waitcnt lgkmcnt(0)
	; wave barrier
	s_waitcnt lgkmcnt(0)
	s_and_saveexec_b64 s[4:5], vcc
	s_cbranch_execz .LBB16_47
; %bb.44:
	v_add_u32_e32 v38, -1, v0
	v_add_u32_e32 v39, 0x90, v40
	v_add_u32_e32 v41, 0, v40
	s_mov_b64 s[6:7], 0
	v_mov_b32_e32 v37, 0
	v_mov_b32_e32 v42, 0
.LBB16_45:                              ; =>This Inner Loop Header: Depth=1
	buffer_load_dword v43, v41, s[0:3], 0 offen offset:4
	buffer_load_dword v46, v41, s[0:3], 0 offen
	ds_read_b64 v[44:45], v39
	v_add_u32_e32 v38, 1, v38
	v_cmp_lt_u32_e32 vcc, 6, v38
	v_add_u32_e32 v39, 8, v39
	v_add_u32_e32 v41, 8, v41
	s_or_b64 s[6:7], vcc, s[6:7]
	s_waitcnt vmcnt(1) lgkmcnt(0)
	v_mul_f32_e32 v47, v45, v43
	v_mul_f32_e32 v43, v44, v43
	s_waitcnt vmcnt(0)
	v_fma_f32 v44, v44, v46, -v47
	v_fmac_f32_e32 v43, v45, v46
	v_add_f32_e32 v42, v42, v44
	v_add_f32_e32 v37, v37, v43
	s_andn2_b64 exec, exec, s[6:7]
	s_cbranch_execnz .LBB16_45
; %bb.46:
	s_or_b64 exec, exec, s[6:7]
	v_mov_b32_e32 v38, 0
	ds_read_b64 v[38:39], v38 offset:64
	s_waitcnt lgkmcnt(0)
	v_mul_f32_e32 v41, v37, v39
	v_mul_f32_e32 v39, v42, v39
	v_fma_f32 v41, v42, v38, -v41
	v_fmac_f32_e32 v39, v37, v38
	buffer_store_dword v41, off, s[0:3], 0 offset:64
	buffer_store_dword v39, off, s[0:3], 0 offset:68
.LBB16_47:
	s_or_b64 exec, exec, s[4:5]
	s_waitcnt lgkmcnt(0)
	; wave barrier
	buffer_load_dword v38, off, s[0:3], 0 offset:72
	buffer_load_dword v39, off, s[0:3], 0 offset:76
	v_cmp_gt_u32_e32 vcc, 9, v0
	s_waitcnt vmcnt(0)
	ds_write_b64 v1, v[38:39]
	s_waitcnt lgkmcnt(0)
	; wave barrier
	s_waitcnt lgkmcnt(0)
	s_and_saveexec_b64 s[4:5], vcc
	s_cbranch_execz .LBB16_51
; %bb.48:
	v_add_u32_e32 v38, -1, v0
	v_add_u32_e32 v39, 0x90, v40
	v_add_u32_e32 v41, 0, v40
	s_mov_b64 s[6:7], 0
	v_mov_b32_e32 v37, 0
	v_mov_b32_e32 v42, 0
.LBB16_49:                              ; =>This Inner Loop Header: Depth=1
	buffer_load_dword v43, v41, s[0:3], 0 offen offset:4
	buffer_load_dword v46, v41, s[0:3], 0 offen
	ds_read_b64 v[44:45], v39
	v_add_u32_e32 v38, 1, v38
	v_cmp_lt_u32_e32 vcc, 7, v38
	v_add_u32_e32 v39, 8, v39
	v_add_u32_e32 v41, 8, v41
	s_or_b64 s[6:7], vcc, s[6:7]
	s_waitcnt vmcnt(1) lgkmcnt(0)
	v_mul_f32_e32 v47, v45, v43
	v_mul_f32_e32 v43, v44, v43
	s_waitcnt vmcnt(0)
	v_fma_f32 v44, v44, v46, -v47
	v_fmac_f32_e32 v43, v45, v46
	v_add_f32_e32 v42, v42, v44
	v_add_f32_e32 v37, v37, v43
	s_andn2_b64 exec, exec, s[6:7]
	s_cbranch_execnz .LBB16_49
; %bb.50:
	s_or_b64 exec, exec, s[6:7]
	v_mov_b32_e32 v38, 0
	ds_read_b64 v[38:39], v38 offset:72
	s_waitcnt lgkmcnt(0)
	v_mul_f32_e32 v41, v37, v39
	v_mul_f32_e32 v39, v42, v39
	v_fma_f32 v41, v42, v38, -v41
	v_fmac_f32_e32 v39, v37, v38
	buffer_store_dword v41, off, s[0:3], 0 offset:72
	buffer_store_dword v39, off, s[0:3], 0 offset:76
.LBB16_51:
	s_or_b64 exec, exec, s[4:5]
	s_waitcnt lgkmcnt(0)
	; wave barrier
	buffer_load_dword v38, off, s[0:3], 0 offset:80
	buffer_load_dword v39, off, s[0:3], 0 offset:84
	v_cmp_gt_u32_e32 vcc, 10, v0
	s_waitcnt vmcnt(0)
	ds_write_b64 v1, v[38:39]
	s_waitcnt lgkmcnt(0)
	; wave barrier
	s_waitcnt lgkmcnt(0)
	s_and_saveexec_b64 s[4:5], vcc
	s_cbranch_execz .LBB16_55
; %bb.52:
	v_add_u32_e32 v38, -1, v0
	v_add_u32_e32 v39, 0x90, v40
	v_add_u32_e32 v41, 0, v40
	s_mov_b64 s[6:7], 0
	v_mov_b32_e32 v37, 0
	v_mov_b32_e32 v42, 0
.LBB16_53:                              ; =>This Inner Loop Header: Depth=1
	buffer_load_dword v43, v41, s[0:3], 0 offen offset:4
	buffer_load_dword v46, v41, s[0:3], 0 offen
	ds_read_b64 v[44:45], v39
	v_add_u32_e32 v38, 1, v38
	v_cmp_lt_u32_e32 vcc, 8, v38
	v_add_u32_e32 v39, 8, v39
	v_add_u32_e32 v41, 8, v41
	s_or_b64 s[6:7], vcc, s[6:7]
	s_waitcnt vmcnt(1) lgkmcnt(0)
	v_mul_f32_e32 v47, v45, v43
	v_mul_f32_e32 v43, v44, v43
	s_waitcnt vmcnt(0)
	v_fma_f32 v44, v44, v46, -v47
	v_fmac_f32_e32 v43, v45, v46
	v_add_f32_e32 v42, v42, v44
	v_add_f32_e32 v37, v37, v43
	s_andn2_b64 exec, exec, s[6:7]
	s_cbranch_execnz .LBB16_53
; %bb.54:
	s_or_b64 exec, exec, s[6:7]
	v_mov_b32_e32 v38, 0
	ds_read_b64 v[38:39], v38 offset:80
	s_waitcnt lgkmcnt(0)
	v_mul_f32_e32 v41, v37, v39
	v_mul_f32_e32 v39, v42, v39
	v_fma_f32 v41, v42, v38, -v41
	v_fmac_f32_e32 v39, v37, v38
	buffer_store_dword v41, off, s[0:3], 0 offset:80
	buffer_store_dword v39, off, s[0:3], 0 offset:84
.LBB16_55:
	s_or_b64 exec, exec, s[4:5]
	s_waitcnt lgkmcnt(0)
	; wave barrier
	buffer_load_dword v38, off, s[0:3], 0 offset:88
	buffer_load_dword v39, off, s[0:3], 0 offset:92
	v_cmp_gt_u32_e32 vcc, 11, v0
	s_waitcnt vmcnt(0)
	ds_write_b64 v1, v[38:39]
	s_waitcnt lgkmcnt(0)
	; wave barrier
	s_waitcnt lgkmcnt(0)
	s_and_saveexec_b64 s[4:5], vcc
	s_cbranch_execz .LBB16_59
; %bb.56:
	v_add_u32_e32 v38, -1, v0
	v_add_u32_e32 v39, 0x90, v40
	v_add_u32_e32 v41, 0, v40
	s_mov_b64 s[6:7], 0
	v_mov_b32_e32 v37, 0
	v_mov_b32_e32 v42, 0
.LBB16_57:                              ; =>This Inner Loop Header: Depth=1
	buffer_load_dword v43, v41, s[0:3], 0 offen offset:4
	buffer_load_dword v46, v41, s[0:3], 0 offen
	ds_read_b64 v[44:45], v39
	v_add_u32_e32 v38, 1, v38
	v_cmp_lt_u32_e32 vcc, 9, v38
	v_add_u32_e32 v39, 8, v39
	v_add_u32_e32 v41, 8, v41
	s_or_b64 s[6:7], vcc, s[6:7]
	s_waitcnt vmcnt(1) lgkmcnt(0)
	v_mul_f32_e32 v47, v45, v43
	v_mul_f32_e32 v43, v44, v43
	s_waitcnt vmcnt(0)
	v_fma_f32 v44, v44, v46, -v47
	v_fmac_f32_e32 v43, v45, v46
	v_add_f32_e32 v42, v42, v44
	v_add_f32_e32 v37, v37, v43
	s_andn2_b64 exec, exec, s[6:7]
	s_cbranch_execnz .LBB16_57
; %bb.58:
	s_or_b64 exec, exec, s[6:7]
	v_mov_b32_e32 v38, 0
	ds_read_b64 v[38:39], v38 offset:88
	s_waitcnt lgkmcnt(0)
	v_mul_f32_e32 v41, v37, v39
	v_mul_f32_e32 v39, v42, v39
	v_fma_f32 v41, v42, v38, -v41
	v_fmac_f32_e32 v39, v37, v38
	buffer_store_dword v41, off, s[0:3], 0 offset:88
	buffer_store_dword v39, off, s[0:3], 0 offset:92
.LBB16_59:
	s_or_b64 exec, exec, s[4:5]
	s_waitcnt lgkmcnt(0)
	; wave barrier
	buffer_load_dword v38, off, s[0:3], 0 offset:96
	buffer_load_dword v39, off, s[0:3], 0 offset:100
	v_cmp_gt_u32_e32 vcc, 12, v0
	s_waitcnt vmcnt(0)
	ds_write_b64 v1, v[38:39]
	s_waitcnt lgkmcnt(0)
	; wave barrier
	s_waitcnt lgkmcnt(0)
	s_and_saveexec_b64 s[4:5], vcc
	s_cbranch_execz .LBB16_63
; %bb.60:
	v_add_u32_e32 v38, -1, v0
	v_add_u32_e32 v39, 0x90, v40
	v_add_u32_e32 v41, 0, v40
	s_mov_b64 s[6:7], 0
	v_mov_b32_e32 v37, 0
	v_mov_b32_e32 v42, 0
.LBB16_61:                              ; =>This Inner Loop Header: Depth=1
	buffer_load_dword v43, v41, s[0:3], 0 offen offset:4
	buffer_load_dword v46, v41, s[0:3], 0 offen
	ds_read_b64 v[44:45], v39
	v_add_u32_e32 v38, 1, v38
	v_cmp_lt_u32_e32 vcc, 10, v38
	v_add_u32_e32 v39, 8, v39
	v_add_u32_e32 v41, 8, v41
	s_or_b64 s[6:7], vcc, s[6:7]
	s_waitcnt vmcnt(1) lgkmcnt(0)
	v_mul_f32_e32 v47, v45, v43
	v_mul_f32_e32 v43, v44, v43
	s_waitcnt vmcnt(0)
	v_fma_f32 v44, v44, v46, -v47
	v_fmac_f32_e32 v43, v45, v46
	v_add_f32_e32 v42, v42, v44
	v_add_f32_e32 v37, v37, v43
	s_andn2_b64 exec, exec, s[6:7]
	s_cbranch_execnz .LBB16_61
; %bb.62:
	s_or_b64 exec, exec, s[6:7]
	v_mov_b32_e32 v38, 0
	ds_read_b64 v[38:39], v38 offset:96
	s_waitcnt lgkmcnt(0)
	v_mul_f32_e32 v41, v37, v39
	v_mul_f32_e32 v39, v42, v39
	v_fma_f32 v41, v42, v38, -v41
	v_fmac_f32_e32 v39, v37, v38
	buffer_store_dword v41, off, s[0:3], 0 offset:96
	buffer_store_dword v39, off, s[0:3], 0 offset:100
.LBB16_63:
	s_or_b64 exec, exec, s[4:5]
	s_waitcnt lgkmcnt(0)
	; wave barrier
	buffer_load_dword v38, off, s[0:3], 0 offset:104
	buffer_load_dword v39, off, s[0:3], 0 offset:108
	v_cmp_gt_u32_e32 vcc, 13, v0
	s_waitcnt vmcnt(0)
	ds_write_b64 v1, v[38:39]
	s_waitcnt lgkmcnt(0)
	; wave barrier
	s_waitcnt lgkmcnt(0)
	s_and_saveexec_b64 s[4:5], vcc
	s_cbranch_execz .LBB16_67
; %bb.64:
	v_add_u32_e32 v38, -1, v0
	v_add_u32_e32 v39, 0x90, v40
	v_add_u32_e32 v41, 0, v40
	s_mov_b64 s[6:7], 0
	v_mov_b32_e32 v37, 0
	v_mov_b32_e32 v42, 0
.LBB16_65:                              ; =>This Inner Loop Header: Depth=1
	buffer_load_dword v43, v41, s[0:3], 0 offen offset:4
	buffer_load_dword v46, v41, s[0:3], 0 offen
	ds_read_b64 v[44:45], v39
	v_add_u32_e32 v38, 1, v38
	v_cmp_lt_u32_e32 vcc, 11, v38
	v_add_u32_e32 v39, 8, v39
	v_add_u32_e32 v41, 8, v41
	s_or_b64 s[6:7], vcc, s[6:7]
	s_waitcnt vmcnt(1) lgkmcnt(0)
	v_mul_f32_e32 v47, v45, v43
	v_mul_f32_e32 v43, v44, v43
	s_waitcnt vmcnt(0)
	v_fma_f32 v44, v44, v46, -v47
	v_fmac_f32_e32 v43, v45, v46
	v_add_f32_e32 v42, v42, v44
	v_add_f32_e32 v37, v37, v43
	s_andn2_b64 exec, exec, s[6:7]
	s_cbranch_execnz .LBB16_65
; %bb.66:
	s_or_b64 exec, exec, s[6:7]
	v_mov_b32_e32 v38, 0
	ds_read_b64 v[38:39], v38 offset:104
	s_waitcnt lgkmcnt(0)
	v_mul_f32_e32 v41, v37, v39
	v_mul_f32_e32 v39, v42, v39
	v_fma_f32 v41, v42, v38, -v41
	v_fmac_f32_e32 v39, v37, v38
	buffer_store_dword v41, off, s[0:3], 0 offset:104
	buffer_store_dword v39, off, s[0:3], 0 offset:108
.LBB16_67:
	s_or_b64 exec, exec, s[4:5]
	s_waitcnt lgkmcnt(0)
	; wave barrier
	buffer_load_dword v38, off, s[0:3], 0 offset:112
	buffer_load_dword v39, off, s[0:3], 0 offset:116
	v_cmp_gt_u32_e32 vcc, 14, v0
	s_waitcnt vmcnt(0)
	ds_write_b64 v1, v[38:39]
	s_waitcnt lgkmcnt(0)
	; wave barrier
	s_waitcnt lgkmcnt(0)
	s_and_saveexec_b64 s[4:5], vcc
	s_cbranch_execz .LBB16_71
; %bb.68:
	v_add_u32_e32 v38, -1, v0
	v_add_u32_e32 v39, 0x90, v40
	v_add_u32_e32 v41, 0, v40
	s_mov_b64 s[6:7], 0
	v_mov_b32_e32 v37, 0
	v_mov_b32_e32 v42, 0
.LBB16_69:                              ; =>This Inner Loop Header: Depth=1
	buffer_load_dword v43, v41, s[0:3], 0 offen offset:4
	buffer_load_dword v46, v41, s[0:3], 0 offen
	ds_read_b64 v[44:45], v39
	v_add_u32_e32 v38, 1, v38
	v_cmp_lt_u32_e32 vcc, 12, v38
	v_add_u32_e32 v39, 8, v39
	v_add_u32_e32 v41, 8, v41
	s_or_b64 s[6:7], vcc, s[6:7]
	s_waitcnt vmcnt(1) lgkmcnt(0)
	v_mul_f32_e32 v47, v45, v43
	v_mul_f32_e32 v43, v44, v43
	s_waitcnt vmcnt(0)
	v_fma_f32 v44, v44, v46, -v47
	v_fmac_f32_e32 v43, v45, v46
	v_add_f32_e32 v42, v42, v44
	v_add_f32_e32 v37, v37, v43
	s_andn2_b64 exec, exec, s[6:7]
	s_cbranch_execnz .LBB16_69
; %bb.70:
	s_or_b64 exec, exec, s[6:7]
	v_mov_b32_e32 v38, 0
	ds_read_b64 v[38:39], v38 offset:112
	s_waitcnt lgkmcnt(0)
	v_mul_f32_e32 v41, v37, v39
	v_mul_f32_e32 v39, v42, v39
	v_fma_f32 v41, v42, v38, -v41
	v_fmac_f32_e32 v39, v37, v38
	buffer_store_dword v41, off, s[0:3], 0 offset:112
	buffer_store_dword v39, off, s[0:3], 0 offset:116
.LBB16_71:
	s_or_b64 exec, exec, s[4:5]
	s_waitcnt lgkmcnt(0)
	; wave barrier
	buffer_load_dword v38, off, s[0:3], 0 offset:120
	buffer_load_dword v39, off, s[0:3], 0 offset:124
	v_cmp_gt_u32_e32 vcc, 15, v0
	s_waitcnt vmcnt(0)
	ds_write_b64 v1, v[38:39]
	s_waitcnt lgkmcnt(0)
	; wave barrier
	s_waitcnt lgkmcnt(0)
	s_and_saveexec_b64 s[4:5], vcc
	s_cbranch_execz .LBB16_75
; %bb.72:
	v_add_u32_e32 v38, -1, v0
	v_add_u32_e32 v39, 0x90, v40
	v_add_u32_e32 v41, 0, v40
	s_mov_b64 s[6:7], 0
	v_mov_b32_e32 v37, 0
	v_mov_b32_e32 v42, 0
.LBB16_73:                              ; =>This Inner Loop Header: Depth=1
	buffer_load_dword v43, v41, s[0:3], 0 offen offset:4
	buffer_load_dword v46, v41, s[0:3], 0 offen
	ds_read_b64 v[44:45], v39
	v_add_u32_e32 v38, 1, v38
	v_cmp_lt_u32_e32 vcc, 13, v38
	v_add_u32_e32 v39, 8, v39
	v_add_u32_e32 v41, 8, v41
	s_or_b64 s[6:7], vcc, s[6:7]
	s_waitcnt vmcnt(1) lgkmcnt(0)
	v_mul_f32_e32 v47, v45, v43
	v_mul_f32_e32 v43, v44, v43
	s_waitcnt vmcnt(0)
	v_fma_f32 v44, v44, v46, -v47
	v_fmac_f32_e32 v43, v45, v46
	v_add_f32_e32 v42, v42, v44
	v_add_f32_e32 v37, v37, v43
	s_andn2_b64 exec, exec, s[6:7]
	s_cbranch_execnz .LBB16_73
; %bb.74:
	s_or_b64 exec, exec, s[6:7]
	v_mov_b32_e32 v38, 0
	ds_read_b64 v[38:39], v38 offset:120
	s_waitcnt lgkmcnt(0)
	v_mul_f32_e32 v41, v37, v39
	v_mul_f32_e32 v39, v42, v39
	v_fma_f32 v41, v42, v38, -v41
	v_fmac_f32_e32 v39, v37, v38
	buffer_store_dword v41, off, s[0:3], 0 offset:120
	buffer_store_dword v39, off, s[0:3], 0 offset:124
.LBB16_75:
	s_or_b64 exec, exec, s[4:5]
	s_waitcnt lgkmcnt(0)
	; wave barrier
	buffer_load_dword v38, off, s[0:3], 0 offset:128
	buffer_load_dword v39, off, s[0:3], 0 offset:132
	v_cmp_ne_u32_e32 vcc, 16, v0
	s_waitcnt vmcnt(0)
	ds_write_b64 v1, v[38:39]
	s_waitcnt lgkmcnt(0)
	; wave barrier
	s_waitcnt lgkmcnt(0)
	s_and_saveexec_b64 s[4:5], vcc
	s_cbranch_execz .LBB16_79
; %bb.76:
	v_add_u32_e32 v37, 0x90, v40
	v_add_u32_e32 v38, 0, v40
	s_mov_b64 s[6:7], 0
	v_mov_b32_e32 v1, 0
	v_mov_b32_e32 v39, 0
.LBB16_77:                              ; =>This Inner Loop Header: Depth=1
	buffer_load_dword v42, v38, s[0:3], 0 offen offset:4
	buffer_load_dword v43, v38, s[0:3], 0 offen
	ds_read_b64 v[40:41], v37
	v_add_u32_e32 v36, 1, v36
	v_cmp_lt_u32_e32 vcc, 14, v36
	v_add_u32_e32 v37, 8, v37
	v_add_u32_e32 v38, 8, v38
	s_or_b64 s[6:7], vcc, s[6:7]
	s_waitcnt vmcnt(1) lgkmcnt(0)
	v_mul_f32_e32 v44, v41, v42
	v_mul_f32_e32 v42, v40, v42
	s_waitcnt vmcnt(0)
	v_fma_f32 v40, v40, v43, -v44
	v_fmac_f32_e32 v42, v41, v43
	v_add_f32_e32 v39, v39, v40
	v_add_f32_e32 v1, v1, v42
	s_andn2_b64 exec, exec, s[6:7]
	s_cbranch_execnz .LBB16_77
; %bb.78:
	s_or_b64 exec, exec, s[6:7]
	v_mov_b32_e32 v36, 0
	ds_read_b64 v[36:37], v36 offset:128
	s_waitcnt lgkmcnt(0)
	v_mul_f32_e32 v38, v1, v37
	v_mul_f32_e32 v37, v39, v37
	v_fma_f32 v38, v39, v36, -v38
	v_fmac_f32_e32 v37, v1, v36
	buffer_store_dword v38, off, s[0:3], 0 offset:128
	buffer_store_dword v37, off, s[0:3], 0 offset:132
.LBB16_79:
	s_or_b64 exec, exec, s[4:5]
	s_mov_b64 s[6:7], -1
	s_waitcnt lgkmcnt(0)
	; wave barrier
.LBB16_80:
	s_and_b64 vcc, exec, s[6:7]
	s_cbranch_vccz .LBB16_82
; %bb.81:
	s_lshl_b64 s[4:5], s[8:9], 2
	s_add_u32 s4, s14, s4
	s_addc_u32 s5, s15, s5
	v_mov_b32_e32 v1, 0
	global_load_dword v1, v1, s[4:5]
	s_waitcnt vmcnt(0)
	v_cmp_ne_u32_e32 vcc, 0, v1
	s_cbranch_vccz .LBB16_83
.LBB16_82:
	s_endpgm
.LBB16_83:
	v_mov_b32_e32 v1, 0x90
	v_lshl_add_u32 v1, v0, 3, v1
	v_cmp_eq_u32_e32 vcc, 16, v0
	s_and_saveexec_b64 s[4:5], vcc
	s_cbranch_execz .LBB16_85
; %bb.84:
	buffer_load_dword v36, off, s[0:3], 0 offset:120
	buffer_load_dword v37, off, s[0:3], 0 offset:124
	v_mov_b32_e32 v38, 0
	buffer_store_dword v38, off, s[0:3], 0 offset:120
	buffer_store_dword v38, off, s[0:3], 0 offset:124
	s_waitcnt vmcnt(2)
	ds_write_b64 v1, v[36:37]
.LBB16_85:
	s_or_b64 exec, exec, s[4:5]
	s_waitcnt lgkmcnt(0)
	; wave barrier
	s_waitcnt lgkmcnt(0)
	buffer_load_dword v39, off, s[0:3], 0 offset:132
	buffer_load_dword v38, off, s[0:3], 0 offset:128
	;; [unrolled: 1-line block ×4, first 2 shown]
	v_mov_b32_e32 v36, 0
	ds_read_b64 v[42:43], v36 offset:272
	v_cmp_lt_u32_e32 vcc, 14, v0
	s_waitcnt vmcnt(3)
	v_mov_b32_e32 v44, v39
	s_waitcnt lgkmcnt(0)
	v_pk_mul_f32 v[44:45], v[42:43], v[44:45] op_sel_hi:[1,0]
	s_waitcnt vmcnt(2)
	v_pk_fma_f32 v[46:47], v[42:43], v[38:39], v[44:45] op_sel:[0,0,1] op_sel_hi:[1,1,0] neg_lo:[0,0,1] neg_hi:[0,0,1]
	v_pk_fma_f32 v[38:39], v[42:43], v[38:39], v[44:45] op_sel:[0,0,1] op_sel_hi:[1,0,0]
	v_mov_b32_e32 v47, v39
	v_pk_add_f32 v[38:39], v[46:47], 0 op_sel_hi:[1,0]
	s_waitcnt vmcnt(0)
	v_pk_add_f32 v[38:39], v[40:41], v[38:39] neg_lo:[0,1] neg_hi:[0,1]
	buffer_store_dword v38, off, s[0:3], 0 offset:120
	buffer_store_dword v39, off, s[0:3], 0 offset:124
	s_and_saveexec_b64 s[4:5], vcc
	s_cbranch_execz .LBB16_87
; %bb.86:
	buffer_load_dword v38, off, s[0:3], 0 offset:112
	buffer_load_dword v39, off, s[0:3], 0 offset:116
	s_waitcnt vmcnt(0)
	ds_write_b64 v1, v[38:39]
	buffer_store_dword v36, off, s[0:3], 0 offset:112
	buffer_store_dword v36, off, s[0:3], 0 offset:116
.LBB16_87:
	s_or_b64 exec, exec, s[4:5]
	s_waitcnt lgkmcnt(0)
	; wave barrier
	s_waitcnt lgkmcnt(0)
	buffer_load_dword v41, off, s[0:3], 0 offset:124
	buffer_load_dword v43, off, s[0:3], 0 offset:132
	buffer_load_dword v40, off, s[0:3], 0 offset:120
	buffer_load_dword v42, off, s[0:3], 0 offset:128
	buffer_load_dword v44, off, s[0:3], 0 offset:112
	buffer_load_dword v45, off, s[0:3], 0 offset:116
	ds_read2_b64 v[36:39], v36 offset0:33 offset1:34
	v_cmp_lt_u32_e32 vcc, 13, v0
	s_waitcnt vmcnt(5)
	v_mov_b32_e32 v46, v41
	s_waitcnt vmcnt(4)
	v_mov_b32_e32 v48, v43
	s_waitcnt lgkmcnt(0)
	v_pk_mul_f32 v[46:47], v[36:37], v[46:47] op_sel_hi:[1,0]
	v_pk_mul_f32 v[48:49], v[38:39], v[48:49] op_sel_hi:[1,0]
	s_waitcnt vmcnt(3)
	v_pk_fma_f32 v[50:51], v[36:37], v[40:41], v[46:47] op_sel:[0,0,1] op_sel_hi:[1,1,0] neg_lo:[0,0,1] neg_hi:[0,0,1]
	v_pk_fma_f32 v[36:37], v[36:37], v[40:41], v[46:47] op_sel:[0,0,1] op_sel_hi:[1,0,0]
	s_waitcnt vmcnt(2)
	v_pk_fma_f32 v[40:41], v[38:39], v[42:43], v[48:49] op_sel:[0,0,1] op_sel_hi:[1,1,0] neg_lo:[0,0,1] neg_hi:[0,0,1]
	v_pk_fma_f32 v[38:39], v[38:39], v[42:43], v[48:49] op_sel:[0,0,1] op_sel_hi:[1,0,0]
	v_mov_b32_e32 v51, v37
	v_mov_b32_e32 v41, v39
	v_pk_add_f32 v[36:37], v[50:51], 0 op_sel_hi:[1,0]
	v_pk_add_f32 v[36:37], v[36:37], v[40:41]
	s_waitcnt vmcnt(0)
	v_pk_add_f32 v[36:37], v[44:45], v[36:37] neg_lo:[0,1] neg_hi:[0,1]
	buffer_store_dword v36, off, s[0:3], 0 offset:112
	buffer_store_dword v37, off, s[0:3], 0 offset:116
	s_and_saveexec_b64 s[4:5], vcc
	s_cbranch_execz .LBB16_89
; %bb.88:
	buffer_load_dword v36, off, s[0:3], 0 offset:104
	buffer_load_dword v37, off, s[0:3], 0 offset:108
	v_mov_b32_e32 v38, 0
	buffer_store_dword v38, off, s[0:3], 0 offset:104
	buffer_store_dword v38, off, s[0:3], 0 offset:108
	s_waitcnt vmcnt(2)
	ds_write_b64 v1, v[36:37]
.LBB16_89:
	s_or_b64 exec, exec, s[4:5]
	s_waitcnt lgkmcnt(0)
	; wave barrier
	s_waitcnt lgkmcnt(0)
	buffer_load_dword v43, off, s[0:3], 0 offset:116
	buffer_load_dword v45, off, s[0:3], 0 offset:124
	;; [unrolled: 1-line block ×8, first 2 shown]
	v_mov_b32_e32 v36, 0
	ds_read_b128 v[38:41], v36 offset:256
	ds_read_b64 v[50:51], v36 offset:272
	v_cmp_lt_u32_e32 vcc, 12, v0
	s_waitcnt vmcnt(7)
	v_mov_b32_e32 v52, v43
	s_waitcnt vmcnt(6)
	v_mov_b32_e32 v54, v45
	s_waitcnt lgkmcnt(1)
	v_pk_mul_f32 v[52:53], v[38:39], v[52:53] op_sel_hi:[1,0]
	s_waitcnt vmcnt(5)
	v_mov_b32_e32 v56, v47
	v_pk_mul_f32 v[54:55], v[40:41], v[54:55] op_sel_hi:[1,0]
	s_waitcnt vmcnt(4)
	v_pk_fma_f32 v[58:59], v[38:39], v[42:43], v[52:53] op_sel:[0,0,1] op_sel_hi:[1,1,0] neg_lo:[0,0,1] neg_hi:[0,0,1]
	v_pk_fma_f32 v[38:39], v[38:39], v[42:43], v[52:53] op_sel:[0,0,1] op_sel_hi:[1,0,0]
	s_waitcnt lgkmcnt(0)
	v_pk_mul_f32 v[56:57], v[50:51], v[56:57] op_sel_hi:[1,0]
	s_waitcnt vmcnt(3)
	v_pk_fma_f32 v[42:43], v[40:41], v[44:45], v[54:55] op_sel:[0,0,1] op_sel_hi:[1,1,0] neg_lo:[0,0,1] neg_hi:[0,0,1]
	v_pk_fma_f32 v[40:41], v[40:41], v[44:45], v[54:55] op_sel:[0,0,1] op_sel_hi:[1,0,0]
	v_mov_b32_e32 v59, v39
	s_waitcnt vmcnt(2)
	v_pk_fma_f32 v[44:45], v[50:51], v[46:47], v[56:57] op_sel:[0,0,1] op_sel_hi:[1,1,0] neg_lo:[0,0,1] neg_hi:[0,0,1]
	v_pk_fma_f32 v[46:47], v[50:51], v[46:47], v[56:57] op_sel:[0,0,1] op_sel_hi:[1,0,0]
	v_mov_b32_e32 v43, v41
	v_pk_add_f32 v[38:39], v[58:59], 0 op_sel_hi:[1,0]
	v_mov_b32_e32 v45, v47
	v_pk_add_f32 v[38:39], v[38:39], v[42:43]
	v_pk_add_f32 v[38:39], v[38:39], v[44:45]
	s_waitcnt vmcnt(0)
	v_pk_add_f32 v[38:39], v[48:49], v[38:39] neg_lo:[0,1] neg_hi:[0,1]
	buffer_store_dword v38, off, s[0:3], 0 offset:104
	buffer_store_dword v39, off, s[0:3], 0 offset:108
	s_and_saveexec_b64 s[4:5], vcc
	s_cbranch_execz .LBB16_91
; %bb.90:
	buffer_load_dword v38, off, s[0:3], 0 offset:96
	buffer_load_dword v39, off, s[0:3], 0 offset:100
	s_waitcnt vmcnt(0)
	ds_write_b64 v1, v[38:39]
	buffer_store_dword v36, off, s[0:3], 0 offset:96
	buffer_store_dword v36, off, s[0:3], 0 offset:100
.LBB16_91:
	s_or_b64 exec, exec, s[4:5]
	s_waitcnt lgkmcnt(0)
	; wave barrier
	s_waitcnt lgkmcnt(0)
	buffer_load_dword v47, off, s[0:3], 0 offset:108
	buffer_load_dword v49, off, s[0:3], 0 offset:116
	;; [unrolled: 1-line block ×10, first 2 shown]
	ds_read2_b64 v[38:41], v36 offset0:31 offset1:32
	ds_read2_b64 v[42:45], v36 offset0:33 offset1:34
	v_cmp_lt_u32_e32 vcc, 11, v0
	s_waitcnt vmcnt(9)
	v_mov_b32_e32 v36, v47
	s_waitcnt vmcnt(8)
	v_mov_b32_e32 v56, v49
	s_waitcnt lgkmcnt(1)
	v_pk_mul_f32 v[36:37], v[38:39], v[36:37] op_sel_hi:[1,0]
	s_waitcnt vmcnt(7)
	v_mov_b32_e32 v58, v51
	v_pk_mul_f32 v[56:57], v[40:41], v[56:57] op_sel_hi:[1,0]
	s_waitcnt vmcnt(5)
	v_pk_fma_f32 v[62:63], v[38:39], v[46:47], v[36:37] op_sel:[0,0,1] op_sel_hi:[1,1,0] neg_lo:[0,0,1] neg_hi:[0,0,1]
	v_pk_fma_f32 v[36:37], v[38:39], v[46:47], v[36:37] op_sel:[0,0,1] op_sel_hi:[1,0,0]
	v_mov_b32_e32 v60, v53
	s_waitcnt lgkmcnt(0)
	v_pk_mul_f32 v[58:59], v[42:43], v[58:59] op_sel_hi:[1,0]
	s_waitcnt vmcnt(4)
	v_pk_fma_f32 v[38:39], v[40:41], v[48:49], v[56:57] op_sel:[0,0,1] op_sel_hi:[1,1,0] neg_lo:[0,0,1] neg_hi:[0,0,1]
	v_pk_fma_f32 v[40:41], v[40:41], v[48:49], v[56:57] op_sel:[0,0,1] op_sel_hi:[1,0,0]
	v_mov_b32_e32 v63, v37
	v_pk_mul_f32 v[60:61], v[44:45], v[60:61] op_sel_hi:[1,0]
	s_waitcnt vmcnt(3)
	v_pk_fma_f32 v[46:47], v[42:43], v[50:51], v[58:59] op_sel:[0,0,1] op_sel_hi:[1,1,0] neg_lo:[0,0,1] neg_hi:[0,0,1]
	v_pk_fma_f32 v[42:43], v[42:43], v[50:51], v[58:59] op_sel:[0,0,1] op_sel_hi:[1,0,0]
	v_mov_b32_e32 v39, v41
	v_pk_add_f32 v[36:37], v[62:63], 0 op_sel_hi:[1,0]
	s_waitcnt vmcnt(2)
	v_pk_fma_f32 v[48:49], v[44:45], v[52:53], v[60:61] op_sel:[0,0,1] op_sel_hi:[1,1,0] neg_lo:[0,0,1] neg_hi:[0,0,1]
	v_pk_fma_f32 v[44:45], v[44:45], v[52:53], v[60:61] op_sel:[0,0,1] op_sel_hi:[1,0,0]
	v_mov_b32_e32 v47, v43
	v_pk_add_f32 v[36:37], v[36:37], v[38:39]
	v_mov_b32_e32 v49, v45
	v_pk_add_f32 v[36:37], v[36:37], v[46:47]
	v_pk_add_f32 v[36:37], v[36:37], v[48:49]
	s_waitcnt vmcnt(0)
	v_pk_add_f32 v[36:37], v[54:55], v[36:37] neg_lo:[0,1] neg_hi:[0,1]
	buffer_store_dword v36, off, s[0:3], 0 offset:96
	buffer_store_dword v37, off, s[0:3], 0 offset:100
	s_and_saveexec_b64 s[4:5], vcc
	s_cbranch_execz .LBB16_93
; %bb.92:
	buffer_load_dword v36, off, s[0:3], 0 offset:88
	buffer_load_dword v37, off, s[0:3], 0 offset:92
	v_mov_b32_e32 v38, 0
	buffer_store_dword v38, off, s[0:3], 0 offset:88
	buffer_store_dword v38, off, s[0:3], 0 offset:92
	s_waitcnt vmcnt(2)
	ds_write_b64 v1, v[36:37]
.LBB16_93:
	s_or_b64 exec, exec, s[4:5]
	s_waitcnt lgkmcnt(0)
	; wave barrier
	s_waitcnt lgkmcnt(0)
	buffer_load_dword v47, off, s[0:3], 0 offset:100
	buffer_load_dword v49, off, s[0:3], 0 offset:108
	;; [unrolled: 1-line block ×12, first 2 shown]
	v_mov_b32_e32 v36, 0
	ds_read_b128 v[38:41], v36 offset:240
	ds_read_b128 v[42:45], v36 offset:256
	ds_read_b64 v[58:59], v36 offset:272
	v_cmp_lt_u32_e32 vcc, 10, v0
	s_waitcnt vmcnt(11)
	v_mov_b32_e32 v60, v47
	s_waitcnt vmcnt(10)
	v_mov_b32_e32 v62, v49
	s_waitcnt lgkmcnt(2)
	v_pk_mul_f32 v[60:61], v[38:39], v[60:61] op_sel_hi:[1,0]
	s_waitcnt vmcnt(9)
	v_mov_b32_e32 v64, v51
	v_pk_mul_f32 v[62:63], v[40:41], v[62:63] op_sel_hi:[1,0]
	s_waitcnt vmcnt(6)
	v_pk_fma_f32 v[70:71], v[38:39], v[46:47], v[60:61] op_sel:[0,0,1] op_sel_hi:[1,1,0] neg_lo:[0,0,1] neg_hi:[0,0,1]
	v_pk_fma_f32 v[38:39], v[38:39], v[46:47], v[60:61] op_sel:[0,0,1] op_sel_hi:[1,0,0]
	v_mov_b32_e32 v66, v53
	s_waitcnt lgkmcnt(1)
	v_pk_mul_f32 v[64:65], v[42:43], v[64:65] op_sel_hi:[1,0]
	s_waitcnt vmcnt(5)
	v_pk_fma_f32 v[46:47], v[40:41], v[48:49], v[62:63] op_sel:[0,0,1] op_sel_hi:[1,1,0] neg_lo:[0,0,1] neg_hi:[0,0,1]
	v_pk_fma_f32 v[40:41], v[40:41], v[48:49], v[62:63] op_sel:[0,0,1] op_sel_hi:[1,0,0]
	v_mov_b32_e32 v71, v39
	v_mov_b32_e32 v68, v55
	v_pk_mul_f32 v[66:67], v[44:45], v[66:67] op_sel_hi:[1,0]
	s_waitcnt vmcnt(4)
	v_pk_fma_f32 v[48:49], v[42:43], v[50:51], v[64:65] op_sel:[0,0,1] op_sel_hi:[1,1,0] neg_lo:[0,0,1] neg_hi:[0,0,1]
	v_pk_fma_f32 v[42:43], v[42:43], v[50:51], v[64:65] op_sel:[0,0,1] op_sel_hi:[1,0,0]
	v_mov_b32_e32 v47, v41
	v_pk_add_f32 v[38:39], v[70:71], 0 op_sel_hi:[1,0]
	s_waitcnt lgkmcnt(0)
	v_pk_mul_f32 v[68:69], v[58:59], v[68:69] op_sel_hi:[1,0]
	s_waitcnt vmcnt(3)
	v_pk_fma_f32 v[50:51], v[44:45], v[52:53], v[66:67] op_sel:[0,0,1] op_sel_hi:[1,1,0] neg_lo:[0,0,1] neg_hi:[0,0,1]
	v_pk_fma_f32 v[44:45], v[44:45], v[52:53], v[66:67] op_sel:[0,0,1] op_sel_hi:[1,0,0]
	v_mov_b32_e32 v49, v43
	v_pk_add_f32 v[38:39], v[38:39], v[46:47]
	s_waitcnt vmcnt(2)
	v_pk_fma_f32 v[52:53], v[58:59], v[54:55], v[68:69] op_sel:[0,0,1] op_sel_hi:[1,1,0] neg_lo:[0,0,1] neg_hi:[0,0,1]
	v_pk_fma_f32 v[54:55], v[58:59], v[54:55], v[68:69] op_sel:[0,0,1] op_sel_hi:[1,0,0]
	v_mov_b32_e32 v51, v45
	v_pk_add_f32 v[38:39], v[38:39], v[48:49]
	v_mov_b32_e32 v53, v55
	v_pk_add_f32 v[38:39], v[38:39], v[50:51]
	v_pk_add_f32 v[38:39], v[38:39], v[52:53]
	s_waitcnt vmcnt(0)
	v_pk_add_f32 v[38:39], v[56:57], v[38:39] neg_lo:[0,1] neg_hi:[0,1]
	buffer_store_dword v38, off, s[0:3], 0 offset:88
	buffer_store_dword v39, off, s[0:3], 0 offset:92
	s_and_saveexec_b64 s[4:5], vcc
	s_cbranch_execz .LBB16_95
; %bb.94:
	buffer_load_dword v38, off, s[0:3], 0 offset:80
	buffer_load_dword v39, off, s[0:3], 0 offset:84
	s_waitcnt vmcnt(0)
	ds_write_b64 v1, v[38:39]
	buffer_store_dword v36, off, s[0:3], 0 offset:80
	buffer_store_dword v36, off, s[0:3], 0 offset:84
.LBB16_95:
	s_or_b64 exec, exec, s[4:5]
	s_waitcnt lgkmcnt(0)
	; wave barrier
	s_waitcnt lgkmcnt(0)
	buffer_load_dword v51, off, s[0:3], 0 offset:92
	buffer_load_dword v53, off, s[0:3], 0 offset:100
	;; [unrolled: 1-line block ×14, first 2 shown]
	ds_read2_b64 v[38:41], v36 offset0:29 offset1:30
	ds_read2_b64 v[42:45], v36 offset0:31 offset1:32
	;; [unrolled: 1-line block ×3, first 2 shown]
	v_cmp_lt_u32_e32 vcc, 9, v0
	s_waitcnt vmcnt(13)
	v_mov_b32_e32 v36, v51
	s_waitcnt vmcnt(12)
	v_mov_b32_e32 v64, v53
	s_waitcnt lgkmcnt(2)
	v_pk_mul_f32 v[36:37], v[38:39], v[36:37] op_sel_hi:[1,0]
	s_waitcnt vmcnt(11)
	v_mov_b32_e32 v66, v55
	v_pk_mul_f32 v[64:65], v[40:41], v[64:65] op_sel_hi:[1,0]
	s_waitcnt vmcnt(10)
	v_mov_b32_e32 v68, v57
	s_waitcnt vmcnt(7)
	v_pk_fma_f32 v[74:75], v[38:39], v[50:51], v[36:37] op_sel:[0,0,1] op_sel_hi:[1,1,0] neg_lo:[0,0,1] neg_hi:[0,0,1]
	v_pk_fma_f32 v[36:37], v[38:39], v[50:51], v[36:37] op_sel:[0,0,1] op_sel_hi:[1,0,0]
	s_waitcnt lgkmcnt(1)
	v_pk_mul_f32 v[66:67], v[42:43], v[66:67] op_sel_hi:[1,0]
	s_waitcnt vmcnt(6)
	v_pk_fma_f32 v[38:39], v[40:41], v[52:53], v[64:65] op_sel:[0,0,1] op_sel_hi:[1,1,0] neg_lo:[0,0,1] neg_hi:[0,0,1]
	v_pk_fma_f32 v[40:41], v[40:41], v[52:53], v[64:65] op_sel:[0,0,1] op_sel_hi:[1,0,0]
	v_mov_b32_e32 v75, v37
	v_mov_b32_e32 v70, v59
	v_pk_mul_f32 v[68:69], v[44:45], v[68:69] op_sel_hi:[1,0]
	s_waitcnt vmcnt(5)
	v_pk_fma_f32 v[50:51], v[42:43], v[54:55], v[66:67] op_sel:[0,0,1] op_sel_hi:[1,1,0] neg_lo:[0,0,1] neg_hi:[0,0,1]
	v_pk_fma_f32 v[42:43], v[42:43], v[54:55], v[66:67] op_sel:[0,0,1] op_sel_hi:[1,0,0]
	v_mov_b32_e32 v39, v41
	v_pk_add_f32 v[36:37], v[74:75], 0 op_sel_hi:[1,0]
	v_mov_b32_e32 v72, v61
	s_waitcnt lgkmcnt(0)
	v_pk_mul_f32 v[70:71], v[46:47], v[70:71] op_sel_hi:[1,0]
	s_waitcnt vmcnt(4)
	v_pk_fma_f32 v[52:53], v[44:45], v[56:57], v[68:69] op_sel:[0,0,1] op_sel_hi:[1,1,0] neg_lo:[0,0,1] neg_hi:[0,0,1]
	v_pk_fma_f32 v[44:45], v[44:45], v[56:57], v[68:69] op_sel:[0,0,1] op_sel_hi:[1,0,0]
	v_mov_b32_e32 v51, v43
	v_pk_add_f32 v[36:37], v[36:37], v[38:39]
	v_pk_mul_f32 v[72:73], v[48:49], v[72:73] op_sel_hi:[1,0]
	s_waitcnt vmcnt(3)
	v_pk_fma_f32 v[54:55], v[46:47], v[58:59], v[70:71] op_sel:[0,0,1] op_sel_hi:[1,1,0] neg_lo:[0,0,1] neg_hi:[0,0,1]
	v_pk_fma_f32 v[46:47], v[46:47], v[58:59], v[70:71] op_sel:[0,0,1] op_sel_hi:[1,0,0]
	v_mov_b32_e32 v53, v45
	v_pk_add_f32 v[36:37], v[36:37], v[50:51]
	s_waitcnt vmcnt(2)
	v_pk_fma_f32 v[56:57], v[48:49], v[60:61], v[72:73] op_sel:[0,0,1] op_sel_hi:[1,1,0] neg_lo:[0,0,1] neg_hi:[0,0,1]
	v_pk_fma_f32 v[48:49], v[48:49], v[60:61], v[72:73] op_sel:[0,0,1] op_sel_hi:[1,0,0]
	v_mov_b32_e32 v55, v47
	v_pk_add_f32 v[36:37], v[36:37], v[52:53]
	v_mov_b32_e32 v57, v49
	v_pk_add_f32 v[36:37], v[36:37], v[54:55]
	v_pk_add_f32 v[36:37], v[36:37], v[56:57]
	s_waitcnt vmcnt(0)
	v_pk_add_f32 v[36:37], v[62:63], v[36:37] neg_lo:[0,1] neg_hi:[0,1]
	buffer_store_dword v36, off, s[0:3], 0 offset:80
	buffer_store_dword v37, off, s[0:3], 0 offset:84
	s_and_saveexec_b64 s[4:5], vcc
	s_cbranch_execz .LBB16_97
; %bb.96:
	buffer_load_dword v36, off, s[0:3], 0 offset:72
	buffer_load_dword v37, off, s[0:3], 0 offset:76
	v_mov_b32_e32 v38, 0
	buffer_store_dword v38, off, s[0:3], 0 offset:72
	buffer_store_dword v38, off, s[0:3], 0 offset:76
	s_waitcnt vmcnt(2)
	ds_write_b64 v1, v[36:37]
.LBB16_97:
	s_or_b64 exec, exec, s[4:5]
	s_waitcnt lgkmcnt(0)
	; wave barrier
	s_waitcnt lgkmcnt(0)
	buffer_load_dword v51, off, s[0:3], 0 offset:84
	buffer_load_dword v53, off, s[0:3], 0 offset:92
	;; [unrolled: 1-line block ×16, first 2 shown]
	v_mov_b32_e32 v36, 0
	ds_read_b128 v[38:41], v36 offset:224
	ds_read_b128 v[42:45], v36 offset:240
	;; [unrolled: 1-line block ×3, first 2 shown]
	ds_read_b64 v[66:67], v36 offset:272
	v_cmp_lt_u32_e32 vcc, 8, v0
	s_waitcnt vmcnt(15)
	v_mov_b32_e32 v68, v51
	s_waitcnt vmcnt(14)
	v_mov_b32_e32 v70, v53
	s_waitcnt lgkmcnt(3)
	v_pk_mul_f32 v[68:69], v[38:39], v[68:69] op_sel_hi:[1,0]
	s_waitcnt vmcnt(13)
	v_mov_b32_e32 v72, v55
	v_pk_mul_f32 v[70:71], v[40:41], v[70:71] op_sel_hi:[1,0]
	s_waitcnt vmcnt(12)
	v_mov_b32_e32 v74, v57
	s_waitcnt lgkmcnt(2)
	v_pk_mul_f32 v[72:73], v[42:43], v[72:73] op_sel_hi:[1,0]
	s_waitcnt vmcnt(8)
	v_pk_fma_f32 v[82:83], v[38:39], v[50:51], v[68:69] op_sel:[0,0,1] op_sel_hi:[1,1,0] neg_lo:[0,0,1] neg_hi:[0,0,1]
	v_pk_fma_f32 v[38:39], v[38:39], v[50:51], v[68:69] op_sel:[0,0,1] op_sel_hi:[1,0,0]
	s_waitcnt vmcnt(7)
	v_pk_fma_f32 v[50:51], v[40:41], v[52:53], v[70:71] op_sel:[0,0,1] op_sel_hi:[1,1,0] neg_lo:[0,0,1] neg_hi:[0,0,1]
	v_pk_fma_f32 v[40:41], v[40:41], v[52:53], v[70:71] op_sel:[0,0,1] op_sel_hi:[1,0,0]
	v_mov_b32_e32 v83, v39
	v_mov_b32_e32 v76, v59
	v_pk_mul_f32 v[74:75], v[44:45], v[74:75] op_sel_hi:[1,0]
	s_waitcnt vmcnt(6)
	v_pk_fma_f32 v[52:53], v[42:43], v[54:55], v[72:73] op_sel:[0,0,1] op_sel_hi:[1,1,0] neg_lo:[0,0,1] neg_hi:[0,0,1]
	v_pk_fma_f32 v[42:43], v[42:43], v[54:55], v[72:73] op_sel:[0,0,1] op_sel_hi:[1,0,0]
	v_mov_b32_e32 v51, v41
	v_pk_add_f32 v[38:39], v[82:83], 0 op_sel_hi:[1,0]
	v_mov_b32_e32 v78, v61
	s_waitcnt lgkmcnt(1)
	v_pk_mul_f32 v[76:77], v[46:47], v[76:77] op_sel_hi:[1,0]
	s_waitcnt vmcnt(5)
	v_pk_fma_f32 v[54:55], v[44:45], v[56:57], v[74:75] op_sel:[0,0,1] op_sel_hi:[1,1,0] neg_lo:[0,0,1] neg_hi:[0,0,1]
	v_pk_fma_f32 v[44:45], v[44:45], v[56:57], v[74:75] op_sel:[0,0,1] op_sel_hi:[1,0,0]
	v_mov_b32_e32 v53, v43
	v_pk_add_f32 v[38:39], v[38:39], v[50:51]
	v_mov_b32_e32 v80, v63
	v_pk_mul_f32 v[78:79], v[48:49], v[78:79] op_sel_hi:[1,0]
	s_waitcnt vmcnt(4)
	v_pk_fma_f32 v[56:57], v[46:47], v[58:59], v[76:77] op_sel:[0,0,1] op_sel_hi:[1,1,0] neg_lo:[0,0,1] neg_hi:[0,0,1]
	v_pk_fma_f32 v[46:47], v[46:47], v[58:59], v[76:77] op_sel:[0,0,1] op_sel_hi:[1,0,0]
	v_mov_b32_e32 v55, v45
	v_pk_add_f32 v[38:39], v[38:39], v[52:53]
	s_waitcnt lgkmcnt(0)
	v_pk_mul_f32 v[80:81], v[66:67], v[80:81] op_sel_hi:[1,0]
	s_waitcnt vmcnt(3)
	v_pk_fma_f32 v[58:59], v[48:49], v[60:61], v[78:79] op_sel:[0,0,1] op_sel_hi:[1,1,0] neg_lo:[0,0,1] neg_hi:[0,0,1]
	v_pk_fma_f32 v[48:49], v[48:49], v[60:61], v[78:79] op_sel:[0,0,1] op_sel_hi:[1,0,0]
	v_mov_b32_e32 v57, v47
	v_pk_add_f32 v[38:39], v[38:39], v[54:55]
	s_waitcnt vmcnt(2)
	v_pk_fma_f32 v[60:61], v[66:67], v[62:63], v[80:81] op_sel:[0,0,1] op_sel_hi:[1,1,0] neg_lo:[0,0,1] neg_hi:[0,0,1]
	v_pk_fma_f32 v[62:63], v[66:67], v[62:63], v[80:81] op_sel:[0,0,1] op_sel_hi:[1,0,0]
	v_mov_b32_e32 v59, v49
	v_pk_add_f32 v[38:39], v[38:39], v[56:57]
	v_mov_b32_e32 v61, v63
	v_pk_add_f32 v[38:39], v[38:39], v[58:59]
	v_pk_add_f32 v[38:39], v[38:39], v[60:61]
	s_waitcnt vmcnt(0)
	v_pk_add_f32 v[38:39], v[64:65], v[38:39] neg_lo:[0,1] neg_hi:[0,1]
	buffer_store_dword v38, off, s[0:3], 0 offset:72
	buffer_store_dword v39, off, s[0:3], 0 offset:76
	s_and_saveexec_b64 s[4:5], vcc
	s_cbranch_execz .LBB16_99
; %bb.98:
	buffer_load_dword v38, off, s[0:3], 0 offset:64
	buffer_load_dword v39, off, s[0:3], 0 offset:68
	s_waitcnt vmcnt(0)
	ds_write_b64 v1, v[38:39]
	buffer_store_dword v36, off, s[0:3], 0 offset:64
	buffer_store_dword v36, off, s[0:3], 0 offset:68
.LBB16_99:
	s_or_b64 exec, exec, s[4:5]
	s_waitcnt lgkmcnt(0)
	; wave barrier
	s_waitcnt lgkmcnt(0)
	buffer_load_dword v55, off, s[0:3], 0 offset:76
	buffer_load_dword v57, off, s[0:3], 0 offset:84
	;; [unrolled: 1-line block ×18, first 2 shown]
	ds_read2_b64 v[38:41], v36 offset0:27 offset1:28
	ds_read2_b64 v[42:45], v36 offset0:29 offset1:30
	;; [unrolled: 1-line block ×4, first 2 shown]
	v_cmp_lt_u32_e32 vcc, 7, v0
	s_waitcnt vmcnt(17)
	v_mov_b32_e32 v36, v55
	s_waitcnt vmcnt(16)
	v_mov_b32_e32 v72, v57
	s_waitcnt lgkmcnt(3)
	v_pk_mul_f32 v[36:37], v[38:39], v[36:37] op_sel_hi:[1,0]
	s_waitcnt vmcnt(15)
	v_mov_b32_e32 v74, v59
	v_pk_mul_f32 v[72:73], v[40:41], v[72:73] op_sel_hi:[1,0]
	s_waitcnt vmcnt(14)
	v_mov_b32_e32 v76, v61
	s_waitcnt lgkmcnt(2)
	v_pk_mul_f32 v[74:75], v[42:43], v[74:75] op_sel_hi:[1,0]
	s_waitcnt vmcnt(13)
	v_mov_b32_e32 v78, v63
	s_waitcnt vmcnt(9)
	v_pk_fma_f32 v[86:87], v[38:39], v[54:55], v[36:37] op_sel:[0,0,1] op_sel_hi:[1,1,0] neg_lo:[0,0,1] neg_hi:[0,0,1]
	v_pk_fma_f32 v[36:37], v[38:39], v[54:55], v[36:37] op_sel:[0,0,1] op_sel_hi:[1,0,0]
	s_waitcnt vmcnt(8)
	v_pk_fma_f32 v[38:39], v[40:41], v[56:57], v[72:73] op_sel:[0,0,1] op_sel_hi:[1,1,0] neg_lo:[0,0,1] neg_hi:[0,0,1]
	v_pk_fma_f32 v[40:41], v[40:41], v[56:57], v[72:73] op_sel:[0,0,1] op_sel_hi:[1,0,0]
	v_mov_b32_e32 v87, v37
	v_pk_mul_f32 v[76:77], v[44:45], v[76:77] op_sel_hi:[1,0]
	s_waitcnt vmcnt(7)
	v_pk_fma_f32 v[54:55], v[42:43], v[58:59], v[74:75] op_sel:[0,0,1] op_sel_hi:[1,1,0] neg_lo:[0,0,1] neg_hi:[0,0,1]
	v_pk_fma_f32 v[42:43], v[42:43], v[58:59], v[74:75] op_sel:[0,0,1] op_sel_hi:[1,0,0]
	v_mov_b32_e32 v39, v41
	v_pk_add_f32 v[36:37], v[86:87], 0 op_sel_hi:[1,0]
	v_mov_b32_e32 v80, v65
	s_waitcnt lgkmcnt(1)
	v_pk_mul_f32 v[78:79], v[46:47], v[78:79] op_sel_hi:[1,0]
	s_waitcnt vmcnt(6)
	v_pk_fma_f32 v[56:57], v[44:45], v[60:61], v[76:77] op_sel:[0,0,1] op_sel_hi:[1,1,0] neg_lo:[0,0,1] neg_hi:[0,0,1]
	v_pk_fma_f32 v[44:45], v[44:45], v[60:61], v[76:77] op_sel:[0,0,1] op_sel_hi:[1,0,0]
	v_mov_b32_e32 v55, v43
	v_pk_add_f32 v[36:37], v[36:37], v[38:39]
	v_mov_b32_e32 v82, v67
	v_pk_mul_f32 v[80:81], v[48:49], v[80:81] op_sel_hi:[1,0]
	s_waitcnt vmcnt(5)
	v_pk_fma_f32 v[58:59], v[46:47], v[62:63], v[78:79] op_sel:[0,0,1] op_sel_hi:[1,1,0] neg_lo:[0,0,1] neg_hi:[0,0,1]
	v_pk_fma_f32 v[46:47], v[46:47], v[62:63], v[78:79] op_sel:[0,0,1] op_sel_hi:[1,0,0]
	v_mov_b32_e32 v57, v45
	v_pk_add_f32 v[36:37], v[36:37], v[54:55]
	v_mov_b32_e32 v84, v69
	s_waitcnt lgkmcnt(0)
	v_pk_mul_f32 v[82:83], v[50:51], v[82:83] op_sel_hi:[1,0]
	s_waitcnt vmcnt(4)
	v_pk_fma_f32 v[60:61], v[48:49], v[64:65], v[80:81] op_sel:[0,0,1] op_sel_hi:[1,1,0] neg_lo:[0,0,1] neg_hi:[0,0,1]
	v_pk_fma_f32 v[48:49], v[48:49], v[64:65], v[80:81] op_sel:[0,0,1] op_sel_hi:[1,0,0]
	v_mov_b32_e32 v59, v47
	v_pk_add_f32 v[36:37], v[36:37], v[56:57]
	v_pk_mul_f32 v[84:85], v[52:53], v[84:85] op_sel_hi:[1,0]
	s_waitcnt vmcnt(3)
	v_pk_fma_f32 v[62:63], v[50:51], v[66:67], v[82:83] op_sel:[0,0,1] op_sel_hi:[1,1,0] neg_lo:[0,0,1] neg_hi:[0,0,1]
	v_pk_fma_f32 v[50:51], v[50:51], v[66:67], v[82:83] op_sel:[0,0,1] op_sel_hi:[1,0,0]
	v_mov_b32_e32 v61, v49
	v_pk_add_f32 v[36:37], v[36:37], v[58:59]
	s_waitcnt vmcnt(2)
	v_pk_fma_f32 v[64:65], v[52:53], v[68:69], v[84:85] op_sel:[0,0,1] op_sel_hi:[1,1,0] neg_lo:[0,0,1] neg_hi:[0,0,1]
	v_pk_fma_f32 v[52:53], v[52:53], v[68:69], v[84:85] op_sel:[0,0,1] op_sel_hi:[1,0,0]
	v_mov_b32_e32 v63, v51
	v_pk_add_f32 v[36:37], v[36:37], v[60:61]
	v_mov_b32_e32 v65, v53
	v_pk_add_f32 v[36:37], v[36:37], v[62:63]
	v_pk_add_f32 v[36:37], v[36:37], v[64:65]
	s_waitcnt vmcnt(0)
	v_pk_add_f32 v[36:37], v[70:71], v[36:37] neg_lo:[0,1] neg_hi:[0,1]
	buffer_store_dword v36, off, s[0:3], 0 offset:64
	buffer_store_dword v37, off, s[0:3], 0 offset:68
	s_and_saveexec_b64 s[4:5], vcc
	s_cbranch_execz .LBB16_101
; %bb.100:
	buffer_load_dword v36, off, s[0:3], 0 offset:56
	buffer_load_dword v37, off, s[0:3], 0 offset:60
	v_mov_b32_e32 v38, 0
	buffer_store_dword v38, off, s[0:3], 0 offset:56
	buffer_store_dword v38, off, s[0:3], 0 offset:60
	s_waitcnt vmcnt(2)
	ds_write_b64 v1, v[36:37]
.LBB16_101:
	s_or_b64 exec, exec, s[4:5]
	s_waitcnt lgkmcnt(0)
	; wave barrier
	s_waitcnt lgkmcnt(0)
	buffer_load_dword v37, off, s[0:3], 0 offset:68
	buffer_load_dword v55, off, s[0:3], 0 offset:76
	;; [unrolled: 1-line block ×20, first 2 shown]
	v_mov_b32_e32 v36, 0
	ds_read_b128 v[38:41], v36 offset:208
	ds_read_b128 v[42:45], v36 offset:224
	ds_read_b128 v[46:49], v36 offset:240
	ds_read_b128 v[50:53], v36 offset:256
	ds_read_b64 v[72:73], v36 offset:272
	v_cmp_lt_u32_e32 vcc, 6, v0
	s_waitcnt vmcnt(19) lgkmcnt(4)
	v_mul_f32_e32 v75, v38, v37
	v_mul_f32_e32 v37, v39, v37
	s_waitcnt vmcnt(18)
	v_mov_b32_e32 v76, v55
	s_waitcnt vmcnt(17)
	v_mov_b32_e32 v78, v57
	;; [unrolled: 2-line block ×8, first 2 shown]
	s_waitcnt vmcnt(10)
	v_fmac_f32_e32 v75, v39, v74
	v_fma_f32 v74, v38, v74, -v37
	v_pk_mul_f32 v[38:39], v[40:41], v[76:77] op_sel_hi:[1,0]
	s_waitcnt lgkmcnt(3)
	v_pk_mul_f32 v[76:77], v[42:43], v[78:79] op_sel_hi:[1,0]
	v_pk_mul_f32 v[78:79], v[44:45], v[80:81] op_sel_hi:[1,0]
	s_waitcnt lgkmcnt(2)
	v_pk_mul_f32 v[80:81], v[46:47], v[82:83] op_sel_hi:[1,0]
	v_pk_mul_f32 v[82:83], v[48:49], v[84:85] op_sel_hi:[1,0]
	s_waitcnt lgkmcnt(1)
	v_pk_mul_f32 v[84:85], v[50:51], v[86:87] op_sel_hi:[1,0]
	v_pk_mul_f32 v[86:87], v[52:53], v[88:89] op_sel_hi:[1,0]
	s_waitcnt lgkmcnt(0)
	v_pk_mul_f32 v[88:89], v[72:73], v[90:91] op_sel_hi:[1,0]
	s_waitcnt vmcnt(9)
	v_pk_fma_f32 v[90:91], v[40:41], v[54:55], v[38:39] op_sel:[0,0,1] op_sel_hi:[1,1,0] neg_lo:[0,0,1] neg_hi:[0,0,1]
	v_pk_fma_f32 v[38:39], v[40:41], v[54:55], v[38:39] op_sel:[0,0,1] op_sel_hi:[1,0,0]
	v_pk_add_f32 v[74:75], v[74:75], 0 op_sel_hi:[1,0]
	s_waitcnt vmcnt(8)
	v_pk_fma_f32 v[40:41], v[42:43], v[56:57], v[76:77] op_sel:[0,0,1] op_sel_hi:[1,1,0] neg_lo:[0,0,1] neg_hi:[0,0,1]
	v_pk_fma_f32 v[42:43], v[42:43], v[56:57], v[76:77] op_sel:[0,0,1] op_sel_hi:[1,0,0]
	v_mov_b32_e32 v91, v39
	s_waitcnt vmcnt(7)
	v_pk_fma_f32 v[54:55], v[44:45], v[58:59], v[78:79] op_sel:[0,0,1] op_sel_hi:[1,1,0] neg_lo:[0,0,1] neg_hi:[0,0,1]
	v_pk_fma_f32 v[44:45], v[44:45], v[58:59], v[78:79] op_sel:[0,0,1] op_sel_hi:[1,0,0]
	v_mov_b32_e32 v41, v43
	v_pk_add_f32 v[38:39], v[74:75], v[90:91]
	s_waitcnt vmcnt(6)
	v_pk_fma_f32 v[56:57], v[46:47], v[60:61], v[80:81] op_sel:[0,0,1] op_sel_hi:[1,1,0] neg_lo:[0,0,1] neg_hi:[0,0,1]
	v_pk_fma_f32 v[46:47], v[46:47], v[60:61], v[80:81] op_sel:[0,0,1] op_sel_hi:[1,0,0]
	v_mov_b32_e32 v55, v45
	v_pk_add_f32 v[38:39], v[38:39], v[40:41]
	;; [unrolled: 5-line block ×5, first 2 shown]
	v_pk_fma_f32 v[64:65], v[72:73], v[68:69], v[88:89] op_sel:[0,0,1] op_sel_hi:[1,1,0] neg_lo:[0,0,1] neg_hi:[0,0,1]
	v_pk_fma_f32 v[66:67], v[72:73], v[68:69], v[88:89] op_sel:[0,0,1] op_sel_hi:[1,0,0]
	v_mov_b32_e32 v63, v53
	v_pk_add_f32 v[38:39], v[38:39], v[60:61]
	v_mov_b32_e32 v65, v67
	v_pk_add_f32 v[38:39], v[38:39], v[62:63]
	v_pk_add_f32 v[38:39], v[38:39], v[64:65]
	s_waitcnt vmcnt(0)
	v_pk_add_f32 v[38:39], v[70:71], v[38:39] neg_lo:[0,1] neg_hi:[0,1]
	buffer_store_dword v38, off, s[0:3], 0 offset:56
	buffer_store_dword v39, off, s[0:3], 0 offset:60
	s_and_saveexec_b64 s[4:5], vcc
	s_cbranch_execz .LBB16_103
; %bb.102:
	buffer_load_dword v38, off, s[0:3], 0 offset:48
	buffer_load_dword v39, off, s[0:3], 0 offset:52
	s_waitcnt vmcnt(0)
	ds_write_b64 v1, v[38:39]
	buffer_store_dword v36, off, s[0:3], 0 offset:48
	buffer_store_dword v36, off, s[0:3], 0 offset:52
.LBB16_103:
	s_or_b64 exec, exec, s[4:5]
	s_waitcnt lgkmcnt(0)
	; wave barrier
	s_waitcnt lgkmcnt(0)
	buffer_load_dword v76, off, s[0:3], 0 offset:60
	buffer_load_dword v78, off, s[0:3], 0 offset:68
	buffer_load_dword v59, off, s[0:3], 0 offset:76
	buffer_load_dword v61, off, s[0:3], 0 offset:84
	buffer_load_dword v63, off, s[0:3], 0 offset:92
	buffer_load_dword v65, off, s[0:3], 0 offset:100
	buffer_load_dword v67, off, s[0:3], 0 offset:108
	buffer_load_dword v69, off, s[0:3], 0 offset:116
	buffer_load_dword v71, off, s[0:3], 0 offset:124
	buffer_load_dword v73, off, s[0:3], 0 offset:132
	buffer_load_dword v79, off, s[0:3], 0 offset:56
	buffer_load_dword v81, off, s[0:3], 0 offset:64
	buffer_load_dword v58, off, s[0:3], 0 offset:72
	buffer_load_dword v60, off, s[0:3], 0 offset:80
	buffer_load_dword v62, off, s[0:3], 0 offset:88
	buffer_load_dword v64, off, s[0:3], 0 offset:96
	buffer_load_dword v66, off, s[0:3], 0 offset:104
	buffer_load_dword v72, off, s[0:3], 0 offset:128
	buffer_load_dword v70, off, s[0:3], 0 offset:120
	buffer_load_dword v68, off, s[0:3], 0 offset:112
	buffer_load_dword v74, off, s[0:3], 0 offset:48
	buffer_load_dword v75, off, s[0:3], 0 offset:52
	ds_read2_b64 v[38:41], v36 offset0:25 offset1:26
	ds_read2_b64 v[42:45], v36 offset0:27 offset1:28
	;; [unrolled: 1-line block ×5, first 2 shown]
	v_cmp_lt_u32_e32 vcc, 5, v0
	s_waitcnt vmcnt(21) lgkmcnt(4)
	v_mul_f32_e32 v37, v38, v76
	s_waitcnt vmcnt(20)
	v_mul_f32_e32 v77, v40, v78
	v_mul_f32_e32 v36, v39, v76
	;; [unrolled: 1-line block ×3, first 2 shown]
	s_waitcnt vmcnt(19)
	v_mov_b32_e32 v78, v59
	s_waitcnt vmcnt(18)
	v_mov_b32_e32 v80, v61
	;; [unrolled: 2-line block ×5, first 2 shown]
	v_mov_b32_e32 v84, v65
	s_waitcnt vmcnt(11)
	v_fmac_f32_e32 v37, v39, v79
	v_fma_f32 v36, v38, v79, -v36
	s_waitcnt lgkmcnt(3)
	v_pk_mul_f32 v[38:39], v[42:43], v[78:79] op_sel_hi:[1,0]
	s_waitcnt vmcnt(10)
	v_fmac_f32_e32 v77, v41, v81
	v_fma_f32 v76, v40, v81, -v76
	v_pk_mul_f32 v[40:41], v[44:45], v[80:81] op_sel_hi:[1,0]
	s_waitcnt lgkmcnt(2)
	v_pk_mul_f32 v[78:79], v[46:47], v[82:83] op_sel_hi:[1,0]
	s_waitcnt lgkmcnt(1)
	;; [unrolled: 2-line block ×3, first 2 shown]
	v_pk_mul_f32 v[86:87], v[54:55], v[90:91] op_sel_hi:[1,0]
	v_pk_add_f32 v[36:37], v[36:37], 0 op_sel_hi:[1,0]
	s_waitcnt vmcnt(9)
	v_pk_fma_f32 v[90:91], v[42:43], v[58:59], v[38:39] op_sel:[0,0,1] op_sel_hi:[1,1,0] neg_lo:[0,0,1] neg_hi:[0,0,1]
	v_pk_fma_f32 v[38:39], v[42:43], v[58:59], v[38:39] op_sel:[0,0,1] op_sel_hi:[1,0,0]
	s_waitcnt vmcnt(8)
	v_pk_fma_f32 v[42:43], v[44:45], v[60:61], v[40:41] op_sel:[0,0,1] op_sel_hi:[1,1,0] neg_lo:[0,0,1] neg_hi:[0,0,1]
	v_pk_fma_f32 v[40:41], v[44:45], v[60:61], v[40:41] op_sel:[0,0,1] op_sel_hi:[1,0,0]
	v_pk_add_f32 v[36:37], v[36:37], v[76:77]
	v_mov_b32_e32 v91, v39
	v_pk_mul_f32 v[80:81], v[48:49], v[84:85] op_sel_hi:[1,0]
	s_waitcnt vmcnt(7)
	v_pk_fma_f32 v[44:45], v[46:47], v[62:63], v[78:79] op_sel:[0,0,1] op_sel_hi:[1,1,0] neg_lo:[0,0,1] neg_hi:[0,0,1]
	v_pk_fma_f32 v[46:47], v[46:47], v[62:63], v[78:79] op_sel:[0,0,1] op_sel_hi:[1,0,0]
	v_mov_b32_e32 v43, v41
	v_pk_add_f32 v[36:37], v[36:37], v[90:91]
	v_mov_b32_e32 v88, v69
	s_waitcnt vmcnt(6)
	v_pk_fma_f32 v[58:59], v[48:49], v[64:65], v[80:81] op_sel:[0,0,1] op_sel_hi:[1,1,0] neg_lo:[0,0,1] neg_hi:[0,0,1]
	v_pk_fma_f32 v[48:49], v[48:49], v[64:65], v[80:81] op_sel:[0,0,1] op_sel_hi:[1,0,0]
	v_mov_b32_e32 v45, v47
	v_pk_add_f32 v[36:37], v[36:37], v[42:43]
	v_pk_mul_f32 v[84:85], v[52:53], v[88:89] op_sel_hi:[1,0]
	s_waitcnt vmcnt(5)
	v_pk_fma_f32 v[60:61], v[50:51], v[66:67], v[82:83] op_sel:[0,0,1] op_sel_hi:[1,1,0] neg_lo:[0,0,1] neg_hi:[0,0,1]
	v_pk_fma_f32 v[50:51], v[50:51], v[66:67], v[82:83] op_sel:[0,0,1] op_sel_hi:[1,0,0]
	v_mov_b32_e32 v59, v49
	v_pk_add_f32 v[36:37], v[36:37], v[44:45]
	v_mov_b32_e32 v92, v73
	s_waitcnt vmcnt(2)
	v_pk_fma_f32 v[62:63], v[52:53], v[68:69], v[84:85] op_sel:[0,0,1] op_sel_hi:[1,1,0] neg_lo:[0,0,1] neg_hi:[0,0,1]
	v_pk_fma_f32 v[52:53], v[52:53], v[68:69], v[84:85] op_sel:[0,0,1] op_sel_hi:[1,0,0]
	v_mov_b32_e32 v61, v51
	v_pk_add_f32 v[36:37], v[36:37], v[58:59]
	v_pk_mul_f32 v[88:89], v[56:57], v[92:93] op_sel_hi:[1,0]
	v_pk_fma_f32 v[64:65], v[54:55], v[70:71], v[86:87] op_sel:[0,0,1] op_sel_hi:[1,1,0] neg_lo:[0,0,1] neg_hi:[0,0,1]
	v_pk_fma_f32 v[54:55], v[54:55], v[70:71], v[86:87] op_sel:[0,0,1] op_sel_hi:[1,0,0]
	v_mov_b32_e32 v63, v53
	v_pk_add_f32 v[36:37], v[36:37], v[60:61]
	v_pk_fma_f32 v[66:67], v[56:57], v[72:73], v[88:89] op_sel:[0,0,1] op_sel_hi:[1,1,0] neg_lo:[0,0,1] neg_hi:[0,0,1]
	v_pk_fma_f32 v[56:57], v[56:57], v[72:73], v[88:89] op_sel:[0,0,1] op_sel_hi:[1,0,0]
	v_mov_b32_e32 v65, v55
	v_pk_add_f32 v[36:37], v[36:37], v[62:63]
	v_mov_b32_e32 v67, v57
	v_pk_add_f32 v[36:37], v[36:37], v[64:65]
	v_pk_add_f32 v[36:37], v[36:37], v[66:67]
	s_waitcnt vmcnt(0)
	v_pk_add_f32 v[36:37], v[74:75], v[36:37] neg_lo:[0,1] neg_hi:[0,1]
	buffer_store_dword v36, off, s[0:3], 0 offset:48
	buffer_store_dword v37, off, s[0:3], 0 offset:52
	s_and_saveexec_b64 s[4:5], vcc
	s_cbranch_execz .LBB16_105
; %bb.104:
	buffer_load_dword v36, off, s[0:3], 0 offset:40
	buffer_load_dword v37, off, s[0:3], 0 offset:44
	v_mov_b32_e32 v38, 0
	buffer_store_dword v38, off, s[0:3], 0 offset:40
	buffer_store_dword v38, off, s[0:3], 0 offset:44
	s_waitcnt vmcnt(2)
	ds_write_b64 v1, v[36:37]
.LBB16_105:
	s_or_b64 exec, exec, s[4:5]
	s_waitcnt lgkmcnt(0)
	; wave barrier
	s_waitcnt lgkmcnt(0)
	buffer_load_dword v37, off, s[0:3], 0 offset:52
	buffer_load_dword v78, off, s[0:3], 0 offset:60
	;; [unrolled: 1-line block ×24, first 2 shown]
	v_mov_b32_e32 v36, 0
	ds_read_b128 v[38:41], v36 offset:192
	ds_read_b128 v[42:45], v36 offset:208
	;; [unrolled: 1-line block ×5, first 2 shown]
	ds_read_b64 v[76:77], v36 offset:272
	v_cmp_lt_u32_e32 vcc, 4, v0
	s_waitcnt vmcnt(23) lgkmcnt(5)
	v_mul_f32_e32 v91, v38, v37
	v_mul_f32_e32 v37, v39, v37
	s_waitcnt vmcnt(22)
	v_mul_f32_e32 v79, v40, v78
	s_waitcnt vmcnt(21) lgkmcnt(4)
	v_mul_f32_e32 v81, v42, v80
	v_mul_f32_e32 v78, v41, v78
	;; [unrolled: 1-line block ×3, first 2 shown]
	s_waitcnt vmcnt(20)
	v_mov_b32_e32 v82, v59
	s_waitcnt vmcnt(19)
	v_mov_b32_e32 v84, v61
	;; [unrolled: 2-line block ×5, first 2 shown]
	s_waitcnt vmcnt(12)
	v_fmac_f32_e32 v91, v39, v83
	v_fma_f32 v37, v38, v83, -v37
	v_mov_b32_e32 v92, v69
	s_waitcnt vmcnt(11)
	v_fmac_f32_e32 v79, v41, v85
	s_waitcnt vmcnt(10)
	v_fmac_f32_e32 v81, v43, v87
	v_fma_f32 v78, v40, v85, -v78
	v_fma_f32 v80, v42, v87, -v80
	v_pk_mul_f32 v[38:39], v[44:45], v[82:83] op_sel_hi:[1,0]
	s_waitcnt lgkmcnt(3)
	v_pk_mul_f32 v[40:41], v[46:47], v[84:85] op_sel_hi:[1,0]
	v_pk_mul_f32 v[42:43], v[48:49], v[86:87] op_sel_hi:[1,0]
	s_waitcnt lgkmcnt(2)
	v_pk_mul_f32 v[82:83], v[50:51], v[88:89] op_sel_hi:[1,0]
	v_pk_mul_f32 v[84:85], v[52:53], v[90:91] op_sel_hi:[1,0]
	v_add_f32_e32 v91, 0, v91
	v_add_f32_e32 v90, 0, v37
	s_waitcnt lgkmcnt(1)
	v_pk_mul_f32 v[86:87], v[54:55], v[92:93] op_sel_hi:[1,0]
	s_waitcnt vmcnt(9)
	v_pk_fma_f32 v[92:93], v[44:45], v[58:59], v[38:39] op_sel:[0,0,1] op_sel_hi:[1,1,0] neg_lo:[0,0,1] neg_hi:[0,0,1]
	v_pk_fma_f32 v[38:39], v[44:45], v[58:59], v[38:39] op_sel:[0,0,1] op_sel_hi:[1,0,0]
	s_waitcnt vmcnt(8)
	v_pk_fma_f32 v[44:45], v[46:47], v[60:61], v[40:41] op_sel:[0,0,1] op_sel_hi:[1,1,0] neg_lo:[0,0,1] neg_hi:[0,0,1]
	v_pk_fma_f32 v[40:41], v[46:47], v[60:61], v[40:41] op_sel:[0,0,1] op_sel_hi:[1,0,0]
	;; [unrolled: 3-line block ×4, first 2 shown]
	v_pk_add_f32 v[64:65], v[90:91], v[78:79]
	v_mov_b32_e32 v93, v39
	v_pk_add_f32 v[38:39], v[64:65], v[80:81]
	v_mov_b32_e32 v45, v41
	;; [unrolled: 2-line block ×4, first 2 shown]
	s_waitcnt vmcnt(2)
	v_pk_fma_f32 v[58:59], v[52:53], v[66:67], v[84:85] op_sel:[0,0,1] op_sel_hi:[1,1,0] neg_lo:[0,0,1] neg_hi:[0,0,1]
	v_pk_fma_f32 v[52:53], v[52:53], v[66:67], v[84:85] op_sel:[0,0,1] op_sel_hi:[1,0,0]
	v_mov_b32_e32 v49, v51
	v_pk_add_f32 v[38:39], v[38:39], v[46:47]
	v_mov_b32_e32 v96, v73
	v_pk_mul_f32 v[88:89], v[56:57], v[94:95] op_sel_hi:[1,0]
	v_pk_fma_f32 v[60:61], v[54:55], v[68:69], v[86:87] op_sel:[0,0,1] op_sel_hi:[1,1,0] neg_lo:[0,0,1] neg_hi:[0,0,1]
	v_pk_fma_f32 v[54:55], v[54:55], v[68:69], v[86:87] op_sel:[0,0,1] op_sel_hi:[1,0,0]
	v_mov_b32_e32 v59, v53
	v_pk_add_f32 v[38:39], v[38:39], v[48:49]
	v_pk_fma_f32 v[62:63], v[56:57], v[70:71], v[88:89] op_sel:[0,0,1] op_sel_hi:[1,1,0] neg_lo:[0,0,1] neg_hi:[0,0,1]
	v_pk_fma_f32 v[56:57], v[56:57], v[70:71], v[88:89] op_sel:[0,0,1] op_sel_hi:[1,0,0]
	v_mov_b32_e32 v61, v55
	v_pk_add_f32 v[38:39], v[38:39], v[58:59]
	s_waitcnt lgkmcnt(0)
	v_pk_mul_f32 v[40:41], v[76:77], v[96:97] op_sel_hi:[1,0]
	v_mov_b32_e32 v63, v57
	v_pk_add_f32 v[38:39], v[38:39], v[60:61]
	v_pk_fma_f32 v[42:43], v[76:77], v[72:73], v[40:41] op_sel:[0,0,1] op_sel_hi:[1,1,0] neg_lo:[0,0,1] neg_hi:[0,0,1]
	v_pk_fma_f32 v[40:41], v[76:77], v[72:73], v[40:41] op_sel:[0,0,1] op_sel_hi:[1,0,0]
	v_pk_add_f32 v[38:39], v[38:39], v[62:63]
	v_mov_b32_e32 v43, v41
	v_pk_add_f32 v[38:39], v[38:39], v[42:43]
	s_waitcnt vmcnt(0)
	v_pk_add_f32 v[38:39], v[74:75], v[38:39] neg_lo:[0,1] neg_hi:[0,1]
	buffer_store_dword v39, off, s[0:3], 0 offset:44
	buffer_store_dword v38, off, s[0:3], 0 offset:40
	s_and_saveexec_b64 s[4:5], vcc
	s_cbranch_execz .LBB16_107
; %bb.106:
	buffer_load_dword v38, off, s[0:3], 0 offset:32
	buffer_load_dword v39, off, s[0:3], 0 offset:36
	s_waitcnt vmcnt(0)
	ds_write_b64 v1, v[38:39]
	buffer_store_dword v36, off, s[0:3], 0 offset:32
	buffer_store_dword v36, off, s[0:3], 0 offset:36
.LBB16_107:
	s_or_b64 exec, exec, s[4:5]
	s_waitcnt lgkmcnt(0)
	; wave barrier
	s_waitcnt lgkmcnt(0)
	buffer_load_dword v80, off, s[0:3], 0 offset:44
	buffer_load_dword v82, off, s[0:3], 0 offset:52
	;; [unrolled: 1-line block ×26, first 2 shown]
	ds_read2_b64 v[38:41], v36 offset0:23 offset1:24
	ds_read2_b64 v[42:45], v36 offset0:25 offset1:26
	;; [unrolled: 1-line block ×6, first 2 shown]
	v_cmp_lt_u32_e32 vcc, 3, v0
	s_waitcnt vmcnt(25) lgkmcnt(5)
	v_mul_f32_e32 v93, v38, v80
	v_mul_f32_e32 v36, v39, v80
	s_waitcnt vmcnt(24)
	v_mul_f32_e32 v94, v40, v82
	s_waitcnt vmcnt(23) lgkmcnt(4)
	v_mul_f32_e32 v37, v42, v83
	s_waitcnt vmcnt(22)
	v_mul_f32_e32 v81, v44, v84
	v_mul_f32_e32 v80, v41, v82
	;; [unrolled: 1-line block ×4, first 2 shown]
	s_waitcnt vmcnt(21)
	v_mov_b32_e32 v82, v63
	s_waitcnt vmcnt(20)
	v_mov_b32_e32 v84, v65
	;; [unrolled: 2-line block ×3, first 2 shown]
	s_waitcnt vmcnt(15)
	v_fmac_f32_e32 v93, v39, v85
	v_fma_f32 v96, v38, v85, -v36
	v_mov_b32_e32 v86, v67
	s_waitcnt vmcnt(14)
	v_fmac_f32_e32 v94, v41, v87
	s_waitcnt vmcnt(13)
	v_fmac_f32_e32 v37, v43, v89
	;; [unrolled: 2-line block ×3, first 2 shown]
	v_fma_f32 v97, v40, v87, -v80
	v_fma_f32 v36, v42, v89, -v83
	;; [unrolled: 1-line block ×3, first 2 shown]
	s_waitcnt lgkmcnt(3)
	v_pk_mul_f32 v[38:39], v[46:47], v[82:83] op_sel_hi:[1,0]
	v_pk_mul_f32 v[40:41], v[48:49], v[84:85] op_sel_hi:[1,0]
	s_waitcnt lgkmcnt(2)
	v_pk_mul_f32 v[44:45], v[52:53], v[88:89] op_sel_hi:[1,0]
	v_add_f32_e32 v88, 0, v93
	v_add_f32_e32 v89, 0, v96
	v_pk_mul_f32 v[42:43], v[50:51], v[86:87] op_sel_hi:[1,0]
	s_waitcnt vmcnt(11)
	v_pk_fma_f32 v[86:87], v[46:47], v[62:63], v[38:39] op_sel:[0,0,1] op_sel_hi:[1,1,0] neg_lo:[0,0,1] neg_hi:[0,0,1]
	v_pk_fma_f32 v[38:39], v[46:47], v[62:63], v[38:39] op_sel:[0,0,1] op_sel_hi:[1,0,0]
	s_waitcnt vmcnt(10)
	v_pk_fma_f32 v[46:47], v[48:49], v[64:65], v[40:41] op_sel:[0,0,1] op_sel_hi:[1,1,0] neg_lo:[0,0,1] neg_hi:[0,0,1]
	v_pk_fma_f32 v[40:41], v[48:49], v[64:65], v[40:41] op_sel:[0,0,1] op_sel_hi:[1,0,0]
	v_add_f32_e32 v65, v88, v94
	v_add_f32_e32 v64, v89, v97
	v_pk_add_f32 v[36:37], v[64:65], v[36:37]
	v_mov_b32_e32 v87, v39
	v_pk_add_f32 v[36:37], v[36:37], v[80:81]
	v_mov_b32_e32 v90, v71
	s_waitcnt vmcnt(9)
	v_pk_fma_f32 v[48:49], v[50:51], v[66:67], v[42:43] op_sel:[0,0,1] op_sel_hi:[1,1,0] neg_lo:[0,0,1] neg_hi:[0,0,1]
	v_pk_fma_f32 v[42:43], v[50:51], v[66:67], v[42:43] op_sel:[0,0,1] op_sel_hi:[1,0,0]
	v_mov_b32_e32 v47, v41
	v_pk_add_f32 v[36:37], v[36:37], v[86:87]
	v_mov_b32_e32 v92, v73
	s_waitcnt lgkmcnt(1)
	v_pk_mul_f32 v[82:83], v[54:55], v[90:91] op_sel_hi:[1,0]
	s_waitcnt vmcnt(5)
	v_pk_fma_f32 v[50:51], v[52:53], v[68:69], v[44:45] op_sel:[0,0,1] op_sel_hi:[1,1,0] neg_lo:[0,0,1] neg_hi:[0,0,1]
	v_pk_fma_f32 v[44:45], v[52:53], v[68:69], v[44:45] op_sel:[0,0,1] op_sel_hi:[1,0,0]
	v_mov_b32_e32 v49, v43
	v_pk_add_f32 v[36:37], v[36:37], v[46:47]
	s_waitcnt vmcnt(4)
	v_mov_b32_e32 v38, v75
	v_pk_mul_f32 v[84:85], v[56:57], v[92:93] op_sel_hi:[1,0]
	v_pk_fma_f32 v[52:53], v[54:55], v[70:71], v[82:83] op_sel:[0,0,1] op_sel_hi:[1,1,0] neg_lo:[0,0,1] neg_hi:[0,0,1]
	v_pk_fma_f32 v[54:55], v[54:55], v[70:71], v[82:83] op_sel:[0,0,1] op_sel_hi:[1,0,0]
	v_mov_b32_e32 v51, v45
	v_pk_add_f32 v[36:37], v[36:37], v[48:49]
	s_waitcnt lgkmcnt(0)
	v_pk_mul_f32 v[38:39], v[58:59], v[38:39] op_sel_hi:[1,0]
	v_pk_fma_f32 v[62:63], v[56:57], v[72:73], v[84:85] op_sel:[0,0,1] op_sel_hi:[1,1,0] neg_lo:[0,0,1] neg_hi:[0,0,1]
	v_pk_fma_f32 v[56:57], v[56:57], v[72:73], v[84:85] op_sel:[0,0,1] op_sel_hi:[1,0,0]
	v_mov_b32_e32 v53, v55
	v_pk_add_f32 v[36:37], v[36:37], v[50:51]
	v_pk_fma_f32 v[40:41], v[58:59], v[74:75], v[38:39] op_sel:[0,0,1] op_sel_hi:[1,1,0] neg_lo:[0,0,1] neg_hi:[0,0,1]
	v_pk_fma_f32 v[38:39], v[58:59], v[74:75], v[38:39] op_sel:[0,0,1] op_sel_hi:[1,0,0]
	v_mov_b32_e32 v63, v57
	v_pk_add_f32 v[36:37], v[36:37], v[52:53]
	s_waitcnt vmcnt(3)
	v_mov_b32_e32 v38, v77
	v_pk_add_f32 v[36:37], v[36:37], v[62:63]
	v_mov_b32_e32 v41, v39
	v_pk_mul_f32 v[38:39], v[60:61], v[38:39] op_sel_hi:[1,0]
	v_pk_add_f32 v[36:37], v[36:37], v[40:41]
	s_waitcnt vmcnt(2)
	v_pk_fma_f32 v[40:41], v[60:61], v[76:77], v[38:39] op_sel:[0,0,1] op_sel_hi:[1,1,0] neg_lo:[0,0,1] neg_hi:[0,0,1]
	v_pk_fma_f32 v[38:39], v[60:61], v[76:77], v[38:39] op_sel:[0,0,1] op_sel_hi:[1,0,0]
	v_mov_b32_e32 v41, v39
	v_pk_add_f32 v[36:37], v[36:37], v[40:41]
	s_waitcnt vmcnt(0)
	v_pk_add_f32 v[36:37], v[78:79], v[36:37] neg_lo:[0,1] neg_hi:[0,1]
	buffer_store_dword v37, off, s[0:3], 0 offset:36
	buffer_store_dword v36, off, s[0:3], 0 offset:32
	s_and_saveexec_b64 s[4:5], vcc
	s_cbranch_execz .LBB16_109
; %bb.108:
	buffer_load_dword v36, off, s[0:3], 0 offset:24
	buffer_load_dword v37, off, s[0:3], 0 offset:28
	v_mov_b32_e32 v38, 0
	buffer_store_dword v38, off, s[0:3], 0 offset:24
	buffer_store_dword v38, off, s[0:3], 0 offset:28
	s_waitcnt vmcnt(2)
	ds_write_b64 v1, v[36:37]
.LBB16_109:
	s_or_b64 exec, exec, s[4:5]
	s_waitcnt lgkmcnt(0)
	; wave barrier
	s_waitcnt lgkmcnt(0)
	buffer_load_dword v37, off, s[0:3], 0 offset:36
	buffer_load_dword v82, off, s[0:3], 0 offset:44
	;; [unrolled: 1-line block ×28, first 2 shown]
	v_mov_b32_e32 v36, 0
	ds_read_b128 v[38:41], v36 offset:176
	ds_read_b128 v[42:45], v36 offset:192
	;; [unrolled: 1-line block ×6, first 2 shown]
	ds_read_b64 v[80:81], v36 offset:272
	v_cmp_lt_u32_e32 vcc, 2, v0
	s_waitcnt vmcnt(27) lgkmcnt(6)
	v_mul_f32_e32 v97, v38, v37
	v_mul_f32_e32 v37, v39, v37
	s_waitcnt vmcnt(26)
	v_mul_f32_e32 v98, v40, v82
	s_waitcnt vmcnt(24) lgkmcnt(5)
	v_mul_f32_e32 v83, v44, v86
	s_waitcnt vmcnt(23) lgkmcnt(4)
	v_mul_f32_e32 v85, v46, v87
	v_mul_f32_e32 v100, v45, v86
	;; [unrolled: 1-line block ×3, first 2 shown]
	s_waitcnt vmcnt(22)
	v_mov_b32_e32 v86, v63
	v_mul_f32_e32 v99, v42, v84
	v_mul_f32_e32 v82, v41, v82
	;; [unrolled: 1-line block ×3, first 2 shown]
	s_waitcnt vmcnt(17)
	v_fmac_f32_e32 v97, v39, v89
	v_fma_f32 v37, v38, v89, -v37
	v_pk_mul_f32 v[38:39], v[48:49], v[86:87] op_sel_hi:[1,0]
	s_waitcnt vmcnt(16)
	v_fmac_f32_e32 v98, v41, v91
	s_waitcnt vmcnt(13)
	v_fmac_f32_e32 v85, v47, v96
	v_fma_f32 v89, v40, v91, -v82
	v_fma_f32 v91, v42, v93, -v84
	;; [unrolled: 1-line block ×3, first 2 shown]
	v_add_f32_e32 v86, 0, v97
	v_add_f32_e32 v37, 0, v37
	s_waitcnt vmcnt(12)
	v_pk_fma_f32 v[46:47], v[48:49], v[62:63], v[38:39] op_sel:[0,0,1] op_sel_hi:[1,1,0] neg_lo:[0,0,1] neg_hi:[0,0,1]
	v_pk_fma_f32 v[38:39], v[48:49], v[62:63], v[38:39] op_sel:[0,0,1] op_sel_hi:[1,0,0]
	v_fmac_f32_e32 v99, v43, v93
	v_add_f32_e32 v38, v86, v98
	v_add_f32_e32 v37, v37, v89
	v_mov_b32_e32 v88, v65
	v_fmac_f32_e32 v83, v45, v95
	v_fma_f32 v82, v44, v95, -v100
	v_mov_b32_e32 v47, v39
	v_add_f32_e32 v39, v38, v99
	v_add_f32_e32 v38, v37, v91
	v_mov_b32_e32 v90, v67
	s_waitcnt lgkmcnt(3)
	v_pk_mul_f32 v[40:41], v[50:51], v[88:89] op_sel_hi:[1,0]
	v_pk_add_f32 v[38:39], v[38:39], v[82:83]
	v_mov_b32_e32 v92, v69
	v_mov_b32_e32 v94, v71
	v_pk_mul_f32 v[42:43], v[52:53], v[90:91] op_sel_hi:[1,0]
	s_waitcnt vmcnt(11)
	v_pk_fma_f32 v[48:49], v[50:51], v[64:65], v[40:41] op_sel:[0,0,1] op_sel_hi:[1,1,0] neg_lo:[0,0,1] neg_hi:[0,0,1]
	v_pk_fma_f32 v[40:41], v[50:51], v[64:65], v[40:41] op_sel:[0,0,1] op_sel_hi:[1,0,0]
	v_pk_add_f32 v[38:39], v[38:39], v[84:85]
	s_waitcnt lgkmcnt(2)
	v_pk_mul_f32 v[44:45], v[54:55], v[92:93] op_sel_hi:[1,0]
	s_waitcnt vmcnt(10)
	v_pk_fma_f32 v[50:51], v[52:53], v[66:67], v[42:43] op_sel:[0,0,1] op_sel_hi:[1,1,0] neg_lo:[0,0,1] neg_hi:[0,0,1]
	v_pk_fma_f32 v[42:43], v[52:53], v[66:67], v[42:43] op_sel:[0,0,1] op_sel_hi:[1,0,0]
	v_mov_b32_e32 v49, v41
	v_pk_add_f32 v[38:39], v[38:39], v[46:47]
	v_pk_mul_f32 v[40:41], v[56:57], v[94:95] op_sel_hi:[1,0]
	s_waitcnt vmcnt(9)
	v_pk_fma_f32 v[52:53], v[54:55], v[68:69], v[44:45] op_sel:[0,0,1] op_sel_hi:[1,1,0] neg_lo:[0,0,1] neg_hi:[0,0,1]
	v_pk_fma_f32 v[44:45], v[54:55], v[68:69], v[44:45] op_sel:[0,0,1] op_sel_hi:[1,0,0]
	v_mov_b32_e32 v51, v43
	v_pk_add_f32 v[38:39], v[38:39], v[48:49]
	s_waitcnt vmcnt(8)
	v_pk_fma_f32 v[42:43], v[56:57], v[70:71], v[40:41] op_sel:[0,0,1] op_sel_hi:[1,1,0] neg_lo:[0,0,1] neg_hi:[0,0,1]
	v_pk_fma_f32 v[40:41], v[56:57], v[70:71], v[40:41] op_sel:[0,0,1] op_sel_hi:[1,0,0]
	v_mov_b32_e32 v53, v45
	v_pk_add_f32 v[38:39], v[38:39], v[50:51]
	s_waitcnt vmcnt(7)
	v_mov_b32_e32 v40, v73
	v_pk_add_f32 v[38:39], v[38:39], v[52:53]
	v_mov_b32_e32 v43, v41
	s_waitcnt lgkmcnt(1)
	v_pk_mul_f32 v[40:41], v[58:59], v[40:41] op_sel_hi:[1,0]
	v_pk_add_f32 v[38:39], v[38:39], v[42:43]
	s_waitcnt vmcnt(6)
	v_pk_fma_f32 v[42:43], v[58:59], v[72:73], v[40:41] op_sel:[0,0,1] op_sel_hi:[1,1,0] neg_lo:[0,0,1] neg_hi:[0,0,1]
	v_pk_fma_f32 v[40:41], v[58:59], v[72:73], v[40:41] op_sel:[0,0,1] op_sel_hi:[1,0,0]
	s_waitcnt vmcnt(5)
	v_mov_b32_e32 v40, v75
	v_mov_b32_e32 v43, v41
	v_pk_mul_f32 v[40:41], v[60:61], v[40:41] op_sel_hi:[1,0]
	v_pk_add_f32 v[38:39], v[38:39], v[42:43]
	s_waitcnt vmcnt(4)
	v_pk_fma_f32 v[42:43], v[60:61], v[74:75], v[40:41] op_sel:[0,0,1] op_sel_hi:[1,1,0] neg_lo:[0,0,1] neg_hi:[0,0,1]
	v_pk_fma_f32 v[40:41], v[60:61], v[74:75], v[40:41] op_sel:[0,0,1] op_sel_hi:[1,0,0]
	s_waitcnt vmcnt(2)
	v_mov_b32_e32 v40, v77
	v_mov_b32_e32 v43, v41
	s_waitcnt lgkmcnt(0)
	v_pk_mul_f32 v[40:41], v[80:81], v[40:41] op_sel_hi:[1,0]
	v_pk_add_f32 v[38:39], v[38:39], v[42:43]
	v_pk_fma_f32 v[42:43], v[80:81], v[76:77], v[40:41] op_sel:[0,0,1] op_sel_hi:[1,1,0] neg_lo:[0,0,1] neg_hi:[0,0,1]
	v_pk_fma_f32 v[40:41], v[80:81], v[76:77], v[40:41] op_sel:[0,0,1] op_sel_hi:[1,0,0]
	v_mov_b32_e32 v43, v41
	v_pk_add_f32 v[38:39], v[38:39], v[42:43]
	s_waitcnt vmcnt(0)
	v_pk_add_f32 v[38:39], v[78:79], v[38:39] neg_lo:[0,1] neg_hi:[0,1]
	buffer_store_dword v39, off, s[0:3], 0 offset:28
	buffer_store_dword v38, off, s[0:3], 0 offset:24
	s_and_saveexec_b64 s[4:5], vcc
	s_cbranch_execz .LBB16_111
; %bb.110:
	buffer_load_dword v38, off, s[0:3], 0 offset:16
	buffer_load_dword v39, off, s[0:3], 0 offset:20
	s_waitcnt vmcnt(0)
	ds_write_b64 v1, v[38:39]
	buffer_store_dword v36, off, s[0:3], 0 offset:16
	buffer_store_dword v36, off, s[0:3], 0 offset:20
.LBB16_111:
	s_or_b64 exec, exec, s[4:5]
	s_waitcnt lgkmcnt(0)
	; wave barrier
	s_waitcnt lgkmcnt(0)
	buffer_load_dword v84, off, s[0:3], 0 offset:28
	buffer_load_dword v86, off, s[0:3], 0 offset:36
	buffer_load_dword v87, off, s[0:3], 0 offset:44
	buffer_load_dword v88, off, s[0:3], 0 offset:52
	buffer_load_dword v89, off, s[0:3], 0 offset:60
	buffer_load_dword v90, off, s[0:3], 0 offset:68
	buffer_load_dword v67, off, s[0:3], 0 offset:76
	buffer_load_dword v69, off, s[0:3], 0 offset:84
	buffer_load_dword v71, off, s[0:3], 0 offset:92
	buffer_load_dword v91, off, s[0:3], 0 offset:24
	buffer_load_dword v92, off, s[0:3], 0 offset:32
	buffer_load_dword v93, off, s[0:3], 0 offset:40
	buffer_load_dword v94, off, s[0:3], 0 offset:48
	buffer_load_dword v95, off, s[0:3], 0 offset:56
	buffer_load_dword v96, off, s[0:3], 0 offset:64
	buffer_load_dword v66, off, s[0:3], 0 offset:72
	buffer_load_dword v72, off, s[0:3], 0 offset:104
	buffer_load_dword v74, off, s[0:3], 0 offset:96
	buffer_load_dword v70, off, s[0:3], 0 offset:88
	buffer_load_dword v68, off, s[0:3], 0 offset:80
	buffer_load_dword v75, off, s[0:3], 0 offset:100
	buffer_load_dword v73, off, s[0:3], 0 offset:108
	buffer_load_dword v77, off, s[0:3], 0 offset:116
	buffer_load_dword v78, off, s[0:3], 0 offset:128
	buffer_load_dword v80, off, s[0:3], 0 offset:120
	buffer_load_dword v76, off, s[0:3], 0 offset:112
	buffer_load_dword v81, off, s[0:3], 0 offset:124
	buffer_load_dword v82, off, s[0:3], 0 offset:16
	buffer_load_dword v83, off, s[0:3], 0 offset:20
	buffer_load_dword v79, off, s[0:3], 0 offset:132
	ds_read2_b64 v[38:41], v36 offset0:21 offset1:22
	ds_read2_b64 v[42:45], v36 offset0:23 offset1:24
	;; [unrolled: 1-line block ×7, first 2 shown]
	v_cmp_lt_u32_e32 vcc, 1, v0
	s_waitcnt vmcnt(29) lgkmcnt(6)
	v_mul_f32_e32 v97, v38, v84
	s_waitcnt vmcnt(28)
	v_mul_f32_e32 v98, v40, v86
	s_waitcnt vmcnt(27) lgkmcnt(5)
	v_mul_f32_e32 v99, v42, v87
	v_mul_f32_e32 v87, v43, v87
	s_waitcnt vmcnt(26)
	v_mul_f32_e32 v100, v44, v88
	s_waitcnt vmcnt(25) lgkmcnt(4)
	v_mul_f32_e32 v37, v46, v89
	v_mul_f32_e32 v36, v39, v84
	;; [unrolled: 1-line block ×5, first 2 shown]
	s_waitcnt vmcnt(23)
	v_mov_b32_e32 v86, v67
	s_waitcnt vmcnt(22)
	v_mov_b32_e32 v88, v69
	s_waitcnt vmcnt(18)
	v_fma_f32 v87, v42, v93, -v87
	v_fmac_f32_e32 v97, v39, v91
	v_fmac_f32_e32 v98, v41, v92
	s_waitcnt vmcnt(17)
	v_fmac_f32_e32 v100, v45, v94
	v_fma_f32 v45, v38, v91, -v36
	v_fma_f32 v91, v40, v92, -v84
	s_waitcnt lgkmcnt(3)
	v_pk_mul_f32 v[38:39], v[50:51], v[86:87] op_sel_hi:[1,0]
	v_pk_mul_f32 v[40:41], v[52:53], v[88:89] op_sel_hi:[1,0]
	s_waitcnt vmcnt(16)
	v_fmac_f32_e32 v37, v47, v95
	v_fma_f32 v92, v44, v94, -v101
	v_fma_f32 v36, v46, v95, -v89
	v_add_f32_e32 v86, 0, v97
	v_add_f32_e32 v88, 0, v45
	s_waitcnt vmcnt(14)
	v_pk_fma_f32 v[44:45], v[50:51], v[66:67], v[38:39] op_sel:[0,0,1] op_sel_hi:[1,1,0] neg_lo:[0,0,1] neg_hi:[0,0,1]
	v_pk_fma_f32 v[38:39], v[50:51], v[66:67], v[38:39] op_sel:[0,0,1] op_sel_hi:[1,0,0]
	s_waitcnt vmcnt(10)
	v_pk_fma_f32 v[46:47], v[52:53], v[68:69], v[40:41] op_sel:[0,0,1] op_sel_hi:[1,1,0] neg_lo:[0,0,1] neg_hi:[0,0,1]
	v_pk_fma_f32 v[40:41], v[52:53], v[68:69], v[40:41] op_sel:[0,0,1] op_sel_hi:[1,0,0]
	v_fmac_f32_e32 v99, v43, v93
	v_add_f32_e32 v38, v86, v98
	v_add_f32_e32 v40, v88, v91
	;; [unrolled: 1-line block ×4, first 2 shown]
	v_mul_f32_e32 v85, v48, v90
	v_mul_f32_e32 v102, v49, v90
	v_mov_b32_e32 v45, v39
	v_add_f32_e32 v39, v38, v100
	v_add_f32_e32 v38, v40, v92
	v_mov_b32_e32 v90, v71
	v_fmac_f32_e32 v85, v49, v96
	v_fma_f32 v84, v48, v96, -v102
	v_pk_add_f32 v[36:37], v[38:39], v[36:37]
	s_waitcnt vmcnt(9)
	v_mov_b32_e32 v38, v75
	s_waitcnt lgkmcnt(2)
	v_pk_mul_f32 v[42:43], v[54:55], v[90:91] op_sel_hi:[1,0]
	v_pk_add_f32 v[36:37], v[36:37], v[84:85]
	v_pk_mul_f32 v[38:39], v[56:57], v[38:39] op_sel_hi:[1,0]
	v_pk_fma_f32 v[48:49], v[54:55], v[70:71], v[42:43] op_sel:[0,0,1] op_sel_hi:[1,1,0] neg_lo:[0,0,1] neg_hi:[0,0,1]
	v_pk_fma_f32 v[42:43], v[54:55], v[70:71], v[42:43] op_sel:[0,0,1] op_sel_hi:[1,0,0]
	v_mov_b32_e32 v47, v41
	v_pk_add_f32 v[36:37], v[36:37], v[44:45]
	v_pk_fma_f32 v[40:41], v[56:57], v[74:75], v[38:39] op_sel:[0,0,1] op_sel_hi:[1,1,0] neg_lo:[0,0,1] neg_hi:[0,0,1]
	v_pk_fma_f32 v[38:39], v[56:57], v[74:75], v[38:39] op_sel:[0,0,1] op_sel_hi:[1,0,0]
	v_mov_b32_e32 v49, v43
	v_pk_add_f32 v[36:37], v[36:37], v[46:47]
	s_waitcnt vmcnt(8)
	v_mov_b32_e32 v38, v73
	v_pk_add_f32 v[36:37], v[36:37], v[48:49]
	v_mov_b32_e32 v41, v39
	s_waitcnt lgkmcnt(1)
	v_pk_mul_f32 v[38:39], v[58:59], v[38:39] op_sel_hi:[1,0]
	v_pk_add_f32 v[36:37], v[36:37], v[40:41]
	v_pk_fma_f32 v[40:41], v[58:59], v[72:73], v[38:39] op_sel:[0,0,1] op_sel_hi:[1,1,0] neg_lo:[0,0,1] neg_hi:[0,0,1]
	v_pk_fma_f32 v[38:39], v[58:59], v[72:73], v[38:39] op_sel:[0,0,1] op_sel_hi:[1,0,0]
	s_waitcnt vmcnt(7)
	v_mov_b32_e32 v38, v77
	v_mov_b32_e32 v41, v39
	v_pk_mul_f32 v[38:39], v[60:61], v[38:39] op_sel_hi:[1,0]
	v_pk_add_f32 v[36:37], v[36:37], v[40:41]
	s_waitcnt vmcnt(4)
	v_pk_fma_f32 v[40:41], v[60:61], v[76:77], v[38:39] op_sel:[0,0,1] op_sel_hi:[1,1,0] neg_lo:[0,0,1] neg_hi:[0,0,1]
	v_pk_fma_f32 v[38:39], v[60:61], v[76:77], v[38:39] op_sel:[0,0,1] op_sel_hi:[1,0,0]
	s_waitcnt vmcnt(3)
	v_mov_b32_e32 v38, v81
	v_mov_b32_e32 v41, v39
	s_waitcnt lgkmcnt(0)
	v_pk_mul_f32 v[38:39], v[62:63], v[38:39] op_sel_hi:[1,0]
	v_pk_add_f32 v[36:37], v[36:37], v[40:41]
	v_pk_fma_f32 v[40:41], v[62:63], v[80:81], v[38:39] op_sel:[0,0,1] op_sel_hi:[1,1,0] neg_lo:[0,0,1] neg_hi:[0,0,1]
	v_pk_fma_f32 v[38:39], v[62:63], v[80:81], v[38:39] op_sel:[0,0,1] op_sel_hi:[1,0,0]
	s_waitcnt vmcnt(0)
	v_mov_b32_e32 v38, v79
	v_mov_b32_e32 v41, v39
	v_pk_mul_f32 v[38:39], v[64:65], v[38:39] op_sel_hi:[1,0]
	v_pk_add_f32 v[36:37], v[36:37], v[40:41]
	v_pk_fma_f32 v[40:41], v[64:65], v[78:79], v[38:39] op_sel:[0,0,1] op_sel_hi:[1,1,0] neg_lo:[0,0,1] neg_hi:[0,0,1]
	v_pk_fma_f32 v[38:39], v[64:65], v[78:79], v[38:39] op_sel:[0,0,1] op_sel_hi:[1,0,0]
	v_mov_b32_e32 v41, v39
	v_pk_add_f32 v[36:37], v[36:37], v[40:41]
	v_pk_add_f32 v[36:37], v[82:83], v[36:37] neg_lo:[0,1] neg_hi:[0,1]
	buffer_store_dword v37, off, s[0:3], 0 offset:20
	buffer_store_dword v36, off, s[0:3], 0 offset:16
	s_and_saveexec_b64 s[4:5], vcc
	s_cbranch_execz .LBB16_113
; %bb.112:
	buffer_load_dword v36, off, s[0:3], 0 offset:8
	buffer_load_dword v37, off, s[0:3], 0 offset:12
	v_mov_b32_e32 v38, 0
	buffer_store_dword v38, off, s[0:3], 0 offset:8
	buffer_store_dword v38, off, s[0:3], 0 offset:12
	s_waitcnt vmcnt(2)
	ds_write_b64 v1, v[36:37]
.LBB16_113:
	s_or_b64 exec, exec, s[4:5]
	s_waitcnt lgkmcnt(0)
	; wave barrier
	s_waitcnt lgkmcnt(0)
	buffer_load_dword v37, off, s[0:3], 0 offset:20
	buffer_load_dword v86, off, s[0:3], 0 offset:28
	;; [unrolled: 1-line block ×32, first 2 shown]
	v_mov_b32_e32 v36, 0
	ds_read_b128 v[38:41], v36 offset:160
	ds_read_b128 v[42:45], v36 offset:176
	;; [unrolled: 1-line block ×7, first 2 shown]
	ds_read_b64 v[84:85], v36 offset:272
	v_cmp_ne_u32_e32 vcc, 0, v0
	s_waitcnt vmcnt(31) lgkmcnt(7)
	v_mul_f32_e32 v101, v38, v37
	v_mul_f32_e32 v37, v39, v37
	s_waitcnt vmcnt(30)
	v_mul_f32_e32 v102, v40, v86
	s_waitcnt vmcnt(28) lgkmcnt(6)
	v_mul_f32_e32 v104, v44, v90
	s_waitcnt vmcnt(27) lgkmcnt(5)
	v_mul_f32_e32 v105, v46, v91
	v_mul_f32_e32 v106, v45, v90
	;; [unrolled: 1-line block ×3, first 2 shown]
	s_waitcnt vmcnt(24)
	v_mov_b32_e32 v90, v67
	v_mul_f32_e32 v103, v42, v88
	v_mul_f32_e32 v86, v41, v86
	s_waitcnt vmcnt(22)
	v_fmac_f32_e32 v101, v39, v94
	v_fma_f32 v37, v38, v94, -v37
	s_waitcnt lgkmcnt(4)
	v_pk_mul_f32 v[38:39], v[52:53], v[90:91] op_sel_hi:[1,0]
	v_mul_f32_e32 v88, v43, v88
	s_waitcnt vmcnt(21)
	v_fmac_f32_e32 v102, v41, v95
	s_waitcnt vmcnt(20)
	v_fmac_f32_e32 v103, v43, v96
	;; [unrolled: 2-line block ×3, first 2 shown]
	v_fma_f32 v43, v40, v95, -v86
	s_waitcnt vmcnt(18)
	v_fma_f32 v45, v46, v98, -v91
	v_add_f32_e32 v46, 0, v101
	v_add_f32_e32 v37, 0, v37
	s_waitcnt vmcnt(12)
	v_pk_fma_f32 v[40:41], v[52:53], v[66:67], v[38:39] op_sel:[0,0,1] op_sel_hi:[1,1,0] neg_lo:[0,0,1] neg_hi:[0,0,1]
	v_pk_fma_f32 v[38:39], v[52:53], v[66:67], v[38:39] op_sel:[0,0,1] op_sel_hi:[1,0,0]
	v_fma_f32 v42, v42, v96, -v88
	v_add_f32_e32 v38, v46, v102
	v_add_f32_e32 v37, v37, v43
	v_fma_f32 v44, v44, v97, -v106
	v_add_f32_e32 v38, v38, v103
	v_add_f32_e32 v37, v37, v42
	v_mul_f32_e32 v87, v48, v92
	v_mul_f32_e32 v107, v49, v92
	v_fmac_f32_e32 v105, v47, v98
	v_add_f32_e32 v38, v38, v104
	v_add_f32_e32 v37, v37, v44
	v_mul_f32_e32 v89, v50, v93
	v_mul_f32_e32 v93, v51, v93
	v_fmac_f32_e32 v87, v49, v99
	v_fma_f32 v86, v48, v99, -v107
	v_mov_b32_e32 v41, v39
	v_add_f32_e32 v39, v38, v105
	v_add_f32_e32 v38, v37, v45
	v_fmac_f32_e32 v89, v51, v100
	v_fma_f32 v88, v50, v100, -v93
	v_pk_add_f32 v[38:39], v[38:39], v[86:87]
	v_mov_b32_e32 v92, v69
	v_pk_add_f32 v[38:39], v[38:39], v[88:89]
	v_pk_add_f32 v[38:39], v[38:39], v[40:41]
	s_waitcnt lgkmcnt(3)
	v_pk_mul_f32 v[40:41], v[54:55], v[92:93] op_sel_hi:[1,0]
	v_pk_fma_f32 v[42:43], v[54:55], v[68:69], v[40:41] op_sel:[0,0,1] op_sel_hi:[1,1,0] neg_lo:[0,0,1] neg_hi:[0,0,1]
	v_pk_fma_f32 v[40:41], v[54:55], v[68:69], v[40:41] op_sel:[0,0,1] op_sel_hi:[1,0,0]
	s_waitcnt vmcnt(11)
	v_mov_b32_e32 v40, v73
	v_mov_b32_e32 v43, v41
	v_pk_mul_f32 v[40:41], v[56:57], v[40:41] op_sel_hi:[1,0]
	v_pk_add_f32 v[38:39], v[38:39], v[42:43]
	v_pk_fma_f32 v[42:43], v[56:57], v[72:73], v[40:41] op_sel:[0,0,1] op_sel_hi:[1,1,0] neg_lo:[0,0,1] neg_hi:[0,0,1]
	v_pk_fma_f32 v[40:41], v[56:57], v[72:73], v[40:41] op_sel:[0,0,1] op_sel_hi:[1,0,0]
	s_waitcnt vmcnt(10)
	v_mov_b32_e32 v40, v71
	v_mov_b32_e32 v43, v41
	s_waitcnt lgkmcnt(2)
	v_pk_mul_f32 v[40:41], v[58:59], v[40:41] op_sel_hi:[1,0]
	v_pk_add_f32 v[38:39], v[38:39], v[42:43]
	v_pk_fma_f32 v[42:43], v[58:59], v[70:71], v[40:41] op_sel:[0,0,1] op_sel_hi:[1,1,0] neg_lo:[0,0,1] neg_hi:[0,0,1]
	v_pk_fma_f32 v[40:41], v[58:59], v[70:71], v[40:41] op_sel:[0,0,1] op_sel_hi:[1,0,0]
	s_waitcnt vmcnt(9)
	v_mov_b32_e32 v40, v75
	v_mov_b32_e32 v43, v41
	v_pk_mul_f32 v[40:41], v[60:61], v[40:41] op_sel_hi:[1,0]
	v_pk_add_f32 v[38:39], v[38:39], v[42:43]
	s_waitcnt vmcnt(4)
	v_pk_fma_f32 v[42:43], v[60:61], v[74:75], v[40:41] op_sel:[0,0,1] op_sel_hi:[1,1,0] neg_lo:[0,0,1] neg_hi:[0,0,1]
	v_pk_fma_f32 v[40:41], v[60:61], v[74:75], v[40:41] op_sel:[0,0,1] op_sel_hi:[1,0,0]
	v_mov_b32_e32 v40, v81
	v_mov_b32_e32 v43, v41
	s_waitcnt lgkmcnt(1)
	v_pk_mul_f32 v[40:41], v[62:63], v[40:41] op_sel_hi:[1,0]
	v_pk_add_f32 v[38:39], v[38:39], v[42:43]
	v_pk_fma_f32 v[42:43], v[62:63], v[80:81], v[40:41] op_sel:[0,0,1] op_sel_hi:[1,1,0] neg_lo:[0,0,1] neg_hi:[0,0,1]
	v_pk_fma_f32 v[40:41], v[62:63], v[80:81], v[40:41] op_sel:[0,0,1] op_sel_hi:[1,0,0]
	s_waitcnt vmcnt(3)
	v_mov_b32_e32 v40, v79
	v_mov_b32_e32 v43, v41
	v_pk_mul_f32 v[40:41], v[64:65], v[40:41] op_sel_hi:[1,0]
	v_pk_add_f32 v[38:39], v[38:39], v[42:43]
	v_pk_fma_f32 v[42:43], v[64:65], v[78:79], v[40:41] op_sel:[0,0,1] op_sel_hi:[1,1,0] neg_lo:[0,0,1] neg_hi:[0,0,1]
	v_pk_fma_f32 v[40:41], v[64:65], v[78:79], v[40:41] op_sel:[0,0,1] op_sel_hi:[1,0,0]
	s_waitcnt vmcnt(0)
	v_mov_b32_e32 v40, v77
	v_mov_b32_e32 v43, v41
	s_waitcnt lgkmcnt(0)
	v_pk_mul_f32 v[40:41], v[84:85], v[40:41] op_sel_hi:[1,0]
	v_pk_add_f32 v[38:39], v[38:39], v[42:43]
	v_pk_fma_f32 v[42:43], v[84:85], v[76:77], v[40:41] op_sel:[0,0,1] op_sel_hi:[1,1,0] neg_lo:[0,0,1] neg_hi:[0,0,1]
	v_pk_fma_f32 v[40:41], v[84:85], v[76:77], v[40:41] op_sel:[0,0,1] op_sel_hi:[1,0,0]
	v_mov_b32_e32 v43, v41
	v_pk_add_f32 v[38:39], v[38:39], v[42:43]
	v_pk_add_f32 v[38:39], v[82:83], v[38:39] neg_lo:[0,1] neg_hi:[0,1]
	buffer_store_dword v39, off, s[0:3], 0 offset:12
	buffer_store_dword v38, off, s[0:3], 0 offset:8
	s_and_saveexec_b64 s[4:5], vcc
	s_cbranch_execz .LBB16_115
; %bb.114:
	buffer_load_dword v38, off, s[0:3], 0
	buffer_load_dword v39, off, s[0:3], 0 offset:4
	s_waitcnt vmcnt(0)
	ds_write_b64 v1, v[38:39]
	buffer_store_dword v36, off, s[0:3], 0
	buffer_store_dword v36, off, s[0:3], 0 offset:4
.LBB16_115:
	s_or_b64 exec, exec, s[4:5]
	s_waitcnt lgkmcnt(0)
	; wave barrier
	s_waitcnt lgkmcnt(0)
	buffer_load_dword v86, off, s[0:3], 0 offset:12
	buffer_load_dword v88, off, s[0:3], 0 offset:20
	;; [unrolled: 1-line block ×29, first 2 shown]
	buffer_load_dword v82, off, s[0:3], 0
	buffer_load_dword v83, off, s[0:3], 0 offset:4
	buffer_load_dword v77, off, s[0:3], 0 offset:124
	ds_read2_b64 v[38:41], v36 offset0:19 offset1:20
	ds_read2_b64 v[42:45], v36 offset0:21 offset1:22
	;; [unrolled: 1-line block ×4, first 2 shown]
	buffer_load_dword v85, off, s[0:3], 0 offset:132
	buffer_load_dword v84, off, s[0:3], 0 offset:128
	ds_read2_b64 v[54:57], v36 offset0:27 offset1:28
	ds_read2_b64 v[58:61], v36 offset0:29 offset1:30
	;; [unrolled: 1-line block ×4, first 2 shown]
	s_and_b64 vcc, exec, s[20:21]
	s_waitcnt vmcnt(33) lgkmcnt(7)
	v_mul_f32_e32 v103, v38, v86
	v_mul_f32_e32 v36, v39, v86
	s_waitcnt vmcnt(32)
	v_mul_f32_e32 v104, v40, v88
	s_waitcnt vmcnt(31) lgkmcnt(6)
	v_mul_f32_e32 v105, v42, v89
	v_mul_f32_e32 v86, v41, v88
	;; [unrolled: 1-line block ×3, first 2 shown]
	s_waitcnt vmcnt(30)
	v_mul_f32_e32 v89, v45, v90
	v_mul_f32_e32 v106, v44, v90
	s_waitcnt vmcnt(25)
	v_fmac_f32_e32 v103, v39, v95
	v_fma_f32 v38, v38, v95, -v36
	s_waitcnt vmcnt(24)
	v_fmac_f32_e32 v104, v41, v96
	v_fma_f32 v39, v40, v96, -v86
	s_waitcnt vmcnt(22)
	v_fma_f32 v41, v44, v98, -v89
	v_add_f32_e32 v44, 0, v103
	v_add_f32_e32 v38, 0, v38
	v_fmac_f32_e32 v105, v43, v97
	v_fma_f32 v40, v42, v97, -v88
	v_add_f32_e32 v44, v44, v104
	v_add_f32_e32 v38, v38, v39
	s_waitcnt lgkmcnt(5)
	v_mul_f32_e32 v107, v46, v91
	v_mul_f32_e32 v90, v47, v91
	v_fmac_f32_e32 v106, v45, v98
	v_add_f32_e32 v39, v44, v105
	v_add_f32_e32 v38, v38, v40
	v_mul_f32_e32 v108, v48, v92
	v_mul_f32_e32 v91, v49, v92
	s_waitcnt vmcnt(21)
	v_fmac_f32_e32 v107, v47, v99
	v_fma_f32 v42, v46, v99, -v90
	v_add_f32_e32 v39, v39, v106
	v_add_f32_e32 v38, v38, v41
	s_waitcnt lgkmcnt(4)
	v_mul_f32_e32 v37, v50, v93
	v_mul_f32_e32 v92, v51, v93
	s_waitcnt vmcnt(20)
	v_fmac_f32_e32 v108, v49, v100
	v_fma_f32 v43, v48, v100, -v91
	v_add_f32_e32 v39, v39, v107
	v_add_f32_e32 v38, v38, v42
	s_waitcnt vmcnt(19)
	v_fmac_f32_e32 v37, v51, v101
	v_fma_f32 v36, v50, v101, -v92
	v_add_f32_e32 v39, v39, v108
	v_add_f32_e32 v38, v38, v43
	v_pk_add_f32 v[36:37], v[38:39], v[36:37]
	s_waitcnt vmcnt(17)
	v_mov_b32_e32 v38, v1
	v_mul_f32_e32 v87, v52, v94
	v_mul_f32_e32 v93, v53, v94
	s_waitcnt lgkmcnt(3)
	v_pk_mul_f32 v[38:39], v[54:55], v[38:39] op_sel_hi:[1,0]
	v_fmac_f32_e32 v87, v53, v102
	v_fma_f32 v86, v52, v102, -v93
	s_waitcnt vmcnt(14)
	v_pk_fma_f32 v[40:41], v[54:55], v[0:1], v[38:39] op_sel:[0,0,1] op_sel_hi:[1,1,0] neg_lo:[0,0,1] neg_hi:[0,0,1]
	v_pk_fma_f32 v[0:1], v[54:55], v[0:1], v[38:39] op_sel:[0,0,1] op_sel_hi:[1,0,0]
	v_pk_add_f32 v[36:37], v[36:37], v[86:87]
	v_mov_b32_e32 v41, v1
	v_pk_add_f32 v[0:1], v[36:37], v[40:41]
	s_waitcnt vmcnt(13)
	v_mov_b32_e32 v36, v73
	v_pk_mul_f32 v[36:37], v[56:57], v[36:37] op_sel_hi:[1,0]
	v_pk_fma_f32 v[38:39], v[56:57], v[72:73], v[36:37] op_sel:[0,0,1] op_sel_hi:[1,1,0] neg_lo:[0,0,1] neg_hi:[0,0,1]
	v_pk_fma_f32 v[36:37], v[56:57], v[72:73], v[36:37] op_sel:[0,0,1] op_sel_hi:[1,0,0]
	s_waitcnt vmcnt(12)
	v_mov_b32_e32 v36, v71
	v_mov_b32_e32 v39, v37
	s_waitcnt lgkmcnt(2)
	v_pk_mul_f32 v[36:37], v[58:59], v[36:37] op_sel_hi:[1,0]
	v_pk_add_f32 v[0:1], v[0:1], v[38:39]
	v_pk_fma_f32 v[38:39], v[58:59], v[70:71], v[36:37] op_sel:[0,0,1] op_sel_hi:[1,1,0] neg_lo:[0,0,1] neg_hi:[0,0,1]
	v_pk_fma_f32 v[36:37], v[58:59], v[70:71], v[36:37] op_sel:[0,0,1] op_sel_hi:[1,0,0]
	s_waitcnt vmcnt(11)
	v_mov_b32_e32 v36, v75
	v_mov_b32_e32 v39, v37
	v_pk_mul_f32 v[36:37], v[60:61], v[36:37] op_sel_hi:[1,0]
	v_pk_add_f32 v[0:1], v[0:1], v[38:39]
	s_waitcnt vmcnt(5)
	v_pk_fma_f32 v[38:39], v[60:61], v[74:75], v[36:37] op_sel:[0,0,1] op_sel_hi:[1,1,0] neg_lo:[0,0,1] neg_hi:[0,0,1]
	v_pk_fma_f32 v[36:37], v[60:61], v[74:75], v[36:37] op_sel:[0,0,1] op_sel_hi:[1,0,0]
	v_mov_b32_e32 v36, v81
	v_mov_b32_e32 v39, v37
	s_waitcnt lgkmcnt(1)
	v_pk_mul_f32 v[36:37], v[62:63], v[36:37] op_sel_hi:[1,0]
	v_pk_add_f32 v[0:1], v[0:1], v[38:39]
	v_pk_fma_f32 v[38:39], v[62:63], v[80:81], v[36:37] op_sel:[0,0,1] op_sel_hi:[1,1,0] neg_lo:[0,0,1] neg_hi:[0,0,1]
	v_pk_fma_f32 v[36:37], v[62:63], v[80:81], v[36:37] op_sel:[0,0,1] op_sel_hi:[1,0,0]
	v_mov_b32_e32 v36, v79
	v_mov_b32_e32 v39, v37
	v_pk_mul_f32 v[36:37], v[64:65], v[36:37] op_sel_hi:[1,0]
	v_pk_add_f32 v[0:1], v[0:1], v[38:39]
	v_pk_fma_f32 v[38:39], v[64:65], v[78:79], v[36:37] op_sel:[0,0,1] op_sel_hi:[1,1,0] neg_lo:[0,0,1] neg_hi:[0,0,1]
	v_pk_fma_f32 v[36:37], v[64:65], v[78:79], v[36:37] op_sel:[0,0,1] op_sel_hi:[1,0,0]
	s_waitcnt vmcnt(2)
	v_mov_b32_e32 v36, v77
	v_mov_b32_e32 v39, v37
	s_waitcnt lgkmcnt(0)
	v_pk_mul_f32 v[36:37], v[66:67], v[36:37] op_sel_hi:[1,0]
	v_pk_add_f32 v[0:1], v[0:1], v[38:39]
	v_pk_fma_f32 v[38:39], v[66:67], v[76:77], v[36:37] op_sel:[0,0,1] op_sel_hi:[1,1,0] neg_lo:[0,0,1] neg_hi:[0,0,1]
	v_pk_fma_f32 v[36:37], v[66:67], v[76:77], v[36:37] op_sel:[0,0,1] op_sel_hi:[1,0,0]
	s_waitcnt vmcnt(1)
	v_mov_b32_e32 v36, v85
	v_mov_b32_e32 v39, v37
	v_pk_mul_f32 v[36:37], v[68:69], v[36:37] op_sel_hi:[1,0]
	v_pk_add_f32 v[0:1], v[0:1], v[38:39]
	s_waitcnt vmcnt(0)
	v_pk_fma_f32 v[38:39], v[68:69], v[84:85], v[36:37] op_sel:[0,0,1] op_sel_hi:[1,1,0] neg_lo:[0,0,1] neg_hi:[0,0,1]
	v_pk_fma_f32 v[36:37], v[68:69], v[84:85], v[36:37] op_sel:[0,0,1] op_sel_hi:[1,0,0]
	v_mov_b32_e32 v39, v37
	v_pk_add_f32 v[0:1], v[0:1], v[38:39]
	v_pk_add_f32 v[0:1], v[82:83], v[0:1] neg_lo:[0,1] neg_hi:[0,1]
	buffer_store_dword v1, off, s[0:3], 0 offset:4
	buffer_store_dword v0, off, s[0:3], 0
	s_cbranch_vccz .LBB16_149
; %bb.116:
	v_pk_mov_b32 v[0:1], s[10:11], s[10:11] op_sel:[0,1]
	flat_load_dword v0, v[0:1] offset:60
	s_waitcnt vmcnt(0) lgkmcnt(0)
	v_add_u32_e32 v0, -1, v0
	v_cmp_ne_u32_e32 vcc, 15, v0
	s_and_saveexec_b64 s[4:5], vcc
	s_cbranch_execz .LBB16_118
; %bb.117:
	v_mov_b32_e32 v1, 0
	v_lshl_add_u32 v0, v0, 3, v1
	buffer_load_dword v1, v0, s[0:3], 0 offen
	buffer_load_dword v36, v0, s[0:3], 0 offen offset:4
	buffer_load_dword v37, off, s[0:3], 0 offset:120
	buffer_load_dword v38, off, s[0:3], 0 offset:124
	s_waitcnt vmcnt(3)
	buffer_store_dword v1, off, s[0:3], 0 offset:120
	s_waitcnt vmcnt(3)
	buffer_store_dword v36, off, s[0:3], 0 offset:124
	s_waitcnt vmcnt(3)
	buffer_store_dword v37, v0, s[0:3], 0 offen
	s_waitcnt vmcnt(3)
	buffer_store_dword v38, v0, s[0:3], 0 offen offset:4
.LBB16_118:
	s_or_b64 exec, exec, s[4:5]
	v_pk_mov_b32 v[0:1], s[10:11], s[10:11] op_sel:[0,1]
	flat_load_dword v0, v[0:1] offset:56
	s_waitcnt vmcnt(0) lgkmcnt(0)
	v_add_u32_e32 v0, -1, v0
	v_cmp_ne_u32_e32 vcc, 14, v0
	s_and_saveexec_b64 s[4:5], vcc
	s_cbranch_execz .LBB16_120
; %bb.119:
	v_mov_b32_e32 v1, 0
	v_lshl_add_u32 v0, v0, 3, v1
	buffer_load_dword v1, v0, s[0:3], 0 offen
	buffer_load_dword v36, v0, s[0:3], 0 offen offset:4
	buffer_load_dword v37, off, s[0:3], 0 offset:116
	buffer_load_dword v38, off, s[0:3], 0 offset:112
	s_waitcnt vmcnt(3)
	buffer_store_dword v1, off, s[0:3], 0 offset:112
	s_waitcnt vmcnt(3)
	buffer_store_dword v36, off, s[0:3], 0 offset:116
	s_waitcnt vmcnt(3)
	buffer_store_dword v37, v0, s[0:3], 0 offen offset:4
	s_waitcnt vmcnt(3)
	buffer_store_dword v38, v0, s[0:3], 0 offen
.LBB16_120:
	s_or_b64 exec, exec, s[4:5]
	v_pk_mov_b32 v[0:1], s[10:11], s[10:11] op_sel:[0,1]
	flat_load_dword v0, v[0:1] offset:52
	s_waitcnt vmcnt(0) lgkmcnt(0)
	v_add_u32_e32 v0, -1, v0
	v_cmp_ne_u32_e32 vcc, 13, v0
	s_and_saveexec_b64 s[4:5], vcc
	s_cbranch_execz .LBB16_122
; %bb.121:
	v_mov_b32_e32 v1, 0
	v_lshl_add_u32 v0, v0, 3, v1
	buffer_load_dword v1, v0, s[0:3], 0 offen
	buffer_load_dword v36, v0, s[0:3], 0 offen offset:4
	buffer_load_dword v37, off, s[0:3], 0 offset:104
	buffer_load_dword v38, off, s[0:3], 0 offset:108
	s_waitcnt vmcnt(3)
	buffer_store_dword v1, off, s[0:3], 0 offset:104
	s_waitcnt vmcnt(3)
	buffer_store_dword v36, off, s[0:3], 0 offset:108
	s_waitcnt vmcnt(3)
	buffer_store_dword v37, v0, s[0:3], 0 offen
	s_waitcnt vmcnt(3)
	buffer_store_dword v38, v0, s[0:3], 0 offen offset:4
.LBB16_122:
	s_or_b64 exec, exec, s[4:5]
	v_pk_mov_b32 v[0:1], s[10:11], s[10:11] op_sel:[0,1]
	flat_load_dword v0, v[0:1] offset:48
	s_waitcnt vmcnt(0) lgkmcnt(0)
	v_add_u32_e32 v0, -1, v0
	v_cmp_ne_u32_e32 vcc, 12, v0
	s_and_saveexec_b64 s[4:5], vcc
	s_cbranch_execz .LBB16_124
; %bb.123:
	v_mov_b32_e32 v1, 0
	v_lshl_add_u32 v0, v0, 3, v1
	buffer_load_dword v1, v0, s[0:3], 0 offen
	buffer_load_dword v36, v0, s[0:3], 0 offen offset:4
	buffer_load_dword v37, off, s[0:3], 0 offset:100
	buffer_load_dword v38, off, s[0:3], 0 offset:96
	s_waitcnt vmcnt(3)
	buffer_store_dword v1, off, s[0:3], 0 offset:96
	s_waitcnt vmcnt(3)
	buffer_store_dword v36, off, s[0:3], 0 offset:100
	s_waitcnt vmcnt(3)
	buffer_store_dword v37, v0, s[0:3], 0 offen offset:4
	s_waitcnt vmcnt(3)
	buffer_store_dword v38, v0, s[0:3], 0 offen
.LBB16_124:
	s_or_b64 exec, exec, s[4:5]
	v_pk_mov_b32 v[0:1], s[10:11], s[10:11] op_sel:[0,1]
	flat_load_dword v0, v[0:1] offset:44
	s_waitcnt vmcnt(0) lgkmcnt(0)
	v_add_u32_e32 v0, -1, v0
	v_cmp_ne_u32_e32 vcc, 11, v0
	s_and_saveexec_b64 s[4:5], vcc
	s_cbranch_execz .LBB16_126
; %bb.125:
	v_mov_b32_e32 v1, 0
	v_lshl_add_u32 v0, v0, 3, v1
	buffer_load_dword v1, v0, s[0:3], 0 offen
	buffer_load_dword v36, v0, s[0:3], 0 offen offset:4
	buffer_load_dword v37, off, s[0:3], 0 offset:88
	buffer_load_dword v38, off, s[0:3], 0 offset:92
	s_waitcnt vmcnt(3)
	buffer_store_dword v1, off, s[0:3], 0 offset:88
	s_waitcnt vmcnt(3)
	buffer_store_dword v36, off, s[0:3], 0 offset:92
	s_waitcnt vmcnt(3)
	buffer_store_dword v37, v0, s[0:3], 0 offen
	s_waitcnt vmcnt(3)
	buffer_store_dword v38, v0, s[0:3], 0 offen offset:4
.LBB16_126:
	s_or_b64 exec, exec, s[4:5]
	v_pk_mov_b32 v[0:1], s[10:11], s[10:11] op_sel:[0,1]
	flat_load_dword v0, v[0:1] offset:40
	s_waitcnt vmcnt(0) lgkmcnt(0)
	v_add_u32_e32 v0, -1, v0
	v_cmp_ne_u32_e32 vcc, 10, v0
	s_and_saveexec_b64 s[4:5], vcc
	s_cbranch_execz .LBB16_128
; %bb.127:
	v_mov_b32_e32 v1, 0
	v_lshl_add_u32 v0, v0, 3, v1
	buffer_load_dword v1, v0, s[0:3], 0 offen
	buffer_load_dword v36, v0, s[0:3], 0 offen offset:4
	buffer_load_dword v37, off, s[0:3], 0 offset:84
	buffer_load_dword v38, off, s[0:3], 0 offset:80
	s_waitcnt vmcnt(3)
	buffer_store_dword v1, off, s[0:3], 0 offset:80
	s_waitcnt vmcnt(3)
	buffer_store_dword v36, off, s[0:3], 0 offset:84
	s_waitcnt vmcnt(3)
	buffer_store_dword v37, v0, s[0:3], 0 offen offset:4
	s_waitcnt vmcnt(3)
	buffer_store_dword v38, v0, s[0:3], 0 offen
.LBB16_128:
	s_or_b64 exec, exec, s[4:5]
	v_pk_mov_b32 v[0:1], s[10:11], s[10:11] op_sel:[0,1]
	flat_load_dword v0, v[0:1] offset:36
	s_waitcnt vmcnt(0) lgkmcnt(0)
	v_add_u32_e32 v0, -1, v0
	v_cmp_ne_u32_e32 vcc, 9, v0
	s_and_saveexec_b64 s[4:5], vcc
	s_cbranch_execz .LBB16_130
; %bb.129:
	v_mov_b32_e32 v1, 0
	v_lshl_add_u32 v0, v0, 3, v1
	buffer_load_dword v1, v0, s[0:3], 0 offen
	buffer_load_dword v36, v0, s[0:3], 0 offen offset:4
	buffer_load_dword v37, off, s[0:3], 0 offset:72
	buffer_load_dword v38, off, s[0:3], 0 offset:76
	s_waitcnt vmcnt(3)
	buffer_store_dword v1, off, s[0:3], 0 offset:72
	s_waitcnt vmcnt(3)
	buffer_store_dword v36, off, s[0:3], 0 offset:76
	s_waitcnt vmcnt(3)
	buffer_store_dword v37, v0, s[0:3], 0 offen
	s_waitcnt vmcnt(3)
	buffer_store_dword v38, v0, s[0:3], 0 offen offset:4
.LBB16_130:
	s_or_b64 exec, exec, s[4:5]
	v_pk_mov_b32 v[0:1], s[10:11], s[10:11] op_sel:[0,1]
	flat_load_dword v0, v[0:1] offset:32
	s_waitcnt vmcnt(0) lgkmcnt(0)
	v_add_u32_e32 v0, -1, v0
	v_cmp_ne_u32_e32 vcc, 8, v0
	s_and_saveexec_b64 s[4:5], vcc
	s_cbranch_execz .LBB16_132
; %bb.131:
	v_mov_b32_e32 v1, 0
	v_lshl_add_u32 v0, v0, 3, v1
	buffer_load_dword v1, v0, s[0:3], 0 offen
	buffer_load_dword v36, v0, s[0:3], 0 offen offset:4
	buffer_load_dword v37, off, s[0:3], 0 offset:68
	buffer_load_dword v38, off, s[0:3], 0 offset:64
	s_waitcnt vmcnt(3)
	buffer_store_dword v1, off, s[0:3], 0 offset:64
	s_waitcnt vmcnt(3)
	buffer_store_dword v36, off, s[0:3], 0 offset:68
	s_waitcnt vmcnt(3)
	buffer_store_dword v37, v0, s[0:3], 0 offen offset:4
	s_waitcnt vmcnt(3)
	buffer_store_dword v38, v0, s[0:3], 0 offen
.LBB16_132:
	s_or_b64 exec, exec, s[4:5]
	v_pk_mov_b32 v[0:1], s[10:11], s[10:11] op_sel:[0,1]
	flat_load_dword v0, v[0:1] offset:28
	s_waitcnt vmcnt(0) lgkmcnt(0)
	v_add_u32_e32 v0, -1, v0
	v_cmp_ne_u32_e32 vcc, 7, v0
	s_and_saveexec_b64 s[4:5], vcc
	s_cbranch_execz .LBB16_134
; %bb.133:
	v_mov_b32_e32 v1, 0
	v_lshl_add_u32 v0, v0, 3, v1
	buffer_load_dword v1, v0, s[0:3], 0 offen
	buffer_load_dword v36, v0, s[0:3], 0 offen offset:4
	buffer_load_dword v37, off, s[0:3], 0 offset:56
	buffer_load_dword v38, off, s[0:3], 0 offset:60
	s_waitcnt vmcnt(3)
	buffer_store_dword v1, off, s[0:3], 0 offset:56
	s_waitcnt vmcnt(3)
	buffer_store_dword v36, off, s[0:3], 0 offset:60
	s_waitcnt vmcnt(3)
	buffer_store_dword v37, v0, s[0:3], 0 offen
	s_waitcnt vmcnt(3)
	buffer_store_dword v38, v0, s[0:3], 0 offen offset:4
.LBB16_134:
	s_or_b64 exec, exec, s[4:5]
	v_pk_mov_b32 v[0:1], s[10:11], s[10:11] op_sel:[0,1]
	flat_load_dword v0, v[0:1] offset:24
	s_waitcnt vmcnt(0) lgkmcnt(0)
	v_add_u32_e32 v0, -1, v0
	v_cmp_ne_u32_e32 vcc, 6, v0
	s_and_saveexec_b64 s[4:5], vcc
	s_cbranch_execz .LBB16_136
; %bb.135:
	v_mov_b32_e32 v1, 0
	v_lshl_add_u32 v0, v0, 3, v1
	buffer_load_dword v1, v0, s[0:3], 0 offen
	buffer_load_dword v36, v0, s[0:3], 0 offen offset:4
	buffer_load_dword v37, off, s[0:3], 0 offset:52
	buffer_load_dword v38, off, s[0:3], 0 offset:48
	s_waitcnt vmcnt(3)
	buffer_store_dword v1, off, s[0:3], 0 offset:48
	s_waitcnt vmcnt(3)
	buffer_store_dword v36, off, s[0:3], 0 offset:52
	s_waitcnt vmcnt(3)
	buffer_store_dword v37, v0, s[0:3], 0 offen offset:4
	s_waitcnt vmcnt(3)
	buffer_store_dword v38, v0, s[0:3], 0 offen
.LBB16_136:
	s_or_b64 exec, exec, s[4:5]
	v_pk_mov_b32 v[0:1], s[10:11], s[10:11] op_sel:[0,1]
	flat_load_dword v0, v[0:1] offset:20
	s_waitcnt vmcnt(0) lgkmcnt(0)
	v_add_u32_e32 v0, -1, v0
	v_cmp_ne_u32_e32 vcc, 5, v0
	s_and_saveexec_b64 s[4:5], vcc
	s_cbranch_execz .LBB16_138
; %bb.137:
	v_mov_b32_e32 v1, 0
	v_lshl_add_u32 v0, v0, 3, v1
	buffer_load_dword v1, v0, s[0:3], 0 offen
	buffer_load_dword v36, v0, s[0:3], 0 offen offset:4
	buffer_load_dword v37, off, s[0:3], 0 offset:40
	buffer_load_dword v38, off, s[0:3], 0 offset:44
	s_waitcnt vmcnt(3)
	buffer_store_dword v1, off, s[0:3], 0 offset:40
	s_waitcnt vmcnt(3)
	buffer_store_dword v36, off, s[0:3], 0 offset:44
	s_waitcnt vmcnt(3)
	buffer_store_dword v37, v0, s[0:3], 0 offen
	s_waitcnt vmcnt(3)
	buffer_store_dword v38, v0, s[0:3], 0 offen offset:4
.LBB16_138:
	s_or_b64 exec, exec, s[4:5]
	v_pk_mov_b32 v[0:1], s[10:11], s[10:11] op_sel:[0,1]
	flat_load_dword v0, v[0:1] offset:16
	s_waitcnt vmcnt(0) lgkmcnt(0)
	v_add_u32_e32 v0, -1, v0
	v_cmp_ne_u32_e32 vcc, 4, v0
	s_and_saveexec_b64 s[4:5], vcc
	s_cbranch_execz .LBB16_140
; %bb.139:
	v_mov_b32_e32 v1, 0
	v_lshl_add_u32 v0, v0, 3, v1
	buffer_load_dword v1, v0, s[0:3], 0 offen
	buffer_load_dword v36, v0, s[0:3], 0 offen offset:4
	buffer_load_dword v37, off, s[0:3], 0 offset:36
	buffer_load_dword v38, off, s[0:3], 0 offset:32
	s_waitcnt vmcnt(3)
	buffer_store_dword v1, off, s[0:3], 0 offset:32
	s_waitcnt vmcnt(3)
	buffer_store_dword v36, off, s[0:3], 0 offset:36
	s_waitcnt vmcnt(3)
	buffer_store_dword v37, v0, s[0:3], 0 offen offset:4
	s_waitcnt vmcnt(3)
	buffer_store_dword v38, v0, s[0:3], 0 offen
.LBB16_140:
	s_or_b64 exec, exec, s[4:5]
	v_pk_mov_b32 v[0:1], s[10:11], s[10:11] op_sel:[0,1]
	flat_load_dword v0, v[0:1] offset:12
	s_waitcnt vmcnt(0) lgkmcnt(0)
	v_add_u32_e32 v0, -1, v0
	v_cmp_ne_u32_e32 vcc, 3, v0
	s_and_saveexec_b64 s[4:5], vcc
	s_cbranch_execz .LBB16_142
; %bb.141:
	v_mov_b32_e32 v1, 0
	v_lshl_add_u32 v0, v0, 3, v1
	buffer_load_dword v1, v0, s[0:3], 0 offen
	buffer_load_dword v36, v0, s[0:3], 0 offen offset:4
	buffer_load_dword v37, off, s[0:3], 0 offset:24
	buffer_load_dword v38, off, s[0:3], 0 offset:28
	s_waitcnt vmcnt(3)
	buffer_store_dword v1, off, s[0:3], 0 offset:24
	s_waitcnt vmcnt(3)
	buffer_store_dword v36, off, s[0:3], 0 offset:28
	s_waitcnt vmcnt(3)
	buffer_store_dword v37, v0, s[0:3], 0 offen
	s_waitcnt vmcnt(3)
	buffer_store_dword v38, v0, s[0:3], 0 offen offset:4
.LBB16_142:
	s_or_b64 exec, exec, s[4:5]
	v_pk_mov_b32 v[0:1], s[10:11], s[10:11] op_sel:[0,1]
	flat_load_dword v0, v[0:1] offset:8
	s_waitcnt vmcnt(0) lgkmcnt(0)
	v_add_u32_e32 v0, -1, v0
	v_cmp_ne_u32_e32 vcc, 2, v0
	s_and_saveexec_b64 s[4:5], vcc
	s_cbranch_execz .LBB16_144
; %bb.143:
	v_mov_b32_e32 v1, 0
	v_lshl_add_u32 v0, v0, 3, v1
	buffer_load_dword v1, v0, s[0:3], 0 offen
	buffer_load_dword v36, v0, s[0:3], 0 offen offset:4
	buffer_load_dword v37, off, s[0:3], 0 offset:20
	buffer_load_dword v38, off, s[0:3], 0 offset:16
	s_waitcnt vmcnt(3)
	buffer_store_dword v1, off, s[0:3], 0 offset:16
	s_waitcnt vmcnt(3)
	buffer_store_dword v36, off, s[0:3], 0 offset:20
	s_waitcnt vmcnt(3)
	buffer_store_dword v37, v0, s[0:3], 0 offen offset:4
	s_waitcnt vmcnt(3)
	buffer_store_dword v38, v0, s[0:3], 0 offen
.LBB16_144:
	s_or_b64 exec, exec, s[4:5]
	v_pk_mov_b32 v[0:1], s[10:11], s[10:11] op_sel:[0,1]
	flat_load_dword v0, v[0:1] offset:4
	s_waitcnt vmcnt(0) lgkmcnt(0)
	v_add_u32_e32 v0, -1, v0
	v_cmp_ne_u32_e32 vcc, 1, v0
	s_and_saveexec_b64 s[4:5], vcc
	s_cbranch_execz .LBB16_146
; %bb.145:
	v_mov_b32_e32 v1, 0
	v_lshl_add_u32 v0, v0, 3, v1
	buffer_load_dword v1, v0, s[0:3], 0 offen
	buffer_load_dword v36, v0, s[0:3], 0 offen offset:4
	buffer_load_dword v37, off, s[0:3], 0 offset:8
	buffer_load_dword v38, off, s[0:3], 0 offset:12
	s_waitcnt vmcnt(3)
	buffer_store_dword v1, off, s[0:3], 0 offset:8
	s_waitcnt vmcnt(3)
	buffer_store_dword v36, off, s[0:3], 0 offset:12
	s_waitcnt vmcnt(3)
	buffer_store_dword v37, v0, s[0:3], 0 offen
	s_waitcnt vmcnt(3)
	buffer_store_dword v38, v0, s[0:3], 0 offen offset:4
.LBB16_146:
	s_or_b64 exec, exec, s[4:5]
	v_pk_mov_b32 v[0:1], s[10:11], s[10:11] op_sel:[0,1]
	flat_load_dword v36, v[0:1]
	s_nop 0
	buffer_load_dword v0, off, s[0:3], 0
	buffer_load_dword v1, off, s[0:3], 0 offset:4
	s_waitcnt vmcnt(0) lgkmcnt(0)
	v_add_u32_e32 v36, -1, v36
	v_cmp_ne_u32_e32 vcc, 0, v36
	s_and_saveexec_b64 s[4:5], vcc
	s_cbranch_execz .LBB16_148
; %bb.147:
	v_mov_b32_e32 v37, 0
	v_lshl_add_u32 v36, v36, 3, v37
	buffer_load_dword v37, v36, s[0:3], 0 offen offset:4
	buffer_load_dword v38, v36, s[0:3], 0 offen
	s_waitcnt vmcnt(1)
	buffer_store_dword v37, off, s[0:3], 0 offset:4
	s_waitcnt vmcnt(1)
	buffer_store_dword v38, off, s[0:3], 0
	buffer_store_dword v1, v36, s[0:3], 0 offen offset:4
	buffer_store_dword v0, v36, s[0:3], 0 offen
	buffer_load_dword v0, off, s[0:3], 0
	s_nop 0
	buffer_load_dword v1, off, s[0:3], 0 offset:4
.LBB16_148:
	s_or_b64 exec, exec, s[4:5]
.LBB16_149:
	buffer_load_dword v36, off, s[0:3], 0 offset:8
	buffer_load_dword v37, off, s[0:3], 0 offset:12
	;; [unrolled: 1-line block ×32, first 2 shown]
	s_waitcnt vmcnt(32)
	global_store_dwordx2 v[2:3], v[0:1], off
	s_waitcnt vmcnt(31)
	global_store_dwordx2 v[4:5], v[36:37], off
	;; [unrolled: 2-line block ×17, first 2 shown]
	s_endpgm
	.section	.rodata,"a",@progbits
	.p2align	6, 0x0
	.amdhsa_kernel _ZN9rocsolver6v33100L18getri_kernel_smallILi17E19rocblas_complex_numIfEPS3_EEvT1_iilPiilS6_bb
		.amdhsa_group_segment_fixed_size 280
		.amdhsa_private_segment_fixed_size 144
		.amdhsa_kernarg_size 60
		.amdhsa_user_sgpr_count 8
		.amdhsa_user_sgpr_private_segment_buffer 1
		.amdhsa_user_sgpr_dispatch_ptr 0
		.amdhsa_user_sgpr_queue_ptr 0
		.amdhsa_user_sgpr_kernarg_segment_ptr 1
		.amdhsa_user_sgpr_dispatch_id 0
		.amdhsa_user_sgpr_flat_scratch_init 1
		.amdhsa_user_sgpr_kernarg_preload_length 0
		.amdhsa_user_sgpr_kernarg_preload_offset 0
		.amdhsa_user_sgpr_private_segment_size 0
		.amdhsa_uses_dynamic_stack 0
		.amdhsa_system_sgpr_private_segment_wavefront_offset 1
		.amdhsa_system_sgpr_workgroup_id_x 1
		.amdhsa_system_sgpr_workgroup_id_y 0
		.amdhsa_system_sgpr_workgroup_id_z 0
		.amdhsa_system_sgpr_workgroup_info 0
		.amdhsa_system_vgpr_workitem_id 0
		.amdhsa_next_free_vgpr 109
		.amdhsa_next_free_sgpr 23
		.amdhsa_accum_offset 112
		.amdhsa_reserve_vcc 1
		.amdhsa_reserve_flat_scratch 1
		.amdhsa_float_round_mode_32 0
		.amdhsa_float_round_mode_16_64 0
		.amdhsa_float_denorm_mode_32 3
		.amdhsa_float_denorm_mode_16_64 3
		.amdhsa_dx10_clamp 1
		.amdhsa_ieee_mode 1
		.amdhsa_fp16_overflow 0
		.amdhsa_tg_split 0
		.amdhsa_exception_fp_ieee_invalid_op 0
		.amdhsa_exception_fp_denorm_src 0
		.amdhsa_exception_fp_ieee_div_zero 0
		.amdhsa_exception_fp_ieee_overflow 0
		.amdhsa_exception_fp_ieee_underflow 0
		.amdhsa_exception_fp_ieee_inexact 0
		.amdhsa_exception_int_div_zero 0
	.end_amdhsa_kernel
	.section	.text._ZN9rocsolver6v33100L18getri_kernel_smallILi17E19rocblas_complex_numIfEPS3_EEvT1_iilPiilS6_bb,"axG",@progbits,_ZN9rocsolver6v33100L18getri_kernel_smallILi17E19rocblas_complex_numIfEPS3_EEvT1_iilPiilS6_bb,comdat
.Lfunc_end16:
	.size	_ZN9rocsolver6v33100L18getri_kernel_smallILi17E19rocblas_complex_numIfEPS3_EEvT1_iilPiilS6_bb, .Lfunc_end16-_ZN9rocsolver6v33100L18getri_kernel_smallILi17E19rocblas_complex_numIfEPS3_EEvT1_iilPiilS6_bb
                                        ; -- End function
	.section	.AMDGPU.csdata,"",@progbits
; Kernel info:
; codeLenInByte = 18724
; NumSgprs: 29
; NumVgprs: 109
; NumAgprs: 0
; TotalNumVgprs: 109
; ScratchSize: 144
; MemoryBound: 0
; FloatMode: 240
; IeeeMode: 1
; LDSByteSize: 280 bytes/workgroup (compile time only)
; SGPRBlocks: 3
; VGPRBlocks: 13
; NumSGPRsForWavesPerEU: 29
; NumVGPRsForWavesPerEU: 109
; AccumOffset: 112
; Occupancy: 4
; WaveLimiterHint : 1
; COMPUTE_PGM_RSRC2:SCRATCH_EN: 1
; COMPUTE_PGM_RSRC2:USER_SGPR: 8
; COMPUTE_PGM_RSRC2:TRAP_HANDLER: 0
; COMPUTE_PGM_RSRC2:TGID_X_EN: 1
; COMPUTE_PGM_RSRC2:TGID_Y_EN: 0
; COMPUTE_PGM_RSRC2:TGID_Z_EN: 0
; COMPUTE_PGM_RSRC2:TIDIG_COMP_CNT: 0
; COMPUTE_PGM_RSRC3_GFX90A:ACCUM_OFFSET: 27
; COMPUTE_PGM_RSRC3_GFX90A:TG_SPLIT: 0
	.section	.text._ZN9rocsolver6v33100L18getri_kernel_smallILi18E19rocblas_complex_numIfEPS3_EEvT1_iilPiilS6_bb,"axG",@progbits,_ZN9rocsolver6v33100L18getri_kernel_smallILi18E19rocblas_complex_numIfEPS3_EEvT1_iilPiilS6_bb,comdat
	.globl	_ZN9rocsolver6v33100L18getri_kernel_smallILi18E19rocblas_complex_numIfEPS3_EEvT1_iilPiilS6_bb ; -- Begin function _ZN9rocsolver6v33100L18getri_kernel_smallILi18E19rocblas_complex_numIfEPS3_EEvT1_iilPiilS6_bb
	.p2align	8
	.type	_ZN9rocsolver6v33100L18getri_kernel_smallILi18E19rocblas_complex_numIfEPS3_EEvT1_iilPiilS6_bb,@function
_ZN9rocsolver6v33100L18getri_kernel_smallILi18E19rocblas_complex_numIfEPS3_EEvT1_iilPiilS6_bb: ; @_ZN9rocsolver6v33100L18getri_kernel_smallILi18E19rocblas_complex_numIfEPS3_EEvT1_iilPiilS6_bb
; %bb.0:
	s_add_u32 flat_scratch_lo, s6, s9
	s_addc_u32 flat_scratch_hi, s7, 0
	s_add_u32 s0, s0, s9
	s_addc_u32 s1, s1, 0
	v_cmp_gt_u32_e32 vcc, 18, v0
	s_and_saveexec_b64 s[6:7], vcc
	s_cbranch_execz .LBB17_86
; %bb.1:
	s_load_dword s22, s[4:5], 0x38
	s_load_dwordx4 s[16:19], s[4:5], 0x10
	s_load_dwordx4 s[12:15], s[4:5], 0x28
                                        ; implicit-def: $sgpr10_sgpr11
	s_waitcnt lgkmcnt(0)
	s_bitcmp1_b32 s22, 8
	s_cselect_b64 s[20:21], -1, 0
	s_ashr_i32 s9, s8, 31
	s_bfe_u32 s6, s22, 0x10008
	s_cmp_eq_u32 s6, 0
	s_cbranch_scc1 .LBB17_3
; %bb.2:
	s_load_dword s6, s[4:5], 0x20
	s_mul_i32 s7, s8, s13
	s_mul_hi_u32 s10, s8, s12
	s_mul_i32 s11, s9, s12
	s_add_i32 s10, s10, s7
	s_add_i32 s11, s10, s11
	s_mul_i32 s10, s8, s12
	s_waitcnt lgkmcnt(0)
	s_ashr_i32 s7, s6, 31
	s_lshl_b64 s[10:11], s[10:11], 2
	s_add_u32 s10, s18, s10
	s_addc_u32 s11, s19, s11
	s_lshl_b64 s[6:7], s[6:7], 2
	s_add_u32 s10, s10, s6
	s_addc_u32 s11, s11, s7
.LBB17_3:
	s_load_dwordx4 s[4:7], s[4:5], 0x0
	s_mul_i32 s12, s8, s17
	s_mul_hi_u32 s13, s8, s16
	s_add_i32 s17, s13, s12
	v_lshlrev_b32_e32 v48, 3, v0
	s_waitcnt lgkmcnt(0)
	s_ashr_i32 s13, s6, 31
	s_mov_b32 s12, s6
	s_mul_i32 s6, s9, s16
	s_add_i32 s17, s17, s6
	s_mul_i32 s16, s8, s16
	s_lshl_b64 s[16:17], s[16:17], 3
	s_add_u32 s6, s4, s16
	s_addc_u32 s16, s5, s17
	s_lshl_b64 s[4:5], s[12:13], 3
	s_add_u32 s4, s6, s4
	s_addc_u32 s5, s16, s5
	v_mov_b32_e32 v1, s5
	v_add_co_u32_e32 v2, vcc, s4, v48
	s_ashr_i32 s13, s7, 31
	s_mov_b32 s12, s7
	s_add_i32 s6, s7, s7
	v_addc_co_u32_e32 v3, vcc, 0, v1, vcc
	s_lshl_b64 s[12:13], s[12:13], 3
	v_add_u32_e32 v8, s6, v0
	v_mov_b32_e32 v1, s13
	v_add_co_u32_e32 v4, vcc, s12, v2
	v_ashrrev_i32_e32 v9, 31, v8
	v_addc_co_u32_e32 v5, vcc, v3, v1, vcc
	v_lshlrev_b64 v[6:7], 3, v[8:9]
	v_add_u32_e32 v10, s7, v8
	v_mov_b32_e32 v1, s5
	v_add_co_u32_e32 v6, vcc, s4, v6
	v_ashrrev_i32_e32 v11, 31, v10
	v_addc_co_u32_e32 v7, vcc, v1, v7, vcc
	v_lshlrev_b64 v[8:9], 3, v[10:11]
	v_add_u32_e32 v12, s7, v10
	v_add_co_u32_e32 v8, vcc, s4, v8
	v_ashrrev_i32_e32 v13, 31, v12
	v_addc_co_u32_e32 v9, vcc, v1, v9, vcc
	v_lshlrev_b64 v[10:11], 3, v[12:13]
	v_add_u32_e32 v14, s7, v12
	;; [unrolled: 5-line block ×3, first 2 shown]
	v_add_co_u32_e32 v12, vcc, s4, v12
	v_ashrrev_i32_e32 v15, 31, v14
	v_addc_co_u32_e32 v13, vcc, v1, v13, vcc
	v_add_u32_e32 v16, s7, v14
	v_lshlrev_b64 v[14:15], 3, v[14:15]
	v_mov_b32_e32 v17, s5
	v_add_co_u32_e32 v14, vcc, s4, v14
	v_addc_co_u32_e32 v15, vcc, v17, v15, vcc
	v_ashrrev_i32_e32 v17, 31, v16
	v_add_u32_e32 v18, s7, v16
	v_lshlrev_b64 v[16:17], 3, v[16:17]
	v_mov_b32_e32 v19, s5
	v_add_co_u32_e32 v16, vcc, s4, v16
	v_addc_co_u32_e32 v17, vcc, v19, v17, vcc
	v_ashrrev_i32_e32 v19, 31, v18
	;; [unrolled: 6-line block ×10, first 2 shown]
	v_add_u32_e32 v36, s7, v34
	v_lshlrev_b64 v[34:35], 3, v[34:35]
	v_mov_b32_e32 v49, s5
	v_add_co_u32_e32 v34, vcc, s4, v34
	global_load_dwordx2 v[38:39], v48, s[4:5]
	global_load_dwordx2 v[46:47], v[4:5], off
	global_load_dwordx2 v[42:43], v[6:7], off
	;; [unrolled: 1-line block ×12, first 2 shown]
	v_addc_co_u32_e32 v35, vcc, v49, v35, vcc
	global_load_dwordx2 v[66:67], v[28:29], off
	global_load_dwordx2 v[68:69], v[30:31], off
	;; [unrolled: 1-line block ×4, first 2 shown]
	v_ashrrev_i32_e32 v37, 31, v36
	v_lshlrev_b64 v[36:37], 3, v[36:37]
	v_add_co_u32_e32 v36, vcc, s4, v36
	v_addc_co_u32_e32 v37, vcc, v1, v37, vcc
	global_load_dwordx2 v[74:75], v[36:37], off
	s_bitcmp0_b32 s22, 0
	s_mov_b64 s[6:7], -1
	s_waitcnt vmcnt(17)
	buffer_store_dword v39, off, s[0:3], 0 offset:4
	buffer_store_dword v38, off, s[0:3], 0
	s_waitcnt vmcnt(18)
	buffer_store_dword v47, off, s[0:3], 0 offset:12
	buffer_store_dword v46, off, s[0:3], 0 offset:8
	s_waitcnt vmcnt(19)
	buffer_store_dword v43, off, s[0:3], 0 offset:20
	buffer_store_dword v42, off, s[0:3], 0 offset:16
	;; [unrolled: 3-line block ×17, first 2 shown]
	s_cbranch_scc1 .LBB17_84
; %bb.4:
	v_cmp_eq_u32_e64 s[4:5], 0, v0
	s_and_saveexec_b64 s[6:7], s[4:5]
	s_cbranch_execz .LBB17_6
; %bb.5:
	v_mov_b32_e32 v1, 0
	ds_write_b32 v1, v1 offset:288
.LBB17_6:
	s_or_b64 exec, exec, s[6:7]
	v_mov_b32_e32 v1, 0
	v_lshl_add_u32 v42, v0, 3, v1
	s_waitcnt lgkmcnt(0)
	; wave barrier
	s_waitcnt lgkmcnt(0)
	buffer_load_dword v1, v42, s[0:3], 0 offen
	buffer_load_dword v38, v42, s[0:3], 0 offen offset:4
	s_waitcnt vmcnt(1)
	v_cmp_eq_f32_e32 vcc, 0, v1
	s_waitcnt vmcnt(0)
	v_cmp_eq_f32_e64 s[6:7], 0, v38
	s_and_b64 s[6:7], vcc, s[6:7]
	s_and_saveexec_b64 s[12:13], s[6:7]
	s_cbranch_execz .LBB17_10
; %bb.7:
	v_mov_b32_e32 v1, 0
	ds_read_b32 v39, v1 offset:288
	v_add_u32_e32 v38, 1, v0
	s_waitcnt lgkmcnt(0)
	v_readfirstlane_b32 s6, v39
	s_cmp_eq_u32 s6, 0
	s_cselect_b64 s[16:17], -1, 0
	v_cmp_gt_i32_e32 vcc, s6, v38
	s_or_b64 s[16:17], s[16:17], vcc
	s_and_b64 exec, exec, s[16:17]
	s_cbranch_execz .LBB17_10
; %bb.8:
	s_mov_b64 s[16:17], 0
	v_mov_b32_e32 v39, s6
.LBB17_9:                               ; =>This Inner Loop Header: Depth=1
	ds_cmpst_rtn_b32 v39, v1, v39, v38 offset:288
	s_waitcnt lgkmcnt(0)
	v_cmp_ne_u32_e32 vcc, 0, v39
	v_cmp_le_i32_e64 s[6:7], v39, v38
	s_and_b64 s[6:7], vcc, s[6:7]
	s_and_b64 s[6:7], exec, s[6:7]
	s_or_b64 s[16:17], s[6:7], s[16:17]
	s_andn2_b64 exec, exec, s[16:17]
	s_cbranch_execnz .LBB17_9
.LBB17_10:
	s_or_b64 exec, exec, s[12:13]
	v_mov_b32_e32 v38, 0
	s_waitcnt lgkmcnt(0)
	; wave barrier
	ds_read_b32 v1, v38 offset:288
	s_and_saveexec_b64 s[6:7], s[4:5]
	s_cbranch_execz .LBB17_12
; %bb.11:
	s_lshl_b64 s[12:13], s[8:9], 2
	s_add_u32 s12, s14, s12
	s_addc_u32 s13, s15, s13
	s_waitcnt lgkmcnt(0)
	global_store_dword v38, v1, s[12:13]
.LBB17_12:
	s_or_b64 exec, exec, s[6:7]
	s_waitcnt lgkmcnt(0)
	v_cmp_ne_u32_e32 vcc, 0, v1
	s_mov_b64 s[6:7], 0
	s_cbranch_vccnz .LBB17_84
; %bb.13:
	buffer_load_dword v43, v42, s[0:3], 0 offen offset:4
	buffer_load_dword v39, v42, s[0:3], 0 offen
	s_waitcnt vmcnt(1)
	v_cmp_gt_f32_e32 vcc, 0, v43
	v_cndmask_b32_e64 v1, v43, -v43, vcc
	s_waitcnt vmcnt(0)
	v_cmp_gt_f32_e32 vcc, 0, v39
	v_cndmask_b32_e64 v38, v39, -v39, vcc
	v_cmp_ngt_f32_e32 vcc, v38, v1
                                        ; implicit-def: $vgpr1
                                        ; implicit-def: $vgpr38
	s_and_saveexec_b64 s[6:7], vcc
	s_xor_b64 s[6:7], exec, s[6:7]
                                        ; implicit-def: $vgpr40_vgpr41
	s_cbranch_execz .LBB17_15
; %bb.14:
	v_div_scale_f32 v1, s[12:13], v43, v43, v39
	v_rcp_f32_e32 v38, v1
	v_div_scale_f32 v40, vcc, v39, v43, v39
	v_fma_f32 v41, -v1, v38, 1.0
	v_fmac_f32_e32 v38, v41, v38
	v_mul_f32_e32 v41, v40, v38
	v_fma_f32 v44, -v1, v41, v40
	v_fmac_f32_e32 v41, v44, v38
	v_fma_f32 v1, -v1, v41, v40
	v_div_fmas_f32 v1, v1, v38, v41
	v_div_fixup_f32 v38, v1, v43, v39
	v_fmac_f32_e32 v43, v39, v38
	v_div_scale_f32 v1, s[12:13], v43, v43, -1.0
	v_rcp_f32_e32 v39, v1
	v_fma_f32 v40, -v1, v39, 1.0
	v_fmac_f32_e32 v39, v40, v39
	v_div_scale_f32 v40, vcc, -1.0, v43, -1.0
	v_mul_f32_e32 v41, v40, v39
	v_fma_f32 v44, -v1, v41, v40
	v_fmac_f32_e32 v41, v44, v39
	v_fma_f32 v1, -v1, v41, v40
	v_div_fmas_f32 v1, v1, v39, v41
	v_div_fixup_f32 v1, v1, v43, -1.0
	v_mul_f32_e32 v38, v38, v1
	v_xor_b32_e32 v40, 0x80000000, v38
                                        ; implicit-def: $vgpr39
                                        ; implicit-def: $vgpr43
.LBB17_15:
	s_andn2_saveexec_b64 s[6:7], s[6:7]
	s_cbranch_execz .LBB17_17
; %bb.16:
	v_div_scale_f32 v1, s[12:13], v39, v39, v43
	v_rcp_f32_e32 v38, v1
	v_div_scale_f32 v40, vcc, v43, v39, v43
	v_fma_f32 v41, -v1, v38, 1.0
	v_fmac_f32_e32 v38, v41, v38
	v_mul_f32_e32 v41, v40, v38
	v_fma_f32 v44, -v1, v41, v40
	v_fmac_f32_e32 v41, v44, v38
	v_fma_f32 v1, -v1, v41, v40
	v_div_fmas_f32 v1, v1, v38, v41
	v_div_fixup_f32 v1, v1, v39, v43
	v_fmac_f32_e32 v39, v43, v1
	v_div_scale_f32 v38, s[12:13], v39, v39, 1.0
	v_rcp_f32_e32 v40, v38
	v_fma_f32 v41, -v38, v40, 1.0
	v_fmac_f32_e32 v40, v41, v40
	v_div_scale_f32 v41, vcc, 1.0, v39, 1.0
	v_mul_f32_e32 v43, v41, v40
	v_fma_f32 v44, -v38, v43, v41
	v_fmac_f32_e32 v43, v44, v40
	v_fma_f32 v38, -v38, v43, v41
	v_div_fmas_f32 v38, v38, v40, v43
	v_div_fixup_f32 v40, v38, v39, 1.0
	v_xor_b32_e32 v38, 0x80000000, v40
	v_mul_f32_e64 v1, v1, -v40
.LBB17_17:
	s_or_b64 exec, exec, s[6:7]
	buffer_store_dword v1, v42, s[0:3], 0 offen offset:4
	buffer_store_dword v40, v42, s[0:3], 0 offen
	buffer_load_dword v41, off, s[0:3], 0 offset:12
	s_nop 0
	buffer_load_dword v40, off, s[0:3], 0 offset:8
	v_xor_b32_e32 v39, 0x80000000, v1
	v_add_u32_e32 v1, 0x90, v48
	s_waitcnt vmcnt(0)
	ds_write2_b64 v48, v[38:39], v[40:41] offset1:18
	s_waitcnt lgkmcnt(0)
	; wave barrier
	s_waitcnt lgkmcnt(0)
	s_and_saveexec_b64 s[6:7], s[4:5]
	s_cbranch_execz .LBB17_19
; %bb.18:
	buffer_load_dword v43, v42, s[0:3], 0 offen offset:4
	buffer_load_dword v44, v42, s[0:3], 0 offen
	ds_read_b64 v[38:39], v1
	v_mov_b32_e32 v40, 0
	ds_read_b64 v[40:41], v40 offset:8
	s_waitcnt vmcnt(1) lgkmcnt(1)
	v_mul_f32_e32 v45, v39, v43
	v_mul_f32_e32 v43, v38, v43
	s_waitcnt vmcnt(0)
	v_fmac_f32_e32 v43, v39, v44
	v_fma_f32 v38, v38, v44, -v45
	v_add_f32_e32 v39, 0, v43
	v_add_f32_e32 v38, 0, v38
	s_waitcnt lgkmcnt(0)
	v_mul_f32_e32 v43, v39, v41
	v_mul_f32_e32 v41, v38, v41
	v_fma_f32 v38, v38, v40, -v43
	v_fmac_f32_e32 v41, v39, v40
	buffer_store_dword v38, off, s[0:3], 0 offset:8
	buffer_store_dword v41, off, s[0:3], 0 offset:12
.LBB17_19:
	s_or_b64 exec, exec, s[6:7]
	s_waitcnt lgkmcnt(0)
	; wave barrier
	buffer_load_dword v38, off, s[0:3], 0 offset:16
	buffer_load_dword v39, off, s[0:3], 0 offset:20
	v_cmp_gt_u32_e32 vcc, 2, v0
	s_waitcnt vmcnt(0)
	ds_write_b64 v1, v[38:39]
	s_waitcnt lgkmcnt(0)
	; wave barrier
	s_waitcnt lgkmcnt(0)
	s_and_saveexec_b64 s[6:7], vcc
	s_cbranch_execz .LBB17_23
; %bb.20:
	buffer_load_dword v40, v42, s[0:3], 0 offen offset:4
	buffer_load_dword v41, v42, s[0:3], 0 offen
	ds_read_b64 v[38:39], v1
	s_waitcnt vmcnt(1) lgkmcnt(0)
	v_mul_f32_e32 v42, v39, v40
	v_mul_f32_e32 v40, v38, v40
	s_waitcnt vmcnt(0)
	v_fma_f32 v38, v38, v41, -v42
	v_fmac_f32_e32 v40, v39, v41
	v_add_f32_e32 v39, 0, v38
	v_add_f32_e32 v38, 0, v40
	s_and_saveexec_b64 s[12:13], s[4:5]
	s_cbranch_execz .LBB17_22
; %bb.21:
	buffer_load_dword v42, off, s[0:3], 0 offset:12
	buffer_load_dword v43, off, s[0:3], 0 offset:8
	v_mov_b32_e32 v40, 0
	ds_read_b64 v[40:41], v40 offset:152
	s_waitcnt vmcnt(1) lgkmcnt(0)
	v_mul_f32_e32 v44, v40, v42
	v_mul_f32_e32 v42, v41, v42
	s_waitcnt vmcnt(0)
	v_fmac_f32_e32 v44, v41, v43
	v_fma_f32 v40, v40, v43, -v42
	v_add_f32_e32 v38, v38, v44
	v_add_f32_e32 v39, v39, v40
.LBB17_22:
	s_or_b64 exec, exec, s[12:13]
	v_mov_b32_e32 v40, 0
	ds_read_b64 v[40:41], v40 offset:16
	s_waitcnt lgkmcnt(0)
	v_mul_f32_e32 v42, v38, v41
	v_mul_f32_e32 v41, v39, v41
	v_fma_f32 v39, v39, v40, -v42
	v_fmac_f32_e32 v41, v38, v40
	buffer_store_dword v39, off, s[0:3], 0 offset:16
	buffer_store_dword v41, off, s[0:3], 0 offset:20
.LBB17_23:
	s_or_b64 exec, exec, s[6:7]
	s_waitcnt lgkmcnt(0)
	; wave barrier
	buffer_load_dword v38, off, s[0:3], 0 offset:24
	buffer_load_dword v39, off, s[0:3], 0 offset:28
	v_cmp_gt_u32_e32 vcc, 3, v0
	s_waitcnt vmcnt(0)
	ds_write_b64 v1, v[38:39]
	v_add_u32_e32 v38, -1, v0
	s_waitcnt lgkmcnt(0)
	; wave barrier
	s_waitcnt lgkmcnt(0)
	s_and_saveexec_b64 s[4:5], vcc
	s_cbranch_execz .LBB17_27
; %bb.24:
	v_add_u32_e32 v40, -1, v0
	v_add_u32_e32 v41, 0x90, v48
	v_add_u32_e32 v42, 0, v48
	s_mov_b64 s[6:7], 0
	v_mov_b32_e32 v39, 0
	v_mov_b32_e32 v43, 0
.LBB17_25:                              ; =>This Inner Loop Header: Depth=1
	buffer_load_dword v46, v42, s[0:3], 0 offen offset:4
	buffer_load_dword v47, v42, s[0:3], 0 offen
	ds_read_b64 v[44:45], v41
	v_add_u32_e32 v40, 1, v40
	v_cmp_lt_u32_e32 vcc, 1, v40
	v_add_u32_e32 v41, 8, v41
	v_add_u32_e32 v42, 8, v42
	s_or_b64 s[6:7], vcc, s[6:7]
	s_waitcnt vmcnt(1) lgkmcnt(0)
	v_mul_f32_e32 v49, v45, v46
	v_mul_f32_e32 v46, v44, v46
	s_waitcnt vmcnt(0)
	v_fma_f32 v44, v44, v47, -v49
	v_fmac_f32_e32 v46, v45, v47
	v_add_f32_e32 v43, v43, v44
	v_add_f32_e32 v39, v39, v46
	s_andn2_b64 exec, exec, s[6:7]
	s_cbranch_execnz .LBB17_25
; %bb.26:
	s_or_b64 exec, exec, s[6:7]
	v_mov_b32_e32 v40, 0
	ds_read_b64 v[40:41], v40 offset:24
	s_waitcnt lgkmcnt(0)
	v_mul_f32_e32 v42, v39, v41
	v_mul_f32_e32 v41, v43, v41
	v_fma_f32 v42, v43, v40, -v42
	v_fmac_f32_e32 v41, v39, v40
	buffer_store_dword v42, off, s[0:3], 0 offset:24
	buffer_store_dword v41, off, s[0:3], 0 offset:28
.LBB17_27:
	s_or_b64 exec, exec, s[4:5]
	s_waitcnt lgkmcnt(0)
	; wave barrier
	buffer_load_dword v40, off, s[0:3], 0 offset:32
	buffer_load_dword v41, off, s[0:3], 0 offset:36
	v_cmp_gt_u32_e32 vcc, 4, v0
	s_waitcnt vmcnt(0)
	ds_write_b64 v1, v[40:41]
	s_waitcnt lgkmcnt(0)
	; wave barrier
	s_waitcnt lgkmcnt(0)
	s_and_saveexec_b64 s[4:5], vcc
	s_cbranch_execz .LBB17_31
; %bb.28:
	v_add_u32_e32 v40, -1, v0
	v_add_u32_e32 v41, 0x90, v48
	v_add_u32_e32 v42, 0, v48
	s_mov_b64 s[6:7], 0
	v_mov_b32_e32 v39, 0
	v_mov_b32_e32 v43, 0
.LBB17_29:                              ; =>This Inner Loop Header: Depth=1
	buffer_load_dword v46, v42, s[0:3], 0 offen offset:4
	buffer_load_dword v47, v42, s[0:3], 0 offen
	ds_read_b64 v[44:45], v41
	v_add_u32_e32 v40, 1, v40
	v_cmp_lt_u32_e32 vcc, 2, v40
	v_add_u32_e32 v41, 8, v41
	v_add_u32_e32 v42, 8, v42
	s_or_b64 s[6:7], vcc, s[6:7]
	s_waitcnt vmcnt(1) lgkmcnt(0)
	v_mul_f32_e32 v49, v45, v46
	v_mul_f32_e32 v46, v44, v46
	s_waitcnt vmcnt(0)
	v_fma_f32 v44, v44, v47, -v49
	v_fmac_f32_e32 v46, v45, v47
	v_add_f32_e32 v43, v43, v44
	v_add_f32_e32 v39, v39, v46
	s_andn2_b64 exec, exec, s[6:7]
	s_cbranch_execnz .LBB17_29
; %bb.30:
	s_or_b64 exec, exec, s[6:7]
	v_mov_b32_e32 v40, 0
	ds_read_b64 v[40:41], v40 offset:32
	s_waitcnt lgkmcnt(0)
	v_mul_f32_e32 v42, v39, v41
	v_mul_f32_e32 v41, v43, v41
	v_fma_f32 v42, v43, v40, -v42
	v_fmac_f32_e32 v41, v39, v40
	buffer_store_dword v42, off, s[0:3], 0 offset:32
	buffer_store_dword v41, off, s[0:3], 0 offset:36
.LBB17_31:
	s_or_b64 exec, exec, s[4:5]
	s_waitcnt lgkmcnt(0)
	; wave barrier
	buffer_load_dword v40, off, s[0:3], 0 offset:40
	buffer_load_dword v41, off, s[0:3], 0 offset:44
	v_cmp_gt_u32_e32 vcc, 5, v0
	s_waitcnt vmcnt(0)
	ds_write_b64 v1, v[40:41]
	;; [unrolled: 51-line block ×13, first 2 shown]
	s_waitcnt lgkmcnt(0)
	; wave barrier
	s_waitcnt lgkmcnt(0)
	s_and_saveexec_b64 s[4:5], vcc
	s_cbranch_execz .LBB17_79
; %bb.76:
	v_add_u32_e32 v40, -1, v0
	v_add_u32_e32 v41, 0x90, v48
	v_add_u32_e32 v42, 0, v48
	s_mov_b64 s[6:7], 0
	v_mov_b32_e32 v39, 0
	v_mov_b32_e32 v43, 0
.LBB17_77:                              ; =>This Inner Loop Header: Depth=1
	buffer_load_dword v46, v42, s[0:3], 0 offen offset:4
	buffer_load_dword v47, v42, s[0:3], 0 offen
	ds_read_b64 v[44:45], v41
	v_add_u32_e32 v40, 1, v40
	v_cmp_lt_u32_e32 vcc, 14, v40
	v_add_u32_e32 v41, 8, v41
	v_add_u32_e32 v42, 8, v42
	s_or_b64 s[6:7], vcc, s[6:7]
	s_waitcnt vmcnt(1) lgkmcnt(0)
	v_mul_f32_e32 v49, v45, v46
	v_mul_f32_e32 v46, v44, v46
	s_waitcnt vmcnt(0)
	v_fma_f32 v44, v44, v47, -v49
	v_fmac_f32_e32 v46, v45, v47
	v_add_f32_e32 v43, v43, v44
	v_add_f32_e32 v39, v39, v46
	s_andn2_b64 exec, exec, s[6:7]
	s_cbranch_execnz .LBB17_77
; %bb.78:
	s_or_b64 exec, exec, s[6:7]
	v_mov_b32_e32 v40, 0
	ds_read_b64 v[40:41], v40 offset:128
	s_waitcnt lgkmcnt(0)
	v_mul_f32_e32 v42, v39, v41
	v_mul_f32_e32 v41, v43, v41
	v_fma_f32 v42, v43, v40, -v42
	v_fmac_f32_e32 v41, v39, v40
	buffer_store_dword v42, off, s[0:3], 0 offset:128
	buffer_store_dword v41, off, s[0:3], 0 offset:132
.LBB17_79:
	s_or_b64 exec, exec, s[4:5]
	s_waitcnt lgkmcnt(0)
	; wave barrier
	buffer_load_dword v40, off, s[0:3], 0 offset:136
	buffer_load_dword v41, off, s[0:3], 0 offset:140
	v_cmp_ne_u32_e32 vcc, 17, v0
	s_waitcnt vmcnt(0)
	ds_write_b64 v1, v[40:41]
	s_waitcnt lgkmcnt(0)
	; wave barrier
	s_waitcnt lgkmcnt(0)
	s_and_saveexec_b64 s[4:5], vcc
	s_cbranch_execz .LBB17_83
; %bb.80:
	v_add_u32_e32 v39, 0x90, v48
	v_add_u32_e32 v40, 0, v48
	s_mov_b64 s[6:7], 0
	v_mov_b32_e32 v1, 0
	v_mov_b32_e32 v41, 0
.LBB17_81:                              ; =>This Inner Loop Header: Depth=1
	buffer_load_dword v44, v40, s[0:3], 0 offen offset:4
	buffer_load_dword v45, v40, s[0:3], 0 offen
	ds_read_b64 v[42:43], v39
	v_add_u32_e32 v38, 1, v38
	v_cmp_lt_u32_e32 vcc, 15, v38
	v_add_u32_e32 v39, 8, v39
	v_add_u32_e32 v40, 8, v40
	s_or_b64 s[6:7], vcc, s[6:7]
	s_waitcnt vmcnt(1) lgkmcnt(0)
	v_mul_f32_e32 v46, v43, v44
	v_mul_f32_e32 v44, v42, v44
	s_waitcnt vmcnt(0)
	v_fma_f32 v42, v42, v45, -v46
	v_fmac_f32_e32 v44, v43, v45
	v_add_f32_e32 v41, v41, v42
	v_add_f32_e32 v1, v1, v44
	s_andn2_b64 exec, exec, s[6:7]
	s_cbranch_execnz .LBB17_81
; %bb.82:
	s_or_b64 exec, exec, s[6:7]
	v_mov_b32_e32 v38, 0
	ds_read_b64 v[38:39], v38 offset:136
	s_waitcnt lgkmcnt(0)
	v_mul_f32_e32 v40, v1, v39
	v_mul_f32_e32 v39, v41, v39
	v_fma_f32 v40, v41, v38, -v40
	v_fmac_f32_e32 v39, v1, v38
	buffer_store_dword v40, off, s[0:3], 0 offset:136
	buffer_store_dword v39, off, s[0:3], 0 offset:140
.LBB17_83:
	s_or_b64 exec, exec, s[4:5]
	s_mov_b64 s[6:7], -1
	s_waitcnt lgkmcnt(0)
	; wave barrier
.LBB17_84:
	s_and_b64 vcc, exec, s[6:7]
	s_cbranch_vccz .LBB17_86
; %bb.85:
	s_lshl_b64 s[4:5], s[8:9], 2
	s_add_u32 s4, s14, s4
	s_addc_u32 s5, s15, s5
	v_mov_b32_e32 v1, 0
	global_load_dword v1, v1, s[4:5]
	s_waitcnt vmcnt(0)
	v_cmp_ne_u32_e32 vcc, 0, v1
	s_cbranch_vccz .LBB17_87
.LBB17_86:
	s_endpgm
.LBB17_87:
	v_mov_b32_e32 v1, 0x90
	v_lshl_add_u32 v1, v0, 3, v1
	v_cmp_eq_u32_e32 vcc, 17, v0
	s_and_saveexec_b64 s[4:5], vcc
	s_cbranch_execz .LBB17_89
; %bb.88:
	buffer_load_dword v38, off, s[0:3], 0 offset:128
	buffer_load_dword v39, off, s[0:3], 0 offset:132
	v_mov_b32_e32 v40, 0
	buffer_store_dword v40, off, s[0:3], 0 offset:128
	buffer_store_dword v40, off, s[0:3], 0 offset:132
	s_waitcnt vmcnt(2)
	ds_write_b64 v1, v[38:39]
.LBB17_89:
	s_or_b64 exec, exec, s[4:5]
	s_waitcnt lgkmcnt(0)
	; wave barrier
	s_waitcnt lgkmcnt(0)
	buffer_load_dword v41, off, s[0:3], 0 offset:140
	buffer_load_dword v40, off, s[0:3], 0 offset:136
	;; [unrolled: 1-line block ×4, first 2 shown]
	v_mov_b32_e32 v38, 0
	ds_read_b64 v[44:45], v38 offset:280
	v_cmp_lt_u32_e32 vcc, 15, v0
	s_waitcnt vmcnt(3)
	v_mov_b32_e32 v46, v41
	s_waitcnt lgkmcnt(0)
	v_pk_mul_f32 v[46:47], v[44:45], v[46:47] op_sel_hi:[1,0]
	s_waitcnt vmcnt(2)
	v_pk_fma_f32 v[48:49], v[44:45], v[40:41], v[46:47] op_sel:[0,0,1] op_sel_hi:[1,1,0] neg_lo:[0,0,1] neg_hi:[0,0,1]
	v_pk_fma_f32 v[40:41], v[44:45], v[40:41], v[46:47] op_sel:[0,0,1] op_sel_hi:[1,0,0]
	v_mov_b32_e32 v49, v41
	v_pk_add_f32 v[40:41], v[48:49], 0 op_sel_hi:[1,0]
	s_waitcnt vmcnt(0)
	v_pk_add_f32 v[40:41], v[42:43], v[40:41] neg_lo:[0,1] neg_hi:[0,1]
	buffer_store_dword v40, off, s[0:3], 0 offset:128
	buffer_store_dword v41, off, s[0:3], 0 offset:132
	s_and_saveexec_b64 s[4:5], vcc
	s_cbranch_execz .LBB17_91
; %bb.90:
	buffer_load_dword v40, off, s[0:3], 0 offset:120
	buffer_load_dword v41, off, s[0:3], 0 offset:124
	s_waitcnt vmcnt(0)
	ds_write_b64 v1, v[40:41]
	buffer_store_dword v38, off, s[0:3], 0 offset:120
	buffer_store_dword v38, off, s[0:3], 0 offset:124
.LBB17_91:
	s_or_b64 exec, exec, s[4:5]
	s_waitcnt lgkmcnt(0)
	; wave barrier
	s_waitcnt lgkmcnt(0)
	buffer_load_dword v43, off, s[0:3], 0 offset:132
	buffer_load_dword v45, off, s[0:3], 0 offset:140
	;; [unrolled: 1-line block ×6, first 2 shown]
	ds_read_b128 v[38:41], v38 offset:272
	v_cmp_lt_u32_e32 vcc, 14, v0
	s_waitcnt vmcnt(5)
	v_mov_b32_e32 v48, v43
	s_waitcnt vmcnt(4)
	v_mov_b32_e32 v50, v45
	s_waitcnt lgkmcnt(0)
	v_pk_mul_f32 v[48:49], v[38:39], v[48:49] op_sel_hi:[1,0]
	v_pk_mul_f32 v[50:51], v[40:41], v[50:51] op_sel_hi:[1,0]
	s_waitcnt vmcnt(3)
	v_pk_fma_f32 v[52:53], v[38:39], v[42:43], v[48:49] op_sel:[0,0,1] op_sel_hi:[1,1,0] neg_lo:[0,0,1] neg_hi:[0,0,1]
	v_pk_fma_f32 v[38:39], v[38:39], v[42:43], v[48:49] op_sel:[0,0,1] op_sel_hi:[1,0,0]
	s_waitcnt vmcnt(2)
	v_pk_fma_f32 v[42:43], v[40:41], v[44:45], v[50:51] op_sel:[0,0,1] op_sel_hi:[1,1,0] neg_lo:[0,0,1] neg_hi:[0,0,1]
	v_pk_fma_f32 v[40:41], v[40:41], v[44:45], v[50:51] op_sel:[0,0,1] op_sel_hi:[1,0,0]
	v_mov_b32_e32 v53, v39
	v_mov_b32_e32 v43, v41
	v_pk_add_f32 v[38:39], v[52:53], 0 op_sel_hi:[1,0]
	v_pk_add_f32 v[38:39], v[38:39], v[42:43]
	s_waitcnt vmcnt(0)
	v_pk_add_f32 v[38:39], v[46:47], v[38:39] neg_lo:[0,1] neg_hi:[0,1]
	buffer_store_dword v38, off, s[0:3], 0 offset:120
	buffer_store_dword v39, off, s[0:3], 0 offset:124
	s_and_saveexec_b64 s[4:5], vcc
	s_cbranch_execz .LBB17_93
; %bb.92:
	buffer_load_dword v38, off, s[0:3], 0 offset:112
	buffer_load_dword v39, off, s[0:3], 0 offset:116
	v_mov_b32_e32 v40, 0
	buffer_store_dword v40, off, s[0:3], 0 offset:112
	buffer_store_dword v40, off, s[0:3], 0 offset:116
	s_waitcnt vmcnt(2)
	ds_write_b64 v1, v[38:39]
.LBB17_93:
	s_or_b64 exec, exec, s[4:5]
	s_waitcnt lgkmcnt(0)
	; wave barrier
	s_waitcnt lgkmcnt(0)
	buffer_load_dword v45, off, s[0:3], 0 offset:124
	buffer_load_dword v47, off, s[0:3], 0 offset:132
	;; [unrolled: 1-line block ×8, first 2 shown]
	v_mov_b32_e32 v38, 0
	ds_read2_b64 v[40:43], v38 offset0:33 offset1:34
	ds_read_b64 v[52:53], v38 offset:280
	v_cmp_lt_u32_e32 vcc, 13, v0
	s_waitcnt vmcnt(7)
	v_mov_b32_e32 v54, v45
	s_waitcnt vmcnt(6)
	v_mov_b32_e32 v56, v47
	s_waitcnt lgkmcnt(1)
	v_pk_mul_f32 v[54:55], v[40:41], v[54:55] op_sel_hi:[1,0]
	s_waitcnt vmcnt(5)
	v_mov_b32_e32 v58, v49
	v_pk_mul_f32 v[56:57], v[42:43], v[56:57] op_sel_hi:[1,0]
	s_waitcnt vmcnt(4)
	v_pk_fma_f32 v[60:61], v[40:41], v[44:45], v[54:55] op_sel:[0,0,1] op_sel_hi:[1,1,0] neg_lo:[0,0,1] neg_hi:[0,0,1]
	v_pk_fma_f32 v[40:41], v[40:41], v[44:45], v[54:55] op_sel:[0,0,1] op_sel_hi:[1,0,0]
	s_waitcnt lgkmcnt(0)
	v_pk_mul_f32 v[58:59], v[52:53], v[58:59] op_sel_hi:[1,0]
	s_waitcnt vmcnt(3)
	v_pk_fma_f32 v[44:45], v[42:43], v[46:47], v[56:57] op_sel:[0,0,1] op_sel_hi:[1,1,0] neg_lo:[0,0,1] neg_hi:[0,0,1]
	v_pk_fma_f32 v[42:43], v[42:43], v[46:47], v[56:57] op_sel:[0,0,1] op_sel_hi:[1,0,0]
	v_mov_b32_e32 v61, v41
	s_waitcnt vmcnt(2)
	v_pk_fma_f32 v[46:47], v[52:53], v[48:49], v[58:59] op_sel:[0,0,1] op_sel_hi:[1,1,0] neg_lo:[0,0,1] neg_hi:[0,0,1]
	v_pk_fma_f32 v[48:49], v[52:53], v[48:49], v[58:59] op_sel:[0,0,1] op_sel_hi:[1,0,0]
	v_mov_b32_e32 v45, v43
	v_pk_add_f32 v[40:41], v[60:61], 0 op_sel_hi:[1,0]
	v_mov_b32_e32 v47, v49
	v_pk_add_f32 v[40:41], v[40:41], v[44:45]
	v_pk_add_f32 v[40:41], v[40:41], v[46:47]
	s_waitcnt vmcnt(0)
	v_pk_add_f32 v[40:41], v[50:51], v[40:41] neg_lo:[0,1] neg_hi:[0,1]
	buffer_store_dword v40, off, s[0:3], 0 offset:112
	buffer_store_dword v41, off, s[0:3], 0 offset:116
	s_and_saveexec_b64 s[4:5], vcc
	s_cbranch_execz .LBB17_95
; %bb.94:
	buffer_load_dword v40, off, s[0:3], 0 offset:104
	buffer_load_dword v41, off, s[0:3], 0 offset:108
	s_waitcnt vmcnt(0)
	ds_write_b64 v1, v[40:41]
	buffer_store_dword v38, off, s[0:3], 0 offset:104
	buffer_store_dword v38, off, s[0:3], 0 offset:108
.LBB17_95:
	s_or_b64 exec, exec, s[4:5]
	s_waitcnt lgkmcnt(0)
	; wave barrier
	s_waitcnt lgkmcnt(0)
	buffer_load_dword v49, off, s[0:3], 0 offset:116
	buffer_load_dword v51, off, s[0:3], 0 offset:124
	buffer_load_dword v53, off, s[0:3], 0 offset:132
	buffer_load_dword v55, off, s[0:3], 0 offset:140
	buffer_load_dword v48, off, s[0:3], 0 offset:112
	buffer_load_dword v50, off, s[0:3], 0 offset:120
	buffer_load_dword v52, off, s[0:3], 0 offset:128
	buffer_load_dword v54, off, s[0:3], 0 offset:136
	buffer_load_dword v56, off, s[0:3], 0 offset:104
	buffer_load_dword v57, off, s[0:3], 0 offset:108
	ds_read_b128 v[40:43], v38 offset:256
	ds_read_b128 v[44:47], v38 offset:272
	v_cmp_lt_u32_e32 vcc, 12, v0
	s_waitcnt vmcnt(9)
	v_mov_b32_e32 v38, v49
	s_waitcnt vmcnt(8)
	v_mov_b32_e32 v58, v51
	s_waitcnt lgkmcnt(1)
	v_pk_mul_f32 v[38:39], v[40:41], v[38:39] op_sel_hi:[1,0]
	s_waitcnt vmcnt(7)
	v_mov_b32_e32 v60, v53
	v_pk_mul_f32 v[58:59], v[42:43], v[58:59] op_sel_hi:[1,0]
	s_waitcnt vmcnt(5)
	v_pk_fma_f32 v[64:65], v[40:41], v[48:49], v[38:39] op_sel:[0,0,1] op_sel_hi:[1,1,0] neg_lo:[0,0,1] neg_hi:[0,0,1]
	v_pk_fma_f32 v[38:39], v[40:41], v[48:49], v[38:39] op_sel:[0,0,1] op_sel_hi:[1,0,0]
	v_mov_b32_e32 v62, v55
	s_waitcnt lgkmcnt(0)
	v_pk_mul_f32 v[60:61], v[44:45], v[60:61] op_sel_hi:[1,0]
	s_waitcnt vmcnt(4)
	v_pk_fma_f32 v[40:41], v[42:43], v[50:51], v[58:59] op_sel:[0,0,1] op_sel_hi:[1,1,0] neg_lo:[0,0,1] neg_hi:[0,0,1]
	v_pk_fma_f32 v[42:43], v[42:43], v[50:51], v[58:59] op_sel:[0,0,1] op_sel_hi:[1,0,0]
	v_mov_b32_e32 v65, v39
	v_pk_mul_f32 v[62:63], v[46:47], v[62:63] op_sel_hi:[1,0]
	s_waitcnt vmcnt(3)
	v_pk_fma_f32 v[48:49], v[44:45], v[52:53], v[60:61] op_sel:[0,0,1] op_sel_hi:[1,1,0] neg_lo:[0,0,1] neg_hi:[0,0,1]
	v_pk_fma_f32 v[44:45], v[44:45], v[52:53], v[60:61] op_sel:[0,0,1] op_sel_hi:[1,0,0]
	v_mov_b32_e32 v41, v43
	v_pk_add_f32 v[38:39], v[64:65], 0 op_sel_hi:[1,0]
	s_waitcnt vmcnt(2)
	v_pk_fma_f32 v[50:51], v[46:47], v[54:55], v[62:63] op_sel:[0,0,1] op_sel_hi:[1,1,0] neg_lo:[0,0,1] neg_hi:[0,0,1]
	v_pk_fma_f32 v[46:47], v[46:47], v[54:55], v[62:63] op_sel:[0,0,1] op_sel_hi:[1,0,0]
	v_mov_b32_e32 v49, v45
	v_pk_add_f32 v[38:39], v[38:39], v[40:41]
	v_mov_b32_e32 v51, v47
	v_pk_add_f32 v[38:39], v[38:39], v[48:49]
	v_pk_add_f32 v[38:39], v[38:39], v[50:51]
	s_waitcnt vmcnt(0)
	v_pk_add_f32 v[38:39], v[56:57], v[38:39] neg_lo:[0,1] neg_hi:[0,1]
	buffer_store_dword v38, off, s[0:3], 0 offset:104
	buffer_store_dword v39, off, s[0:3], 0 offset:108
	s_and_saveexec_b64 s[4:5], vcc
	s_cbranch_execz .LBB17_97
; %bb.96:
	buffer_load_dword v38, off, s[0:3], 0 offset:96
	buffer_load_dword v39, off, s[0:3], 0 offset:100
	v_mov_b32_e32 v40, 0
	buffer_store_dword v40, off, s[0:3], 0 offset:96
	buffer_store_dword v40, off, s[0:3], 0 offset:100
	s_waitcnt vmcnt(2)
	ds_write_b64 v1, v[38:39]
.LBB17_97:
	s_or_b64 exec, exec, s[4:5]
	s_waitcnt lgkmcnt(0)
	; wave barrier
	s_waitcnt lgkmcnt(0)
	buffer_load_dword v49, off, s[0:3], 0 offset:108
	buffer_load_dword v51, off, s[0:3], 0 offset:116
	;; [unrolled: 1-line block ×12, first 2 shown]
	v_mov_b32_e32 v38, 0
	ds_read2_b64 v[40:43], v38 offset0:31 offset1:32
	ds_read2_b64 v[44:47], v38 offset0:33 offset1:34
	ds_read_b64 v[60:61], v38 offset:280
	v_cmp_lt_u32_e32 vcc, 11, v0
	s_waitcnt vmcnt(11)
	v_mov_b32_e32 v62, v49
	s_waitcnt vmcnt(10)
	v_mov_b32_e32 v64, v51
	s_waitcnt lgkmcnt(2)
	v_pk_mul_f32 v[62:63], v[40:41], v[62:63] op_sel_hi:[1,0]
	s_waitcnt vmcnt(9)
	v_mov_b32_e32 v66, v53
	v_pk_mul_f32 v[64:65], v[42:43], v[64:65] op_sel_hi:[1,0]
	s_waitcnt vmcnt(6)
	v_pk_fma_f32 v[72:73], v[40:41], v[48:49], v[62:63] op_sel:[0,0,1] op_sel_hi:[1,1,0] neg_lo:[0,0,1] neg_hi:[0,0,1]
	v_pk_fma_f32 v[40:41], v[40:41], v[48:49], v[62:63] op_sel:[0,0,1] op_sel_hi:[1,0,0]
	v_mov_b32_e32 v68, v55
	s_waitcnt lgkmcnt(1)
	v_pk_mul_f32 v[66:67], v[44:45], v[66:67] op_sel_hi:[1,0]
	s_waitcnt vmcnt(5)
	v_pk_fma_f32 v[48:49], v[42:43], v[50:51], v[64:65] op_sel:[0,0,1] op_sel_hi:[1,1,0] neg_lo:[0,0,1] neg_hi:[0,0,1]
	v_pk_fma_f32 v[42:43], v[42:43], v[50:51], v[64:65] op_sel:[0,0,1] op_sel_hi:[1,0,0]
	v_mov_b32_e32 v73, v41
	v_mov_b32_e32 v70, v57
	v_pk_mul_f32 v[68:69], v[46:47], v[68:69] op_sel_hi:[1,0]
	s_waitcnt vmcnt(4)
	v_pk_fma_f32 v[50:51], v[44:45], v[52:53], v[66:67] op_sel:[0,0,1] op_sel_hi:[1,1,0] neg_lo:[0,0,1] neg_hi:[0,0,1]
	v_pk_fma_f32 v[44:45], v[44:45], v[52:53], v[66:67] op_sel:[0,0,1] op_sel_hi:[1,0,0]
	v_mov_b32_e32 v49, v43
	v_pk_add_f32 v[40:41], v[72:73], 0 op_sel_hi:[1,0]
	s_waitcnt lgkmcnt(0)
	v_pk_mul_f32 v[70:71], v[60:61], v[70:71] op_sel_hi:[1,0]
	s_waitcnt vmcnt(3)
	v_pk_fma_f32 v[52:53], v[46:47], v[54:55], v[68:69] op_sel:[0,0,1] op_sel_hi:[1,1,0] neg_lo:[0,0,1] neg_hi:[0,0,1]
	v_pk_fma_f32 v[46:47], v[46:47], v[54:55], v[68:69] op_sel:[0,0,1] op_sel_hi:[1,0,0]
	v_mov_b32_e32 v51, v45
	v_pk_add_f32 v[40:41], v[40:41], v[48:49]
	s_waitcnt vmcnt(2)
	v_pk_fma_f32 v[54:55], v[60:61], v[56:57], v[70:71] op_sel:[0,0,1] op_sel_hi:[1,1,0] neg_lo:[0,0,1] neg_hi:[0,0,1]
	v_pk_fma_f32 v[56:57], v[60:61], v[56:57], v[70:71] op_sel:[0,0,1] op_sel_hi:[1,0,0]
	v_mov_b32_e32 v53, v47
	v_pk_add_f32 v[40:41], v[40:41], v[50:51]
	v_mov_b32_e32 v55, v57
	v_pk_add_f32 v[40:41], v[40:41], v[52:53]
	v_pk_add_f32 v[40:41], v[40:41], v[54:55]
	s_waitcnt vmcnt(0)
	v_pk_add_f32 v[40:41], v[58:59], v[40:41] neg_lo:[0,1] neg_hi:[0,1]
	buffer_store_dword v40, off, s[0:3], 0 offset:96
	buffer_store_dword v41, off, s[0:3], 0 offset:100
	s_and_saveexec_b64 s[4:5], vcc
	s_cbranch_execz .LBB17_99
; %bb.98:
	buffer_load_dword v40, off, s[0:3], 0 offset:88
	buffer_load_dword v41, off, s[0:3], 0 offset:92
	s_waitcnt vmcnt(0)
	ds_write_b64 v1, v[40:41]
	buffer_store_dword v38, off, s[0:3], 0 offset:88
	buffer_store_dword v38, off, s[0:3], 0 offset:92
.LBB17_99:
	s_or_b64 exec, exec, s[4:5]
	s_waitcnt lgkmcnt(0)
	; wave barrier
	s_waitcnt lgkmcnt(0)
	buffer_load_dword v53, off, s[0:3], 0 offset:100
	buffer_load_dword v55, off, s[0:3], 0 offset:108
	;; [unrolled: 1-line block ×14, first 2 shown]
	ds_read_b128 v[40:43], v38 offset:240
	ds_read_b128 v[44:47], v38 offset:256
	ds_read_b128 v[48:51], v38 offset:272
	v_cmp_lt_u32_e32 vcc, 10, v0
	s_waitcnt vmcnt(13)
	v_mov_b32_e32 v38, v53
	s_waitcnt vmcnt(12)
	v_mov_b32_e32 v66, v55
	s_waitcnt lgkmcnt(2)
	v_pk_mul_f32 v[38:39], v[40:41], v[38:39] op_sel_hi:[1,0]
	s_waitcnt vmcnt(11)
	v_mov_b32_e32 v68, v57
	v_pk_mul_f32 v[66:67], v[42:43], v[66:67] op_sel_hi:[1,0]
	s_waitcnt vmcnt(10)
	v_mov_b32_e32 v70, v59
	s_waitcnt vmcnt(7)
	v_pk_fma_f32 v[76:77], v[40:41], v[52:53], v[38:39] op_sel:[0,0,1] op_sel_hi:[1,1,0] neg_lo:[0,0,1] neg_hi:[0,0,1]
	v_pk_fma_f32 v[38:39], v[40:41], v[52:53], v[38:39] op_sel:[0,0,1] op_sel_hi:[1,0,0]
	s_waitcnt lgkmcnt(1)
	v_pk_mul_f32 v[68:69], v[44:45], v[68:69] op_sel_hi:[1,0]
	s_waitcnt vmcnt(6)
	v_pk_fma_f32 v[40:41], v[42:43], v[54:55], v[66:67] op_sel:[0,0,1] op_sel_hi:[1,1,0] neg_lo:[0,0,1] neg_hi:[0,0,1]
	v_pk_fma_f32 v[42:43], v[42:43], v[54:55], v[66:67] op_sel:[0,0,1] op_sel_hi:[1,0,0]
	v_mov_b32_e32 v77, v39
	v_mov_b32_e32 v72, v61
	v_pk_mul_f32 v[70:71], v[46:47], v[70:71] op_sel_hi:[1,0]
	s_waitcnt vmcnt(5)
	v_pk_fma_f32 v[52:53], v[44:45], v[56:57], v[68:69] op_sel:[0,0,1] op_sel_hi:[1,1,0] neg_lo:[0,0,1] neg_hi:[0,0,1]
	v_pk_fma_f32 v[44:45], v[44:45], v[56:57], v[68:69] op_sel:[0,0,1] op_sel_hi:[1,0,0]
	v_mov_b32_e32 v41, v43
	v_pk_add_f32 v[38:39], v[76:77], 0 op_sel_hi:[1,0]
	v_mov_b32_e32 v74, v63
	s_waitcnt lgkmcnt(0)
	v_pk_mul_f32 v[72:73], v[48:49], v[72:73] op_sel_hi:[1,0]
	s_waitcnt vmcnt(4)
	v_pk_fma_f32 v[54:55], v[46:47], v[58:59], v[70:71] op_sel:[0,0,1] op_sel_hi:[1,1,0] neg_lo:[0,0,1] neg_hi:[0,0,1]
	v_pk_fma_f32 v[46:47], v[46:47], v[58:59], v[70:71] op_sel:[0,0,1] op_sel_hi:[1,0,0]
	v_mov_b32_e32 v53, v45
	v_pk_add_f32 v[38:39], v[38:39], v[40:41]
	v_pk_mul_f32 v[74:75], v[50:51], v[74:75] op_sel_hi:[1,0]
	s_waitcnt vmcnt(3)
	v_pk_fma_f32 v[56:57], v[48:49], v[60:61], v[72:73] op_sel:[0,0,1] op_sel_hi:[1,1,0] neg_lo:[0,0,1] neg_hi:[0,0,1]
	v_pk_fma_f32 v[48:49], v[48:49], v[60:61], v[72:73] op_sel:[0,0,1] op_sel_hi:[1,0,0]
	v_mov_b32_e32 v55, v47
	v_pk_add_f32 v[38:39], v[38:39], v[52:53]
	s_waitcnt vmcnt(2)
	v_pk_fma_f32 v[58:59], v[50:51], v[62:63], v[74:75] op_sel:[0,0,1] op_sel_hi:[1,1,0] neg_lo:[0,0,1] neg_hi:[0,0,1]
	v_pk_fma_f32 v[50:51], v[50:51], v[62:63], v[74:75] op_sel:[0,0,1] op_sel_hi:[1,0,0]
	v_mov_b32_e32 v57, v49
	v_pk_add_f32 v[38:39], v[38:39], v[54:55]
	v_mov_b32_e32 v59, v51
	v_pk_add_f32 v[38:39], v[38:39], v[56:57]
	v_pk_add_f32 v[38:39], v[38:39], v[58:59]
	s_waitcnt vmcnt(0)
	v_pk_add_f32 v[38:39], v[64:65], v[38:39] neg_lo:[0,1] neg_hi:[0,1]
	buffer_store_dword v38, off, s[0:3], 0 offset:88
	buffer_store_dword v39, off, s[0:3], 0 offset:92
	s_and_saveexec_b64 s[4:5], vcc
	s_cbranch_execz .LBB17_101
; %bb.100:
	buffer_load_dword v38, off, s[0:3], 0 offset:80
	buffer_load_dword v39, off, s[0:3], 0 offset:84
	v_mov_b32_e32 v40, 0
	buffer_store_dword v40, off, s[0:3], 0 offset:80
	buffer_store_dword v40, off, s[0:3], 0 offset:84
	s_waitcnt vmcnt(2)
	ds_write_b64 v1, v[38:39]
.LBB17_101:
	s_or_b64 exec, exec, s[4:5]
	s_waitcnt lgkmcnt(0)
	; wave barrier
	s_waitcnt lgkmcnt(0)
	buffer_load_dword v53, off, s[0:3], 0 offset:92
	buffer_load_dword v55, off, s[0:3], 0 offset:100
	;; [unrolled: 1-line block ×16, first 2 shown]
	v_mov_b32_e32 v38, 0
	ds_read2_b64 v[40:43], v38 offset0:29 offset1:30
	ds_read2_b64 v[44:47], v38 offset0:31 offset1:32
	;; [unrolled: 1-line block ×3, first 2 shown]
	ds_read_b64 v[68:69], v38 offset:280
	v_cmp_lt_u32_e32 vcc, 9, v0
	s_waitcnt vmcnt(15)
	v_mov_b32_e32 v70, v53
	s_waitcnt vmcnt(14)
	v_mov_b32_e32 v72, v55
	s_waitcnt lgkmcnt(3)
	v_pk_mul_f32 v[70:71], v[40:41], v[70:71] op_sel_hi:[1,0]
	s_waitcnt vmcnt(13)
	v_mov_b32_e32 v74, v57
	v_pk_mul_f32 v[72:73], v[42:43], v[72:73] op_sel_hi:[1,0]
	s_waitcnt vmcnt(12)
	v_mov_b32_e32 v76, v59
	s_waitcnt lgkmcnt(2)
	v_pk_mul_f32 v[74:75], v[44:45], v[74:75] op_sel_hi:[1,0]
	s_waitcnt vmcnt(8)
	v_pk_fma_f32 v[84:85], v[40:41], v[52:53], v[70:71] op_sel:[0,0,1] op_sel_hi:[1,1,0] neg_lo:[0,0,1] neg_hi:[0,0,1]
	v_pk_fma_f32 v[40:41], v[40:41], v[52:53], v[70:71] op_sel:[0,0,1] op_sel_hi:[1,0,0]
	s_waitcnt vmcnt(7)
	v_pk_fma_f32 v[52:53], v[42:43], v[54:55], v[72:73] op_sel:[0,0,1] op_sel_hi:[1,1,0] neg_lo:[0,0,1] neg_hi:[0,0,1]
	v_pk_fma_f32 v[42:43], v[42:43], v[54:55], v[72:73] op_sel:[0,0,1] op_sel_hi:[1,0,0]
	v_mov_b32_e32 v85, v41
	v_mov_b32_e32 v78, v61
	v_pk_mul_f32 v[76:77], v[46:47], v[76:77] op_sel_hi:[1,0]
	s_waitcnt vmcnt(6)
	v_pk_fma_f32 v[54:55], v[44:45], v[56:57], v[74:75] op_sel:[0,0,1] op_sel_hi:[1,1,0] neg_lo:[0,0,1] neg_hi:[0,0,1]
	v_pk_fma_f32 v[44:45], v[44:45], v[56:57], v[74:75] op_sel:[0,0,1] op_sel_hi:[1,0,0]
	v_mov_b32_e32 v53, v43
	v_pk_add_f32 v[40:41], v[84:85], 0 op_sel_hi:[1,0]
	v_mov_b32_e32 v80, v63
	s_waitcnt lgkmcnt(1)
	v_pk_mul_f32 v[78:79], v[48:49], v[78:79] op_sel_hi:[1,0]
	s_waitcnt vmcnt(5)
	v_pk_fma_f32 v[56:57], v[46:47], v[58:59], v[76:77] op_sel:[0,0,1] op_sel_hi:[1,1,0] neg_lo:[0,0,1] neg_hi:[0,0,1]
	v_pk_fma_f32 v[46:47], v[46:47], v[58:59], v[76:77] op_sel:[0,0,1] op_sel_hi:[1,0,0]
	v_mov_b32_e32 v55, v45
	v_pk_add_f32 v[40:41], v[40:41], v[52:53]
	v_mov_b32_e32 v82, v65
	v_pk_mul_f32 v[80:81], v[50:51], v[80:81] op_sel_hi:[1,0]
	s_waitcnt vmcnt(4)
	v_pk_fma_f32 v[58:59], v[48:49], v[60:61], v[78:79] op_sel:[0,0,1] op_sel_hi:[1,1,0] neg_lo:[0,0,1] neg_hi:[0,0,1]
	v_pk_fma_f32 v[48:49], v[48:49], v[60:61], v[78:79] op_sel:[0,0,1] op_sel_hi:[1,0,0]
	v_mov_b32_e32 v57, v47
	v_pk_add_f32 v[40:41], v[40:41], v[54:55]
	s_waitcnt lgkmcnt(0)
	v_pk_mul_f32 v[82:83], v[68:69], v[82:83] op_sel_hi:[1,0]
	s_waitcnt vmcnt(3)
	v_pk_fma_f32 v[60:61], v[50:51], v[62:63], v[80:81] op_sel:[0,0,1] op_sel_hi:[1,1,0] neg_lo:[0,0,1] neg_hi:[0,0,1]
	v_pk_fma_f32 v[50:51], v[50:51], v[62:63], v[80:81] op_sel:[0,0,1] op_sel_hi:[1,0,0]
	v_mov_b32_e32 v59, v49
	v_pk_add_f32 v[40:41], v[40:41], v[56:57]
	s_waitcnt vmcnt(2)
	v_pk_fma_f32 v[62:63], v[68:69], v[64:65], v[82:83] op_sel:[0,0,1] op_sel_hi:[1,1,0] neg_lo:[0,0,1] neg_hi:[0,0,1]
	v_pk_fma_f32 v[64:65], v[68:69], v[64:65], v[82:83] op_sel:[0,0,1] op_sel_hi:[1,0,0]
	v_mov_b32_e32 v61, v51
	v_pk_add_f32 v[40:41], v[40:41], v[58:59]
	v_mov_b32_e32 v63, v65
	v_pk_add_f32 v[40:41], v[40:41], v[60:61]
	v_pk_add_f32 v[40:41], v[40:41], v[62:63]
	s_waitcnt vmcnt(0)
	v_pk_add_f32 v[40:41], v[66:67], v[40:41] neg_lo:[0,1] neg_hi:[0,1]
	buffer_store_dword v40, off, s[0:3], 0 offset:80
	buffer_store_dword v41, off, s[0:3], 0 offset:84
	s_and_saveexec_b64 s[4:5], vcc
	s_cbranch_execz .LBB17_103
; %bb.102:
	buffer_load_dword v40, off, s[0:3], 0 offset:72
	buffer_load_dword v41, off, s[0:3], 0 offset:76
	s_waitcnt vmcnt(0)
	ds_write_b64 v1, v[40:41]
	buffer_store_dword v38, off, s[0:3], 0 offset:72
	buffer_store_dword v38, off, s[0:3], 0 offset:76
.LBB17_103:
	s_or_b64 exec, exec, s[4:5]
	s_waitcnt lgkmcnt(0)
	; wave barrier
	s_waitcnt lgkmcnt(0)
	buffer_load_dword v57, off, s[0:3], 0 offset:84
	buffer_load_dword v59, off, s[0:3], 0 offset:92
	;; [unrolled: 1-line block ×18, first 2 shown]
	ds_read_b128 v[40:43], v38 offset:224
	ds_read_b128 v[44:47], v38 offset:240
	;; [unrolled: 1-line block ×4, first 2 shown]
	v_cmp_lt_u32_e32 vcc, 8, v0
	s_waitcnt vmcnt(17)
	v_mov_b32_e32 v38, v57
	s_waitcnt vmcnt(16)
	v_mov_b32_e32 v74, v59
	s_waitcnt lgkmcnt(3)
	v_pk_mul_f32 v[38:39], v[40:41], v[38:39] op_sel_hi:[1,0]
	s_waitcnt vmcnt(15)
	v_mov_b32_e32 v76, v61
	v_pk_mul_f32 v[74:75], v[42:43], v[74:75] op_sel_hi:[1,0]
	s_waitcnt vmcnt(14)
	v_mov_b32_e32 v78, v63
	s_waitcnt lgkmcnt(2)
	v_pk_mul_f32 v[76:77], v[44:45], v[76:77] op_sel_hi:[1,0]
	s_waitcnt vmcnt(13)
	v_mov_b32_e32 v80, v65
	s_waitcnt vmcnt(9)
	v_pk_fma_f32 v[88:89], v[40:41], v[56:57], v[38:39] op_sel:[0,0,1] op_sel_hi:[1,1,0] neg_lo:[0,0,1] neg_hi:[0,0,1]
	v_pk_fma_f32 v[38:39], v[40:41], v[56:57], v[38:39] op_sel:[0,0,1] op_sel_hi:[1,0,0]
	s_waitcnt vmcnt(8)
	v_pk_fma_f32 v[40:41], v[42:43], v[58:59], v[74:75] op_sel:[0,0,1] op_sel_hi:[1,1,0] neg_lo:[0,0,1] neg_hi:[0,0,1]
	v_pk_fma_f32 v[42:43], v[42:43], v[58:59], v[74:75] op_sel:[0,0,1] op_sel_hi:[1,0,0]
	v_mov_b32_e32 v89, v39
	v_pk_mul_f32 v[78:79], v[46:47], v[78:79] op_sel_hi:[1,0]
	s_waitcnt vmcnt(7)
	v_pk_fma_f32 v[56:57], v[44:45], v[60:61], v[76:77] op_sel:[0,0,1] op_sel_hi:[1,1,0] neg_lo:[0,0,1] neg_hi:[0,0,1]
	v_pk_fma_f32 v[44:45], v[44:45], v[60:61], v[76:77] op_sel:[0,0,1] op_sel_hi:[1,0,0]
	v_mov_b32_e32 v41, v43
	v_pk_add_f32 v[38:39], v[88:89], 0 op_sel_hi:[1,0]
	v_mov_b32_e32 v82, v67
	s_waitcnt lgkmcnt(1)
	v_pk_mul_f32 v[80:81], v[48:49], v[80:81] op_sel_hi:[1,0]
	s_waitcnt vmcnt(6)
	v_pk_fma_f32 v[58:59], v[46:47], v[62:63], v[78:79] op_sel:[0,0,1] op_sel_hi:[1,1,0] neg_lo:[0,0,1] neg_hi:[0,0,1]
	v_pk_fma_f32 v[46:47], v[46:47], v[62:63], v[78:79] op_sel:[0,0,1] op_sel_hi:[1,0,0]
	v_mov_b32_e32 v57, v45
	v_pk_add_f32 v[38:39], v[38:39], v[40:41]
	v_mov_b32_e32 v84, v69
	v_pk_mul_f32 v[82:83], v[50:51], v[82:83] op_sel_hi:[1,0]
	s_waitcnt vmcnt(5)
	v_pk_fma_f32 v[60:61], v[48:49], v[64:65], v[80:81] op_sel:[0,0,1] op_sel_hi:[1,1,0] neg_lo:[0,0,1] neg_hi:[0,0,1]
	v_pk_fma_f32 v[48:49], v[48:49], v[64:65], v[80:81] op_sel:[0,0,1] op_sel_hi:[1,0,0]
	v_mov_b32_e32 v59, v47
	v_pk_add_f32 v[38:39], v[38:39], v[56:57]
	v_mov_b32_e32 v86, v71
	s_waitcnt lgkmcnt(0)
	v_pk_mul_f32 v[84:85], v[52:53], v[84:85] op_sel_hi:[1,0]
	s_waitcnt vmcnt(4)
	v_pk_fma_f32 v[62:63], v[50:51], v[66:67], v[82:83] op_sel:[0,0,1] op_sel_hi:[1,1,0] neg_lo:[0,0,1] neg_hi:[0,0,1]
	v_pk_fma_f32 v[50:51], v[50:51], v[66:67], v[82:83] op_sel:[0,0,1] op_sel_hi:[1,0,0]
	v_mov_b32_e32 v61, v49
	v_pk_add_f32 v[38:39], v[38:39], v[58:59]
	v_pk_mul_f32 v[86:87], v[54:55], v[86:87] op_sel_hi:[1,0]
	s_waitcnt vmcnt(3)
	v_pk_fma_f32 v[64:65], v[52:53], v[68:69], v[84:85] op_sel:[0,0,1] op_sel_hi:[1,1,0] neg_lo:[0,0,1] neg_hi:[0,0,1]
	v_pk_fma_f32 v[52:53], v[52:53], v[68:69], v[84:85] op_sel:[0,0,1] op_sel_hi:[1,0,0]
	v_mov_b32_e32 v63, v51
	v_pk_add_f32 v[38:39], v[38:39], v[60:61]
	s_waitcnt vmcnt(2)
	v_pk_fma_f32 v[66:67], v[54:55], v[70:71], v[86:87] op_sel:[0,0,1] op_sel_hi:[1,1,0] neg_lo:[0,0,1] neg_hi:[0,0,1]
	v_pk_fma_f32 v[54:55], v[54:55], v[70:71], v[86:87] op_sel:[0,0,1] op_sel_hi:[1,0,0]
	v_mov_b32_e32 v65, v53
	v_pk_add_f32 v[38:39], v[38:39], v[62:63]
	v_mov_b32_e32 v67, v55
	v_pk_add_f32 v[38:39], v[38:39], v[64:65]
	v_pk_add_f32 v[38:39], v[38:39], v[66:67]
	s_waitcnt vmcnt(0)
	v_pk_add_f32 v[38:39], v[72:73], v[38:39] neg_lo:[0,1] neg_hi:[0,1]
	buffer_store_dword v38, off, s[0:3], 0 offset:72
	buffer_store_dword v39, off, s[0:3], 0 offset:76
	s_and_saveexec_b64 s[4:5], vcc
	s_cbranch_execz .LBB17_105
; %bb.104:
	buffer_load_dword v38, off, s[0:3], 0 offset:64
	buffer_load_dword v39, off, s[0:3], 0 offset:68
	v_mov_b32_e32 v40, 0
	buffer_store_dword v40, off, s[0:3], 0 offset:64
	buffer_store_dword v40, off, s[0:3], 0 offset:68
	s_waitcnt vmcnt(2)
	ds_write_b64 v1, v[38:39]
.LBB17_105:
	s_or_b64 exec, exec, s[4:5]
	s_waitcnt lgkmcnt(0)
	; wave barrier
	s_waitcnt lgkmcnt(0)
	buffer_load_dword v39, off, s[0:3], 0 offset:76
	buffer_load_dword v57, off, s[0:3], 0 offset:84
	;; [unrolled: 1-line block ×20, first 2 shown]
	v_mov_b32_e32 v38, 0
	ds_read2_b64 v[40:43], v38 offset0:27 offset1:28
	ds_read2_b64 v[44:47], v38 offset0:29 offset1:30
	;; [unrolled: 1-line block ×4, first 2 shown]
	ds_read_b64 v[74:75], v38 offset:280
	v_cmp_lt_u32_e32 vcc, 7, v0
	s_waitcnt vmcnt(19) lgkmcnt(4)
	v_mul_f32_e32 v77, v40, v39
	v_mul_f32_e32 v39, v41, v39
	s_waitcnt vmcnt(18)
	v_mov_b32_e32 v78, v57
	s_waitcnt vmcnt(17)
	v_mov_b32_e32 v80, v59
	;; [unrolled: 2-line block ×8, first 2 shown]
	s_waitcnt vmcnt(10)
	v_fmac_f32_e32 v77, v41, v76
	v_fma_f32 v76, v40, v76, -v39
	v_pk_mul_f32 v[40:41], v[42:43], v[78:79] op_sel_hi:[1,0]
	s_waitcnt lgkmcnt(3)
	v_pk_mul_f32 v[78:79], v[44:45], v[80:81] op_sel_hi:[1,0]
	v_pk_mul_f32 v[80:81], v[46:47], v[82:83] op_sel_hi:[1,0]
	s_waitcnt lgkmcnt(2)
	v_pk_mul_f32 v[82:83], v[48:49], v[84:85] op_sel_hi:[1,0]
	;; [unrolled: 3-line block ×4, first 2 shown]
	s_waitcnt vmcnt(9)
	v_pk_fma_f32 v[92:93], v[42:43], v[56:57], v[40:41] op_sel:[0,0,1] op_sel_hi:[1,1,0] neg_lo:[0,0,1] neg_hi:[0,0,1]
	v_pk_fma_f32 v[40:41], v[42:43], v[56:57], v[40:41] op_sel:[0,0,1] op_sel_hi:[1,0,0]
	v_pk_add_f32 v[76:77], v[76:77], 0 op_sel_hi:[1,0]
	s_waitcnt vmcnt(8)
	v_pk_fma_f32 v[42:43], v[44:45], v[58:59], v[78:79] op_sel:[0,0,1] op_sel_hi:[1,1,0] neg_lo:[0,0,1] neg_hi:[0,0,1]
	v_pk_fma_f32 v[44:45], v[44:45], v[58:59], v[78:79] op_sel:[0,0,1] op_sel_hi:[1,0,0]
	v_mov_b32_e32 v93, v41
	s_waitcnt vmcnt(7)
	v_pk_fma_f32 v[56:57], v[46:47], v[60:61], v[80:81] op_sel:[0,0,1] op_sel_hi:[1,1,0] neg_lo:[0,0,1] neg_hi:[0,0,1]
	v_pk_fma_f32 v[46:47], v[46:47], v[60:61], v[80:81] op_sel:[0,0,1] op_sel_hi:[1,0,0]
	v_mov_b32_e32 v43, v45
	v_pk_add_f32 v[40:41], v[76:77], v[92:93]
	s_waitcnt vmcnt(6)
	v_pk_fma_f32 v[58:59], v[48:49], v[62:63], v[82:83] op_sel:[0,0,1] op_sel_hi:[1,1,0] neg_lo:[0,0,1] neg_hi:[0,0,1]
	v_pk_fma_f32 v[48:49], v[48:49], v[62:63], v[82:83] op_sel:[0,0,1] op_sel_hi:[1,0,0]
	v_mov_b32_e32 v57, v47
	v_pk_add_f32 v[40:41], v[40:41], v[42:43]
	;; [unrolled: 5-line block ×5, first 2 shown]
	v_pk_fma_f32 v[66:67], v[74:75], v[70:71], v[90:91] op_sel:[0,0,1] op_sel_hi:[1,1,0] neg_lo:[0,0,1] neg_hi:[0,0,1]
	v_pk_fma_f32 v[68:69], v[74:75], v[70:71], v[90:91] op_sel:[0,0,1] op_sel_hi:[1,0,0]
	v_mov_b32_e32 v65, v55
	v_pk_add_f32 v[40:41], v[40:41], v[62:63]
	v_mov_b32_e32 v67, v69
	v_pk_add_f32 v[40:41], v[40:41], v[64:65]
	v_pk_add_f32 v[40:41], v[40:41], v[66:67]
	s_waitcnt vmcnt(0)
	v_pk_add_f32 v[40:41], v[72:73], v[40:41] neg_lo:[0,1] neg_hi:[0,1]
	buffer_store_dword v40, off, s[0:3], 0 offset:64
	buffer_store_dword v41, off, s[0:3], 0 offset:68
	s_and_saveexec_b64 s[4:5], vcc
	s_cbranch_execz .LBB17_107
; %bb.106:
	buffer_load_dword v40, off, s[0:3], 0 offset:56
	buffer_load_dword v41, off, s[0:3], 0 offset:60
	s_waitcnt vmcnt(0)
	ds_write_b64 v1, v[40:41]
	buffer_store_dword v38, off, s[0:3], 0 offset:56
	buffer_store_dword v38, off, s[0:3], 0 offset:60
.LBB17_107:
	s_or_b64 exec, exec, s[4:5]
	s_waitcnt lgkmcnt(0)
	; wave barrier
	s_waitcnt lgkmcnt(0)
	buffer_load_dword v78, off, s[0:3], 0 offset:68
	buffer_load_dword v80, off, s[0:3], 0 offset:76
	;; [unrolled: 1-line block ×22, first 2 shown]
	ds_read_b128 v[40:43], v38 offset:208
	ds_read_b128 v[44:47], v38 offset:224
	;; [unrolled: 1-line block ×5, first 2 shown]
	v_cmp_lt_u32_e32 vcc, 6, v0
	s_waitcnt vmcnt(21) lgkmcnt(4)
	v_mul_f32_e32 v39, v40, v78
	s_waitcnt vmcnt(20)
	v_mul_f32_e32 v79, v42, v80
	v_mul_f32_e32 v38, v41, v78
	;; [unrolled: 1-line block ×3, first 2 shown]
	s_waitcnt vmcnt(19)
	v_mov_b32_e32 v80, v61
	s_waitcnt vmcnt(18)
	v_mov_b32_e32 v82, v63
	;; [unrolled: 2-line block ×5, first 2 shown]
	v_mov_b32_e32 v86, v67
	s_waitcnt vmcnt(11)
	v_fmac_f32_e32 v39, v41, v81
	v_fma_f32 v38, v40, v81, -v38
	s_waitcnt lgkmcnt(3)
	v_pk_mul_f32 v[40:41], v[44:45], v[80:81] op_sel_hi:[1,0]
	s_waitcnt vmcnt(10)
	v_fmac_f32_e32 v79, v43, v83
	v_fma_f32 v78, v42, v83, -v78
	v_pk_mul_f32 v[42:43], v[46:47], v[82:83] op_sel_hi:[1,0]
	s_waitcnt lgkmcnt(2)
	v_pk_mul_f32 v[80:81], v[48:49], v[84:85] op_sel_hi:[1,0]
	s_waitcnt lgkmcnt(1)
	;; [unrolled: 2-line block ×3, first 2 shown]
	v_pk_mul_f32 v[88:89], v[56:57], v[92:93] op_sel_hi:[1,0]
	v_pk_add_f32 v[38:39], v[38:39], 0 op_sel_hi:[1,0]
	s_waitcnt vmcnt(9)
	v_pk_fma_f32 v[92:93], v[44:45], v[60:61], v[40:41] op_sel:[0,0,1] op_sel_hi:[1,1,0] neg_lo:[0,0,1] neg_hi:[0,0,1]
	v_pk_fma_f32 v[40:41], v[44:45], v[60:61], v[40:41] op_sel:[0,0,1] op_sel_hi:[1,0,0]
	s_waitcnt vmcnt(8)
	v_pk_fma_f32 v[44:45], v[46:47], v[62:63], v[42:43] op_sel:[0,0,1] op_sel_hi:[1,1,0] neg_lo:[0,0,1] neg_hi:[0,0,1]
	v_pk_fma_f32 v[42:43], v[46:47], v[62:63], v[42:43] op_sel:[0,0,1] op_sel_hi:[1,0,0]
	v_pk_add_f32 v[38:39], v[38:39], v[78:79]
	v_mov_b32_e32 v93, v41
	v_pk_mul_f32 v[82:83], v[50:51], v[86:87] op_sel_hi:[1,0]
	s_waitcnt vmcnt(7)
	v_pk_fma_f32 v[46:47], v[48:49], v[64:65], v[80:81] op_sel:[0,0,1] op_sel_hi:[1,1,0] neg_lo:[0,0,1] neg_hi:[0,0,1]
	v_pk_fma_f32 v[48:49], v[48:49], v[64:65], v[80:81] op_sel:[0,0,1] op_sel_hi:[1,0,0]
	v_mov_b32_e32 v45, v43
	v_pk_add_f32 v[38:39], v[38:39], v[92:93]
	v_mov_b32_e32 v90, v71
	s_waitcnt vmcnt(6)
	v_pk_fma_f32 v[60:61], v[50:51], v[66:67], v[82:83] op_sel:[0,0,1] op_sel_hi:[1,1,0] neg_lo:[0,0,1] neg_hi:[0,0,1]
	v_pk_fma_f32 v[50:51], v[50:51], v[66:67], v[82:83] op_sel:[0,0,1] op_sel_hi:[1,0,0]
	v_mov_b32_e32 v47, v49
	v_pk_add_f32 v[38:39], v[38:39], v[44:45]
	v_pk_mul_f32 v[86:87], v[54:55], v[90:91] op_sel_hi:[1,0]
	s_waitcnt vmcnt(5)
	v_pk_fma_f32 v[62:63], v[52:53], v[68:69], v[84:85] op_sel:[0,0,1] op_sel_hi:[1,1,0] neg_lo:[0,0,1] neg_hi:[0,0,1]
	v_pk_fma_f32 v[52:53], v[52:53], v[68:69], v[84:85] op_sel:[0,0,1] op_sel_hi:[1,0,0]
	v_mov_b32_e32 v61, v51
	v_pk_add_f32 v[38:39], v[38:39], v[46:47]
	v_mov_b32_e32 v94, v75
	s_waitcnt vmcnt(2)
	v_pk_fma_f32 v[64:65], v[54:55], v[70:71], v[86:87] op_sel:[0,0,1] op_sel_hi:[1,1,0] neg_lo:[0,0,1] neg_hi:[0,0,1]
	v_pk_fma_f32 v[54:55], v[54:55], v[70:71], v[86:87] op_sel:[0,0,1] op_sel_hi:[1,0,0]
	v_mov_b32_e32 v63, v53
	v_pk_add_f32 v[38:39], v[38:39], v[60:61]
	v_pk_mul_f32 v[90:91], v[58:59], v[94:95] op_sel_hi:[1,0]
	v_pk_fma_f32 v[66:67], v[56:57], v[72:73], v[88:89] op_sel:[0,0,1] op_sel_hi:[1,1,0] neg_lo:[0,0,1] neg_hi:[0,0,1]
	v_pk_fma_f32 v[56:57], v[56:57], v[72:73], v[88:89] op_sel:[0,0,1] op_sel_hi:[1,0,0]
	v_mov_b32_e32 v65, v55
	v_pk_add_f32 v[38:39], v[38:39], v[62:63]
	v_pk_fma_f32 v[68:69], v[58:59], v[74:75], v[90:91] op_sel:[0,0,1] op_sel_hi:[1,1,0] neg_lo:[0,0,1] neg_hi:[0,0,1]
	v_pk_fma_f32 v[58:59], v[58:59], v[74:75], v[90:91] op_sel:[0,0,1] op_sel_hi:[1,0,0]
	v_mov_b32_e32 v67, v57
	v_pk_add_f32 v[38:39], v[38:39], v[64:65]
	v_mov_b32_e32 v69, v59
	v_pk_add_f32 v[38:39], v[38:39], v[66:67]
	v_pk_add_f32 v[38:39], v[38:39], v[68:69]
	s_waitcnt vmcnt(0)
	v_pk_add_f32 v[38:39], v[76:77], v[38:39] neg_lo:[0,1] neg_hi:[0,1]
	buffer_store_dword v38, off, s[0:3], 0 offset:56
	buffer_store_dword v39, off, s[0:3], 0 offset:60
	s_and_saveexec_b64 s[4:5], vcc
	s_cbranch_execz .LBB17_109
; %bb.108:
	buffer_load_dword v38, off, s[0:3], 0 offset:48
	buffer_load_dword v39, off, s[0:3], 0 offset:52
	v_mov_b32_e32 v40, 0
	buffer_store_dword v40, off, s[0:3], 0 offset:48
	buffer_store_dword v40, off, s[0:3], 0 offset:52
	s_waitcnt vmcnt(2)
	ds_write_b64 v1, v[38:39]
.LBB17_109:
	s_or_b64 exec, exec, s[4:5]
	s_waitcnt lgkmcnt(0)
	; wave barrier
	s_waitcnt lgkmcnt(0)
	buffer_load_dword v39, off, s[0:3], 0 offset:60
	buffer_load_dword v80, off, s[0:3], 0 offset:68
	;; [unrolled: 1-line block ×24, first 2 shown]
	v_mov_b32_e32 v38, 0
	ds_read2_b64 v[40:43], v38 offset0:25 offset1:26
	ds_read2_b64 v[44:47], v38 offset0:27 offset1:28
	ds_read2_b64 v[48:51], v38 offset0:29 offset1:30
	ds_read2_b64 v[52:55], v38 offset0:31 offset1:32
	ds_read2_b64 v[56:59], v38 offset0:33 offset1:34
	ds_read_b64 v[78:79], v38 offset:280
	v_cmp_lt_u32_e32 vcc, 5, v0
	s_waitcnt vmcnt(23) lgkmcnt(5)
	v_mul_f32_e32 v93, v40, v39
	v_mul_f32_e32 v39, v41, v39
	s_waitcnt vmcnt(22)
	v_mul_f32_e32 v81, v42, v80
	s_waitcnt vmcnt(21) lgkmcnt(4)
	v_mul_f32_e32 v83, v44, v82
	v_mul_f32_e32 v80, v43, v80
	;; [unrolled: 1-line block ×3, first 2 shown]
	s_waitcnt vmcnt(20)
	v_mov_b32_e32 v84, v61
	s_waitcnt vmcnt(19)
	v_mov_b32_e32 v86, v63
	;; [unrolled: 2-line block ×5, first 2 shown]
	s_waitcnt vmcnt(12)
	v_fmac_f32_e32 v93, v41, v85
	v_fma_f32 v39, v40, v85, -v39
	v_mov_b32_e32 v94, v71
	s_waitcnt vmcnt(11)
	v_fmac_f32_e32 v81, v43, v87
	s_waitcnt vmcnt(10)
	v_fmac_f32_e32 v83, v45, v89
	v_fma_f32 v80, v42, v87, -v80
	v_fma_f32 v82, v44, v89, -v82
	v_pk_mul_f32 v[40:41], v[46:47], v[84:85] op_sel_hi:[1,0]
	s_waitcnt lgkmcnt(3)
	v_pk_mul_f32 v[42:43], v[48:49], v[86:87] op_sel_hi:[1,0]
	v_pk_mul_f32 v[44:45], v[50:51], v[88:89] op_sel_hi:[1,0]
	s_waitcnt lgkmcnt(2)
	v_pk_mul_f32 v[84:85], v[52:53], v[90:91] op_sel_hi:[1,0]
	v_pk_mul_f32 v[86:87], v[54:55], v[92:93] op_sel_hi:[1,0]
	v_add_f32_e32 v93, 0, v93
	v_add_f32_e32 v92, 0, v39
	s_waitcnt lgkmcnt(1)
	v_pk_mul_f32 v[88:89], v[56:57], v[94:95] op_sel_hi:[1,0]
	s_waitcnt vmcnt(9)
	v_pk_fma_f32 v[94:95], v[46:47], v[60:61], v[40:41] op_sel:[0,0,1] op_sel_hi:[1,1,0] neg_lo:[0,0,1] neg_hi:[0,0,1]
	v_pk_fma_f32 v[40:41], v[46:47], v[60:61], v[40:41] op_sel:[0,0,1] op_sel_hi:[1,0,0]
	s_waitcnt vmcnt(8)
	v_pk_fma_f32 v[46:47], v[48:49], v[62:63], v[42:43] op_sel:[0,0,1] op_sel_hi:[1,1,0] neg_lo:[0,0,1] neg_hi:[0,0,1]
	v_pk_fma_f32 v[42:43], v[48:49], v[62:63], v[42:43] op_sel:[0,0,1] op_sel_hi:[1,0,0]
	s_waitcnt vmcnt(7)
	v_pk_fma_f32 v[48:49], v[50:51], v[64:65], v[44:45] op_sel:[0,0,1] op_sel_hi:[1,1,0] neg_lo:[0,0,1] neg_hi:[0,0,1]
	v_pk_fma_f32 v[44:45], v[50:51], v[64:65], v[44:45] op_sel:[0,0,1] op_sel_hi:[1,0,0]
	s_waitcnt vmcnt(6)
	v_pk_fma_f32 v[50:51], v[52:53], v[66:67], v[84:85] op_sel:[0,0,1] op_sel_hi:[1,1,0] neg_lo:[0,0,1] neg_hi:[0,0,1]
	v_pk_fma_f32 v[52:53], v[52:53], v[66:67], v[84:85] op_sel:[0,0,1] op_sel_hi:[1,0,0]
	v_pk_add_f32 v[66:67], v[92:93], v[80:81]
	v_mov_b32_e32 v95, v41
	v_pk_add_f32 v[40:41], v[66:67], v[82:83]
	v_mov_b32_e32 v47, v43
	;; [unrolled: 2-line block ×4, first 2 shown]
	s_waitcnt vmcnt(2)
	v_pk_fma_f32 v[60:61], v[54:55], v[68:69], v[86:87] op_sel:[0,0,1] op_sel_hi:[1,1,0] neg_lo:[0,0,1] neg_hi:[0,0,1]
	v_pk_fma_f32 v[54:55], v[54:55], v[68:69], v[86:87] op_sel:[0,0,1] op_sel_hi:[1,0,0]
	v_mov_b32_e32 v51, v53
	v_pk_add_f32 v[40:41], v[40:41], v[48:49]
	v_mov_b32_e32 v98, v75
	v_pk_mul_f32 v[90:91], v[58:59], v[96:97] op_sel_hi:[1,0]
	v_pk_fma_f32 v[62:63], v[56:57], v[70:71], v[88:89] op_sel:[0,0,1] op_sel_hi:[1,1,0] neg_lo:[0,0,1] neg_hi:[0,0,1]
	v_pk_fma_f32 v[56:57], v[56:57], v[70:71], v[88:89] op_sel:[0,0,1] op_sel_hi:[1,0,0]
	v_mov_b32_e32 v61, v55
	v_pk_add_f32 v[40:41], v[40:41], v[50:51]
	v_pk_fma_f32 v[64:65], v[58:59], v[72:73], v[90:91] op_sel:[0,0,1] op_sel_hi:[1,1,0] neg_lo:[0,0,1] neg_hi:[0,0,1]
	v_pk_fma_f32 v[58:59], v[58:59], v[72:73], v[90:91] op_sel:[0,0,1] op_sel_hi:[1,0,0]
	v_mov_b32_e32 v63, v57
	v_pk_add_f32 v[40:41], v[40:41], v[60:61]
	s_waitcnt lgkmcnt(0)
	v_pk_mul_f32 v[42:43], v[78:79], v[98:99] op_sel_hi:[1,0]
	v_mov_b32_e32 v65, v59
	v_pk_add_f32 v[40:41], v[40:41], v[62:63]
	v_pk_fma_f32 v[44:45], v[78:79], v[74:75], v[42:43] op_sel:[0,0,1] op_sel_hi:[1,1,0] neg_lo:[0,0,1] neg_hi:[0,0,1]
	v_pk_fma_f32 v[42:43], v[78:79], v[74:75], v[42:43] op_sel:[0,0,1] op_sel_hi:[1,0,0]
	v_pk_add_f32 v[40:41], v[40:41], v[64:65]
	v_mov_b32_e32 v45, v43
	v_pk_add_f32 v[40:41], v[40:41], v[44:45]
	s_waitcnt vmcnt(0)
	v_pk_add_f32 v[40:41], v[76:77], v[40:41] neg_lo:[0,1] neg_hi:[0,1]
	buffer_store_dword v41, off, s[0:3], 0 offset:52
	buffer_store_dword v40, off, s[0:3], 0 offset:48
	s_and_saveexec_b64 s[4:5], vcc
	s_cbranch_execz .LBB17_111
; %bb.110:
	buffer_load_dword v40, off, s[0:3], 0 offset:40
	buffer_load_dword v41, off, s[0:3], 0 offset:44
	s_waitcnt vmcnt(0)
	ds_write_b64 v1, v[40:41]
	buffer_store_dword v38, off, s[0:3], 0 offset:40
	buffer_store_dword v38, off, s[0:3], 0 offset:44
.LBB17_111:
	s_or_b64 exec, exec, s[4:5]
	s_waitcnt lgkmcnt(0)
	; wave barrier
	s_waitcnt lgkmcnt(0)
	buffer_load_dword v82, off, s[0:3], 0 offset:52
	buffer_load_dword v84, off, s[0:3], 0 offset:60
	;; [unrolled: 1-line block ×26, first 2 shown]
	ds_read_b128 v[40:43], v38 offset:192
	ds_read_b128 v[44:47], v38 offset:208
	;; [unrolled: 1-line block ×6, first 2 shown]
	v_cmp_lt_u32_e32 vcc, 4, v0
	s_waitcnt vmcnt(25) lgkmcnt(5)
	v_mul_f32_e32 v95, v40, v82
	v_mul_f32_e32 v38, v41, v82
	s_waitcnt vmcnt(24)
	v_mul_f32_e32 v96, v42, v84
	s_waitcnt vmcnt(23) lgkmcnt(4)
	v_mul_f32_e32 v39, v44, v85
	s_waitcnt vmcnt(22)
	v_mul_f32_e32 v83, v46, v86
	v_mul_f32_e32 v82, v43, v84
	;; [unrolled: 1-line block ×4, first 2 shown]
	s_waitcnt vmcnt(21)
	v_mov_b32_e32 v84, v65
	s_waitcnt vmcnt(20)
	v_mov_b32_e32 v86, v67
	;; [unrolled: 2-line block ×3, first 2 shown]
	s_waitcnt vmcnt(15)
	v_fmac_f32_e32 v95, v41, v87
	v_fma_f32 v98, v40, v87, -v38
	v_mov_b32_e32 v88, v69
	s_waitcnt vmcnt(14)
	v_fmac_f32_e32 v96, v43, v89
	s_waitcnt vmcnt(13)
	v_fmac_f32_e32 v39, v45, v91
	s_waitcnt vmcnt(12)
	v_fmac_f32_e32 v83, v47, v93
	v_fma_f32 v99, v42, v89, -v82
	v_fma_f32 v38, v44, v91, -v85
	;; [unrolled: 1-line block ×3, first 2 shown]
	s_waitcnt lgkmcnt(3)
	v_pk_mul_f32 v[40:41], v[48:49], v[84:85] op_sel_hi:[1,0]
	v_pk_mul_f32 v[42:43], v[50:51], v[86:87] op_sel_hi:[1,0]
	s_waitcnt lgkmcnt(2)
	v_pk_mul_f32 v[46:47], v[54:55], v[90:91] op_sel_hi:[1,0]
	v_add_f32_e32 v90, 0, v95
	v_add_f32_e32 v91, 0, v98
	v_pk_mul_f32 v[44:45], v[52:53], v[88:89] op_sel_hi:[1,0]
	s_waitcnt vmcnt(11)
	v_pk_fma_f32 v[88:89], v[48:49], v[64:65], v[40:41] op_sel:[0,0,1] op_sel_hi:[1,1,0] neg_lo:[0,0,1] neg_hi:[0,0,1]
	v_pk_fma_f32 v[40:41], v[48:49], v[64:65], v[40:41] op_sel:[0,0,1] op_sel_hi:[1,0,0]
	s_waitcnt vmcnt(10)
	v_pk_fma_f32 v[48:49], v[50:51], v[66:67], v[42:43] op_sel:[0,0,1] op_sel_hi:[1,1,0] neg_lo:[0,0,1] neg_hi:[0,0,1]
	v_pk_fma_f32 v[42:43], v[50:51], v[66:67], v[42:43] op_sel:[0,0,1] op_sel_hi:[1,0,0]
	v_add_f32_e32 v67, v90, v96
	v_add_f32_e32 v66, v91, v99
	v_pk_add_f32 v[38:39], v[66:67], v[38:39]
	v_mov_b32_e32 v89, v41
	v_pk_add_f32 v[38:39], v[38:39], v[82:83]
	v_mov_b32_e32 v92, v73
	s_waitcnt vmcnt(9)
	v_pk_fma_f32 v[50:51], v[52:53], v[68:69], v[44:45] op_sel:[0,0,1] op_sel_hi:[1,1,0] neg_lo:[0,0,1] neg_hi:[0,0,1]
	v_pk_fma_f32 v[44:45], v[52:53], v[68:69], v[44:45] op_sel:[0,0,1] op_sel_hi:[1,0,0]
	v_mov_b32_e32 v49, v43
	v_pk_add_f32 v[38:39], v[38:39], v[88:89]
	v_mov_b32_e32 v94, v75
	s_waitcnt lgkmcnt(1)
	v_pk_mul_f32 v[84:85], v[56:57], v[92:93] op_sel_hi:[1,0]
	s_waitcnt vmcnt(8)
	v_pk_fma_f32 v[52:53], v[54:55], v[70:71], v[46:47] op_sel:[0,0,1] op_sel_hi:[1,1,0] neg_lo:[0,0,1] neg_hi:[0,0,1]
	v_pk_fma_f32 v[46:47], v[54:55], v[70:71], v[46:47] op_sel:[0,0,1] op_sel_hi:[1,0,0]
	v_mov_b32_e32 v51, v45
	v_pk_add_f32 v[38:39], v[38:39], v[48:49]
	s_waitcnt vmcnt(5)
	v_mov_b32_e32 v40, v77
	v_pk_mul_f32 v[86:87], v[58:59], v[94:95] op_sel_hi:[1,0]
	v_pk_fma_f32 v[54:55], v[56:57], v[72:73], v[84:85] op_sel:[0,0,1] op_sel_hi:[1,1,0] neg_lo:[0,0,1] neg_hi:[0,0,1]
	v_pk_fma_f32 v[56:57], v[56:57], v[72:73], v[84:85] op_sel:[0,0,1] op_sel_hi:[1,0,0]
	v_mov_b32_e32 v53, v47
	v_pk_add_f32 v[38:39], v[38:39], v[50:51]
	s_waitcnt lgkmcnt(0)
	v_pk_mul_f32 v[40:41], v[60:61], v[40:41] op_sel_hi:[1,0]
	v_pk_fma_f32 v[64:65], v[58:59], v[74:75], v[86:87] op_sel:[0,0,1] op_sel_hi:[1,1,0] neg_lo:[0,0,1] neg_hi:[0,0,1]
	v_pk_fma_f32 v[58:59], v[58:59], v[74:75], v[86:87] op_sel:[0,0,1] op_sel_hi:[1,0,0]
	v_mov_b32_e32 v55, v57
	v_pk_add_f32 v[38:39], v[38:39], v[52:53]
	s_waitcnt vmcnt(4)
	v_pk_fma_f32 v[42:43], v[60:61], v[76:77], v[40:41] op_sel:[0,0,1] op_sel_hi:[1,1,0] neg_lo:[0,0,1] neg_hi:[0,0,1]
	v_pk_fma_f32 v[40:41], v[60:61], v[76:77], v[40:41] op_sel:[0,0,1] op_sel_hi:[1,0,0]
	v_mov_b32_e32 v65, v59
	v_pk_add_f32 v[38:39], v[38:39], v[54:55]
	s_waitcnt vmcnt(3)
	v_mov_b32_e32 v40, v79
	v_pk_add_f32 v[38:39], v[38:39], v[64:65]
	v_mov_b32_e32 v43, v41
	v_pk_mul_f32 v[40:41], v[62:63], v[40:41] op_sel_hi:[1,0]
	v_pk_add_f32 v[38:39], v[38:39], v[42:43]
	s_waitcnt vmcnt(2)
	v_pk_fma_f32 v[42:43], v[62:63], v[78:79], v[40:41] op_sel:[0,0,1] op_sel_hi:[1,1,0] neg_lo:[0,0,1] neg_hi:[0,0,1]
	v_pk_fma_f32 v[40:41], v[62:63], v[78:79], v[40:41] op_sel:[0,0,1] op_sel_hi:[1,0,0]
	v_mov_b32_e32 v43, v41
	v_pk_add_f32 v[38:39], v[38:39], v[42:43]
	s_waitcnt vmcnt(0)
	v_pk_add_f32 v[38:39], v[80:81], v[38:39] neg_lo:[0,1] neg_hi:[0,1]
	buffer_store_dword v39, off, s[0:3], 0 offset:44
	buffer_store_dword v38, off, s[0:3], 0 offset:40
	s_and_saveexec_b64 s[4:5], vcc
	s_cbranch_execz .LBB17_113
; %bb.112:
	buffer_load_dword v38, off, s[0:3], 0 offset:32
	buffer_load_dword v39, off, s[0:3], 0 offset:36
	v_mov_b32_e32 v40, 0
	buffer_store_dword v40, off, s[0:3], 0 offset:32
	buffer_store_dword v40, off, s[0:3], 0 offset:36
	s_waitcnt vmcnt(2)
	ds_write_b64 v1, v[38:39]
.LBB17_113:
	s_or_b64 exec, exec, s[4:5]
	s_waitcnt lgkmcnt(0)
	; wave barrier
	s_waitcnt lgkmcnt(0)
	buffer_load_dword v39, off, s[0:3], 0 offset:44
	buffer_load_dword v84, off, s[0:3], 0 offset:52
	;; [unrolled: 1-line block ×28, first 2 shown]
	v_mov_b32_e32 v38, 0
	ds_read2_b64 v[40:43], v38 offset0:23 offset1:24
	ds_read2_b64 v[44:47], v38 offset0:25 offset1:26
	ds_read2_b64 v[48:51], v38 offset0:27 offset1:28
	ds_read2_b64 v[52:55], v38 offset0:29 offset1:30
	ds_read2_b64 v[56:59], v38 offset0:31 offset1:32
	ds_read2_b64 v[60:63], v38 offset0:33 offset1:34
	ds_read_b64 v[82:83], v38 offset:280
	v_cmp_lt_u32_e32 vcc, 3, v0
	s_waitcnt vmcnt(27) lgkmcnt(6)
	v_mul_f32_e32 v99, v40, v39
	v_mul_f32_e32 v39, v41, v39
	s_waitcnt vmcnt(26)
	v_mul_f32_e32 v100, v42, v84
	s_waitcnt vmcnt(24) lgkmcnt(5)
	v_mul_f32_e32 v85, v46, v88
	s_waitcnt vmcnt(23) lgkmcnt(4)
	v_mul_f32_e32 v87, v48, v89
	v_mul_f32_e32 v102, v47, v88
	;; [unrolled: 1-line block ×3, first 2 shown]
	s_waitcnt vmcnt(22)
	v_mov_b32_e32 v88, v65
	v_mul_f32_e32 v101, v44, v86
	v_mul_f32_e32 v84, v43, v84
	;; [unrolled: 1-line block ×3, first 2 shown]
	s_waitcnt vmcnt(17)
	v_fmac_f32_e32 v99, v41, v91
	v_fma_f32 v39, v40, v91, -v39
	v_pk_mul_f32 v[40:41], v[50:51], v[88:89] op_sel_hi:[1,0]
	s_waitcnt vmcnt(16)
	v_fmac_f32_e32 v100, v43, v93
	s_waitcnt vmcnt(13)
	v_fmac_f32_e32 v87, v49, v98
	v_fma_f32 v91, v42, v93, -v84
	v_fma_f32 v93, v44, v95, -v86
	;; [unrolled: 1-line block ×3, first 2 shown]
	v_add_f32_e32 v88, 0, v99
	v_add_f32_e32 v39, 0, v39
	s_waitcnt vmcnt(12)
	v_pk_fma_f32 v[48:49], v[50:51], v[64:65], v[40:41] op_sel:[0,0,1] op_sel_hi:[1,1,0] neg_lo:[0,0,1] neg_hi:[0,0,1]
	v_pk_fma_f32 v[40:41], v[50:51], v[64:65], v[40:41] op_sel:[0,0,1] op_sel_hi:[1,0,0]
	v_fmac_f32_e32 v101, v45, v95
	v_add_f32_e32 v40, v88, v100
	v_add_f32_e32 v39, v39, v91
	v_mov_b32_e32 v90, v67
	v_fmac_f32_e32 v85, v47, v97
	v_fma_f32 v84, v46, v97, -v102
	v_mov_b32_e32 v49, v41
	v_add_f32_e32 v41, v40, v101
	v_add_f32_e32 v40, v39, v93
	v_mov_b32_e32 v92, v69
	s_waitcnt lgkmcnt(3)
	v_pk_mul_f32 v[42:43], v[52:53], v[90:91] op_sel_hi:[1,0]
	v_pk_add_f32 v[40:41], v[40:41], v[84:85]
	v_mov_b32_e32 v94, v71
	v_mov_b32_e32 v96, v73
	v_pk_mul_f32 v[44:45], v[54:55], v[92:93] op_sel_hi:[1,0]
	s_waitcnt vmcnt(11)
	v_pk_fma_f32 v[50:51], v[52:53], v[66:67], v[42:43] op_sel:[0,0,1] op_sel_hi:[1,1,0] neg_lo:[0,0,1] neg_hi:[0,0,1]
	v_pk_fma_f32 v[42:43], v[52:53], v[66:67], v[42:43] op_sel:[0,0,1] op_sel_hi:[1,0,0]
	v_pk_add_f32 v[40:41], v[40:41], v[86:87]
	s_waitcnt lgkmcnt(2)
	v_pk_mul_f32 v[46:47], v[56:57], v[94:95] op_sel_hi:[1,0]
	s_waitcnt vmcnt(7)
	v_pk_fma_f32 v[52:53], v[54:55], v[68:69], v[44:45] op_sel:[0,0,1] op_sel_hi:[1,1,0] neg_lo:[0,0,1] neg_hi:[0,0,1]
	v_pk_fma_f32 v[44:45], v[54:55], v[68:69], v[44:45] op_sel:[0,0,1] op_sel_hi:[1,0,0]
	v_mov_b32_e32 v51, v43
	v_pk_add_f32 v[40:41], v[40:41], v[48:49]
	v_pk_mul_f32 v[42:43], v[58:59], v[96:97] op_sel_hi:[1,0]
	v_pk_fma_f32 v[54:55], v[56:57], v[70:71], v[46:47] op_sel:[0,0,1] op_sel_hi:[1,1,0] neg_lo:[0,0,1] neg_hi:[0,0,1]
	v_pk_fma_f32 v[46:47], v[56:57], v[70:71], v[46:47] op_sel:[0,0,1] op_sel_hi:[1,0,0]
	v_mov_b32_e32 v53, v45
	v_pk_add_f32 v[40:41], v[40:41], v[50:51]
	v_pk_fma_f32 v[44:45], v[58:59], v[72:73], v[42:43] op_sel:[0,0,1] op_sel_hi:[1,1,0] neg_lo:[0,0,1] neg_hi:[0,0,1]
	v_pk_fma_f32 v[42:43], v[58:59], v[72:73], v[42:43] op_sel:[0,0,1] op_sel_hi:[1,0,0]
	v_mov_b32_e32 v55, v47
	v_pk_add_f32 v[40:41], v[40:41], v[52:53]
	s_waitcnt vmcnt(6)
	v_mov_b32_e32 v42, v75
	v_pk_add_f32 v[40:41], v[40:41], v[54:55]
	v_mov_b32_e32 v45, v43
	s_waitcnt lgkmcnt(1)
	v_pk_mul_f32 v[42:43], v[60:61], v[42:43] op_sel_hi:[1,0]
	v_pk_add_f32 v[40:41], v[40:41], v[44:45]
	v_pk_fma_f32 v[44:45], v[60:61], v[74:75], v[42:43] op_sel:[0,0,1] op_sel_hi:[1,1,0] neg_lo:[0,0,1] neg_hi:[0,0,1]
	v_pk_fma_f32 v[42:43], v[60:61], v[74:75], v[42:43] op_sel:[0,0,1] op_sel_hi:[1,0,0]
	s_waitcnt vmcnt(5)
	v_mov_b32_e32 v42, v77
	v_mov_b32_e32 v45, v43
	v_pk_mul_f32 v[42:43], v[62:63], v[42:43] op_sel_hi:[1,0]
	v_pk_add_f32 v[40:41], v[40:41], v[44:45]
	s_waitcnt vmcnt(3)
	v_pk_fma_f32 v[44:45], v[62:63], v[76:77], v[42:43] op_sel:[0,0,1] op_sel_hi:[1,1,0] neg_lo:[0,0,1] neg_hi:[0,0,1]
	v_pk_fma_f32 v[42:43], v[62:63], v[76:77], v[42:43] op_sel:[0,0,1] op_sel_hi:[1,0,0]
	s_waitcnt vmcnt(2)
	v_mov_b32_e32 v42, v79
	v_mov_b32_e32 v45, v43
	s_waitcnt lgkmcnt(0)
	v_pk_mul_f32 v[42:43], v[82:83], v[42:43] op_sel_hi:[1,0]
	v_pk_add_f32 v[40:41], v[40:41], v[44:45]
	v_pk_fma_f32 v[44:45], v[82:83], v[78:79], v[42:43] op_sel:[0,0,1] op_sel_hi:[1,1,0] neg_lo:[0,0,1] neg_hi:[0,0,1]
	v_pk_fma_f32 v[42:43], v[82:83], v[78:79], v[42:43] op_sel:[0,0,1] op_sel_hi:[1,0,0]
	v_mov_b32_e32 v45, v43
	v_pk_add_f32 v[40:41], v[40:41], v[44:45]
	s_waitcnt vmcnt(0)
	v_pk_add_f32 v[40:41], v[80:81], v[40:41] neg_lo:[0,1] neg_hi:[0,1]
	buffer_store_dword v41, off, s[0:3], 0 offset:36
	buffer_store_dword v40, off, s[0:3], 0 offset:32
	s_and_saveexec_b64 s[4:5], vcc
	s_cbranch_execz .LBB17_115
; %bb.114:
	buffer_load_dword v40, off, s[0:3], 0 offset:24
	buffer_load_dword v41, off, s[0:3], 0 offset:28
	s_waitcnt vmcnt(0)
	ds_write_b64 v1, v[40:41]
	buffer_store_dword v38, off, s[0:3], 0 offset:24
	buffer_store_dword v38, off, s[0:3], 0 offset:28
.LBB17_115:
	s_or_b64 exec, exec, s[4:5]
	s_waitcnt lgkmcnt(0)
	; wave barrier
	s_waitcnt lgkmcnt(0)
	buffer_load_dword v86, off, s[0:3], 0 offset:36
	buffer_load_dword v88, off, s[0:3], 0 offset:44
	;; [unrolled: 1-line block ×30, first 2 shown]
	ds_read_b128 v[40:43], v38 offset:176
	ds_read_b128 v[44:47], v38 offset:192
	;; [unrolled: 1-line block ×7, first 2 shown]
	v_cmp_lt_u32_e32 vcc, 2, v0
	s_waitcnt vmcnt(29) lgkmcnt(6)
	v_mul_f32_e32 v99, v40, v86
	s_waitcnt vmcnt(28)
	v_mul_f32_e32 v100, v42, v88
	s_waitcnt vmcnt(27) lgkmcnt(5)
	v_mul_f32_e32 v101, v44, v89
	v_mul_f32_e32 v89, v45, v89
	s_waitcnt vmcnt(26)
	v_mul_f32_e32 v102, v46, v90
	s_waitcnt vmcnt(25) lgkmcnt(4)
	v_mul_f32_e32 v39, v48, v91
	v_mul_f32_e32 v38, v41, v86
	;; [unrolled: 1-line block ×5, first 2 shown]
	s_waitcnt vmcnt(23)
	v_mov_b32_e32 v88, v69
	s_waitcnt vmcnt(22)
	v_mov_b32_e32 v90, v71
	s_waitcnt vmcnt(18)
	v_fma_f32 v89, v44, v95, -v89
	v_fmac_f32_e32 v99, v41, v93
	v_fmac_f32_e32 v100, v43, v94
	s_waitcnt vmcnt(17)
	v_fmac_f32_e32 v102, v47, v96
	v_fma_f32 v47, v40, v93, -v38
	v_fma_f32 v93, v42, v94, -v86
	s_waitcnt lgkmcnt(3)
	v_pk_mul_f32 v[40:41], v[52:53], v[88:89] op_sel_hi:[1,0]
	v_pk_mul_f32 v[42:43], v[54:55], v[90:91] op_sel_hi:[1,0]
	s_waitcnt vmcnt(16)
	v_fmac_f32_e32 v39, v49, v97
	v_fma_f32 v94, v46, v96, -v103
	v_fma_f32 v38, v48, v97, -v91
	v_add_f32_e32 v88, 0, v99
	v_add_f32_e32 v90, 0, v47
	s_waitcnt vmcnt(14)
	v_pk_fma_f32 v[46:47], v[52:53], v[68:69], v[40:41] op_sel:[0,0,1] op_sel_hi:[1,1,0] neg_lo:[0,0,1] neg_hi:[0,0,1]
	v_pk_fma_f32 v[40:41], v[52:53], v[68:69], v[40:41] op_sel:[0,0,1] op_sel_hi:[1,0,0]
	s_waitcnt vmcnt(10)
	v_pk_fma_f32 v[48:49], v[54:55], v[70:71], v[42:43] op_sel:[0,0,1] op_sel_hi:[1,1,0] neg_lo:[0,0,1] neg_hi:[0,0,1]
	v_pk_fma_f32 v[42:43], v[54:55], v[70:71], v[42:43] op_sel:[0,0,1] op_sel_hi:[1,0,0]
	v_fmac_f32_e32 v101, v45, v95
	v_add_f32_e32 v40, v88, v100
	v_add_f32_e32 v42, v90, v93
	;; [unrolled: 1-line block ×4, first 2 shown]
	v_mul_f32_e32 v87, v50, v92
	v_mul_f32_e32 v104, v51, v92
	v_mov_b32_e32 v47, v41
	v_add_f32_e32 v41, v40, v102
	v_add_f32_e32 v40, v42, v94
	v_mov_b32_e32 v92, v73
	v_fmac_f32_e32 v87, v51, v98
	v_fma_f32 v86, v50, v98, -v104
	v_pk_add_f32 v[38:39], v[40:41], v[38:39]
	s_waitcnt vmcnt(9)
	v_mov_b32_e32 v40, v77
	s_waitcnt lgkmcnt(2)
	v_pk_mul_f32 v[44:45], v[56:57], v[92:93] op_sel_hi:[1,0]
	v_pk_add_f32 v[38:39], v[38:39], v[86:87]
	v_pk_mul_f32 v[40:41], v[58:59], v[40:41] op_sel_hi:[1,0]
	v_pk_fma_f32 v[50:51], v[56:57], v[72:73], v[44:45] op_sel:[0,0,1] op_sel_hi:[1,1,0] neg_lo:[0,0,1] neg_hi:[0,0,1]
	v_pk_fma_f32 v[44:45], v[56:57], v[72:73], v[44:45] op_sel:[0,0,1] op_sel_hi:[1,0,0]
	v_mov_b32_e32 v49, v43
	v_pk_add_f32 v[38:39], v[38:39], v[46:47]
	v_pk_fma_f32 v[42:43], v[58:59], v[76:77], v[40:41] op_sel:[0,0,1] op_sel_hi:[1,1,0] neg_lo:[0,0,1] neg_hi:[0,0,1]
	v_pk_fma_f32 v[40:41], v[58:59], v[76:77], v[40:41] op_sel:[0,0,1] op_sel_hi:[1,0,0]
	v_mov_b32_e32 v51, v45
	v_pk_add_f32 v[38:39], v[38:39], v[48:49]
	s_waitcnt vmcnt(8)
	v_mov_b32_e32 v40, v75
	v_pk_add_f32 v[38:39], v[38:39], v[50:51]
	v_mov_b32_e32 v43, v41
	s_waitcnt lgkmcnt(1)
	v_pk_mul_f32 v[40:41], v[60:61], v[40:41] op_sel_hi:[1,0]
	v_pk_add_f32 v[38:39], v[38:39], v[42:43]
	v_pk_fma_f32 v[42:43], v[60:61], v[74:75], v[40:41] op_sel:[0,0,1] op_sel_hi:[1,1,0] neg_lo:[0,0,1] neg_hi:[0,0,1]
	v_pk_fma_f32 v[40:41], v[60:61], v[74:75], v[40:41] op_sel:[0,0,1] op_sel_hi:[1,0,0]
	s_waitcnt vmcnt(7)
	v_mov_b32_e32 v40, v79
	v_mov_b32_e32 v43, v41
	v_pk_mul_f32 v[40:41], v[62:63], v[40:41] op_sel_hi:[1,0]
	v_pk_add_f32 v[38:39], v[38:39], v[42:43]
	s_waitcnt vmcnt(4)
	v_pk_fma_f32 v[42:43], v[62:63], v[78:79], v[40:41] op_sel:[0,0,1] op_sel_hi:[1,1,0] neg_lo:[0,0,1] neg_hi:[0,0,1]
	v_pk_fma_f32 v[40:41], v[62:63], v[78:79], v[40:41] op_sel:[0,0,1] op_sel_hi:[1,0,0]
	s_waitcnt vmcnt(3)
	v_mov_b32_e32 v40, v83
	v_mov_b32_e32 v43, v41
	s_waitcnt lgkmcnt(0)
	v_pk_mul_f32 v[40:41], v[64:65], v[40:41] op_sel_hi:[1,0]
	v_pk_add_f32 v[38:39], v[38:39], v[42:43]
	v_pk_fma_f32 v[42:43], v[64:65], v[82:83], v[40:41] op_sel:[0,0,1] op_sel_hi:[1,1,0] neg_lo:[0,0,1] neg_hi:[0,0,1]
	v_pk_fma_f32 v[40:41], v[64:65], v[82:83], v[40:41] op_sel:[0,0,1] op_sel_hi:[1,0,0]
	s_waitcnt vmcnt(0)
	v_mov_b32_e32 v40, v81
	v_mov_b32_e32 v43, v41
	v_pk_mul_f32 v[40:41], v[66:67], v[40:41] op_sel_hi:[1,0]
	v_pk_add_f32 v[38:39], v[38:39], v[42:43]
	v_pk_fma_f32 v[42:43], v[66:67], v[80:81], v[40:41] op_sel:[0,0,1] op_sel_hi:[1,1,0] neg_lo:[0,0,1] neg_hi:[0,0,1]
	v_pk_fma_f32 v[40:41], v[66:67], v[80:81], v[40:41] op_sel:[0,0,1] op_sel_hi:[1,0,0]
	v_mov_b32_e32 v43, v41
	v_pk_add_f32 v[38:39], v[38:39], v[42:43]
	v_pk_add_f32 v[38:39], v[84:85], v[38:39] neg_lo:[0,1] neg_hi:[0,1]
	buffer_store_dword v39, off, s[0:3], 0 offset:28
	buffer_store_dword v38, off, s[0:3], 0 offset:24
	s_and_saveexec_b64 s[4:5], vcc
	s_cbranch_execz .LBB17_117
; %bb.116:
	buffer_load_dword v38, off, s[0:3], 0 offset:16
	buffer_load_dword v39, off, s[0:3], 0 offset:20
	v_mov_b32_e32 v40, 0
	buffer_store_dword v40, off, s[0:3], 0 offset:16
	buffer_store_dword v40, off, s[0:3], 0 offset:20
	s_waitcnt vmcnt(2)
	ds_write_b64 v1, v[38:39]
.LBB17_117:
	s_or_b64 exec, exec, s[4:5]
	s_waitcnt lgkmcnt(0)
	; wave barrier
	s_waitcnt lgkmcnt(0)
	buffer_load_dword v39, off, s[0:3], 0 offset:28
	buffer_load_dword v88, off, s[0:3], 0 offset:36
	;; [unrolled: 1-line block ×32, first 2 shown]
	v_mov_b32_e32 v38, 0
	ds_read2_b64 v[40:43], v38 offset0:21 offset1:22
	ds_read2_b64 v[44:47], v38 offset0:23 offset1:24
	;; [unrolled: 1-line block ×7, first 2 shown]
	ds_read_b64 v[86:87], v38 offset:280
	v_cmp_lt_u32_e32 vcc, 1, v0
	s_waitcnt vmcnt(31) lgkmcnt(7)
	v_mul_f32_e32 v103, v40, v39
	v_mul_f32_e32 v39, v41, v39
	s_waitcnt vmcnt(30)
	v_mul_f32_e32 v104, v42, v88
	s_waitcnt vmcnt(28) lgkmcnt(6)
	v_mul_f32_e32 v106, v46, v92
	s_waitcnt vmcnt(27) lgkmcnt(5)
	v_mul_f32_e32 v107, v48, v93
	v_mul_f32_e32 v108, v47, v92
	;; [unrolled: 1-line block ×3, first 2 shown]
	s_waitcnt vmcnt(24)
	v_mov_b32_e32 v92, v69
	v_mul_f32_e32 v105, v44, v90
	v_mul_f32_e32 v88, v43, v88
	s_waitcnt vmcnt(22)
	v_fmac_f32_e32 v103, v41, v96
	v_fma_f32 v39, v40, v96, -v39
	s_waitcnt lgkmcnt(4)
	v_pk_mul_f32 v[40:41], v[54:55], v[92:93] op_sel_hi:[1,0]
	v_mul_f32_e32 v90, v45, v90
	s_waitcnt vmcnt(21)
	v_fmac_f32_e32 v104, v43, v97
	s_waitcnt vmcnt(20)
	v_fmac_f32_e32 v105, v45, v98
	;; [unrolled: 2-line block ×3, first 2 shown]
	v_fma_f32 v45, v42, v97, -v88
	s_waitcnt vmcnt(18)
	v_fma_f32 v47, v48, v100, -v93
	v_add_f32_e32 v48, 0, v103
	v_add_f32_e32 v39, 0, v39
	s_waitcnt vmcnt(12)
	v_pk_fma_f32 v[42:43], v[54:55], v[68:69], v[40:41] op_sel:[0,0,1] op_sel_hi:[1,1,0] neg_lo:[0,0,1] neg_hi:[0,0,1]
	v_pk_fma_f32 v[40:41], v[54:55], v[68:69], v[40:41] op_sel:[0,0,1] op_sel_hi:[1,0,0]
	v_fma_f32 v44, v44, v98, -v90
	v_add_f32_e32 v40, v48, v104
	v_add_f32_e32 v39, v39, v45
	v_fma_f32 v46, v46, v99, -v108
	v_add_f32_e32 v40, v40, v105
	v_add_f32_e32 v39, v39, v44
	v_mul_f32_e32 v89, v50, v94
	v_mul_f32_e32 v109, v51, v94
	v_fmac_f32_e32 v107, v49, v100
	v_add_f32_e32 v40, v40, v106
	v_add_f32_e32 v39, v39, v46
	v_mul_f32_e32 v91, v52, v95
	v_mul_f32_e32 v95, v53, v95
	v_fmac_f32_e32 v89, v51, v101
	v_fma_f32 v88, v50, v101, -v109
	v_mov_b32_e32 v43, v41
	v_add_f32_e32 v41, v40, v107
	v_add_f32_e32 v40, v39, v47
	v_fmac_f32_e32 v91, v53, v102
	v_fma_f32 v90, v52, v102, -v95
	v_pk_add_f32 v[40:41], v[40:41], v[88:89]
	v_mov_b32_e32 v94, v71
	v_pk_add_f32 v[40:41], v[40:41], v[90:91]
	v_pk_add_f32 v[40:41], v[40:41], v[42:43]
	s_waitcnt lgkmcnt(3)
	v_pk_mul_f32 v[42:43], v[56:57], v[94:95] op_sel_hi:[1,0]
	v_pk_fma_f32 v[44:45], v[56:57], v[70:71], v[42:43] op_sel:[0,0,1] op_sel_hi:[1,1,0] neg_lo:[0,0,1] neg_hi:[0,0,1]
	v_pk_fma_f32 v[42:43], v[56:57], v[70:71], v[42:43] op_sel:[0,0,1] op_sel_hi:[1,0,0]
	s_waitcnt vmcnt(11)
	v_mov_b32_e32 v42, v75
	v_mov_b32_e32 v45, v43
	v_pk_mul_f32 v[42:43], v[58:59], v[42:43] op_sel_hi:[1,0]
	v_pk_add_f32 v[40:41], v[40:41], v[44:45]
	v_pk_fma_f32 v[44:45], v[58:59], v[74:75], v[42:43] op_sel:[0,0,1] op_sel_hi:[1,1,0] neg_lo:[0,0,1] neg_hi:[0,0,1]
	v_pk_fma_f32 v[42:43], v[58:59], v[74:75], v[42:43] op_sel:[0,0,1] op_sel_hi:[1,0,0]
	s_waitcnt vmcnt(10)
	v_mov_b32_e32 v42, v73
	v_mov_b32_e32 v45, v43
	s_waitcnt lgkmcnt(2)
	v_pk_mul_f32 v[42:43], v[60:61], v[42:43] op_sel_hi:[1,0]
	v_pk_add_f32 v[40:41], v[40:41], v[44:45]
	v_pk_fma_f32 v[44:45], v[60:61], v[72:73], v[42:43] op_sel:[0,0,1] op_sel_hi:[1,1,0] neg_lo:[0,0,1] neg_hi:[0,0,1]
	v_pk_fma_f32 v[42:43], v[60:61], v[72:73], v[42:43] op_sel:[0,0,1] op_sel_hi:[1,0,0]
	s_waitcnt vmcnt(9)
	v_mov_b32_e32 v42, v77
	v_mov_b32_e32 v45, v43
	v_pk_mul_f32 v[42:43], v[62:63], v[42:43] op_sel_hi:[1,0]
	v_pk_add_f32 v[40:41], v[40:41], v[44:45]
	s_waitcnt vmcnt(4)
	v_pk_fma_f32 v[44:45], v[62:63], v[76:77], v[42:43] op_sel:[0,0,1] op_sel_hi:[1,1,0] neg_lo:[0,0,1] neg_hi:[0,0,1]
	v_pk_fma_f32 v[42:43], v[62:63], v[76:77], v[42:43] op_sel:[0,0,1] op_sel_hi:[1,0,0]
	v_mov_b32_e32 v42, v83
	v_mov_b32_e32 v45, v43
	s_waitcnt lgkmcnt(1)
	v_pk_mul_f32 v[42:43], v[64:65], v[42:43] op_sel_hi:[1,0]
	v_pk_add_f32 v[40:41], v[40:41], v[44:45]
	v_pk_fma_f32 v[44:45], v[64:65], v[82:83], v[42:43] op_sel:[0,0,1] op_sel_hi:[1,1,0] neg_lo:[0,0,1] neg_hi:[0,0,1]
	v_pk_fma_f32 v[42:43], v[64:65], v[82:83], v[42:43] op_sel:[0,0,1] op_sel_hi:[1,0,0]
	s_waitcnt vmcnt(3)
	v_mov_b32_e32 v42, v81
	v_mov_b32_e32 v45, v43
	v_pk_mul_f32 v[42:43], v[66:67], v[42:43] op_sel_hi:[1,0]
	v_pk_add_f32 v[40:41], v[40:41], v[44:45]
	v_pk_fma_f32 v[44:45], v[66:67], v[80:81], v[42:43] op_sel:[0,0,1] op_sel_hi:[1,1,0] neg_lo:[0,0,1] neg_hi:[0,0,1]
	v_pk_fma_f32 v[42:43], v[66:67], v[80:81], v[42:43] op_sel:[0,0,1] op_sel_hi:[1,0,0]
	s_waitcnt vmcnt(0)
	v_mov_b32_e32 v42, v79
	v_mov_b32_e32 v45, v43
	s_waitcnt lgkmcnt(0)
	v_pk_mul_f32 v[42:43], v[86:87], v[42:43] op_sel_hi:[1,0]
	v_pk_add_f32 v[40:41], v[40:41], v[44:45]
	v_pk_fma_f32 v[44:45], v[86:87], v[78:79], v[42:43] op_sel:[0,0,1] op_sel_hi:[1,1,0] neg_lo:[0,0,1] neg_hi:[0,0,1]
	v_pk_fma_f32 v[42:43], v[86:87], v[78:79], v[42:43] op_sel:[0,0,1] op_sel_hi:[1,0,0]
	v_mov_b32_e32 v45, v43
	v_pk_add_f32 v[40:41], v[40:41], v[44:45]
	v_pk_add_f32 v[40:41], v[84:85], v[40:41] neg_lo:[0,1] neg_hi:[0,1]
	buffer_store_dword v41, off, s[0:3], 0 offset:20
	buffer_store_dword v40, off, s[0:3], 0 offset:16
	s_and_saveexec_b64 s[4:5], vcc
	s_cbranch_execz .LBB17_119
; %bb.118:
	buffer_load_dword v40, off, s[0:3], 0 offset:8
	buffer_load_dword v41, off, s[0:3], 0 offset:12
	s_waitcnt vmcnt(0)
	ds_write_b64 v1, v[40:41]
	buffer_store_dword v38, off, s[0:3], 0 offset:8
	buffer_store_dword v38, off, s[0:3], 0 offset:12
.LBB17_119:
	s_or_b64 exec, exec, s[4:5]
	s_waitcnt lgkmcnt(0)
	; wave barrier
	s_waitcnt lgkmcnt(0)
	buffer_load_dword v90, off, s[0:3], 0 offset:20
	buffer_load_dword v92, off, s[0:3], 0 offset:28
	;; [unrolled: 1-line block ×32, first 2 shown]
	ds_read_b128 v[40:43], v38 offset:160
	ds_read_b128 v[44:47], v38 offset:176
	;; [unrolled: 1-line block ×4, first 2 shown]
	buffer_load_dword v89, off, s[0:3], 0 offset:140
	buffer_load_dword v88, off, s[0:3], 0 offset:136
	ds_read_b128 v[56:59], v38 offset:224
	ds_read_b128 v[60:63], v38 offset:240
	;; [unrolled: 1-line block ×4, first 2 shown]
	v_cmp_ne_u32_e32 vcc, 0, v0
	s_waitcnt vmcnt(33) lgkmcnt(7)
	v_mul_f32_e32 v107, v40, v90
	v_mul_f32_e32 v38, v41, v90
	s_waitcnt vmcnt(32)
	v_mul_f32_e32 v108, v42, v92
	s_waitcnt vmcnt(31) lgkmcnt(6)
	v_mul_f32_e32 v109, v44, v93
	v_mul_f32_e32 v90, v43, v92
	;; [unrolled: 1-line block ×3, first 2 shown]
	s_waitcnt vmcnt(30)
	v_mul_f32_e32 v93, v47, v94
	v_mul_f32_e32 v110, v46, v94
	s_waitcnt vmcnt(25)
	v_fmac_f32_e32 v107, v41, v99
	v_fma_f32 v40, v40, v99, -v38
	s_waitcnt vmcnt(24)
	v_fmac_f32_e32 v108, v43, v100
	v_fma_f32 v41, v42, v100, -v90
	s_waitcnt vmcnt(22)
	v_fma_f32 v43, v46, v102, -v93
	v_add_f32_e32 v46, 0, v107
	v_add_f32_e32 v40, 0, v40
	v_fmac_f32_e32 v109, v45, v101
	v_fma_f32 v42, v44, v101, -v92
	v_add_f32_e32 v46, v46, v108
	v_add_f32_e32 v40, v40, v41
	s_waitcnt lgkmcnt(5)
	v_mul_f32_e32 v111, v48, v95
	v_mul_f32_e32 v94, v49, v95
	v_fmac_f32_e32 v110, v47, v102
	v_add_f32_e32 v41, v46, v109
	v_add_f32_e32 v40, v40, v42
	v_mul_f32_e32 v112, v50, v96
	v_mul_f32_e32 v95, v51, v96
	s_waitcnt vmcnt(21)
	v_fmac_f32_e32 v111, v49, v103
	v_fma_f32 v44, v48, v103, -v94
	v_add_f32_e32 v41, v41, v110
	v_add_f32_e32 v40, v40, v43
	s_waitcnt lgkmcnt(4)
	v_mul_f32_e32 v39, v52, v97
	v_mul_f32_e32 v96, v53, v97
	s_waitcnt vmcnt(20)
	v_fmac_f32_e32 v112, v51, v104
	v_fma_f32 v45, v50, v104, -v95
	v_add_f32_e32 v41, v41, v111
	v_add_f32_e32 v40, v40, v44
	s_waitcnt vmcnt(19)
	v_fmac_f32_e32 v39, v53, v105
	v_fma_f32 v38, v52, v105, -v96
	v_add_f32_e32 v41, v41, v112
	v_add_f32_e32 v40, v40, v45
	v_pk_add_f32 v[38:39], v[40:41], v[38:39]
	s_waitcnt vmcnt(17)
	v_mov_b32_e32 v40, v73
	s_waitcnt lgkmcnt(3)
	v_pk_mul_f32 v[40:41], v[56:57], v[40:41] op_sel_hi:[1,0]
	v_mul_f32_e32 v91, v54, v98
	v_mul_f32_e32 v97, v55, v98
	s_waitcnt vmcnt(14)
	v_pk_fma_f32 v[42:43], v[56:57], v[72:73], v[40:41] op_sel:[0,0,1] op_sel_hi:[1,1,0] neg_lo:[0,0,1] neg_hi:[0,0,1]
	v_pk_fma_f32 v[40:41], v[56:57], v[72:73], v[40:41] op_sel:[0,0,1] op_sel_hi:[1,0,0]
	v_fmac_f32_e32 v91, v55, v106
	v_fma_f32 v90, v54, v106, -v97
	s_waitcnt vmcnt(13)
	v_mov_b32_e32 v40, v77
	v_pk_add_f32 v[38:39], v[38:39], v[90:91]
	v_mov_b32_e32 v43, v41
	v_pk_mul_f32 v[40:41], v[58:59], v[40:41] op_sel_hi:[1,0]
	v_pk_add_f32 v[38:39], v[38:39], v[42:43]
	v_pk_fma_f32 v[42:43], v[58:59], v[76:77], v[40:41] op_sel:[0,0,1] op_sel_hi:[1,1,0] neg_lo:[0,0,1] neg_hi:[0,0,1]
	v_pk_fma_f32 v[40:41], v[58:59], v[76:77], v[40:41] op_sel:[0,0,1] op_sel_hi:[1,0,0]
	s_waitcnt vmcnt(12)
	v_mov_b32_e32 v40, v75
	v_mov_b32_e32 v43, v41
	s_waitcnt lgkmcnt(2)
	v_pk_mul_f32 v[40:41], v[60:61], v[40:41] op_sel_hi:[1,0]
	v_pk_add_f32 v[38:39], v[38:39], v[42:43]
	v_pk_fma_f32 v[42:43], v[60:61], v[74:75], v[40:41] op_sel:[0,0,1] op_sel_hi:[1,1,0] neg_lo:[0,0,1] neg_hi:[0,0,1]
	v_pk_fma_f32 v[40:41], v[60:61], v[74:75], v[40:41] op_sel:[0,0,1] op_sel_hi:[1,0,0]
	s_waitcnt vmcnt(11)
	v_mov_b32_e32 v40, v79
	v_mov_b32_e32 v43, v41
	v_pk_mul_f32 v[40:41], v[62:63], v[40:41] op_sel_hi:[1,0]
	v_pk_add_f32 v[38:39], v[38:39], v[42:43]
	s_waitcnt vmcnt(5)
	v_pk_fma_f32 v[42:43], v[62:63], v[78:79], v[40:41] op_sel:[0,0,1] op_sel_hi:[1,1,0] neg_lo:[0,0,1] neg_hi:[0,0,1]
	v_pk_fma_f32 v[40:41], v[62:63], v[78:79], v[40:41] op_sel:[0,0,1] op_sel_hi:[1,0,0]
	v_mov_b32_e32 v40, v85
	v_mov_b32_e32 v43, v41
	s_waitcnt lgkmcnt(1)
	v_pk_mul_f32 v[40:41], v[64:65], v[40:41] op_sel_hi:[1,0]
	v_pk_add_f32 v[38:39], v[38:39], v[42:43]
	v_pk_fma_f32 v[42:43], v[64:65], v[84:85], v[40:41] op_sel:[0,0,1] op_sel_hi:[1,1,0] neg_lo:[0,0,1] neg_hi:[0,0,1]
	v_pk_fma_f32 v[40:41], v[64:65], v[84:85], v[40:41] op_sel:[0,0,1] op_sel_hi:[1,0,0]
	v_mov_b32_e32 v40, v83
	v_mov_b32_e32 v43, v41
	v_pk_mul_f32 v[40:41], v[66:67], v[40:41] op_sel_hi:[1,0]
	v_pk_add_f32 v[38:39], v[38:39], v[42:43]
	v_pk_fma_f32 v[42:43], v[66:67], v[82:83], v[40:41] op_sel:[0,0,1] op_sel_hi:[1,1,0] neg_lo:[0,0,1] neg_hi:[0,0,1]
	v_pk_fma_f32 v[40:41], v[66:67], v[82:83], v[40:41] op_sel:[0,0,1] op_sel_hi:[1,0,0]
	s_waitcnt vmcnt(2)
	v_mov_b32_e32 v40, v81
	v_mov_b32_e32 v43, v41
	s_waitcnt lgkmcnt(0)
	v_pk_mul_f32 v[40:41], v[68:69], v[40:41] op_sel_hi:[1,0]
	v_pk_add_f32 v[38:39], v[38:39], v[42:43]
	v_pk_fma_f32 v[42:43], v[68:69], v[80:81], v[40:41] op_sel:[0,0,1] op_sel_hi:[1,1,0] neg_lo:[0,0,1] neg_hi:[0,0,1]
	v_pk_fma_f32 v[40:41], v[68:69], v[80:81], v[40:41] op_sel:[0,0,1] op_sel_hi:[1,0,0]
	s_waitcnt vmcnt(1)
	v_mov_b32_e32 v40, v89
	v_mov_b32_e32 v43, v41
	v_pk_mul_f32 v[40:41], v[70:71], v[40:41] op_sel_hi:[1,0]
	v_pk_add_f32 v[38:39], v[38:39], v[42:43]
	s_waitcnt vmcnt(0)
	v_pk_fma_f32 v[42:43], v[70:71], v[88:89], v[40:41] op_sel:[0,0,1] op_sel_hi:[1,1,0] neg_lo:[0,0,1] neg_hi:[0,0,1]
	v_pk_fma_f32 v[40:41], v[70:71], v[88:89], v[40:41] op_sel:[0,0,1] op_sel_hi:[1,0,0]
	v_mov_b32_e32 v43, v41
	v_pk_add_f32 v[38:39], v[38:39], v[42:43]
	v_pk_add_f32 v[38:39], v[86:87], v[38:39] neg_lo:[0,1] neg_hi:[0,1]
	buffer_store_dword v39, off, s[0:3], 0 offset:12
	buffer_store_dword v38, off, s[0:3], 0 offset:8
	s_and_saveexec_b64 s[4:5], vcc
	s_cbranch_execz .LBB17_121
; %bb.120:
	buffer_load_dword v38, off, s[0:3], 0
	buffer_load_dword v39, off, s[0:3], 0 offset:4
	v_mov_b32_e32 v0, 0
	buffer_store_dword v0, off, s[0:3], 0
	buffer_store_dword v0, off, s[0:3], 0 offset:4
	s_waitcnt vmcnt(2)
	ds_write_b64 v1, v[38:39]
.LBB17_121:
	s_or_b64 exec, exec, s[4:5]
	s_waitcnt lgkmcnt(0)
	; wave barrier
	s_waitcnt lgkmcnt(0)
	buffer_load_dword v78, off, s[0:3], 0 offset:12
	buffer_load_dword v80, off, s[0:3], 0 offset:20
	;; [unrolled: 1-line block ×21, first 2 shown]
	buffer_load_dword v64, off, s[0:3], 0
	buffer_load_dword v65, off, s[0:3], 0 offset:4
	buffer_load_dword v63, off, s[0:3], 0 offset:92
	;; [unrolled: 1-line block ×14, first 2 shown]
	v_mov_b32_e32 v98, 0
	ds_read2_b64 v[38:41], v98 offset0:19 offset1:20
	ds_read2_b64 v[42:45], v98 offset0:21 offset1:22
	;; [unrolled: 1-line block ×6, first 2 shown]
	s_and_b64 vcc, exec, s[20:21]
	s_waitcnt vmcnt(35) lgkmcnt(5)
	v_mul_f32_e32 v99, v38, v78
	s_waitcnt vmcnt(34)
	v_mul_f32_e32 v100, v40, v80
	v_mul_f32_e32 v78, v39, v78
	s_waitcnt vmcnt(32) lgkmcnt(4)
	v_mul_f32_e32 v102, v44, v83
	v_mul_f32_e32 v83, v45, v83
	;; [unrolled: 1-line block ×5, first 2 shown]
	s_waitcnt vmcnt(31) lgkmcnt(3)
	v_mul_f32_e32 v103, v46, v84
	s_waitcnt vmcnt(26)
	v_fmac_f32_e32 v99, v39, v89
	s_waitcnt vmcnt(25)
	v_fmac_f32_e32 v100, v41, v90
	v_fma_f32 v38, v38, v89, -v78
	s_waitcnt vmcnt(23)
	v_fma_f32 v41, v44, v92, -v83
	v_add_f32_e32 v44, 0, v99
	v_fmac_f32_e32 v101, v43, v91
	v_fma_f32 v39, v40, v90, -v80
	v_add_f32_e32 v38, 0, v38
	v_add_f32_e32 v44, v44, v100
	v_fmac_f32_e32 v102, v45, v92
	v_fma_f32 v40, v42, v91, -v82
	v_add_f32_e32 v38, v38, v39
	v_add_f32_e32 v39, v44, v101
	v_mul_f32_e32 v104, v48, v85
	v_mul_f32_e32 v84, v47, v84
	s_waitcnt vmcnt(22)
	v_fmac_f32_e32 v103, v47, v93
	v_add_f32_e32 v38, v38, v40
	v_add_f32_e32 v39, v39, v102
	s_waitcnt lgkmcnt(2)
	v_mul_f32_e32 v105, v50, v86
	v_mul_f32_e32 v85, v49, v85
	s_waitcnt vmcnt(21)
	v_fmac_f32_e32 v104, v49, v94
	v_fma_f32 v42, v46, v93, -v84
	v_add_f32_e32 v38, v38, v41
	v_add_f32_e32 v39, v39, v103
	v_mul_f32_e32 v86, v51, v86
	s_waitcnt vmcnt(20)
	v_fmac_f32_e32 v105, v51, v95
	v_fma_f32 v43, v48, v94, -v85
	v_add_f32_e32 v38, v38, v42
	v_add_f32_e32 v39, v39, v104
	;; [unrolled: 1-line block ×4, first 2 shown]
	v_fma_f32 v39, v50, v95, -v86
	v_mul_f32_e32 v79, v52, v87
	v_add_f32_e32 v46, v38, v39
	v_mul_f32_e32 v38, v53, v87
	s_waitcnt vmcnt(17)
	v_mov_b32_e32 v50, v1
	s_waitcnt lgkmcnt(1)
	v_mul_f32_e32 v81, v54, v88
	v_fmac_f32_e32 v79, v53, v96
	v_fma_f32 v78, v52, v96, -v38
	v_mul_f32_e32 v38, v55, v88
	v_pk_mul_f32 v[50:51], v[56:57], v[50:51] op_sel_hi:[1,0]
	v_fmac_f32_e32 v81, v55, v97
	v_fma_f32 v80, v54, v97, -v38
	v_pk_add_f32 v[46:47], v[46:47], v[78:79]
	s_waitcnt vmcnt(15)
	v_pk_fma_f32 v[52:53], v[56:57], v[0:1], v[50:51] op_sel:[0,0,1] op_sel_hi:[1,1,0] neg_lo:[0,0,1] neg_hi:[0,0,1]
	v_pk_fma_f32 v[0:1], v[56:57], v[0:1], v[50:51] op_sel:[0,0,1] op_sel_hi:[1,0,0]
	v_pk_add_f32 v[46:47], v[46:47], v[80:81]
	v_mov_b32_e32 v53, v1
	v_pk_add_f32 v[0:1], v[46:47], v[52:53]
	s_waitcnt vmcnt(12)
	v_mov_b32_e32 v46, v63
	s_waitcnt lgkmcnt(0)
	v_pk_mul_f32 v[46:47], v[58:59], v[46:47] op_sel_hi:[1,0]
	v_pk_fma_f32 v[50:51], v[58:59], v[62:63], v[46:47] op_sel:[0,0,1] op_sel_hi:[1,1,0] neg_lo:[0,0,1] neg_hi:[0,0,1]
	v_pk_fma_f32 v[46:47], v[58:59], v[62:63], v[46:47] op_sel:[0,0,1] op_sel_hi:[1,0,0]
	s_waitcnt vmcnt(11)
	v_mov_b32_e32 v46, v67
	ds_read2_b64 v[38:41], v98 offset0:31 offset1:32
	ds_read2_b64 v[42:45], v98 offset0:33 offset1:34
	ds_read_b64 v[48:49], v98 offset:280
	v_mov_b32_e32 v51, v47
	v_pk_mul_f32 v[46:47], v[60:61], v[46:47] op_sel_hi:[1,0]
	v_pk_add_f32 v[0:1], v[0:1], v[50:51]
	s_waitcnt vmcnt(4)
	v_pk_fma_f32 v[50:51], v[60:61], v[66:67], v[46:47] op_sel:[0,0,1] op_sel_hi:[1,1,0] neg_lo:[0,0,1] neg_hi:[0,0,1]
	v_pk_fma_f32 v[46:47], v[60:61], v[66:67], v[46:47] op_sel:[0,0,1] op_sel_hi:[1,0,0]
	v_mov_b32_e32 v46, v73
	v_mov_b32_e32 v51, v47
	s_waitcnt lgkmcnt(2)
	v_pk_mul_f32 v[46:47], v[38:39], v[46:47] op_sel_hi:[1,0]
	v_pk_add_f32 v[0:1], v[0:1], v[50:51]
	v_pk_fma_f32 v[50:51], v[38:39], v[72:73], v[46:47] op_sel:[0,0,1] op_sel_hi:[1,1,0] neg_lo:[0,0,1] neg_hi:[0,0,1]
	v_pk_fma_f32 v[38:39], v[38:39], v[72:73], v[46:47] op_sel:[0,0,1] op_sel_hi:[1,0,0]
	v_mov_b32_e32 v38, v71
	v_mov_b32_e32 v51, v39
	v_pk_mul_f32 v[38:39], v[40:41], v[38:39] op_sel_hi:[1,0]
	v_pk_fma_f32 v[46:47], v[40:41], v[70:71], v[38:39] op_sel:[0,0,1] op_sel_hi:[1,1,0] neg_lo:[0,0,1] neg_hi:[0,0,1]
	v_pk_fma_f32 v[38:39], v[40:41], v[70:71], v[38:39] op_sel:[0,0,1] op_sel_hi:[1,0,0]
	v_mov_b32_e32 v38, v69
	v_mov_b32_e32 v47, v39
	s_waitcnt lgkmcnt(1)
	v_pk_mul_f32 v[38:39], v[42:43], v[38:39] op_sel_hi:[1,0]
	v_pk_fma_f32 v[40:41], v[42:43], v[68:69], v[38:39] op_sel:[0,0,1] op_sel_hi:[1,1,0] neg_lo:[0,0,1] neg_hi:[0,0,1]
	v_pk_fma_f32 v[38:39], v[42:43], v[68:69], v[38:39] op_sel:[0,0,1] op_sel_hi:[1,0,0]
	v_pk_add_f32 v[0:1], v[0:1], v[50:51]
	s_waitcnt vmcnt(1)
	v_mov_b32_e32 v38, v77
	v_pk_add_f32 v[0:1], v[0:1], v[46:47]
	v_mov_b32_e32 v41, v39
	v_pk_mul_f32 v[38:39], v[44:45], v[38:39] op_sel_hi:[1,0]
	v_pk_add_f32 v[0:1], v[0:1], v[40:41]
	s_waitcnt vmcnt(0)
	v_pk_fma_f32 v[40:41], v[44:45], v[76:77], v[38:39] op_sel:[0,0,1] op_sel_hi:[1,1,0] neg_lo:[0,0,1] neg_hi:[0,0,1]
	v_pk_fma_f32 v[38:39], v[44:45], v[76:77], v[38:39] op_sel:[0,0,1] op_sel_hi:[1,0,0]
	v_mov_b32_e32 v38, v75
	v_mov_b32_e32 v41, v39
	s_waitcnt lgkmcnt(0)
	v_pk_mul_f32 v[38:39], v[48:49], v[38:39] op_sel_hi:[1,0]
	v_pk_add_f32 v[0:1], v[0:1], v[40:41]
	v_pk_fma_f32 v[40:41], v[48:49], v[74:75], v[38:39] op_sel:[0,0,1] op_sel_hi:[1,1,0] neg_lo:[0,0,1] neg_hi:[0,0,1]
	v_pk_fma_f32 v[38:39], v[48:49], v[74:75], v[38:39] op_sel:[0,0,1] op_sel_hi:[1,0,0]
	v_mov_b32_e32 v41, v39
	v_pk_add_f32 v[0:1], v[0:1], v[40:41]
	v_pk_add_f32 v[0:1], v[64:65], v[0:1] neg_lo:[0,1] neg_hi:[0,1]
	buffer_store_dword v1, off, s[0:3], 0 offset:4
	buffer_store_dword v0, off, s[0:3], 0
	s_cbranch_vccz .LBB17_157
; %bb.122:
	v_pk_mov_b32 v[0:1], s[10:11], s[10:11] op_sel:[0,1]
	flat_load_dword v0, v[0:1] offset:64
	s_waitcnt vmcnt(0) lgkmcnt(0)
	v_add_u32_e32 v0, -1, v0
	v_cmp_ne_u32_e32 vcc, 16, v0
	s_and_saveexec_b64 s[4:5], vcc
	s_cbranch_execz .LBB17_124
; %bb.123:
	v_mov_b32_e32 v1, 0
	v_lshl_add_u32 v0, v0, 3, v1
	buffer_load_dword v1, v0, s[0:3], 0 offen
	buffer_load_dword v38, v0, s[0:3], 0 offen offset:4
	buffer_load_dword v39, off, s[0:3], 0 offset:132
	buffer_load_dword v40, off, s[0:3], 0 offset:128
	s_waitcnt vmcnt(3)
	buffer_store_dword v1, off, s[0:3], 0 offset:128
	s_waitcnt vmcnt(3)
	buffer_store_dword v38, off, s[0:3], 0 offset:132
	s_waitcnt vmcnt(3)
	buffer_store_dword v39, v0, s[0:3], 0 offen offset:4
	s_waitcnt vmcnt(3)
	buffer_store_dword v40, v0, s[0:3], 0 offen
.LBB17_124:
	s_or_b64 exec, exec, s[4:5]
	v_pk_mov_b32 v[0:1], s[10:11], s[10:11] op_sel:[0,1]
	flat_load_dword v0, v[0:1] offset:60
	s_waitcnt vmcnt(0) lgkmcnt(0)
	v_add_u32_e32 v0, -1, v0
	v_cmp_ne_u32_e32 vcc, 15, v0
	s_and_saveexec_b64 s[4:5], vcc
	s_cbranch_execz .LBB17_126
; %bb.125:
	v_mov_b32_e32 v1, 0
	v_lshl_add_u32 v0, v0, 3, v1
	buffer_load_dword v1, v0, s[0:3], 0 offen
	buffer_load_dword v38, v0, s[0:3], 0 offen offset:4
	buffer_load_dword v39, off, s[0:3], 0 offset:120
	buffer_load_dword v40, off, s[0:3], 0 offset:124
	s_waitcnt vmcnt(3)
	buffer_store_dword v1, off, s[0:3], 0 offset:120
	s_waitcnt vmcnt(3)
	buffer_store_dword v38, off, s[0:3], 0 offset:124
	s_waitcnt vmcnt(3)
	buffer_store_dword v39, v0, s[0:3], 0 offen
	s_waitcnt vmcnt(3)
	buffer_store_dword v40, v0, s[0:3], 0 offen offset:4
.LBB17_126:
	s_or_b64 exec, exec, s[4:5]
	v_pk_mov_b32 v[0:1], s[10:11], s[10:11] op_sel:[0,1]
	flat_load_dword v0, v[0:1] offset:56
	s_waitcnt vmcnt(0) lgkmcnt(0)
	v_add_u32_e32 v0, -1, v0
	v_cmp_ne_u32_e32 vcc, 14, v0
	s_and_saveexec_b64 s[4:5], vcc
	s_cbranch_execz .LBB17_128
; %bb.127:
	v_mov_b32_e32 v1, 0
	v_lshl_add_u32 v0, v0, 3, v1
	buffer_load_dword v1, v0, s[0:3], 0 offen
	buffer_load_dword v38, v0, s[0:3], 0 offen offset:4
	buffer_load_dword v39, off, s[0:3], 0 offset:116
	buffer_load_dword v40, off, s[0:3], 0 offset:112
	s_waitcnt vmcnt(3)
	buffer_store_dword v1, off, s[0:3], 0 offset:112
	s_waitcnt vmcnt(3)
	buffer_store_dword v38, off, s[0:3], 0 offset:116
	s_waitcnt vmcnt(3)
	buffer_store_dword v39, v0, s[0:3], 0 offen offset:4
	s_waitcnt vmcnt(3)
	buffer_store_dword v40, v0, s[0:3], 0 offen
.LBB17_128:
	s_or_b64 exec, exec, s[4:5]
	v_pk_mov_b32 v[0:1], s[10:11], s[10:11] op_sel:[0,1]
	flat_load_dword v0, v[0:1] offset:52
	s_waitcnt vmcnt(0) lgkmcnt(0)
	v_add_u32_e32 v0, -1, v0
	v_cmp_ne_u32_e32 vcc, 13, v0
	s_and_saveexec_b64 s[4:5], vcc
	s_cbranch_execz .LBB17_130
; %bb.129:
	v_mov_b32_e32 v1, 0
	v_lshl_add_u32 v0, v0, 3, v1
	buffer_load_dword v1, v0, s[0:3], 0 offen
	buffer_load_dword v38, v0, s[0:3], 0 offen offset:4
	buffer_load_dword v39, off, s[0:3], 0 offset:104
	buffer_load_dword v40, off, s[0:3], 0 offset:108
	s_waitcnt vmcnt(3)
	buffer_store_dword v1, off, s[0:3], 0 offset:104
	s_waitcnt vmcnt(3)
	buffer_store_dword v38, off, s[0:3], 0 offset:108
	s_waitcnt vmcnt(3)
	buffer_store_dword v39, v0, s[0:3], 0 offen
	s_waitcnt vmcnt(3)
	buffer_store_dword v40, v0, s[0:3], 0 offen offset:4
.LBB17_130:
	s_or_b64 exec, exec, s[4:5]
	;; [unrolled: 48-line block ×8, first 2 shown]
	v_pk_mov_b32 v[0:1], s[10:11], s[10:11] op_sel:[0,1]
	flat_load_dword v38, v[0:1]
	s_nop 0
	buffer_load_dword v0, off, s[0:3], 0
	buffer_load_dword v1, off, s[0:3], 0 offset:4
	s_waitcnt vmcnt(0) lgkmcnt(0)
	v_add_u32_e32 v38, -1, v38
	v_cmp_ne_u32_e32 vcc, 0, v38
	s_and_saveexec_b64 s[4:5], vcc
	s_cbranch_execz .LBB17_156
; %bb.155:
	v_mov_b32_e32 v39, 0
	v_lshl_add_u32 v38, v38, 3, v39
	buffer_load_dword v39, v38, s[0:3], 0 offen offset:4
	buffer_load_dword v40, v38, s[0:3], 0 offen
	s_waitcnt vmcnt(1)
	buffer_store_dword v39, off, s[0:3], 0 offset:4
	s_waitcnt vmcnt(1)
	buffer_store_dword v40, off, s[0:3], 0
	buffer_store_dword v1, v38, s[0:3], 0 offen offset:4
	buffer_store_dword v0, v38, s[0:3], 0 offen
	buffer_load_dword v0, off, s[0:3], 0
	s_nop 0
	buffer_load_dword v1, off, s[0:3], 0 offset:4
.LBB17_156:
	s_or_b64 exec, exec, s[4:5]
.LBB17_157:
	buffer_load_dword v38, off, s[0:3], 0 offset:8
	buffer_load_dword v39, off, s[0:3], 0 offset:12
	;; [unrolled: 1-line block ×34, first 2 shown]
	s_waitcnt vmcnt(34)
	global_store_dwordx2 v[2:3], v[0:1], off
	s_waitcnt vmcnt(33)
	global_store_dwordx2 v[4:5], v[38:39], off
	;; [unrolled: 2-line block ×18, first 2 shown]
	s_endpgm
	.section	.rodata,"a",@progbits
	.p2align	6, 0x0
	.amdhsa_kernel _ZN9rocsolver6v33100L18getri_kernel_smallILi18E19rocblas_complex_numIfEPS3_EEvT1_iilPiilS6_bb
		.amdhsa_group_segment_fixed_size 292
		.amdhsa_private_segment_fixed_size 160
		.amdhsa_kernarg_size 60
		.amdhsa_user_sgpr_count 8
		.amdhsa_user_sgpr_private_segment_buffer 1
		.amdhsa_user_sgpr_dispatch_ptr 0
		.amdhsa_user_sgpr_queue_ptr 0
		.amdhsa_user_sgpr_kernarg_segment_ptr 1
		.amdhsa_user_sgpr_dispatch_id 0
		.amdhsa_user_sgpr_flat_scratch_init 1
		.amdhsa_user_sgpr_kernarg_preload_length 0
		.amdhsa_user_sgpr_kernarg_preload_offset 0
		.amdhsa_user_sgpr_private_segment_size 0
		.amdhsa_uses_dynamic_stack 0
		.amdhsa_system_sgpr_private_segment_wavefront_offset 1
		.amdhsa_system_sgpr_workgroup_id_x 1
		.amdhsa_system_sgpr_workgroup_id_y 0
		.amdhsa_system_sgpr_workgroup_id_z 0
		.amdhsa_system_sgpr_workgroup_info 0
		.amdhsa_system_vgpr_workitem_id 0
		.amdhsa_next_free_vgpr 113
		.amdhsa_next_free_sgpr 23
		.amdhsa_accum_offset 116
		.amdhsa_reserve_vcc 1
		.amdhsa_reserve_flat_scratch 1
		.amdhsa_float_round_mode_32 0
		.amdhsa_float_round_mode_16_64 0
		.amdhsa_float_denorm_mode_32 3
		.amdhsa_float_denorm_mode_16_64 3
		.amdhsa_dx10_clamp 1
		.amdhsa_ieee_mode 1
		.amdhsa_fp16_overflow 0
		.amdhsa_tg_split 0
		.amdhsa_exception_fp_ieee_invalid_op 0
		.amdhsa_exception_fp_denorm_src 0
		.amdhsa_exception_fp_ieee_div_zero 0
		.amdhsa_exception_fp_ieee_overflow 0
		.amdhsa_exception_fp_ieee_underflow 0
		.amdhsa_exception_fp_ieee_inexact 0
		.amdhsa_exception_int_div_zero 0
	.end_amdhsa_kernel
	.section	.text._ZN9rocsolver6v33100L18getri_kernel_smallILi18E19rocblas_complex_numIfEPS3_EEvT1_iilPiilS6_bb,"axG",@progbits,_ZN9rocsolver6v33100L18getri_kernel_smallILi18E19rocblas_complex_numIfEPS3_EEvT1_iilPiilS6_bb,comdat
.Lfunc_end17:
	.size	_ZN9rocsolver6v33100L18getri_kernel_smallILi18E19rocblas_complex_numIfEPS3_EEvT1_iilPiilS6_bb, .Lfunc_end17-_ZN9rocsolver6v33100L18getri_kernel_smallILi18E19rocblas_complex_numIfEPS3_EEvT1_iilPiilS6_bb
                                        ; -- End function
	.section	.AMDGPU.csdata,"",@progbits
; Kernel info:
; codeLenInByte = 20308
; NumSgprs: 29
; NumVgprs: 113
; NumAgprs: 0
; TotalNumVgprs: 113
; ScratchSize: 160
; MemoryBound: 0
; FloatMode: 240
; IeeeMode: 1
; LDSByteSize: 292 bytes/workgroup (compile time only)
; SGPRBlocks: 3
; VGPRBlocks: 14
; NumSGPRsForWavesPerEU: 29
; NumVGPRsForWavesPerEU: 113
; AccumOffset: 116
; Occupancy: 4
; WaveLimiterHint : 1
; COMPUTE_PGM_RSRC2:SCRATCH_EN: 1
; COMPUTE_PGM_RSRC2:USER_SGPR: 8
; COMPUTE_PGM_RSRC2:TRAP_HANDLER: 0
; COMPUTE_PGM_RSRC2:TGID_X_EN: 1
; COMPUTE_PGM_RSRC2:TGID_Y_EN: 0
; COMPUTE_PGM_RSRC2:TGID_Z_EN: 0
; COMPUTE_PGM_RSRC2:TIDIG_COMP_CNT: 0
; COMPUTE_PGM_RSRC3_GFX90A:ACCUM_OFFSET: 28
; COMPUTE_PGM_RSRC3_GFX90A:TG_SPLIT: 0
	.section	.text._ZN9rocsolver6v33100L18getri_kernel_smallILi19E19rocblas_complex_numIfEPS3_EEvT1_iilPiilS6_bb,"axG",@progbits,_ZN9rocsolver6v33100L18getri_kernel_smallILi19E19rocblas_complex_numIfEPS3_EEvT1_iilPiilS6_bb,comdat
	.globl	_ZN9rocsolver6v33100L18getri_kernel_smallILi19E19rocblas_complex_numIfEPS3_EEvT1_iilPiilS6_bb ; -- Begin function _ZN9rocsolver6v33100L18getri_kernel_smallILi19E19rocblas_complex_numIfEPS3_EEvT1_iilPiilS6_bb
	.p2align	8
	.type	_ZN9rocsolver6v33100L18getri_kernel_smallILi19E19rocblas_complex_numIfEPS3_EEvT1_iilPiilS6_bb,@function
_ZN9rocsolver6v33100L18getri_kernel_smallILi19E19rocblas_complex_numIfEPS3_EEvT1_iilPiilS6_bb: ; @_ZN9rocsolver6v33100L18getri_kernel_smallILi19E19rocblas_complex_numIfEPS3_EEvT1_iilPiilS6_bb
; %bb.0:
	s_add_u32 flat_scratch_lo, s6, s9
	s_addc_u32 flat_scratch_hi, s7, 0
	s_add_u32 s0, s0, s9
	s_addc_u32 s1, s1, 0
	v_cmp_gt_u32_e32 vcc, 19, v0
	s_and_saveexec_b64 s[6:7], vcc
	s_cbranch_execz .LBB18_90
; %bb.1:
	s_load_dword s22, s[4:5], 0x38
	s_load_dwordx4 s[16:19], s[4:5], 0x10
	s_load_dwordx4 s[12:15], s[4:5], 0x28
                                        ; implicit-def: $sgpr10_sgpr11
	s_waitcnt lgkmcnt(0)
	s_bitcmp1_b32 s22, 8
	s_cselect_b64 s[20:21], -1, 0
	s_ashr_i32 s9, s8, 31
	s_bfe_u32 s6, s22, 0x10008
	s_cmp_eq_u32 s6, 0
	s_cbranch_scc1 .LBB18_3
; %bb.2:
	s_load_dword s6, s[4:5], 0x20
	s_mul_i32 s7, s8, s13
	s_mul_hi_u32 s10, s8, s12
	s_mul_i32 s11, s9, s12
	s_add_i32 s10, s10, s7
	s_add_i32 s11, s10, s11
	s_mul_i32 s10, s8, s12
	s_waitcnt lgkmcnt(0)
	s_ashr_i32 s7, s6, 31
	s_lshl_b64 s[10:11], s[10:11], 2
	s_add_u32 s10, s18, s10
	s_addc_u32 s11, s19, s11
	s_lshl_b64 s[6:7], s[6:7], 2
	s_add_u32 s10, s10, s6
	s_addc_u32 s11, s11, s7
.LBB18_3:
	s_load_dwordx4 s[4:7], s[4:5], 0x0
	s_mul_i32 s12, s8, s17
	s_mul_hi_u32 s13, s8, s16
	s_add_i32 s17, s13, s12
	v_lshlrev_b32_e32 v50, 3, v0
	s_waitcnt lgkmcnt(0)
	s_ashr_i32 s13, s6, 31
	s_mov_b32 s12, s6
	s_mul_i32 s6, s9, s16
	s_add_i32 s17, s17, s6
	s_mul_i32 s16, s8, s16
	s_lshl_b64 s[16:17], s[16:17], 3
	s_add_u32 s6, s4, s16
	s_addc_u32 s16, s5, s17
	s_lshl_b64 s[4:5], s[12:13], 3
	s_add_u32 s4, s6, s4
	s_addc_u32 s5, s16, s5
	v_mov_b32_e32 v1, s5
	v_add_co_u32_e32 v2, vcc, s4, v50
	s_ashr_i32 s13, s7, 31
	s_mov_b32 s12, s7
	s_add_i32 s6, s7, s7
	v_addc_co_u32_e32 v3, vcc, 0, v1, vcc
	s_lshl_b64 s[12:13], s[12:13], 3
	v_add_u32_e32 v8, s6, v0
	v_mov_b32_e32 v1, s13
	v_add_co_u32_e32 v4, vcc, s12, v2
	v_ashrrev_i32_e32 v9, 31, v8
	v_addc_co_u32_e32 v5, vcc, v3, v1, vcc
	v_lshlrev_b64 v[6:7], 3, v[8:9]
	v_add_u32_e32 v10, s7, v8
	v_mov_b32_e32 v1, s5
	v_add_co_u32_e32 v6, vcc, s4, v6
	v_ashrrev_i32_e32 v11, 31, v10
	v_addc_co_u32_e32 v7, vcc, v1, v7, vcc
	v_lshlrev_b64 v[8:9], 3, v[10:11]
	v_add_u32_e32 v12, s7, v10
	v_add_co_u32_e32 v8, vcc, s4, v8
	v_ashrrev_i32_e32 v13, 31, v12
	v_addc_co_u32_e32 v9, vcc, v1, v9, vcc
	v_lshlrev_b64 v[10:11], 3, v[12:13]
	v_add_u32_e32 v14, s7, v12
	;; [unrolled: 5-line block ×5, first 2 shown]
	v_add_co_u32_e32 v16, vcc, s4, v16
	v_ashrrev_i32_e32 v19, 31, v18
	v_addc_co_u32_e32 v17, vcc, v1, v17, vcc
	v_add_u32_e32 v20, s7, v18
	v_lshlrev_b64 v[18:19], 3, v[18:19]
	v_mov_b32_e32 v21, s5
	v_add_co_u32_e32 v18, vcc, s4, v18
	v_addc_co_u32_e32 v19, vcc, v21, v19, vcc
	v_ashrrev_i32_e32 v21, 31, v20
	v_add_u32_e32 v22, s7, v20
	v_lshlrev_b64 v[20:21], 3, v[20:21]
	v_mov_b32_e32 v23, s5
	v_add_co_u32_e32 v20, vcc, s4, v20
	v_addc_co_u32_e32 v21, vcc, v23, v21, vcc
	v_ashrrev_i32_e32 v23, 31, v22
	v_add_u32_e32 v24, s7, v22
	v_lshlrev_b64 v[22:23], 3, v[22:23]
	v_mov_b32_e32 v25, s5
	v_add_co_u32_e32 v22, vcc, s4, v22
	v_addc_co_u32_e32 v23, vcc, v25, v23, vcc
	v_ashrrev_i32_e32 v25, 31, v24
	v_add_u32_e32 v26, s7, v24
	v_lshlrev_b64 v[24:25], 3, v[24:25]
	v_mov_b32_e32 v27, s5
	v_add_co_u32_e32 v24, vcc, s4, v24
	v_addc_co_u32_e32 v25, vcc, v27, v25, vcc
	v_ashrrev_i32_e32 v27, 31, v26
	v_add_u32_e32 v28, s7, v26
	v_lshlrev_b64 v[26:27], 3, v[26:27]
	v_mov_b32_e32 v29, s5
	v_add_co_u32_e32 v26, vcc, s4, v26
	v_addc_co_u32_e32 v27, vcc, v29, v27, vcc
	v_ashrrev_i32_e32 v29, 31, v28
	v_add_u32_e32 v30, s7, v28
	v_lshlrev_b64 v[28:29], 3, v[28:29]
	v_mov_b32_e32 v31, s5
	v_add_co_u32_e32 v28, vcc, s4, v28
	v_addc_co_u32_e32 v29, vcc, v31, v29, vcc
	v_ashrrev_i32_e32 v31, 31, v30
	v_add_u32_e32 v32, s7, v30
	v_lshlrev_b64 v[30:31], 3, v[30:31]
	v_mov_b32_e32 v33, s5
	v_add_co_u32_e32 v30, vcc, s4, v30
	v_addc_co_u32_e32 v31, vcc, v33, v31, vcc
	v_ashrrev_i32_e32 v33, 31, v32
	v_add_u32_e32 v34, s7, v32
	v_lshlrev_b64 v[32:33], 3, v[32:33]
	v_mov_b32_e32 v35, s5
	v_add_co_u32_e32 v32, vcc, s4, v32
	v_addc_co_u32_e32 v33, vcc, v35, v33, vcc
	v_ashrrev_i32_e32 v35, 31, v34
	v_add_u32_e32 v36, s7, v34
	v_lshlrev_b64 v[34:35], 3, v[34:35]
	v_mov_b32_e32 v37, s5
	v_add_co_u32_e32 v34, vcc, s4, v34
	v_addc_co_u32_e32 v35, vcc, v37, v35, vcc
	v_ashrrev_i32_e32 v37, 31, v36
	v_add_u32_e32 v38, s7, v36
	v_lshlrev_b64 v[36:37], 3, v[36:37]
	v_mov_b32_e32 v51, s5
	v_add_co_u32_e32 v36, vcc, s4, v36
	global_load_dwordx2 v[40:41], v50, s[4:5]
	global_load_dwordx2 v[48:49], v[4:5], off
	global_load_dwordx2 v[44:45], v[6:7], off
	;; [unrolled: 1-line block ×13, first 2 shown]
	v_addc_co_u32_e32 v37, vcc, v51, v37, vcc
	global_load_dwordx2 v[70:71], v[30:31], off
	global_load_dwordx2 v[72:73], v[32:33], off
	;; [unrolled: 1-line block ×4, first 2 shown]
	v_ashrrev_i32_e32 v39, 31, v38
	v_lshlrev_b64 v[38:39], 3, v[38:39]
	v_add_co_u32_e32 v38, vcc, s4, v38
	v_addc_co_u32_e32 v39, vcc, v1, v39, vcc
	global_load_dwordx2 v[78:79], v[38:39], off
	s_bitcmp0_b32 s22, 0
	s_mov_b64 s[6:7], -1
	s_waitcnt vmcnt(18)
	buffer_store_dword v41, off, s[0:3], 0 offset:4
	buffer_store_dword v40, off, s[0:3], 0
	s_waitcnt vmcnt(19)
	buffer_store_dword v49, off, s[0:3], 0 offset:12
	buffer_store_dword v48, off, s[0:3], 0 offset:8
	s_waitcnt vmcnt(20)
	buffer_store_dword v45, off, s[0:3], 0 offset:20
	buffer_store_dword v44, off, s[0:3], 0 offset:16
	;; [unrolled: 3-line block ×18, first 2 shown]
	s_cbranch_scc1 .LBB18_88
; %bb.4:
	v_cmp_eq_u32_e64 s[4:5], 0, v0
	s_and_saveexec_b64 s[6:7], s[4:5]
	s_cbranch_execz .LBB18_6
; %bb.5:
	v_mov_b32_e32 v1, 0
	ds_write_b32 v1, v1 offset:152
.LBB18_6:
	s_or_b64 exec, exec, s[6:7]
	v_mov_b32_e32 v1, 0
	v_lshl_add_u32 v44, v0, 3, v1
	s_waitcnt lgkmcnt(0)
	; wave barrier
	s_waitcnt lgkmcnt(0)
	buffer_load_dword v1, v44, s[0:3], 0 offen
	buffer_load_dword v40, v44, s[0:3], 0 offen offset:4
	s_waitcnt vmcnt(1)
	v_cmp_eq_f32_e32 vcc, 0, v1
	s_waitcnt vmcnt(0)
	v_cmp_eq_f32_e64 s[6:7], 0, v40
	s_and_b64 s[6:7], vcc, s[6:7]
	s_and_saveexec_b64 s[12:13], s[6:7]
	s_cbranch_execz .LBB18_10
; %bb.7:
	v_mov_b32_e32 v1, 0
	ds_read_b32 v41, v1 offset:152
	v_add_u32_e32 v40, 1, v0
	s_waitcnt lgkmcnt(0)
	v_readfirstlane_b32 s6, v41
	s_cmp_eq_u32 s6, 0
	s_cselect_b64 s[16:17], -1, 0
	v_cmp_gt_i32_e32 vcc, s6, v40
	s_or_b64 s[16:17], s[16:17], vcc
	s_and_b64 exec, exec, s[16:17]
	s_cbranch_execz .LBB18_10
; %bb.8:
	s_mov_b64 s[16:17], 0
	v_mov_b32_e32 v41, s6
.LBB18_9:                               ; =>This Inner Loop Header: Depth=1
	ds_cmpst_rtn_b32 v41, v1, v41, v40 offset:152
	s_waitcnt lgkmcnt(0)
	v_cmp_ne_u32_e32 vcc, 0, v41
	v_cmp_le_i32_e64 s[6:7], v41, v40
	s_and_b64 s[6:7], vcc, s[6:7]
	s_and_b64 s[6:7], exec, s[6:7]
	s_or_b64 s[16:17], s[6:7], s[16:17]
	s_andn2_b64 exec, exec, s[16:17]
	s_cbranch_execnz .LBB18_9
.LBB18_10:
	s_or_b64 exec, exec, s[12:13]
	v_mov_b32_e32 v40, 0
	s_waitcnt lgkmcnt(0)
	; wave barrier
	ds_read_b32 v1, v40 offset:152
	s_and_saveexec_b64 s[6:7], s[4:5]
	s_cbranch_execz .LBB18_12
; %bb.11:
	s_lshl_b64 s[12:13], s[8:9], 2
	s_add_u32 s12, s14, s12
	s_addc_u32 s13, s15, s13
	s_waitcnt lgkmcnt(0)
	global_store_dword v40, v1, s[12:13]
.LBB18_12:
	s_or_b64 exec, exec, s[6:7]
	s_waitcnt lgkmcnt(0)
	v_cmp_ne_u32_e32 vcc, 0, v1
	s_mov_b64 s[6:7], 0
	s_cbranch_vccnz .LBB18_88
; %bb.13:
	buffer_load_dword v45, v44, s[0:3], 0 offen offset:4
	buffer_load_dword v41, v44, s[0:3], 0 offen
	s_waitcnt vmcnt(1)
	v_cmp_gt_f32_e32 vcc, 0, v45
	v_cndmask_b32_e64 v1, v45, -v45, vcc
	s_waitcnt vmcnt(0)
	v_cmp_gt_f32_e32 vcc, 0, v41
	v_cndmask_b32_e64 v40, v41, -v41, vcc
	v_cmp_ngt_f32_e32 vcc, v40, v1
                                        ; implicit-def: $vgpr1
                                        ; implicit-def: $vgpr40
	s_and_saveexec_b64 s[6:7], vcc
	s_xor_b64 s[6:7], exec, s[6:7]
                                        ; implicit-def: $vgpr42_vgpr43
	s_cbranch_execz .LBB18_15
; %bb.14:
	v_div_scale_f32 v1, s[12:13], v45, v45, v41
	v_rcp_f32_e32 v40, v1
	v_div_scale_f32 v42, vcc, v41, v45, v41
	v_fma_f32 v43, -v1, v40, 1.0
	v_fmac_f32_e32 v40, v43, v40
	v_mul_f32_e32 v43, v42, v40
	v_fma_f32 v46, -v1, v43, v42
	v_fmac_f32_e32 v43, v46, v40
	v_fma_f32 v1, -v1, v43, v42
	v_div_fmas_f32 v1, v1, v40, v43
	v_div_fixup_f32 v40, v1, v45, v41
	v_fmac_f32_e32 v45, v41, v40
	v_div_scale_f32 v1, s[12:13], v45, v45, -1.0
	v_rcp_f32_e32 v41, v1
	v_fma_f32 v42, -v1, v41, 1.0
	v_fmac_f32_e32 v41, v42, v41
	v_div_scale_f32 v42, vcc, -1.0, v45, -1.0
	v_mul_f32_e32 v43, v42, v41
	v_fma_f32 v46, -v1, v43, v42
	v_fmac_f32_e32 v43, v46, v41
	v_fma_f32 v1, -v1, v43, v42
	v_div_fmas_f32 v1, v1, v41, v43
	v_div_fixup_f32 v1, v1, v45, -1.0
	v_mul_f32_e32 v40, v40, v1
	v_xor_b32_e32 v42, 0x80000000, v40
                                        ; implicit-def: $vgpr41
                                        ; implicit-def: $vgpr45
.LBB18_15:
	s_andn2_saveexec_b64 s[6:7], s[6:7]
	s_cbranch_execz .LBB18_17
; %bb.16:
	v_div_scale_f32 v1, s[12:13], v41, v41, v45
	v_rcp_f32_e32 v40, v1
	v_div_scale_f32 v42, vcc, v45, v41, v45
	v_fma_f32 v43, -v1, v40, 1.0
	v_fmac_f32_e32 v40, v43, v40
	v_mul_f32_e32 v43, v42, v40
	v_fma_f32 v46, -v1, v43, v42
	v_fmac_f32_e32 v43, v46, v40
	v_fma_f32 v1, -v1, v43, v42
	v_div_fmas_f32 v1, v1, v40, v43
	v_div_fixup_f32 v1, v1, v41, v45
	v_fmac_f32_e32 v41, v45, v1
	v_div_scale_f32 v40, s[12:13], v41, v41, 1.0
	v_rcp_f32_e32 v42, v40
	v_fma_f32 v43, -v40, v42, 1.0
	v_fmac_f32_e32 v42, v43, v42
	v_div_scale_f32 v43, vcc, 1.0, v41, 1.0
	v_mul_f32_e32 v45, v43, v42
	v_fma_f32 v46, -v40, v45, v43
	v_fmac_f32_e32 v45, v46, v42
	v_fma_f32 v40, -v40, v45, v43
	v_div_fmas_f32 v40, v40, v42, v45
	v_div_fixup_f32 v42, v40, v41, 1.0
	v_xor_b32_e32 v40, 0x80000000, v42
	v_mul_f32_e64 v1, v1, -v42
.LBB18_17:
	s_or_b64 exec, exec, s[6:7]
	buffer_store_dword v1, v44, s[0:3], 0 offen offset:4
	buffer_store_dword v42, v44, s[0:3], 0 offen
	buffer_load_dword v43, off, s[0:3], 0 offset:12
	s_nop 0
	buffer_load_dword v42, off, s[0:3], 0 offset:8
	v_xor_b32_e32 v41, 0x80000000, v1
	v_add_u32_e32 v1, 0xa0, v50
	s_waitcnt vmcnt(0)
	ds_write2_b64 v50, v[40:41], v[42:43] offset1:20
	s_waitcnt lgkmcnt(0)
	; wave barrier
	s_waitcnt lgkmcnt(0)
	s_and_saveexec_b64 s[6:7], s[4:5]
	s_cbranch_execz .LBB18_19
; %bb.18:
	buffer_load_dword v45, v44, s[0:3], 0 offen offset:4
	buffer_load_dword v46, v44, s[0:3], 0 offen
	ds_read_b64 v[40:41], v1
	v_mov_b32_e32 v42, 0
	ds_read_b64 v[42:43], v42 offset:8
	s_waitcnt vmcnt(1) lgkmcnt(1)
	v_mul_f32_e32 v47, v41, v45
	v_mul_f32_e32 v45, v40, v45
	s_waitcnt vmcnt(0)
	v_fmac_f32_e32 v45, v41, v46
	v_fma_f32 v40, v40, v46, -v47
	v_add_f32_e32 v41, 0, v45
	v_add_f32_e32 v40, 0, v40
	s_waitcnt lgkmcnt(0)
	v_mul_f32_e32 v45, v41, v43
	v_mul_f32_e32 v43, v40, v43
	v_fma_f32 v40, v40, v42, -v45
	v_fmac_f32_e32 v43, v41, v42
	buffer_store_dword v40, off, s[0:3], 0 offset:8
	buffer_store_dword v43, off, s[0:3], 0 offset:12
.LBB18_19:
	s_or_b64 exec, exec, s[6:7]
	s_waitcnt lgkmcnt(0)
	; wave barrier
	buffer_load_dword v40, off, s[0:3], 0 offset:16
	buffer_load_dword v41, off, s[0:3], 0 offset:20
	v_cmp_gt_u32_e32 vcc, 2, v0
	s_waitcnt vmcnt(0)
	ds_write_b64 v1, v[40:41]
	s_waitcnt lgkmcnt(0)
	; wave barrier
	s_waitcnt lgkmcnt(0)
	s_and_saveexec_b64 s[6:7], vcc
	s_cbranch_execz .LBB18_23
; %bb.20:
	buffer_load_dword v42, v44, s[0:3], 0 offen offset:4
	buffer_load_dword v43, v44, s[0:3], 0 offen
	ds_read_b64 v[40:41], v1
	s_waitcnt vmcnt(1) lgkmcnt(0)
	v_mul_f32_e32 v44, v41, v42
	v_mul_f32_e32 v42, v40, v42
	s_waitcnt vmcnt(0)
	v_fma_f32 v40, v40, v43, -v44
	v_fmac_f32_e32 v42, v41, v43
	v_add_f32_e32 v41, 0, v40
	v_add_f32_e32 v40, 0, v42
	s_and_saveexec_b64 s[12:13], s[4:5]
	s_cbranch_execz .LBB18_22
; %bb.21:
	buffer_load_dword v44, off, s[0:3], 0 offset:12
	buffer_load_dword v45, off, s[0:3], 0 offset:8
	v_mov_b32_e32 v42, 0
	ds_read_b64 v[42:43], v42 offset:168
	s_waitcnt vmcnt(1) lgkmcnt(0)
	v_mul_f32_e32 v46, v42, v44
	v_mul_f32_e32 v44, v43, v44
	s_waitcnt vmcnt(0)
	v_fmac_f32_e32 v46, v43, v45
	v_fma_f32 v42, v42, v45, -v44
	v_add_f32_e32 v40, v40, v46
	v_add_f32_e32 v41, v41, v42
.LBB18_22:
	s_or_b64 exec, exec, s[12:13]
	v_mov_b32_e32 v42, 0
	ds_read_b64 v[42:43], v42 offset:16
	s_waitcnt lgkmcnt(0)
	v_mul_f32_e32 v44, v40, v43
	v_mul_f32_e32 v43, v41, v43
	v_fma_f32 v41, v41, v42, -v44
	v_fmac_f32_e32 v43, v40, v42
	buffer_store_dword v41, off, s[0:3], 0 offset:16
	buffer_store_dword v43, off, s[0:3], 0 offset:20
.LBB18_23:
	s_or_b64 exec, exec, s[6:7]
	s_waitcnt lgkmcnt(0)
	; wave barrier
	buffer_load_dword v40, off, s[0:3], 0 offset:24
	buffer_load_dword v41, off, s[0:3], 0 offset:28
	v_cmp_gt_u32_e32 vcc, 3, v0
	s_waitcnt vmcnt(0)
	ds_write_b64 v1, v[40:41]
	v_add_u32_e32 v40, -1, v0
	s_waitcnt lgkmcnt(0)
	; wave barrier
	s_waitcnt lgkmcnt(0)
	s_and_saveexec_b64 s[4:5], vcc
	s_cbranch_execz .LBB18_27
; %bb.24:
	v_add_u32_e32 v42, -1, v0
	v_add_u32_e32 v43, 0xa0, v50
	v_add_u32_e32 v44, 0, v50
	s_mov_b64 s[6:7], 0
	v_mov_b32_e32 v41, 0
	v_mov_b32_e32 v45, 0
.LBB18_25:                              ; =>This Inner Loop Header: Depth=1
	buffer_load_dword v48, v44, s[0:3], 0 offen offset:4
	buffer_load_dword v49, v44, s[0:3], 0 offen
	ds_read_b64 v[46:47], v43
	v_add_u32_e32 v42, 1, v42
	v_cmp_lt_u32_e32 vcc, 1, v42
	v_add_u32_e32 v43, 8, v43
	v_add_u32_e32 v44, 8, v44
	s_or_b64 s[6:7], vcc, s[6:7]
	s_waitcnt vmcnt(1) lgkmcnt(0)
	v_mul_f32_e32 v51, v47, v48
	v_mul_f32_e32 v48, v46, v48
	s_waitcnt vmcnt(0)
	v_fma_f32 v46, v46, v49, -v51
	v_fmac_f32_e32 v48, v47, v49
	v_add_f32_e32 v45, v45, v46
	v_add_f32_e32 v41, v41, v48
	s_andn2_b64 exec, exec, s[6:7]
	s_cbranch_execnz .LBB18_25
; %bb.26:
	s_or_b64 exec, exec, s[6:7]
	v_mov_b32_e32 v42, 0
	ds_read_b64 v[42:43], v42 offset:24
	s_waitcnt lgkmcnt(0)
	v_mul_f32_e32 v44, v41, v43
	v_mul_f32_e32 v43, v45, v43
	v_fma_f32 v44, v45, v42, -v44
	v_fmac_f32_e32 v43, v41, v42
	buffer_store_dword v44, off, s[0:3], 0 offset:24
	buffer_store_dword v43, off, s[0:3], 0 offset:28
.LBB18_27:
	s_or_b64 exec, exec, s[4:5]
	s_waitcnt lgkmcnt(0)
	; wave barrier
	buffer_load_dword v42, off, s[0:3], 0 offset:32
	buffer_load_dword v43, off, s[0:3], 0 offset:36
	v_cmp_gt_u32_e32 vcc, 4, v0
	s_waitcnt vmcnt(0)
	ds_write_b64 v1, v[42:43]
	s_waitcnt lgkmcnt(0)
	; wave barrier
	s_waitcnt lgkmcnt(0)
	s_and_saveexec_b64 s[4:5], vcc
	s_cbranch_execz .LBB18_31
; %bb.28:
	v_add_u32_e32 v42, -1, v0
	v_add_u32_e32 v43, 0xa0, v50
	v_add_u32_e32 v44, 0, v50
	s_mov_b64 s[6:7], 0
	v_mov_b32_e32 v41, 0
	v_mov_b32_e32 v45, 0
.LBB18_29:                              ; =>This Inner Loop Header: Depth=1
	buffer_load_dword v48, v44, s[0:3], 0 offen offset:4
	buffer_load_dword v49, v44, s[0:3], 0 offen
	ds_read_b64 v[46:47], v43
	v_add_u32_e32 v42, 1, v42
	v_cmp_lt_u32_e32 vcc, 2, v42
	v_add_u32_e32 v43, 8, v43
	v_add_u32_e32 v44, 8, v44
	s_or_b64 s[6:7], vcc, s[6:7]
	s_waitcnt vmcnt(1) lgkmcnt(0)
	v_mul_f32_e32 v51, v47, v48
	v_mul_f32_e32 v48, v46, v48
	s_waitcnt vmcnt(0)
	v_fma_f32 v46, v46, v49, -v51
	v_fmac_f32_e32 v48, v47, v49
	v_add_f32_e32 v45, v45, v46
	v_add_f32_e32 v41, v41, v48
	s_andn2_b64 exec, exec, s[6:7]
	s_cbranch_execnz .LBB18_29
; %bb.30:
	s_or_b64 exec, exec, s[6:7]
	v_mov_b32_e32 v42, 0
	ds_read_b64 v[42:43], v42 offset:32
	s_waitcnt lgkmcnt(0)
	v_mul_f32_e32 v44, v41, v43
	v_mul_f32_e32 v43, v45, v43
	v_fma_f32 v44, v45, v42, -v44
	v_fmac_f32_e32 v43, v41, v42
	buffer_store_dword v44, off, s[0:3], 0 offset:32
	buffer_store_dword v43, off, s[0:3], 0 offset:36
.LBB18_31:
	s_or_b64 exec, exec, s[4:5]
	s_waitcnt lgkmcnt(0)
	; wave barrier
	buffer_load_dword v42, off, s[0:3], 0 offset:40
	buffer_load_dword v43, off, s[0:3], 0 offset:44
	v_cmp_gt_u32_e32 vcc, 5, v0
	s_waitcnt vmcnt(0)
	ds_write_b64 v1, v[42:43]
	;; [unrolled: 51-line block ×14, first 2 shown]
	s_waitcnt lgkmcnt(0)
	; wave barrier
	s_waitcnt lgkmcnt(0)
	s_and_saveexec_b64 s[4:5], vcc
	s_cbranch_execz .LBB18_83
; %bb.80:
	v_add_u32_e32 v42, -1, v0
	v_add_u32_e32 v43, 0xa0, v50
	v_add_u32_e32 v44, 0, v50
	s_mov_b64 s[6:7], 0
	v_mov_b32_e32 v41, 0
	v_mov_b32_e32 v45, 0
.LBB18_81:                              ; =>This Inner Loop Header: Depth=1
	buffer_load_dword v48, v44, s[0:3], 0 offen offset:4
	buffer_load_dword v49, v44, s[0:3], 0 offen
	ds_read_b64 v[46:47], v43
	v_add_u32_e32 v42, 1, v42
	v_cmp_lt_u32_e32 vcc, 15, v42
	v_add_u32_e32 v43, 8, v43
	v_add_u32_e32 v44, 8, v44
	s_or_b64 s[6:7], vcc, s[6:7]
	s_waitcnt vmcnt(1) lgkmcnt(0)
	v_mul_f32_e32 v51, v47, v48
	v_mul_f32_e32 v48, v46, v48
	s_waitcnt vmcnt(0)
	v_fma_f32 v46, v46, v49, -v51
	v_fmac_f32_e32 v48, v47, v49
	v_add_f32_e32 v45, v45, v46
	v_add_f32_e32 v41, v41, v48
	s_andn2_b64 exec, exec, s[6:7]
	s_cbranch_execnz .LBB18_81
; %bb.82:
	s_or_b64 exec, exec, s[6:7]
	v_mov_b32_e32 v42, 0
	ds_read_b64 v[42:43], v42 offset:136
	s_waitcnt lgkmcnt(0)
	v_mul_f32_e32 v44, v41, v43
	v_mul_f32_e32 v43, v45, v43
	v_fma_f32 v44, v45, v42, -v44
	v_fmac_f32_e32 v43, v41, v42
	buffer_store_dword v44, off, s[0:3], 0 offset:136
	buffer_store_dword v43, off, s[0:3], 0 offset:140
.LBB18_83:
	s_or_b64 exec, exec, s[4:5]
	s_waitcnt lgkmcnt(0)
	; wave barrier
	buffer_load_dword v42, off, s[0:3], 0 offset:144
	buffer_load_dword v43, off, s[0:3], 0 offset:148
	v_cmp_ne_u32_e32 vcc, 18, v0
	s_waitcnt vmcnt(0)
	ds_write_b64 v1, v[42:43]
	s_waitcnt lgkmcnt(0)
	; wave barrier
	s_waitcnt lgkmcnt(0)
	s_and_saveexec_b64 s[4:5], vcc
	s_cbranch_execz .LBB18_87
; %bb.84:
	v_add_u32_e32 v41, 0xa0, v50
	v_add_u32_e32 v42, 0, v50
	s_mov_b64 s[6:7], 0
	v_mov_b32_e32 v1, 0
	v_mov_b32_e32 v43, 0
.LBB18_85:                              ; =>This Inner Loop Header: Depth=1
	buffer_load_dword v46, v42, s[0:3], 0 offen offset:4
	buffer_load_dword v47, v42, s[0:3], 0 offen
	ds_read_b64 v[44:45], v41
	v_add_u32_e32 v40, 1, v40
	v_cmp_lt_u32_e32 vcc, 16, v40
	v_add_u32_e32 v41, 8, v41
	v_add_u32_e32 v42, 8, v42
	s_or_b64 s[6:7], vcc, s[6:7]
	s_waitcnt vmcnt(1) lgkmcnt(0)
	v_mul_f32_e32 v48, v45, v46
	v_mul_f32_e32 v46, v44, v46
	s_waitcnt vmcnt(0)
	v_fma_f32 v44, v44, v47, -v48
	v_fmac_f32_e32 v46, v45, v47
	v_add_f32_e32 v43, v43, v44
	v_add_f32_e32 v1, v1, v46
	s_andn2_b64 exec, exec, s[6:7]
	s_cbranch_execnz .LBB18_85
; %bb.86:
	s_or_b64 exec, exec, s[6:7]
	v_mov_b32_e32 v40, 0
	ds_read_b64 v[40:41], v40 offset:144
	s_waitcnt lgkmcnt(0)
	v_mul_f32_e32 v42, v1, v41
	v_mul_f32_e32 v41, v43, v41
	v_fma_f32 v42, v43, v40, -v42
	v_fmac_f32_e32 v41, v1, v40
	buffer_store_dword v42, off, s[0:3], 0 offset:144
	buffer_store_dword v41, off, s[0:3], 0 offset:148
.LBB18_87:
	s_or_b64 exec, exec, s[4:5]
	s_mov_b64 s[6:7], -1
	s_waitcnt lgkmcnt(0)
	; wave barrier
.LBB18_88:
	s_and_b64 vcc, exec, s[6:7]
	s_cbranch_vccz .LBB18_90
; %bb.89:
	s_lshl_b64 s[4:5], s[8:9], 2
	s_add_u32 s4, s14, s4
	s_addc_u32 s5, s15, s5
	v_mov_b32_e32 v1, 0
	global_load_dword v1, v1, s[4:5]
	s_waitcnt vmcnt(0)
	v_cmp_ne_u32_e32 vcc, 0, v1
	s_cbranch_vccz .LBB18_91
.LBB18_90:
	s_endpgm
.LBB18_91:
	v_mov_b32_e32 v1, 0xa0
	v_lshl_add_u32 v1, v0, 3, v1
	v_cmp_eq_u32_e32 vcc, 18, v0
	s_and_saveexec_b64 s[4:5], vcc
	s_cbranch_execz .LBB18_93
; %bb.92:
	buffer_load_dword v40, off, s[0:3], 0 offset:136
	buffer_load_dword v41, off, s[0:3], 0 offset:140
	v_mov_b32_e32 v42, 0
	buffer_store_dword v42, off, s[0:3], 0 offset:136
	buffer_store_dword v42, off, s[0:3], 0 offset:140
	s_waitcnt vmcnt(2)
	ds_write_b64 v1, v[40:41]
.LBB18_93:
	s_or_b64 exec, exec, s[4:5]
	s_waitcnt lgkmcnt(0)
	; wave barrier
	s_waitcnt lgkmcnt(0)
	buffer_load_dword v43, off, s[0:3], 0 offset:148
	buffer_load_dword v42, off, s[0:3], 0 offset:144
	buffer_load_dword v44, off, s[0:3], 0 offset:136
	buffer_load_dword v45, off, s[0:3], 0 offset:140
	v_mov_b32_e32 v40, 0
	ds_read_b64 v[46:47], v40 offset:304
	v_cmp_lt_u32_e32 vcc, 16, v0
	s_waitcnt vmcnt(3)
	v_mov_b32_e32 v48, v43
	s_waitcnt lgkmcnt(0)
	v_pk_mul_f32 v[48:49], v[46:47], v[48:49] op_sel_hi:[1,0]
	s_waitcnt vmcnt(2)
	v_pk_fma_f32 v[50:51], v[46:47], v[42:43], v[48:49] op_sel:[0,0,1] op_sel_hi:[1,1,0] neg_lo:[0,0,1] neg_hi:[0,0,1]
	v_pk_fma_f32 v[42:43], v[46:47], v[42:43], v[48:49] op_sel:[0,0,1] op_sel_hi:[1,0,0]
	v_mov_b32_e32 v51, v43
	v_pk_add_f32 v[42:43], v[50:51], 0 op_sel_hi:[1,0]
	s_waitcnt vmcnt(0)
	v_pk_add_f32 v[42:43], v[44:45], v[42:43] neg_lo:[0,1] neg_hi:[0,1]
	buffer_store_dword v42, off, s[0:3], 0 offset:136
	buffer_store_dword v43, off, s[0:3], 0 offset:140
	s_and_saveexec_b64 s[4:5], vcc
	s_cbranch_execz .LBB18_95
; %bb.94:
	buffer_load_dword v42, off, s[0:3], 0 offset:128
	buffer_load_dword v43, off, s[0:3], 0 offset:132
	s_waitcnt vmcnt(0)
	ds_write_b64 v1, v[42:43]
	buffer_store_dword v40, off, s[0:3], 0 offset:128
	buffer_store_dword v40, off, s[0:3], 0 offset:132
.LBB18_95:
	s_or_b64 exec, exec, s[4:5]
	s_waitcnt lgkmcnt(0)
	; wave barrier
	s_waitcnt lgkmcnt(0)
	buffer_load_dword v45, off, s[0:3], 0 offset:140
	buffer_load_dword v47, off, s[0:3], 0 offset:148
	;; [unrolled: 1-line block ×6, first 2 shown]
	ds_read2_b64 v[40:43], v40 offset0:37 offset1:38
	v_cmp_lt_u32_e32 vcc, 15, v0
	s_waitcnt vmcnt(5)
	v_mov_b32_e32 v50, v45
	s_waitcnt vmcnt(4)
	v_mov_b32_e32 v52, v47
	s_waitcnt lgkmcnt(0)
	v_pk_mul_f32 v[50:51], v[40:41], v[50:51] op_sel_hi:[1,0]
	v_pk_mul_f32 v[52:53], v[42:43], v[52:53] op_sel_hi:[1,0]
	s_waitcnt vmcnt(3)
	v_pk_fma_f32 v[54:55], v[40:41], v[44:45], v[50:51] op_sel:[0,0,1] op_sel_hi:[1,1,0] neg_lo:[0,0,1] neg_hi:[0,0,1]
	v_pk_fma_f32 v[40:41], v[40:41], v[44:45], v[50:51] op_sel:[0,0,1] op_sel_hi:[1,0,0]
	s_waitcnt vmcnt(2)
	v_pk_fma_f32 v[44:45], v[42:43], v[46:47], v[52:53] op_sel:[0,0,1] op_sel_hi:[1,1,0] neg_lo:[0,0,1] neg_hi:[0,0,1]
	v_pk_fma_f32 v[42:43], v[42:43], v[46:47], v[52:53] op_sel:[0,0,1] op_sel_hi:[1,0,0]
	v_mov_b32_e32 v55, v41
	v_mov_b32_e32 v45, v43
	v_pk_add_f32 v[40:41], v[54:55], 0 op_sel_hi:[1,0]
	v_pk_add_f32 v[40:41], v[40:41], v[44:45]
	s_waitcnt vmcnt(0)
	v_pk_add_f32 v[40:41], v[48:49], v[40:41] neg_lo:[0,1] neg_hi:[0,1]
	buffer_store_dword v40, off, s[0:3], 0 offset:128
	buffer_store_dword v41, off, s[0:3], 0 offset:132
	s_and_saveexec_b64 s[4:5], vcc
	s_cbranch_execz .LBB18_97
; %bb.96:
	buffer_load_dword v40, off, s[0:3], 0 offset:120
	buffer_load_dword v41, off, s[0:3], 0 offset:124
	v_mov_b32_e32 v42, 0
	buffer_store_dword v42, off, s[0:3], 0 offset:120
	buffer_store_dword v42, off, s[0:3], 0 offset:124
	s_waitcnt vmcnt(2)
	ds_write_b64 v1, v[40:41]
.LBB18_97:
	s_or_b64 exec, exec, s[4:5]
	s_waitcnt lgkmcnt(0)
	; wave barrier
	s_waitcnt lgkmcnt(0)
	buffer_load_dword v47, off, s[0:3], 0 offset:132
	buffer_load_dword v49, off, s[0:3], 0 offset:140
	;; [unrolled: 1-line block ×8, first 2 shown]
	v_mov_b32_e32 v40, 0
	ds_read_b128 v[42:45], v40 offset:288
	ds_read_b64 v[54:55], v40 offset:304
	v_cmp_lt_u32_e32 vcc, 14, v0
	s_waitcnt vmcnt(7)
	v_mov_b32_e32 v56, v47
	s_waitcnt vmcnt(6)
	v_mov_b32_e32 v58, v49
	s_waitcnt lgkmcnt(1)
	v_pk_mul_f32 v[56:57], v[42:43], v[56:57] op_sel_hi:[1,0]
	s_waitcnt vmcnt(5)
	v_mov_b32_e32 v60, v51
	v_pk_mul_f32 v[58:59], v[44:45], v[58:59] op_sel_hi:[1,0]
	s_waitcnt vmcnt(4)
	v_pk_fma_f32 v[62:63], v[42:43], v[46:47], v[56:57] op_sel:[0,0,1] op_sel_hi:[1,1,0] neg_lo:[0,0,1] neg_hi:[0,0,1]
	v_pk_fma_f32 v[42:43], v[42:43], v[46:47], v[56:57] op_sel:[0,0,1] op_sel_hi:[1,0,0]
	s_waitcnt lgkmcnt(0)
	v_pk_mul_f32 v[60:61], v[54:55], v[60:61] op_sel_hi:[1,0]
	s_waitcnt vmcnt(3)
	v_pk_fma_f32 v[46:47], v[44:45], v[48:49], v[58:59] op_sel:[0,0,1] op_sel_hi:[1,1,0] neg_lo:[0,0,1] neg_hi:[0,0,1]
	v_pk_fma_f32 v[44:45], v[44:45], v[48:49], v[58:59] op_sel:[0,0,1] op_sel_hi:[1,0,0]
	v_mov_b32_e32 v63, v43
	s_waitcnt vmcnt(2)
	v_pk_fma_f32 v[48:49], v[54:55], v[50:51], v[60:61] op_sel:[0,0,1] op_sel_hi:[1,1,0] neg_lo:[0,0,1] neg_hi:[0,0,1]
	v_pk_fma_f32 v[50:51], v[54:55], v[50:51], v[60:61] op_sel:[0,0,1] op_sel_hi:[1,0,0]
	v_mov_b32_e32 v47, v45
	v_pk_add_f32 v[42:43], v[62:63], 0 op_sel_hi:[1,0]
	v_mov_b32_e32 v49, v51
	v_pk_add_f32 v[42:43], v[42:43], v[46:47]
	v_pk_add_f32 v[42:43], v[42:43], v[48:49]
	s_waitcnt vmcnt(0)
	v_pk_add_f32 v[42:43], v[52:53], v[42:43] neg_lo:[0,1] neg_hi:[0,1]
	buffer_store_dword v42, off, s[0:3], 0 offset:120
	buffer_store_dword v43, off, s[0:3], 0 offset:124
	s_and_saveexec_b64 s[4:5], vcc
	s_cbranch_execz .LBB18_99
; %bb.98:
	buffer_load_dword v42, off, s[0:3], 0 offset:112
	buffer_load_dword v43, off, s[0:3], 0 offset:116
	s_waitcnt vmcnt(0)
	ds_write_b64 v1, v[42:43]
	buffer_store_dword v40, off, s[0:3], 0 offset:112
	buffer_store_dword v40, off, s[0:3], 0 offset:116
.LBB18_99:
	s_or_b64 exec, exec, s[4:5]
	s_waitcnt lgkmcnt(0)
	; wave barrier
	s_waitcnt lgkmcnt(0)
	buffer_load_dword v51, off, s[0:3], 0 offset:124
	buffer_load_dword v53, off, s[0:3], 0 offset:132
	;; [unrolled: 1-line block ×10, first 2 shown]
	ds_read2_b64 v[42:45], v40 offset0:35 offset1:36
	ds_read2_b64 v[46:49], v40 offset0:37 offset1:38
	v_cmp_lt_u32_e32 vcc, 13, v0
	s_waitcnt vmcnt(9)
	v_mov_b32_e32 v40, v51
	s_waitcnt vmcnt(8)
	v_mov_b32_e32 v60, v53
	s_waitcnt lgkmcnt(1)
	v_pk_mul_f32 v[40:41], v[42:43], v[40:41] op_sel_hi:[1,0]
	s_waitcnt vmcnt(7)
	v_mov_b32_e32 v62, v55
	v_pk_mul_f32 v[60:61], v[44:45], v[60:61] op_sel_hi:[1,0]
	s_waitcnt vmcnt(5)
	v_pk_fma_f32 v[66:67], v[42:43], v[50:51], v[40:41] op_sel:[0,0,1] op_sel_hi:[1,1,0] neg_lo:[0,0,1] neg_hi:[0,0,1]
	v_pk_fma_f32 v[40:41], v[42:43], v[50:51], v[40:41] op_sel:[0,0,1] op_sel_hi:[1,0,0]
	v_mov_b32_e32 v64, v57
	s_waitcnt lgkmcnt(0)
	v_pk_mul_f32 v[62:63], v[46:47], v[62:63] op_sel_hi:[1,0]
	s_waitcnt vmcnt(4)
	v_pk_fma_f32 v[42:43], v[44:45], v[52:53], v[60:61] op_sel:[0,0,1] op_sel_hi:[1,1,0] neg_lo:[0,0,1] neg_hi:[0,0,1]
	v_pk_fma_f32 v[44:45], v[44:45], v[52:53], v[60:61] op_sel:[0,0,1] op_sel_hi:[1,0,0]
	v_mov_b32_e32 v67, v41
	v_pk_mul_f32 v[64:65], v[48:49], v[64:65] op_sel_hi:[1,0]
	s_waitcnt vmcnt(3)
	v_pk_fma_f32 v[50:51], v[46:47], v[54:55], v[62:63] op_sel:[0,0,1] op_sel_hi:[1,1,0] neg_lo:[0,0,1] neg_hi:[0,0,1]
	v_pk_fma_f32 v[46:47], v[46:47], v[54:55], v[62:63] op_sel:[0,0,1] op_sel_hi:[1,0,0]
	v_mov_b32_e32 v43, v45
	v_pk_add_f32 v[40:41], v[66:67], 0 op_sel_hi:[1,0]
	s_waitcnt vmcnt(2)
	v_pk_fma_f32 v[52:53], v[48:49], v[56:57], v[64:65] op_sel:[0,0,1] op_sel_hi:[1,1,0] neg_lo:[0,0,1] neg_hi:[0,0,1]
	v_pk_fma_f32 v[48:49], v[48:49], v[56:57], v[64:65] op_sel:[0,0,1] op_sel_hi:[1,0,0]
	v_mov_b32_e32 v51, v47
	v_pk_add_f32 v[40:41], v[40:41], v[42:43]
	v_mov_b32_e32 v53, v49
	v_pk_add_f32 v[40:41], v[40:41], v[50:51]
	v_pk_add_f32 v[40:41], v[40:41], v[52:53]
	s_waitcnt vmcnt(0)
	v_pk_add_f32 v[40:41], v[58:59], v[40:41] neg_lo:[0,1] neg_hi:[0,1]
	buffer_store_dword v40, off, s[0:3], 0 offset:112
	buffer_store_dword v41, off, s[0:3], 0 offset:116
	s_and_saveexec_b64 s[4:5], vcc
	s_cbranch_execz .LBB18_101
; %bb.100:
	buffer_load_dword v40, off, s[0:3], 0 offset:104
	buffer_load_dword v41, off, s[0:3], 0 offset:108
	v_mov_b32_e32 v42, 0
	buffer_store_dword v42, off, s[0:3], 0 offset:104
	buffer_store_dword v42, off, s[0:3], 0 offset:108
	s_waitcnt vmcnt(2)
	ds_write_b64 v1, v[40:41]
.LBB18_101:
	s_or_b64 exec, exec, s[4:5]
	s_waitcnt lgkmcnt(0)
	; wave barrier
	s_waitcnt lgkmcnt(0)
	buffer_load_dword v51, off, s[0:3], 0 offset:116
	buffer_load_dword v53, off, s[0:3], 0 offset:124
	;; [unrolled: 1-line block ×12, first 2 shown]
	v_mov_b32_e32 v40, 0
	ds_read_b128 v[42:45], v40 offset:272
	ds_read_b128 v[46:49], v40 offset:288
	ds_read_b64 v[62:63], v40 offset:304
	v_cmp_lt_u32_e32 vcc, 12, v0
	s_waitcnt vmcnt(11)
	v_mov_b32_e32 v64, v51
	s_waitcnt vmcnt(10)
	v_mov_b32_e32 v66, v53
	s_waitcnt lgkmcnt(2)
	v_pk_mul_f32 v[64:65], v[42:43], v[64:65] op_sel_hi:[1,0]
	s_waitcnt vmcnt(9)
	v_mov_b32_e32 v68, v55
	v_pk_mul_f32 v[66:67], v[44:45], v[66:67] op_sel_hi:[1,0]
	s_waitcnt vmcnt(6)
	v_pk_fma_f32 v[74:75], v[42:43], v[50:51], v[64:65] op_sel:[0,0,1] op_sel_hi:[1,1,0] neg_lo:[0,0,1] neg_hi:[0,0,1]
	v_pk_fma_f32 v[42:43], v[42:43], v[50:51], v[64:65] op_sel:[0,0,1] op_sel_hi:[1,0,0]
	v_mov_b32_e32 v70, v57
	s_waitcnt lgkmcnt(1)
	v_pk_mul_f32 v[68:69], v[46:47], v[68:69] op_sel_hi:[1,0]
	s_waitcnt vmcnt(5)
	v_pk_fma_f32 v[50:51], v[44:45], v[52:53], v[66:67] op_sel:[0,0,1] op_sel_hi:[1,1,0] neg_lo:[0,0,1] neg_hi:[0,0,1]
	v_pk_fma_f32 v[44:45], v[44:45], v[52:53], v[66:67] op_sel:[0,0,1] op_sel_hi:[1,0,0]
	v_mov_b32_e32 v75, v43
	v_mov_b32_e32 v72, v59
	v_pk_mul_f32 v[70:71], v[48:49], v[70:71] op_sel_hi:[1,0]
	s_waitcnt vmcnt(4)
	v_pk_fma_f32 v[52:53], v[46:47], v[54:55], v[68:69] op_sel:[0,0,1] op_sel_hi:[1,1,0] neg_lo:[0,0,1] neg_hi:[0,0,1]
	v_pk_fma_f32 v[46:47], v[46:47], v[54:55], v[68:69] op_sel:[0,0,1] op_sel_hi:[1,0,0]
	v_mov_b32_e32 v51, v45
	v_pk_add_f32 v[42:43], v[74:75], 0 op_sel_hi:[1,0]
	s_waitcnt lgkmcnt(0)
	v_pk_mul_f32 v[72:73], v[62:63], v[72:73] op_sel_hi:[1,0]
	s_waitcnt vmcnt(3)
	v_pk_fma_f32 v[54:55], v[48:49], v[56:57], v[70:71] op_sel:[0,0,1] op_sel_hi:[1,1,0] neg_lo:[0,0,1] neg_hi:[0,0,1]
	v_pk_fma_f32 v[48:49], v[48:49], v[56:57], v[70:71] op_sel:[0,0,1] op_sel_hi:[1,0,0]
	v_mov_b32_e32 v53, v47
	v_pk_add_f32 v[42:43], v[42:43], v[50:51]
	s_waitcnt vmcnt(2)
	v_pk_fma_f32 v[56:57], v[62:63], v[58:59], v[72:73] op_sel:[0,0,1] op_sel_hi:[1,1,0] neg_lo:[0,0,1] neg_hi:[0,0,1]
	v_pk_fma_f32 v[58:59], v[62:63], v[58:59], v[72:73] op_sel:[0,0,1] op_sel_hi:[1,0,0]
	v_mov_b32_e32 v55, v49
	v_pk_add_f32 v[42:43], v[42:43], v[52:53]
	v_mov_b32_e32 v57, v59
	v_pk_add_f32 v[42:43], v[42:43], v[54:55]
	v_pk_add_f32 v[42:43], v[42:43], v[56:57]
	s_waitcnt vmcnt(0)
	v_pk_add_f32 v[42:43], v[60:61], v[42:43] neg_lo:[0,1] neg_hi:[0,1]
	buffer_store_dword v42, off, s[0:3], 0 offset:104
	buffer_store_dword v43, off, s[0:3], 0 offset:108
	s_and_saveexec_b64 s[4:5], vcc
	s_cbranch_execz .LBB18_103
; %bb.102:
	buffer_load_dword v42, off, s[0:3], 0 offset:96
	buffer_load_dword v43, off, s[0:3], 0 offset:100
	s_waitcnt vmcnt(0)
	ds_write_b64 v1, v[42:43]
	buffer_store_dword v40, off, s[0:3], 0 offset:96
	buffer_store_dword v40, off, s[0:3], 0 offset:100
.LBB18_103:
	s_or_b64 exec, exec, s[4:5]
	s_waitcnt lgkmcnt(0)
	; wave barrier
	s_waitcnt lgkmcnt(0)
	buffer_load_dword v55, off, s[0:3], 0 offset:108
	buffer_load_dword v57, off, s[0:3], 0 offset:116
	;; [unrolled: 1-line block ×14, first 2 shown]
	ds_read2_b64 v[42:45], v40 offset0:33 offset1:34
	ds_read2_b64 v[46:49], v40 offset0:35 offset1:36
	;; [unrolled: 1-line block ×3, first 2 shown]
	v_cmp_lt_u32_e32 vcc, 11, v0
	s_waitcnt vmcnt(13)
	v_mov_b32_e32 v40, v55
	s_waitcnt vmcnt(12)
	v_mov_b32_e32 v68, v57
	s_waitcnt lgkmcnt(2)
	v_pk_mul_f32 v[40:41], v[42:43], v[40:41] op_sel_hi:[1,0]
	s_waitcnt vmcnt(11)
	v_mov_b32_e32 v70, v59
	v_pk_mul_f32 v[68:69], v[44:45], v[68:69] op_sel_hi:[1,0]
	s_waitcnt vmcnt(10)
	v_mov_b32_e32 v72, v61
	s_waitcnt vmcnt(7)
	v_pk_fma_f32 v[78:79], v[42:43], v[54:55], v[40:41] op_sel:[0,0,1] op_sel_hi:[1,1,0] neg_lo:[0,0,1] neg_hi:[0,0,1]
	v_pk_fma_f32 v[40:41], v[42:43], v[54:55], v[40:41] op_sel:[0,0,1] op_sel_hi:[1,0,0]
	s_waitcnt lgkmcnt(1)
	v_pk_mul_f32 v[70:71], v[46:47], v[70:71] op_sel_hi:[1,0]
	s_waitcnt vmcnt(6)
	v_pk_fma_f32 v[42:43], v[44:45], v[56:57], v[68:69] op_sel:[0,0,1] op_sel_hi:[1,1,0] neg_lo:[0,0,1] neg_hi:[0,0,1]
	v_pk_fma_f32 v[44:45], v[44:45], v[56:57], v[68:69] op_sel:[0,0,1] op_sel_hi:[1,0,0]
	v_mov_b32_e32 v79, v41
	v_mov_b32_e32 v74, v63
	v_pk_mul_f32 v[72:73], v[48:49], v[72:73] op_sel_hi:[1,0]
	s_waitcnt vmcnt(5)
	v_pk_fma_f32 v[54:55], v[46:47], v[58:59], v[70:71] op_sel:[0,0,1] op_sel_hi:[1,1,0] neg_lo:[0,0,1] neg_hi:[0,0,1]
	v_pk_fma_f32 v[46:47], v[46:47], v[58:59], v[70:71] op_sel:[0,0,1] op_sel_hi:[1,0,0]
	v_mov_b32_e32 v43, v45
	v_pk_add_f32 v[40:41], v[78:79], 0 op_sel_hi:[1,0]
	v_mov_b32_e32 v76, v65
	s_waitcnt lgkmcnt(0)
	v_pk_mul_f32 v[74:75], v[50:51], v[74:75] op_sel_hi:[1,0]
	s_waitcnt vmcnt(4)
	v_pk_fma_f32 v[56:57], v[48:49], v[60:61], v[72:73] op_sel:[0,0,1] op_sel_hi:[1,1,0] neg_lo:[0,0,1] neg_hi:[0,0,1]
	v_pk_fma_f32 v[48:49], v[48:49], v[60:61], v[72:73] op_sel:[0,0,1] op_sel_hi:[1,0,0]
	v_mov_b32_e32 v55, v47
	v_pk_add_f32 v[40:41], v[40:41], v[42:43]
	v_pk_mul_f32 v[76:77], v[52:53], v[76:77] op_sel_hi:[1,0]
	s_waitcnt vmcnt(3)
	v_pk_fma_f32 v[58:59], v[50:51], v[62:63], v[74:75] op_sel:[0,0,1] op_sel_hi:[1,1,0] neg_lo:[0,0,1] neg_hi:[0,0,1]
	v_pk_fma_f32 v[50:51], v[50:51], v[62:63], v[74:75] op_sel:[0,0,1] op_sel_hi:[1,0,0]
	v_mov_b32_e32 v57, v49
	v_pk_add_f32 v[40:41], v[40:41], v[54:55]
	s_waitcnt vmcnt(2)
	v_pk_fma_f32 v[60:61], v[52:53], v[64:65], v[76:77] op_sel:[0,0,1] op_sel_hi:[1,1,0] neg_lo:[0,0,1] neg_hi:[0,0,1]
	v_pk_fma_f32 v[52:53], v[52:53], v[64:65], v[76:77] op_sel:[0,0,1] op_sel_hi:[1,0,0]
	v_mov_b32_e32 v59, v51
	v_pk_add_f32 v[40:41], v[40:41], v[56:57]
	v_mov_b32_e32 v61, v53
	v_pk_add_f32 v[40:41], v[40:41], v[58:59]
	v_pk_add_f32 v[40:41], v[40:41], v[60:61]
	s_waitcnt vmcnt(0)
	v_pk_add_f32 v[40:41], v[66:67], v[40:41] neg_lo:[0,1] neg_hi:[0,1]
	buffer_store_dword v40, off, s[0:3], 0 offset:96
	buffer_store_dword v41, off, s[0:3], 0 offset:100
	s_and_saveexec_b64 s[4:5], vcc
	s_cbranch_execz .LBB18_105
; %bb.104:
	buffer_load_dword v40, off, s[0:3], 0 offset:88
	buffer_load_dword v41, off, s[0:3], 0 offset:92
	v_mov_b32_e32 v42, 0
	buffer_store_dword v42, off, s[0:3], 0 offset:88
	buffer_store_dword v42, off, s[0:3], 0 offset:92
	s_waitcnt vmcnt(2)
	ds_write_b64 v1, v[40:41]
.LBB18_105:
	s_or_b64 exec, exec, s[4:5]
	s_waitcnt lgkmcnt(0)
	; wave barrier
	s_waitcnt lgkmcnt(0)
	buffer_load_dword v55, off, s[0:3], 0 offset:100
	buffer_load_dword v57, off, s[0:3], 0 offset:108
	;; [unrolled: 1-line block ×16, first 2 shown]
	v_mov_b32_e32 v40, 0
	ds_read_b128 v[42:45], v40 offset:256
	ds_read_b128 v[46:49], v40 offset:272
	;; [unrolled: 1-line block ×3, first 2 shown]
	ds_read_b64 v[70:71], v40 offset:304
	v_cmp_lt_u32_e32 vcc, 10, v0
	s_waitcnt vmcnt(15)
	v_mov_b32_e32 v72, v55
	s_waitcnt vmcnt(14)
	v_mov_b32_e32 v74, v57
	s_waitcnt lgkmcnt(3)
	v_pk_mul_f32 v[72:73], v[42:43], v[72:73] op_sel_hi:[1,0]
	s_waitcnt vmcnt(13)
	v_mov_b32_e32 v76, v59
	v_pk_mul_f32 v[74:75], v[44:45], v[74:75] op_sel_hi:[1,0]
	s_waitcnt vmcnt(12)
	v_mov_b32_e32 v78, v61
	s_waitcnt lgkmcnt(2)
	v_pk_mul_f32 v[76:77], v[46:47], v[76:77] op_sel_hi:[1,0]
	s_waitcnt vmcnt(8)
	v_pk_fma_f32 v[86:87], v[42:43], v[54:55], v[72:73] op_sel:[0,0,1] op_sel_hi:[1,1,0] neg_lo:[0,0,1] neg_hi:[0,0,1]
	v_pk_fma_f32 v[42:43], v[42:43], v[54:55], v[72:73] op_sel:[0,0,1] op_sel_hi:[1,0,0]
	s_waitcnt vmcnt(7)
	v_pk_fma_f32 v[54:55], v[44:45], v[56:57], v[74:75] op_sel:[0,0,1] op_sel_hi:[1,1,0] neg_lo:[0,0,1] neg_hi:[0,0,1]
	v_pk_fma_f32 v[44:45], v[44:45], v[56:57], v[74:75] op_sel:[0,0,1] op_sel_hi:[1,0,0]
	v_mov_b32_e32 v87, v43
	v_mov_b32_e32 v80, v63
	v_pk_mul_f32 v[78:79], v[48:49], v[78:79] op_sel_hi:[1,0]
	s_waitcnt vmcnt(6)
	v_pk_fma_f32 v[56:57], v[46:47], v[58:59], v[76:77] op_sel:[0,0,1] op_sel_hi:[1,1,0] neg_lo:[0,0,1] neg_hi:[0,0,1]
	v_pk_fma_f32 v[46:47], v[46:47], v[58:59], v[76:77] op_sel:[0,0,1] op_sel_hi:[1,0,0]
	v_mov_b32_e32 v55, v45
	v_pk_add_f32 v[42:43], v[86:87], 0 op_sel_hi:[1,0]
	v_mov_b32_e32 v82, v65
	s_waitcnt lgkmcnt(1)
	v_pk_mul_f32 v[80:81], v[50:51], v[80:81] op_sel_hi:[1,0]
	s_waitcnt vmcnt(5)
	v_pk_fma_f32 v[58:59], v[48:49], v[60:61], v[78:79] op_sel:[0,0,1] op_sel_hi:[1,1,0] neg_lo:[0,0,1] neg_hi:[0,0,1]
	v_pk_fma_f32 v[48:49], v[48:49], v[60:61], v[78:79] op_sel:[0,0,1] op_sel_hi:[1,0,0]
	v_mov_b32_e32 v57, v47
	v_pk_add_f32 v[42:43], v[42:43], v[54:55]
	v_mov_b32_e32 v84, v67
	v_pk_mul_f32 v[82:83], v[52:53], v[82:83] op_sel_hi:[1,0]
	s_waitcnt vmcnt(4)
	v_pk_fma_f32 v[60:61], v[50:51], v[62:63], v[80:81] op_sel:[0,0,1] op_sel_hi:[1,1,0] neg_lo:[0,0,1] neg_hi:[0,0,1]
	v_pk_fma_f32 v[50:51], v[50:51], v[62:63], v[80:81] op_sel:[0,0,1] op_sel_hi:[1,0,0]
	v_mov_b32_e32 v59, v49
	v_pk_add_f32 v[42:43], v[42:43], v[56:57]
	s_waitcnt lgkmcnt(0)
	v_pk_mul_f32 v[84:85], v[70:71], v[84:85] op_sel_hi:[1,0]
	s_waitcnt vmcnt(3)
	v_pk_fma_f32 v[62:63], v[52:53], v[64:65], v[82:83] op_sel:[0,0,1] op_sel_hi:[1,1,0] neg_lo:[0,0,1] neg_hi:[0,0,1]
	v_pk_fma_f32 v[52:53], v[52:53], v[64:65], v[82:83] op_sel:[0,0,1] op_sel_hi:[1,0,0]
	v_mov_b32_e32 v61, v51
	v_pk_add_f32 v[42:43], v[42:43], v[58:59]
	s_waitcnt vmcnt(2)
	v_pk_fma_f32 v[64:65], v[70:71], v[66:67], v[84:85] op_sel:[0,0,1] op_sel_hi:[1,1,0] neg_lo:[0,0,1] neg_hi:[0,0,1]
	v_pk_fma_f32 v[66:67], v[70:71], v[66:67], v[84:85] op_sel:[0,0,1] op_sel_hi:[1,0,0]
	v_mov_b32_e32 v63, v53
	v_pk_add_f32 v[42:43], v[42:43], v[60:61]
	v_mov_b32_e32 v65, v67
	v_pk_add_f32 v[42:43], v[42:43], v[62:63]
	v_pk_add_f32 v[42:43], v[42:43], v[64:65]
	s_waitcnt vmcnt(0)
	v_pk_add_f32 v[42:43], v[68:69], v[42:43] neg_lo:[0,1] neg_hi:[0,1]
	buffer_store_dword v42, off, s[0:3], 0 offset:88
	buffer_store_dword v43, off, s[0:3], 0 offset:92
	s_and_saveexec_b64 s[4:5], vcc
	s_cbranch_execz .LBB18_107
; %bb.106:
	buffer_load_dword v42, off, s[0:3], 0 offset:80
	buffer_load_dword v43, off, s[0:3], 0 offset:84
	s_waitcnt vmcnt(0)
	ds_write_b64 v1, v[42:43]
	buffer_store_dword v40, off, s[0:3], 0 offset:80
	buffer_store_dword v40, off, s[0:3], 0 offset:84
.LBB18_107:
	s_or_b64 exec, exec, s[4:5]
	s_waitcnt lgkmcnt(0)
	; wave barrier
	s_waitcnt lgkmcnt(0)
	buffer_load_dword v59, off, s[0:3], 0 offset:92
	buffer_load_dword v61, off, s[0:3], 0 offset:100
	;; [unrolled: 1-line block ×18, first 2 shown]
	ds_read2_b64 v[42:45], v40 offset0:31 offset1:32
	ds_read2_b64 v[46:49], v40 offset0:33 offset1:34
	;; [unrolled: 1-line block ×4, first 2 shown]
	v_cmp_lt_u32_e32 vcc, 9, v0
	s_waitcnt vmcnt(17)
	v_mov_b32_e32 v40, v59
	s_waitcnt vmcnt(16)
	v_mov_b32_e32 v76, v61
	s_waitcnt lgkmcnt(3)
	v_pk_mul_f32 v[40:41], v[42:43], v[40:41] op_sel_hi:[1,0]
	s_waitcnt vmcnt(15)
	v_mov_b32_e32 v78, v63
	v_pk_mul_f32 v[76:77], v[44:45], v[76:77] op_sel_hi:[1,0]
	s_waitcnt vmcnt(14)
	v_mov_b32_e32 v80, v65
	s_waitcnt lgkmcnt(2)
	v_pk_mul_f32 v[78:79], v[46:47], v[78:79] op_sel_hi:[1,0]
	s_waitcnt vmcnt(13)
	v_mov_b32_e32 v82, v67
	s_waitcnt vmcnt(9)
	v_pk_fma_f32 v[90:91], v[42:43], v[58:59], v[40:41] op_sel:[0,0,1] op_sel_hi:[1,1,0] neg_lo:[0,0,1] neg_hi:[0,0,1]
	v_pk_fma_f32 v[40:41], v[42:43], v[58:59], v[40:41] op_sel:[0,0,1] op_sel_hi:[1,0,0]
	s_waitcnt vmcnt(8)
	v_pk_fma_f32 v[42:43], v[44:45], v[60:61], v[76:77] op_sel:[0,0,1] op_sel_hi:[1,1,0] neg_lo:[0,0,1] neg_hi:[0,0,1]
	v_pk_fma_f32 v[44:45], v[44:45], v[60:61], v[76:77] op_sel:[0,0,1] op_sel_hi:[1,0,0]
	v_mov_b32_e32 v91, v41
	v_pk_mul_f32 v[80:81], v[48:49], v[80:81] op_sel_hi:[1,0]
	s_waitcnt vmcnt(7)
	v_pk_fma_f32 v[58:59], v[46:47], v[62:63], v[78:79] op_sel:[0,0,1] op_sel_hi:[1,1,0] neg_lo:[0,0,1] neg_hi:[0,0,1]
	v_pk_fma_f32 v[46:47], v[46:47], v[62:63], v[78:79] op_sel:[0,0,1] op_sel_hi:[1,0,0]
	v_mov_b32_e32 v43, v45
	v_pk_add_f32 v[40:41], v[90:91], 0 op_sel_hi:[1,0]
	v_mov_b32_e32 v84, v69
	s_waitcnt lgkmcnt(1)
	v_pk_mul_f32 v[82:83], v[50:51], v[82:83] op_sel_hi:[1,0]
	s_waitcnt vmcnt(6)
	v_pk_fma_f32 v[60:61], v[48:49], v[64:65], v[80:81] op_sel:[0,0,1] op_sel_hi:[1,1,0] neg_lo:[0,0,1] neg_hi:[0,0,1]
	v_pk_fma_f32 v[48:49], v[48:49], v[64:65], v[80:81] op_sel:[0,0,1] op_sel_hi:[1,0,0]
	v_mov_b32_e32 v59, v47
	v_pk_add_f32 v[40:41], v[40:41], v[42:43]
	v_mov_b32_e32 v86, v71
	v_pk_mul_f32 v[84:85], v[52:53], v[84:85] op_sel_hi:[1,0]
	s_waitcnt vmcnt(5)
	v_pk_fma_f32 v[62:63], v[50:51], v[66:67], v[82:83] op_sel:[0,0,1] op_sel_hi:[1,1,0] neg_lo:[0,0,1] neg_hi:[0,0,1]
	v_pk_fma_f32 v[50:51], v[50:51], v[66:67], v[82:83] op_sel:[0,0,1] op_sel_hi:[1,0,0]
	v_mov_b32_e32 v61, v49
	v_pk_add_f32 v[40:41], v[40:41], v[58:59]
	v_mov_b32_e32 v88, v73
	s_waitcnt lgkmcnt(0)
	v_pk_mul_f32 v[86:87], v[54:55], v[86:87] op_sel_hi:[1,0]
	s_waitcnt vmcnt(4)
	v_pk_fma_f32 v[64:65], v[52:53], v[68:69], v[84:85] op_sel:[0,0,1] op_sel_hi:[1,1,0] neg_lo:[0,0,1] neg_hi:[0,0,1]
	v_pk_fma_f32 v[52:53], v[52:53], v[68:69], v[84:85] op_sel:[0,0,1] op_sel_hi:[1,0,0]
	v_mov_b32_e32 v63, v51
	v_pk_add_f32 v[40:41], v[40:41], v[60:61]
	v_pk_mul_f32 v[88:89], v[56:57], v[88:89] op_sel_hi:[1,0]
	s_waitcnt vmcnt(3)
	v_pk_fma_f32 v[66:67], v[54:55], v[70:71], v[86:87] op_sel:[0,0,1] op_sel_hi:[1,1,0] neg_lo:[0,0,1] neg_hi:[0,0,1]
	v_pk_fma_f32 v[54:55], v[54:55], v[70:71], v[86:87] op_sel:[0,0,1] op_sel_hi:[1,0,0]
	v_mov_b32_e32 v65, v53
	v_pk_add_f32 v[40:41], v[40:41], v[62:63]
	s_waitcnt vmcnt(2)
	v_pk_fma_f32 v[68:69], v[56:57], v[72:73], v[88:89] op_sel:[0,0,1] op_sel_hi:[1,1,0] neg_lo:[0,0,1] neg_hi:[0,0,1]
	v_pk_fma_f32 v[56:57], v[56:57], v[72:73], v[88:89] op_sel:[0,0,1] op_sel_hi:[1,0,0]
	v_mov_b32_e32 v67, v55
	v_pk_add_f32 v[40:41], v[40:41], v[64:65]
	v_mov_b32_e32 v69, v57
	v_pk_add_f32 v[40:41], v[40:41], v[66:67]
	v_pk_add_f32 v[40:41], v[40:41], v[68:69]
	s_waitcnt vmcnt(0)
	v_pk_add_f32 v[40:41], v[74:75], v[40:41] neg_lo:[0,1] neg_hi:[0,1]
	buffer_store_dword v40, off, s[0:3], 0 offset:80
	buffer_store_dword v41, off, s[0:3], 0 offset:84
	s_and_saveexec_b64 s[4:5], vcc
	s_cbranch_execz .LBB18_109
; %bb.108:
	buffer_load_dword v40, off, s[0:3], 0 offset:72
	buffer_load_dword v41, off, s[0:3], 0 offset:76
	v_mov_b32_e32 v42, 0
	buffer_store_dword v42, off, s[0:3], 0 offset:72
	buffer_store_dword v42, off, s[0:3], 0 offset:76
	s_waitcnt vmcnt(2)
	ds_write_b64 v1, v[40:41]
.LBB18_109:
	s_or_b64 exec, exec, s[4:5]
	s_waitcnt lgkmcnt(0)
	; wave barrier
	s_waitcnt lgkmcnt(0)
	buffer_load_dword v41, off, s[0:3], 0 offset:84
	buffer_load_dword v59, off, s[0:3], 0 offset:92
	;; [unrolled: 1-line block ×20, first 2 shown]
	v_mov_b32_e32 v40, 0
	ds_read_b128 v[42:45], v40 offset:240
	ds_read_b128 v[46:49], v40 offset:256
	;; [unrolled: 1-line block ×4, first 2 shown]
	ds_read_b64 v[76:77], v40 offset:304
	v_cmp_lt_u32_e32 vcc, 8, v0
	s_waitcnt vmcnt(19) lgkmcnt(4)
	v_mul_f32_e32 v79, v42, v41
	v_mul_f32_e32 v41, v43, v41
	s_waitcnt vmcnt(18)
	v_mov_b32_e32 v80, v59
	s_waitcnt vmcnt(17)
	v_mov_b32_e32 v82, v61
	s_waitcnt vmcnt(16)
	v_mov_b32_e32 v84, v63
	s_waitcnt vmcnt(15)
	v_mov_b32_e32 v86, v65
	s_waitcnt vmcnt(14)
	v_mov_b32_e32 v88, v67
	s_waitcnt vmcnt(13)
	v_mov_b32_e32 v90, v69
	s_waitcnt vmcnt(12)
	v_mov_b32_e32 v92, v71
	s_waitcnt vmcnt(11)
	v_mov_b32_e32 v94, v73
	s_waitcnt vmcnt(10)
	v_fmac_f32_e32 v79, v43, v78
	v_fma_f32 v78, v42, v78, -v41
	v_pk_mul_f32 v[42:43], v[44:45], v[80:81] op_sel_hi:[1,0]
	s_waitcnt lgkmcnt(3)
	v_pk_mul_f32 v[80:81], v[46:47], v[82:83] op_sel_hi:[1,0]
	v_pk_mul_f32 v[82:83], v[48:49], v[84:85] op_sel_hi:[1,0]
	s_waitcnt lgkmcnt(2)
	v_pk_mul_f32 v[84:85], v[50:51], v[86:87] op_sel_hi:[1,0]
	;; [unrolled: 3-line block ×4, first 2 shown]
	s_waitcnt vmcnt(9)
	v_pk_fma_f32 v[94:95], v[44:45], v[58:59], v[42:43] op_sel:[0,0,1] op_sel_hi:[1,1,0] neg_lo:[0,0,1] neg_hi:[0,0,1]
	v_pk_fma_f32 v[42:43], v[44:45], v[58:59], v[42:43] op_sel:[0,0,1] op_sel_hi:[1,0,0]
	v_pk_add_f32 v[78:79], v[78:79], 0 op_sel_hi:[1,0]
	s_waitcnt vmcnt(8)
	v_pk_fma_f32 v[44:45], v[46:47], v[60:61], v[80:81] op_sel:[0,0,1] op_sel_hi:[1,1,0] neg_lo:[0,0,1] neg_hi:[0,0,1]
	v_pk_fma_f32 v[46:47], v[46:47], v[60:61], v[80:81] op_sel:[0,0,1] op_sel_hi:[1,0,0]
	v_mov_b32_e32 v95, v43
	s_waitcnt vmcnt(7)
	v_pk_fma_f32 v[58:59], v[48:49], v[62:63], v[82:83] op_sel:[0,0,1] op_sel_hi:[1,1,0] neg_lo:[0,0,1] neg_hi:[0,0,1]
	v_pk_fma_f32 v[48:49], v[48:49], v[62:63], v[82:83] op_sel:[0,0,1] op_sel_hi:[1,0,0]
	v_mov_b32_e32 v45, v47
	v_pk_add_f32 v[42:43], v[78:79], v[94:95]
	s_waitcnt vmcnt(6)
	v_pk_fma_f32 v[60:61], v[50:51], v[64:65], v[84:85] op_sel:[0,0,1] op_sel_hi:[1,1,0] neg_lo:[0,0,1] neg_hi:[0,0,1]
	v_pk_fma_f32 v[50:51], v[50:51], v[64:65], v[84:85] op_sel:[0,0,1] op_sel_hi:[1,0,0]
	v_mov_b32_e32 v59, v49
	v_pk_add_f32 v[42:43], v[42:43], v[44:45]
	s_waitcnt vmcnt(5)
	v_pk_fma_f32 v[62:63], v[52:53], v[66:67], v[86:87] op_sel:[0,0,1] op_sel_hi:[1,1,0] neg_lo:[0,0,1] neg_hi:[0,0,1]
	v_pk_fma_f32 v[52:53], v[52:53], v[66:67], v[86:87] op_sel:[0,0,1] op_sel_hi:[1,0,0]
	v_mov_b32_e32 v61, v51
	v_pk_add_f32 v[42:43], v[42:43], v[58:59]
	s_waitcnt vmcnt(4)
	v_pk_fma_f32 v[64:65], v[54:55], v[68:69], v[88:89] op_sel:[0,0,1] op_sel_hi:[1,1,0] neg_lo:[0,0,1] neg_hi:[0,0,1]
	v_pk_fma_f32 v[54:55], v[54:55], v[68:69], v[88:89] op_sel:[0,0,1] op_sel_hi:[1,0,0]
	v_mov_b32_e32 v63, v53
	v_pk_add_f32 v[42:43], v[42:43], v[60:61]
	s_waitcnt vmcnt(2)
	v_pk_fma_f32 v[66:67], v[56:57], v[70:71], v[90:91] op_sel:[0,0,1] op_sel_hi:[1,1,0] neg_lo:[0,0,1] neg_hi:[0,0,1]
	v_pk_fma_f32 v[56:57], v[56:57], v[70:71], v[90:91] op_sel:[0,0,1] op_sel_hi:[1,0,0]
	v_mov_b32_e32 v65, v55
	v_pk_add_f32 v[42:43], v[42:43], v[62:63]
	v_pk_fma_f32 v[68:69], v[76:77], v[72:73], v[92:93] op_sel:[0,0,1] op_sel_hi:[1,1,0] neg_lo:[0,0,1] neg_hi:[0,0,1]
	v_pk_fma_f32 v[70:71], v[76:77], v[72:73], v[92:93] op_sel:[0,0,1] op_sel_hi:[1,0,0]
	v_mov_b32_e32 v67, v57
	v_pk_add_f32 v[42:43], v[42:43], v[64:65]
	v_mov_b32_e32 v69, v71
	v_pk_add_f32 v[42:43], v[42:43], v[66:67]
	v_pk_add_f32 v[42:43], v[42:43], v[68:69]
	s_waitcnt vmcnt(0)
	v_pk_add_f32 v[42:43], v[74:75], v[42:43] neg_lo:[0,1] neg_hi:[0,1]
	buffer_store_dword v42, off, s[0:3], 0 offset:72
	buffer_store_dword v43, off, s[0:3], 0 offset:76
	s_and_saveexec_b64 s[4:5], vcc
	s_cbranch_execz .LBB18_111
; %bb.110:
	buffer_load_dword v42, off, s[0:3], 0 offset:64
	buffer_load_dword v43, off, s[0:3], 0 offset:68
	s_waitcnt vmcnt(0)
	ds_write_b64 v1, v[42:43]
	buffer_store_dword v40, off, s[0:3], 0 offset:64
	buffer_store_dword v40, off, s[0:3], 0 offset:68
.LBB18_111:
	s_or_b64 exec, exec, s[4:5]
	s_waitcnt lgkmcnt(0)
	; wave barrier
	s_waitcnt lgkmcnt(0)
	buffer_load_dword v80, off, s[0:3], 0 offset:76
	buffer_load_dword v82, off, s[0:3], 0 offset:84
	;; [unrolled: 1-line block ×22, first 2 shown]
	ds_read2_b64 v[42:45], v40 offset0:29 offset1:30
	ds_read2_b64 v[46:49], v40 offset0:31 offset1:32
	;; [unrolled: 1-line block ×5, first 2 shown]
	v_cmp_lt_u32_e32 vcc, 7, v0
	s_waitcnt vmcnt(21) lgkmcnt(4)
	v_mul_f32_e32 v41, v42, v80
	s_waitcnt vmcnt(20)
	v_mul_f32_e32 v81, v44, v82
	v_mul_f32_e32 v40, v43, v80
	;; [unrolled: 1-line block ×3, first 2 shown]
	s_waitcnt vmcnt(19)
	v_mov_b32_e32 v82, v63
	s_waitcnt vmcnt(18)
	v_mov_b32_e32 v84, v65
	;; [unrolled: 2-line block ×5, first 2 shown]
	v_mov_b32_e32 v88, v69
	s_waitcnt vmcnt(11)
	v_fmac_f32_e32 v41, v43, v83
	v_fma_f32 v40, v42, v83, -v40
	s_waitcnt lgkmcnt(3)
	v_pk_mul_f32 v[42:43], v[46:47], v[82:83] op_sel_hi:[1,0]
	s_waitcnt vmcnt(10)
	v_fmac_f32_e32 v81, v45, v85
	v_fma_f32 v80, v44, v85, -v80
	v_pk_mul_f32 v[44:45], v[48:49], v[84:85] op_sel_hi:[1,0]
	s_waitcnt lgkmcnt(2)
	v_pk_mul_f32 v[82:83], v[50:51], v[86:87] op_sel_hi:[1,0]
	s_waitcnt lgkmcnt(1)
	;; [unrolled: 2-line block ×3, first 2 shown]
	v_pk_mul_f32 v[90:91], v[58:59], v[94:95] op_sel_hi:[1,0]
	v_pk_add_f32 v[40:41], v[40:41], 0 op_sel_hi:[1,0]
	s_waitcnt vmcnt(9)
	v_pk_fma_f32 v[94:95], v[46:47], v[62:63], v[42:43] op_sel:[0,0,1] op_sel_hi:[1,1,0] neg_lo:[0,0,1] neg_hi:[0,0,1]
	v_pk_fma_f32 v[42:43], v[46:47], v[62:63], v[42:43] op_sel:[0,0,1] op_sel_hi:[1,0,0]
	s_waitcnt vmcnt(8)
	v_pk_fma_f32 v[46:47], v[48:49], v[64:65], v[44:45] op_sel:[0,0,1] op_sel_hi:[1,1,0] neg_lo:[0,0,1] neg_hi:[0,0,1]
	v_pk_fma_f32 v[44:45], v[48:49], v[64:65], v[44:45] op_sel:[0,0,1] op_sel_hi:[1,0,0]
	v_pk_add_f32 v[40:41], v[40:41], v[80:81]
	v_mov_b32_e32 v95, v43
	v_pk_mul_f32 v[84:85], v[52:53], v[88:89] op_sel_hi:[1,0]
	s_waitcnt vmcnt(7)
	v_pk_fma_f32 v[48:49], v[50:51], v[66:67], v[82:83] op_sel:[0,0,1] op_sel_hi:[1,1,0] neg_lo:[0,0,1] neg_hi:[0,0,1]
	v_pk_fma_f32 v[50:51], v[50:51], v[66:67], v[82:83] op_sel:[0,0,1] op_sel_hi:[1,0,0]
	v_mov_b32_e32 v47, v45
	v_pk_add_f32 v[40:41], v[40:41], v[94:95]
	v_mov_b32_e32 v92, v73
	s_waitcnt vmcnt(6)
	v_pk_fma_f32 v[62:63], v[52:53], v[68:69], v[84:85] op_sel:[0,0,1] op_sel_hi:[1,1,0] neg_lo:[0,0,1] neg_hi:[0,0,1]
	v_pk_fma_f32 v[52:53], v[52:53], v[68:69], v[84:85] op_sel:[0,0,1] op_sel_hi:[1,0,0]
	v_mov_b32_e32 v49, v51
	v_pk_add_f32 v[40:41], v[40:41], v[46:47]
	v_pk_mul_f32 v[88:89], v[56:57], v[92:93] op_sel_hi:[1,0]
	s_waitcnt vmcnt(5)
	v_pk_fma_f32 v[64:65], v[54:55], v[70:71], v[86:87] op_sel:[0,0,1] op_sel_hi:[1,1,0] neg_lo:[0,0,1] neg_hi:[0,0,1]
	v_pk_fma_f32 v[54:55], v[54:55], v[70:71], v[86:87] op_sel:[0,0,1] op_sel_hi:[1,0,0]
	v_mov_b32_e32 v63, v53
	v_pk_add_f32 v[40:41], v[40:41], v[48:49]
	v_mov_b32_e32 v96, v77
	s_waitcnt vmcnt(2)
	v_pk_fma_f32 v[66:67], v[56:57], v[72:73], v[88:89] op_sel:[0,0,1] op_sel_hi:[1,1,0] neg_lo:[0,0,1] neg_hi:[0,0,1]
	v_pk_fma_f32 v[56:57], v[56:57], v[72:73], v[88:89] op_sel:[0,0,1] op_sel_hi:[1,0,0]
	v_mov_b32_e32 v65, v55
	v_pk_add_f32 v[40:41], v[40:41], v[62:63]
	v_pk_mul_f32 v[92:93], v[60:61], v[96:97] op_sel_hi:[1,0]
	v_pk_fma_f32 v[68:69], v[58:59], v[74:75], v[90:91] op_sel:[0,0,1] op_sel_hi:[1,1,0] neg_lo:[0,0,1] neg_hi:[0,0,1]
	v_pk_fma_f32 v[58:59], v[58:59], v[74:75], v[90:91] op_sel:[0,0,1] op_sel_hi:[1,0,0]
	v_mov_b32_e32 v67, v57
	v_pk_add_f32 v[40:41], v[40:41], v[64:65]
	v_pk_fma_f32 v[70:71], v[60:61], v[76:77], v[92:93] op_sel:[0,0,1] op_sel_hi:[1,1,0] neg_lo:[0,0,1] neg_hi:[0,0,1]
	v_pk_fma_f32 v[60:61], v[60:61], v[76:77], v[92:93] op_sel:[0,0,1] op_sel_hi:[1,0,0]
	v_mov_b32_e32 v69, v59
	v_pk_add_f32 v[40:41], v[40:41], v[66:67]
	v_mov_b32_e32 v71, v61
	v_pk_add_f32 v[40:41], v[40:41], v[68:69]
	v_pk_add_f32 v[40:41], v[40:41], v[70:71]
	s_waitcnt vmcnt(0)
	v_pk_add_f32 v[40:41], v[78:79], v[40:41] neg_lo:[0,1] neg_hi:[0,1]
	buffer_store_dword v40, off, s[0:3], 0 offset:64
	buffer_store_dword v41, off, s[0:3], 0 offset:68
	s_and_saveexec_b64 s[4:5], vcc
	s_cbranch_execz .LBB18_113
; %bb.112:
	buffer_load_dword v40, off, s[0:3], 0 offset:56
	buffer_load_dword v41, off, s[0:3], 0 offset:60
	v_mov_b32_e32 v42, 0
	buffer_store_dword v42, off, s[0:3], 0 offset:56
	buffer_store_dword v42, off, s[0:3], 0 offset:60
	s_waitcnt vmcnt(2)
	ds_write_b64 v1, v[40:41]
.LBB18_113:
	s_or_b64 exec, exec, s[4:5]
	s_waitcnt lgkmcnt(0)
	; wave barrier
	s_waitcnt lgkmcnt(0)
	buffer_load_dword v41, off, s[0:3], 0 offset:68
	buffer_load_dword v82, off, s[0:3], 0 offset:76
	;; [unrolled: 1-line block ×24, first 2 shown]
	v_mov_b32_e32 v40, 0
	ds_read_b128 v[42:45], v40 offset:224
	ds_read_b128 v[46:49], v40 offset:240
	;; [unrolled: 1-line block ×5, first 2 shown]
	ds_read_b64 v[80:81], v40 offset:304
	v_cmp_lt_u32_e32 vcc, 6, v0
	s_waitcnt vmcnt(23) lgkmcnt(5)
	v_mul_f32_e32 v95, v42, v41
	v_mul_f32_e32 v41, v43, v41
	s_waitcnt vmcnt(22)
	v_mul_f32_e32 v83, v44, v82
	s_waitcnt vmcnt(21) lgkmcnt(4)
	v_mul_f32_e32 v85, v46, v84
	v_mul_f32_e32 v82, v45, v82
	v_mul_f32_e32 v84, v47, v84
	s_waitcnt vmcnt(20)
	v_mov_b32_e32 v86, v63
	s_waitcnt vmcnt(19)
	v_mov_b32_e32 v88, v65
	;; [unrolled: 2-line block ×5, first 2 shown]
	s_waitcnt vmcnt(12)
	v_fmac_f32_e32 v95, v43, v87
	v_fma_f32 v41, v42, v87, -v41
	v_mov_b32_e32 v96, v73
	s_waitcnt vmcnt(11)
	v_fmac_f32_e32 v83, v45, v89
	s_waitcnt vmcnt(10)
	v_fmac_f32_e32 v85, v47, v91
	v_fma_f32 v82, v44, v89, -v82
	v_fma_f32 v84, v46, v91, -v84
	v_pk_mul_f32 v[42:43], v[48:49], v[86:87] op_sel_hi:[1,0]
	s_waitcnt lgkmcnt(3)
	v_pk_mul_f32 v[44:45], v[50:51], v[88:89] op_sel_hi:[1,0]
	v_pk_mul_f32 v[46:47], v[52:53], v[90:91] op_sel_hi:[1,0]
	s_waitcnt lgkmcnt(2)
	v_pk_mul_f32 v[86:87], v[54:55], v[92:93] op_sel_hi:[1,0]
	v_pk_mul_f32 v[88:89], v[56:57], v[94:95] op_sel_hi:[1,0]
	v_add_f32_e32 v95, 0, v95
	v_add_f32_e32 v94, 0, v41
	s_waitcnt lgkmcnt(1)
	v_pk_mul_f32 v[90:91], v[58:59], v[96:97] op_sel_hi:[1,0]
	s_waitcnt vmcnt(9)
	v_pk_fma_f32 v[96:97], v[48:49], v[62:63], v[42:43] op_sel:[0,0,1] op_sel_hi:[1,1,0] neg_lo:[0,0,1] neg_hi:[0,0,1]
	v_pk_fma_f32 v[42:43], v[48:49], v[62:63], v[42:43] op_sel:[0,0,1] op_sel_hi:[1,0,0]
	s_waitcnt vmcnt(8)
	v_pk_fma_f32 v[48:49], v[50:51], v[64:65], v[44:45] op_sel:[0,0,1] op_sel_hi:[1,1,0] neg_lo:[0,0,1] neg_hi:[0,0,1]
	v_pk_fma_f32 v[44:45], v[50:51], v[64:65], v[44:45] op_sel:[0,0,1] op_sel_hi:[1,0,0]
	;; [unrolled: 3-line block ×4, first 2 shown]
	v_pk_add_f32 v[68:69], v[94:95], v[82:83]
	v_mov_b32_e32 v97, v43
	v_pk_add_f32 v[42:43], v[68:69], v[84:85]
	v_mov_b32_e32 v49, v45
	;; [unrolled: 2-line block ×4, first 2 shown]
	s_waitcnt vmcnt(5)
	v_pk_fma_f32 v[62:63], v[56:57], v[70:71], v[88:89] op_sel:[0,0,1] op_sel_hi:[1,1,0] neg_lo:[0,0,1] neg_hi:[0,0,1]
	v_pk_fma_f32 v[56:57], v[56:57], v[70:71], v[88:89] op_sel:[0,0,1] op_sel_hi:[1,0,0]
	v_mov_b32_e32 v53, v55
	v_pk_add_f32 v[42:43], v[42:43], v[50:51]
	v_mov_b32_e32 v100, v77
	v_pk_mul_f32 v[92:93], v[60:61], v[98:99] op_sel_hi:[1,0]
	s_waitcnt vmcnt(4)
	v_pk_fma_f32 v[64:65], v[58:59], v[72:73], v[90:91] op_sel:[0,0,1] op_sel_hi:[1,1,0] neg_lo:[0,0,1] neg_hi:[0,0,1]
	v_pk_fma_f32 v[58:59], v[58:59], v[72:73], v[90:91] op_sel:[0,0,1] op_sel_hi:[1,0,0]
	v_mov_b32_e32 v63, v57
	v_pk_add_f32 v[42:43], v[42:43], v[52:53]
	s_waitcnt vmcnt(3)
	v_pk_fma_f32 v[66:67], v[60:61], v[74:75], v[92:93] op_sel:[0,0,1] op_sel_hi:[1,1,0] neg_lo:[0,0,1] neg_hi:[0,0,1]
	v_pk_fma_f32 v[60:61], v[60:61], v[74:75], v[92:93] op_sel:[0,0,1] op_sel_hi:[1,0,0]
	v_mov_b32_e32 v65, v59
	v_pk_add_f32 v[42:43], v[42:43], v[62:63]
	s_waitcnt lgkmcnt(0)
	v_pk_mul_f32 v[44:45], v[80:81], v[100:101] op_sel_hi:[1,0]
	v_mov_b32_e32 v67, v61
	v_pk_add_f32 v[42:43], v[42:43], v[64:65]
	s_waitcnt vmcnt(2)
	v_pk_fma_f32 v[46:47], v[80:81], v[76:77], v[44:45] op_sel:[0,0,1] op_sel_hi:[1,1,0] neg_lo:[0,0,1] neg_hi:[0,0,1]
	v_pk_fma_f32 v[44:45], v[80:81], v[76:77], v[44:45] op_sel:[0,0,1] op_sel_hi:[1,0,0]
	v_pk_add_f32 v[42:43], v[42:43], v[66:67]
	v_mov_b32_e32 v47, v45
	v_pk_add_f32 v[42:43], v[42:43], v[46:47]
	s_waitcnt vmcnt(0)
	v_pk_add_f32 v[42:43], v[78:79], v[42:43] neg_lo:[0,1] neg_hi:[0,1]
	buffer_store_dword v43, off, s[0:3], 0 offset:60
	buffer_store_dword v42, off, s[0:3], 0 offset:56
	s_and_saveexec_b64 s[4:5], vcc
	s_cbranch_execz .LBB18_115
; %bb.114:
	buffer_load_dword v42, off, s[0:3], 0 offset:48
	buffer_load_dword v43, off, s[0:3], 0 offset:52
	s_waitcnt vmcnt(0)
	ds_write_b64 v1, v[42:43]
	buffer_store_dword v40, off, s[0:3], 0 offset:48
	buffer_store_dword v40, off, s[0:3], 0 offset:52
.LBB18_115:
	s_or_b64 exec, exec, s[4:5]
	s_waitcnt lgkmcnt(0)
	; wave barrier
	s_waitcnt lgkmcnt(0)
	buffer_load_dword v84, off, s[0:3], 0 offset:60
	buffer_load_dword v86, off, s[0:3], 0 offset:68
	;; [unrolled: 1-line block ×26, first 2 shown]
	ds_read2_b64 v[42:45], v40 offset0:27 offset1:28
	ds_read2_b64 v[46:49], v40 offset0:29 offset1:30
	;; [unrolled: 1-line block ×6, first 2 shown]
	v_cmp_lt_u32_e32 vcc, 5, v0
	s_waitcnt vmcnt(25) lgkmcnt(5)
	v_mul_f32_e32 v97, v42, v84
	v_mul_f32_e32 v40, v43, v84
	s_waitcnt vmcnt(24)
	v_mul_f32_e32 v98, v44, v86
	s_waitcnt vmcnt(23) lgkmcnt(4)
	v_mul_f32_e32 v41, v46, v87
	s_waitcnt vmcnt(22)
	v_mul_f32_e32 v85, v48, v88
	v_mul_f32_e32 v84, v45, v86
	;; [unrolled: 1-line block ×4, first 2 shown]
	s_waitcnt vmcnt(21)
	v_mov_b32_e32 v86, v67
	s_waitcnt vmcnt(20)
	v_mov_b32_e32 v88, v69
	;; [unrolled: 2-line block ×3, first 2 shown]
	s_waitcnt vmcnt(15)
	v_fmac_f32_e32 v97, v43, v89
	v_fma_f32 v100, v42, v89, -v40
	v_mov_b32_e32 v90, v71
	s_waitcnt vmcnt(14)
	v_fmac_f32_e32 v98, v45, v91
	s_waitcnt vmcnt(13)
	v_fmac_f32_e32 v41, v47, v93
	;; [unrolled: 2-line block ×3, first 2 shown]
	v_fma_f32 v101, v44, v91, -v84
	v_fma_f32 v40, v46, v93, -v87
	;; [unrolled: 1-line block ×3, first 2 shown]
	s_waitcnt lgkmcnt(3)
	v_pk_mul_f32 v[42:43], v[50:51], v[86:87] op_sel_hi:[1,0]
	v_pk_mul_f32 v[44:45], v[52:53], v[88:89] op_sel_hi:[1,0]
	s_waitcnt lgkmcnt(2)
	v_pk_mul_f32 v[48:49], v[56:57], v[92:93] op_sel_hi:[1,0]
	v_add_f32_e32 v92, 0, v97
	v_add_f32_e32 v93, 0, v100
	v_pk_mul_f32 v[46:47], v[54:55], v[90:91] op_sel_hi:[1,0]
	s_waitcnt vmcnt(11)
	v_pk_fma_f32 v[90:91], v[50:51], v[66:67], v[42:43] op_sel:[0,0,1] op_sel_hi:[1,1,0] neg_lo:[0,0,1] neg_hi:[0,0,1]
	v_pk_fma_f32 v[42:43], v[50:51], v[66:67], v[42:43] op_sel:[0,0,1] op_sel_hi:[1,0,0]
	s_waitcnt vmcnt(10)
	v_pk_fma_f32 v[50:51], v[52:53], v[68:69], v[44:45] op_sel:[0,0,1] op_sel_hi:[1,1,0] neg_lo:[0,0,1] neg_hi:[0,0,1]
	v_pk_fma_f32 v[44:45], v[52:53], v[68:69], v[44:45] op_sel:[0,0,1] op_sel_hi:[1,0,0]
	v_add_f32_e32 v69, v92, v98
	v_add_f32_e32 v68, v93, v101
	v_pk_add_f32 v[40:41], v[68:69], v[40:41]
	v_mov_b32_e32 v91, v43
	v_pk_add_f32 v[40:41], v[40:41], v[84:85]
	v_mov_b32_e32 v94, v75
	s_waitcnt vmcnt(9)
	v_pk_fma_f32 v[52:53], v[54:55], v[70:71], v[46:47] op_sel:[0,0,1] op_sel_hi:[1,1,0] neg_lo:[0,0,1] neg_hi:[0,0,1]
	v_pk_fma_f32 v[46:47], v[54:55], v[70:71], v[46:47] op_sel:[0,0,1] op_sel_hi:[1,0,0]
	v_mov_b32_e32 v51, v45
	v_pk_add_f32 v[40:41], v[40:41], v[90:91]
	v_mov_b32_e32 v96, v77
	s_waitcnt lgkmcnt(1)
	v_pk_mul_f32 v[86:87], v[58:59], v[94:95] op_sel_hi:[1,0]
	s_waitcnt vmcnt(5)
	v_pk_fma_f32 v[54:55], v[56:57], v[72:73], v[48:49] op_sel:[0,0,1] op_sel_hi:[1,1,0] neg_lo:[0,0,1] neg_hi:[0,0,1]
	v_pk_fma_f32 v[48:49], v[56:57], v[72:73], v[48:49] op_sel:[0,0,1] op_sel_hi:[1,0,0]
	v_mov_b32_e32 v53, v47
	v_pk_add_f32 v[40:41], v[40:41], v[50:51]
	s_waitcnt vmcnt(4)
	v_mov_b32_e32 v42, v79
	v_pk_mul_f32 v[88:89], v[60:61], v[96:97] op_sel_hi:[1,0]
	v_pk_fma_f32 v[56:57], v[58:59], v[74:75], v[86:87] op_sel:[0,0,1] op_sel_hi:[1,1,0] neg_lo:[0,0,1] neg_hi:[0,0,1]
	v_pk_fma_f32 v[58:59], v[58:59], v[74:75], v[86:87] op_sel:[0,0,1] op_sel_hi:[1,0,0]
	v_mov_b32_e32 v55, v49
	v_pk_add_f32 v[40:41], v[40:41], v[52:53]
	s_waitcnt lgkmcnt(0)
	v_pk_mul_f32 v[42:43], v[62:63], v[42:43] op_sel_hi:[1,0]
	v_pk_fma_f32 v[66:67], v[60:61], v[76:77], v[88:89] op_sel:[0,0,1] op_sel_hi:[1,1,0] neg_lo:[0,0,1] neg_hi:[0,0,1]
	v_pk_fma_f32 v[60:61], v[60:61], v[76:77], v[88:89] op_sel:[0,0,1] op_sel_hi:[1,0,0]
	v_mov_b32_e32 v57, v59
	v_pk_add_f32 v[40:41], v[40:41], v[54:55]
	v_pk_fma_f32 v[44:45], v[62:63], v[78:79], v[42:43] op_sel:[0,0,1] op_sel_hi:[1,1,0] neg_lo:[0,0,1] neg_hi:[0,0,1]
	v_pk_fma_f32 v[42:43], v[62:63], v[78:79], v[42:43] op_sel:[0,0,1] op_sel_hi:[1,0,0]
	v_mov_b32_e32 v67, v61
	v_pk_add_f32 v[40:41], v[40:41], v[56:57]
	s_waitcnt vmcnt(3)
	v_mov_b32_e32 v42, v81
	v_pk_add_f32 v[40:41], v[40:41], v[66:67]
	v_mov_b32_e32 v45, v43
	v_pk_mul_f32 v[42:43], v[64:65], v[42:43] op_sel_hi:[1,0]
	v_pk_add_f32 v[40:41], v[40:41], v[44:45]
	s_waitcnt vmcnt(2)
	v_pk_fma_f32 v[44:45], v[64:65], v[80:81], v[42:43] op_sel:[0,0,1] op_sel_hi:[1,1,0] neg_lo:[0,0,1] neg_hi:[0,0,1]
	v_pk_fma_f32 v[42:43], v[64:65], v[80:81], v[42:43] op_sel:[0,0,1] op_sel_hi:[1,0,0]
	v_mov_b32_e32 v45, v43
	v_pk_add_f32 v[40:41], v[40:41], v[44:45]
	s_waitcnt vmcnt(0)
	v_pk_add_f32 v[40:41], v[82:83], v[40:41] neg_lo:[0,1] neg_hi:[0,1]
	buffer_store_dword v41, off, s[0:3], 0 offset:52
	buffer_store_dword v40, off, s[0:3], 0 offset:48
	s_and_saveexec_b64 s[4:5], vcc
	s_cbranch_execz .LBB18_117
; %bb.116:
	buffer_load_dword v40, off, s[0:3], 0 offset:40
	buffer_load_dword v41, off, s[0:3], 0 offset:44
	v_mov_b32_e32 v42, 0
	buffer_store_dword v42, off, s[0:3], 0 offset:40
	buffer_store_dword v42, off, s[0:3], 0 offset:44
	s_waitcnt vmcnt(2)
	ds_write_b64 v1, v[40:41]
.LBB18_117:
	s_or_b64 exec, exec, s[4:5]
	s_waitcnt lgkmcnt(0)
	; wave barrier
	s_waitcnt lgkmcnt(0)
	buffer_load_dword v41, off, s[0:3], 0 offset:52
	buffer_load_dword v86, off, s[0:3], 0 offset:60
	;; [unrolled: 1-line block ×28, first 2 shown]
	v_mov_b32_e32 v40, 0
	ds_read_b128 v[42:45], v40 offset:208
	ds_read_b128 v[46:49], v40 offset:224
	;; [unrolled: 1-line block ×6, first 2 shown]
	ds_read_b64 v[84:85], v40 offset:304
	v_cmp_lt_u32_e32 vcc, 4, v0
	s_waitcnt vmcnt(27) lgkmcnt(6)
	v_mul_f32_e32 v101, v42, v41
	v_mul_f32_e32 v41, v43, v41
	s_waitcnt vmcnt(26)
	v_mul_f32_e32 v102, v44, v86
	s_waitcnt vmcnt(24) lgkmcnt(5)
	v_mul_f32_e32 v87, v48, v90
	s_waitcnt vmcnt(23) lgkmcnt(4)
	v_mul_f32_e32 v89, v50, v91
	v_mul_f32_e32 v104, v49, v90
	;; [unrolled: 1-line block ×3, first 2 shown]
	s_waitcnt vmcnt(22)
	v_mov_b32_e32 v90, v67
	v_mul_f32_e32 v103, v46, v88
	v_mul_f32_e32 v86, v45, v86
	;; [unrolled: 1-line block ×3, first 2 shown]
	s_waitcnt vmcnt(17)
	v_fmac_f32_e32 v101, v43, v93
	v_fma_f32 v41, v42, v93, -v41
	v_pk_mul_f32 v[42:43], v[52:53], v[90:91] op_sel_hi:[1,0]
	s_waitcnt vmcnt(16)
	v_fmac_f32_e32 v102, v45, v95
	s_waitcnt vmcnt(13)
	v_fmac_f32_e32 v89, v51, v100
	v_fma_f32 v93, v44, v95, -v86
	v_fma_f32 v95, v46, v97, -v88
	;; [unrolled: 1-line block ×3, first 2 shown]
	v_add_f32_e32 v90, 0, v101
	v_add_f32_e32 v41, 0, v41
	s_waitcnt vmcnt(12)
	v_pk_fma_f32 v[50:51], v[52:53], v[66:67], v[42:43] op_sel:[0,0,1] op_sel_hi:[1,1,0] neg_lo:[0,0,1] neg_hi:[0,0,1]
	v_pk_fma_f32 v[42:43], v[52:53], v[66:67], v[42:43] op_sel:[0,0,1] op_sel_hi:[1,0,0]
	v_fmac_f32_e32 v103, v47, v97
	v_add_f32_e32 v42, v90, v102
	v_add_f32_e32 v41, v41, v93
	v_mov_b32_e32 v92, v69
	v_fmac_f32_e32 v87, v49, v99
	v_fma_f32 v86, v48, v99, -v104
	v_mov_b32_e32 v51, v43
	v_add_f32_e32 v43, v42, v103
	v_add_f32_e32 v42, v41, v95
	v_mov_b32_e32 v94, v71
	s_waitcnt lgkmcnt(3)
	v_pk_mul_f32 v[44:45], v[54:55], v[92:93] op_sel_hi:[1,0]
	v_pk_add_f32 v[42:43], v[42:43], v[86:87]
	v_mov_b32_e32 v96, v73
	v_mov_b32_e32 v98, v75
	v_pk_mul_f32 v[46:47], v[56:57], v[94:95] op_sel_hi:[1,0]
	s_waitcnt vmcnt(11)
	v_pk_fma_f32 v[52:53], v[54:55], v[68:69], v[44:45] op_sel:[0,0,1] op_sel_hi:[1,1,0] neg_lo:[0,0,1] neg_hi:[0,0,1]
	v_pk_fma_f32 v[44:45], v[54:55], v[68:69], v[44:45] op_sel:[0,0,1] op_sel_hi:[1,0,0]
	v_pk_add_f32 v[42:43], v[42:43], v[88:89]
	s_waitcnt lgkmcnt(2)
	v_pk_mul_f32 v[48:49], v[58:59], v[96:97] op_sel_hi:[1,0]
	s_waitcnt vmcnt(7)
	v_pk_fma_f32 v[54:55], v[56:57], v[70:71], v[46:47] op_sel:[0,0,1] op_sel_hi:[1,1,0] neg_lo:[0,0,1] neg_hi:[0,0,1]
	v_pk_fma_f32 v[46:47], v[56:57], v[70:71], v[46:47] op_sel:[0,0,1] op_sel_hi:[1,0,0]
	v_mov_b32_e32 v53, v45
	v_pk_add_f32 v[42:43], v[42:43], v[50:51]
	v_pk_mul_f32 v[44:45], v[60:61], v[98:99] op_sel_hi:[1,0]
	v_pk_fma_f32 v[56:57], v[58:59], v[72:73], v[48:49] op_sel:[0,0,1] op_sel_hi:[1,1,0] neg_lo:[0,0,1] neg_hi:[0,0,1]
	v_pk_fma_f32 v[48:49], v[58:59], v[72:73], v[48:49] op_sel:[0,0,1] op_sel_hi:[1,0,0]
	v_mov_b32_e32 v55, v47
	v_pk_add_f32 v[42:43], v[42:43], v[52:53]
	v_pk_fma_f32 v[46:47], v[60:61], v[74:75], v[44:45] op_sel:[0,0,1] op_sel_hi:[1,1,0] neg_lo:[0,0,1] neg_hi:[0,0,1]
	v_pk_fma_f32 v[44:45], v[60:61], v[74:75], v[44:45] op_sel:[0,0,1] op_sel_hi:[1,0,0]
	v_mov_b32_e32 v57, v49
	v_pk_add_f32 v[42:43], v[42:43], v[54:55]
	s_waitcnt vmcnt(6)
	v_mov_b32_e32 v44, v77
	v_pk_add_f32 v[42:43], v[42:43], v[56:57]
	v_mov_b32_e32 v47, v45
	s_waitcnt lgkmcnt(1)
	v_pk_mul_f32 v[44:45], v[62:63], v[44:45] op_sel_hi:[1,0]
	v_pk_add_f32 v[42:43], v[42:43], v[46:47]
	v_pk_fma_f32 v[46:47], v[62:63], v[76:77], v[44:45] op_sel:[0,0,1] op_sel_hi:[1,1,0] neg_lo:[0,0,1] neg_hi:[0,0,1]
	v_pk_fma_f32 v[44:45], v[62:63], v[76:77], v[44:45] op_sel:[0,0,1] op_sel_hi:[1,0,0]
	s_waitcnt vmcnt(5)
	v_mov_b32_e32 v44, v79
	v_mov_b32_e32 v47, v45
	v_pk_mul_f32 v[44:45], v[64:65], v[44:45] op_sel_hi:[1,0]
	v_pk_add_f32 v[42:43], v[42:43], v[46:47]
	s_waitcnt vmcnt(3)
	v_pk_fma_f32 v[46:47], v[64:65], v[78:79], v[44:45] op_sel:[0,0,1] op_sel_hi:[1,1,0] neg_lo:[0,0,1] neg_hi:[0,0,1]
	v_pk_fma_f32 v[44:45], v[64:65], v[78:79], v[44:45] op_sel:[0,0,1] op_sel_hi:[1,0,0]
	s_waitcnt vmcnt(2)
	v_mov_b32_e32 v44, v81
	v_mov_b32_e32 v47, v45
	s_waitcnt lgkmcnt(0)
	v_pk_mul_f32 v[44:45], v[84:85], v[44:45] op_sel_hi:[1,0]
	v_pk_add_f32 v[42:43], v[42:43], v[46:47]
	v_pk_fma_f32 v[46:47], v[84:85], v[80:81], v[44:45] op_sel:[0,0,1] op_sel_hi:[1,1,0] neg_lo:[0,0,1] neg_hi:[0,0,1]
	v_pk_fma_f32 v[44:45], v[84:85], v[80:81], v[44:45] op_sel:[0,0,1] op_sel_hi:[1,0,0]
	v_mov_b32_e32 v47, v45
	v_pk_add_f32 v[42:43], v[42:43], v[46:47]
	s_waitcnt vmcnt(0)
	v_pk_add_f32 v[42:43], v[82:83], v[42:43] neg_lo:[0,1] neg_hi:[0,1]
	buffer_store_dword v43, off, s[0:3], 0 offset:44
	buffer_store_dword v42, off, s[0:3], 0 offset:40
	s_and_saveexec_b64 s[4:5], vcc
	s_cbranch_execz .LBB18_119
; %bb.118:
	buffer_load_dword v42, off, s[0:3], 0 offset:32
	buffer_load_dword v43, off, s[0:3], 0 offset:36
	s_waitcnt vmcnt(0)
	ds_write_b64 v1, v[42:43]
	buffer_store_dword v40, off, s[0:3], 0 offset:32
	buffer_store_dword v40, off, s[0:3], 0 offset:36
.LBB18_119:
	s_or_b64 exec, exec, s[4:5]
	s_waitcnt lgkmcnt(0)
	; wave barrier
	s_waitcnt lgkmcnt(0)
	buffer_load_dword v88, off, s[0:3], 0 offset:44
	buffer_load_dword v90, off, s[0:3], 0 offset:52
	;; [unrolled: 1-line block ×30, first 2 shown]
	ds_read2_b64 v[42:45], v40 offset0:25 offset1:26
	ds_read2_b64 v[46:49], v40 offset0:27 offset1:28
	ds_read2_b64 v[50:53], v40 offset0:29 offset1:30
	ds_read2_b64 v[54:57], v40 offset0:31 offset1:32
	ds_read2_b64 v[58:61], v40 offset0:33 offset1:34
	ds_read2_b64 v[62:65], v40 offset0:35 offset1:36
	ds_read2_b64 v[66:69], v40 offset0:37 offset1:38
	v_cmp_lt_u32_e32 vcc, 3, v0
	s_waitcnt vmcnt(29) lgkmcnt(6)
	v_mul_f32_e32 v101, v42, v88
	s_waitcnt vmcnt(28)
	v_mul_f32_e32 v102, v44, v90
	s_waitcnt vmcnt(27) lgkmcnt(5)
	v_mul_f32_e32 v103, v46, v91
	v_mul_f32_e32 v91, v47, v91
	s_waitcnt vmcnt(26)
	v_mul_f32_e32 v104, v48, v92
	s_waitcnt vmcnt(25) lgkmcnt(4)
	v_mul_f32_e32 v41, v50, v93
	v_mul_f32_e32 v40, v43, v88
	;; [unrolled: 1-line block ×5, first 2 shown]
	s_waitcnt vmcnt(23)
	v_mov_b32_e32 v90, v71
	s_waitcnt vmcnt(22)
	v_mov_b32_e32 v92, v73
	s_waitcnt vmcnt(18)
	v_fma_f32 v91, v46, v97, -v91
	v_fmac_f32_e32 v101, v43, v95
	v_fmac_f32_e32 v102, v45, v96
	s_waitcnt vmcnt(17)
	v_fmac_f32_e32 v104, v49, v98
	v_fma_f32 v49, v42, v95, -v40
	v_fma_f32 v95, v44, v96, -v88
	s_waitcnt lgkmcnt(3)
	v_pk_mul_f32 v[42:43], v[54:55], v[90:91] op_sel_hi:[1,0]
	v_pk_mul_f32 v[44:45], v[56:57], v[92:93] op_sel_hi:[1,0]
	s_waitcnt vmcnt(16)
	v_fmac_f32_e32 v41, v51, v99
	v_fma_f32 v96, v48, v98, -v105
	v_fma_f32 v40, v50, v99, -v93
	v_add_f32_e32 v90, 0, v101
	v_add_f32_e32 v92, 0, v49
	s_waitcnt vmcnt(14)
	v_pk_fma_f32 v[48:49], v[54:55], v[70:71], v[42:43] op_sel:[0,0,1] op_sel_hi:[1,1,0] neg_lo:[0,0,1] neg_hi:[0,0,1]
	v_pk_fma_f32 v[42:43], v[54:55], v[70:71], v[42:43] op_sel:[0,0,1] op_sel_hi:[1,0,0]
	s_waitcnt vmcnt(10)
	v_pk_fma_f32 v[50:51], v[56:57], v[72:73], v[44:45] op_sel:[0,0,1] op_sel_hi:[1,1,0] neg_lo:[0,0,1] neg_hi:[0,0,1]
	v_pk_fma_f32 v[44:45], v[56:57], v[72:73], v[44:45] op_sel:[0,0,1] op_sel_hi:[1,0,0]
	v_fmac_f32_e32 v103, v47, v97
	v_add_f32_e32 v42, v90, v102
	v_add_f32_e32 v44, v92, v95
	;; [unrolled: 1-line block ×4, first 2 shown]
	v_mul_f32_e32 v89, v52, v94
	v_mul_f32_e32 v106, v53, v94
	v_mov_b32_e32 v49, v43
	v_add_f32_e32 v43, v42, v104
	v_add_f32_e32 v42, v44, v96
	v_mov_b32_e32 v94, v75
	v_fmac_f32_e32 v89, v53, v100
	v_fma_f32 v88, v52, v100, -v106
	v_pk_add_f32 v[40:41], v[42:43], v[40:41]
	s_waitcnt vmcnt(9)
	v_mov_b32_e32 v42, v79
	s_waitcnt lgkmcnt(2)
	v_pk_mul_f32 v[46:47], v[58:59], v[94:95] op_sel_hi:[1,0]
	v_pk_add_f32 v[40:41], v[40:41], v[88:89]
	v_pk_mul_f32 v[42:43], v[60:61], v[42:43] op_sel_hi:[1,0]
	v_pk_fma_f32 v[52:53], v[58:59], v[74:75], v[46:47] op_sel:[0,0,1] op_sel_hi:[1,1,0] neg_lo:[0,0,1] neg_hi:[0,0,1]
	v_pk_fma_f32 v[46:47], v[58:59], v[74:75], v[46:47] op_sel:[0,0,1] op_sel_hi:[1,0,0]
	v_mov_b32_e32 v51, v45
	v_pk_add_f32 v[40:41], v[40:41], v[48:49]
	v_pk_fma_f32 v[44:45], v[60:61], v[78:79], v[42:43] op_sel:[0,0,1] op_sel_hi:[1,1,0] neg_lo:[0,0,1] neg_hi:[0,0,1]
	v_pk_fma_f32 v[42:43], v[60:61], v[78:79], v[42:43] op_sel:[0,0,1] op_sel_hi:[1,0,0]
	v_mov_b32_e32 v53, v47
	v_pk_add_f32 v[40:41], v[40:41], v[50:51]
	s_waitcnt vmcnt(8)
	v_mov_b32_e32 v42, v77
	v_pk_add_f32 v[40:41], v[40:41], v[52:53]
	v_mov_b32_e32 v45, v43
	s_waitcnt lgkmcnt(1)
	v_pk_mul_f32 v[42:43], v[62:63], v[42:43] op_sel_hi:[1,0]
	v_pk_add_f32 v[40:41], v[40:41], v[44:45]
	v_pk_fma_f32 v[44:45], v[62:63], v[76:77], v[42:43] op_sel:[0,0,1] op_sel_hi:[1,1,0] neg_lo:[0,0,1] neg_hi:[0,0,1]
	v_pk_fma_f32 v[42:43], v[62:63], v[76:77], v[42:43] op_sel:[0,0,1] op_sel_hi:[1,0,0]
	s_waitcnt vmcnt(7)
	v_mov_b32_e32 v42, v81
	v_mov_b32_e32 v45, v43
	v_pk_mul_f32 v[42:43], v[64:65], v[42:43] op_sel_hi:[1,0]
	v_pk_add_f32 v[40:41], v[40:41], v[44:45]
	s_waitcnt vmcnt(4)
	v_pk_fma_f32 v[44:45], v[64:65], v[80:81], v[42:43] op_sel:[0,0,1] op_sel_hi:[1,1,0] neg_lo:[0,0,1] neg_hi:[0,0,1]
	v_pk_fma_f32 v[42:43], v[64:65], v[80:81], v[42:43] op_sel:[0,0,1] op_sel_hi:[1,0,0]
	s_waitcnt vmcnt(3)
	v_mov_b32_e32 v42, v85
	v_mov_b32_e32 v45, v43
	s_waitcnt lgkmcnt(0)
	v_pk_mul_f32 v[42:43], v[66:67], v[42:43] op_sel_hi:[1,0]
	v_pk_add_f32 v[40:41], v[40:41], v[44:45]
	v_pk_fma_f32 v[44:45], v[66:67], v[84:85], v[42:43] op_sel:[0,0,1] op_sel_hi:[1,1,0] neg_lo:[0,0,1] neg_hi:[0,0,1]
	v_pk_fma_f32 v[42:43], v[66:67], v[84:85], v[42:43] op_sel:[0,0,1] op_sel_hi:[1,0,0]
	s_waitcnt vmcnt(0)
	v_mov_b32_e32 v42, v83
	v_mov_b32_e32 v45, v43
	v_pk_mul_f32 v[42:43], v[68:69], v[42:43] op_sel_hi:[1,0]
	v_pk_add_f32 v[40:41], v[40:41], v[44:45]
	v_pk_fma_f32 v[44:45], v[68:69], v[82:83], v[42:43] op_sel:[0,0,1] op_sel_hi:[1,1,0] neg_lo:[0,0,1] neg_hi:[0,0,1]
	v_pk_fma_f32 v[42:43], v[68:69], v[82:83], v[42:43] op_sel:[0,0,1] op_sel_hi:[1,0,0]
	v_mov_b32_e32 v45, v43
	v_pk_add_f32 v[40:41], v[40:41], v[44:45]
	v_pk_add_f32 v[40:41], v[86:87], v[40:41] neg_lo:[0,1] neg_hi:[0,1]
	buffer_store_dword v41, off, s[0:3], 0 offset:36
	buffer_store_dword v40, off, s[0:3], 0 offset:32
	s_and_saveexec_b64 s[4:5], vcc
	s_cbranch_execz .LBB18_121
; %bb.120:
	buffer_load_dword v40, off, s[0:3], 0 offset:24
	buffer_load_dword v41, off, s[0:3], 0 offset:28
	v_mov_b32_e32 v42, 0
	buffer_store_dword v42, off, s[0:3], 0 offset:24
	buffer_store_dword v42, off, s[0:3], 0 offset:28
	s_waitcnt vmcnt(2)
	ds_write_b64 v1, v[40:41]
.LBB18_121:
	s_or_b64 exec, exec, s[4:5]
	s_waitcnt lgkmcnt(0)
	; wave barrier
	s_waitcnt lgkmcnt(0)
	buffer_load_dword v41, off, s[0:3], 0 offset:36
	buffer_load_dword v90, off, s[0:3], 0 offset:44
	;; [unrolled: 1-line block ×32, first 2 shown]
	v_mov_b32_e32 v40, 0
	ds_read_b128 v[42:45], v40 offset:192
	ds_read_b128 v[46:49], v40 offset:208
	;; [unrolled: 1-line block ×7, first 2 shown]
	ds_read_b64 v[88:89], v40 offset:304
	v_cmp_lt_u32_e32 vcc, 2, v0
	s_waitcnt vmcnt(31) lgkmcnt(7)
	v_mul_f32_e32 v105, v42, v41
	v_mul_f32_e32 v41, v43, v41
	s_waitcnt vmcnt(30)
	v_mul_f32_e32 v106, v44, v90
	s_waitcnt vmcnt(28) lgkmcnt(6)
	v_mul_f32_e32 v108, v48, v94
	s_waitcnt vmcnt(27) lgkmcnt(5)
	v_mul_f32_e32 v109, v50, v95
	v_mul_f32_e32 v110, v49, v94
	v_mul_f32_e32 v95, v51, v95
	s_waitcnt vmcnt(24)
	v_mov_b32_e32 v94, v71
	v_mul_f32_e32 v107, v46, v92
	v_mul_f32_e32 v90, v45, v90
	s_waitcnt vmcnt(22)
	v_fmac_f32_e32 v105, v43, v98
	v_fma_f32 v41, v42, v98, -v41
	s_waitcnt lgkmcnt(4)
	v_pk_mul_f32 v[42:43], v[56:57], v[94:95] op_sel_hi:[1,0]
	v_mul_f32_e32 v92, v47, v92
	s_waitcnt vmcnt(21)
	v_fmac_f32_e32 v106, v45, v99
	s_waitcnt vmcnt(20)
	v_fmac_f32_e32 v107, v47, v100
	;; [unrolled: 2-line block ×3, first 2 shown]
	v_fma_f32 v47, v44, v99, -v90
	s_waitcnt vmcnt(18)
	v_fma_f32 v49, v50, v102, -v95
	v_add_f32_e32 v50, 0, v105
	v_add_f32_e32 v41, 0, v41
	s_waitcnt vmcnt(12)
	v_pk_fma_f32 v[44:45], v[56:57], v[70:71], v[42:43] op_sel:[0,0,1] op_sel_hi:[1,1,0] neg_lo:[0,0,1] neg_hi:[0,0,1]
	v_pk_fma_f32 v[42:43], v[56:57], v[70:71], v[42:43] op_sel:[0,0,1] op_sel_hi:[1,0,0]
	v_fma_f32 v46, v46, v100, -v92
	v_add_f32_e32 v42, v50, v106
	v_add_f32_e32 v41, v41, v47
	v_fma_f32 v48, v48, v101, -v110
	v_add_f32_e32 v42, v42, v107
	v_add_f32_e32 v41, v41, v46
	v_mul_f32_e32 v91, v52, v96
	v_mul_f32_e32 v111, v53, v96
	v_fmac_f32_e32 v109, v51, v102
	v_add_f32_e32 v42, v42, v108
	v_add_f32_e32 v41, v41, v48
	v_mul_f32_e32 v93, v54, v97
	v_mul_f32_e32 v97, v55, v97
	v_fmac_f32_e32 v91, v53, v103
	v_fma_f32 v90, v52, v103, -v111
	v_mov_b32_e32 v45, v43
	v_add_f32_e32 v43, v42, v109
	v_add_f32_e32 v42, v41, v49
	v_fmac_f32_e32 v93, v55, v104
	v_fma_f32 v92, v54, v104, -v97
	v_pk_add_f32 v[42:43], v[42:43], v[90:91]
	v_mov_b32_e32 v96, v73
	v_pk_add_f32 v[42:43], v[42:43], v[92:93]
	v_pk_add_f32 v[42:43], v[42:43], v[44:45]
	s_waitcnt lgkmcnt(3)
	v_pk_mul_f32 v[44:45], v[58:59], v[96:97] op_sel_hi:[1,0]
	v_pk_fma_f32 v[46:47], v[58:59], v[72:73], v[44:45] op_sel:[0,0,1] op_sel_hi:[1,1,0] neg_lo:[0,0,1] neg_hi:[0,0,1]
	v_pk_fma_f32 v[44:45], v[58:59], v[72:73], v[44:45] op_sel:[0,0,1] op_sel_hi:[1,0,0]
	s_waitcnt vmcnt(11)
	v_mov_b32_e32 v44, v77
	v_mov_b32_e32 v47, v45
	v_pk_mul_f32 v[44:45], v[60:61], v[44:45] op_sel_hi:[1,0]
	v_pk_add_f32 v[42:43], v[42:43], v[46:47]
	v_pk_fma_f32 v[46:47], v[60:61], v[76:77], v[44:45] op_sel:[0,0,1] op_sel_hi:[1,1,0] neg_lo:[0,0,1] neg_hi:[0,0,1]
	v_pk_fma_f32 v[44:45], v[60:61], v[76:77], v[44:45] op_sel:[0,0,1] op_sel_hi:[1,0,0]
	s_waitcnt vmcnt(10)
	v_mov_b32_e32 v44, v75
	v_mov_b32_e32 v47, v45
	s_waitcnt lgkmcnt(2)
	v_pk_mul_f32 v[44:45], v[62:63], v[44:45] op_sel_hi:[1,0]
	v_pk_add_f32 v[42:43], v[42:43], v[46:47]
	v_pk_fma_f32 v[46:47], v[62:63], v[74:75], v[44:45] op_sel:[0,0,1] op_sel_hi:[1,1,0] neg_lo:[0,0,1] neg_hi:[0,0,1]
	v_pk_fma_f32 v[44:45], v[62:63], v[74:75], v[44:45] op_sel:[0,0,1] op_sel_hi:[1,0,0]
	s_waitcnt vmcnt(9)
	v_mov_b32_e32 v44, v79
	v_mov_b32_e32 v47, v45
	v_pk_mul_f32 v[44:45], v[64:65], v[44:45] op_sel_hi:[1,0]
	v_pk_add_f32 v[42:43], v[42:43], v[46:47]
	s_waitcnt vmcnt(4)
	v_pk_fma_f32 v[46:47], v[64:65], v[78:79], v[44:45] op_sel:[0,0,1] op_sel_hi:[1,1,0] neg_lo:[0,0,1] neg_hi:[0,0,1]
	v_pk_fma_f32 v[44:45], v[64:65], v[78:79], v[44:45] op_sel:[0,0,1] op_sel_hi:[1,0,0]
	v_mov_b32_e32 v44, v85
	v_mov_b32_e32 v47, v45
	s_waitcnt lgkmcnt(1)
	v_pk_mul_f32 v[44:45], v[66:67], v[44:45] op_sel_hi:[1,0]
	v_pk_add_f32 v[42:43], v[42:43], v[46:47]
	v_pk_fma_f32 v[46:47], v[66:67], v[84:85], v[44:45] op_sel:[0,0,1] op_sel_hi:[1,1,0] neg_lo:[0,0,1] neg_hi:[0,0,1]
	v_pk_fma_f32 v[44:45], v[66:67], v[84:85], v[44:45] op_sel:[0,0,1] op_sel_hi:[1,0,0]
	s_waitcnt vmcnt(3)
	v_mov_b32_e32 v44, v83
	v_mov_b32_e32 v47, v45
	v_pk_mul_f32 v[44:45], v[68:69], v[44:45] op_sel_hi:[1,0]
	v_pk_add_f32 v[42:43], v[42:43], v[46:47]
	v_pk_fma_f32 v[46:47], v[68:69], v[82:83], v[44:45] op_sel:[0,0,1] op_sel_hi:[1,1,0] neg_lo:[0,0,1] neg_hi:[0,0,1]
	v_pk_fma_f32 v[44:45], v[68:69], v[82:83], v[44:45] op_sel:[0,0,1] op_sel_hi:[1,0,0]
	s_waitcnt vmcnt(0)
	v_mov_b32_e32 v44, v81
	v_mov_b32_e32 v47, v45
	s_waitcnt lgkmcnt(0)
	v_pk_mul_f32 v[44:45], v[88:89], v[44:45] op_sel_hi:[1,0]
	v_pk_add_f32 v[42:43], v[42:43], v[46:47]
	v_pk_fma_f32 v[46:47], v[88:89], v[80:81], v[44:45] op_sel:[0,0,1] op_sel_hi:[1,1,0] neg_lo:[0,0,1] neg_hi:[0,0,1]
	v_pk_fma_f32 v[44:45], v[88:89], v[80:81], v[44:45] op_sel:[0,0,1] op_sel_hi:[1,0,0]
	v_mov_b32_e32 v47, v45
	v_pk_add_f32 v[42:43], v[42:43], v[46:47]
	v_pk_add_f32 v[42:43], v[86:87], v[42:43] neg_lo:[0,1] neg_hi:[0,1]
	buffer_store_dword v43, off, s[0:3], 0 offset:28
	buffer_store_dword v42, off, s[0:3], 0 offset:24
	s_and_saveexec_b64 s[4:5], vcc
	s_cbranch_execz .LBB18_123
; %bb.122:
	buffer_load_dword v42, off, s[0:3], 0 offset:16
	buffer_load_dword v43, off, s[0:3], 0 offset:20
	s_waitcnt vmcnt(0)
	ds_write_b64 v1, v[42:43]
	buffer_store_dword v40, off, s[0:3], 0 offset:16
	buffer_store_dword v40, off, s[0:3], 0 offset:20
.LBB18_123:
	s_or_b64 exec, exec, s[4:5]
	s_waitcnt lgkmcnt(0)
	; wave barrier
	s_waitcnt lgkmcnt(0)
	buffer_load_dword v92, off, s[0:3], 0 offset:28
	buffer_load_dword v94, off, s[0:3], 0 offset:36
	;; [unrolled: 1-line block ×32, first 2 shown]
	ds_read2_b64 v[42:45], v40 offset0:23 offset1:24
	ds_read2_b64 v[46:49], v40 offset0:25 offset1:26
	;; [unrolled: 1-line block ×4, first 2 shown]
	buffer_load_dword v91, off, s[0:3], 0 offset:148
	buffer_load_dword v90, off, s[0:3], 0 offset:144
	ds_read2_b64 v[58:61], v40 offset0:31 offset1:32
	ds_read2_b64 v[62:65], v40 offset0:33 offset1:34
	;; [unrolled: 1-line block ×4, first 2 shown]
	v_cmp_lt_u32_e32 vcc, 1, v0
	s_waitcnt vmcnt(33) lgkmcnt(7)
	v_mul_f32_e32 v109, v42, v92
	v_mul_f32_e32 v40, v43, v92
	s_waitcnt vmcnt(32)
	v_mul_f32_e32 v110, v44, v94
	s_waitcnt vmcnt(31) lgkmcnt(6)
	v_mul_f32_e32 v111, v46, v95
	v_mul_f32_e32 v92, v45, v94
	;; [unrolled: 1-line block ×3, first 2 shown]
	s_waitcnt vmcnt(30)
	v_mul_f32_e32 v95, v49, v96
	v_mul_f32_e32 v112, v48, v96
	s_waitcnt vmcnt(25)
	v_fmac_f32_e32 v109, v43, v101
	v_fma_f32 v42, v42, v101, -v40
	s_waitcnt vmcnt(24)
	v_fmac_f32_e32 v110, v45, v102
	v_fma_f32 v43, v44, v102, -v92
	s_waitcnt vmcnt(22)
	v_fma_f32 v45, v48, v104, -v95
	v_add_f32_e32 v48, 0, v109
	v_add_f32_e32 v42, 0, v42
	v_fmac_f32_e32 v111, v47, v103
	v_fma_f32 v44, v46, v103, -v94
	v_add_f32_e32 v48, v48, v110
	v_add_f32_e32 v42, v42, v43
	s_waitcnt lgkmcnt(5)
	v_mul_f32_e32 v113, v50, v97
	v_mul_f32_e32 v96, v51, v97
	v_fmac_f32_e32 v112, v49, v104
	v_add_f32_e32 v43, v48, v111
	v_add_f32_e32 v42, v42, v44
	v_mul_f32_e32 v114, v52, v98
	v_mul_f32_e32 v97, v53, v98
	s_waitcnt vmcnt(21)
	v_fmac_f32_e32 v113, v51, v105
	v_fma_f32 v46, v50, v105, -v96
	v_add_f32_e32 v43, v43, v112
	v_add_f32_e32 v42, v42, v45
	s_waitcnt lgkmcnt(4)
	v_mul_f32_e32 v41, v54, v99
	v_mul_f32_e32 v98, v55, v99
	s_waitcnt vmcnt(20)
	v_fmac_f32_e32 v114, v53, v106
	v_fma_f32 v47, v52, v106, -v97
	v_add_f32_e32 v43, v43, v113
	v_add_f32_e32 v42, v42, v46
	s_waitcnt vmcnt(19)
	v_fmac_f32_e32 v41, v55, v107
	v_fma_f32 v40, v54, v107, -v98
	v_add_f32_e32 v43, v43, v114
	v_add_f32_e32 v42, v42, v47
	v_pk_add_f32 v[40:41], v[42:43], v[40:41]
	s_waitcnt vmcnt(17)
	v_mov_b32_e32 v42, v75
	s_waitcnt lgkmcnt(3)
	v_pk_mul_f32 v[42:43], v[58:59], v[42:43] op_sel_hi:[1,0]
	v_mul_f32_e32 v93, v56, v100
	v_mul_f32_e32 v99, v57, v100
	s_waitcnt vmcnt(14)
	v_pk_fma_f32 v[44:45], v[58:59], v[74:75], v[42:43] op_sel:[0,0,1] op_sel_hi:[1,1,0] neg_lo:[0,0,1] neg_hi:[0,0,1]
	v_pk_fma_f32 v[42:43], v[58:59], v[74:75], v[42:43] op_sel:[0,0,1] op_sel_hi:[1,0,0]
	v_fmac_f32_e32 v93, v57, v108
	v_fma_f32 v92, v56, v108, -v99
	s_waitcnt vmcnt(13)
	v_mov_b32_e32 v42, v79
	v_pk_add_f32 v[40:41], v[40:41], v[92:93]
	v_mov_b32_e32 v45, v43
	v_pk_mul_f32 v[42:43], v[60:61], v[42:43] op_sel_hi:[1,0]
	v_pk_add_f32 v[40:41], v[40:41], v[44:45]
	v_pk_fma_f32 v[44:45], v[60:61], v[78:79], v[42:43] op_sel:[0,0,1] op_sel_hi:[1,1,0] neg_lo:[0,0,1] neg_hi:[0,0,1]
	v_pk_fma_f32 v[42:43], v[60:61], v[78:79], v[42:43] op_sel:[0,0,1] op_sel_hi:[1,0,0]
	s_waitcnt vmcnt(12)
	v_mov_b32_e32 v42, v77
	v_mov_b32_e32 v45, v43
	s_waitcnt lgkmcnt(2)
	v_pk_mul_f32 v[42:43], v[62:63], v[42:43] op_sel_hi:[1,0]
	v_pk_add_f32 v[40:41], v[40:41], v[44:45]
	v_pk_fma_f32 v[44:45], v[62:63], v[76:77], v[42:43] op_sel:[0,0,1] op_sel_hi:[1,1,0] neg_lo:[0,0,1] neg_hi:[0,0,1]
	v_pk_fma_f32 v[42:43], v[62:63], v[76:77], v[42:43] op_sel:[0,0,1] op_sel_hi:[1,0,0]
	s_waitcnt vmcnt(11)
	v_mov_b32_e32 v42, v81
	v_mov_b32_e32 v45, v43
	v_pk_mul_f32 v[42:43], v[64:65], v[42:43] op_sel_hi:[1,0]
	v_pk_add_f32 v[40:41], v[40:41], v[44:45]
	s_waitcnt vmcnt(5)
	v_pk_fma_f32 v[44:45], v[64:65], v[80:81], v[42:43] op_sel:[0,0,1] op_sel_hi:[1,1,0] neg_lo:[0,0,1] neg_hi:[0,0,1]
	v_pk_fma_f32 v[42:43], v[64:65], v[80:81], v[42:43] op_sel:[0,0,1] op_sel_hi:[1,0,0]
	v_mov_b32_e32 v42, v87
	v_mov_b32_e32 v45, v43
	s_waitcnt lgkmcnt(1)
	v_pk_mul_f32 v[42:43], v[66:67], v[42:43] op_sel_hi:[1,0]
	v_pk_add_f32 v[40:41], v[40:41], v[44:45]
	v_pk_fma_f32 v[44:45], v[66:67], v[86:87], v[42:43] op_sel:[0,0,1] op_sel_hi:[1,1,0] neg_lo:[0,0,1] neg_hi:[0,0,1]
	v_pk_fma_f32 v[42:43], v[66:67], v[86:87], v[42:43] op_sel:[0,0,1] op_sel_hi:[1,0,0]
	v_mov_b32_e32 v42, v85
	v_mov_b32_e32 v45, v43
	v_pk_mul_f32 v[42:43], v[68:69], v[42:43] op_sel_hi:[1,0]
	v_pk_add_f32 v[40:41], v[40:41], v[44:45]
	v_pk_fma_f32 v[44:45], v[68:69], v[84:85], v[42:43] op_sel:[0,0,1] op_sel_hi:[1,1,0] neg_lo:[0,0,1] neg_hi:[0,0,1]
	v_pk_fma_f32 v[42:43], v[68:69], v[84:85], v[42:43] op_sel:[0,0,1] op_sel_hi:[1,0,0]
	s_waitcnt vmcnt(2)
	v_mov_b32_e32 v42, v83
	v_mov_b32_e32 v45, v43
	s_waitcnt lgkmcnt(0)
	v_pk_mul_f32 v[42:43], v[70:71], v[42:43] op_sel_hi:[1,0]
	v_pk_add_f32 v[40:41], v[40:41], v[44:45]
	v_pk_fma_f32 v[44:45], v[70:71], v[82:83], v[42:43] op_sel:[0,0,1] op_sel_hi:[1,1,0] neg_lo:[0,0,1] neg_hi:[0,0,1]
	v_pk_fma_f32 v[42:43], v[70:71], v[82:83], v[42:43] op_sel:[0,0,1] op_sel_hi:[1,0,0]
	s_waitcnt vmcnt(1)
	v_mov_b32_e32 v42, v91
	v_mov_b32_e32 v45, v43
	v_pk_mul_f32 v[42:43], v[72:73], v[42:43] op_sel_hi:[1,0]
	v_pk_add_f32 v[40:41], v[40:41], v[44:45]
	s_waitcnt vmcnt(0)
	v_pk_fma_f32 v[44:45], v[72:73], v[90:91], v[42:43] op_sel:[0,0,1] op_sel_hi:[1,1,0] neg_lo:[0,0,1] neg_hi:[0,0,1]
	v_pk_fma_f32 v[42:43], v[72:73], v[90:91], v[42:43] op_sel:[0,0,1] op_sel_hi:[1,0,0]
	v_mov_b32_e32 v45, v43
	v_pk_add_f32 v[40:41], v[40:41], v[44:45]
	v_pk_add_f32 v[40:41], v[88:89], v[40:41] neg_lo:[0,1] neg_hi:[0,1]
	buffer_store_dword v41, off, s[0:3], 0 offset:20
	buffer_store_dword v40, off, s[0:3], 0 offset:16
	s_and_saveexec_b64 s[4:5], vcc
	s_cbranch_execz .LBB18_125
; %bb.124:
	buffer_load_dword v40, off, s[0:3], 0 offset:8
	buffer_load_dword v41, off, s[0:3], 0 offset:12
	v_mov_b32_e32 v42, 0
	buffer_store_dword v42, off, s[0:3], 0 offset:8
	buffer_store_dword v42, off, s[0:3], 0 offset:12
	s_waitcnt vmcnt(2)
	ds_write_b64 v1, v[40:41]
.LBB18_125:
	s_or_b64 exec, exec, s[4:5]
	s_waitcnt lgkmcnt(0)
	; wave barrier
	s_waitcnt lgkmcnt(0)
	buffer_load_dword v41, off, s[0:3], 0 offset:20
	buffer_load_dword v84, off, s[0:3], 0 offset:28
	;; [unrolled: 1-line block ×36, first 2 shown]
	v_mov_b32_e32 v40, 0
	ds_read_b128 v[42:45], v40 offset:176
	ds_read_b128 v[46:49], v40 offset:192
	;; [unrolled: 1-line block ×6, first 2 shown]
	v_cmp_ne_u32_e32 vcc, 0, v0
	s_waitcnt vmcnt(35) lgkmcnt(5)
	v_mul_f32_e32 v103, v42, v41
	s_waitcnt vmcnt(34)
	v_mul_f32_e32 v104, v44, v84
	s_waitcnt vmcnt(33) lgkmcnt(4)
	v_mul_f32_e32 v105, v46, v86
	v_mul_f32_e32 v41, v43, v41
	;; [unrolled: 1-line block ×4, first 2 shown]
	s_waitcnt vmcnt(32)
	v_mul_f32_e32 v106, v48, v88
	s_waitcnt vmcnt(31) lgkmcnt(3)
	v_mul_f32_e32 v107, v50, v89
	v_mul_f32_e32 v88, v49, v88
	s_waitcnt vmcnt(26)
	v_fmac_f32_e32 v103, v43, v94
	s_waitcnt vmcnt(25)
	v_fmac_f32_e32 v104, v45, v95
	;; [unrolled: 2-line block ×3, first 2 shown]
	v_fma_f32 v41, v42, v94, -v41
	v_add_f32_e32 v47, 0, v103
	v_fma_f32 v42, v44, v95, -v84
	v_add_f32_e32 v41, 0, v41
	v_add_f32_e32 v47, v47, v104
	s_waitcnt vmcnt(23)
	v_fmac_f32_e32 v106, v49, v97
	v_fma_f32 v43, v46, v96, -v86
	v_add_f32_e32 v41, v41, v42
	v_add_f32_e32 v42, v47, v105
	v_mul_f32_e32 v108, v52, v90
	v_mul_f32_e32 v89, v51, v89
	s_waitcnt vmcnt(22)
	v_fmac_f32_e32 v107, v51, v98
	v_fma_f32 v44, v48, v97, -v88
	v_add_f32_e32 v41, v41, v43
	v_add_f32_e32 v42, v42, v106
	s_waitcnt lgkmcnt(2)
	v_mul_f32_e32 v109, v54, v91
	v_mul_f32_e32 v90, v53, v90
	s_waitcnt vmcnt(21)
	v_fmac_f32_e32 v108, v53, v99
	v_fma_f32 v45, v50, v98, -v89
	v_add_f32_e32 v41, v41, v44
	v_add_f32_e32 v42, v42, v107
	v_mul_f32_e32 v91, v55, v91
	s_waitcnt vmcnt(20)
	v_fmac_f32_e32 v109, v55, v100
	v_fma_f32 v46, v52, v99, -v90
	v_add_f32_e32 v41, v41, v45
	v_add_f32_e32 v42, v42, v108
	;; [unrolled: 1-line block ×4, first 2 shown]
	v_fma_f32 v42, v54, v100, -v91
	s_waitcnt vmcnt(17)
	v_mov_b32_e32 v54, v67
	v_mul_f32_e32 v85, v56, v92
	v_add_f32_e32 v50, v41, v42
	v_mul_f32_e32 v41, v57, v92
	s_waitcnt lgkmcnt(1)
	v_pk_mul_f32 v[54:55], v[60:61], v[54:55] op_sel_hi:[1,0]
	v_mul_f32_e32 v87, v58, v93
	v_fmac_f32_e32 v85, v57, v101
	v_fma_f32 v84, v56, v101, -v41
	v_mul_f32_e32 v41, v59, v93
	s_waitcnt vmcnt(15)
	v_pk_fma_f32 v[56:57], v[60:61], v[66:67], v[54:55] op_sel:[0,0,1] op_sel_hi:[1,1,0] neg_lo:[0,0,1] neg_hi:[0,0,1]
	v_pk_fma_f32 v[54:55], v[60:61], v[66:67], v[54:55] op_sel:[0,0,1] op_sel_hi:[1,0,0]
	v_fmac_f32_e32 v87, v59, v102
	v_fma_f32 v86, v58, v102, -v41
	v_pk_add_f32 v[50:51], v[50:51], v[84:85]
	s_waitcnt vmcnt(12)
	v_mov_b32_e32 v54, v69
	v_pk_add_f32 v[50:51], v[50:51], v[86:87]
	v_mov_b32_e32 v57, v55
	s_waitcnt lgkmcnt(0)
	v_pk_mul_f32 v[54:55], v[62:63], v[54:55] op_sel_hi:[1,0]
	v_pk_add_f32 v[50:51], v[50:51], v[56:57]
	v_pk_fma_f32 v[56:57], v[62:63], v[68:69], v[54:55] op_sel:[0,0,1] op_sel_hi:[1,1,0] neg_lo:[0,0,1] neg_hi:[0,0,1]
	v_pk_fma_f32 v[54:55], v[62:63], v[68:69], v[54:55] op_sel:[0,0,1] op_sel_hi:[1,0,0]
	s_waitcnt vmcnt(11)
	v_mov_b32_e32 v54, v73
	ds_read_b128 v[42:45], v40 offset:272
	ds_read_b128 v[46:49], v40 offset:288
	ds_read_b64 v[52:53], v40 offset:304
	v_mov_b32_e32 v57, v55
	v_pk_mul_f32 v[54:55], v[64:65], v[54:55] op_sel_hi:[1,0]
	v_pk_add_f32 v[50:51], v[50:51], v[56:57]
	s_waitcnt vmcnt(4)
	v_pk_fma_f32 v[56:57], v[64:65], v[72:73], v[54:55] op_sel:[0,0,1] op_sel_hi:[1,1,0] neg_lo:[0,0,1] neg_hi:[0,0,1]
	v_pk_fma_f32 v[54:55], v[64:65], v[72:73], v[54:55] op_sel:[0,0,1] op_sel_hi:[1,0,0]
	v_mov_b32_e32 v54, v79
	v_mov_b32_e32 v57, v55
	s_waitcnt lgkmcnt(2)
	v_pk_mul_f32 v[54:55], v[42:43], v[54:55] op_sel_hi:[1,0]
	v_pk_add_f32 v[50:51], v[50:51], v[56:57]
	v_pk_fma_f32 v[56:57], v[42:43], v[78:79], v[54:55] op_sel:[0,0,1] op_sel_hi:[1,1,0] neg_lo:[0,0,1] neg_hi:[0,0,1]
	v_pk_fma_f32 v[42:43], v[42:43], v[78:79], v[54:55] op_sel:[0,0,1] op_sel_hi:[1,0,0]
	v_mov_b32_e32 v57, v43
	v_pk_add_f32 v[42:43], v[50:51], v[56:57]
	v_mov_b32_e32 v50, v77
	v_pk_mul_f32 v[50:51], v[44:45], v[50:51] op_sel_hi:[1,0]
	v_pk_fma_f32 v[54:55], v[44:45], v[76:77], v[50:51] op_sel:[0,0,1] op_sel_hi:[1,1,0] neg_lo:[0,0,1] neg_hi:[0,0,1]
	v_pk_fma_f32 v[44:45], v[44:45], v[76:77], v[50:51] op_sel:[0,0,1] op_sel_hi:[1,0,0]
	v_mov_b32_e32 v44, v75
	v_mov_b32_e32 v55, v45
	s_waitcnt lgkmcnt(1)
	v_pk_mul_f32 v[44:45], v[46:47], v[44:45] op_sel_hi:[1,0]
	v_pk_fma_f32 v[50:51], v[46:47], v[74:75], v[44:45] op_sel:[0,0,1] op_sel_hi:[1,1,0] neg_lo:[0,0,1] neg_hi:[0,0,1]
	v_pk_fma_f32 v[44:45], v[46:47], v[74:75], v[44:45] op_sel:[0,0,1] op_sel_hi:[1,0,0]
	s_waitcnt vmcnt(1)
	v_mov_b32_e32 v44, v83
	v_mov_b32_e32 v51, v45
	v_pk_mul_f32 v[44:45], v[48:49], v[44:45] op_sel_hi:[1,0]
	s_waitcnt vmcnt(0)
	v_pk_fma_f32 v[46:47], v[48:49], v[82:83], v[44:45] op_sel:[0,0,1] op_sel_hi:[1,1,0] neg_lo:[0,0,1] neg_hi:[0,0,1]
	v_pk_fma_f32 v[44:45], v[48:49], v[82:83], v[44:45] op_sel:[0,0,1] op_sel_hi:[1,0,0]
	v_pk_add_f32 v[42:43], v[42:43], v[54:55]
	v_mov_b32_e32 v44, v81
	v_pk_add_f32 v[42:43], v[42:43], v[50:51]
	v_mov_b32_e32 v47, v45
	s_waitcnt lgkmcnt(0)
	v_pk_mul_f32 v[44:45], v[52:53], v[44:45] op_sel_hi:[1,0]
	v_pk_add_f32 v[42:43], v[42:43], v[46:47]
	v_pk_fma_f32 v[46:47], v[52:53], v[80:81], v[44:45] op_sel:[0,0,1] op_sel_hi:[1,1,0] neg_lo:[0,0,1] neg_hi:[0,0,1]
	v_pk_fma_f32 v[44:45], v[52:53], v[80:81], v[44:45] op_sel:[0,0,1] op_sel_hi:[1,0,0]
	v_mov_b32_e32 v47, v45
	v_pk_add_f32 v[42:43], v[42:43], v[46:47]
	v_pk_add_f32 v[42:43], v[70:71], v[42:43] neg_lo:[0,1] neg_hi:[0,1]
	buffer_store_dword v43, off, s[0:3], 0 offset:12
	buffer_store_dword v42, off, s[0:3], 0 offset:8
	s_and_saveexec_b64 s[4:5], vcc
	s_cbranch_execz .LBB18_127
; %bb.126:
	buffer_load_dword v42, off, s[0:3], 0
	buffer_load_dword v43, off, s[0:3], 0 offset:4
	s_waitcnt vmcnt(0)
	ds_write_b64 v1, v[42:43]
	buffer_store_dword v40, off, s[0:3], 0
	buffer_store_dword v40, off, s[0:3], 0 offset:4
.LBB18_127:
	s_or_b64 exec, exec, s[4:5]
	s_waitcnt lgkmcnt(0)
	; wave barrier
	s_waitcnt lgkmcnt(0)
	buffer_load_dword v41, off, s[0:3], 0 offset:12
	buffer_load_dword v82, off, s[0:3], 0 offset:20
	;; [unrolled: 1-line block ×20, first 2 shown]
	buffer_load_dword v0, off, s[0:3], 0
	buffer_load_dword v1, off, s[0:3], 0 offset:4
	ds_read2_b64 v[42:45], v40 offset0:21 offset1:22
	ds_read2_b64 v[46:49], v40 offset0:23 offset1:24
	buffer_load_dword v67, off, s[0:3], 0 offset:92
	buffer_load_dword v66, off, s[0:3], 0 offset:88
	;; [unrolled: 1-line block ×10, first 2 shown]
	ds_read2_b64 v[50:53], v40 offset0:25 offset1:26
	ds_read2_b64 v[54:57], v40 offset0:27 offset1:28
	;; [unrolled: 1-line block ×4, first 2 shown]
	buffer_load_dword v77, off, s[0:3], 0 offset:148
	buffer_load_dword v76, off, s[0:3], 0 offset:144
	;; [unrolled: 1-line block ×6, first 2 shown]
	s_and_b64 vcc, exec, s[20:21]
	s_waitcnt vmcnt(37) lgkmcnt(5)
	v_mul_f32_e32 v103, v42, v41
	s_waitcnt vmcnt(36)
	v_mul_f32_e32 v104, v44, v82
	s_waitcnt vmcnt(35) lgkmcnt(4)
	v_mul_f32_e32 v105, v46, v84
	v_mul_f32_e32 v41, v43, v41
	;; [unrolled: 1-line block ×4, first 2 shown]
	s_waitcnt vmcnt(34)
	v_mul_f32_e32 v106, v48, v86
	s_waitcnt vmcnt(33) lgkmcnt(3)
	v_mul_f32_e32 v107, v50, v87
	s_waitcnt vmcnt(32)
	v_mul_f32_e32 v108, v52, v88
	s_waitcnt vmcnt(31) lgkmcnt(2)
	v_mul_f32_e32 v109, v54, v89
	s_waitcnt vmcnt(27)
	v_fmac_f32_e32 v103, v43, v93
	s_waitcnt vmcnt(26)
	v_fmac_f32_e32 v104, v45, v94
	v_fma_f32 v41, v42, v93, -v41
	s_waitcnt vmcnt(25)
	v_fma_f32 v43, v46, v95, -v84
	v_add_f32_e32 v46, 0, v103
	v_fmac_f32_e32 v105, v47, v95
	v_fma_f32 v42, v44, v94, -v82
	v_add_f32_e32 v41, 0, v41
	v_add_f32_e32 v46, v46, v104
	s_waitcnt vmcnt(24)
	v_fmac_f32_e32 v106, v49, v96
	v_add_f32_e32 v41, v41, v42
	v_add_f32_e32 v42, v46, v105
	s_waitcnt vmcnt(23)
	v_fmac_f32_e32 v107, v51, v97
	v_add_f32_e32 v42, v42, v106
	v_mul_f32_e32 v86, v49, v86
	s_waitcnt vmcnt(22)
	v_fmac_f32_e32 v108, v53, v98
	v_add_f32_e32 v42, v42, v107
	v_mul_f32_e32 v110, v56, v90
	v_mul_f32_e32 v87, v51, v87
	s_waitcnt vmcnt(21)
	v_fmac_f32_e32 v109, v55, v99
	v_fma_f32 v44, v48, v96, -v86
	v_add_f32_e32 v41, v41, v43
	v_add_f32_e32 v42, v42, v108
	v_mul_f32_e32 v88, v53, v88
	s_waitcnt vmcnt(20)
	v_fmac_f32_e32 v110, v57, v100
	v_fma_f32 v45, v50, v97, -v87
	v_add_f32_e32 v41, v41, v44
	v_add_f32_e32 v42, v42, v109
	;; [unrolled: 1-line block ×4, first 2 shown]
	v_fma_f32 v42, v52, v98, -v88
	v_add_f32_e32 v41, v41, v42
	v_mul_f32_e32 v42, v55, v89
	v_fma_f32 v42, v54, v99, -v42
	v_add_f32_e32 v41, v41, v42
	v_mul_f32_e32 v42, v57, v90
	v_fma_f32 v42, v56, v100, -v42
	s_waitcnt vmcnt(15)
	v_mov_b32_e32 v54, v67
	s_waitcnt lgkmcnt(1)
	v_mul_f32_e32 v83, v58, v91
	v_add_f32_e32 v86, v41, v42
	v_mul_f32_e32 v41, v59, v91
	s_waitcnt lgkmcnt(0)
	v_pk_mul_f32 v[54:55], v[62:63], v[54:55] op_sel_hi:[1,0]
	v_mul_f32_e32 v85, v60, v92
	v_fmac_f32_e32 v83, v59, v101
	v_fma_f32 v82, v58, v101, -v41
	v_mul_f32_e32 v41, v61, v92
	s_waitcnt vmcnt(14)
	v_pk_fma_f32 v[56:57], v[62:63], v[66:67], v[54:55] op_sel:[0,0,1] op_sel_hi:[1,1,0] neg_lo:[0,0,1] neg_hi:[0,0,1]
	v_pk_fma_f32 v[54:55], v[62:63], v[66:67], v[54:55] op_sel:[0,0,1] op_sel_hi:[1,0,0]
	v_fmac_f32_e32 v85, v61, v102
	v_fma_f32 v84, v60, v102, -v41
	ds_read2_b64 v[42:45], v40 offset0:33 offset1:34
	ds_read2_b64 v[46:49], v40 offset0:35 offset1:36
	;; [unrolled: 1-line block ×3, first 2 shown]
	v_pk_add_f32 v[40:41], v[86:87], v[82:83]
	s_waitcnt vmcnt(13)
	v_mov_b32_e32 v54, v69
	v_pk_add_f32 v[40:41], v[40:41], v[84:85]
	v_mov_b32_e32 v57, v55
	v_pk_mul_f32 v[54:55], v[64:65], v[54:55] op_sel_hi:[1,0]
	v_pk_add_f32 v[40:41], v[40:41], v[56:57]
	s_waitcnt vmcnt(6)
	v_pk_fma_f32 v[56:57], v[64:65], v[68:69], v[54:55] op_sel:[0,0,1] op_sel_hi:[1,1,0] neg_lo:[0,0,1] neg_hi:[0,0,1]
	v_pk_fma_f32 v[54:55], v[64:65], v[68:69], v[54:55] op_sel:[0,0,1] op_sel_hi:[1,0,0]
	v_mov_b32_e32 v54, v75
	v_mov_b32_e32 v57, v55
	s_waitcnt lgkmcnt(2)
	v_pk_mul_f32 v[54:55], v[42:43], v[54:55] op_sel_hi:[1,0]
	v_pk_add_f32 v[40:41], v[40:41], v[56:57]
	v_pk_fma_f32 v[56:57], v[42:43], v[74:75], v[54:55] op_sel:[0,0,1] op_sel_hi:[1,1,0] neg_lo:[0,0,1] neg_hi:[0,0,1]
	v_pk_fma_f32 v[42:43], v[42:43], v[74:75], v[54:55] op_sel:[0,0,1] op_sel_hi:[1,0,0]
	v_mov_b32_e32 v42, v73
	v_mov_b32_e32 v57, v43
	v_pk_mul_f32 v[42:43], v[44:45], v[42:43] op_sel_hi:[1,0]
	v_pk_fma_f32 v[54:55], v[44:45], v[72:73], v[42:43] op_sel:[0,0,1] op_sel_hi:[1,1,0] neg_lo:[0,0,1] neg_hi:[0,0,1]
	v_pk_fma_f32 v[42:43], v[44:45], v[72:73], v[42:43] op_sel:[0,0,1] op_sel_hi:[1,0,0]
	v_mov_b32_e32 v42, v71
	v_mov_b32_e32 v55, v43
	s_waitcnt lgkmcnt(1)
	v_pk_mul_f32 v[42:43], v[46:47], v[42:43] op_sel_hi:[1,0]
	v_pk_fma_f32 v[44:45], v[46:47], v[70:71], v[42:43] op_sel:[0,0,1] op_sel_hi:[1,1,0] neg_lo:[0,0,1] neg_hi:[0,0,1]
	v_pk_fma_f32 v[42:43], v[46:47], v[70:71], v[42:43] op_sel:[0,0,1] op_sel_hi:[1,0,0]
	v_pk_add_f32 v[40:41], v[40:41], v[56:57]
	s_waitcnt vmcnt(1)
	v_mov_b32_e32 v42, v81
	v_pk_add_f32 v[40:41], v[40:41], v[54:55]
	v_mov_b32_e32 v45, v43
	v_pk_mul_f32 v[42:43], v[48:49], v[42:43] op_sel_hi:[1,0]
	v_pk_add_f32 v[40:41], v[40:41], v[44:45]
	s_waitcnt vmcnt(0)
	v_pk_fma_f32 v[44:45], v[48:49], v[80:81], v[42:43] op_sel:[0,0,1] op_sel_hi:[1,1,0] neg_lo:[0,0,1] neg_hi:[0,0,1]
	v_pk_fma_f32 v[42:43], v[48:49], v[80:81], v[42:43] op_sel:[0,0,1] op_sel_hi:[1,0,0]
	v_mov_b32_e32 v42, v79
	v_mov_b32_e32 v45, v43
	s_waitcnt lgkmcnt(0)
	v_pk_mul_f32 v[42:43], v[50:51], v[42:43] op_sel_hi:[1,0]
	v_pk_add_f32 v[40:41], v[40:41], v[44:45]
	v_pk_fma_f32 v[44:45], v[50:51], v[78:79], v[42:43] op_sel:[0,0,1] op_sel_hi:[1,1,0] neg_lo:[0,0,1] neg_hi:[0,0,1]
	v_pk_fma_f32 v[42:43], v[50:51], v[78:79], v[42:43] op_sel:[0,0,1] op_sel_hi:[1,0,0]
	v_mov_b32_e32 v42, v77
	v_mov_b32_e32 v45, v43
	v_pk_mul_f32 v[42:43], v[52:53], v[42:43] op_sel_hi:[1,0]
	v_pk_add_f32 v[40:41], v[40:41], v[44:45]
	v_pk_fma_f32 v[44:45], v[52:53], v[76:77], v[42:43] op_sel:[0,0,1] op_sel_hi:[1,1,0] neg_lo:[0,0,1] neg_hi:[0,0,1]
	v_pk_fma_f32 v[42:43], v[52:53], v[76:77], v[42:43] op_sel:[0,0,1] op_sel_hi:[1,0,0]
	v_mov_b32_e32 v45, v43
	v_pk_add_f32 v[40:41], v[40:41], v[44:45]
	v_pk_add_f32 v[0:1], v[0:1], v[40:41] neg_lo:[0,1] neg_hi:[0,1]
	buffer_store_dword v1, off, s[0:3], 0 offset:4
	buffer_store_dword v0, off, s[0:3], 0
	s_cbranch_vccz .LBB18_165
; %bb.128:
	v_pk_mov_b32 v[0:1], s[10:11], s[10:11] op_sel:[0,1]
	flat_load_dword v0, v[0:1] offset:68
	s_waitcnt vmcnt(0) lgkmcnt(0)
	v_add_u32_e32 v0, -1, v0
	v_cmp_ne_u32_e32 vcc, 17, v0
	s_and_saveexec_b64 s[4:5], vcc
	s_cbranch_execz .LBB18_130
; %bb.129:
	v_mov_b32_e32 v1, 0
	v_lshl_add_u32 v0, v0, 3, v1
	buffer_load_dword v1, v0, s[0:3], 0 offen
	buffer_load_dword v40, v0, s[0:3], 0 offen offset:4
	buffer_load_dword v41, off, s[0:3], 0 offset:136
	buffer_load_dword v42, off, s[0:3], 0 offset:140
	s_waitcnt vmcnt(3)
	buffer_store_dword v1, off, s[0:3], 0 offset:136
	s_waitcnt vmcnt(3)
	buffer_store_dword v40, off, s[0:3], 0 offset:140
	s_waitcnt vmcnt(3)
	buffer_store_dword v41, v0, s[0:3], 0 offen
	s_waitcnt vmcnt(3)
	buffer_store_dword v42, v0, s[0:3], 0 offen offset:4
.LBB18_130:
	s_or_b64 exec, exec, s[4:5]
	v_pk_mov_b32 v[0:1], s[10:11], s[10:11] op_sel:[0,1]
	flat_load_dword v0, v[0:1] offset:64
	s_waitcnt vmcnt(0) lgkmcnt(0)
	v_add_u32_e32 v0, -1, v0
	v_cmp_ne_u32_e32 vcc, 16, v0
	s_and_saveexec_b64 s[4:5], vcc
	s_cbranch_execz .LBB18_132
; %bb.131:
	v_mov_b32_e32 v1, 0
	v_lshl_add_u32 v0, v0, 3, v1
	buffer_load_dword v1, v0, s[0:3], 0 offen
	buffer_load_dword v40, v0, s[0:3], 0 offen offset:4
	buffer_load_dword v41, off, s[0:3], 0 offset:132
	buffer_load_dword v42, off, s[0:3], 0 offset:128
	s_waitcnt vmcnt(3)
	buffer_store_dword v1, off, s[0:3], 0 offset:128
	s_waitcnt vmcnt(3)
	buffer_store_dword v40, off, s[0:3], 0 offset:132
	s_waitcnt vmcnt(3)
	buffer_store_dword v41, v0, s[0:3], 0 offen offset:4
	s_waitcnt vmcnt(3)
	buffer_store_dword v42, v0, s[0:3], 0 offen
.LBB18_132:
	s_or_b64 exec, exec, s[4:5]
	v_pk_mov_b32 v[0:1], s[10:11], s[10:11] op_sel:[0,1]
	flat_load_dword v0, v[0:1] offset:60
	s_waitcnt vmcnt(0) lgkmcnt(0)
	v_add_u32_e32 v0, -1, v0
	v_cmp_ne_u32_e32 vcc, 15, v0
	s_and_saveexec_b64 s[4:5], vcc
	s_cbranch_execz .LBB18_134
; %bb.133:
	v_mov_b32_e32 v1, 0
	v_lshl_add_u32 v0, v0, 3, v1
	buffer_load_dword v1, v0, s[0:3], 0 offen
	buffer_load_dword v40, v0, s[0:3], 0 offen offset:4
	buffer_load_dword v41, off, s[0:3], 0 offset:120
	buffer_load_dword v42, off, s[0:3], 0 offset:124
	s_waitcnt vmcnt(3)
	buffer_store_dword v1, off, s[0:3], 0 offset:120
	s_waitcnt vmcnt(3)
	buffer_store_dword v40, off, s[0:3], 0 offset:124
	s_waitcnt vmcnt(3)
	buffer_store_dword v41, v0, s[0:3], 0 offen
	s_waitcnt vmcnt(3)
	buffer_store_dword v42, v0, s[0:3], 0 offen offset:4
.LBB18_134:
	s_or_b64 exec, exec, s[4:5]
	v_pk_mov_b32 v[0:1], s[10:11], s[10:11] op_sel:[0,1]
	flat_load_dword v0, v[0:1] offset:56
	s_waitcnt vmcnt(0) lgkmcnt(0)
	v_add_u32_e32 v0, -1, v0
	v_cmp_ne_u32_e32 vcc, 14, v0
	s_and_saveexec_b64 s[4:5], vcc
	s_cbranch_execz .LBB18_136
; %bb.135:
	v_mov_b32_e32 v1, 0
	v_lshl_add_u32 v0, v0, 3, v1
	buffer_load_dword v1, v0, s[0:3], 0 offen
	buffer_load_dword v40, v0, s[0:3], 0 offen offset:4
	buffer_load_dword v41, off, s[0:3], 0 offset:116
	buffer_load_dword v42, off, s[0:3], 0 offset:112
	s_waitcnt vmcnt(3)
	buffer_store_dword v1, off, s[0:3], 0 offset:112
	s_waitcnt vmcnt(3)
	buffer_store_dword v40, off, s[0:3], 0 offset:116
	s_waitcnt vmcnt(3)
	buffer_store_dword v41, v0, s[0:3], 0 offen offset:4
	s_waitcnt vmcnt(3)
	buffer_store_dword v42, v0, s[0:3], 0 offen
.LBB18_136:
	s_or_b64 exec, exec, s[4:5]
	;; [unrolled: 48-line block ×8, first 2 shown]
	v_pk_mov_b32 v[0:1], s[10:11], s[10:11] op_sel:[0,1]
	flat_load_dword v0, v[0:1] offset:4
	s_waitcnt vmcnt(0) lgkmcnt(0)
	v_add_u32_e32 v0, -1, v0
	v_cmp_ne_u32_e32 vcc, 1, v0
	s_and_saveexec_b64 s[4:5], vcc
	s_cbranch_execz .LBB18_162
; %bb.161:
	v_mov_b32_e32 v1, 0
	v_lshl_add_u32 v0, v0, 3, v1
	buffer_load_dword v1, v0, s[0:3], 0 offen
	buffer_load_dword v40, v0, s[0:3], 0 offen offset:4
	buffer_load_dword v41, off, s[0:3], 0 offset:8
	buffer_load_dword v42, off, s[0:3], 0 offset:12
	s_waitcnt vmcnt(3)
	buffer_store_dword v1, off, s[0:3], 0 offset:8
	s_waitcnt vmcnt(3)
	buffer_store_dword v40, off, s[0:3], 0 offset:12
	s_waitcnt vmcnt(3)
	buffer_store_dword v41, v0, s[0:3], 0 offen
	s_waitcnt vmcnt(3)
	buffer_store_dword v42, v0, s[0:3], 0 offen offset:4
.LBB18_162:
	s_or_b64 exec, exec, s[4:5]
	v_pk_mov_b32 v[0:1], s[10:11], s[10:11] op_sel:[0,1]
	flat_load_dword v40, v[0:1]
	s_nop 0
	buffer_load_dword v0, off, s[0:3], 0
	buffer_load_dword v1, off, s[0:3], 0 offset:4
	s_waitcnt vmcnt(0) lgkmcnt(0)
	v_add_u32_e32 v40, -1, v40
	v_cmp_ne_u32_e32 vcc, 0, v40
	s_and_saveexec_b64 s[4:5], vcc
	s_cbranch_execz .LBB18_164
; %bb.163:
	v_mov_b32_e32 v41, 0
	v_lshl_add_u32 v40, v40, 3, v41
	buffer_load_dword v41, v40, s[0:3], 0 offen offset:4
	buffer_load_dword v42, v40, s[0:3], 0 offen
	s_waitcnt vmcnt(1)
	buffer_store_dword v41, off, s[0:3], 0 offset:4
	s_waitcnt vmcnt(1)
	buffer_store_dword v42, off, s[0:3], 0
	buffer_store_dword v1, v40, s[0:3], 0 offen offset:4
	buffer_store_dword v0, v40, s[0:3], 0 offen
	buffer_load_dword v0, off, s[0:3], 0
	s_nop 0
	buffer_load_dword v1, off, s[0:3], 0 offset:4
.LBB18_164:
	s_or_b64 exec, exec, s[4:5]
.LBB18_165:
	buffer_load_dword v40, off, s[0:3], 0 offset:8
	buffer_load_dword v41, off, s[0:3], 0 offset:12
	;; [unrolled: 1-line block ×36, first 2 shown]
	s_waitcnt vmcnt(36)
	global_store_dwordx2 v[2:3], v[0:1], off
	s_waitcnt vmcnt(35)
	global_store_dwordx2 v[4:5], v[40:41], off
	;; [unrolled: 2-line block ×19, first 2 shown]
	s_endpgm
	.section	.rodata,"a",@progbits
	.p2align	6, 0x0
	.amdhsa_kernel _ZN9rocsolver6v33100L18getri_kernel_smallILi19E19rocblas_complex_numIfEPS3_EEvT1_iilPiilS6_bb
		.amdhsa_group_segment_fixed_size 312
		.amdhsa_private_segment_fixed_size 160
		.amdhsa_kernarg_size 60
		.amdhsa_user_sgpr_count 8
		.amdhsa_user_sgpr_private_segment_buffer 1
		.amdhsa_user_sgpr_dispatch_ptr 0
		.amdhsa_user_sgpr_queue_ptr 0
		.amdhsa_user_sgpr_kernarg_segment_ptr 1
		.amdhsa_user_sgpr_dispatch_id 0
		.amdhsa_user_sgpr_flat_scratch_init 1
		.amdhsa_user_sgpr_kernarg_preload_length 0
		.amdhsa_user_sgpr_kernarg_preload_offset 0
		.amdhsa_user_sgpr_private_segment_size 0
		.amdhsa_uses_dynamic_stack 0
		.amdhsa_system_sgpr_private_segment_wavefront_offset 1
		.amdhsa_system_sgpr_workgroup_id_x 1
		.amdhsa_system_sgpr_workgroup_id_y 0
		.amdhsa_system_sgpr_workgroup_id_z 0
		.amdhsa_system_sgpr_workgroup_info 0
		.amdhsa_system_vgpr_workitem_id 0
		.amdhsa_next_free_vgpr 115
		.amdhsa_next_free_sgpr 23
		.amdhsa_accum_offset 116
		.amdhsa_reserve_vcc 1
		.amdhsa_reserve_flat_scratch 1
		.amdhsa_float_round_mode_32 0
		.amdhsa_float_round_mode_16_64 0
		.amdhsa_float_denorm_mode_32 3
		.amdhsa_float_denorm_mode_16_64 3
		.amdhsa_dx10_clamp 1
		.amdhsa_ieee_mode 1
		.amdhsa_fp16_overflow 0
		.amdhsa_tg_split 0
		.amdhsa_exception_fp_ieee_invalid_op 0
		.amdhsa_exception_fp_denorm_src 0
		.amdhsa_exception_fp_ieee_div_zero 0
		.amdhsa_exception_fp_ieee_overflow 0
		.amdhsa_exception_fp_ieee_underflow 0
		.amdhsa_exception_fp_ieee_inexact 0
		.amdhsa_exception_int_div_zero 0
	.end_amdhsa_kernel
	.section	.text._ZN9rocsolver6v33100L18getri_kernel_smallILi19E19rocblas_complex_numIfEPS3_EEvT1_iilPiilS6_bb,"axG",@progbits,_ZN9rocsolver6v33100L18getri_kernel_smallILi19E19rocblas_complex_numIfEPS3_EEvT1_iilPiilS6_bb,comdat
.Lfunc_end18:
	.size	_ZN9rocsolver6v33100L18getri_kernel_smallILi19E19rocblas_complex_numIfEPS3_EEvT1_iilPiilS6_bb, .Lfunc_end18-_ZN9rocsolver6v33100L18getri_kernel_smallILi19E19rocblas_complex_numIfEPS3_EEvT1_iilPiilS6_bb
                                        ; -- End function
	.section	.AMDGPU.csdata,"",@progbits
; Kernel info:
; codeLenInByte = 21932
; NumSgprs: 29
; NumVgprs: 115
; NumAgprs: 0
; TotalNumVgprs: 115
; ScratchSize: 160
; MemoryBound: 0
; FloatMode: 240
; IeeeMode: 1
; LDSByteSize: 312 bytes/workgroup (compile time only)
; SGPRBlocks: 3
; VGPRBlocks: 14
; NumSGPRsForWavesPerEU: 29
; NumVGPRsForWavesPerEU: 115
; AccumOffset: 116
; Occupancy: 4
; WaveLimiterHint : 1
; COMPUTE_PGM_RSRC2:SCRATCH_EN: 1
; COMPUTE_PGM_RSRC2:USER_SGPR: 8
; COMPUTE_PGM_RSRC2:TRAP_HANDLER: 0
; COMPUTE_PGM_RSRC2:TGID_X_EN: 1
; COMPUTE_PGM_RSRC2:TGID_Y_EN: 0
; COMPUTE_PGM_RSRC2:TGID_Z_EN: 0
; COMPUTE_PGM_RSRC2:TIDIG_COMP_CNT: 0
; COMPUTE_PGM_RSRC3_GFX90A:ACCUM_OFFSET: 28
; COMPUTE_PGM_RSRC3_GFX90A:TG_SPLIT: 0
	.section	.text._ZN9rocsolver6v33100L18getri_kernel_smallILi20E19rocblas_complex_numIfEPS3_EEvT1_iilPiilS6_bb,"axG",@progbits,_ZN9rocsolver6v33100L18getri_kernel_smallILi20E19rocblas_complex_numIfEPS3_EEvT1_iilPiilS6_bb,comdat
	.globl	_ZN9rocsolver6v33100L18getri_kernel_smallILi20E19rocblas_complex_numIfEPS3_EEvT1_iilPiilS6_bb ; -- Begin function _ZN9rocsolver6v33100L18getri_kernel_smallILi20E19rocblas_complex_numIfEPS3_EEvT1_iilPiilS6_bb
	.p2align	8
	.type	_ZN9rocsolver6v33100L18getri_kernel_smallILi20E19rocblas_complex_numIfEPS3_EEvT1_iilPiilS6_bb,@function
_ZN9rocsolver6v33100L18getri_kernel_smallILi20E19rocblas_complex_numIfEPS3_EEvT1_iilPiilS6_bb: ; @_ZN9rocsolver6v33100L18getri_kernel_smallILi20E19rocblas_complex_numIfEPS3_EEvT1_iilPiilS6_bb
; %bb.0:
	s_add_u32 flat_scratch_lo, s6, s9
	s_addc_u32 flat_scratch_hi, s7, 0
	s_add_u32 s0, s0, s9
	s_addc_u32 s1, s1, 0
	v_cmp_gt_u32_e32 vcc, 20, v0
	s_and_saveexec_b64 s[6:7], vcc
	s_cbranch_execz .LBB19_94
; %bb.1:
	s_load_dword s22, s[4:5], 0x38
	s_load_dwordx4 s[16:19], s[4:5], 0x10
	s_load_dwordx4 s[12:15], s[4:5], 0x28
                                        ; implicit-def: $sgpr10_sgpr11
	s_waitcnt lgkmcnt(0)
	s_bitcmp1_b32 s22, 8
	s_cselect_b64 s[20:21], -1, 0
	s_ashr_i32 s9, s8, 31
	s_bfe_u32 s6, s22, 0x10008
	s_cmp_eq_u32 s6, 0
	s_cbranch_scc1 .LBB19_3
; %bb.2:
	s_load_dword s6, s[4:5], 0x20
	s_mul_i32 s7, s8, s13
	s_mul_hi_u32 s10, s8, s12
	s_mul_i32 s11, s9, s12
	s_add_i32 s10, s10, s7
	s_add_i32 s11, s10, s11
	s_mul_i32 s10, s8, s12
	s_waitcnt lgkmcnt(0)
	s_ashr_i32 s7, s6, 31
	s_lshl_b64 s[10:11], s[10:11], 2
	s_add_u32 s10, s18, s10
	s_addc_u32 s11, s19, s11
	s_lshl_b64 s[6:7], s[6:7], 2
	s_add_u32 s10, s10, s6
	s_addc_u32 s11, s11, s7
.LBB19_3:
	s_load_dwordx4 s[4:7], s[4:5], 0x0
	s_mul_i32 s12, s8, s17
	s_mul_hi_u32 s13, s8, s16
	s_add_i32 s17, s13, s12
	v_lshlrev_b32_e32 v52, 3, v0
	s_waitcnt lgkmcnt(0)
	s_ashr_i32 s13, s6, 31
	s_mov_b32 s12, s6
	s_mul_i32 s6, s9, s16
	s_add_i32 s17, s17, s6
	s_mul_i32 s16, s8, s16
	s_lshl_b64 s[16:17], s[16:17], 3
	s_add_u32 s6, s4, s16
	s_addc_u32 s16, s5, s17
	s_lshl_b64 s[4:5], s[12:13], 3
	s_add_u32 s4, s6, s4
	s_addc_u32 s5, s16, s5
	v_mov_b32_e32 v1, s5
	v_add_co_u32_e32 v2, vcc, s4, v52
	s_ashr_i32 s13, s7, 31
	s_mov_b32 s12, s7
	s_add_i32 s6, s7, s7
	v_addc_co_u32_e32 v3, vcc, 0, v1, vcc
	s_lshl_b64 s[12:13], s[12:13], 3
	v_add_u32_e32 v8, s6, v0
	v_mov_b32_e32 v1, s13
	v_add_co_u32_e32 v4, vcc, s12, v2
	v_ashrrev_i32_e32 v9, 31, v8
	v_addc_co_u32_e32 v5, vcc, v3, v1, vcc
	v_lshlrev_b64 v[6:7], 3, v[8:9]
	v_add_u32_e32 v10, s7, v8
	v_mov_b32_e32 v1, s5
	v_add_co_u32_e32 v6, vcc, s4, v6
	v_ashrrev_i32_e32 v11, 31, v10
	v_addc_co_u32_e32 v7, vcc, v1, v7, vcc
	v_lshlrev_b64 v[8:9], 3, v[10:11]
	v_add_u32_e32 v12, s7, v10
	v_add_co_u32_e32 v8, vcc, s4, v8
	v_ashrrev_i32_e32 v13, 31, v12
	v_addc_co_u32_e32 v9, vcc, v1, v9, vcc
	v_lshlrev_b64 v[10:11], 3, v[12:13]
	v_add_u32_e32 v14, s7, v12
	;; [unrolled: 5-line block ×8, first 2 shown]
	v_add_co_u32_e32 v22, vcc, s4, v22
	v_ashrrev_i32_e32 v25, 31, v24
	v_addc_co_u32_e32 v23, vcc, v1, v23, vcc
	v_add_u32_e32 v26, s7, v24
	v_lshlrev_b64 v[24:25], 3, v[24:25]
	v_mov_b32_e32 v27, s5
	v_add_co_u32_e32 v24, vcc, s4, v24
	v_addc_co_u32_e32 v25, vcc, v27, v25, vcc
	v_ashrrev_i32_e32 v27, 31, v26
	v_add_u32_e32 v28, s7, v26
	v_lshlrev_b64 v[26:27], 3, v[26:27]
	v_mov_b32_e32 v29, s5
	v_add_co_u32_e32 v26, vcc, s4, v26
	v_addc_co_u32_e32 v27, vcc, v29, v27, vcc
	v_ashrrev_i32_e32 v29, 31, v28
	;; [unrolled: 6-line block ×7, first 2 shown]
	v_add_u32_e32 v40, s7, v38
	v_lshlrev_b64 v[38:39], 3, v[38:39]
	v_mov_b32_e32 v53, s5
	v_add_co_u32_e32 v38, vcc, s4, v38
	global_load_dwordx2 v[42:43], v52, s[4:5]
	global_load_dwordx2 v[50:51], v[4:5], off
	global_load_dwordx2 v[46:47], v[6:7], off
	global_load_dwordx2 v[44:45], v[8:9], off
	global_load_dwordx2 v[48:49], v[10:11], off
	global_load_dwordx2 v[54:55], v[12:13], off
	global_load_dwordx2 v[56:57], v[14:15], off
	global_load_dwordx2 v[58:59], v[16:17], off
	global_load_dwordx2 v[60:61], v[18:19], off
	global_load_dwordx2 v[62:63], v[20:21], off
	global_load_dwordx2 v[64:65], v[22:23], off
	global_load_dwordx2 v[66:67], v[24:25], off
	global_load_dwordx2 v[68:69], v[26:27], off
	global_load_dwordx2 v[70:71], v[28:29], off
	global_load_dwordx2 v[72:73], v[30:31], off
	v_addc_co_u32_e32 v39, vcc, v53, v39, vcc
	global_load_dwordx2 v[74:75], v[32:33], off
	global_load_dwordx2 v[76:77], v[34:35], off
	;; [unrolled: 1-line block ×4, first 2 shown]
	v_ashrrev_i32_e32 v41, 31, v40
	v_lshlrev_b64 v[40:41], 3, v[40:41]
	v_add_co_u32_e32 v40, vcc, s4, v40
	v_addc_co_u32_e32 v41, vcc, v1, v41, vcc
	global_load_dwordx2 v[82:83], v[40:41], off
	s_bitcmp0_b32 s22, 0
	s_mov_b64 s[6:7], -1
	s_waitcnt vmcnt(19)
	buffer_store_dword v43, off, s[0:3], 0 offset:4
	buffer_store_dword v42, off, s[0:3], 0
	s_waitcnt vmcnt(20)
	buffer_store_dword v51, off, s[0:3], 0 offset:12
	buffer_store_dword v50, off, s[0:3], 0 offset:8
	s_waitcnt vmcnt(21)
	buffer_store_dword v47, off, s[0:3], 0 offset:20
	buffer_store_dword v46, off, s[0:3], 0 offset:16
	;; [unrolled: 3-line block ×19, first 2 shown]
	s_cbranch_scc1 .LBB19_92
; %bb.4:
	v_cmp_eq_u32_e64 s[4:5], 0, v0
	s_and_saveexec_b64 s[6:7], s[4:5]
	s_cbranch_execz .LBB19_6
; %bb.5:
	v_mov_b32_e32 v1, 0
	ds_write_b32 v1, v1 offset:320
.LBB19_6:
	s_or_b64 exec, exec, s[6:7]
	v_mov_b32_e32 v1, 0
	v_lshl_add_u32 v46, v0, 3, v1
	s_waitcnt lgkmcnt(0)
	; wave barrier
	s_waitcnt lgkmcnt(0)
	buffer_load_dword v1, v46, s[0:3], 0 offen
	buffer_load_dword v42, v46, s[0:3], 0 offen offset:4
	s_waitcnt vmcnt(1)
	v_cmp_eq_f32_e32 vcc, 0, v1
	s_waitcnt vmcnt(0)
	v_cmp_eq_f32_e64 s[6:7], 0, v42
	s_and_b64 s[6:7], vcc, s[6:7]
	s_and_saveexec_b64 s[12:13], s[6:7]
	s_cbranch_execz .LBB19_10
; %bb.7:
	v_mov_b32_e32 v1, 0
	ds_read_b32 v43, v1 offset:320
	v_add_u32_e32 v42, 1, v0
	s_waitcnt lgkmcnt(0)
	v_readfirstlane_b32 s6, v43
	s_cmp_eq_u32 s6, 0
	s_cselect_b64 s[16:17], -1, 0
	v_cmp_gt_i32_e32 vcc, s6, v42
	s_or_b64 s[16:17], s[16:17], vcc
	s_and_b64 exec, exec, s[16:17]
	s_cbranch_execz .LBB19_10
; %bb.8:
	s_mov_b64 s[16:17], 0
	v_mov_b32_e32 v43, s6
.LBB19_9:                               ; =>This Inner Loop Header: Depth=1
	ds_cmpst_rtn_b32 v43, v1, v43, v42 offset:320
	s_waitcnt lgkmcnt(0)
	v_cmp_ne_u32_e32 vcc, 0, v43
	v_cmp_le_i32_e64 s[6:7], v43, v42
	s_and_b64 s[6:7], vcc, s[6:7]
	s_and_b64 s[6:7], exec, s[6:7]
	s_or_b64 s[16:17], s[6:7], s[16:17]
	s_andn2_b64 exec, exec, s[16:17]
	s_cbranch_execnz .LBB19_9
.LBB19_10:
	s_or_b64 exec, exec, s[12:13]
	v_mov_b32_e32 v42, 0
	s_waitcnt lgkmcnt(0)
	; wave barrier
	ds_read_b32 v1, v42 offset:320
	s_and_saveexec_b64 s[6:7], s[4:5]
	s_cbranch_execz .LBB19_12
; %bb.11:
	s_lshl_b64 s[12:13], s[8:9], 2
	s_add_u32 s12, s14, s12
	s_addc_u32 s13, s15, s13
	s_waitcnt lgkmcnt(0)
	global_store_dword v42, v1, s[12:13]
.LBB19_12:
	s_or_b64 exec, exec, s[6:7]
	s_waitcnt lgkmcnt(0)
	v_cmp_ne_u32_e32 vcc, 0, v1
	s_mov_b64 s[6:7], 0
	s_cbranch_vccnz .LBB19_92
; %bb.13:
	buffer_load_dword v47, v46, s[0:3], 0 offen offset:4
	buffer_load_dword v43, v46, s[0:3], 0 offen
	s_waitcnt vmcnt(1)
	v_cmp_gt_f32_e32 vcc, 0, v47
	v_cndmask_b32_e64 v1, v47, -v47, vcc
	s_waitcnt vmcnt(0)
	v_cmp_gt_f32_e32 vcc, 0, v43
	v_cndmask_b32_e64 v42, v43, -v43, vcc
	v_cmp_ngt_f32_e32 vcc, v42, v1
                                        ; implicit-def: $vgpr1
                                        ; implicit-def: $vgpr42
	s_and_saveexec_b64 s[6:7], vcc
	s_xor_b64 s[6:7], exec, s[6:7]
                                        ; implicit-def: $vgpr44_vgpr45
	s_cbranch_execz .LBB19_15
; %bb.14:
	v_div_scale_f32 v1, s[12:13], v47, v47, v43
	v_rcp_f32_e32 v42, v1
	v_div_scale_f32 v44, vcc, v43, v47, v43
	v_fma_f32 v45, -v1, v42, 1.0
	v_fmac_f32_e32 v42, v45, v42
	v_mul_f32_e32 v45, v44, v42
	v_fma_f32 v48, -v1, v45, v44
	v_fmac_f32_e32 v45, v48, v42
	v_fma_f32 v1, -v1, v45, v44
	v_div_fmas_f32 v1, v1, v42, v45
	v_div_fixup_f32 v42, v1, v47, v43
	v_fmac_f32_e32 v47, v43, v42
	v_div_scale_f32 v1, s[12:13], v47, v47, -1.0
	v_rcp_f32_e32 v43, v1
	v_fma_f32 v44, -v1, v43, 1.0
	v_fmac_f32_e32 v43, v44, v43
	v_div_scale_f32 v44, vcc, -1.0, v47, -1.0
	v_mul_f32_e32 v45, v44, v43
	v_fma_f32 v48, -v1, v45, v44
	v_fmac_f32_e32 v45, v48, v43
	v_fma_f32 v1, -v1, v45, v44
	v_div_fmas_f32 v1, v1, v43, v45
	v_div_fixup_f32 v1, v1, v47, -1.0
	v_mul_f32_e32 v42, v42, v1
	v_xor_b32_e32 v44, 0x80000000, v42
                                        ; implicit-def: $vgpr43
                                        ; implicit-def: $vgpr47
.LBB19_15:
	s_andn2_saveexec_b64 s[6:7], s[6:7]
	s_cbranch_execz .LBB19_17
; %bb.16:
	v_div_scale_f32 v1, s[12:13], v43, v43, v47
	v_rcp_f32_e32 v42, v1
	v_div_scale_f32 v44, vcc, v47, v43, v47
	v_fma_f32 v45, -v1, v42, 1.0
	v_fmac_f32_e32 v42, v45, v42
	v_mul_f32_e32 v45, v44, v42
	v_fma_f32 v48, -v1, v45, v44
	v_fmac_f32_e32 v45, v48, v42
	v_fma_f32 v1, -v1, v45, v44
	v_div_fmas_f32 v1, v1, v42, v45
	v_div_fixup_f32 v1, v1, v43, v47
	v_fmac_f32_e32 v43, v47, v1
	v_div_scale_f32 v42, s[12:13], v43, v43, 1.0
	v_rcp_f32_e32 v44, v42
	v_fma_f32 v45, -v42, v44, 1.0
	v_fmac_f32_e32 v44, v45, v44
	v_div_scale_f32 v45, vcc, 1.0, v43, 1.0
	v_mul_f32_e32 v47, v45, v44
	v_fma_f32 v48, -v42, v47, v45
	v_fmac_f32_e32 v47, v48, v44
	v_fma_f32 v42, -v42, v47, v45
	v_div_fmas_f32 v42, v42, v44, v47
	v_div_fixup_f32 v44, v42, v43, 1.0
	v_xor_b32_e32 v42, 0x80000000, v44
	v_mul_f32_e64 v1, v1, -v44
.LBB19_17:
	s_or_b64 exec, exec, s[6:7]
	buffer_store_dword v1, v46, s[0:3], 0 offen offset:4
	buffer_store_dword v44, v46, s[0:3], 0 offen
	buffer_load_dword v45, off, s[0:3], 0 offset:12
	s_nop 0
	buffer_load_dword v44, off, s[0:3], 0 offset:8
	v_xor_b32_e32 v43, 0x80000000, v1
	v_add_u32_e32 v1, 0xa0, v52
	s_waitcnt vmcnt(0)
	ds_write2_b64 v52, v[42:43], v[44:45] offset1:20
	s_waitcnt lgkmcnt(0)
	; wave barrier
	s_waitcnt lgkmcnt(0)
	s_and_saveexec_b64 s[6:7], s[4:5]
	s_cbranch_execz .LBB19_19
; %bb.18:
	buffer_load_dword v47, v46, s[0:3], 0 offen offset:4
	buffer_load_dword v48, v46, s[0:3], 0 offen
	ds_read_b64 v[42:43], v1
	v_mov_b32_e32 v44, 0
	ds_read_b64 v[44:45], v44 offset:8
	s_waitcnt vmcnt(1) lgkmcnt(1)
	v_mul_f32_e32 v49, v43, v47
	v_mul_f32_e32 v47, v42, v47
	s_waitcnt vmcnt(0)
	v_fmac_f32_e32 v47, v43, v48
	v_fma_f32 v42, v42, v48, -v49
	v_add_f32_e32 v43, 0, v47
	v_add_f32_e32 v42, 0, v42
	s_waitcnt lgkmcnt(0)
	v_mul_f32_e32 v47, v43, v45
	v_mul_f32_e32 v45, v42, v45
	v_fma_f32 v42, v42, v44, -v47
	v_fmac_f32_e32 v45, v43, v44
	buffer_store_dword v42, off, s[0:3], 0 offset:8
	buffer_store_dword v45, off, s[0:3], 0 offset:12
.LBB19_19:
	s_or_b64 exec, exec, s[6:7]
	s_waitcnt lgkmcnt(0)
	; wave barrier
	buffer_load_dword v42, off, s[0:3], 0 offset:16
	buffer_load_dword v43, off, s[0:3], 0 offset:20
	v_cmp_gt_u32_e32 vcc, 2, v0
	s_waitcnt vmcnt(0)
	ds_write_b64 v1, v[42:43]
	s_waitcnt lgkmcnt(0)
	; wave barrier
	s_waitcnt lgkmcnt(0)
	s_and_saveexec_b64 s[6:7], vcc
	s_cbranch_execz .LBB19_23
; %bb.20:
	buffer_load_dword v44, v46, s[0:3], 0 offen offset:4
	buffer_load_dword v45, v46, s[0:3], 0 offen
	ds_read_b64 v[42:43], v1
	s_waitcnt vmcnt(1) lgkmcnt(0)
	v_mul_f32_e32 v46, v43, v44
	v_mul_f32_e32 v44, v42, v44
	s_waitcnt vmcnt(0)
	v_fma_f32 v42, v42, v45, -v46
	v_fmac_f32_e32 v44, v43, v45
	v_add_f32_e32 v43, 0, v42
	v_add_f32_e32 v42, 0, v44
	s_and_saveexec_b64 s[12:13], s[4:5]
	s_cbranch_execz .LBB19_22
; %bb.21:
	buffer_load_dword v46, off, s[0:3], 0 offset:12
	buffer_load_dword v47, off, s[0:3], 0 offset:8
	v_mov_b32_e32 v44, 0
	ds_read_b64 v[44:45], v44 offset:168
	s_waitcnt vmcnt(1) lgkmcnt(0)
	v_mul_f32_e32 v48, v44, v46
	v_mul_f32_e32 v46, v45, v46
	s_waitcnt vmcnt(0)
	v_fmac_f32_e32 v48, v45, v47
	v_fma_f32 v44, v44, v47, -v46
	v_add_f32_e32 v42, v42, v48
	v_add_f32_e32 v43, v43, v44
.LBB19_22:
	s_or_b64 exec, exec, s[12:13]
	v_mov_b32_e32 v44, 0
	ds_read_b64 v[44:45], v44 offset:16
	s_waitcnt lgkmcnt(0)
	v_mul_f32_e32 v46, v42, v45
	v_mul_f32_e32 v45, v43, v45
	v_fma_f32 v43, v43, v44, -v46
	v_fmac_f32_e32 v45, v42, v44
	buffer_store_dword v43, off, s[0:3], 0 offset:16
	buffer_store_dword v45, off, s[0:3], 0 offset:20
.LBB19_23:
	s_or_b64 exec, exec, s[6:7]
	s_waitcnt lgkmcnt(0)
	; wave barrier
	buffer_load_dword v42, off, s[0:3], 0 offset:24
	buffer_load_dword v43, off, s[0:3], 0 offset:28
	v_cmp_gt_u32_e32 vcc, 3, v0
	s_waitcnt vmcnt(0)
	ds_write_b64 v1, v[42:43]
	v_add_u32_e32 v42, -1, v0
	s_waitcnt lgkmcnt(0)
	; wave barrier
	s_waitcnt lgkmcnt(0)
	s_and_saveexec_b64 s[4:5], vcc
	s_cbranch_execz .LBB19_27
; %bb.24:
	v_add_u32_e32 v44, -1, v0
	v_add_u32_e32 v45, 0xa0, v52
	v_add_u32_e32 v46, 0, v52
	s_mov_b64 s[6:7], 0
	v_mov_b32_e32 v43, 0
	v_mov_b32_e32 v47, 0
.LBB19_25:                              ; =>This Inner Loop Header: Depth=1
	buffer_load_dword v50, v46, s[0:3], 0 offen offset:4
	buffer_load_dword v51, v46, s[0:3], 0 offen
	ds_read_b64 v[48:49], v45
	v_add_u32_e32 v44, 1, v44
	v_cmp_lt_u32_e32 vcc, 1, v44
	v_add_u32_e32 v45, 8, v45
	v_add_u32_e32 v46, 8, v46
	s_or_b64 s[6:7], vcc, s[6:7]
	s_waitcnt vmcnt(1) lgkmcnt(0)
	v_mul_f32_e32 v53, v49, v50
	v_mul_f32_e32 v50, v48, v50
	s_waitcnt vmcnt(0)
	v_fma_f32 v48, v48, v51, -v53
	v_fmac_f32_e32 v50, v49, v51
	v_add_f32_e32 v47, v47, v48
	v_add_f32_e32 v43, v43, v50
	s_andn2_b64 exec, exec, s[6:7]
	s_cbranch_execnz .LBB19_25
; %bb.26:
	s_or_b64 exec, exec, s[6:7]
	v_mov_b32_e32 v44, 0
	ds_read_b64 v[44:45], v44 offset:24
	s_waitcnt lgkmcnt(0)
	v_mul_f32_e32 v46, v43, v45
	v_mul_f32_e32 v45, v47, v45
	v_fma_f32 v46, v47, v44, -v46
	v_fmac_f32_e32 v45, v43, v44
	buffer_store_dword v46, off, s[0:3], 0 offset:24
	buffer_store_dword v45, off, s[0:3], 0 offset:28
.LBB19_27:
	s_or_b64 exec, exec, s[4:5]
	s_waitcnt lgkmcnt(0)
	; wave barrier
	buffer_load_dword v44, off, s[0:3], 0 offset:32
	buffer_load_dword v45, off, s[0:3], 0 offset:36
	v_cmp_gt_u32_e32 vcc, 4, v0
	s_waitcnt vmcnt(0)
	ds_write_b64 v1, v[44:45]
	s_waitcnt lgkmcnt(0)
	; wave barrier
	s_waitcnt lgkmcnt(0)
	s_and_saveexec_b64 s[4:5], vcc
	s_cbranch_execz .LBB19_31
; %bb.28:
	v_add_u32_e32 v44, -1, v0
	v_add_u32_e32 v45, 0xa0, v52
	v_add_u32_e32 v46, 0, v52
	s_mov_b64 s[6:7], 0
	v_mov_b32_e32 v43, 0
	v_mov_b32_e32 v47, 0
.LBB19_29:                              ; =>This Inner Loop Header: Depth=1
	buffer_load_dword v50, v46, s[0:3], 0 offen offset:4
	buffer_load_dword v51, v46, s[0:3], 0 offen
	ds_read_b64 v[48:49], v45
	v_add_u32_e32 v44, 1, v44
	v_cmp_lt_u32_e32 vcc, 2, v44
	v_add_u32_e32 v45, 8, v45
	v_add_u32_e32 v46, 8, v46
	s_or_b64 s[6:7], vcc, s[6:7]
	s_waitcnt vmcnt(1) lgkmcnt(0)
	v_mul_f32_e32 v53, v49, v50
	v_mul_f32_e32 v50, v48, v50
	s_waitcnt vmcnt(0)
	v_fma_f32 v48, v48, v51, -v53
	v_fmac_f32_e32 v50, v49, v51
	v_add_f32_e32 v47, v47, v48
	v_add_f32_e32 v43, v43, v50
	s_andn2_b64 exec, exec, s[6:7]
	s_cbranch_execnz .LBB19_29
; %bb.30:
	s_or_b64 exec, exec, s[6:7]
	v_mov_b32_e32 v44, 0
	ds_read_b64 v[44:45], v44 offset:32
	s_waitcnt lgkmcnt(0)
	v_mul_f32_e32 v46, v43, v45
	v_mul_f32_e32 v45, v47, v45
	v_fma_f32 v46, v47, v44, -v46
	v_fmac_f32_e32 v45, v43, v44
	buffer_store_dword v46, off, s[0:3], 0 offset:32
	buffer_store_dword v45, off, s[0:3], 0 offset:36
.LBB19_31:
	s_or_b64 exec, exec, s[4:5]
	s_waitcnt lgkmcnt(0)
	; wave barrier
	buffer_load_dword v44, off, s[0:3], 0 offset:40
	buffer_load_dword v45, off, s[0:3], 0 offset:44
	v_cmp_gt_u32_e32 vcc, 5, v0
	s_waitcnt vmcnt(0)
	ds_write_b64 v1, v[44:45]
	;; [unrolled: 51-line block ×15, first 2 shown]
	s_waitcnt lgkmcnt(0)
	; wave barrier
	s_waitcnt lgkmcnt(0)
	s_and_saveexec_b64 s[4:5], vcc
	s_cbranch_execz .LBB19_87
; %bb.84:
	v_add_u32_e32 v44, -1, v0
	v_add_u32_e32 v45, 0xa0, v52
	v_add_u32_e32 v46, 0, v52
	s_mov_b64 s[6:7], 0
	v_mov_b32_e32 v43, 0
	v_mov_b32_e32 v47, 0
.LBB19_85:                              ; =>This Inner Loop Header: Depth=1
	buffer_load_dword v50, v46, s[0:3], 0 offen offset:4
	buffer_load_dword v51, v46, s[0:3], 0 offen
	ds_read_b64 v[48:49], v45
	v_add_u32_e32 v44, 1, v44
	v_cmp_lt_u32_e32 vcc, 16, v44
	v_add_u32_e32 v45, 8, v45
	v_add_u32_e32 v46, 8, v46
	s_or_b64 s[6:7], vcc, s[6:7]
	s_waitcnt vmcnt(1) lgkmcnt(0)
	v_mul_f32_e32 v53, v49, v50
	v_mul_f32_e32 v50, v48, v50
	s_waitcnt vmcnt(0)
	v_fma_f32 v48, v48, v51, -v53
	v_fmac_f32_e32 v50, v49, v51
	v_add_f32_e32 v47, v47, v48
	v_add_f32_e32 v43, v43, v50
	s_andn2_b64 exec, exec, s[6:7]
	s_cbranch_execnz .LBB19_85
; %bb.86:
	s_or_b64 exec, exec, s[6:7]
	v_mov_b32_e32 v44, 0
	ds_read_b64 v[44:45], v44 offset:144
	s_waitcnt lgkmcnt(0)
	v_mul_f32_e32 v46, v43, v45
	v_mul_f32_e32 v45, v47, v45
	v_fma_f32 v46, v47, v44, -v46
	v_fmac_f32_e32 v45, v43, v44
	buffer_store_dword v46, off, s[0:3], 0 offset:144
	buffer_store_dword v45, off, s[0:3], 0 offset:148
.LBB19_87:
	s_or_b64 exec, exec, s[4:5]
	s_waitcnt lgkmcnt(0)
	; wave barrier
	buffer_load_dword v44, off, s[0:3], 0 offset:152
	buffer_load_dword v45, off, s[0:3], 0 offset:156
	v_cmp_ne_u32_e32 vcc, 19, v0
	s_waitcnt vmcnt(0)
	ds_write_b64 v1, v[44:45]
	s_waitcnt lgkmcnt(0)
	; wave barrier
	s_waitcnt lgkmcnt(0)
	s_and_saveexec_b64 s[4:5], vcc
	s_cbranch_execz .LBB19_91
; %bb.88:
	v_add_u32_e32 v43, 0xa0, v52
	v_add_u32_e32 v44, 0, v52
	s_mov_b64 s[6:7], 0
	v_mov_b32_e32 v1, 0
	v_mov_b32_e32 v45, 0
.LBB19_89:                              ; =>This Inner Loop Header: Depth=1
	buffer_load_dword v48, v44, s[0:3], 0 offen offset:4
	buffer_load_dword v49, v44, s[0:3], 0 offen
	ds_read_b64 v[46:47], v43
	v_add_u32_e32 v42, 1, v42
	v_cmp_lt_u32_e32 vcc, 17, v42
	v_add_u32_e32 v43, 8, v43
	v_add_u32_e32 v44, 8, v44
	s_or_b64 s[6:7], vcc, s[6:7]
	s_waitcnt vmcnt(1) lgkmcnt(0)
	v_mul_f32_e32 v50, v47, v48
	v_mul_f32_e32 v48, v46, v48
	s_waitcnt vmcnt(0)
	v_fma_f32 v46, v46, v49, -v50
	v_fmac_f32_e32 v48, v47, v49
	v_add_f32_e32 v45, v45, v46
	v_add_f32_e32 v1, v1, v48
	s_andn2_b64 exec, exec, s[6:7]
	s_cbranch_execnz .LBB19_89
; %bb.90:
	s_or_b64 exec, exec, s[6:7]
	v_mov_b32_e32 v42, 0
	ds_read_b64 v[42:43], v42 offset:152
	s_waitcnt lgkmcnt(0)
	v_mul_f32_e32 v44, v1, v43
	v_mul_f32_e32 v43, v45, v43
	v_fma_f32 v44, v45, v42, -v44
	v_fmac_f32_e32 v43, v1, v42
	buffer_store_dword v44, off, s[0:3], 0 offset:152
	buffer_store_dword v43, off, s[0:3], 0 offset:156
.LBB19_91:
	s_or_b64 exec, exec, s[4:5]
	s_mov_b64 s[6:7], -1
	s_waitcnt lgkmcnt(0)
	; wave barrier
.LBB19_92:
	s_and_b64 vcc, exec, s[6:7]
	s_cbranch_vccz .LBB19_94
; %bb.93:
	s_lshl_b64 s[4:5], s[8:9], 2
	s_add_u32 s4, s14, s4
	s_addc_u32 s5, s15, s5
	v_mov_b32_e32 v1, 0
	global_load_dword v1, v1, s[4:5]
	s_waitcnt vmcnt(0)
	v_cmp_ne_u32_e32 vcc, 0, v1
	s_cbranch_vccz .LBB19_95
.LBB19_94:
	s_endpgm
.LBB19_95:
	v_mov_b32_e32 v1, 0xa0
	v_lshl_add_u32 v1, v0, 3, v1
	v_cmp_eq_u32_e32 vcc, 19, v0
	s_and_saveexec_b64 s[4:5], vcc
	s_cbranch_execz .LBB19_97
; %bb.96:
	buffer_load_dword v42, off, s[0:3], 0 offset:144
	buffer_load_dword v43, off, s[0:3], 0 offset:148
	v_mov_b32_e32 v44, 0
	buffer_store_dword v44, off, s[0:3], 0 offset:144
	buffer_store_dword v44, off, s[0:3], 0 offset:148
	s_waitcnt vmcnt(2)
	ds_write_b64 v1, v[42:43]
.LBB19_97:
	s_or_b64 exec, exec, s[4:5]
	s_waitcnt lgkmcnt(0)
	; wave barrier
	s_waitcnt lgkmcnt(0)
	buffer_load_dword v45, off, s[0:3], 0 offset:156
	buffer_load_dword v44, off, s[0:3], 0 offset:152
	;; [unrolled: 1-line block ×4, first 2 shown]
	v_mov_b32_e32 v42, 0
	ds_read_b64 v[48:49], v42 offset:312
	v_cmp_lt_u32_e32 vcc, 17, v0
	s_waitcnt vmcnt(3)
	v_mov_b32_e32 v50, v45
	s_waitcnt lgkmcnt(0)
	v_pk_mul_f32 v[50:51], v[48:49], v[50:51] op_sel_hi:[1,0]
	s_waitcnt vmcnt(2)
	v_pk_fma_f32 v[52:53], v[48:49], v[44:45], v[50:51] op_sel:[0,0,1] op_sel_hi:[1,1,0] neg_lo:[0,0,1] neg_hi:[0,0,1]
	v_pk_fma_f32 v[44:45], v[48:49], v[44:45], v[50:51] op_sel:[0,0,1] op_sel_hi:[1,0,0]
	v_mov_b32_e32 v53, v45
	v_pk_add_f32 v[44:45], v[52:53], 0 op_sel_hi:[1,0]
	s_waitcnt vmcnt(0)
	v_pk_add_f32 v[44:45], v[46:47], v[44:45] neg_lo:[0,1] neg_hi:[0,1]
	buffer_store_dword v44, off, s[0:3], 0 offset:144
	buffer_store_dword v45, off, s[0:3], 0 offset:148
	s_and_saveexec_b64 s[4:5], vcc
	s_cbranch_execz .LBB19_99
; %bb.98:
	buffer_load_dword v44, off, s[0:3], 0 offset:136
	buffer_load_dword v45, off, s[0:3], 0 offset:140
	s_waitcnt vmcnt(0)
	ds_write_b64 v1, v[44:45]
	buffer_store_dword v42, off, s[0:3], 0 offset:136
	buffer_store_dword v42, off, s[0:3], 0 offset:140
.LBB19_99:
	s_or_b64 exec, exec, s[4:5]
	s_waitcnt lgkmcnt(0)
	; wave barrier
	s_waitcnt lgkmcnt(0)
	buffer_load_dword v47, off, s[0:3], 0 offset:148
	buffer_load_dword v49, off, s[0:3], 0 offset:156
	;; [unrolled: 1-line block ×6, first 2 shown]
	ds_read_b128 v[42:45], v42 offset:304
	v_cmp_lt_u32_e32 vcc, 16, v0
	s_waitcnt vmcnt(5)
	v_mov_b32_e32 v52, v47
	s_waitcnt vmcnt(4)
	v_mov_b32_e32 v54, v49
	s_waitcnt lgkmcnt(0)
	v_pk_mul_f32 v[52:53], v[42:43], v[52:53] op_sel_hi:[1,0]
	v_pk_mul_f32 v[54:55], v[44:45], v[54:55] op_sel_hi:[1,0]
	s_waitcnt vmcnt(3)
	v_pk_fma_f32 v[56:57], v[42:43], v[46:47], v[52:53] op_sel:[0,0,1] op_sel_hi:[1,1,0] neg_lo:[0,0,1] neg_hi:[0,0,1]
	v_pk_fma_f32 v[42:43], v[42:43], v[46:47], v[52:53] op_sel:[0,0,1] op_sel_hi:[1,0,0]
	s_waitcnt vmcnt(2)
	v_pk_fma_f32 v[46:47], v[44:45], v[48:49], v[54:55] op_sel:[0,0,1] op_sel_hi:[1,1,0] neg_lo:[0,0,1] neg_hi:[0,0,1]
	v_pk_fma_f32 v[44:45], v[44:45], v[48:49], v[54:55] op_sel:[0,0,1] op_sel_hi:[1,0,0]
	v_mov_b32_e32 v57, v43
	v_mov_b32_e32 v47, v45
	v_pk_add_f32 v[42:43], v[56:57], 0 op_sel_hi:[1,0]
	v_pk_add_f32 v[42:43], v[42:43], v[46:47]
	s_waitcnt vmcnt(0)
	v_pk_add_f32 v[42:43], v[50:51], v[42:43] neg_lo:[0,1] neg_hi:[0,1]
	buffer_store_dword v42, off, s[0:3], 0 offset:136
	buffer_store_dword v43, off, s[0:3], 0 offset:140
	s_and_saveexec_b64 s[4:5], vcc
	s_cbranch_execz .LBB19_101
; %bb.100:
	buffer_load_dword v42, off, s[0:3], 0 offset:128
	buffer_load_dword v43, off, s[0:3], 0 offset:132
	v_mov_b32_e32 v44, 0
	buffer_store_dword v44, off, s[0:3], 0 offset:128
	buffer_store_dword v44, off, s[0:3], 0 offset:132
	s_waitcnt vmcnt(2)
	ds_write_b64 v1, v[42:43]
.LBB19_101:
	s_or_b64 exec, exec, s[4:5]
	s_waitcnt lgkmcnt(0)
	; wave barrier
	s_waitcnt lgkmcnt(0)
	buffer_load_dword v49, off, s[0:3], 0 offset:140
	buffer_load_dword v51, off, s[0:3], 0 offset:148
	;; [unrolled: 1-line block ×8, first 2 shown]
	v_mov_b32_e32 v42, 0
	ds_read2_b64 v[44:47], v42 offset0:37 offset1:38
	ds_read_b64 v[56:57], v42 offset:312
	v_cmp_lt_u32_e32 vcc, 15, v0
	s_waitcnt vmcnt(7)
	v_mov_b32_e32 v58, v49
	s_waitcnt vmcnt(6)
	v_mov_b32_e32 v60, v51
	s_waitcnt lgkmcnt(1)
	v_pk_mul_f32 v[58:59], v[44:45], v[58:59] op_sel_hi:[1,0]
	s_waitcnt vmcnt(5)
	v_mov_b32_e32 v62, v53
	v_pk_mul_f32 v[60:61], v[46:47], v[60:61] op_sel_hi:[1,0]
	s_waitcnt vmcnt(4)
	v_pk_fma_f32 v[64:65], v[44:45], v[48:49], v[58:59] op_sel:[0,0,1] op_sel_hi:[1,1,0] neg_lo:[0,0,1] neg_hi:[0,0,1]
	v_pk_fma_f32 v[44:45], v[44:45], v[48:49], v[58:59] op_sel:[0,0,1] op_sel_hi:[1,0,0]
	s_waitcnt lgkmcnt(0)
	v_pk_mul_f32 v[62:63], v[56:57], v[62:63] op_sel_hi:[1,0]
	s_waitcnt vmcnt(3)
	v_pk_fma_f32 v[48:49], v[46:47], v[50:51], v[60:61] op_sel:[0,0,1] op_sel_hi:[1,1,0] neg_lo:[0,0,1] neg_hi:[0,0,1]
	v_pk_fma_f32 v[46:47], v[46:47], v[50:51], v[60:61] op_sel:[0,0,1] op_sel_hi:[1,0,0]
	v_mov_b32_e32 v65, v45
	s_waitcnt vmcnt(2)
	v_pk_fma_f32 v[50:51], v[56:57], v[52:53], v[62:63] op_sel:[0,0,1] op_sel_hi:[1,1,0] neg_lo:[0,0,1] neg_hi:[0,0,1]
	v_pk_fma_f32 v[52:53], v[56:57], v[52:53], v[62:63] op_sel:[0,0,1] op_sel_hi:[1,0,0]
	v_mov_b32_e32 v49, v47
	v_pk_add_f32 v[44:45], v[64:65], 0 op_sel_hi:[1,0]
	v_mov_b32_e32 v51, v53
	v_pk_add_f32 v[44:45], v[44:45], v[48:49]
	v_pk_add_f32 v[44:45], v[44:45], v[50:51]
	s_waitcnt vmcnt(0)
	v_pk_add_f32 v[44:45], v[54:55], v[44:45] neg_lo:[0,1] neg_hi:[0,1]
	buffer_store_dword v44, off, s[0:3], 0 offset:128
	buffer_store_dword v45, off, s[0:3], 0 offset:132
	s_and_saveexec_b64 s[4:5], vcc
	s_cbranch_execz .LBB19_103
; %bb.102:
	buffer_load_dword v44, off, s[0:3], 0 offset:120
	buffer_load_dword v45, off, s[0:3], 0 offset:124
	s_waitcnt vmcnt(0)
	ds_write_b64 v1, v[44:45]
	buffer_store_dword v42, off, s[0:3], 0 offset:120
	buffer_store_dword v42, off, s[0:3], 0 offset:124
.LBB19_103:
	s_or_b64 exec, exec, s[4:5]
	s_waitcnt lgkmcnt(0)
	; wave barrier
	s_waitcnt lgkmcnt(0)
	buffer_load_dword v53, off, s[0:3], 0 offset:132
	buffer_load_dword v55, off, s[0:3], 0 offset:140
	;; [unrolled: 1-line block ×10, first 2 shown]
	ds_read_b128 v[44:47], v42 offset:288
	ds_read_b128 v[48:51], v42 offset:304
	v_cmp_lt_u32_e32 vcc, 14, v0
	s_waitcnt vmcnt(9)
	v_mov_b32_e32 v42, v53
	s_waitcnt vmcnt(8)
	v_mov_b32_e32 v62, v55
	s_waitcnt lgkmcnt(1)
	v_pk_mul_f32 v[42:43], v[44:45], v[42:43] op_sel_hi:[1,0]
	s_waitcnt vmcnt(7)
	v_mov_b32_e32 v64, v57
	v_pk_mul_f32 v[62:63], v[46:47], v[62:63] op_sel_hi:[1,0]
	s_waitcnt vmcnt(5)
	v_pk_fma_f32 v[68:69], v[44:45], v[52:53], v[42:43] op_sel:[0,0,1] op_sel_hi:[1,1,0] neg_lo:[0,0,1] neg_hi:[0,0,1]
	v_pk_fma_f32 v[42:43], v[44:45], v[52:53], v[42:43] op_sel:[0,0,1] op_sel_hi:[1,0,0]
	v_mov_b32_e32 v66, v59
	s_waitcnt lgkmcnt(0)
	v_pk_mul_f32 v[64:65], v[48:49], v[64:65] op_sel_hi:[1,0]
	s_waitcnt vmcnt(4)
	v_pk_fma_f32 v[44:45], v[46:47], v[54:55], v[62:63] op_sel:[0,0,1] op_sel_hi:[1,1,0] neg_lo:[0,0,1] neg_hi:[0,0,1]
	v_pk_fma_f32 v[46:47], v[46:47], v[54:55], v[62:63] op_sel:[0,0,1] op_sel_hi:[1,0,0]
	v_mov_b32_e32 v69, v43
	v_pk_mul_f32 v[66:67], v[50:51], v[66:67] op_sel_hi:[1,0]
	s_waitcnt vmcnt(3)
	v_pk_fma_f32 v[52:53], v[48:49], v[56:57], v[64:65] op_sel:[0,0,1] op_sel_hi:[1,1,0] neg_lo:[0,0,1] neg_hi:[0,0,1]
	v_pk_fma_f32 v[48:49], v[48:49], v[56:57], v[64:65] op_sel:[0,0,1] op_sel_hi:[1,0,0]
	v_mov_b32_e32 v45, v47
	v_pk_add_f32 v[42:43], v[68:69], 0 op_sel_hi:[1,0]
	s_waitcnt vmcnt(2)
	v_pk_fma_f32 v[54:55], v[50:51], v[58:59], v[66:67] op_sel:[0,0,1] op_sel_hi:[1,1,0] neg_lo:[0,0,1] neg_hi:[0,0,1]
	v_pk_fma_f32 v[50:51], v[50:51], v[58:59], v[66:67] op_sel:[0,0,1] op_sel_hi:[1,0,0]
	v_mov_b32_e32 v53, v49
	v_pk_add_f32 v[42:43], v[42:43], v[44:45]
	v_mov_b32_e32 v55, v51
	v_pk_add_f32 v[42:43], v[42:43], v[52:53]
	v_pk_add_f32 v[42:43], v[42:43], v[54:55]
	s_waitcnt vmcnt(0)
	v_pk_add_f32 v[42:43], v[60:61], v[42:43] neg_lo:[0,1] neg_hi:[0,1]
	buffer_store_dword v42, off, s[0:3], 0 offset:120
	buffer_store_dword v43, off, s[0:3], 0 offset:124
	s_and_saveexec_b64 s[4:5], vcc
	s_cbranch_execz .LBB19_105
; %bb.104:
	buffer_load_dword v42, off, s[0:3], 0 offset:112
	buffer_load_dword v43, off, s[0:3], 0 offset:116
	v_mov_b32_e32 v44, 0
	buffer_store_dword v44, off, s[0:3], 0 offset:112
	buffer_store_dword v44, off, s[0:3], 0 offset:116
	s_waitcnt vmcnt(2)
	ds_write_b64 v1, v[42:43]
.LBB19_105:
	s_or_b64 exec, exec, s[4:5]
	s_waitcnt lgkmcnt(0)
	; wave barrier
	s_waitcnt lgkmcnt(0)
	buffer_load_dword v53, off, s[0:3], 0 offset:124
	buffer_load_dword v55, off, s[0:3], 0 offset:132
	;; [unrolled: 1-line block ×12, first 2 shown]
	v_mov_b32_e32 v42, 0
	ds_read2_b64 v[44:47], v42 offset0:35 offset1:36
	ds_read2_b64 v[48:51], v42 offset0:37 offset1:38
	ds_read_b64 v[64:65], v42 offset:312
	v_cmp_lt_u32_e32 vcc, 13, v0
	s_waitcnt vmcnt(11)
	v_mov_b32_e32 v66, v53
	s_waitcnt vmcnt(10)
	v_mov_b32_e32 v68, v55
	s_waitcnt lgkmcnt(2)
	v_pk_mul_f32 v[66:67], v[44:45], v[66:67] op_sel_hi:[1,0]
	s_waitcnt vmcnt(9)
	v_mov_b32_e32 v70, v57
	v_pk_mul_f32 v[68:69], v[46:47], v[68:69] op_sel_hi:[1,0]
	s_waitcnt vmcnt(6)
	v_pk_fma_f32 v[76:77], v[44:45], v[52:53], v[66:67] op_sel:[0,0,1] op_sel_hi:[1,1,0] neg_lo:[0,0,1] neg_hi:[0,0,1]
	v_pk_fma_f32 v[44:45], v[44:45], v[52:53], v[66:67] op_sel:[0,0,1] op_sel_hi:[1,0,0]
	v_mov_b32_e32 v72, v59
	s_waitcnt lgkmcnt(1)
	v_pk_mul_f32 v[70:71], v[48:49], v[70:71] op_sel_hi:[1,0]
	s_waitcnt vmcnt(5)
	v_pk_fma_f32 v[52:53], v[46:47], v[54:55], v[68:69] op_sel:[0,0,1] op_sel_hi:[1,1,0] neg_lo:[0,0,1] neg_hi:[0,0,1]
	v_pk_fma_f32 v[46:47], v[46:47], v[54:55], v[68:69] op_sel:[0,0,1] op_sel_hi:[1,0,0]
	v_mov_b32_e32 v77, v45
	v_mov_b32_e32 v74, v61
	v_pk_mul_f32 v[72:73], v[50:51], v[72:73] op_sel_hi:[1,0]
	s_waitcnt vmcnt(4)
	v_pk_fma_f32 v[54:55], v[48:49], v[56:57], v[70:71] op_sel:[0,0,1] op_sel_hi:[1,1,0] neg_lo:[0,0,1] neg_hi:[0,0,1]
	v_pk_fma_f32 v[48:49], v[48:49], v[56:57], v[70:71] op_sel:[0,0,1] op_sel_hi:[1,0,0]
	v_mov_b32_e32 v53, v47
	v_pk_add_f32 v[44:45], v[76:77], 0 op_sel_hi:[1,0]
	s_waitcnt lgkmcnt(0)
	v_pk_mul_f32 v[74:75], v[64:65], v[74:75] op_sel_hi:[1,0]
	s_waitcnt vmcnt(3)
	v_pk_fma_f32 v[56:57], v[50:51], v[58:59], v[72:73] op_sel:[0,0,1] op_sel_hi:[1,1,0] neg_lo:[0,0,1] neg_hi:[0,0,1]
	v_pk_fma_f32 v[50:51], v[50:51], v[58:59], v[72:73] op_sel:[0,0,1] op_sel_hi:[1,0,0]
	v_mov_b32_e32 v55, v49
	v_pk_add_f32 v[44:45], v[44:45], v[52:53]
	s_waitcnt vmcnt(2)
	v_pk_fma_f32 v[58:59], v[64:65], v[60:61], v[74:75] op_sel:[0,0,1] op_sel_hi:[1,1,0] neg_lo:[0,0,1] neg_hi:[0,0,1]
	v_pk_fma_f32 v[60:61], v[64:65], v[60:61], v[74:75] op_sel:[0,0,1] op_sel_hi:[1,0,0]
	v_mov_b32_e32 v57, v51
	v_pk_add_f32 v[44:45], v[44:45], v[54:55]
	v_mov_b32_e32 v59, v61
	v_pk_add_f32 v[44:45], v[44:45], v[56:57]
	v_pk_add_f32 v[44:45], v[44:45], v[58:59]
	s_waitcnt vmcnt(0)
	v_pk_add_f32 v[44:45], v[62:63], v[44:45] neg_lo:[0,1] neg_hi:[0,1]
	buffer_store_dword v44, off, s[0:3], 0 offset:112
	buffer_store_dword v45, off, s[0:3], 0 offset:116
	s_and_saveexec_b64 s[4:5], vcc
	s_cbranch_execz .LBB19_107
; %bb.106:
	buffer_load_dword v44, off, s[0:3], 0 offset:104
	buffer_load_dword v45, off, s[0:3], 0 offset:108
	s_waitcnt vmcnt(0)
	ds_write_b64 v1, v[44:45]
	buffer_store_dword v42, off, s[0:3], 0 offset:104
	buffer_store_dword v42, off, s[0:3], 0 offset:108
.LBB19_107:
	s_or_b64 exec, exec, s[4:5]
	s_waitcnt lgkmcnt(0)
	; wave barrier
	s_waitcnt lgkmcnt(0)
	buffer_load_dword v57, off, s[0:3], 0 offset:116
	buffer_load_dword v59, off, s[0:3], 0 offset:124
	;; [unrolled: 1-line block ×14, first 2 shown]
	ds_read_b128 v[44:47], v42 offset:272
	ds_read_b128 v[48:51], v42 offset:288
	;; [unrolled: 1-line block ×3, first 2 shown]
	v_cmp_lt_u32_e32 vcc, 12, v0
	s_waitcnt vmcnt(13)
	v_mov_b32_e32 v42, v57
	s_waitcnt vmcnt(12)
	v_mov_b32_e32 v70, v59
	s_waitcnt lgkmcnt(2)
	v_pk_mul_f32 v[42:43], v[44:45], v[42:43] op_sel_hi:[1,0]
	s_waitcnt vmcnt(11)
	v_mov_b32_e32 v72, v61
	v_pk_mul_f32 v[70:71], v[46:47], v[70:71] op_sel_hi:[1,0]
	s_waitcnt vmcnt(10)
	v_mov_b32_e32 v74, v63
	s_waitcnt vmcnt(7)
	v_pk_fma_f32 v[80:81], v[44:45], v[56:57], v[42:43] op_sel:[0,0,1] op_sel_hi:[1,1,0] neg_lo:[0,0,1] neg_hi:[0,0,1]
	v_pk_fma_f32 v[42:43], v[44:45], v[56:57], v[42:43] op_sel:[0,0,1] op_sel_hi:[1,0,0]
	s_waitcnt lgkmcnt(1)
	v_pk_mul_f32 v[72:73], v[48:49], v[72:73] op_sel_hi:[1,0]
	s_waitcnt vmcnt(6)
	v_pk_fma_f32 v[44:45], v[46:47], v[58:59], v[70:71] op_sel:[0,0,1] op_sel_hi:[1,1,0] neg_lo:[0,0,1] neg_hi:[0,0,1]
	v_pk_fma_f32 v[46:47], v[46:47], v[58:59], v[70:71] op_sel:[0,0,1] op_sel_hi:[1,0,0]
	v_mov_b32_e32 v81, v43
	v_mov_b32_e32 v76, v65
	v_pk_mul_f32 v[74:75], v[50:51], v[74:75] op_sel_hi:[1,0]
	s_waitcnt vmcnt(5)
	v_pk_fma_f32 v[56:57], v[48:49], v[60:61], v[72:73] op_sel:[0,0,1] op_sel_hi:[1,1,0] neg_lo:[0,0,1] neg_hi:[0,0,1]
	v_pk_fma_f32 v[48:49], v[48:49], v[60:61], v[72:73] op_sel:[0,0,1] op_sel_hi:[1,0,0]
	v_mov_b32_e32 v45, v47
	v_pk_add_f32 v[42:43], v[80:81], 0 op_sel_hi:[1,0]
	v_mov_b32_e32 v78, v67
	s_waitcnt lgkmcnt(0)
	v_pk_mul_f32 v[76:77], v[52:53], v[76:77] op_sel_hi:[1,0]
	s_waitcnt vmcnt(4)
	v_pk_fma_f32 v[58:59], v[50:51], v[62:63], v[74:75] op_sel:[0,0,1] op_sel_hi:[1,1,0] neg_lo:[0,0,1] neg_hi:[0,0,1]
	v_pk_fma_f32 v[50:51], v[50:51], v[62:63], v[74:75] op_sel:[0,0,1] op_sel_hi:[1,0,0]
	v_mov_b32_e32 v57, v49
	v_pk_add_f32 v[42:43], v[42:43], v[44:45]
	v_pk_mul_f32 v[78:79], v[54:55], v[78:79] op_sel_hi:[1,0]
	s_waitcnt vmcnt(3)
	v_pk_fma_f32 v[60:61], v[52:53], v[64:65], v[76:77] op_sel:[0,0,1] op_sel_hi:[1,1,0] neg_lo:[0,0,1] neg_hi:[0,0,1]
	v_pk_fma_f32 v[52:53], v[52:53], v[64:65], v[76:77] op_sel:[0,0,1] op_sel_hi:[1,0,0]
	v_mov_b32_e32 v59, v51
	v_pk_add_f32 v[42:43], v[42:43], v[56:57]
	s_waitcnt vmcnt(2)
	v_pk_fma_f32 v[62:63], v[54:55], v[66:67], v[78:79] op_sel:[0,0,1] op_sel_hi:[1,1,0] neg_lo:[0,0,1] neg_hi:[0,0,1]
	v_pk_fma_f32 v[54:55], v[54:55], v[66:67], v[78:79] op_sel:[0,0,1] op_sel_hi:[1,0,0]
	v_mov_b32_e32 v61, v53
	v_pk_add_f32 v[42:43], v[42:43], v[58:59]
	v_mov_b32_e32 v63, v55
	v_pk_add_f32 v[42:43], v[42:43], v[60:61]
	v_pk_add_f32 v[42:43], v[42:43], v[62:63]
	s_waitcnt vmcnt(0)
	v_pk_add_f32 v[42:43], v[68:69], v[42:43] neg_lo:[0,1] neg_hi:[0,1]
	buffer_store_dword v42, off, s[0:3], 0 offset:104
	buffer_store_dword v43, off, s[0:3], 0 offset:108
	s_and_saveexec_b64 s[4:5], vcc
	s_cbranch_execz .LBB19_109
; %bb.108:
	buffer_load_dword v42, off, s[0:3], 0 offset:96
	buffer_load_dword v43, off, s[0:3], 0 offset:100
	v_mov_b32_e32 v44, 0
	buffer_store_dword v44, off, s[0:3], 0 offset:96
	buffer_store_dword v44, off, s[0:3], 0 offset:100
	s_waitcnt vmcnt(2)
	ds_write_b64 v1, v[42:43]
.LBB19_109:
	s_or_b64 exec, exec, s[4:5]
	s_waitcnt lgkmcnt(0)
	; wave barrier
	s_waitcnt lgkmcnt(0)
	buffer_load_dword v57, off, s[0:3], 0 offset:108
	buffer_load_dword v59, off, s[0:3], 0 offset:116
	;; [unrolled: 1-line block ×16, first 2 shown]
	v_mov_b32_e32 v42, 0
	ds_read2_b64 v[44:47], v42 offset0:33 offset1:34
	ds_read2_b64 v[48:51], v42 offset0:35 offset1:36
	;; [unrolled: 1-line block ×3, first 2 shown]
	ds_read_b64 v[72:73], v42 offset:312
	v_cmp_lt_u32_e32 vcc, 11, v0
	s_waitcnt vmcnt(15)
	v_mov_b32_e32 v74, v57
	s_waitcnt vmcnt(14)
	v_mov_b32_e32 v76, v59
	s_waitcnt lgkmcnt(3)
	v_pk_mul_f32 v[74:75], v[44:45], v[74:75] op_sel_hi:[1,0]
	s_waitcnt vmcnt(13)
	v_mov_b32_e32 v78, v61
	v_pk_mul_f32 v[76:77], v[46:47], v[76:77] op_sel_hi:[1,0]
	s_waitcnt vmcnt(12)
	v_mov_b32_e32 v80, v63
	s_waitcnt lgkmcnt(2)
	v_pk_mul_f32 v[78:79], v[48:49], v[78:79] op_sel_hi:[1,0]
	s_waitcnt vmcnt(8)
	v_pk_fma_f32 v[88:89], v[44:45], v[56:57], v[74:75] op_sel:[0,0,1] op_sel_hi:[1,1,0] neg_lo:[0,0,1] neg_hi:[0,0,1]
	v_pk_fma_f32 v[44:45], v[44:45], v[56:57], v[74:75] op_sel:[0,0,1] op_sel_hi:[1,0,0]
	s_waitcnt vmcnt(7)
	v_pk_fma_f32 v[56:57], v[46:47], v[58:59], v[76:77] op_sel:[0,0,1] op_sel_hi:[1,1,0] neg_lo:[0,0,1] neg_hi:[0,0,1]
	v_pk_fma_f32 v[46:47], v[46:47], v[58:59], v[76:77] op_sel:[0,0,1] op_sel_hi:[1,0,0]
	v_mov_b32_e32 v89, v45
	v_mov_b32_e32 v82, v65
	v_pk_mul_f32 v[80:81], v[50:51], v[80:81] op_sel_hi:[1,0]
	s_waitcnt vmcnt(6)
	v_pk_fma_f32 v[58:59], v[48:49], v[60:61], v[78:79] op_sel:[0,0,1] op_sel_hi:[1,1,0] neg_lo:[0,0,1] neg_hi:[0,0,1]
	v_pk_fma_f32 v[48:49], v[48:49], v[60:61], v[78:79] op_sel:[0,0,1] op_sel_hi:[1,0,0]
	v_mov_b32_e32 v57, v47
	v_pk_add_f32 v[44:45], v[88:89], 0 op_sel_hi:[1,0]
	v_mov_b32_e32 v84, v67
	s_waitcnt lgkmcnt(1)
	v_pk_mul_f32 v[82:83], v[52:53], v[82:83] op_sel_hi:[1,0]
	s_waitcnt vmcnt(5)
	v_pk_fma_f32 v[60:61], v[50:51], v[62:63], v[80:81] op_sel:[0,0,1] op_sel_hi:[1,1,0] neg_lo:[0,0,1] neg_hi:[0,0,1]
	v_pk_fma_f32 v[50:51], v[50:51], v[62:63], v[80:81] op_sel:[0,0,1] op_sel_hi:[1,0,0]
	v_mov_b32_e32 v59, v49
	v_pk_add_f32 v[44:45], v[44:45], v[56:57]
	v_mov_b32_e32 v86, v69
	v_pk_mul_f32 v[84:85], v[54:55], v[84:85] op_sel_hi:[1,0]
	s_waitcnt vmcnt(4)
	v_pk_fma_f32 v[62:63], v[52:53], v[64:65], v[82:83] op_sel:[0,0,1] op_sel_hi:[1,1,0] neg_lo:[0,0,1] neg_hi:[0,0,1]
	v_pk_fma_f32 v[52:53], v[52:53], v[64:65], v[82:83] op_sel:[0,0,1] op_sel_hi:[1,0,0]
	v_mov_b32_e32 v61, v51
	v_pk_add_f32 v[44:45], v[44:45], v[58:59]
	s_waitcnt lgkmcnt(0)
	v_pk_mul_f32 v[86:87], v[72:73], v[86:87] op_sel_hi:[1,0]
	s_waitcnt vmcnt(3)
	v_pk_fma_f32 v[64:65], v[54:55], v[66:67], v[84:85] op_sel:[0,0,1] op_sel_hi:[1,1,0] neg_lo:[0,0,1] neg_hi:[0,0,1]
	v_pk_fma_f32 v[54:55], v[54:55], v[66:67], v[84:85] op_sel:[0,0,1] op_sel_hi:[1,0,0]
	v_mov_b32_e32 v63, v53
	v_pk_add_f32 v[44:45], v[44:45], v[60:61]
	s_waitcnt vmcnt(2)
	v_pk_fma_f32 v[66:67], v[72:73], v[68:69], v[86:87] op_sel:[0,0,1] op_sel_hi:[1,1,0] neg_lo:[0,0,1] neg_hi:[0,0,1]
	v_pk_fma_f32 v[68:69], v[72:73], v[68:69], v[86:87] op_sel:[0,0,1] op_sel_hi:[1,0,0]
	v_mov_b32_e32 v65, v55
	v_pk_add_f32 v[44:45], v[44:45], v[62:63]
	v_mov_b32_e32 v67, v69
	v_pk_add_f32 v[44:45], v[44:45], v[64:65]
	v_pk_add_f32 v[44:45], v[44:45], v[66:67]
	s_waitcnt vmcnt(0)
	v_pk_add_f32 v[44:45], v[70:71], v[44:45] neg_lo:[0,1] neg_hi:[0,1]
	buffer_store_dword v44, off, s[0:3], 0 offset:96
	buffer_store_dword v45, off, s[0:3], 0 offset:100
	s_and_saveexec_b64 s[4:5], vcc
	s_cbranch_execz .LBB19_111
; %bb.110:
	buffer_load_dword v44, off, s[0:3], 0 offset:88
	buffer_load_dword v45, off, s[0:3], 0 offset:92
	s_waitcnt vmcnt(0)
	ds_write_b64 v1, v[44:45]
	buffer_store_dword v42, off, s[0:3], 0 offset:88
	buffer_store_dword v42, off, s[0:3], 0 offset:92
.LBB19_111:
	s_or_b64 exec, exec, s[4:5]
	s_waitcnt lgkmcnt(0)
	; wave barrier
	s_waitcnt lgkmcnt(0)
	buffer_load_dword v61, off, s[0:3], 0 offset:100
	buffer_load_dword v63, off, s[0:3], 0 offset:108
	buffer_load_dword v65, off, s[0:3], 0 offset:116
	buffer_load_dword v67, off, s[0:3], 0 offset:124
	buffer_load_dword v69, off, s[0:3], 0 offset:132
	buffer_load_dword v71, off, s[0:3], 0 offset:140
	buffer_load_dword v73, off, s[0:3], 0 offset:148
	buffer_load_dword v75, off, s[0:3], 0 offset:156
	buffer_load_dword v60, off, s[0:3], 0 offset:96
	buffer_load_dword v62, off, s[0:3], 0 offset:104
	buffer_load_dword v64, off, s[0:3], 0 offset:112
	buffer_load_dword v66, off, s[0:3], 0 offset:120
	buffer_load_dword v68, off, s[0:3], 0 offset:128
	buffer_load_dword v70, off, s[0:3], 0 offset:136
	buffer_load_dword v72, off, s[0:3], 0 offset:144
	buffer_load_dword v74, off, s[0:3], 0 offset:152
	buffer_load_dword v76, off, s[0:3], 0 offset:88
	buffer_load_dword v77, off, s[0:3], 0 offset:92
	ds_read_b128 v[44:47], v42 offset:256
	ds_read_b128 v[48:51], v42 offset:272
	ds_read_b128 v[52:55], v42 offset:288
	ds_read_b128 v[56:59], v42 offset:304
	v_cmp_lt_u32_e32 vcc, 10, v0
	s_waitcnt vmcnt(17)
	v_mov_b32_e32 v42, v61
	s_waitcnt vmcnt(16)
	v_mov_b32_e32 v78, v63
	s_waitcnt lgkmcnt(3)
	v_pk_mul_f32 v[42:43], v[44:45], v[42:43] op_sel_hi:[1,0]
	s_waitcnt vmcnt(15)
	v_mov_b32_e32 v80, v65
	v_pk_mul_f32 v[78:79], v[46:47], v[78:79] op_sel_hi:[1,0]
	s_waitcnt vmcnt(14)
	v_mov_b32_e32 v82, v67
	s_waitcnt lgkmcnt(2)
	v_pk_mul_f32 v[80:81], v[48:49], v[80:81] op_sel_hi:[1,0]
	s_waitcnt vmcnt(13)
	v_mov_b32_e32 v84, v69
	s_waitcnt vmcnt(9)
	v_pk_fma_f32 v[92:93], v[44:45], v[60:61], v[42:43] op_sel:[0,0,1] op_sel_hi:[1,1,0] neg_lo:[0,0,1] neg_hi:[0,0,1]
	v_pk_fma_f32 v[42:43], v[44:45], v[60:61], v[42:43] op_sel:[0,0,1] op_sel_hi:[1,0,0]
	s_waitcnt vmcnt(8)
	v_pk_fma_f32 v[44:45], v[46:47], v[62:63], v[78:79] op_sel:[0,0,1] op_sel_hi:[1,1,0] neg_lo:[0,0,1] neg_hi:[0,0,1]
	v_pk_fma_f32 v[46:47], v[46:47], v[62:63], v[78:79] op_sel:[0,0,1] op_sel_hi:[1,0,0]
	v_mov_b32_e32 v93, v43
	v_pk_mul_f32 v[82:83], v[50:51], v[82:83] op_sel_hi:[1,0]
	s_waitcnt vmcnt(7)
	v_pk_fma_f32 v[60:61], v[48:49], v[64:65], v[80:81] op_sel:[0,0,1] op_sel_hi:[1,1,0] neg_lo:[0,0,1] neg_hi:[0,0,1]
	v_pk_fma_f32 v[48:49], v[48:49], v[64:65], v[80:81] op_sel:[0,0,1] op_sel_hi:[1,0,0]
	v_mov_b32_e32 v45, v47
	v_pk_add_f32 v[42:43], v[92:93], 0 op_sel_hi:[1,0]
	v_mov_b32_e32 v86, v71
	s_waitcnt lgkmcnt(1)
	v_pk_mul_f32 v[84:85], v[52:53], v[84:85] op_sel_hi:[1,0]
	s_waitcnt vmcnt(6)
	v_pk_fma_f32 v[62:63], v[50:51], v[66:67], v[82:83] op_sel:[0,0,1] op_sel_hi:[1,1,0] neg_lo:[0,0,1] neg_hi:[0,0,1]
	v_pk_fma_f32 v[50:51], v[50:51], v[66:67], v[82:83] op_sel:[0,0,1] op_sel_hi:[1,0,0]
	v_mov_b32_e32 v61, v49
	v_pk_add_f32 v[42:43], v[42:43], v[44:45]
	v_mov_b32_e32 v88, v73
	v_pk_mul_f32 v[86:87], v[54:55], v[86:87] op_sel_hi:[1,0]
	s_waitcnt vmcnt(5)
	v_pk_fma_f32 v[64:65], v[52:53], v[68:69], v[84:85] op_sel:[0,0,1] op_sel_hi:[1,1,0] neg_lo:[0,0,1] neg_hi:[0,0,1]
	v_pk_fma_f32 v[52:53], v[52:53], v[68:69], v[84:85] op_sel:[0,0,1] op_sel_hi:[1,0,0]
	v_mov_b32_e32 v63, v51
	v_pk_add_f32 v[42:43], v[42:43], v[60:61]
	v_mov_b32_e32 v90, v75
	s_waitcnt lgkmcnt(0)
	v_pk_mul_f32 v[88:89], v[56:57], v[88:89] op_sel_hi:[1,0]
	s_waitcnt vmcnt(4)
	v_pk_fma_f32 v[66:67], v[54:55], v[70:71], v[86:87] op_sel:[0,0,1] op_sel_hi:[1,1,0] neg_lo:[0,0,1] neg_hi:[0,0,1]
	v_pk_fma_f32 v[54:55], v[54:55], v[70:71], v[86:87] op_sel:[0,0,1] op_sel_hi:[1,0,0]
	v_mov_b32_e32 v65, v53
	v_pk_add_f32 v[42:43], v[42:43], v[62:63]
	v_pk_mul_f32 v[90:91], v[58:59], v[90:91] op_sel_hi:[1,0]
	s_waitcnt vmcnt(3)
	v_pk_fma_f32 v[68:69], v[56:57], v[72:73], v[88:89] op_sel:[0,0,1] op_sel_hi:[1,1,0] neg_lo:[0,0,1] neg_hi:[0,0,1]
	v_pk_fma_f32 v[56:57], v[56:57], v[72:73], v[88:89] op_sel:[0,0,1] op_sel_hi:[1,0,0]
	v_mov_b32_e32 v67, v55
	v_pk_add_f32 v[42:43], v[42:43], v[64:65]
	s_waitcnt vmcnt(2)
	v_pk_fma_f32 v[70:71], v[58:59], v[74:75], v[90:91] op_sel:[0,0,1] op_sel_hi:[1,1,0] neg_lo:[0,0,1] neg_hi:[0,0,1]
	v_pk_fma_f32 v[58:59], v[58:59], v[74:75], v[90:91] op_sel:[0,0,1] op_sel_hi:[1,0,0]
	v_mov_b32_e32 v69, v57
	v_pk_add_f32 v[42:43], v[42:43], v[66:67]
	v_mov_b32_e32 v71, v59
	v_pk_add_f32 v[42:43], v[42:43], v[68:69]
	v_pk_add_f32 v[42:43], v[42:43], v[70:71]
	s_waitcnt vmcnt(0)
	v_pk_add_f32 v[42:43], v[76:77], v[42:43] neg_lo:[0,1] neg_hi:[0,1]
	buffer_store_dword v42, off, s[0:3], 0 offset:88
	buffer_store_dword v43, off, s[0:3], 0 offset:92
	s_and_saveexec_b64 s[4:5], vcc
	s_cbranch_execz .LBB19_113
; %bb.112:
	buffer_load_dword v42, off, s[0:3], 0 offset:80
	buffer_load_dword v43, off, s[0:3], 0 offset:84
	v_mov_b32_e32 v44, 0
	buffer_store_dword v44, off, s[0:3], 0 offset:80
	buffer_store_dword v44, off, s[0:3], 0 offset:84
	s_waitcnt vmcnt(2)
	ds_write_b64 v1, v[42:43]
.LBB19_113:
	s_or_b64 exec, exec, s[4:5]
	s_waitcnt lgkmcnt(0)
	; wave barrier
	s_waitcnt lgkmcnt(0)
	buffer_load_dword v43, off, s[0:3], 0 offset:92
	buffer_load_dword v61, off, s[0:3], 0 offset:100
	;; [unrolled: 1-line block ×20, first 2 shown]
	v_mov_b32_e32 v42, 0
	ds_read2_b64 v[44:47], v42 offset0:31 offset1:32
	ds_read2_b64 v[48:51], v42 offset0:33 offset1:34
	;; [unrolled: 1-line block ×4, first 2 shown]
	ds_read_b64 v[78:79], v42 offset:312
	v_cmp_lt_u32_e32 vcc, 9, v0
	s_waitcnt vmcnt(19) lgkmcnt(4)
	v_mul_f32_e32 v81, v44, v43
	v_mul_f32_e32 v43, v45, v43
	s_waitcnt vmcnt(18)
	v_mov_b32_e32 v82, v61
	s_waitcnt vmcnt(17)
	v_mov_b32_e32 v84, v63
	;; [unrolled: 2-line block ×8, first 2 shown]
	s_waitcnt vmcnt(10)
	v_fmac_f32_e32 v81, v45, v80
	v_fma_f32 v80, v44, v80, -v43
	v_pk_mul_f32 v[44:45], v[46:47], v[82:83] op_sel_hi:[1,0]
	s_waitcnt lgkmcnt(3)
	v_pk_mul_f32 v[82:83], v[48:49], v[84:85] op_sel_hi:[1,0]
	v_pk_mul_f32 v[84:85], v[50:51], v[86:87] op_sel_hi:[1,0]
	s_waitcnt lgkmcnt(2)
	v_pk_mul_f32 v[86:87], v[52:53], v[88:89] op_sel_hi:[1,0]
	;; [unrolled: 3-line block ×4, first 2 shown]
	s_waitcnt vmcnt(9)
	v_pk_fma_f32 v[96:97], v[46:47], v[60:61], v[44:45] op_sel:[0,0,1] op_sel_hi:[1,1,0] neg_lo:[0,0,1] neg_hi:[0,0,1]
	v_pk_fma_f32 v[44:45], v[46:47], v[60:61], v[44:45] op_sel:[0,0,1] op_sel_hi:[1,0,0]
	v_pk_add_f32 v[80:81], v[80:81], 0 op_sel_hi:[1,0]
	s_waitcnt vmcnt(8)
	v_pk_fma_f32 v[46:47], v[48:49], v[62:63], v[82:83] op_sel:[0,0,1] op_sel_hi:[1,1,0] neg_lo:[0,0,1] neg_hi:[0,0,1]
	v_pk_fma_f32 v[48:49], v[48:49], v[62:63], v[82:83] op_sel:[0,0,1] op_sel_hi:[1,0,0]
	v_mov_b32_e32 v97, v45
	s_waitcnt vmcnt(7)
	v_pk_fma_f32 v[60:61], v[50:51], v[64:65], v[84:85] op_sel:[0,0,1] op_sel_hi:[1,1,0] neg_lo:[0,0,1] neg_hi:[0,0,1]
	v_pk_fma_f32 v[50:51], v[50:51], v[64:65], v[84:85] op_sel:[0,0,1] op_sel_hi:[1,0,0]
	v_mov_b32_e32 v47, v49
	v_pk_add_f32 v[44:45], v[80:81], v[96:97]
	s_waitcnt vmcnt(6)
	v_pk_fma_f32 v[62:63], v[52:53], v[66:67], v[86:87] op_sel:[0,0,1] op_sel_hi:[1,1,0] neg_lo:[0,0,1] neg_hi:[0,0,1]
	v_pk_fma_f32 v[52:53], v[52:53], v[66:67], v[86:87] op_sel:[0,0,1] op_sel_hi:[1,0,0]
	v_mov_b32_e32 v61, v51
	v_pk_add_f32 v[44:45], v[44:45], v[46:47]
	;; [unrolled: 5-line block ×6, first 2 shown]
	v_mov_b32_e32 v71, v73
	v_pk_add_f32 v[44:45], v[44:45], v[68:69]
	v_pk_add_f32 v[44:45], v[44:45], v[70:71]
	s_waitcnt vmcnt(0)
	v_pk_add_f32 v[44:45], v[76:77], v[44:45] neg_lo:[0,1] neg_hi:[0,1]
	buffer_store_dword v44, off, s[0:3], 0 offset:80
	buffer_store_dword v45, off, s[0:3], 0 offset:84
	s_and_saveexec_b64 s[4:5], vcc
	s_cbranch_execz .LBB19_115
; %bb.114:
	buffer_load_dword v44, off, s[0:3], 0 offset:72
	buffer_load_dword v45, off, s[0:3], 0 offset:76
	s_waitcnt vmcnt(0)
	ds_write_b64 v1, v[44:45]
	buffer_store_dword v42, off, s[0:3], 0 offset:72
	buffer_store_dword v42, off, s[0:3], 0 offset:76
.LBB19_115:
	s_or_b64 exec, exec, s[4:5]
	s_waitcnt lgkmcnt(0)
	; wave barrier
	s_waitcnt lgkmcnt(0)
	buffer_load_dword v82, off, s[0:3], 0 offset:84
	buffer_load_dword v84, off, s[0:3], 0 offset:92
	;; [unrolled: 1-line block ×22, first 2 shown]
	ds_read_b128 v[44:47], v42 offset:240
	ds_read_b128 v[48:51], v42 offset:256
	;; [unrolled: 1-line block ×5, first 2 shown]
	v_cmp_lt_u32_e32 vcc, 8, v0
	s_waitcnt vmcnt(21) lgkmcnt(4)
	v_mul_f32_e32 v43, v44, v82
	s_waitcnt vmcnt(20)
	v_mul_f32_e32 v83, v46, v84
	v_mul_f32_e32 v42, v45, v82
	;; [unrolled: 1-line block ×3, first 2 shown]
	s_waitcnt vmcnt(19)
	v_mov_b32_e32 v84, v65
	s_waitcnt vmcnt(18)
	v_mov_b32_e32 v86, v67
	;; [unrolled: 2-line block ×5, first 2 shown]
	v_mov_b32_e32 v90, v71
	s_waitcnt vmcnt(11)
	v_fmac_f32_e32 v43, v45, v85
	v_fma_f32 v42, v44, v85, -v42
	s_waitcnt lgkmcnt(3)
	v_pk_mul_f32 v[44:45], v[48:49], v[84:85] op_sel_hi:[1,0]
	s_waitcnt vmcnt(10)
	v_fmac_f32_e32 v83, v47, v87
	v_fma_f32 v82, v46, v87, -v82
	v_pk_mul_f32 v[46:47], v[50:51], v[86:87] op_sel_hi:[1,0]
	s_waitcnt lgkmcnt(2)
	v_pk_mul_f32 v[84:85], v[52:53], v[88:89] op_sel_hi:[1,0]
	s_waitcnt lgkmcnt(1)
	v_pk_mul_f32 v[88:89], v[56:57], v[92:93] op_sel_hi:[1,0]
	s_waitcnt lgkmcnt(0)
	v_pk_mul_f32 v[92:93], v[60:61], v[96:97] op_sel_hi:[1,0]
	v_pk_add_f32 v[42:43], v[42:43], 0 op_sel_hi:[1,0]
	s_waitcnt vmcnt(9)
	v_pk_fma_f32 v[96:97], v[48:49], v[64:65], v[44:45] op_sel:[0,0,1] op_sel_hi:[1,1,0] neg_lo:[0,0,1] neg_hi:[0,0,1]
	v_pk_fma_f32 v[44:45], v[48:49], v[64:65], v[44:45] op_sel:[0,0,1] op_sel_hi:[1,0,0]
	s_waitcnt vmcnt(8)
	v_pk_fma_f32 v[48:49], v[50:51], v[66:67], v[46:47] op_sel:[0,0,1] op_sel_hi:[1,1,0] neg_lo:[0,0,1] neg_hi:[0,0,1]
	v_pk_fma_f32 v[46:47], v[50:51], v[66:67], v[46:47] op_sel:[0,0,1] op_sel_hi:[1,0,0]
	v_pk_add_f32 v[42:43], v[42:43], v[82:83]
	v_mov_b32_e32 v97, v45
	v_pk_mul_f32 v[86:87], v[54:55], v[90:91] op_sel_hi:[1,0]
	s_waitcnt vmcnt(7)
	v_pk_fma_f32 v[50:51], v[52:53], v[68:69], v[84:85] op_sel:[0,0,1] op_sel_hi:[1,1,0] neg_lo:[0,0,1] neg_hi:[0,0,1]
	v_pk_fma_f32 v[52:53], v[52:53], v[68:69], v[84:85] op_sel:[0,0,1] op_sel_hi:[1,0,0]
	v_mov_b32_e32 v49, v47
	v_pk_add_f32 v[42:43], v[42:43], v[96:97]
	v_mov_b32_e32 v94, v75
	s_waitcnt vmcnt(6)
	v_pk_fma_f32 v[64:65], v[54:55], v[70:71], v[86:87] op_sel:[0,0,1] op_sel_hi:[1,1,0] neg_lo:[0,0,1] neg_hi:[0,0,1]
	v_pk_fma_f32 v[54:55], v[54:55], v[70:71], v[86:87] op_sel:[0,0,1] op_sel_hi:[1,0,0]
	v_mov_b32_e32 v51, v53
	v_pk_add_f32 v[42:43], v[42:43], v[48:49]
	v_pk_mul_f32 v[90:91], v[58:59], v[94:95] op_sel_hi:[1,0]
	s_waitcnt vmcnt(5)
	v_pk_fma_f32 v[66:67], v[56:57], v[72:73], v[88:89] op_sel:[0,0,1] op_sel_hi:[1,1,0] neg_lo:[0,0,1] neg_hi:[0,0,1]
	v_pk_fma_f32 v[56:57], v[56:57], v[72:73], v[88:89] op_sel:[0,0,1] op_sel_hi:[1,0,0]
	v_mov_b32_e32 v65, v55
	v_pk_add_f32 v[42:43], v[42:43], v[50:51]
	v_mov_b32_e32 v98, v79
	s_waitcnt vmcnt(2)
	v_pk_fma_f32 v[68:69], v[58:59], v[74:75], v[90:91] op_sel:[0,0,1] op_sel_hi:[1,1,0] neg_lo:[0,0,1] neg_hi:[0,0,1]
	v_pk_fma_f32 v[58:59], v[58:59], v[74:75], v[90:91] op_sel:[0,0,1] op_sel_hi:[1,0,0]
	v_mov_b32_e32 v67, v57
	v_pk_add_f32 v[42:43], v[42:43], v[64:65]
	v_pk_mul_f32 v[94:95], v[62:63], v[98:99] op_sel_hi:[1,0]
	v_pk_fma_f32 v[70:71], v[60:61], v[76:77], v[92:93] op_sel:[0,0,1] op_sel_hi:[1,1,0] neg_lo:[0,0,1] neg_hi:[0,0,1]
	v_pk_fma_f32 v[60:61], v[60:61], v[76:77], v[92:93] op_sel:[0,0,1] op_sel_hi:[1,0,0]
	v_mov_b32_e32 v69, v59
	v_pk_add_f32 v[42:43], v[42:43], v[66:67]
	v_pk_fma_f32 v[72:73], v[62:63], v[78:79], v[94:95] op_sel:[0,0,1] op_sel_hi:[1,1,0] neg_lo:[0,0,1] neg_hi:[0,0,1]
	v_pk_fma_f32 v[62:63], v[62:63], v[78:79], v[94:95] op_sel:[0,0,1] op_sel_hi:[1,0,0]
	v_mov_b32_e32 v71, v61
	v_pk_add_f32 v[42:43], v[42:43], v[68:69]
	v_mov_b32_e32 v73, v63
	v_pk_add_f32 v[42:43], v[42:43], v[70:71]
	v_pk_add_f32 v[42:43], v[42:43], v[72:73]
	s_waitcnt vmcnt(0)
	v_pk_add_f32 v[42:43], v[80:81], v[42:43] neg_lo:[0,1] neg_hi:[0,1]
	buffer_store_dword v42, off, s[0:3], 0 offset:72
	buffer_store_dword v43, off, s[0:3], 0 offset:76
	s_and_saveexec_b64 s[4:5], vcc
	s_cbranch_execz .LBB19_117
; %bb.116:
	buffer_load_dword v42, off, s[0:3], 0 offset:64
	buffer_load_dword v43, off, s[0:3], 0 offset:68
	v_mov_b32_e32 v44, 0
	buffer_store_dword v44, off, s[0:3], 0 offset:64
	buffer_store_dword v44, off, s[0:3], 0 offset:68
	s_waitcnt vmcnt(2)
	ds_write_b64 v1, v[42:43]
.LBB19_117:
	s_or_b64 exec, exec, s[4:5]
	s_waitcnt lgkmcnt(0)
	; wave barrier
	s_waitcnt lgkmcnt(0)
	buffer_load_dword v43, off, s[0:3], 0 offset:76
	buffer_load_dword v84, off, s[0:3], 0 offset:84
	;; [unrolled: 1-line block ×24, first 2 shown]
	v_mov_b32_e32 v42, 0
	ds_read2_b64 v[44:47], v42 offset0:29 offset1:30
	ds_read2_b64 v[48:51], v42 offset0:31 offset1:32
	;; [unrolled: 1-line block ×5, first 2 shown]
	ds_read_b64 v[82:83], v42 offset:312
	v_cmp_lt_u32_e32 vcc, 7, v0
	s_waitcnt vmcnt(23) lgkmcnt(5)
	v_mul_f32_e32 v97, v44, v43
	v_mul_f32_e32 v43, v45, v43
	s_waitcnt vmcnt(22)
	v_mul_f32_e32 v85, v46, v84
	s_waitcnt vmcnt(21) lgkmcnt(4)
	v_mul_f32_e32 v87, v48, v86
	v_mul_f32_e32 v84, v47, v84
	;; [unrolled: 1-line block ×3, first 2 shown]
	s_waitcnt vmcnt(20)
	v_mov_b32_e32 v88, v65
	s_waitcnt vmcnt(19)
	v_mov_b32_e32 v90, v67
	;; [unrolled: 2-line block ×5, first 2 shown]
	s_waitcnt vmcnt(12)
	v_fmac_f32_e32 v97, v45, v89
	v_fma_f32 v43, v44, v89, -v43
	v_mov_b32_e32 v98, v75
	s_waitcnt vmcnt(11)
	v_fmac_f32_e32 v85, v47, v91
	s_waitcnt vmcnt(10)
	v_fmac_f32_e32 v87, v49, v93
	v_fma_f32 v84, v46, v91, -v84
	v_fma_f32 v86, v48, v93, -v86
	v_pk_mul_f32 v[44:45], v[50:51], v[88:89] op_sel_hi:[1,0]
	s_waitcnt lgkmcnt(3)
	v_pk_mul_f32 v[46:47], v[52:53], v[90:91] op_sel_hi:[1,0]
	v_pk_mul_f32 v[48:49], v[54:55], v[92:93] op_sel_hi:[1,0]
	s_waitcnt lgkmcnt(2)
	v_pk_mul_f32 v[88:89], v[56:57], v[94:95] op_sel_hi:[1,0]
	v_pk_mul_f32 v[90:91], v[58:59], v[96:97] op_sel_hi:[1,0]
	v_add_f32_e32 v97, 0, v97
	v_add_f32_e32 v96, 0, v43
	s_waitcnt lgkmcnt(1)
	v_pk_mul_f32 v[92:93], v[60:61], v[98:99] op_sel_hi:[1,0]
	s_waitcnt vmcnt(9)
	v_pk_fma_f32 v[98:99], v[50:51], v[64:65], v[44:45] op_sel:[0,0,1] op_sel_hi:[1,1,0] neg_lo:[0,0,1] neg_hi:[0,0,1]
	v_pk_fma_f32 v[44:45], v[50:51], v[64:65], v[44:45] op_sel:[0,0,1] op_sel_hi:[1,0,0]
	s_waitcnt vmcnt(8)
	v_pk_fma_f32 v[50:51], v[52:53], v[66:67], v[46:47] op_sel:[0,0,1] op_sel_hi:[1,1,0] neg_lo:[0,0,1] neg_hi:[0,0,1]
	v_pk_fma_f32 v[46:47], v[52:53], v[66:67], v[46:47] op_sel:[0,0,1] op_sel_hi:[1,0,0]
	;; [unrolled: 3-line block ×4, first 2 shown]
	v_pk_add_f32 v[70:71], v[96:97], v[84:85]
	v_mov_b32_e32 v99, v45
	v_pk_add_f32 v[44:45], v[70:71], v[86:87]
	v_mov_b32_e32 v51, v47
	;; [unrolled: 2-line block ×4, first 2 shown]
	s_waitcnt vmcnt(2)
	v_pk_fma_f32 v[64:65], v[58:59], v[72:73], v[90:91] op_sel:[0,0,1] op_sel_hi:[1,1,0] neg_lo:[0,0,1] neg_hi:[0,0,1]
	v_pk_fma_f32 v[58:59], v[58:59], v[72:73], v[90:91] op_sel:[0,0,1] op_sel_hi:[1,0,0]
	v_mov_b32_e32 v55, v57
	v_pk_add_f32 v[44:45], v[44:45], v[52:53]
	v_mov_b32_e32 v102, v79
	v_pk_mul_f32 v[94:95], v[62:63], v[100:101] op_sel_hi:[1,0]
	v_pk_fma_f32 v[66:67], v[60:61], v[74:75], v[92:93] op_sel:[0,0,1] op_sel_hi:[1,1,0] neg_lo:[0,0,1] neg_hi:[0,0,1]
	v_pk_fma_f32 v[60:61], v[60:61], v[74:75], v[92:93] op_sel:[0,0,1] op_sel_hi:[1,0,0]
	v_mov_b32_e32 v65, v59
	v_pk_add_f32 v[44:45], v[44:45], v[54:55]
	v_pk_fma_f32 v[68:69], v[62:63], v[76:77], v[94:95] op_sel:[0,0,1] op_sel_hi:[1,1,0] neg_lo:[0,0,1] neg_hi:[0,0,1]
	v_pk_fma_f32 v[62:63], v[62:63], v[76:77], v[94:95] op_sel:[0,0,1] op_sel_hi:[1,0,0]
	v_mov_b32_e32 v67, v61
	v_pk_add_f32 v[44:45], v[44:45], v[64:65]
	s_waitcnt lgkmcnt(0)
	v_pk_mul_f32 v[46:47], v[82:83], v[102:103] op_sel_hi:[1,0]
	v_mov_b32_e32 v69, v63
	v_pk_add_f32 v[44:45], v[44:45], v[66:67]
	v_pk_fma_f32 v[48:49], v[82:83], v[78:79], v[46:47] op_sel:[0,0,1] op_sel_hi:[1,1,0] neg_lo:[0,0,1] neg_hi:[0,0,1]
	v_pk_fma_f32 v[46:47], v[82:83], v[78:79], v[46:47] op_sel:[0,0,1] op_sel_hi:[1,0,0]
	v_pk_add_f32 v[44:45], v[44:45], v[68:69]
	v_mov_b32_e32 v49, v47
	v_pk_add_f32 v[44:45], v[44:45], v[48:49]
	s_waitcnt vmcnt(0)
	v_pk_add_f32 v[44:45], v[80:81], v[44:45] neg_lo:[0,1] neg_hi:[0,1]
	buffer_store_dword v45, off, s[0:3], 0 offset:68
	buffer_store_dword v44, off, s[0:3], 0 offset:64
	s_and_saveexec_b64 s[4:5], vcc
	s_cbranch_execz .LBB19_119
; %bb.118:
	buffer_load_dword v44, off, s[0:3], 0 offset:56
	buffer_load_dword v45, off, s[0:3], 0 offset:60
	s_waitcnt vmcnt(0)
	ds_write_b64 v1, v[44:45]
	buffer_store_dword v42, off, s[0:3], 0 offset:56
	buffer_store_dword v42, off, s[0:3], 0 offset:60
.LBB19_119:
	s_or_b64 exec, exec, s[4:5]
	s_waitcnt lgkmcnt(0)
	; wave barrier
	s_waitcnt lgkmcnt(0)
	buffer_load_dword v86, off, s[0:3], 0 offset:68
	buffer_load_dword v88, off, s[0:3], 0 offset:76
	;; [unrolled: 1-line block ×26, first 2 shown]
	ds_read_b128 v[44:47], v42 offset:224
	ds_read_b128 v[48:51], v42 offset:240
	;; [unrolled: 1-line block ×6, first 2 shown]
	v_cmp_lt_u32_e32 vcc, 6, v0
	s_waitcnt vmcnt(25) lgkmcnt(5)
	v_mul_f32_e32 v99, v44, v86
	v_mul_f32_e32 v42, v45, v86
	s_waitcnt vmcnt(24)
	v_mul_f32_e32 v100, v46, v88
	s_waitcnt vmcnt(23) lgkmcnt(4)
	v_mul_f32_e32 v43, v48, v89
	s_waitcnt vmcnt(22)
	v_mul_f32_e32 v87, v50, v90
	v_mul_f32_e32 v86, v47, v88
	;; [unrolled: 1-line block ×4, first 2 shown]
	s_waitcnt vmcnt(21)
	v_mov_b32_e32 v88, v69
	s_waitcnt vmcnt(20)
	v_mov_b32_e32 v90, v71
	;; [unrolled: 2-line block ×3, first 2 shown]
	s_waitcnt vmcnt(15)
	v_fmac_f32_e32 v99, v45, v91
	v_fma_f32 v102, v44, v91, -v42
	v_mov_b32_e32 v92, v73
	s_waitcnt vmcnt(14)
	v_fmac_f32_e32 v100, v47, v93
	s_waitcnt vmcnt(13)
	v_fmac_f32_e32 v43, v49, v95
	;; [unrolled: 2-line block ×3, first 2 shown]
	v_fma_f32 v103, v46, v93, -v86
	v_fma_f32 v42, v48, v95, -v89
	;; [unrolled: 1-line block ×3, first 2 shown]
	s_waitcnt lgkmcnt(3)
	v_pk_mul_f32 v[44:45], v[52:53], v[88:89] op_sel_hi:[1,0]
	v_pk_mul_f32 v[46:47], v[54:55], v[90:91] op_sel_hi:[1,0]
	s_waitcnt lgkmcnt(2)
	v_pk_mul_f32 v[50:51], v[58:59], v[94:95] op_sel_hi:[1,0]
	v_add_f32_e32 v94, 0, v99
	v_add_f32_e32 v95, 0, v102
	v_pk_mul_f32 v[48:49], v[56:57], v[92:93] op_sel_hi:[1,0]
	s_waitcnt vmcnt(11)
	v_pk_fma_f32 v[92:93], v[52:53], v[68:69], v[44:45] op_sel:[0,0,1] op_sel_hi:[1,1,0] neg_lo:[0,0,1] neg_hi:[0,0,1]
	v_pk_fma_f32 v[44:45], v[52:53], v[68:69], v[44:45] op_sel:[0,0,1] op_sel_hi:[1,0,0]
	s_waitcnt vmcnt(10)
	v_pk_fma_f32 v[52:53], v[54:55], v[70:71], v[46:47] op_sel:[0,0,1] op_sel_hi:[1,1,0] neg_lo:[0,0,1] neg_hi:[0,0,1]
	v_pk_fma_f32 v[46:47], v[54:55], v[70:71], v[46:47] op_sel:[0,0,1] op_sel_hi:[1,0,0]
	v_add_f32_e32 v71, v94, v100
	v_add_f32_e32 v70, v95, v103
	v_pk_add_f32 v[42:43], v[70:71], v[42:43]
	v_mov_b32_e32 v93, v45
	v_pk_add_f32 v[42:43], v[42:43], v[86:87]
	v_mov_b32_e32 v96, v77
	s_waitcnt vmcnt(9)
	v_pk_fma_f32 v[54:55], v[56:57], v[72:73], v[48:49] op_sel:[0,0,1] op_sel_hi:[1,1,0] neg_lo:[0,0,1] neg_hi:[0,0,1]
	v_pk_fma_f32 v[48:49], v[56:57], v[72:73], v[48:49] op_sel:[0,0,1] op_sel_hi:[1,0,0]
	v_mov_b32_e32 v53, v47
	v_pk_add_f32 v[42:43], v[42:43], v[92:93]
	v_mov_b32_e32 v98, v79
	s_waitcnt lgkmcnt(1)
	v_pk_mul_f32 v[88:89], v[60:61], v[96:97] op_sel_hi:[1,0]
	s_waitcnt vmcnt(5)
	v_pk_fma_f32 v[56:57], v[58:59], v[74:75], v[50:51] op_sel:[0,0,1] op_sel_hi:[1,1,0] neg_lo:[0,0,1] neg_hi:[0,0,1]
	v_pk_fma_f32 v[50:51], v[58:59], v[74:75], v[50:51] op_sel:[0,0,1] op_sel_hi:[1,0,0]
	v_mov_b32_e32 v55, v49
	v_pk_add_f32 v[42:43], v[42:43], v[52:53]
	s_waitcnt vmcnt(4)
	v_mov_b32_e32 v44, v81
	v_pk_mul_f32 v[90:91], v[62:63], v[98:99] op_sel_hi:[1,0]
	v_pk_fma_f32 v[58:59], v[60:61], v[76:77], v[88:89] op_sel:[0,0,1] op_sel_hi:[1,1,0] neg_lo:[0,0,1] neg_hi:[0,0,1]
	v_pk_fma_f32 v[60:61], v[60:61], v[76:77], v[88:89] op_sel:[0,0,1] op_sel_hi:[1,0,0]
	v_mov_b32_e32 v57, v51
	v_pk_add_f32 v[42:43], v[42:43], v[54:55]
	s_waitcnt lgkmcnt(0)
	v_pk_mul_f32 v[44:45], v[64:65], v[44:45] op_sel_hi:[1,0]
	v_pk_fma_f32 v[68:69], v[62:63], v[78:79], v[90:91] op_sel:[0,0,1] op_sel_hi:[1,1,0] neg_lo:[0,0,1] neg_hi:[0,0,1]
	v_pk_fma_f32 v[62:63], v[62:63], v[78:79], v[90:91] op_sel:[0,0,1] op_sel_hi:[1,0,0]
	v_mov_b32_e32 v59, v61
	v_pk_add_f32 v[42:43], v[42:43], v[56:57]
	v_pk_fma_f32 v[46:47], v[64:65], v[80:81], v[44:45] op_sel:[0,0,1] op_sel_hi:[1,1,0] neg_lo:[0,0,1] neg_hi:[0,0,1]
	v_pk_fma_f32 v[44:45], v[64:65], v[80:81], v[44:45] op_sel:[0,0,1] op_sel_hi:[1,0,0]
	v_mov_b32_e32 v69, v63
	v_pk_add_f32 v[42:43], v[42:43], v[58:59]
	s_waitcnt vmcnt(3)
	v_mov_b32_e32 v44, v83
	v_pk_add_f32 v[42:43], v[42:43], v[68:69]
	v_mov_b32_e32 v47, v45
	v_pk_mul_f32 v[44:45], v[66:67], v[44:45] op_sel_hi:[1,0]
	v_pk_add_f32 v[42:43], v[42:43], v[46:47]
	s_waitcnt vmcnt(2)
	v_pk_fma_f32 v[46:47], v[66:67], v[82:83], v[44:45] op_sel:[0,0,1] op_sel_hi:[1,1,0] neg_lo:[0,0,1] neg_hi:[0,0,1]
	v_pk_fma_f32 v[44:45], v[66:67], v[82:83], v[44:45] op_sel:[0,0,1] op_sel_hi:[1,0,0]
	v_mov_b32_e32 v47, v45
	v_pk_add_f32 v[42:43], v[42:43], v[46:47]
	s_waitcnt vmcnt(0)
	v_pk_add_f32 v[42:43], v[84:85], v[42:43] neg_lo:[0,1] neg_hi:[0,1]
	buffer_store_dword v43, off, s[0:3], 0 offset:60
	buffer_store_dword v42, off, s[0:3], 0 offset:56
	s_and_saveexec_b64 s[4:5], vcc
	s_cbranch_execz .LBB19_121
; %bb.120:
	buffer_load_dword v42, off, s[0:3], 0 offset:48
	buffer_load_dword v43, off, s[0:3], 0 offset:52
	v_mov_b32_e32 v44, 0
	buffer_store_dword v44, off, s[0:3], 0 offset:48
	buffer_store_dword v44, off, s[0:3], 0 offset:52
	s_waitcnt vmcnt(2)
	ds_write_b64 v1, v[42:43]
.LBB19_121:
	s_or_b64 exec, exec, s[4:5]
	s_waitcnt lgkmcnt(0)
	; wave barrier
	s_waitcnt lgkmcnt(0)
	buffer_load_dword v43, off, s[0:3], 0 offset:60
	buffer_load_dword v88, off, s[0:3], 0 offset:68
	;; [unrolled: 1-line block ×28, first 2 shown]
	v_mov_b32_e32 v42, 0
	ds_read2_b64 v[44:47], v42 offset0:27 offset1:28
	ds_read2_b64 v[48:51], v42 offset0:29 offset1:30
	;; [unrolled: 1-line block ×6, first 2 shown]
	ds_read_b64 v[86:87], v42 offset:312
	v_cmp_lt_u32_e32 vcc, 5, v0
	s_waitcnt vmcnt(27) lgkmcnt(6)
	v_mul_f32_e32 v103, v44, v43
	v_mul_f32_e32 v43, v45, v43
	s_waitcnt vmcnt(26)
	v_mul_f32_e32 v104, v46, v88
	s_waitcnt vmcnt(24) lgkmcnt(5)
	v_mul_f32_e32 v89, v50, v92
	s_waitcnt vmcnt(23) lgkmcnt(4)
	v_mul_f32_e32 v91, v52, v93
	v_mul_f32_e32 v106, v51, v92
	;; [unrolled: 1-line block ×3, first 2 shown]
	s_waitcnt vmcnt(22)
	v_mov_b32_e32 v92, v69
	v_mul_f32_e32 v105, v48, v90
	v_mul_f32_e32 v88, v47, v88
	;; [unrolled: 1-line block ×3, first 2 shown]
	s_waitcnt vmcnt(17)
	v_fmac_f32_e32 v103, v45, v95
	v_fma_f32 v43, v44, v95, -v43
	v_pk_mul_f32 v[44:45], v[54:55], v[92:93] op_sel_hi:[1,0]
	s_waitcnt vmcnt(16)
	v_fmac_f32_e32 v104, v47, v97
	s_waitcnt vmcnt(13)
	v_fmac_f32_e32 v91, v53, v102
	v_fma_f32 v95, v46, v97, -v88
	v_fma_f32 v97, v48, v99, -v90
	;; [unrolled: 1-line block ×3, first 2 shown]
	v_add_f32_e32 v92, 0, v103
	v_add_f32_e32 v43, 0, v43
	s_waitcnt vmcnt(12)
	v_pk_fma_f32 v[52:53], v[54:55], v[68:69], v[44:45] op_sel:[0,0,1] op_sel_hi:[1,1,0] neg_lo:[0,0,1] neg_hi:[0,0,1]
	v_pk_fma_f32 v[44:45], v[54:55], v[68:69], v[44:45] op_sel:[0,0,1] op_sel_hi:[1,0,0]
	v_fmac_f32_e32 v105, v49, v99
	v_add_f32_e32 v44, v92, v104
	v_add_f32_e32 v43, v43, v95
	v_mov_b32_e32 v94, v71
	v_fmac_f32_e32 v89, v51, v101
	v_fma_f32 v88, v50, v101, -v106
	v_mov_b32_e32 v53, v45
	v_add_f32_e32 v45, v44, v105
	v_add_f32_e32 v44, v43, v97
	v_mov_b32_e32 v96, v73
	s_waitcnt lgkmcnt(3)
	v_pk_mul_f32 v[46:47], v[56:57], v[94:95] op_sel_hi:[1,0]
	v_pk_add_f32 v[44:45], v[44:45], v[88:89]
	v_mov_b32_e32 v98, v75
	v_mov_b32_e32 v100, v77
	v_pk_mul_f32 v[48:49], v[58:59], v[96:97] op_sel_hi:[1,0]
	s_waitcnt vmcnt(11)
	v_pk_fma_f32 v[54:55], v[56:57], v[70:71], v[46:47] op_sel:[0,0,1] op_sel_hi:[1,1,0] neg_lo:[0,0,1] neg_hi:[0,0,1]
	v_pk_fma_f32 v[46:47], v[56:57], v[70:71], v[46:47] op_sel:[0,0,1] op_sel_hi:[1,0,0]
	v_pk_add_f32 v[44:45], v[44:45], v[90:91]
	s_waitcnt lgkmcnt(2)
	v_pk_mul_f32 v[50:51], v[60:61], v[98:99] op_sel_hi:[1,0]
	s_waitcnt vmcnt(7)
	v_pk_fma_f32 v[56:57], v[58:59], v[72:73], v[48:49] op_sel:[0,0,1] op_sel_hi:[1,1,0] neg_lo:[0,0,1] neg_hi:[0,0,1]
	v_pk_fma_f32 v[48:49], v[58:59], v[72:73], v[48:49] op_sel:[0,0,1] op_sel_hi:[1,0,0]
	v_mov_b32_e32 v55, v47
	v_pk_add_f32 v[44:45], v[44:45], v[52:53]
	v_pk_mul_f32 v[46:47], v[62:63], v[100:101] op_sel_hi:[1,0]
	v_pk_fma_f32 v[58:59], v[60:61], v[74:75], v[50:51] op_sel:[0,0,1] op_sel_hi:[1,1,0] neg_lo:[0,0,1] neg_hi:[0,0,1]
	v_pk_fma_f32 v[50:51], v[60:61], v[74:75], v[50:51] op_sel:[0,0,1] op_sel_hi:[1,0,0]
	v_mov_b32_e32 v57, v49
	v_pk_add_f32 v[44:45], v[44:45], v[54:55]
	v_pk_fma_f32 v[48:49], v[62:63], v[76:77], v[46:47] op_sel:[0,0,1] op_sel_hi:[1,1,0] neg_lo:[0,0,1] neg_hi:[0,0,1]
	v_pk_fma_f32 v[46:47], v[62:63], v[76:77], v[46:47] op_sel:[0,0,1] op_sel_hi:[1,0,0]
	v_mov_b32_e32 v59, v51
	v_pk_add_f32 v[44:45], v[44:45], v[56:57]
	s_waitcnt vmcnt(6)
	v_mov_b32_e32 v46, v79
	v_pk_add_f32 v[44:45], v[44:45], v[58:59]
	v_mov_b32_e32 v49, v47
	s_waitcnt lgkmcnt(1)
	v_pk_mul_f32 v[46:47], v[64:65], v[46:47] op_sel_hi:[1,0]
	v_pk_add_f32 v[44:45], v[44:45], v[48:49]
	v_pk_fma_f32 v[48:49], v[64:65], v[78:79], v[46:47] op_sel:[0,0,1] op_sel_hi:[1,1,0] neg_lo:[0,0,1] neg_hi:[0,0,1]
	v_pk_fma_f32 v[46:47], v[64:65], v[78:79], v[46:47] op_sel:[0,0,1] op_sel_hi:[1,0,0]
	s_waitcnt vmcnt(5)
	v_mov_b32_e32 v46, v81
	v_mov_b32_e32 v49, v47
	v_pk_mul_f32 v[46:47], v[66:67], v[46:47] op_sel_hi:[1,0]
	v_pk_add_f32 v[44:45], v[44:45], v[48:49]
	s_waitcnt vmcnt(3)
	v_pk_fma_f32 v[48:49], v[66:67], v[80:81], v[46:47] op_sel:[0,0,1] op_sel_hi:[1,1,0] neg_lo:[0,0,1] neg_hi:[0,0,1]
	v_pk_fma_f32 v[46:47], v[66:67], v[80:81], v[46:47] op_sel:[0,0,1] op_sel_hi:[1,0,0]
	s_waitcnt vmcnt(2)
	v_mov_b32_e32 v46, v83
	v_mov_b32_e32 v49, v47
	s_waitcnt lgkmcnt(0)
	v_pk_mul_f32 v[46:47], v[86:87], v[46:47] op_sel_hi:[1,0]
	v_pk_add_f32 v[44:45], v[44:45], v[48:49]
	v_pk_fma_f32 v[48:49], v[86:87], v[82:83], v[46:47] op_sel:[0,0,1] op_sel_hi:[1,1,0] neg_lo:[0,0,1] neg_hi:[0,0,1]
	v_pk_fma_f32 v[46:47], v[86:87], v[82:83], v[46:47] op_sel:[0,0,1] op_sel_hi:[1,0,0]
	v_mov_b32_e32 v49, v47
	v_pk_add_f32 v[44:45], v[44:45], v[48:49]
	s_waitcnt vmcnt(0)
	v_pk_add_f32 v[44:45], v[84:85], v[44:45] neg_lo:[0,1] neg_hi:[0,1]
	buffer_store_dword v45, off, s[0:3], 0 offset:52
	buffer_store_dword v44, off, s[0:3], 0 offset:48
	s_and_saveexec_b64 s[4:5], vcc
	s_cbranch_execz .LBB19_123
; %bb.122:
	buffer_load_dword v44, off, s[0:3], 0 offset:40
	buffer_load_dword v45, off, s[0:3], 0 offset:44
	s_waitcnt vmcnt(0)
	ds_write_b64 v1, v[44:45]
	buffer_store_dword v42, off, s[0:3], 0 offset:40
	buffer_store_dword v42, off, s[0:3], 0 offset:44
.LBB19_123:
	s_or_b64 exec, exec, s[4:5]
	s_waitcnt lgkmcnt(0)
	; wave barrier
	s_waitcnt lgkmcnt(0)
	buffer_load_dword v90, off, s[0:3], 0 offset:52
	buffer_load_dword v92, off, s[0:3], 0 offset:60
	;; [unrolled: 1-line block ×30, first 2 shown]
	ds_read_b128 v[44:47], v42 offset:208
	ds_read_b128 v[48:51], v42 offset:224
	;; [unrolled: 1-line block ×7, first 2 shown]
	v_cmp_lt_u32_e32 vcc, 4, v0
	s_waitcnt vmcnt(29) lgkmcnt(6)
	v_mul_f32_e32 v103, v44, v90
	s_waitcnt vmcnt(28)
	v_mul_f32_e32 v104, v46, v92
	s_waitcnt vmcnt(27) lgkmcnt(5)
	v_mul_f32_e32 v105, v48, v93
	v_mul_f32_e32 v93, v49, v93
	s_waitcnt vmcnt(26)
	v_mul_f32_e32 v106, v50, v94
	s_waitcnt vmcnt(25) lgkmcnt(4)
	v_mul_f32_e32 v43, v52, v95
	v_mul_f32_e32 v42, v45, v90
	;; [unrolled: 1-line block ×5, first 2 shown]
	s_waitcnt vmcnt(23)
	v_mov_b32_e32 v92, v73
	s_waitcnt vmcnt(22)
	v_mov_b32_e32 v94, v75
	s_waitcnt vmcnt(18)
	v_fma_f32 v93, v48, v99, -v93
	v_fmac_f32_e32 v103, v45, v97
	v_fmac_f32_e32 v104, v47, v98
	s_waitcnt vmcnt(17)
	v_fmac_f32_e32 v106, v51, v100
	v_fma_f32 v51, v44, v97, -v42
	v_fma_f32 v97, v46, v98, -v90
	s_waitcnt lgkmcnt(3)
	v_pk_mul_f32 v[44:45], v[56:57], v[92:93] op_sel_hi:[1,0]
	v_pk_mul_f32 v[46:47], v[58:59], v[94:95] op_sel_hi:[1,0]
	s_waitcnt vmcnt(16)
	v_fmac_f32_e32 v43, v53, v101
	v_fma_f32 v98, v50, v100, -v107
	v_fma_f32 v42, v52, v101, -v95
	v_add_f32_e32 v92, 0, v103
	v_add_f32_e32 v94, 0, v51
	s_waitcnt vmcnt(14)
	v_pk_fma_f32 v[50:51], v[56:57], v[72:73], v[44:45] op_sel:[0,0,1] op_sel_hi:[1,1,0] neg_lo:[0,0,1] neg_hi:[0,0,1]
	v_pk_fma_f32 v[44:45], v[56:57], v[72:73], v[44:45] op_sel:[0,0,1] op_sel_hi:[1,0,0]
	s_waitcnt vmcnt(10)
	v_pk_fma_f32 v[52:53], v[58:59], v[74:75], v[46:47] op_sel:[0,0,1] op_sel_hi:[1,1,0] neg_lo:[0,0,1] neg_hi:[0,0,1]
	v_pk_fma_f32 v[46:47], v[58:59], v[74:75], v[46:47] op_sel:[0,0,1] op_sel_hi:[1,0,0]
	v_fmac_f32_e32 v105, v49, v99
	v_add_f32_e32 v44, v92, v104
	v_add_f32_e32 v46, v94, v97
	;; [unrolled: 1-line block ×4, first 2 shown]
	v_mul_f32_e32 v91, v54, v96
	v_mul_f32_e32 v108, v55, v96
	v_mov_b32_e32 v51, v45
	v_add_f32_e32 v45, v44, v106
	v_add_f32_e32 v44, v46, v98
	v_mov_b32_e32 v96, v77
	v_fmac_f32_e32 v91, v55, v102
	v_fma_f32 v90, v54, v102, -v108
	v_pk_add_f32 v[42:43], v[44:45], v[42:43]
	s_waitcnt vmcnt(9)
	v_mov_b32_e32 v44, v81
	s_waitcnt lgkmcnt(2)
	v_pk_mul_f32 v[48:49], v[60:61], v[96:97] op_sel_hi:[1,0]
	v_pk_add_f32 v[42:43], v[42:43], v[90:91]
	v_pk_mul_f32 v[44:45], v[62:63], v[44:45] op_sel_hi:[1,0]
	v_pk_fma_f32 v[54:55], v[60:61], v[76:77], v[48:49] op_sel:[0,0,1] op_sel_hi:[1,1,0] neg_lo:[0,0,1] neg_hi:[0,0,1]
	v_pk_fma_f32 v[48:49], v[60:61], v[76:77], v[48:49] op_sel:[0,0,1] op_sel_hi:[1,0,0]
	v_mov_b32_e32 v53, v47
	v_pk_add_f32 v[42:43], v[42:43], v[50:51]
	v_pk_fma_f32 v[46:47], v[62:63], v[80:81], v[44:45] op_sel:[0,0,1] op_sel_hi:[1,1,0] neg_lo:[0,0,1] neg_hi:[0,0,1]
	v_pk_fma_f32 v[44:45], v[62:63], v[80:81], v[44:45] op_sel:[0,0,1] op_sel_hi:[1,0,0]
	v_mov_b32_e32 v55, v49
	v_pk_add_f32 v[42:43], v[42:43], v[52:53]
	s_waitcnt vmcnt(8)
	v_mov_b32_e32 v44, v79
	v_pk_add_f32 v[42:43], v[42:43], v[54:55]
	v_mov_b32_e32 v47, v45
	s_waitcnt lgkmcnt(1)
	v_pk_mul_f32 v[44:45], v[64:65], v[44:45] op_sel_hi:[1,0]
	v_pk_add_f32 v[42:43], v[42:43], v[46:47]
	v_pk_fma_f32 v[46:47], v[64:65], v[78:79], v[44:45] op_sel:[0,0,1] op_sel_hi:[1,1,0] neg_lo:[0,0,1] neg_hi:[0,0,1]
	v_pk_fma_f32 v[44:45], v[64:65], v[78:79], v[44:45] op_sel:[0,0,1] op_sel_hi:[1,0,0]
	s_waitcnt vmcnt(7)
	v_mov_b32_e32 v44, v83
	v_mov_b32_e32 v47, v45
	v_pk_mul_f32 v[44:45], v[66:67], v[44:45] op_sel_hi:[1,0]
	v_pk_add_f32 v[42:43], v[42:43], v[46:47]
	s_waitcnt vmcnt(4)
	v_pk_fma_f32 v[46:47], v[66:67], v[82:83], v[44:45] op_sel:[0,0,1] op_sel_hi:[1,1,0] neg_lo:[0,0,1] neg_hi:[0,0,1]
	v_pk_fma_f32 v[44:45], v[66:67], v[82:83], v[44:45] op_sel:[0,0,1] op_sel_hi:[1,0,0]
	s_waitcnt vmcnt(3)
	v_mov_b32_e32 v44, v87
	v_mov_b32_e32 v47, v45
	s_waitcnt lgkmcnt(0)
	v_pk_mul_f32 v[44:45], v[68:69], v[44:45] op_sel_hi:[1,0]
	v_pk_add_f32 v[42:43], v[42:43], v[46:47]
	v_pk_fma_f32 v[46:47], v[68:69], v[86:87], v[44:45] op_sel:[0,0,1] op_sel_hi:[1,1,0] neg_lo:[0,0,1] neg_hi:[0,0,1]
	v_pk_fma_f32 v[44:45], v[68:69], v[86:87], v[44:45] op_sel:[0,0,1] op_sel_hi:[1,0,0]
	s_waitcnt vmcnt(0)
	v_mov_b32_e32 v44, v85
	v_mov_b32_e32 v47, v45
	v_pk_mul_f32 v[44:45], v[70:71], v[44:45] op_sel_hi:[1,0]
	v_pk_add_f32 v[42:43], v[42:43], v[46:47]
	v_pk_fma_f32 v[46:47], v[70:71], v[84:85], v[44:45] op_sel:[0,0,1] op_sel_hi:[1,1,0] neg_lo:[0,0,1] neg_hi:[0,0,1]
	v_pk_fma_f32 v[44:45], v[70:71], v[84:85], v[44:45] op_sel:[0,0,1] op_sel_hi:[1,0,0]
	v_mov_b32_e32 v47, v45
	v_pk_add_f32 v[42:43], v[42:43], v[46:47]
	v_pk_add_f32 v[42:43], v[88:89], v[42:43] neg_lo:[0,1] neg_hi:[0,1]
	buffer_store_dword v43, off, s[0:3], 0 offset:44
	buffer_store_dword v42, off, s[0:3], 0 offset:40
	s_and_saveexec_b64 s[4:5], vcc
	s_cbranch_execz .LBB19_125
; %bb.124:
	buffer_load_dword v42, off, s[0:3], 0 offset:32
	buffer_load_dword v43, off, s[0:3], 0 offset:36
	v_mov_b32_e32 v44, 0
	buffer_store_dword v44, off, s[0:3], 0 offset:32
	buffer_store_dword v44, off, s[0:3], 0 offset:36
	s_waitcnt vmcnt(2)
	ds_write_b64 v1, v[42:43]
.LBB19_125:
	s_or_b64 exec, exec, s[4:5]
	s_waitcnt lgkmcnt(0)
	; wave barrier
	s_waitcnt lgkmcnt(0)
	buffer_load_dword v43, off, s[0:3], 0 offset:44
	buffer_load_dword v92, off, s[0:3], 0 offset:52
	;; [unrolled: 1-line block ×32, first 2 shown]
	v_mov_b32_e32 v42, 0
	ds_read2_b64 v[44:47], v42 offset0:25 offset1:26
	ds_read2_b64 v[48:51], v42 offset0:27 offset1:28
	;; [unrolled: 1-line block ×7, first 2 shown]
	ds_read_b64 v[90:91], v42 offset:312
	v_cmp_lt_u32_e32 vcc, 3, v0
	s_waitcnt vmcnt(31) lgkmcnt(7)
	v_mul_f32_e32 v107, v44, v43
	v_mul_f32_e32 v43, v45, v43
	s_waitcnt vmcnt(30)
	v_mul_f32_e32 v108, v46, v92
	s_waitcnt vmcnt(28) lgkmcnt(6)
	v_mul_f32_e32 v110, v50, v96
	s_waitcnt vmcnt(27) lgkmcnt(5)
	v_mul_f32_e32 v111, v52, v97
	v_mul_f32_e32 v112, v51, v96
	;; [unrolled: 1-line block ×3, first 2 shown]
	s_waitcnt vmcnt(24)
	v_mov_b32_e32 v96, v73
	v_mul_f32_e32 v109, v48, v94
	v_mul_f32_e32 v92, v47, v92
	s_waitcnt vmcnt(22)
	v_fmac_f32_e32 v107, v45, v100
	v_fma_f32 v43, v44, v100, -v43
	s_waitcnt lgkmcnt(4)
	v_pk_mul_f32 v[44:45], v[58:59], v[96:97] op_sel_hi:[1,0]
	v_mul_f32_e32 v94, v49, v94
	s_waitcnt vmcnt(21)
	v_fmac_f32_e32 v108, v47, v101
	s_waitcnt vmcnt(20)
	v_fmac_f32_e32 v109, v49, v102
	;; [unrolled: 2-line block ×3, first 2 shown]
	v_fma_f32 v49, v46, v101, -v92
	s_waitcnt vmcnt(18)
	v_fma_f32 v51, v52, v104, -v97
	v_add_f32_e32 v52, 0, v107
	v_add_f32_e32 v43, 0, v43
	s_waitcnt vmcnt(12)
	v_pk_fma_f32 v[46:47], v[58:59], v[72:73], v[44:45] op_sel:[0,0,1] op_sel_hi:[1,1,0] neg_lo:[0,0,1] neg_hi:[0,0,1]
	v_pk_fma_f32 v[44:45], v[58:59], v[72:73], v[44:45] op_sel:[0,0,1] op_sel_hi:[1,0,0]
	v_fma_f32 v48, v48, v102, -v94
	v_add_f32_e32 v44, v52, v108
	v_add_f32_e32 v43, v43, v49
	v_fma_f32 v50, v50, v103, -v112
	v_add_f32_e32 v44, v44, v109
	v_add_f32_e32 v43, v43, v48
	v_mul_f32_e32 v93, v54, v98
	v_mul_f32_e32 v113, v55, v98
	v_fmac_f32_e32 v111, v53, v104
	v_add_f32_e32 v44, v44, v110
	v_add_f32_e32 v43, v43, v50
	v_mul_f32_e32 v95, v56, v99
	v_mul_f32_e32 v99, v57, v99
	v_fmac_f32_e32 v93, v55, v105
	v_fma_f32 v92, v54, v105, -v113
	v_mov_b32_e32 v47, v45
	v_add_f32_e32 v45, v44, v111
	v_add_f32_e32 v44, v43, v51
	v_fmac_f32_e32 v95, v57, v106
	v_fma_f32 v94, v56, v106, -v99
	v_pk_add_f32 v[44:45], v[44:45], v[92:93]
	v_mov_b32_e32 v98, v75
	v_pk_add_f32 v[44:45], v[44:45], v[94:95]
	v_pk_add_f32 v[44:45], v[44:45], v[46:47]
	s_waitcnt lgkmcnt(3)
	v_pk_mul_f32 v[46:47], v[60:61], v[98:99] op_sel_hi:[1,0]
	v_pk_fma_f32 v[48:49], v[60:61], v[74:75], v[46:47] op_sel:[0,0,1] op_sel_hi:[1,1,0] neg_lo:[0,0,1] neg_hi:[0,0,1]
	v_pk_fma_f32 v[46:47], v[60:61], v[74:75], v[46:47] op_sel:[0,0,1] op_sel_hi:[1,0,0]
	s_waitcnt vmcnt(11)
	v_mov_b32_e32 v46, v79
	v_mov_b32_e32 v49, v47
	v_pk_mul_f32 v[46:47], v[62:63], v[46:47] op_sel_hi:[1,0]
	v_pk_add_f32 v[44:45], v[44:45], v[48:49]
	v_pk_fma_f32 v[48:49], v[62:63], v[78:79], v[46:47] op_sel:[0,0,1] op_sel_hi:[1,1,0] neg_lo:[0,0,1] neg_hi:[0,0,1]
	v_pk_fma_f32 v[46:47], v[62:63], v[78:79], v[46:47] op_sel:[0,0,1] op_sel_hi:[1,0,0]
	s_waitcnt vmcnt(10)
	v_mov_b32_e32 v46, v77
	v_mov_b32_e32 v49, v47
	s_waitcnt lgkmcnt(2)
	v_pk_mul_f32 v[46:47], v[64:65], v[46:47] op_sel_hi:[1,0]
	v_pk_add_f32 v[44:45], v[44:45], v[48:49]
	v_pk_fma_f32 v[48:49], v[64:65], v[76:77], v[46:47] op_sel:[0,0,1] op_sel_hi:[1,1,0] neg_lo:[0,0,1] neg_hi:[0,0,1]
	v_pk_fma_f32 v[46:47], v[64:65], v[76:77], v[46:47] op_sel:[0,0,1] op_sel_hi:[1,0,0]
	s_waitcnt vmcnt(9)
	v_mov_b32_e32 v46, v81
	v_mov_b32_e32 v49, v47
	v_pk_mul_f32 v[46:47], v[66:67], v[46:47] op_sel_hi:[1,0]
	v_pk_add_f32 v[44:45], v[44:45], v[48:49]
	s_waitcnt vmcnt(4)
	v_pk_fma_f32 v[48:49], v[66:67], v[80:81], v[46:47] op_sel:[0,0,1] op_sel_hi:[1,1,0] neg_lo:[0,0,1] neg_hi:[0,0,1]
	v_pk_fma_f32 v[46:47], v[66:67], v[80:81], v[46:47] op_sel:[0,0,1] op_sel_hi:[1,0,0]
	v_mov_b32_e32 v46, v87
	v_mov_b32_e32 v49, v47
	s_waitcnt lgkmcnt(1)
	v_pk_mul_f32 v[46:47], v[68:69], v[46:47] op_sel_hi:[1,0]
	v_pk_add_f32 v[44:45], v[44:45], v[48:49]
	v_pk_fma_f32 v[48:49], v[68:69], v[86:87], v[46:47] op_sel:[0,0,1] op_sel_hi:[1,1,0] neg_lo:[0,0,1] neg_hi:[0,0,1]
	v_pk_fma_f32 v[46:47], v[68:69], v[86:87], v[46:47] op_sel:[0,0,1] op_sel_hi:[1,0,0]
	s_waitcnt vmcnt(3)
	v_mov_b32_e32 v46, v85
	v_mov_b32_e32 v49, v47
	v_pk_mul_f32 v[46:47], v[70:71], v[46:47] op_sel_hi:[1,0]
	v_pk_add_f32 v[44:45], v[44:45], v[48:49]
	v_pk_fma_f32 v[48:49], v[70:71], v[84:85], v[46:47] op_sel:[0,0,1] op_sel_hi:[1,1,0] neg_lo:[0,0,1] neg_hi:[0,0,1]
	v_pk_fma_f32 v[46:47], v[70:71], v[84:85], v[46:47] op_sel:[0,0,1] op_sel_hi:[1,0,0]
	s_waitcnt vmcnt(0)
	v_mov_b32_e32 v46, v83
	v_mov_b32_e32 v49, v47
	s_waitcnt lgkmcnt(0)
	v_pk_mul_f32 v[46:47], v[90:91], v[46:47] op_sel_hi:[1,0]
	v_pk_add_f32 v[44:45], v[44:45], v[48:49]
	v_pk_fma_f32 v[48:49], v[90:91], v[82:83], v[46:47] op_sel:[0,0,1] op_sel_hi:[1,1,0] neg_lo:[0,0,1] neg_hi:[0,0,1]
	v_pk_fma_f32 v[46:47], v[90:91], v[82:83], v[46:47] op_sel:[0,0,1] op_sel_hi:[1,0,0]
	v_mov_b32_e32 v49, v47
	v_pk_add_f32 v[44:45], v[44:45], v[48:49]
	v_pk_add_f32 v[44:45], v[88:89], v[44:45] neg_lo:[0,1] neg_hi:[0,1]
	buffer_store_dword v45, off, s[0:3], 0 offset:36
	buffer_store_dword v44, off, s[0:3], 0 offset:32
	s_and_saveexec_b64 s[4:5], vcc
	s_cbranch_execz .LBB19_127
; %bb.126:
	buffer_load_dword v44, off, s[0:3], 0 offset:24
	buffer_load_dword v45, off, s[0:3], 0 offset:28
	s_waitcnt vmcnt(0)
	ds_write_b64 v1, v[44:45]
	buffer_store_dword v42, off, s[0:3], 0 offset:24
	buffer_store_dword v42, off, s[0:3], 0 offset:28
.LBB19_127:
	s_or_b64 exec, exec, s[4:5]
	s_waitcnt lgkmcnt(0)
	; wave barrier
	s_waitcnt lgkmcnt(0)
	buffer_load_dword v94, off, s[0:3], 0 offset:36
	buffer_load_dword v96, off, s[0:3], 0 offset:44
	;; [unrolled: 1-line block ×32, first 2 shown]
	ds_read_b128 v[44:47], v42 offset:192
	ds_read_b128 v[48:51], v42 offset:208
	;; [unrolled: 1-line block ×4, first 2 shown]
	buffer_load_dword v93, off, s[0:3], 0 offset:156
	buffer_load_dword v92, off, s[0:3], 0 offset:152
	ds_read_b128 v[60:63], v42 offset:256
	ds_read_b128 v[64:67], v42 offset:272
	;; [unrolled: 1-line block ×4, first 2 shown]
	v_cmp_lt_u32_e32 vcc, 2, v0
	s_waitcnt vmcnt(33) lgkmcnt(7)
	v_mul_f32_e32 v111, v44, v94
	v_mul_f32_e32 v42, v45, v94
	s_waitcnt vmcnt(32)
	v_mul_f32_e32 v112, v46, v96
	s_waitcnt vmcnt(31) lgkmcnt(6)
	v_mul_f32_e32 v113, v48, v97
	v_mul_f32_e32 v94, v47, v96
	;; [unrolled: 1-line block ×3, first 2 shown]
	s_waitcnt vmcnt(30)
	v_mul_f32_e32 v97, v51, v98
	v_mul_f32_e32 v114, v50, v98
	s_waitcnt vmcnt(25)
	v_fmac_f32_e32 v111, v45, v103
	v_fma_f32 v44, v44, v103, -v42
	s_waitcnt vmcnt(24)
	v_fmac_f32_e32 v112, v47, v104
	v_fma_f32 v45, v46, v104, -v94
	s_waitcnt vmcnt(22)
	v_fma_f32 v47, v50, v106, -v97
	v_add_f32_e32 v50, 0, v111
	v_add_f32_e32 v44, 0, v44
	v_fmac_f32_e32 v113, v49, v105
	v_fma_f32 v46, v48, v105, -v96
	v_add_f32_e32 v50, v50, v112
	v_add_f32_e32 v44, v44, v45
	s_waitcnt lgkmcnt(5)
	v_mul_f32_e32 v115, v52, v99
	v_mul_f32_e32 v98, v53, v99
	v_fmac_f32_e32 v114, v51, v106
	v_add_f32_e32 v45, v50, v113
	v_add_f32_e32 v44, v44, v46
	v_mul_f32_e32 v116, v54, v100
	v_mul_f32_e32 v99, v55, v100
	s_waitcnt vmcnt(21)
	v_fmac_f32_e32 v115, v53, v107
	v_fma_f32 v48, v52, v107, -v98
	v_add_f32_e32 v45, v45, v114
	v_add_f32_e32 v44, v44, v47
	s_waitcnt lgkmcnt(4)
	v_mul_f32_e32 v43, v56, v101
	v_mul_f32_e32 v100, v57, v101
	s_waitcnt vmcnt(20)
	v_fmac_f32_e32 v116, v55, v108
	v_fma_f32 v49, v54, v108, -v99
	v_add_f32_e32 v45, v45, v115
	v_add_f32_e32 v44, v44, v48
	s_waitcnt vmcnt(19)
	v_fmac_f32_e32 v43, v57, v109
	v_fma_f32 v42, v56, v109, -v100
	v_add_f32_e32 v45, v45, v116
	v_add_f32_e32 v44, v44, v49
	v_pk_add_f32 v[42:43], v[44:45], v[42:43]
	s_waitcnt vmcnt(17)
	v_mov_b32_e32 v44, v77
	s_waitcnt lgkmcnt(3)
	v_pk_mul_f32 v[44:45], v[60:61], v[44:45] op_sel_hi:[1,0]
	v_mul_f32_e32 v95, v58, v102
	v_mul_f32_e32 v101, v59, v102
	s_waitcnt vmcnt(14)
	v_pk_fma_f32 v[46:47], v[60:61], v[76:77], v[44:45] op_sel:[0,0,1] op_sel_hi:[1,1,0] neg_lo:[0,0,1] neg_hi:[0,0,1]
	v_pk_fma_f32 v[44:45], v[60:61], v[76:77], v[44:45] op_sel:[0,0,1] op_sel_hi:[1,0,0]
	v_fmac_f32_e32 v95, v59, v110
	v_fma_f32 v94, v58, v110, -v101
	s_waitcnt vmcnt(13)
	v_mov_b32_e32 v44, v81
	v_pk_add_f32 v[42:43], v[42:43], v[94:95]
	v_mov_b32_e32 v47, v45
	v_pk_mul_f32 v[44:45], v[62:63], v[44:45] op_sel_hi:[1,0]
	v_pk_add_f32 v[42:43], v[42:43], v[46:47]
	v_pk_fma_f32 v[46:47], v[62:63], v[80:81], v[44:45] op_sel:[0,0,1] op_sel_hi:[1,1,0] neg_lo:[0,0,1] neg_hi:[0,0,1]
	v_pk_fma_f32 v[44:45], v[62:63], v[80:81], v[44:45] op_sel:[0,0,1] op_sel_hi:[1,0,0]
	s_waitcnt vmcnt(12)
	v_mov_b32_e32 v44, v79
	v_mov_b32_e32 v47, v45
	s_waitcnt lgkmcnt(2)
	v_pk_mul_f32 v[44:45], v[64:65], v[44:45] op_sel_hi:[1,0]
	v_pk_add_f32 v[42:43], v[42:43], v[46:47]
	v_pk_fma_f32 v[46:47], v[64:65], v[78:79], v[44:45] op_sel:[0,0,1] op_sel_hi:[1,1,0] neg_lo:[0,0,1] neg_hi:[0,0,1]
	v_pk_fma_f32 v[44:45], v[64:65], v[78:79], v[44:45] op_sel:[0,0,1] op_sel_hi:[1,0,0]
	s_waitcnt vmcnt(11)
	v_mov_b32_e32 v44, v83
	v_mov_b32_e32 v47, v45
	v_pk_mul_f32 v[44:45], v[66:67], v[44:45] op_sel_hi:[1,0]
	v_pk_add_f32 v[42:43], v[42:43], v[46:47]
	s_waitcnt vmcnt(5)
	v_pk_fma_f32 v[46:47], v[66:67], v[82:83], v[44:45] op_sel:[0,0,1] op_sel_hi:[1,1,0] neg_lo:[0,0,1] neg_hi:[0,0,1]
	v_pk_fma_f32 v[44:45], v[66:67], v[82:83], v[44:45] op_sel:[0,0,1] op_sel_hi:[1,0,0]
	v_mov_b32_e32 v44, v89
	v_mov_b32_e32 v47, v45
	s_waitcnt lgkmcnt(1)
	v_pk_mul_f32 v[44:45], v[68:69], v[44:45] op_sel_hi:[1,0]
	v_pk_add_f32 v[42:43], v[42:43], v[46:47]
	v_pk_fma_f32 v[46:47], v[68:69], v[88:89], v[44:45] op_sel:[0,0,1] op_sel_hi:[1,1,0] neg_lo:[0,0,1] neg_hi:[0,0,1]
	v_pk_fma_f32 v[44:45], v[68:69], v[88:89], v[44:45] op_sel:[0,0,1] op_sel_hi:[1,0,0]
	v_mov_b32_e32 v44, v87
	v_mov_b32_e32 v47, v45
	v_pk_mul_f32 v[44:45], v[70:71], v[44:45] op_sel_hi:[1,0]
	v_pk_add_f32 v[42:43], v[42:43], v[46:47]
	v_pk_fma_f32 v[46:47], v[70:71], v[86:87], v[44:45] op_sel:[0,0,1] op_sel_hi:[1,1,0] neg_lo:[0,0,1] neg_hi:[0,0,1]
	v_pk_fma_f32 v[44:45], v[70:71], v[86:87], v[44:45] op_sel:[0,0,1] op_sel_hi:[1,0,0]
	s_waitcnt vmcnt(2)
	v_mov_b32_e32 v44, v85
	v_mov_b32_e32 v47, v45
	s_waitcnt lgkmcnt(0)
	v_pk_mul_f32 v[44:45], v[72:73], v[44:45] op_sel_hi:[1,0]
	v_pk_add_f32 v[42:43], v[42:43], v[46:47]
	v_pk_fma_f32 v[46:47], v[72:73], v[84:85], v[44:45] op_sel:[0,0,1] op_sel_hi:[1,1,0] neg_lo:[0,0,1] neg_hi:[0,0,1]
	v_pk_fma_f32 v[44:45], v[72:73], v[84:85], v[44:45] op_sel:[0,0,1] op_sel_hi:[1,0,0]
	s_waitcnt vmcnt(1)
	v_mov_b32_e32 v44, v93
	v_mov_b32_e32 v47, v45
	v_pk_mul_f32 v[44:45], v[74:75], v[44:45] op_sel_hi:[1,0]
	v_pk_add_f32 v[42:43], v[42:43], v[46:47]
	s_waitcnt vmcnt(0)
	v_pk_fma_f32 v[46:47], v[74:75], v[92:93], v[44:45] op_sel:[0,0,1] op_sel_hi:[1,1,0] neg_lo:[0,0,1] neg_hi:[0,0,1]
	v_pk_fma_f32 v[44:45], v[74:75], v[92:93], v[44:45] op_sel:[0,0,1] op_sel_hi:[1,0,0]
	v_mov_b32_e32 v47, v45
	v_pk_add_f32 v[42:43], v[42:43], v[46:47]
	v_pk_add_f32 v[42:43], v[90:91], v[42:43] neg_lo:[0,1] neg_hi:[0,1]
	buffer_store_dword v43, off, s[0:3], 0 offset:28
	buffer_store_dword v42, off, s[0:3], 0 offset:24
	s_and_saveexec_b64 s[4:5], vcc
	s_cbranch_execz .LBB19_129
; %bb.128:
	buffer_load_dword v42, off, s[0:3], 0 offset:16
	buffer_load_dword v43, off, s[0:3], 0 offset:20
	v_mov_b32_e32 v44, 0
	buffer_store_dword v44, off, s[0:3], 0 offset:16
	buffer_store_dword v44, off, s[0:3], 0 offset:20
	s_waitcnt vmcnt(2)
	ds_write_b64 v1, v[42:43]
.LBB19_129:
	s_or_b64 exec, exec, s[4:5]
	s_waitcnt lgkmcnt(0)
	; wave barrier
	s_waitcnt lgkmcnt(0)
	buffer_load_dword v43, off, s[0:3], 0 offset:28
	buffer_load_dword v86, off, s[0:3], 0 offset:36
	;; [unrolled: 1-line block ×36, first 2 shown]
	v_mov_b32_e32 v42, 0
	ds_read2_b64 v[44:47], v42 offset0:23 offset1:24
	ds_read2_b64 v[48:51], v42 offset0:25 offset1:26
	;; [unrolled: 1-line block ×6, first 2 shown]
	v_cmp_lt_u32_e32 vcc, 1, v0
	s_waitcnt vmcnt(35) lgkmcnt(5)
	v_mul_f32_e32 v105, v44, v43
	s_waitcnt vmcnt(34)
	v_mul_f32_e32 v106, v46, v86
	s_waitcnt vmcnt(33) lgkmcnt(4)
	v_mul_f32_e32 v107, v48, v88
	v_mul_f32_e32 v43, v45, v43
	;; [unrolled: 1-line block ×4, first 2 shown]
	s_waitcnt vmcnt(32)
	v_mul_f32_e32 v108, v50, v90
	s_waitcnt vmcnt(31) lgkmcnt(3)
	v_mul_f32_e32 v109, v52, v91
	v_mul_f32_e32 v90, v51, v90
	s_waitcnt vmcnt(26)
	v_fmac_f32_e32 v105, v45, v96
	s_waitcnt vmcnt(25)
	v_fmac_f32_e32 v106, v47, v97
	;; [unrolled: 2-line block ×3, first 2 shown]
	v_fma_f32 v43, v44, v96, -v43
	v_add_f32_e32 v49, 0, v105
	v_fma_f32 v44, v46, v97, -v86
	v_add_f32_e32 v43, 0, v43
	v_add_f32_e32 v49, v49, v106
	s_waitcnt vmcnt(23)
	v_fmac_f32_e32 v108, v51, v99
	v_fma_f32 v45, v48, v98, -v88
	v_add_f32_e32 v43, v43, v44
	v_add_f32_e32 v44, v49, v107
	v_mul_f32_e32 v110, v54, v92
	v_mul_f32_e32 v91, v53, v91
	s_waitcnt vmcnt(22)
	v_fmac_f32_e32 v109, v53, v100
	v_fma_f32 v46, v50, v99, -v90
	v_add_f32_e32 v43, v43, v45
	v_add_f32_e32 v44, v44, v108
	s_waitcnt lgkmcnt(2)
	v_mul_f32_e32 v111, v56, v93
	v_mul_f32_e32 v92, v55, v92
	s_waitcnt vmcnt(21)
	v_fmac_f32_e32 v110, v55, v101
	v_fma_f32 v47, v52, v100, -v91
	v_add_f32_e32 v43, v43, v46
	v_add_f32_e32 v44, v44, v109
	v_mul_f32_e32 v93, v57, v93
	s_waitcnt vmcnt(20)
	v_fmac_f32_e32 v111, v57, v102
	v_fma_f32 v48, v54, v101, -v92
	v_add_f32_e32 v43, v43, v47
	v_add_f32_e32 v44, v44, v110
	;; [unrolled: 1-line block ×4, first 2 shown]
	v_fma_f32 v44, v56, v102, -v93
	s_waitcnt vmcnt(17)
	v_mov_b32_e32 v56, v69
	v_mul_f32_e32 v87, v58, v94
	v_add_f32_e32 v52, v43, v44
	v_mul_f32_e32 v43, v59, v94
	s_waitcnt lgkmcnt(1)
	v_pk_mul_f32 v[56:57], v[62:63], v[56:57] op_sel_hi:[1,0]
	v_mul_f32_e32 v89, v60, v95
	v_fmac_f32_e32 v87, v59, v103
	v_fma_f32 v86, v58, v103, -v43
	v_mul_f32_e32 v43, v61, v95
	s_waitcnt vmcnt(15)
	v_pk_fma_f32 v[58:59], v[62:63], v[68:69], v[56:57] op_sel:[0,0,1] op_sel_hi:[1,1,0] neg_lo:[0,0,1] neg_hi:[0,0,1]
	v_pk_fma_f32 v[56:57], v[62:63], v[68:69], v[56:57] op_sel:[0,0,1] op_sel_hi:[1,0,0]
	v_fmac_f32_e32 v89, v61, v104
	v_fma_f32 v88, v60, v104, -v43
	v_pk_add_f32 v[52:53], v[52:53], v[86:87]
	s_waitcnt vmcnt(12)
	v_mov_b32_e32 v56, v71
	v_pk_add_f32 v[52:53], v[52:53], v[88:89]
	v_mov_b32_e32 v59, v57
	s_waitcnt lgkmcnt(0)
	v_pk_mul_f32 v[56:57], v[64:65], v[56:57] op_sel_hi:[1,0]
	v_pk_add_f32 v[52:53], v[52:53], v[58:59]
	v_pk_fma_f32 v[58:59], v[64:65], v[70:71], v[56:57] op_sel:[0,0,1] op_sel_hi:[1,1,0] neg_lo:[0,0,1] neg_hi:[0,0,1]
	v_pk_fma_f32 v[56:57], v[64:65], v[70:71], v[56:57] op_sel:[0,0,1] op_sel_hi:[1,0,0]
	s_waitcnt vmcnt(11)
	v_mov_b32_e32 v56, v75
	ds_read2_b64 v[44:47], v42 offset0:35 offset1:36
	ds_read2_b64 v[48:51], v42 offset0:37 offset1:38
	ds_read_b64 v[54:55], v42 offset:312
	v_mov_b32_e32 v59, v57
	v_pk_mul_f32 v[56:57], v[66:67], v[56:57] op_sel_hi:[1,0]
	v_pk_add_f32 v[52:53], v[52:53], v[58:59]
	s_waitcnt vmcnt(4)
	v_pk_fma_f32 v[58:59], v[66:67], v[74:75], v[56:57] op_sel:[0,0,1] op_sel_hi:[1,1,0] neg_lo:[0,0,1] neg_hi:[0,0,1]
	v_pk_fma_f32 v[56:57], v[66:67], v[74:75], v[56:57] op_sel:[0,0,1] op_sel_hi:[1,0,0]
	v_mov_b32_e32 v56, v81
	v_mov_b32_e32 v59, v57
	s_waitcnt lgkmcnt(2)
	v_pk_mul_f32 v[56:57], v[44:45], v[56:57] op_sel_hi:[1,0]
	v_pk_add_f32 v[52:53], v[52:53], v[58:59]
	v_pk_fma_f32 v[58:59], v[44:45], v[80:81], v[56:57] op_sel:[0,0,1] op_sel_hi:[1,1,0] neg_lo:[0,0,1] neg_hi:[0,0,1]
	v_pk_fma_f32 v[44:45], v[44:45], v[80:81], v[56:57] op_sel:[0,0,1] op_sel_hi:[1,0,0]
	v_mov_b32_e32 v59, v45
	v_pk_add_f32 v[44:45], v[52:53], v[58:59]
	v_mov_b32_e32 v52, v79
	v_pk_mul_f32 v[52:53], v[46:47], v[52:53] op_sel_hi:[1,0]
	v_pk_fma_f32 v[56:57], v[46:47], v[78:79], v[52:53] op_sel:[0,0,1] op_sel_hi:[1,1,0] neg_lo:[0,0,1] neg_hi:[0,0,1]
	v_pk_fma_f32 v[46:47], v[46:47], v[78:79], v[52:53] op_sel:[0,0,1] op_sel_hi:[1,0,0]
	v_mov_b32_e32 v46, v77
	v_mov_b32_e32 v57, v47
	s_waitcnt lgkmcnt(1)
	v_pk_mul_f32 v[46:47], v[48:49], v[46:47] op_sel_hi:[1,0]
	v_pk_fma_f32 v[52:53], v[48:49], v[76:77], v[46:47] op_sel:[0,0,1] op_sel_hi:[1,1,0] neg_lo:[0,0,1] neg_hi:[0,0,1]
	v_pk_fma_f32 v[46:47], v[48:49], v[76:77], v[46:47] op_sel:[0,0,1] op_sel_hi:[1,0,0]
	s_waitcnt vmcnt(1)
	v_mov_b32_e32 v46, v85
	v_mov_b32_e32 v53, v47
	v_pk_mul_f32 v[46:47], v[50:51], v[46:47] op_sel_hi:[1,0]
	s_waitcnt vmcnt(0)
	v_pk_fma_f32 v[48:49], v[50:51], v[84:85], v[46:47] op_sel:[0,0,1] op_sel_hi:[1,1,0] neg_lo:[0,0,1] neg_hi:[0,0,1]
	v_pk_fma_f32 v[46:47], v[50:51], v[84:85], v[46:47] op_sel:[0,0,1] op_sel_hi:[1,0,0]
	v_pk_add_f32 v[44:45], v[44:45], v[56:57]
	v_mov_b32_e32 v46, v83
	v_pk_add_f32 v[44:45], v[44:45], v[52:53]
	v_mov_b32_e32 v49, v47
	s_waitcnt lgkmcnt(0)
	v_pk_mul_f32 v[46:47], v[54:55], v[46:47] op_sel_hi:[1,0]
	v_pk_add_f32 v[44:45], v[44:45], v[48:49]
	v_pk_fma_f32 v[48:49], v[54:55], v[82:83], v[46:47] op_sel:[0,0,1] op_sel_hi:[1,1,0] neg_lo:[0,0,1] neg_hi:[0,0,1]
	v_pk_fma_f32 v[46:47], v[54:55], v[82:83], v[46:47] op_sel:[0,0,1] op_sel_hi:[1,0,0]
	v_mov_b32_e32 v49, v47
	v_pk_add_f32 v[44:45], v[44:45], v[48:49]
	v_pk_add_f32 v[44:45], v[72:73], v[44:45] neg_lo:[0,1] neg_hi:[0,1]
	buffer_store_dword v45, off, s[0:3], 0 offset:20
	buffer_store_dword v44, off, s[0:3], 0 offset:16
	s_and_saveexec_b64 s[4:5], vcc
	s_cbranch_execz .LBB19_131
; %bb.130:
	buffer_load_dword v44, off, s[0:3], 0 offset:8
	buffer_load_dword v45, off, s[0:3], 0 offset:12
	s_waitcnt vmcnt(0)
	ds_write_b64 v1, v[44:45]
	buffer_store_dword v42, off, s[0:3], 0 offset:8
	buffer_store_dword v42, off, s[0:3], 0 offset:12
.LBB19_131:
	s_or_b64 exec, exec, s[4:5]
	s_waitcnt lgkmcnt(0)
	; wave barrier
	s_waitcnt lgkmcnt(0)
	buffer_load_dword v43, off, s[0:3], 0 offset:20
	buffer_load_dword v86, off, s[0:3], 0 offset:28
	;; [unrolled: 1-line block ×22, first 2 shown]
	ds_read_b128 v[44:47], v42 offset:176
	ds_read_b128 v[48:51], v42 offset:192
	buffer_load_dword v71, off, s[0:3], 0 offset:100
	buffer_load_dword v70, off, s[0:3], 0 offset:96
	;; [unrolled: 1-line block ×10, first 2 shown]
	ds_read_b128 v[52:55], v42 offset:208
	ds_read_b128 v[56:59], v42 offset:224
	;; [unrolled: 1-line block ×4, first 2 shown]
	buffer_load_dword v81, off, s[0:3], 0 offset:156
	buffer_load_dword v80, off, s[0:3], 0 offset:152
	;; [unrolled: 1-line block ×6, first 2 shown]
	v_cmp_ne_u32_e32 vcc, 0, v0
	s_waitcnt vmcnt(37) lgkmcnt(5)
	v_mul_f32_e32 v107, v44, v43
	s_waitcnt vmcnt(36)
	v_mul_f32_e32 v108, v46, v86
	s_waitcnt vmcnt(35) lgkmcnt(4)
	v_mul_f32_e32 v109, v48, v88
	v_mul_f32_e32 v43, v45, v43
	v_mul_f32_e32 v88, v49, v88
	v_mul_f32_e32 v86, v47, v86
	s_waitcnt vmcnt(34)
	v_mul_f32_e32 v110, v50, v90
	s_waitcnt vmcnt(33) lgkmcnt(3)
	v_mul_f32_e32 v111, v52, v91
	s_waitcnt vmcnt(32)
	v_mul_f32_e32 v112, v54, v92
	s_waitcnt vmcnt(31) lgkmcnt(2)
	v_mul_f32_e32 v113, v56, v93
	s_waitcnt vmcnt(27)
	v_fmac_f32_e32 v107, v45, v97
	s_waitcnt vmcnt(26)
	v_fmac_f32_e32 v108, v47, v98
	v_fma_f32 v43, v44, v97, -v43
	s_waitcnt vmcnt(25)
	v_fma_f32 v45, v48, v99, -v88
	v_add_f32_e32 v48, 0, v107
	v_fmac_f32_e32 v109, v49, v99
	v_fma_f32 v44, v46, v98, -v86
	v_add_f32_e32 v43, 0, v43
	v_add_f32_e32 v48, v48, v108
	s_waitcnt vmcnt(24)
	v_fmac_f32_e32 v110, v51, v100
	v_add_f32_e32 v43, v43, v44
	v_add_f32_e32 v44, v48, v109
	s_waitcnt vmcnt(23)
	v_fmac_f32_e32 v111, v53, v101
	v_add_f32_e32 v44, v44, v110
	v_mul_f32_e32 v90, v51, v90
	s_waitcnt vmcnt(22)
	v_fmac_f32_e32 v112, v55, v102
	v_add_f32_e32 v44, v44, v111
	v_mul_f32_e32 v114, v58, v94
	v_mul_f32_e32 v91, v53, v91
	s_waitcnt vmcnt(21)
	v_fmac_f32_e32 v113, v57, v103
	v_fma_f32 v46, v50, v100, -v90
	v_add_f32_e32 v43, v43, v45
	v_add_f32_e32 v44, v44, v112
	v_mul_f32_e32 v92, v55, v92
	s_waitcnt vmcnt(20)
	v_fmac_f32_e32 v114, v59, v104
	v_fma_f32 v47, v52, v101, -v91
	v_add_f32_e32 v43, v43, v46
	v_add_f32_e32 v44, v44, v113
	;; [unrolled: 1-line block ×4, first 2 shown]
	v_fma_f32 v44, v54, v102, -v92
	v_add_f32_e32 v43, v43, v44
	v_mul_f32_e32 v44, v57, v93
	v_fma_f32 v44, v56, v103, -v44
	v_add_f32_e32 v43, v43, v44
	v_mul_f32_e32 v44, v59, v94
	v_fma_f32 v44, v58, v104, -v44
	s_waitcnt vmcnt(15)
	v_mov_b32_e32 v56, v71
	s_waitcnt lgkmcnt(1)
	v_mul_f32_e32 v87, v60, v95
	v_add_f32_e32 v90, v43, v44
	v_mul_f32_e32 v43, v61, v95
	s_waitcnt lgkmcnt(0)
	v_pk_mul_f32 v[56:57], v[64:65], v[56:57] op_sel_hi:[1,0]
	v_mul_f32_e32 v89, v62, v96
	v_fmac_f32_e32 v87, v61, v105
	v_fma_f32 v86, v60, v105, -v43
	v_mul_f32_e32 v43, v63, v96
	s_waitcnt vmcnt(14)
	v_pk_fma_f32 v[58:59], v[64:65], v[70:71], v[56:57] op_sel:[0,0,1] op_sel_hi:[1,1,0] neg_lo:[0,0,1] neg_hi:[0,0,1]
	v_pk_fma_f32 v[56:57], v[64:65], v[70:71], v[56:57] op_sel:[0,0,1] op_sel_hi:[1,0,0]
	v_fmac_f32_e32 v89, v63, v106
	v_fma_f32 v88, v62, v106, -v43
	ds_read_b128 v[44:47], v42 offset:272
	ds_read_b128 v[48:51], v42 offset:288
	ds_read_b128 v[52:55], v42 offset:304
	v_pk_add_f32 v[42:43], v[90:91], v[86:87]
	s_waitcnt vmcnt(13)
	v_mov_b32_e32 v56, v73
	v_pk_add_f32 v[42:43], v[42:43], v[88:89]
	v_mov_b32_e32 v59, v57
	v_pk_mul_f32 v[56:57], v[66:67], v[56:57] op_sel_hi:[1,0]
	v_pk_add_f32 v[42:43], v[42:43], v[58:59]
	s_waitcnt vmcnt(6)
	v_pk_fma_f32 v[58:59], v[66:67], v[72:73], v[56:57] op_sel:[0,0,1] op_sel_hi:[1,1,0] neg_lo:[0,0,1] neg_hi:[0,0,1]
	v_pk_fma_f32 v[56:57], v[66:67], v[72:73], v[56:57] op_sel:[0,0,1] op_sel_hi:[1,0,0]
	v_mov_b32_e32 v56, v79
	v_mov_b32_e32 v59, v57
	s_waitcnt lgkmcnt(2)
	v_pk_mul_f32 v[56:57], v[44:45], v[56:57] op_sel_hi:[1,0]
	v_pk_add_f32 v[42:43], v[42:43], v[58:59]
	v_pk_fma_f32 v[58:59], v[44:45], v[78:79], v[56:57] op_sel:[0,0,1] op_sel_hi:[1,1,0] neg_lo:[0,0,1] neg_hi:[0,0,1]
	v_pk_fma_f32 v[44:45], v[44:45], v[78:79], v[56:57] op_sel:[0,0,1] op_sel_hi:[1,0,0]
	v_mov_b32_e32 v44, v77
	v_mov_b32_e32 v59, v45
	v_pk_mul_f32 v[44:45], v[46:47], v[44:45] op_sel_hi:[1,0]
	v_pk_fma_f32 v[56:57], v[46:47], v[76:77], v[44:45] op_sel:[0,0,1] op_sel_hi:[1,1,0] neg_lo:[0,0,1] neg_hi:[0,0,1]
	v_pk_fma_f32 v[44:45], v[46:47], v[76:77], v[44:45] op_sel:[0,0,1] op_sel_hi:[1,0,0]
	v_mov_b32_e32 v44, v75
	v_mov_b32_e32 v57, v45
	s_waitcnt lgkmcnt(1)
	v_pk_mul_f32 v[44:45], v[48:49], v[44:45] op_sel_hi:[1,0]
	v_pk_fma_f32 v[46:47], v[48:49], v[74:75], v[44:45] op_sel:[0,0,1] op_sel_hi:[1,1,0] neg_lo:[0,0,1] neg_hi:[0,0,1]
	v_pk_fma_f32 v[44:45], v[48:49], v[74:75], v[44:45] op_sel:[0,0,1] op_sel_hi:[1,0,0]
	v_pk_add_f32 v[42:43], v[42:43], v[58:59]
	s_waitcnt vmcnt(1)
	v_mov_b32_e32 v44, v85
	v_pk_add_f32 v[42:43], v[42:43], v[56:57]
	v_mov_b32_e32 v47, v45
	v_pk_mul_f32 v[44:45], v[50:51], v[44:45] op_sel_hi:[1,0]
	v_pk_add_f32 v[42:43], v[42:43], v[46:47]
	s_waitcnt vmcnt(0)
	v_pk_fma_f32 v[46:47], v[50:51], v[84:85], v[44:45] op_sel:[0,0,1] op_sel_hi:[1,1,0] neg_lo:[0,0,1] neg_hi:[0,0,1]
	v_pk_fma_f32 v[44:45], v[50:51], v[84:85], v[44:45] op_sel:[0,0,1] op_sel_hi:[1,0,0]
	v_mov_b32_e32 v44, v83
	v_mov_b32_e32 v47, v45
	s_waitcnt lgkmcnt(0)
	v_pk_mul_f32 v[44:45], v[52:53], v[44:45] op_sel_hi:[1,0]
	v_pk_add_f32 v[42:43], v[42:43], v[46:47]
	v_pk_fma_f32 v[46:47], v[52:53], v[82:83], v[44:45] op_sel:[0,0,1] op_sel_hi:[1,1,0] neg_lo:[0,0,1] neg_hi:[0,0,1]
	v_pk_fma_f32 v[44:45], v[52:53], v[82:83], v[44:45] op_sel:[0,0,1] op_sel_hi:[1,0,0]
	v_mov_b32_e32 v44, v81
	v_mov_b32_e32 v47, v45
	v_pk_mul_f32 v[44:45], v[54:55], v[44:45] op_sel_hi:[1,0]
	v_pk_add_f32 v[42:43], v[42:43], v[46:47]
	v_pk_fma_f32 v[46:47], v[54:55], v[80:81], v[44:45] op_sel:[0,0,1] op_sel_hi:[1,1,0] neg_lo:[0,0,1] neg_hi:[0,0,1]
	v_pk_fma_f32 v[44:45], v[54:55], v[80:81], v[44:45] op_sel:[0,0,1] op_sel_hi:[1,0,0]
	v_mov_b32_e32 v47, v45
	v_pk_add_f32 v[42:43], v[42:43], v[46:47]
	v_pk_add_f32 v[42:43], v[68:69], v[42:43] neg_lo:[0,1] neg_hi:[0,1]
	buffer_store_dword v43, off, s[0:3], 0 offset:12
	buffer_store_dword v42, off, s[0:3], 0 offset:8
	s_and_saveexec_b64 s[4:5], vcc
	s_cbranch_execz .LBB19_133
; %bb.132:
	buffer_load_dword v42, off, s[0:3], 0
	buffer_load_dword v43, off, s[0:3], 0 offset:4
	v_mov_b32_e32 v0, 0
	buffer_store_dword v0, off, s[0:3], 0
	buffer_store_dword v0, off, s[0:3], 0 offset:4
	s_waitcnt vmcnt(2)
	ds_write_b64 v1, v[42:43]
.LBB19_133:
	s_or_b64 exec, exec, s[4:5]
	s_waitcnt lgkmcnt(0)
	; wave barrier
	s_waitcnt lgkmcnt(0)
	buffer_load_dword v82, off, s[0:3], 0 offset:12
	buffer_load_dword v84, off, s[0:3], 0 offset:20
	;; [unrolled: 1-line block ×22, first 2 shown]
	buffer_load_dword v0, off, s[0:3], 0
	buffer_load_dword v1, off, s[0:3], 0 offset:4
	buffer_load_dword v67, off, s[0:3], 0 offset:124
	;; [unrolled: 1-line block ×17, first 2 shown]
	v_mov_b32_e32 v106, 0
	ds_read2_b64 v[42:45], v106 offset0:21 offset1:22
	ds_read2_b64 v[46:49], v106 offset0:23 offset1:24
	;; [unrolled: 1-line block ×6, first 2 shown]
	s_and_b64 vcc, exec, s[20:21]
	s_waitcnt vmcnt(39) lgkmcnt(5)
	v_mul_f32_e32 v107, v42, v82
	s_waitcnt vmcnt(38)
	v_mul_f32_e32 v108, v44, v84
	s_waitcnt vmcnt(37) lgkmcnt(4)
	v_mul_f32_e32 v109, v46, v86
	v_mul_f32_e32 v82, v43, v82
	;; [unrolled: 1-line block ×4, first 2 shown]
	s_waitcnt vmcnt(36)
	v_mul_f32_e32 v110, v48, v87
	s_waitcnt vmcnt(35) lgkmcnt(3)
	v_mul_f32_e32 v111, v50, v88
	s_waitcnt vmcnt(34)
	v_mul_f32_e32 v112, v52, v89
	s_waitcnt vmcnt(33) lgkmcnt(2)
	v_mul_f32_e32 v113, v54, v90
	s_waitcnt vmcnt(32)
	v_mul_f32_e32 v114, v56, v91
	s_waitcnt vmcnt(28)
	v_fmac_f32_e32 v107, v43, v95
	s_waitcnt vmcnt(27)
	v_fmac_f32_e32 v108, v45, v96
	v_fma_f32 v42, v42, v95, -v82
	v_fma_f32 v43, v44, v96, -v84
	s_waitcnt vmcnt(26)
	v_fma_f32 v44, v46, v97, -v86
	v_add_f32_e32 v46, 0, v107
	v_fmac_f32_e32 v109, v47, v97
	v_add_f32_e32 v42, 0, v42
	v_add_f32_e32 v46, v46, v108
	s_waitcnt vmcnt(25)
	v_fmac_f32_e32 v110, v49, v98
	v_add_f32_e32 v42, v42, v43
	v_add_f32_e32 v43, v46, v109
	s_waitcnt vmcnt(24)
	v_fmac_f32_e32 v111, v51, v99
	v_add_f32_e32 v43, v43, v110
	s_waitcnt vmcnt(23)
	v_fmac_f32_e32 v112, v53, v100
	;; [unrolled: 3-line block ×3, first 2 shown]
	v_add_f32_e32 v43, v43, v112
	s_waitcnt lgkmcnt(1)
	v_mul_f32_e32 v115, v58, v92
	s_waitcnt vmcnt(21)
	v_fmac_f32_e32 v114, v57, v102
	v_add_f32_e32 v43, v43, v113
	v_mul_f32_e32 v87, v49, v87
	s_waitcnt vmcnt(20)
	v_fmac_f32_e32 v115, v59, v103
	v_add_f32_e32 v43, v43, v114
	v_fma_f32 v45, v48, v98, -v87
	v_add_f32_e32 v42, v42, v44
	v_add_f32_e32 v87, v43, v115
	v_mul_f32_e32 v43, v51, v88
	v_add_f32_e32 v42, v42, v45
	v_fma_f32 v43, v50, v99, -v43
	v_add_f32_e32 v42, v42, v43
	v_mul_f32_e32 v43, v53, v89
	v_fma_f32 v43, v52, v100, -v43
	v_add_f32_e32 v42, v42, v43
	v_mul_f32_e32 v43, v55, v90
	;; [unrolled: 3-line block ×5, first 2 shown]
	s_waitcnt vmcnt(9)
	v_mov_b32_e32 v58, v73
	v_mul_f32_e32 v83, v60, v93
	v_fma_f32 v82, v60, v104, -v42
	s_waitcnt lgkmcnt(0)
	v_mul_f32_e32 v42, v63, v94
	v_pk_mul_f32 v[58:59], v[64:65], v[58:59] op_sel_hi:[1,0]
	v_mul_f32_e32 v85, v62, v94
	v_fmac_f32_e32 v83, v61, v104
	v_fma_f32 v84, v62, v105, -v42
	ds_read2_b64 v[42:45], v106 offset0:33 offset1:34
	ds_read2_b64 v[46:49], v106 offset0:35 offset1:36
	ds_read2_b64 v[50:53], v106 offset0:37 offset1:38
	ds_read_b64 v[54:55], v106 offset:312
	s_waitcnt vmcnt(8)
	v_pk_fma_f32 v[60:61], v[64:65], v[72:73], v[58:59] op_sel:[0,0,1] op_sel_hi:[1,1,0] neg_lo:[0,0,1] neg_hi:[0,0,1]
	v_pk_fma_f32 v[58:59], v[64:65], v[72:73], v[58:59] op_sel:[0,0,1] op_sel_hi:[1,0,0]
	v_fmac_f32_e32 v85, v63, v105
	v_pk_add_f32 v[56:57], v[86:87], v[82:83]
	v_mov_b32_e32 v58, v71
	v_pk_add_f32 v[56:57], v[56:57], v[84:85]
	v_mov_b32_e32 v61, v59
	s_waitcnt lgkmcnt(3)
	v_pk_mul_f32 v[58:59], v[42:43], v[58:59] op_sel_hi:[1,0]
	v_pk_add_f32 v[56:57], v[56:57], v[60:61]
	v_pk_fma_f32 v[60:61], v[42:43], v[70:71], v[58:59] op_sel:[0,0,1] op_sel_hi:[1,1,0] neg_lo:[0,0,1] neg_hi:[0,0,1]
	v_pk_fma_f32 v[42:43], v[42:43], v[70:71], v[58:59] op_sel:[0,0,1] op_sel_hi:[1,0,0]
	v_mov_b32_e32 v61, v43
	v_pk_add_f32 v[42:43], v[56:57], v[60:61]
	v_mov_b32_e32 v56, v69
	v_pk_mul_f32 v[56:57], v[44:45], v[56:57] op_sel_hi:[1,0]
	v_pk_fma_f32 v[58:59], v[44:45], v[68:69], v[56:57] op_sel:[0,0,1] op_sel_hi:[1,1,0] neg_lo:[0,0,1] neg_hi:[0,0,1]
	v_pk_fma_f32 v[44:45], v[44:45], v[68:69], v[56:57] op_sel:[0,0,1] op_sel_hi:[1,0,0]
	v_mov_b32_e32 v44, v67
	v_mov_b32_e32 v59, v45
	s_waitcnt lgkmcnt(2)
	v_pk_mul_f32 v[44:45], v[46:47], v[44:45] op_sel_hi:[1,0]
	v_pk_fma_f32 v[56:57], v[46:47], v[66:67], v[44:45] op_sel:[0,0,1] op_sel_hi:[1,1,0] neg_lo:[0,0,1] neg_hi:[0,0,1]
	v_pk_fma_f32 v[44:45], v[46:47], v[66:67], v[44:45] op_sel:[0,0,1] op_sel_hi:[1,0,0]
	s_waitcnt vmcnt(1)
	v_mov_b32_e32 v44, v81
	v_mov_b32_e32 v57, v45
	v_pk_mul_f32 v[44:45], v[48:49], v[44:45] op_sel_hi:[1,0]
	s_waitcnt vmcnt(0)
	v_pk_fma_f32 v[46:47], v[48:49], v[80:81], v[44:45] op_sel:[0,0,1] op_sel_hi:[1,1,0] neg_lo:[0,0,1] neg_hi:[0,0,1]
	v_pk_fma_f32 v[44:45], v[48:49], v[80:81], v[44:45] op_sel:[0,0,1] op_sel_hi:[1,0,0]
	v_pk_add_f32 v[42:43], v[42:43], v[58:59]
	v_mov_b32_e32 v44, v79
	v_pk_add_f32 v[42:43], v[42:43], v[56:57]
	v_mov_b32_e32 v47, v45
	s_waitcnt lgkmcnt(1)
	v_pk_mul_f32 v[44:45], v[50:51], v[44:45] op_sel_hi:[1,0]
	v_pk_add_f32 v[42:43], v[42:43], v[46:47]
	v_pk_fma_f32 v[46:47], v[50:51], v[78:79], v[44:45] op_sel:[0,0,1] op_sel_hi:[1,1,0] neg_lo:[0,0,1] neg_hi:[0,0,1]
	v_pk_fma_f32 v[44:45], v[50:51], v[78:79], v[44:45] op_sel:[0,0,1] op_sel_hi:[1,0,0]
	v_mov_b32_e32 v44, v77
	v_mov_b32_e32 v47, v45
	v_pk_mul_f32 v[44:45], v[52:53], v[44:45] op_sel_hi:[1,0]
	v_pk_add_f32 v[42:43], v[42:43], v[46:47]
	v_pk_fma_f32 v[46:47], v[52:53], v[76:77], v[44:45] op_sel:[0,0,1] op_sel_hi:[1,1,0] neg_lo:[0,0,1] neg_hi:[0,0,1]
	v_pk_fma_f32 v[44:45], v[52:53], v[76:77], v[44:45] op_sel:[0,0,1] op_sel_hi:[1,0,0]
	v_mov_b32_e32 v44, v75
	v_mov_b32_e32 v47, v45
	s_waitcnt lgkmcnt(0)
	v_pk_mul_f32 v[44:45], v[54:55], v[44:45] op_sel_hi:[1,0]
	v_pk_add_f32 v[42:43], v[42:43], v[46:47]
	v_pk_fma_f32 v[46:47], v[54:55], v[74:75], v[44:45] op_sel:[0,0,1] op_sel_hi:[1,1,0] neg_lo:[0,0,1] neg_hi:[0,0,1]
	v_pk_fma_f32 v[44:45], v[54:55], v[74:75], v[44:45] op_sel:[0,0,1] op_sel_hi:[1,0,0]
	v_mov_b32_e32 v47, v45
	v_pk_add_f32 v[42:43], v[42:43], v[46:47]
	v_pk_add_f32 v[0:1], v[0:1], v[42:43] neg_lo:[0,1] neg_hi:[0,1]
	buffer_store_dword v1, off, s[0:3], 0 offset:4
	buffer_store_dword v0, off, s[0:3], 0
	s_cbranch_vccz .LBB19_173
; %bb.134:
	v_pk_mov_b32 v[0:1], s[10:11], s[10:11] op_sel:[0,1]
	flat_load_dword v0, v[0:1] offset:72
	s_waitcnt vmcnt(0) lgkmcnt(0)
	v_add_u32_e32 v0, -1, v0
	v_cmp_ne_u32_e32 vcc, 18, v0
	s_and_saveexec_b64 s[4:5], vcc
	s_cbranch_execz .LBB19_136
; %bb.135:
	v_mov_b32_e32 v1, 0
	v_lshl_add_u32 v0, v0, 3, v1
	buffer_load_dword v1, v0, s[0:3], 0 offen
	buffer_load_dword v42, v0, s[0:3], 0 offen offset:4
	buffer_load_dword v43, off, s[0:3], 0 offset:148
	buffer_load_dword v44, off, s[0:3], 0 offset:144
	s_waitcnt vmcnt(3)
	buffer_store_dword v1, off, s[0:3], 0 offset:144
	s_waitcnt vmcnt(3)
	buffer_store_dword v42, off, s[0:3], 0 offset:148
	s_waitcnt vmcnt(3)
	buffer_store_dword v43, v0, s[0:3], 0 offen offset:4
	s_waitcnt vmcnt(3)
	buffer_store_dword v44, v0, s[0:3], 0 offen
.LBB19_136:
	s_or_b64 exec, exec, s[4:5]
	v_pk_mov_b32 v[0:1], s[10:11], s[10:11] op_sel:[0,1]
	flat_load_dword v0, v[0:1] offset:68
	s_waitcnt vmcnt(0) lgkmcnt(0)
	v_add_u32_e32 v0, -1, v0
	v_cmp_ne_u32_e32 vcc, 17, v0
	s_and_saveexec_b64 s[4:5], vcc
	s_cbranch_execz .LBB19_138
; %bb.137:
	v_mov_b32_e32 v1, 0
	v_lshl_add_u32 v0, v0, 3, v1
	buffer_load_dword v1, v0, s[0:3], 0 offen
	buffer_load_dword v42, v0, s[0:3], 0 offen offset:4
	buffer_load_dword v43, off, s[0:3], 0 offset:136
	buffer_load_dword v44, off, s[0:3], 0 offset:140
	s_waitcnt vmcnt(3)
	buffer_store_dword v1, off, s[0:3], 0 offset:136
	s_waitcnt vmcnt(3)
	buffer_store_dword v42, off, s[0:3], 0 offset:140
	s_waitcnt vmcnt(3)
	buffer_store_dword v43, v0, s[0:3], 0 offen
	s_waitcnt vmcnt(3)
	buffer_store_dword v44, v0, s[0:3], 0 offen offset:4
.LBB19_138:
	s_or_b64 exec, exec, s[4:5]
	v_pk_mov_b32 v[0:1], s[10:11], s[10:11] op_sel:[0,1]
	flat_load_dword v0, v[0:1] offset:64
	s_waitcnt vmcnt(0) lgkmcnt(0)
	v_add_u32_e32 v0, -1, v0
	v_cmp_ne_u32_e32 vcc, 16, v0
	s_and_saveexec_b64 s[4:5], vcc
	s_cbranch_execz .LBB19_140
; %bb.139:
	v_mov_b32_e32 v1, 0
	v_lshl_add_u32 v0, v0, 3, v1
	buffer_load_dword v1, v0, s[0:3], 0 offen
	buffer_load_dword v42, v0, s[0:3], 0 offen offset:4
	buffer_load_dword v43, off, s[0:3], 0 offset:132
	buffer_load_dword v44, off, s[0:3], 0 offset:128
	s_waitcnt vmcnt(3)
	buffer_store_dword v1, off, s[0:3], 0 offset:128
	s_waitcnt vmcnt(3)
	buffer_store_dword v42, off, s[0:3], 0 offset:132
	s_waitcnt vmcnt(3)
	buffer_store_dword v43, v0, s[0:3], 0 offen offset:4
	s_waitcnt vmcnt(3)
	buffer_store_dword v44, v0, s[0:3], 0 offen
.LBB19_140:
	s_or_b64 exec, exec, s[4:5]
	v_pk_mov_b32 v[0:1], s[10:11], s[10:11] op_sel:[0,1]
	flat_load_dword v0, v[0:1] offset:60
	s_waitcnt vmcnt(0) lgkmcnt(0)
	v_add_u32_e32 v0, -1, v0
	v_cmp_ne_u32_e32 vcc, 15, v0
	s_and_saveexec_b64 s[4:5], vcc
	s_cbranch_execz .LBB19_142
; %bb.141:
	v_mov_b32_e32 v1, 0
	v_lshl_add_u32 v0, v0, 3, v1
	buffer_load_dword v1, v0, s[0:3], 0 offen
	buffer_load_dword v42, v0, s[0:3], 0 offen offset:4
	buffer_load_dword v43, off, s[0:3], 0 offset:120
	buffer_load_dword v44, off, s[0:3], 0 offset:124
	s_waitcnt vmcnt(3)
	buffer_store_dword v1, off, s[0:3], 0 offset:120
	s_waitcnt vmcnt(3)
	buffer_store_dword v42, off, s[0:3], 0 offset:124
	s_waitcnt vmcnt(3)
	buffer_store_dword v43, v0, s[0:3], 0 offen
	s_waitcnt vmcnt(3)
	buffer_store_dword v44, v0, s[0:3], 0 offen offset:4
.LBB19_142:
	s_or_b64 exec, exec, s[4:5]
	;; [unrolled: 48-line block ×9, first 2 shown]
	v_pk_mov_b32 v[0:1], s[10:11], s[10:11] op_sel:[0,1]
	flat_load_dword v42, v[0:1]
	s_nop 0
	buffer_load_dword v0, off, s[0:3], 0
	buffer_load_dword v1, off, s[0:3], 0 offset:4
	s_waitcnt vmcnt(0) lgkmcnt(0)
	v_add_u32_e32 v42, -1, v42
	v_cmp_ne_u32_e32 vcc, 0, v42
	s_and_saveexec_b64 s[4:5], vcc
	s_cbranch_execz .LBB19_172
; %bb.171:
	v_mov_b32_e32 v43, 0
	v_lshl_add_u32 v42, v42, 3, v43
	buffer_load_dword v43, v42, s[0:3], 0 offen offset:4
	buffer_load_dword v44, v42, s[0:3], 0 offen
	s_waitcnt vmcnt(1)
	buffer_store_dword v43, off, s[0:3], 0 offset:4
	s_waitcnt vmcnt(1)
	buffer_store_dword v44, off, s[0:3], 0
	buffer_store_dword v1, v42, s[0:3], 0 offen offset:4
	buffer_store_dword v0, v42, s[0:3], 0 offen
	buffer_load_dword v0, off, s[0:3], 0
	s_nop 0
	buffer_load_dword v1, off, s[0:3], 0 offset:4
.LBB19_172:
	s_or_b64 exec, exec, s[4:5]
.LBB19_173:
	buffer_load_dword v42, off, s[0:3], 0 offset:8
	buffer_load_dword v43, off, s[0:3], 0 offset:12
	;; [unrolled: 1-line block ×38, first 2 shown]
	s_waitcnt vmcnt(38)
	global_store_dwordx2 v[2:3], v[0:1], off
	s_waitcnt vmcnt(37)
	global_store_dwordx2 v[4:5], v[42:43], off
	;; [unrolled: 2-line block ×20, first 2 shown]
	s_endpgm
	.section	.rodata,"a",@progbits
	.p2align	6, 0x0
	.amdhsa_kernel _ZN9rocsolver6v33100L18getri_kernel_smallILi20E19rocblas_complex_numIfEPS3_EEvT1_iilPiilS6_bb
		.amdhsa_group_segment_fixed_size 324
		.amdhsa_private_segment_fixed_size 176
		.amdhsa_kernarg_size 60
		.amdhsa_user_sgpr_count 8
		.amdhsa_user_sgpr_private_segment_buffer 1
		.amdhsa_user_sgpr_dispatch_ptr 0
		.amdhsa_user_sgpr_queue_ptr 0
		.amdhsa_user_sgpr_kernarg_segment_ptr 1
		.amdhsa_user_sgpr_dispatch_id 0
		.amdhsa_user_sgpr_flat_scratch_init 1
		.amdhsa_user_sgpr_kernarg_preload_length 0
		.amdhsa_user_sgpr_kernarg_preload_offset 0
		.amdhsa_user_sgpr_private_segment_size 0
		.amdhsa_uses_dynamic_stack 0
		.amdhsa_system_sgpr_private_segment_wavefront_offset 1
		.amdhsa_system_sgpr_workgroup_id_x 1
		.amdhsa_system_sgpr_workgroup_id_y 0
		.amdhsa_system_sgpr_workgroup_id_z 0
		.amdhsa_system_sgpr_workgroup_info 0
		.amdhsa_system_vgpr_workitem_id 0
		.amdhsa_next_free_vgpr 117
		.amdhsa_next_free_sgpr 23
		.amdhsa_accum_offset 120
		.amdhsa_reserve_vcc 1
		.amdhsa_reserve_flat_scratch 1
		.amdhsa_float_round_mode_32 0
		.amdhsa_float_round_mode_16_64 0
		.amdhsa_float_denorm_mode_32 3
		.amdhsa_float_denorm_mode_16_64 3
		.amdhsa_dx10_clamp 1
		.amdhsa_ieee_mode 1
		.amdhsa_fp16_overflow 0
		.amdhsa_tg_split 0
		.amdhsa_exception_fp_ieee_invalid_op 0
		.amdhsa_exception_fp_denorm_src 0
		.amdhsa_exception_fp_ieee_div_zero 0
		.amdhsa_exception_fp_ieee_overflow 0
		.amdhsa_exception_fp_ieee_underflow 0
		.amdhsa_exception_fp_ieee_inexact 0
		.amdhsa_exception_int_div_zero 0
	.end_amdhsa_kernel
	.section	.text._ZN9rocsolver6v33100L18getri_kernel_smallILi20E19rocblas_complex_numIfEPS3_EEvT1_iilPiilS6_bb,"axG",@progbits,_ZN9rocsolver6v33100L18getri_kernel_smallILi20E19rocblas_complex_numIfEPS3_EEvT1_iilPiilS6_bb,comdat
.Lfunc_end19:
	.size	_ZN9rocsolver6v33100L18getri_kernel_smallILi20E19rocblas_complex_numIfEPS3_EEvT1_iilPiilS6_bb, .Lfunc_end19-_ZN9rocsolver6v33100L18getri_kernel_smallILi20E19rocblas_complex_numIfEPS3_EEvT1_iilPiilS6_bb
                                        ; -- End function
	.section	.AMDGPU.csdata,"",@progbits
; Kernel info:
; codeLenInByte = 23592
; NumSgprs: 29
; NumVgprs: 117
; NumAgprs: 0
; TotalNumVgprs: 117
; ScratchSize: 176
; MemoryBound: 0
; FloatMode: 240
; IeeeMode: 1
; LDSByteSize: 324 bytes/workgroup (compile time only)
; SGPRBlocks: 3
; VGPRBlocks: 14
; NumSGPRsForWavesPerEU: 29
; NumVGPRsForWavesPerEU: 117
; AccumOffset: 120
; Occupancy: 4
; WaveLimiterHint : 1
; COMPUTE_PGM_RSRC2:SCRATCH_EN: 1
; COMPUTE_PGM_RSRC2:USER_SGPR: 8
; COMPUTE_PGM_RSRC2:TRAP_HANDLER: 0
; COMPUTE_PGM_RSRC2:TGID_X_EN: 1
; COMPUTE_PGM_RSRC2:TGID_Y_EN: 0
; COMPUTE_PGM_RSRC2:TGID_Z_EN: 0
; COMPUTE_PGM_RSRC2:TIDIG_COMP_CNT: 0
; COMPUTE_PGM_RSRC3_GFX90A:ACCUM_OFFSET: 29
; COMPUTE_PGM_RSRC3_GFX90A:TG_SPLIT: 0
	.section	.text._ZN9rocsolver6v33100L18getri_kernel_smallILi21E19rocblas_complex_numIfEPS3_EEvT1_iilPiilS6_bb,"axG",@progbits,_ZN9rocsolver6v33100L18getri_kernel_smallILi21E19rocblas_complex_numIfEPS3_EEvT1_iilPiilS6_bb,comdat
	.globl	_ZN9rocsolver6v33100L18getri_kernel_smallILi21E19rocblas_complex_numIfEPS3_EEvT1_iilPiilS6_bb ; -- Begin function _ZN9rocsolver6v33100L18getri_kernel_smallILi21E19rocblas_complex_numIfEPS3_EEvT1_iilPiilS6_bb
	.p2align	8
	.type	_ZN9rocsolver6v33100L18getri_kernel_smallILi21E19rocblas_complex_numIfEPS3_EEvT1_iilPiilS6_bb,@function
_ZN9rocsolver6v33100L18getri_kernel_smallILi21E19rocblas_complex_numIfEPS3_EEvT1_iilPiilS6_bb: ; @_ZN9rocsolver6v33100L18getri_kernel_smallILi21E19rocblas_complex_numIfEPS3_EEvT1_iilPiilS6_bb
; %bb.0:
	s_add_u32 flat_scratch_lo, s6, s9
	s_addc_u32 flat_scratch_hi, s7, 0
	s_add_u32 s0, s0, s9
	s_addc_u32 s1, s1, 0
	v_cmp_gt_u32_e32 vcc, 21, v0
	s_and_saveexec_b64 s[6:7], vcc
	s_cbranch_execz .LBB20_98
; %bb.1:
	s_load_dword s22, s[4:5], 0x38
	s_load_dwordx4 s[16:19], s[4:5], 0x10
	s_load_dwordx4 s[12:15], s[4:5], 0x28
                                        ; implicit-def: $sgpr10_sgpr11
	s_waitcnt lgkmcnt(0)
	s_bitcmp1_b32 s22, 8
	s_cselect_b64 s[20:21], -1, 0
	s_ashr_i32 s9, s8, 31
	s_bfe_u32 s6, s22, 0x10008
	s_cmp_eq_u32 s6, 0
	s_cbranch_scc1 .LBB20_3
; %bb.2:
	s_load_dword s6, s[4:5], 0x20
	s_mul_i32 s7, s8, s13
	s_mul_hi_u32 s10, s8, s12
	s_mul_i32 s11, s9, s12
	s_add_i32 s10, s10, s7
	s_add_i32 s11, s10, s11
	s_mul_i32 s10, s8, s12
	s_waitcnt lgkmcnt(0)
	s_ashr_i32 s7, s6, 31
	s_lshl_b64 s[10:11], s[10:11], 2
	s_add_u32 s10, s18, s10
	s_addc_u32 s11, s19, s11
	s_lshl_b64 s[6:7], s[6:7], 2
	s_add_u32 s10, s10, s6
	s_addc_u32 s11, s11, s7
.LBB20_3:
	s_load_dwordx4 s[4:7], s[4:5], 0x0
	s_mul_i32 s12, s8, s17
	s_mul_hi_u32 s13, s8, s16
	s_add_i32 s17, s13, s12
	v_lshlrev_b32_e32 v54, 3, v0
	s_waitcnt lgkmcnt(0)
	s_ashr_i32 s13, s6, 31
	s_mov_b32 s12, s6
	s_mul_i32 s6, s9, s16
	s_add_i32 s17, s17, s6
	s_mul_i32 s16, s8, s16
	s_lshl_b64 s[16:17], s[16:17], 3
	s_add_u32 s6, s4, s16
	s_addc_u32 s16, s5, s17
	s_lshl_b64 s[4:5], s[12:13], 3
	s_add_u32 s4, s6, s4
	s_addc_u32 s5, s16, s5
	v_mov_b32_e32 v1, s5
	v_add_co_u32_e32 v2, vcc, s4, v54
	s_ashr_i32 s13, s7, 31
	s_mov_b32 s12, s7
	s_add_i32 s6, s7, s7
	v_addc_co_u32_e32 v3, vcc, 0, v1, vcc
	s_lshl_b64 s[12:13], s[12:13], 3
	v_add_u32_e32 v8, s6, v0
	v_mov_b32_e32 v1, s13
	v_add_co_u32_e32 v4, vcc, s12, v2
	v_ashrrev_i32_e32 v9, 31, v8
	v_addc_co_u32_e32 v5, vcc, v3, v1, vcc
	v_lshlrev_b64 v[6:7], 3, v[8:9]
	v_add_u32_e32 v10, s7, v8
	v_mov_b32_e32 v1, s5
	v_add_co_u32_e32 v6, vcc, s4, v6
	v_ashrrev_i32_e32 v11, 31, v10
	v_addc_co_u32_e32 v7, vcc, v1, v7, vcc
	v_lshlrev_b64 v[8:9], 3, v[10:11]
	v_add_u32_e32 v12, s7, v10
	v_add_co_u32_e32 v8, vcc, s4, v8
	v_ashrrev_i32_e32 v13, 31, v12
	v_addc_co_u32_e32 v9, vcc, v1, v9, vcc
	v_lshlrev_b64 v[10:11], 3, v[12:13]
	v_add_u32_e32 v14, s7, v12
	;; [unrolled: 5-line block ×16, first 2 shown]
	v_add_co_u32_e32 v38, vcc, s4, v38
	v_ashrrev_i32_e32 v43, 31, v42
	v_addc_co_u32_e32 v39, vcc, v1, v39, vcc
	v_lshlrev_b64 v[40:41], 3, v[42:43]
	v_add_co_u32_e32 v40, vcc, s4, v40
	global_load_dwordx2 v[44:45], v54, s[4:5]
	global_load_dwordx2 v[52:53], v[4:5], off
	global_load_dwordx2 v[48:49], v[6:7], off
	;; [unrolled: 1-line block ×16, first 2 shown]
	v_addc_co_u32_e32 v41, vcc, v1, v41, vcc
	global_load_dwordx2 v[80:81], v[36:37], off
	global_load_dwordx2 v[82:83], v[38:39], off
	global_load_dwordx2 v[84:85], v[40:41], off
	v_add_u32_e32 v42, s7, v42
	v_ashrrev_i32_e32 v43, 31, v42
	v_lshlrev_b64 v[42:43], 3, v[42:43]
	v_add_co_u32_e32 v42, vcc, s4, v42
	v_addc_co_u32_e32 v43, vcc, v1, v43, vcc
	global_load_dwordx2 v[86:87], v[42:43], off
	s_bitcmp0_b32 s22, 0
	s_mov_b64 s[6:7], -1
	s_waitcnt vmcnt(20)
	buffer_store_dword v45, off, s[0:3], 0 offset:4
	buffer_store_dword v44, off, s[0:3], 0
	s_waitcnt vmcnt(21)
	buffer_store_dword v53, off, s[0:3], 0 offset:12
	buffer_store_dword v52, off, s[0:3], 0 offset:8
	s_waitcnt vmcnt(22)
	buffer_store_dword v49, off, s[0:3], 0 offset:20
	buffer_store_dword v48, off, s[0:3], 0 offset:16
	;; [unrolled: 3-line block ×20, first 2 shown]
	s_cbranch_scc1 .LBB20_96
; %bb.4:
	v_cmp_eq_u32_e64 s[4:5], 0, v0
	s_and_saveexec_b64 s[6:7], s[4:5]
	s_cbranch_execz .LBB20_6
; %bb.5:
	v_mov_b32_e32 v1, 0
	ds_write_b32 v1, v1 offset:168
.LBB20_6:
	s_or_b64 exec, exec, s[6:7]
	v_mov_b32_e32 v1, 0
	v_lshl_add_u32 v48, v0, 3, v1
	s_waitcnt lgkmcnt(0)
	; wave barrier
	s_waitcnt lgkmcnt(0)
	buffer_load_dword v1, v48, s[0:3], 0 offen
	buffer_load_dword v44, v48, s[0:3], 0 offen offset:4
	s_waitcnt vmcnt(1)
	v_cmp_eq_f32_e32 vcc, 0, v1
	s_waitcnt vmcnt(0)
	v_cmp_eq_f32_e64 s[6:7], 0, v44
	s_and_b64 s[6:7], vcc, s[6:7]
	s_and_saveexec_b64 s[12:13], s[6:7]
	s_cbranch_execz .LBB20_10
; %bb.7:
	v_mov_b32_e32 v1, 0
	ds_read_b32 v45, v1 offset:168
	v_add_u32_e32 v44, 1, v0
	s_waitcnt lgkmcnt(0)
	v_readfirstlane_b32 s6, v45
	s_cmp_eq_u32 s6, 0
	s_cselect_b64 s[16:17], -1, 0
	v_cmp_gt_i32_e32 vcc, s6, v44
	s_or_b64 s[16:17], s[16:17], vcc
	s_and_b64 exec, exec, s[16:17]
	s_cbranch_execz .LBB20_10
; %bb.8:
	s_mov_b64 s[16:17], 0
	v_mov_b32_e32 v45, s6
.LBB20_9:                               ; =>This Inner Loop Header: Depth=1
	ds_cmpst_rtn_b32 v45, v1, v45, v44 offset:168
	s_waitcnt lgkmcnt(0)
	v_cmp_ne_u32_e32 vcc, 0, v45
	v_cmp_le_i32_e64 s[6:7], v45, v44
	s_and_b64 s[6:7], vcc, s[6:7]
	s_and_b64 s[6:7], exec, s[6:7]
	s_or_b64 s[16:17], s[6:7], s[16:17]
	s_andn2_b64 exec, exec, s[16:17]
	s_cbranch_execnz .LBB20_9
.LBB20_10:
	s_or_b64 exec, exec, s[12:13]
	v_mov_b32_e32 v44, 0
	s_waitcnt lgkmcnt(0)
	; wave barrier
	ds_read_b32 v1, v44 offset:168
	s_and_saveexec_b64 s[6:7], s[4:5]
	s_cbranch_execz .LBB20_12
; %bb.11:
	s_lshl_b64 s[12:13], s[8:9], 2
	s_add_u32 s12, s14, s12
	s_addc_u32 s13, s15, s13
	s_waitcnt lgkmcnt(0)
	global_store_dword v44, v1, s[12:13]
.LBB20_12:
	s_or_b64 exec, exec, s[6:7]
	s_waitcnt lgkmcnt(0)
	v_cmp_ne_u32_e32 vcc, 0, v1
	s_mov_b64 s[6:7], 0
	s_cbranch_vccnz .LBB20_96
; %bb.13:
	buffer_load_dword v49, v48, s[0:3], 0 offen offset:4
	buffer_load_dword v45, v48, s[0:3], 0 offen
	s_waitcnt vmcnt(1)
	v_cmp_gt_f32_e32 vcc, 0, v49
	v_cndmask_b32_e64 v1, v49, -v49, vcc
	s_waitcnt vmcnt(0)
	v_cmp_gt_f32_e32 vcc, 0, v45
	v_cndmask_b32_e64 v44, v45, -v45, vcc
	v_cmp_ngt_f32_e32 vcc, v44, v1
                                        ; implicit-def: $vgpr1
                                        ; implicit-def: $vgpr44
	s_and_saveexec_b64 s[6:7], vcc
	s_xor_b64 s[6:7], exec, s[6:7]
                                        ; implicit-def: $vgpr46_vgpr47
	s_cbranch_execz .LBB20_15
; %bb.14:
	v_div_scale_f32 v1, s[12:13], v49, v49, v45
	v_rcp_f32_e32 v44, v1
	v_div_scale_f32 v46, vcc, v45, v49, v45
	v_fma_f32 v47, -v1, v44, 1.0
	v_fmac_f32_e32 v44, v47, v44
	v_mul_f32_e32 v47, v46, v44
	v_fma_f32 v50, -v1, v47, v46
	v_fmac_f32_e32 v47, v50, v44
	v_fma_f32 v1, -v1, v47, v46
	v_div_fmas_f32 v1, v1, v44, v47
	v_div_fixup_f32 v44, v1, v49, v45
	v_fmac_f32_e32 v49, v45, v44
	v_div_scale_f32 v1, s[12:13], v49, v49, -1.0
	v_rcp_f32_e32 v45, v1
	v_fma_f32 v46, -v1, v45, 1.0
	v_fmac_f32_e32 v45, v46, v45
	v_div_scale_f32 v46, vcc, -1.0, v49, -1.0
	v_mul_f32_e32 v47, v46, v45
	v_fma_f32 v50, -v1, v47, v46
	v_fmac_f32_e32 v47, v50, v45
	v_fma_f32 v1, -v1, v47, v46
	v_div_fmas_f32 v1, v1, v45, v47
	v_div_fixup_f32 v1, v1, v49, -1.0
	v_mul_f32_e32 v44, v44, v1
	v_xor_b32_e32 v46, 0x80000000, v44
                                        ; implicit-def: $vgpr45
                                        ; implicit-def: $vgpr49
.LBB20_15:
	s_andn2_saveexec_b64 s[6:7], s[6:7]
	s_cbranch_execz .LBB20_17
; %bb.16:
	v_div_scale_f32 v1, s[12:13], v45, v45, v49
	v_rcp_f32_e32 v44, v1
	v_div_scale_f32 v46, vcc, v49, v45, v49
	v_fma_f32 v47, -v1, v44, 1.0
	v_fmac_f32_e32 v44, v47, v44
	v_mul_f32_e32 v47, v46, v44
	v_fma_f32 v50, -v1, v47, v46
	v_fmac_f32_e32 v47, v50, v44
	v_fma_f32 v1, -v1, v47, v46
	v_div_fmas_f32 v1, v1, v44, v47
	v_div_fixup_f32 v1, v1, v45, v49
	v_fmac_f32_e32 v45, v49, v1
	v_div_scale_f32 v44, s[12:13], v45, v45, 1.0
	v_rcp_f32_e32 v46, v44
	v_fma_f32 v47, -v44, v46, 1.0
	v_fmac_f32_e32 v46, v47, v46
	v_div_scale_f32 v47, vcc, 1.0, v45, 1.0
	v_mul_f32_e32 v49, v47, v46
	v_fma_f32 v50, -v44, v49, v47
	v_fmac_f32_e32 v49, v50, v46
	v_fma_f32 v44, -v44, v49, v47
	v_div_fmas_f32 v44, v44, v46, v49
	v_div_fixup_f32 v46, v44, v45, 1.0
	v_xor_b32_e32 v44, 0x80000000, v46
	v_mul_f32_e64 v1, v1, -v46
.LBB20_17:
	s_or_b64 exec, exec, s[6:7]
	buffer_store_dword v1, v48, s[0:3], 0 offen offset:4
	buffer_store_dword v46, v48, s[0:3], 0 offen
	buffer_load_dword v47, off, s[0:3], 0 offset:12
	s_nop 0
	buffer_load_dword v46, off, s[0:3], 0 offset:8
	v_xor_b32_e32 v45, 0x80000000, v1
	v_add_u32_e32 v1, 0xb0, v54
	s_waitcnt vmcnt(0)
	ds_write2_b64 v54, v[44:45], v[46:47] offset1:22
	s_waitcnt lgkmcnt(0)
	; wave barrier
	s_waitcnt lgkmcnt(0)
	s_and_saveexec_b64 s[6:7], s[4:5]
	s_cbranch_execz .LBB20_19
; %bb.18:
	buffer_load_dword v49, v48, s[0:3], 0 offen offset:4
	buffer_load_dword v50, v48, s[0:3], 0 offen
	ds_read_b64 v[44:45], v1
	v_mov_b32_e32 v46, 0
	ds_read_b64 v[46:47], v46 offset:8
	s_waitcnt vmcnt(1) lgkmcnt(1)
	v_mul_f32_e32 v51, v45, v49
	v_mul_f32_e32 v49, v44, v49
	s_waitcnt vmcnt(0)
	v_fmac_f32_e32 v49, v45, v50
	v_fma_f32 v44, v44, v50, -v51
	v_add_f32_e32 v45, 0, v49
	v_add_f32_e32 v44, 0, v44
	s_waitcnt lgkmcnt(0)
	v_mul_f32_e32 v49, v45, v47
	v_mul_f32_e32 v47, v44, v47
	v_fma_f32 v44, v44, v46, -v49
	v_fmac_f32_e32 v47, v45, v46
	buffer_store_dword v44, off, s[0:3], 0 offset:8
	buffer_store_dword v47, off, s[0:3], 0 offset:12
.LBB20_19:
	s_or_b64 exec, exec, s[6:7]
	s_waitcnt lgkmcnt(0)
	; wave barrier
	buffer_load_dword v44, off, s[0:3], 0 offset:16
	buffer_load_dword v45, off, s[0:3], 0 offset:20
	v_cmp_gt_u32_e32 vcc, 2, v0
	s_waitcnt vmcnt(0)
	ds_write_b64 v1, v[44:45]
	s_waitcnt lgkmcnt(0)
	; wave barrier
	s_waitcnt lgkmcnt(0)
	s_and_saveexec_b64 s[6:7], vcc
	s_cbranch_execz .LBB20_23
; %bb.20:
	buffer_load_dword v46, v48, s[0:3], 0 offen offset:4
	buffer_load_dword v47, v48, s[0:3], 0 offen
	ds_read_b64 v[44:45], v1
	s_waitcnt vmcnt(1) lgkmcnt(0)
	v_mul_f32_e32 v48, v45, v46
	v_mul_f32_e32 v46, v44, v46
	s_waitcnt vmcnt(0)
	v_fma_f32 v44, v44, v47, -v48
	v_fmac_f32_e32 v46, v45, v47
	v_add_f32_e32 v45, 0, v44
	v_add_f32_e32 v44, 0, v46
	s_and_saveexec_b64 s[12:13], s[4:5]
	s_cbranch_execz .LBB20_22
; %bb.21:
	buffer_load_dword v48, off, s[0:3], 0 offset:12
	buffer_load_dword v49, off, s[0:3], 0 offset:8
	v_mov_b32_e32 v46, 0
	ds_read_b64 v[46:47], v46 offset:184
	s_waitcnt vmcnt(1) lgkmcnt(0)
	v_mul_f32_e32 v50, v46, v48
	v_mul_f32_e32 v48, v47, v48
	s_waitcnt vmcnt(0)
	v_fmac_f32_e32 v50, v47, v49
	v_fma_f32 v46, v46, v49, -v48
	v_add_f32_e32 v44, v44, v50
	v_add_f32_e32 v45, v45, v46
.LBB20_22:
	s_or_b64 exec, exec, s[12:13]
	v_mov_b32_e32 v46, 0
	ds_read_b64 v[46:47], v46 offset:16
	s_waitcnt lgkmcnt(0)
	v_mul_f32_e32 v48, v44, v47
	v_mul_f32_e32 v47, v45, v47
	v_fma_f32 v45, v45, v46, -v48
	v_fmac_f32_e32 v47, v44, v46
	buffer_store_dword v45, off, s[0:3], 0 offset:16
	buffer_store_dword v47, off, s[0:3], 0 offset:20
.LBB20_23:
	s_or_b64 exec, exec, s[6:7]
	s_waitcnt lgkmcnt(0)
	; wave barrier
	buffer_load_dword v44, off, s[0:3], 0 offset:24
	buffer_load_dword v45, off, s[0:3], 0 offset:28
	v_cmp_gt_u32_e32 vcc, 3, v0
	s_waitcnt vmcnt(0)
	ds_write_b64 v1, v[44:45]
	v_add_u32_e32 v44, -1, v0
	s_waitcnt lgkmcnt(0)
	; wave barrier
	s_waitcnt lgkmcnt(0)
	s_and_saveexec_b64 s[4:5], vcc
	s_cbranch_execz .LBB20_27
; %bb.24:
	v_add_u32_e32 v46, -1, v0
	v_add_u32_e32 v47, 0xb0, v54
	v_add_u32_e32 v48, 0, v54
	s_mov_b64 s[6:7], 0
	v_mov_b32_e32 v45, 0
	v_mov_b32_e32 v49, 0
.LBB20_25:                              ; =>This Inner Loop Header: Depth=1
	buffer_load_dword v52, v48, s[0:3], 0 offen offset:4
	buffer_load_dword v53, v48, s[0:3], 0 offen
	ds_read_b64 v[50:51], v47
	v_add_u32_e32 v46, 1, v46
	v_cmp_lt_u32_e32 vcc, 1, v46
	v_add_u32_e32 v47, 8, v47
	v_add_u32_e32 v48, 8, v48
	s_or_b64 s[6:7], vcc, s[6:7]
	s_waitcnt vmcnt(1) lgkmcnt(0)
	v_mul_f32_e32 v55, v51, v52
	v_mul_f32_e32 v52, v50, v52
	s_waitcnt vmcnt(0)
	v_fma_f32 v50, v50, v53, -v55
	v_fmac_f32_e32 v52, v51, v53
	v_add_f32_e32 v49, v49, v50
	v_add_f32_e32 v45, v45, v52
	s_andn2_b64 exec, exec, s[6:7]
	s_cbranch_execnz .LBB20_25
; %bb.26:
	s_or_b64 exec, exec, s[6:7]
	v_mov_b32_e32 v46, 0
	ds_read_b64 v[46:47], v46 offset:24
	s_waitcnt lgkmcnt(0)
	v_mul_f32_e32 v48, v45, v47
	v_mul_f32_e32 v47, v49, v47
	v_fma_f32 v48, v49, v46, -v48
	v_fmac_f32_e32 v47, v45, v46
	buffer_store_dword v48, off, s[0:3], 0 offset:24
	buffer_store_dword v47, off, s[0:3], 0 offset:28
.LBB20_27:
	s_or_b64 exec, exec, s[4:5]
	s_waitcnt lgkmcnt(0)
	; wave barrier
	buffer_load_dword v46, off, s[0:3], 0 offset:32
	buffer_load_dword v47, off, s[0:3], 0 offset:36
	v_cmp_gt_u32_e32 vcc, 4, v0
	s_waitcnt vmcnt(0)
	ds_write_b64 v1, v[46:47]
	s_waitcnt lgkmcnt(0)
	; wave barrier
	s_waitcnt lgkmcnt(0)
	s_and_saveexec_b64 s[4:5], vcc
	s_cbranch_execz .LBB20_31
; %bb.28:
	v_add_u32_e32 v46, -1, v0
	v_add_u32_e32 v47, 0xb0, v54
	v_add_u32_e32 v48, 0, v54
	s_mov_b64 s[6:7], 0
	v_mov_b32_e32 v45, 0
	v_mov_b32_e32 v49, 0
.LBB20_29:                              ; =>This Inner Loop Header: Depth=1
	buffer_load_dword v52, v48, s[0:3], 0 offen offset:4
	buffer_load_dword v53, v48, s[0:3], 0 offen
	ds_read_b64 v[50:51], v47
	v_add_u32_e32 v46, 1, v46
	v_cmp_lt_u32_e32 vcc, 2, v46
	v_add_u32_e32 v47, 8, v47
	v_add_u32_e32 v48, 8, v48
	s_or_b64 s[6:7], vcc, s[6:7]
	s_waitcnt vmcnt(1) lgkmcnt(0)
	v_mul_f32_e32 v55, v51, v52
	v_mul_f32_e32 v52, v50, v52
	s_waitcnt vmcnt(0)
	v_fma_f32 v50, v50, v53, -v55
	v_fmac_f32_e32 v52, v51, v53
	v_add_f32_e32 v49, v49, v50
	v_add_f32_e32 v45, v45, v52
	s_andn2_b64 exec, exec, s[6:7]
	s_cbranch_execnz .LBB20_29
; %bb.30:
	s_or_b64 exec, exec, s[6:7]
	v_mov_b32_e32 v46, 0
	ds_read_b64 v[46:47], v46 offset:32
	s_waitcnt lgkmcnt(0)
	v_mul_f32_e32 v48, v45, v47
	v_mul_f32_e32 v47, v49, v47
	v_fma_f32 v48, v49, v46, -v48
	v_fmac_f32_e32 v47, v45, v46
	buffer_store_dword v48, off, s[0:3], 0 offset:32
	buffer_store_dword v47, off, s[0:3], 0 offset:36
.LBB20_31:
	s_or_b64 exec, exec, s[4:5]
	s_waitcnt lgkmcnt(0)
	; wave barrier
	buffer_load_dword v46, off, s[0:3], 0 offset:40
	buffer_load_dword v47, off, s[0:3], 0 offset:44
	v_cmp_gt_u32_e32 vcc, 5, v0
	s_waitcnt vmcnt(0)
	ds_write_b64 v1, v[46:47]
	;; [unrolled: 51-line block ×16, first 2 shown]
	s_waitcnt lgkmcnt(0)
	; wave barrier
	s_waitcnt lgkmcnt(0)
	s_and_saveexec_b64 s[4:5], vcc
	s_cbranch_execz .LBB20_91
; %bb.88:
	v_add_u32_e32 v46, -1, v0
	v_add_u32_e32 v47, 0xb0, v54
	v_add_u32_e32 v48, 0, v54
	s_mov_b64 s[6:7], 0
	v_mov_b32_e32 v45, 0
	v_mov_b32_e32 v49, 0
.LBB20_89:                              ; =>This Inner Loop Header: Depth=1
	buffer_load_dword v52, v48, s[0:3], 0 offen offset:4
	buffer_load_dword v53, v48, s[0:3], 0 offen
	ds_read_b64 v[50:51], v47
	v_add_u32_e32 v46, 1, v46
	v_cmp_lt_u32_e32 vcc, 17, v46
	v_add_u32_e32 v47, 8, v47
	v_add_u32_e32 v48, 8, v48
	s_or_b64 s[6:7], vcc, s[6:7]
	s_waitcnt vmcnt(1) lgkmcnt(0)
	v_mul_f32_e32 v55, v51, v52
	v_mul_f32_e32 v52, v50, v52
	s_waitcnt vmcnt(0)
	v_fma_f32 v50, v50, v53, -v55
	v_fmac_f32_e32 v52, v51, v53
	v_add_f32_e32 v49, v49, v50
	v_add_f32_e32 v45, v45, v52
	s_andn2_b64 exec, exec, s[6:7]
	s_cbranch_execnz .LBB20_89
; %bb.90:
	s_or_b64 exec, exec, s[6:7]
	v_mov_b32_e32 v46, 0
	ds_read_b64 v[46:47], v46 offset:152
	s_waitcnt lgkmcnt(0)
	v_mul_f32_e32 v48, v45, v47
	v_mul_f32_e32 v47, v49, v47
	v_fma_f32 v48, v49, v46, -v48
	v_fmac_f32_e32 v47, v45, v46
	buffer_store_dword v48, off, s[0:3], 0 offset:152
	buffer_store_dword v47, off, s[0:3], 0 offset:156
.LBB20_91:
	s_or_b64 exec, exec, s[4:5]
	s_waitcnt lgkmcnt(0)
	; wave barrier
	buffer_load_dword v46, off, s[0:3], 0 offset:160
	buffer_load_dword v47, off, s[0:3], 0 offset:164
	v_cmp_ne_u32_e32 vcc, 20, v0
	s_waitcnt vmcnt(0)
	ds_write_b64 v1, v[46:47]
	s_waitcnt lgkmcnt(0)
	; wave barrier
	s_waitcnt lgkmcnt(0)
	s_and_saveexec_b64 s[4:5], vcc
	s_cbranch_execz .LBB20_95
; %bb.92:
	v_add_u32_e32 v45, 0xb0, v54
	v_add_u32_e32 v46, 0, v54
	s_mov_b64 s[6:7], 0
	v_mov_b32_e32 v1, 0
	v_mov_b32_e32 v47, 0
.LBB20_93:                              ; =>This Inner Loop Header: Depth=1
	buffer_load_dword v50, v46, s[0:3], 0 offen offset:4
	buffer_load_dword v51, v46, s[0:3], 0 offen
	ds_read_b64 v[48:49], v45
	v_add_u32_e32 v44, 1, v44
	v_cmp_lt_u32_e32 vcc, 18, v44
	v_add_u32_e32 v45, 8, v45
	v_add_u32_e32 v46, 8, v46
	s_or_b64 s[6:7], vcc, s[6:7]
	s_waitcnt vmcnt(1) lgkmcnt(0)
	v_mul_f32_e32 v52, v49, v50
	v_mul_f32_e32 v50, v48, v50
	s_waitcnt vmcnt(0)
	v_fma_f32 v48, v48, v51, -v52
	v_fmac_f32_e32 v50, v49, v51
	v_add_f32_e32 v47, v47, v48
	v_add_f32_e32 v1, v1, v50
	s_andn2_b64 exec, exec, s[6:7]
	s_cbranch_execnz .LBB20_93
; %bb.94:
	s_or_b64 exec, exec, s[6:7]
	v_mov_b32_e32 v44, 0
	ds_read_b64 v[44:45], v44 offset:160
	s_waitcnt lgkmcnt(0)
	v_mul_f32_e32 v46, v1, v45
	v_mul_f32_e32 v45, v47, v45
	v_fma_f32 v46, v47, v44, -v46
	v_fmac_f32_e32 v45, v1, v44
	buffer_store_dword v46, off, s[0:3], 0 offset:160
	buffer_store_dword v45, off, s[0:3], 0 offset:164
.LBB20_95:
	s_or_b64 exec, exec, s[4:5]
	s_mov_b64 s[6:7], -1
	s_waitcnt lgkmcnt(0)
	; wave barrier
.LBB20_96:
	s_and_b64 vcc, exec, s[6:7]
	s_cbranch_vccz .LBB20_98
; %bb.97:
	s_lshl_b64 s[4:5], s[8:9], 2
	s_add_u32 s4, s14, s4
	s_addc_u32 s5, s15, s5
	v_mov_b32_e32 v1, 0
	global_load_dword v1, v1, s[4:5]
	s_waitcnt vmcnt(0)
	v_cmp_ne_u32_e32 vcc, 0, v1
	s_cbranch_vccz .LBB20_99
.LBB20_98:
	s_endpgm
.LBB20_99:
	v_mov_b32_e32 v1, 0xb0
	v_lshl_add_u32 v1, v0, 3, v1
	v_cmp_eq_u32_e32 vcc, 20, v0
	s_and_saveexec_b64 s[4:5], vcc
	s_cbranch_execz .LBB20_101
; %bb.100:
	buffer_load_dword v44, off, s[0:3], 0 offset:152
	buffer_load_dword v45, off, s[0:3], 0 offset:156
	v_mov_b32_e32 v46, 0
	buffer_store_dword v46, off, s[0:3], 0 offset:152
	buffer_store_dword v46, off, s[0:3], 0 offset:156
	s_waitcnt vmcnt(2)
	ds_write_b64 v1, v[44:45]
.LBB20_101:
	s_or_b64 exec, exec, s[4:5]
	s_waitcnt lgkmcnt(0)
	; wave barrier
	s_waitcnt lgkmcnt(0)
	buffer_load_dword v47, off, s[0:3], 0 offset:164
	buffer_load_dword v46, off, s[0:3], 0 offset:160
	;; [unrolled: 1-line block ×4, first 2 shown]
	v_mov_b32_e32 v44, 0
	ds_read_b64 v[50:51], v44 offset:336
	v_cmp_lt_u32_e32 vcc, 18, v0
	s_waitcnt vmcnt(3)
	v_mov_b32_e32 v52, v47
	s_waitcnt lgkmcnt(0)
	v_pk_mul_f32 v[52:53], v[50:51], v[52:53] op_sel_hi:[1,0]
	s_waitcnt vmcnt(2)
	v_pk_fma_f32 v[54:55], v[50:51], v[46:47], v[52:53] op_sel:[0,0,1] op_sel_hi:[1,1,0] neg_lo:[0,0,1] neg_hi:[0,0,1]
	v_pk_fma_f32 v[46:47], v[50:51], v[46:47], v[52:53] op_sel:[0,0,1] op_sel_hi:[1,0,0]
	v_mov_b32_e32 v55, v47
	v_pk_add_f32 v[46:47], v[54:55], 0 op_sel_hi:[1,0]
	s_waitcnt vmcnt(0)
	v_pk_add_f32 v[46:47], v[48:49], v[46:47] neg_lo:[0,1] neg_hi:[0,1]
	buffer_store_dword v46, off, s[0:3], 0 offset:152
	buffer_store_dword v47, off, s[0:3], 0 offset:156
	s_and_saveexec_b64 s[4:5], vcc
	s_cbranch_execz .LBB20_103
; %bb.102:
	buffer_load_dword v46, off, s[0:3], 0 offset:144
	buffer_load_dword v47, off, s[0:3], 0 offset:148
	s_waitcnt vmcnt(0)
	ds_write_b64 v1, v[46:47]
	buffer_store_dword v44, off, s[0:3], 0 offset:144
	buffer_store_dword v44, off, s[0:3], 0 offset:148
.LBB20_103:
	s_or_b64 exec, exec, s[4:5]
	s_waitcnt lgkmcnt(0)
	; wave barrier
	s_waitcnt lgkmcnt(0)
	buffer_load_dword v49, off, s[0:3], 0 offset:156
	buffer_load_dword v51, off, s[0:3], 0 offset:164
	buffer_load_dword v48, off, s[0:3], 0 offset:152
	buffer_load_dword v50, off, s[0:3], 0 offset:160
	buffer_load_dword v52, off, s[0:3], 0 offset:144
	buffer_load_dword v53, off, s[0:3], 0 offset:148
	ds_read2_b64 v[44:47], v44 offset0:41 offset1:42
	v_cmp_lt_u32_e32 vcc, 17, v0
	s_waitcnt vmcnt(5)
	v_mov_b32_e32 v54, v49
	s_waitcnt vmcnt(4)
	v_mov_b32_e32 v56, v51
	s_waitcnt lgkmcnt(0)
	v_pk_mul_f32 v[54:55], v[44:45], v[54:55] op_sel_hi:[1,0]
	v_pk_mul_f32 v[56:57], v[46:47], v[56:57] op_sel_hi:[1,0]
	s_waitcnt vmcnt(3)
	v_pk_fma_f32 v[58:59], v[44:45], v[48:49], v[54:55] op_sel:[0,0,1] op_sel_hi:[1,1,0] neg_lo:[0,0,1] neg_hi:[0,0,1]
	v_pk_fma_f32 v[44:45], v[44:45], v[48:49], v[54:55] op_sel:[0,0,1] op_sel_hi:[1,0,0]
	s_waitcnt vmcnt(2)
	v_pk_fma_f32 v[48:49], v[46:47], v[50:51], v[56:57] op_sel:[0,0,1] op_sel_hi:[1,1,0] neg_lo:[0,0,1] neg_hi:[0,0,1]
	v_pk_fma_f32 v[46:47], v[46:47], v[50:51], v[56:57] op_sel:[0,0,1] op_sel_hi:[1,0,0]
	v_mov_b32_e32 v59, v45
	v_mov_b32_e32 v49, v47
	v_pk_add_f32 v[44:45], v[58:59], 0 op_sel_hi:[1,0]
	v_pk_add_f32 v[44:45], v[44:45], v[48:49]
	s_waitcnt vmcnt(0)
	v_pk_add_f32 v[44:45], v[52:53], v[44:45] neg_lo:[0,1] neg_hi:[0,1]
	buffer_store_dword v44, off, s[0:3], 0 offset:144
	buffer_store_dword v45, off, s[0:3], 0 offset:148
	s_and_saveexec_b64 s[4:5], vcc
	s_cbranch_execz .LBB20_105
; %bb.104:
	buffer_load_dword v44, off, s[0:3], 0 offset:136
	buffer_load_dword v45, off, s[0:3], 0 offset:140
	v_mov_b32_e32 v46, 0
	buffer_store_dword v46, off, s[0:3], 0 offset:136
	buffer_store_dword v46, off, s[0:3], 0 offset:140
	s_waitcnt vmcnt(2)
	ds_write_b64 v1, v[44:45]
.LBB20_105:
	s_or_b64 exec, exec, s[4:5]
	s_waitcnt lgkmcnt(0)
	; wave barrier
	s_waitcnt lgkmcnt(0)
	buffer_load_dword v51, off, s[0:3], 0 offset:148
	buffer_load_dword v53, off, s[0:3], 0 offset:156
	;; [unrolled: 1-line block ×8, first 2 shown]
	v_mov_b32_e32 v44, 0
	ds_read_b128 v[46:49], v44 offset:320
	ds_read_b64 v[58:59], v44 offset:336
	v_cmp_lt_u32_e32 vcc, 16, v0
	s_waitcnt vmcnt(7)
	v_mov_b32_e32 v60, v51
	s_waitcnt vmcnt(6)
	v_mov_b32_e32 v62, v53
	s_waitcnt lgkmcnt(1)
	v_pk_mul_f32 v[60:61], v[46:47], v[60:61] op_sel_hi:[1,0]
	s_waitcnt vmcnt(5)
	v_mov_b32_e32 v64, v55
	v_pk_mul_f32 v[62:63], v[48:49], v[62:63] op_sel_hi:[1,0]
	s_waitcnt vmcnt(4)
	v_pk_fma_f32 v[66:67], v[46:47], v[50:51], v[60:61] op_sel:[0,0,1] op_sel_hi:[1,1,0] neg_lo:[0,0,1] neg_hi:[0,0,1]
	v_pk_fma_f32 v[46:47], v[46:47], v[50:51], v[60:61] op_sel:[0,0,1] op_sel_hi:[1,0,0]
	s_waitcnt lgkmcnt(0)
	v_pk_mul_f32 v[64:65], v[58:59], v[64:65] op_sel_hi:[1,0]
	s_waitcnt vmcnt(3)
	v_pk_fma_f32 v[50:51], v[48:49], v[52:53], v[62:63] op_sel:[0,0,1] op_sel_hi:[1,1,0] neg_lo:[0,0,1] neg_hi:[0,0,1]
	v_pk_fma_f32 v[48:49], v[48:49], v[52:53], v[62:63] op_sel:[0,0,1] op_sel_hi:[1,0,0]
	v_mov_b32_e32 v67, v47
	s_waitcnt vmcnt(2)
	v_pk_fma_f32 v[52:53], v[58:59], v[54:55], v[64:65] op_sel:[0,0,1] op_sel_hi:[1,1,0] neg_lo:[0,0,1] neg_hi:[0,0,1]
	v_pk_fma_f32 v[54:55], v[58:59], v[54:55], v[64:65] op_sel:[0,0,1] op_sel_hi:[1,0,0]
	v_mov_b32_e32 v51, v49
	v_pk_add_f32 v[46:47], v[66:67], 0 op_sel_hi:[1,0]
	v_mov_b32_e32 v53, v55
	v_pk_add_f32 v[46:47], v[46:47], v[50:51]
	v_pk_add_f32 v[46:47], v[46:47], v[52:53]
	s_waitcnt vmcnt(0)
	v_pk_add_f32 v[46:47], v[56:57], v[46:47] neg_lo:[0,1] neg_hi:[0,1]
	buffer_store_dword v46, off, s[0:3], 0 offset:136
	buffer_store_dword v47, off, s[0:3], 0 offset:140
	s_and_saveexec_b64 s[4:5], vcc
	s_cbranch_execz .LBB20_107
; %bb.106:
	buffer_load_dword v46, off, s[0:3], 0 offset:128
	buffer_load_dword v47, off, s[0:3], 0 offset:132
	s_waitcnt vmcnt(0)
	ds_write_b64 v1, v[46:47]
	buffer_store_dword v44, off, s[0:3], 0 offset:128
	buffer_store_dword v44, off, s[0:3], 0 offset:132
.LBB20_107:
	s_or_b64 exec, exec, s[4:5]
	s_waitcnt lgkmcnt(0)
	; wave barrier
	s_waitcnt lgkmcnt(0)
	buffer_load_dword v55, off, s[0:3], 0 offset:140
	buffer_load_dword v57, off, s[0:3], 0 offset:148
	;; [unrolled: 1-line block ×10, first 2 shown]
	ds_read2_b64 v[46:49], v44 offset0:39 offset1:40
	ds_read2_b64 v[50:53], v44 offset0:41 offset1:42
	v_cmp_lt_u32_e32 vcc, 15, v0
	s_waitcnt vmcnt(9)
	v_mov_b32_e32 v44, v55
	s_waitcnt vmcnt(8)
	v_mov_b32_e32 v64, v57
	s_waitcnt lgkmcnt(1)
	v_pk_mul_f32 v[44:45], v[46:47], v[44:45] op_sel_hi:[1,0]
	s_waitcnt vmcnt(7)
	v_mov_b32_e32 v66, v59
	v_pk_mul_f32 v[64:65], v[48:49], v[64:65] op_sel_hi:[1,0]
	s_waitcnt vmcnt(5)
	v_pk_fma_f32 v[70:71], v[46:47], v[54:55], v[44:45] op_sel:[0,0,1] op_sel_hi:[1,1,0] neg_lo:[0,0,1] neg_hi:[0,0,1]
	v_pk_fma_f32 v[44:45], v[46:47], v[54:55], v[44:45] op_sel:[0,0,1] op_sel_hi:[1,0,0]
	v_mov_b32_e32 v68, v61
	s_waitcnt lgkmcnt(0)
	v_pk_mul_f32 v[66:67], v[50:51], v[66:67] op_sel_hi:[1,0]
	s_waitcnt vmcnt(4)
	v_pk_fma_f32 v[46:47], v[48:49], v[56:57], v[64:65] op_sel:[0,0,1] op_sel_hi:[1,1,0] neg_lo:[0,0,1] neg_hi:[0,0,1]
	v_pk_fma_f32 v[48:49], v[48:49], v[56:57], v[64:65] op_sel:[0,0,1] op_sel_hi:[1,0,0]
	v_mov_b32_e32 v71, v45
	v_pk_mul_f32 v[68:69], v[52:53], v[68:69] op_sel_hi:[1,0]
	s_waitcnt vmcnt(3)
	v_pk_fma_f32 v[54:55], v[50:51], v[58:59], v[66:67] op_sel:[0,0,1] op_sel_hi:[1,1,0] neg_lo:[0,0,1] neg_hi:[0,0,1]
	v_pk_fma_f32 v[50:51], v[50:51], v[58:59], v[66:67] op_sel:[0,0,1] op_sel_hi:[1,0,0]
	v_mov_b32_e32 v47, v49
	v_pk_add_f32 v[44:45], v[70:71], 0 op_sel_hi:[1,0]
	s_waitcnt vmcnt(2)
	v_pk_fma_f32 v[56:57], v[52:53], v[60:61], v[68:69] op_sel:[0,0,1] op_sel_hi:[1,1,0] neg_lo:[0,0,1] neg_hi:[0,0,1]
	v_pk_fma_f32 v[52:53], v[52:53], v[60:61], v[68:69] op_sel:[0,0,1] op_sel_hi:[1,0,0]
	v_mov_b32_e32 v55, v51
	v_pk_add_f32 v[44:45], v[44:45], v[46:47]
	v_mov_b32_e32 v57, v53
	v_pk_add_f32 v[44:45], v[44:45], v[54:55]
	v_pk_add_f32 v[44:45], v[44:45], v[56:57]
	s_waitcnt vmcnt(0)
	v_pk_add_f32 v[44:45], v[62:63], v[44:45] neg_lo:[0,1] neg_hi:[0,1]
	buffer_store_dword v44, off, s[0:3], 0 offset:128
	buffer_store_dword v45, off, s[0:3], 0 offset:132
	s_and_saveexec_b64 s[4:5], vcc
	s_cbranch_execz .LBB20_109
; %bb.108:
	buffer_load_dword v44, off, s[0:3], 0 offset:120
	buffer_load_dword v45, off, s[0:3], 0 offset:124
	v_mov_b32_e32 v46, 0
	buffer_store_dword v46, off, s[0:3], 0 offset:120
	buffer_store_dword v46, off, s[0:3], 0 offset:124
	s_waitcnt vmcnt(2)
	ds_write_b64 v1, v[44:45]
.LBB20_109:
	s_or_b64 exec, exec, s[4:5]
	s_waitcnt lgkmcnt(0)
	; wave barrier
	s_waitcnt lgkmcnt(0)
	buffer_load_dword v55, off, s[0:3], 0 offset:132
	buffer_load_dword v57, off, s[0:3], 0 offset:140
	;; [unrolled: 1-line block ×12, first 2 shown]
	v_mov_b32_e32 v44, 0
	ds_read_b128 v[46:49], v44 offset:304
	ds_read_b128 v[50:53], v44 offset:320
	ds_read_b64 v[66:67], v44 offset:336
	v_cmp_lt_u32_e32 vcc, 14, v0
	s_waitcnt vmcnt(11)
	v_mov_b32_e32 v68, v55
	s_waitcnt vmcnt(10)
	v_mov_b32_e32 v70, v57
	s_waitcnt lgkmcnt(2)
	v_pk_mul_f32 v[68:69], v[46:47], v[68:69] op_sel_hi:[1,0]
	s_waitcnt vmcnt(9)
	v_mov_b32_e32 v72, v59
	v_pk_mul_f32 v[70:71], v[48:49], v[70:71] op_sel_hi:[1,0]
	s_waitcnt vmcnt(6)
	v_pk_fma_f32 v[78:79], v[46:47], v[54:55], v[68:69] op_sel:[0,0,1] op_sel_hi:[1,1,0] neg_lo:[0,0,1] neg_hi:[0,0,1]
	v_pk_fma_f32 v[46:47], v[46:47], v[54:55], v[68:69] op_sel:[0,0,1] op_sel_hi:[1,0,0]
	v_mov_b32_e32 v74, v61
	s_waitcnt lgkmcnt(1)
	v_pk_mul_f32 v[72:73], v[50:51], v[72:73] op_sel_hi:[1,0]
	s_waitcnt vmcnt(5)
	v_pk_fma_f32 v[54:55], v[48:49], v[56:57], v[70:71] op_sel:[0,0,1] op_sel_hi:[1,1,0] neg_lo:[0,0,1] neg_hi:[0,0,1]
	v_pk_fma_f32 v[48:49], v[48:49], v[56:57], v[70:71] op_sel:[0,0,1] op_sel_hi:[1,0,0]
	v_mov_b32_e32 v79, v47
	v_mov_b32_e32 v76, v63
	v_pk_mul_f32 v[74:75], v[52:53], v[74:75] op_sel_hi:[1,0]
	s_waitcnt vmcnt(4)
	v_pk_fma_f32 v[56:57], v[50:51], v[58:59], v[72:73] op_sel:[0,0,1] op_sel_hi:[1,1,0] neg_lo:[0,0,1] neg_hi:[0,0,1]
	v_pk_fma_f32 v[50:51], v[50:51], v[58:59], v[72:73] op_sel:[0,0,1] op_sel_hi:[1,0,0]
	v_mov_b32_e32 v55, v49
	v_pk_add_f32 v[46:47], v[78:79], 0 op_sel_hi:[1,0]
	s_waitcnt lgkmcnt(0)
	v_pk_mul_f32 v[76:77], v[66:67], v[76:77] op_sel_hi:[1,0]
	s_waitcnt vmcnt(3)
	v_pk_fma_f32 v[58:59], v[52:53], v[60:61], v[74:75] op_sel:[0,0,1] op_sel_hi:[1,1,0] neg_lo:[0,0,1] neg_hi:[0,0,1]
	v_pk_fma_f32 v[52:53], v[52:53], v[60:61], v[74:75] op_sel:[0,0,1] op_sel_hi:[1,0,0]
	v_mov_b32_e32 v57, v51
	v_pk_add_f32 v[46:47], v[46:47], v[54:55]
	s_waitcnt vmcnt(2)
	v_pk_fma_f32 v[60:61], v[66:67], v[62:63], v[76:77] op_sel:[0,0,1] op_sel_hi:[1,1,0] neg_lo:[0,0,1] neg_hi:[0,0,1]
	v_pk_fma_f32 v[62:63], v[66:67], v[62:63], v[76:77] op_sel:[0,0,1] op_sel_hi:[1,0,0]
	v_mov_b32_e32 v59, v53
	v_pk_add_f32 v[46:47], v[46:47], v[56:57]
	v_mov_b32_e32 v61, v63
	v_pk_add_f32 v[46:47], v[46:47], v[58:59]
	v_pk_add_f32 v[46:47], v[46:47], v[60:61]
	s_waitcnt vmcnt(0)
	v_pk_add_f32 v[46:47], v[64:65], v[46:47] neg_lo:[0,1] neg_hi:[0,1]
	buffer_store_dword v46, off, s[0:3], 0 offset:120
	buffer_store_dword v47, off, s[0:3], 0 offset:124
	s_and_saveexec_b64 s[4:5], vcc
	s_cbranch_execz .LBB20_111
; %bb.110:
	buffer_load_dword v46, off, s[0:3], 0 offset:112
	buffer_load_dword v47, off, s[0:3], 0 offset:116
	s_waitcnt vmcnt(0)
	ds_write_b64 v1, v[46:47]
	buffer_store_dword v44, off, s[0:3], 0 offset:112
	buffer_store_dword v44, off, s[0:3], 0 offset:116
.LBB20_111:
	s_or_b64 exec, exec, s[4:5]
	s_waitcnt lgkmcnt(0)
	; wave barrier
	s_waitcnt lgkmcnt(0)
	buffer_load_dword v59, off, s[0:3], 0 offset:124
	buffer_load_dword v61, off, s[0:3], 0 offset:132
	;; [unrolled: 1-line block ×14, first 2 shown]
	ds_read2_b64 v[46:49], v44 offset0:37 offset1:38
	ds_read2_b64 v[50:53], v44 offset0:39 offset1:40
	;; [unrolled: 1-line block ×3, first 2 shown]
	v_cmp_lt_u32_e32 vcc, 13, v0
	s_waitcnt vmcnt(13)
	v_mov_b32_e32 v44, v59
	s_waitcnt vmcnt(12)
	v_mov_b32_e32 v72, v61
	s_waitcnt lgkmcnt(2)
	v_pk_mul_f32 v[44:45], v[46:47], v[44:45] op_sel_hi:[1,0]
	s_waitcnt vmcnt(11)
	v_mov_b32_e32 v74, v63
	v_pk_mul_f32 v[72:73], v[48:49], v[72:73] op_sel_hi:[1,0]
	s_waitcnt vmcnt(10)
	v_mov_b32_e32 v76, v65
	s_waitcnt vmcnt(7)
	v_pk_fma_f32 v[82:83], v[46:47], v[58:59], v[44:45] op_sel:[0,0,1] op_sel_hi:[1,1,0] neg_lo:[0,0,1] neg_hi:[0,0,1]
	v_pk_fma_f32 v[44:45], v[46:47], v[58:59], v[44:45] op_sel:[0,0,1] op_sel_hi:[1,0,0]
	s_waitcnt lgkmcnt(1)
	v_pk_mul_f32 v[74:75], v[50:51], v[74:75] op_sel_hi:[1,0]
	s_waitcnt vmcnt(6)
	v_pk_fma_f32 v[46:47], v[48:49], v[60:61], v[72:73] op_sel:[0,0,1] op_sel_hi:[1,1,0] neg_lo:[0,0,1] neg_hi:[0,0,1]
	v_pk_fma_f32 v[48:49], v[48:49], v[60:61], v[72:73] op_sel:[0,0,1] op_sel_hi:[1,0,0]
	v_mov_b32_e32 v83, v45
	v_mov_b32_e32 v78, v67
	v_pk_mul_f32 v[76:77], v[52:53], v[76:77] op_sel_hi:[1,0]
	s_waitcnt vmcnt(5)
	v_pk_fma_f32 v[58:59], v[50:51], v[62:63], v[74:75] op_sel:[0,0,1] op_sel_hi:[1,1,0] neg_lo:[0,0,1] neg_hi:[0,0,1]
	v_pk_fma_f32 v[50:51], v[50:51], v[62:63], v[74:75] op_sel:[0,0,1] op_sel_hi:[1,0,0]
	v_mov_b32_e32 v47, v49
	v_pk_add_f32 v[44:45], v[82:83], 0 op_sel_hi:[1,0]
	v_mov_b32_e32 v80, v69
	s_waitcnt lgkmcnt(0)
	v_pk_mul_f32 v[78:79], v[54:55], v[78:79] op_sel_hi:[1,0]
	s_waitcnt vmcnt(4)
	v_pk_fma_f32 v[60:61], v[52:53], v[64:65], v[76:77] op_sel:[0,0,1] op_sel_hi:[1,1,0] neg_lo:[0,0,1] neg_hi:[0,0,1]
	v_pk_fma_f32 v[52:53], v[52:53], v[64:65], v[76:77] op_sel:[0,0,1] op_sel_hi:[1,0,0]
	v_mov_b32_e32 v59, v51
	v_pk_add_f32 v[44:45], v[44:45], v[46:47]
	v_pk_mul_f32 v[80:81], v[56:57], v[80:81] op_sel_hi:[1,0]
	s_waitcnt vmcnt(3)
	v_pk_fma_f32 v[62:63], v[54:55], v[66:67], v[78:79] op_sel:[0,0,1] op_sel_hi:[1,1,0] neg_lo:[0,0,1] neg_hi:[0,0,1]
	v_pk_fma_f32 v[54:55], v[54:55], v[66:67], v[78:79] op_sel:[0,0,1] op_sel_hi:[1,0,0]
	v_mov_b32_e32 v61, v53
	v_pk_add_f32 v[44:45], v[44:45], v[58:59]
	s_waitcnt vmcnt(2)
	v_pk_fma_f32 v[64:65], v[56:57], v[68:69], v[80:81] op_sel:[0,0,1] op_sel_hi:[1,1,0] neg_lo:[0,0,1] neg_hi:[0,0,1]
	v_pk_fma_f32 v[56:57], v[56:57], v[68:69], v[80:81] op_sel:[0,0,1] op_sel_hi:[1,0,0]
	v_mov_b32_e32 v63, v55
	v_pk_add_f32 v[44:45], v[44:45], v[60:61]
	v_mov_b32_e32 v65, v57
	v_pk_add_f32 v[44:45], v[44:45], v[62:63]
	v_pk_add_f32 v[44:45], v[44:45], v[64:65]
	s_waitcnt vmcnt(0)
	v_pk_add_f32 v[44:45], v[70:71], v[44:45] neg_lo:[0,1] neg_hi:[0,1]
	buffer_store_dword v44, off, s[0:3], 0 offset:112
	buffer_store_dword v45, off, s[0:3], 0 offset:116
	s_and_saveexec_b64 s[4:5], vcc
	s_cbranch_execz .LBB20_113
; %bb.112:
	buffer_load_dword v44, off, s[0:3], 0 offset:104
	buffer_load_dword v45, off, s[0:3], 0 offset:108
	v_mov_b32_e32 v46, 0
	buffer_store_dword v46, off, s[0:3], 0 offset:104
	buffer_store_dword v46, off, s[0:3], 0 offset:108
	s_waitcnt vmcnt(2)
	ds_write_b64 v1, v[44:45]
.LBB20_113:
	s_or_b64 exec, exec, s[4:5]
	s_waitcnt lgkmcnt(0)
	; wave barrier
	s_waitcnt lgkmcnt(0)
	buffer_load_dword v59, off, s[0:3], 0 offset:116
	buffer_load_dword v61, off, s[0:3], 0 offset:124
	;; [unrolled: 1-line block ×16, first 2 shown]
	v_mov_b32_e32 v44, 0
	ds_read_b128 v[46:49], v44 offset:288
	ds_read_b128 v[50:53], v44 offset:304
	;; [unrolled: 1-line block ×3, first 2 shown]
	ds_read_b64 v[74:75], v44 offset:336
	v_cmp_lt_u32_e32 vcc, 12, v0
	s_waitcnt vmcnt(15)
	v_mov_b32_e32 v76, v59
	s_waitcnt vmcnt(14)
	v_mov_b32_e32 v78, v61
	s_waitcnt lgkmcnt(3)
	v_pk_mul_f32 v[76:77], v[46:47], v[76:77] op_sel_hi:[1,0]
	s_waitcnt vmcnt(13)
	v_mov_b32_e32 v80, v63
	v_pk_mul_f32 v[78:79], v[48:49], v[78:79] op_sel_hi:[1,0]
	s_waitcnt vmcnt(12)
	v_mov_b32_e32 v82, v65
	s_waitcnt lgkmcnt(2)
	v_pk_mul_f32 v[80:81], v[50:51], v[80:81] op_sel_hi:[1,0]
	s_waitcnt vmcnt(8)
	v_pk_fma_f32 v[90:91], v[46:47], v[58:59], v[76:77] op_sel:[0,0,1] op_sel_hi:[1,1,0] neg_lo:[0,0,1] neg_hi:[0,0,1]
	v_pk_fma_f32 v[46:47], v[46:47], v[58:59], v[76:77] op_sel:[0,0,1] op_sel_hi:[1,0,0]
	s_waitcnt vmcnt(7)
	v_pk_fma_f32 v[58:59], v[48:49], v[60:61], v[78:79] op_sel:[0,0,1] op_sel_hi:[1,1,0] neg_lo:[0,0,1] neg_hi:[0,0,1]
	v_pk_fma_f32 v[48:49], v[48:49], v[60:61], v[78:79] op_sel:[0,0,1] op_sel_hi:[1,0,0]
	v_mov_b32_e32 v91, v47
	v_mov_b32_e32 v84, v67
	v_pk_mul_f32 v[82:83], v[52:53], v[82:83] op_sel_hi:[1,0]
	s_waitcnt vmcnt(6)
	v_pk_fma_f32 v[60:61], v[50:51], v[62:63], v[80:81] op_sel:[0,0,1] op_sel_hi:[1,1,0] neg_lo:[0,0,1] neg_hi:[0,0,1]
	v_pk_fma_f32 v[50:51], v[50:51], v[62:63], v[80:81] op_sel:[0,0,1] op_sel_hi:[1,0,0]
	v_mov_b32_e32 v59, v49
	v_pk_add_f32 v[46:47], v[90:91], 0 op_sel_hi:[1,0]
	v_mov_b32_e32 v86, v69
	s_waitcnt lgkmcnt(1)
	v_pk_mul_f32 v[84:85], v[54:55], v[84:85] op_sel_hi:[1,0]
	s_waitcnt vmcnt(5)
	v_pk_fma_f32 v[62:63], v[52:53], v[64:65], v[82:83] op_sel:[0,0,1] op_sel_hi:[1,1,0] neg_lo:[0,0,1] neg_hi:[0,0,1]
	v_pk_fma_f32 v[52:53], v[52:53], v[64:65], v[82:83] op_sel:[0,0,1] op_sel_hi:[1,0,0]
	v_mov_b32_e32 v61, v51
	v_pk_add_f32 v[46:47], v[46:47], v[58:59]
	v_mov_b32_e32 v88, v71
	v_pk_mul_f32 v[86:87], v[56:57], v[86:87] op_sel_hi:[1,0]
	s_waitcnt vmcnt(4)
	v_pk_fma_f32 v[64:65], v[54:55], v[66:67], v[84:85] op_sel:[0,0,1] op_sel_hi:[1,1,0] neg_lo:[0,0,1] neg_hi:[0,0,1]
	v_pk_fma_f32 v[54:55], v[54:55], v[66:67], v[84:85] op_sel:[0,0,1] op_sel_hi:[1,0,0]
	v_mov_b32_e32 v63, v53
	v_pk_add_f32 v[46:47], v[46:47], v[60:61]
	s_waitcnt lgkmcnt(0)
	v_pk_mul_f32 v[88:89], v[74:75], v[88:89] op_sel_hi:[1,0]
	s_waitcnt vmcnt(3)
	v_pk_fma_f32 v[66:67], v[56:57], v[68:69], v[86:87] op_sel:[0,0,1] op_sel_hi:[1,1,0] neg_lo:[0,0,1] neg_hi:[0,0,1]
	v_pk_fma_f32 v[56:57], v[56:57], v[68:69], v[86:87] op_sel:[0,0,1] op_sel_hi:[1,0,0]
	v_mov_b32_e32 v65, v55
	v_pk_add_f32 v[46:47], v[46:47], v[62:63]
	s_waitcnt vmcnt(2)
	v_pk_fma_f32 v[68:69], v[74:75], v[70:71], v[88:89] op_sel:[0,0,1] op_sel_hi:[1,1,0] neg_lo:[0,0,1] neg_hi:[0,0,1]
	v_pk_fma_f32 v[70:71], v[74:75], v[70:71], v[88:89] op_sel:[0,0,1] op_sel_hi:[1,0,0]
	v_mov_b32_e32 v67, v57
	v_pk_add_f32 v[46:47], v[46:47], v[64:65]
	v_mov_b32_e32 v69, v71
	v_pk_add_f32 v[46:47], v[46:47], v[66:67]
	v_pk_add_f32 v[46:47], v[46:47], v[68:69]
	s_waitcnt vmcnt(0)
	v_pk_add_f32 v[46:47], v[72:73], v[46:47] neg_lo:[0,1] neg_hi:[0,1]
	buffer_store_dword v46, off, s[0:3], 0 offset:104
	buffer_store_dword v47, off, s[0:3], 0 offset:108
	s_and_saveexec_b64 s[4:5], vcc
	s_cbranch_execz .LBB20_115
; %bb.114:
	buffer_load_dword v46, off, s[0:3], 0 offset:96
	buffer_load_dword v47, off, s[0:3], 0 offset:100
	s_waitcnt vmcnt(0)
	ds_write_b64 v1, v[46:47]
	buffer_store_dword v44, off, s[0:3], 0 offset:96
	buffer_store_dword v44, off, s[0:3], 0 offset:100
.LBB20_115:
	s_or_b64 exec, exec, s[4:5]
	s_waitcnt lgkmcnt(0)
	; wave barrier
	s_waitcnt lgkmcnt(0)
	buffer_load_dword v63, off, s[0:3], 0 offset:108
	buffer_load_dword v65, off, s[0:3], 0 offset:116
	;; [unrolled: 1-line block ×18, first 2 shown]
	ds_read2_b64 v[46:49], v44 offset0:35 offset1:36
	ds_read2_b64 v[50:53], v44 offset0:37 offset1:38
	ds_read2_b64 v[54:57], v44 offset0:39 offset1:40
	ds_read2_b64 v[58:61], v44 offset0:41 offset1:42
	v_cmp_lt_u32_e32 vcc, 11, v0
	s_waitcnt vmcnt(17)
	v_mov_b32_e32 v44, v63
	s_waitcnt vmcnt(16)
	v_mov_b32_e32 v80, v65
	s_waitcnt lgkmcnt(3)
	v_pk_mul_f32 v[44:45], v[46:47], v[44:45] op_sel_hi:[1,0]
	s_waitcnt vmcnt(15)
	v_mov_b32_e32 v82, v67
	v_pk_mul_f32 v[80:81], v[48:49], v[80:81] op_sel_hi:[1,0]
	s_waitcnt vmcnt(14)
	v_mov_b32_e32 v84, v69
	s_waitcnt lgkmcnt(2)
	v_pk_mul_f32 v[82:83], v[50:51], v[82:83] op_sel_hi:[1,0]
	s_waitcnt vmcnt(13)
	v_mov_b32_e32 v86, v71
	s_waitcnt vmcnt(9)
	v_pk_fma_f32 v[94:95], v[46:47], v[62:63], v[44:45] op_sel:[0,0,1] op_sel_hi:[1,1,0] neg_lo:[0,0,1] neg_hi:[0,0,1]
	v_pk_fma_f32 v[44:45], v[46:47], v[62:63], v[44:45] op_sel:[0,0,1] op_sel_hi:[1,0,0]
	s_waitcnt vmcnt(8)
	v_pk_fma_f32 v[46:47], v[48:49], v[64:65], v[80:81] op_sel:[0,0,1] op_sel_hi:[1,1,0] neg_lo:[0,0,1] neg_hi:[0,0,1]
	v_pk_fma_f32 v[48:49], v[48:49], v[64:65], v[80:81] op_sel:[0,0,1] op_sel_hi:[1,0,0]
	v_mov_b32_e32 v95, v45
	v_pk_mul_f32 v[84:85], v[52:53], v[84:85] op_sel_hi:[1,0]
	s_waitcnt vmcnt(7)
	v_pk_fma_f32 v[62:63], v[50:51], v[66:67], v[82:83] op_sel:[0,0,1] op_sel_hi:[1,1,0] neg_lo:[0,0,1] neg_hi:[0,0,1]
	v_pk_fma_f32 v[50:51], v[50:51], v[66:67], v[82:83] op_sel:[0,0,1] op_sel_hi:[1,0,0]
	v_mov_b32_e32 v47, v49
	v_pk_add_f32 v[44:45], v[94:95], 0 op_sel_hi:[1,0]
	v_mov_b32_e32 v88, v73
	s_waitcnt lgkmcnt(1)
	v_pk_mul_f32 v[86:87], v[54:55], v[86:87] op_sel_hi:[1,0]
	s_waitcnt vmcnt(6)
	v_pk_fma_f32 v[64:65], v[52:53], v[68:69], v[84:85] op_sel:[0,0,1] op_sel_hi:[1,1,0] neg_lo:[0,0,1] neg_hi:[0,0,1]
	v_pk_fma_f32 v[52:53], v[52:53], v[68:69], v[84:85] op_sel:[0,0,1] op_sel_hi:[1,0,0]
	v_mov_b32_e32 v63, v51
	v_pk_add_f32 v[44:45], v[44:45], v[46:47]
	v_mov_b32_e32 v90, v75
	v_pk_mul_f32 v[88:89], v[56:57], v[88:89] op_sel_hi:[1,0]
	s_waitcnt vmcnt(5)
	v_pk_fma_f32 v[66:67], v[54:55], v[70:71], v[86:87] op_sel:[0,0,1] op_sel_hi:[1,1,0] neg_lo:[0,0,1] neg_hi:[0,0,1]
	v_pk_fma_f32 v[54:55], v[54:55], v[70:71], v[86:87] op_sel:[0,0,1] op_sel_hi:[1,0,0]
	v_mov_b32_e32 v65, v53
	v_pk_add_f32 v[44:45], v[44:45], v[62:63]
	v_mov_b32_e32 v92, v77
	s_waitcnt lgkmcnt(0)
	v_pk_mul_f32 v[90:91], v[58:59], v[90:91] op_sel_hi:[1,0]
	s_waitcnt vmcnt(4)
	v_pk_fma_f32 v[68:69], v[56:57], v[72:73], v[88:89] op_sel:[0,0,1] op_sel_hi:[1,1,0] neg_lo:[0,0,1] neg_hi:[0,0,1]
	v_pk_fma_f32 v[56:57], v[56:57], v[72:73], v[88:89] op_sel:[0,0,1] op_sel_hi:[1,0,0]
	v_mov_b32_e32 v67, v55
	v_pk_add_f32 v[44:45], v[44:45], v[64:65]
	v_pk_mul_f32 v[92:93], v[60:61], v[92:93] op_sel_hi:[1,0]
	s_waitcnt vmcnt(3)
	v_pk_fma_f32 v[70:71], v[58:59], v[74:75], v[90:91] op_sel:[0,0,1] op_sel_hi:[1,1,0] neg_lo:[0,0,1] neg_hi:[0,0,1]
	v_pk_fma_f32 v[58:59], v[58:59], v[74:75], v[90:91] op_sel:[0,0,1] op_sel_hi:[1,0,0]
	v_mov_b32_e32 v69, v57
	v_pk_add_f32 v[44:45], v[44:45], v[66:67]
	s_waitcnt vmcnt(2)
	v_pk_fma_f32 v[72:73], v[60:61], v[76:77], v[92:93] op_sel:[0,0,1] op_sel_hi:[1,1,0] neg_lo:[0,0,1] neg_hi:[0,0,1]
	v_pk_fma_f32 v[60:61], v[60:61], v[76:77], v[92:93] op_sel:[0,0,1] op_sel_hi:[1,0,0]
	v_mov_b32_e32 v71, v59
	v_pk_add_f32 v[44:45], v[44:45], v[68:69]
	v_mov_b32_e32 v73, v61
	v_pk_add_f32 v[44:45], v[44:45], v[70:71]
	v_pk_add_f32 v[44:45], v[44:45], v[72:73]
	s_waitcnt vmcnt(0)
	v_pk_add_f32 v[44:45], v[78:79], v[44:45] neg_lo:[0,1] neg_hi:[0,1]
	buffer_store_dword v44, off, s[0:3], 0 offset:96
	buffer_store_dword v45, off, s[0:3], 0 offset:100
	s_and_saveexec_b64 s[4:5], vcc
	s_cbranch_execz .LBB20_117
; %bb.116:
	buffer_load_dword v44, off, s[0:3], 0 offset:88
	buffer_load_dword v45, off, s[0:3], 0 offset:92
	v_mov_b32_e32 v46, 0
	buffer_store_dword v46, off, s[0:3], 0 offset:88
	buffer_store_dword v46, off, s[0:3], 0 offset:92
	s_waitcnt vmcnt(2)
	ds_write_b64 v1, v[44:45]
.LBB20_117:
	s_or_b64 exec, exec, s[4:5]
	s_waitcnt lgkmcnt(0)
	; wave barrier
	s_waitcnt lgkmcnt(0)
	buffer_load_dword v45, off, s[0:3], 0 offset:100
	buffer_load_dword v63, off, s[0:3], 0 offset:108
	;; [unrolled: 1-line block ×20, first 2 shown]
	v_mov_b32_e32 v44, 0
	ds_read_b128 v[46:49], v44 offset:272
	ds_read_b128 v[50:53], v44 offset:288
	;; [unrolled: 1-line block ×4, first 2 shown]
	ds_read_b64 v[80:81], v44 offset:336
	v_cmp_lt_u32_e32 vcc, 10, v0
	s_waitcnt vmcnt(19) lgkmcnt(4)
	v_mul_f32_e32 v83, v46, v45
	v_mul_f32_e32 v45, v47, v45
	s_waitcnt vmcnt(18)
	v_mov_b32_e32 v84, v63
	s_waitcnt vmcnt(17)
	v_mov_b32_e32 v86, v65
	;; [unrolled: 2-line block ×8, first 2 shown]
	s_waitcnt vmcnt(10)
	v_fmac_f32_e32 v83, v47, v82
	v_fma_f32 v82, v46, v82, -v45
	v_pk_mul_f32 v[46:47], v[48:49], v[84:85] op_sel_hi:[1,0]
	s_waitcnt lgkmcnt(3)
	v_pk_mul_f32 v[84:85], v[50:51], v[86:87] op_sel_hi:[1,0]
	v_pk_mul_f32 v[86:87], v[52:53], v[88:89] op_sel_hi:[1,0]
	s_waitcnt lgkmcnt(2)
	v_pk_mul_f32 v[88:89], v[54:55], v[90:91] op_sel_hi:[1,0]
	;; [unrolled: 3-line block ×4, first 2 shown]
	s_waitcnt vmcnt(9)
	v_pk_fma_f32 v[98:99], v[48:49], v[62:63], v[46:47] op_sel:[0,0,1] op_sel_hi:[1,1,0] neg_lo:[0,0,1] neg_hi:[0,0,1]
	v_pk_fma_f32 v[46:47], v[48:49], v[62:63], v[46:47] op_sel:[0,0,1] op_sel_hi:[1,0,0]
	v_pk_add_f32 v[82:83], v[82:83], 0 op_sel_hi:[1,0]
	s_waitcnt vmcnt(8)
	v_pk_fma_f32 v[48:49], v[50:51], v[64:65], v[84:85] op_sel:[0,0,1] op_sel_hi:[1,1,0] neg_lo:[0,0,1] neg_hi:[0,0,1]
	v_pk_fma_f32 v[50:51], v[50:51], v[64:65], v[84:85] op_sel:[0,0,1] op_sel_hi:[1,0,0]
	v_mov_b32_e32 v99, v47
	s_waitcnt vmcnt(7)
	v_pk_fma_f32 v[62:63], v[52:53], v[66:67], v[86:87] op_sel:[0,0,1] op_sel_hi:[1,1,0] neg_lo:[0,0,1] neg_hi:[0,0,1]
	v_pk_fma_f32 v[52:53], v[52:53], v[66:67], v[86:87] op_sel:[0,0,1] op_sel_hi:[1,0,0]
	v_mov_b32_e32 v49, v51
	v_pk_add_f32 v[46:47], v[82:83], v[98:99]
	s_waitcnt vmcnt(6)
	v_pk_fma_f32 v[64:65], v[54:55], v[68:69], v[88:89] op_sel:[0,0,1] op_sel_hi:[1,1,0] neg_lo:[0,0,1] neg_hi:[0,0,1]
	v_pk_fma_f32 v[54:55], v[54:55], v[68:69], v[88:89] op_sel:[0,0,1] op_sel_hi:[1,0,0]
	v_mov_b32_e32 v63, v53
	v_pk_add_f32 v[46:47], v[46:47], v[48:49]
	;; [unrolled: 5-line block ×6, first 2 shown]
	v_mov_b32_e32 v73, v75
	v_pk_add_f32 v[46:47], v[46:47], v[70:71]
	v_pk_add_f32 v[46:47], v[46:47], v[72:73]
	s_waitcnt vmcnt(0)
	v_pk_add_f32 v[46:47], v[78:79], v[46:47] neg_lo:[0,1] neg_hi:[0,1]
	buffer_store_dword v46, off, s[0:3], 0 offset:88
	buffer_store_dword v47, off, s[0:3], 0 offset:92
	s_and_saveexec_b64 s[4:5], vcc
	s_cbranch_execz .LBB20_119
; %bb.118:
	buffer_load_dword v46, off, s[0:3], 0 offset:80
	buffer_load_dword v47, off, s[0:3], 0 offset:84
	s_waitcnt vmcnt(0)
	ds_write_b64 v1, v[46:47]
	buffer_store_dword v44, off, s[0:3], 0 offset:80
	buffer_store_dword v44, off, s[0:3], 0 offset:84
.LBB20_119:
	s_or_b64 exec, exec, s[4:5]
	s_waitcnt lgkmcnt(0)
	; wave barrier
	s_waitcnt lgkmcnt(0)
	buffer_load_dword v84, off, s[0:3], 0 offset:92
	buffer_load_dword v86, off, s[0:3], 0 offset:100
	;; [unrolled: 1-line block ×22, first 2 shown]
	ds_read2_b64 v[46:49], v44 offset0:33 offset1:34
	ds_read2_b64 v[50:53], v44 offset0:35 offset1:36
	;; [unrolled: 1-line block ×5, first 2 shown]
	v_cmp_lt_u32_e32 vcc, 9, v0
	s_waitcnt vmcnt(21) lgkmcnt(4)
	v_mul_f32_e32 v45, v46, v84
	s_waitcnt vmcnt(20)
	v_mul_f32_e32 v85, v48, v86
	v_mul_f32_e32 v44, v47, v84
	;; [unrolled: 1-line block ×3, first 2 shown]
	s_waitcnt vmcnt(19)
	v_mov_b32_e32 v86, v67
	s_waitcnt vmcnt(18)
	v_mov_b32_e32 v88, v69
	;; [unrolled: 2-line block ×5, first 2 shown]
	v_mov_b32_e32 v92, v73
	s_waitcnt vmcnt(11)
	v_fmac_f32_e32 v45, v47, v87
	v_fma_f32 v44, v46, v87, -v44
	s_waitcnt lgkmcnt(3)
	v_pk_mul_f32 v[46:47], v[50:51], v[86:87] op_sel_hi:[1,0]
	s_waitcnt vmcnt(10)
	v_fmac_f32_e32 v85, v49, v89
	v_fma_f32 v84, v48, v89, -v84
	v_pk_mul_f32 v[48:49], v[52:53], v[88:89] op_sel_hi:[1,0]
	s_waitcnt lgkmcnt(2)
	v_pk_mul_f32 v[86:87], v[54:55], v[90:91] op_sel_hi:[1,0]
	s_waitcnt lgkmcnt(1)
	;; [unrolled: 2-line block ×3, first 2 shown]
	v_pk_mul_f32 v[94:95], v[62:63], v[98:99] op_sel_hi:[1,0]
	v_pk_add_f32 v[44:45], v[44:45], 0 op_sel_hi:[1,0]
	s_waitcnt vmcnt(9)
	v_pk_fma_f32 v[98:99], v[50:51], v[66:67], v[46:47] op_sel:[0,0,1] op_sel_hi:[1,1,0] neg_lo:[0,0,1] neg_hi:[0,0,1]
	v_pk_fma_f32 v[46:47], v[50:51], v[66:67], v[46:47] op_sel:[0,0,1] op_sel_hi:[1,0,0]
	s_waitcnt vmcnt(8)
	v_pk_fma_f32 v[50:51], v[52:53], v[68:69], v[48:49] op_sel:[0,0,1] op_sel_hi:[1,1,0] neg_lo:[0,0,1] neg_hi:[0,0,1]
	v_pk_fma_f32 v[48:49], v[52:53], v[68:69], v[48:49] op_sel:[0,0,1] op_sel_hi:[1,0,0]
	v_pk_add_f32 v[44:45], v[44:45], v[84:85]
	v_mov_b32_e32 v99, v47
	v_pk_mul_f32 v[88:89], v[56:57], v[92:93] op_sel_hi:[1,0]
	s_waitcnt vmcnt(7)
	v_pk_fma_f32 v[52:53], v[54:55], v[70:71], v[86:87] op_sel:[0,0,1] op_sel_hi:[1,1,0] neg_lo:[0,0,1] neg_hi:[0,0,1]
	v_pk_fma_f32 v[54:55], v[54:55], v[70:71], v[86:87] op_sel:[0,0,1] op_sel_hi:[1,0,0]
	v_mov_b32_e32 v51, v49
	v_pk_add_f32 v[44:45], v[44:45], v[98:99]
	v_mov_b32_e32 v96, v77
	s_waitcnt vmcnt(6)
	v_pk_fma_f32 v[66:67], v[56:57], v[72:73], v[88:89] op_sel:[0,0,1] op_sel_hi:[1,1,0] neg_lo:[0,0,1] neg_hi:[0,0,1]
	v_pk_fma_f32 v[56:57], v[56:57], v[72:73], v[88:89] op_sel:[0,0,1] op_sel_hi:[1,0,0]
	v_mov_b32_e32 v53, v55
	v_pk_add_f32 v[44:45], v[44:45], v[50:51]
	v_pk_mul_f32 v[92:93], v[60:61], v[96:97] op_sel_hi:[1,0]
	s_waitcnt vmcnt(5)
	v_pk_fma_f32 v[68:69], v[58:59], v[74:75], v[90:91] op_sel:[0,0,1] op_sel_hi:[1,1,0] neg_lo:[0,0,1] neg_hi:[0,0,1]
	v_pk_fma_f32 v[58:59], v[58:59], v[74:75], v[90:91] op_sel:[0,0,1] op_sel_hi:[1,0,0]
	v_mov_b32_e32 v67, v57
	v_pk_add_f32 v[44:45], v[44:45], v[52:53]
	v_mov_b32_e32 v100, v81
	s_waitcnt vmcnt(2)
	v_pk_fma_f32 v[70:71], v[60:61], v[76:77], v[92:93] op_sel:[0,0,1] op_sel_hi:[1,1,0] neg_lo:[0,0,1] neg_hi:[0,0,1]
	v_pk_fma_f32 v[60:61], v[60:61], v[76:77], v[92:93] op_sel:[0,0,1] op_sel_hi:[1,0,0]
	v_mov_b32_e32 v69, v59
	v_pk_add_f32 v[44:45], v[44:45], v[66:67]
	v_pk_mul_f32 v[96:97], v[64:65], v[100:101] op_sel_hi:[1,0]
	v_pk_fma_f32 v[72:73], v[62:63], v[78:79], v[94:95] op_sel:[0,0,1] op_sel_hi:[1,1,0] neg_lo:[0,0,1] neg_hi:[0,0,1]
	v_pk_fma_f32 v[62:63], v[62:63], v[78:79], v[94:95] op_sel:[0,0,1] op_sel_hi:[1,0,0]
	v_mov_b32_e32 v71, v61
	v_pk_add_f32 v[44:45], v[44:45], v[68:69]
	v_pk_fma_f32 v[74:75], v[64:65], v[80:81], v[96:97] op_sel:[0,0,1] op_sel_hi:[1,1,0] neg_lo:[0,0,1] neg_hi:[0,0,1]
	v_pk_fma_f32 v[64:65], v[64:65], v[80:81], v[96:97] op_sel:[0,0,1] op_sel_hi:[1,0,0]
	v_mov_b32_e32 v73, v63
	v_pk_add_f32 v[44:45], v[44:45], v[70:71]
	v_mov_b32_e32 v75, v65
	v_pk_add_f32 v[44:45], v[44:45], v[72:73]
	v_pk_add_f32 v[44:45], v[44:45], v[74:75]
	s_waitcnt vmcnt(0)
	v_pk_add_f32 v[44:45], v[82:83], v[44:45] neg_lo:[0,1] neg_hi:[0,1]
	buffer_store_dword v44, off, s[0:3], 0 offset:80
	buffer_store_dword v45, off, s[0:3], 0 offset:84
	s_and_saveexec_b64 s[4:5], vcc
	s_cbranch_execz .LBB20_121
; %bb.120:
	buffer_load_dword v44, off, s[0:3], 0 offset:72
	buffer_load_dword v45, off, s[0:3], 0 offset:76
	v_mov_b32_e32 v46, 0
	buffer_store_dword v46, off, s[0:3], 0 offset:72
	buffer_store_dword v46, off, s[0:3], 0 offset:76
	s_waitcnt vmcnt(2)
	ds_write_b64 v1, v[44:45]
.LBB20_121:
	s_or_b64 exec, exec, s[4:5]
	s_waitcnt lgkmcnt(0)
	; wave barrier
	s_waitcnt lgkmcnt(0)
	buffer_load_dword v45, off, s[0:3], 0 offset:84
	buffer_load_dword v86, off, s[0:3], 0 offset:92
	;; [unrolled: 1-line block ×24, first 2 shown]
	v_mov_b32_e32 v44, 0
	ds_read_b128 v[46:49], v44 offset:256
	ds_read_b128 v[50:53], v44 offset:272
	;; [unrolled: 1-line block ×5, first 2 shown]
	ds_read_b64 v[84:85], v44 offset:336
	v_cmp_lt_u32_e32 vcc, 8, v0
	s_waitcnt vmcnt(23) lgkmcnt(5)
	v_mul_f32_e32 v99, v46, v45
	v_mul_f32_e32 v45, v47, v45
	s_waitcnt vmcnt(22)
	v_mul_f32_e32 v87, v48, v86
	s_waitcnt vmcnt(21) lgkmcnt(4)
	v_mul_f32_e32 v89, v50, v88
	v_mul_f32_e32 v86, v49, v86
	;; [unrolled: 1-line block ×3, first 2 shown]
	s_waitcnt vmcnt(20)
	v_mov_b32_e32 v90, v67
	s_waitcnt vmcnt(19)
	v_mov_b32_e32 v92, v69
	;; [unrolled: 2-line block ×5, first 2 shown]
	s_waitcnt vmcnt(12)
	v_fmac_f32_e32 v99, v47, v91
	v_fma_f32 v45, v46, v91, -v45
	v_mov_b32_e32 v100, v77
	s_waitcnt vmcnt(11)
	v_fmac_f32_e32 v87, v49, v93
	s_waitcnt vmcnt(10)
	v_fmac_f32_e32 v89, v51, v95
	v_fma_f32 v86, v48, v93, -v86
	v_fma_f32 v88, v50, v95, -v88
	v_pk_mul_f32 v[46:47], v[52:53], v[90:91] op_sel_hi:[1,0]
	s_waitcnt lgkmcnt(3)
	v_pk_mul_f32 v[48:49], v[54:55], v[92:93] op_sel_hi:[1,0]
	v_pk_mul_f32 v[50:51], v[56:57], v[94:95] op_sel_hi:[1,0]
	s_waitcnt lgkmcnt(2)
	v_pk_mul_f32 v[90:91], v[58:59], v[96:97] op_sel_hi:[1,0]
	v_pk_mul_f32 v[92:93], v[60:61], v[98:99] op_sel_hi:[1,0]
	v_add_f32_e32 v99, 0, v99
	v_add_f32_e32 v98, 0, v45
	s_waitcnt lgkmcnt(1)
	v_pk_mul_f32 v[94:95], v[62:63], v[100:101] op_sel_hi:[1,0]
	s_waitcnt vmcnt(9)
	v_pk_fma_f32 v[100:101], v[52:53], v[66:67], v[46:47] op_sel:[0,0,1] op_sel_hi:[1,1,0] neg_lo:[0,0,1] neg_hi:[0,0,1]
	v_pk_fma_f32 v[46:47], v[52:53], v[66:67], v[46:47] op_sel:[0,0,1] op_sel_hi:[1,0,0]
	s_waitcnt vmcnt(8)
	v_pk_fma_f32 v[52:53], v[54:55], v[68:69], v[48:49] op_sel:[0,0,1] op_sel_hi:[1,1,0] neg_lo:[0,0,1] neg_hi:[0,0,1]
	v_pk_fma_f32 v[48:49], v[54:55], v[68:69], v[48:49] op_sel:[0,0,1] op_sel_hi:[1,0,0]
	;; [unrolled: 3-line block ×4, first 2 shown]
	v_pk_add_f32 v[72:73], v[98:99], v[86:87]
	v_mov_b32_e32 v101, v47
	v_pk_add_f32 v[46:47], v[72:73], v[88:89]
	v_mov_b32_e32 v53, v49
	;; [unrolled: 2-line block ×4, first 2 shown]
	s_waitcnt vmcnt(2)
	v_pk_fma_f32 v[66:67], v[60:61], v[74:75], v[92:93] op_sel:[0,0,1] op_sel_hi:[1,1,0] neg_lo:[0,0,1] neg_hi:[0,0,1]
	v_pk_fma_f32 v[60:61], v[60:61], v[74:75], v[92:93] op_sel:[0,0,1] op_sel_hi:[1,0,0]
	v_mov_b32_e32 v57, v59
	v_pk_add_f32 v[46:47], v[46:47], v[54:55]
	v_mov_b32_e32 v104, v81
	v_pk_mul_f32 v[96:97], v[64:65], v[102:103] op_sel_hi:[1,0]
	v_pk_fma_f32 v[68:69], v[62:63], v[76:77], v[94:95] op_sel:[0,0,1] op_sel_hi:[1,1,0] neg_lo:[0,0,1] neg_hi:[0,0,1]
	v_pk_fma_f32 v[62:63], v[62:63], v[76:77], v[94:95] op_sel:[0,0,1] op_sel_hi:[1,0,0]
	v_mov_b32_e32 v67, v61
	v_pk_add_f32 v[46:47], v[46:47], v[56:57]
	v_pk_fma_f32 v[70:71], v[64:65], v[78:79], v[96:97] op_sel:[0,0,1] op_sel_hi:[1,1,0] neg_lo:[0,0,1] neg_hi:[0,0,1]
	v_pk_fma_f32 v[64:65], v[64:65], v[78:79], v[96:97] op_sel:[0,0,1] op_sel_hi:[1,0,0]
	v_mov_b32_e32 v69, v63
	v_pk_add_f32 v[46:47], v[46:47], v[66:67]
	s_waitcnt lgkmcnt(0)
	v_pk_mul_f32 v[48:49], v[84:85], v[104:105] op_sel_hi:[1,0]
	v_mov_b32_e32 v71, v65
	v_pk_add_f32 v[46:47], v[46:47], v[68:69]
	v_pk_fma_f32 v[50:51], v[84:85], v[80:81], v[48:49] op_sel:[0,0,1] op_sel_hi:[1,1,0] neg_lo:[0,0,1] neg_hi:[0,0,1]
	v_pk_fma_f32 v[48:49], v[84:85], v[80:81], v[48:49] op_sel:[0,0,1] op_sel_hi:[1,0,0]
	v_pk_add_f32 v[46:47], v[46:47], v[70:71]
	v_mov_b32_e32 v51, v49
	v_pk_add_f32 v[46:47], v[46:47], v[50:51]
	s_waitcnt vmcnt(0)
	v_pk_add_f32 v[46:47], v[82:83], v[46:47] neg_lo:[0,1] neg_hi:[0,1]
	buffer_store_dword v47, off, s[0:3], 0 offset:76
	buffer_store_dword v46, off, s[0:3], 0 offset:72
	s_and_saveexec_b64 s[4:5], vcc
	s_cbranch_execz .LBB20_123
; %bb.122:
	buffer_load_dword v46, off, s[0:3], 0 offset:64
	buffer_load_dword v47, off, s[0:3], 0 offset:68
	s_waitcnt vmcnt(0)
	ds_write_b64 v1, v[46:47]
	buffer_store_dword v44, off, s[0:3], 0 offset:64
	buffer_store_dword v44, off, s[0:3], 0 offset:68
.LBB20_123:
	s_or_b64 exec, exec, s[4:5]
	s_waitcnt lgkmcnt(0)
	; wave barrier
	s_waitcnt lgkmcnt(0)
	buffer_load_dword v88, off, s[0:3], 0 offset:76
	buffer_load_dword v90, off, s[0:3], 0 offset:84
	;; [unrolled: 1-line block ×26, first 2 shown]
	ds_read2_b64 v[46:49], v44 offset0:31 offset1:32
	ds_read2_b64 v[50:53], v44 offset0:33 offset1:34
	;; [unrolled: 1-line block ×6, first 2 shown]
	v_cmp_lt_u32_e32 vcc, 7, v0
	s_waitcnt vmcnt(25) lgkmcnt(5)
	v_mul_f32_e32 v101, v46, v88
	v_mul_f32_e32 v44, v47, v88
	s_waitcnt vmcnt(24)
	v_mul_f32_e32 v102, v48, v90
	s_waitcnt vmcnt(23) lgkmcnt(4)
	v_mul_f32_e32 v45, v50, v91
	s_waitcnt vmcnt(22)
	v_mul_f32_e32 v89, v52, v92
	v_mul_f32_e32 v88, v49, v90
	;; [unrolled: 1-line block ×4, first 2 shown]
	s_waitcnt vmcnt(21)
	v_mov_b32_e32 v90, v71
	s_waitcnt vmcnt(20)
	v_mov_b32_e32 v92, v73
	;; [unrolled: 2-line block ×3, first 2 shown]
	s_waitcnt vmcnt(15)
	v_fmac_f32_e32 v101, v47, v93
	v_fma_f32 v104, v46, v93, -v44
	v_mov_b32_e32 v94, v75
	s_waitcnt vmcnt(14)
	v_fmac_f32_e32 v102, v49, v95
	s_waitcnt vmcnt(13)
	v_fmac_f32_e32 v45, v51, v97
	;; [unrolled: 2-line block ×3, first 2 shown]
	v_fma_f32 v105, v48, v95, -v88
	v_fma_f32 v44, v50, v97, -v91
	;; [unrolled: 1-line block ×3, first 2 shown]
	s_waitcnt lgkmcnt(3)
	v_pk_mul_f32 v[46:47], v[54:55], v[90:91] op_sel_hi:[1,0]
	v_pk_mul_f32 v[48:49], v[56:57], v[92:93] op_sel_hi:[1,0]
	s_waitcnt lgkmcnt(2)
	v_pk_mul_f32 v[52:53], v[60:61], v[96:97] op_sel_hi:[1,0]
	v_add_f32_e32 v96, 0, v101
	v_add_f32_e32 v97, 0, v104
	v_pk_mul_f32 v[50:51], v[58:59], v[94:95] op_sel_hi:[1,0]
	s_waitcnt vmcnt(11)
	v_pk_fma_f32 v[94:95], v[54:55], v[70:71], v[46:47] op_sel:[0,0,1] op_sel_hi:[1,1,0] neg_lo:[0,0,1] neg_hi:[0,0,1]
	v_pk_fma_f32 v[46:47], v[54:55], v[70:71], v[46:47] op_sel:[0,0,1] op_sel_hi:[1,0,0]
	s_waitcnt vmcnt(10)
	v_pk_fma_f32 v[54:55], v[56:57], v[72:73], v[48:49] op_sel:[0,0,1] op_sel_hi:[1,1,0] neg_lo:[0,0,1] neg_hi:[0,0,1]
	v_pk_fma_f32 v[48:49], v[56:57], v[72:73], v[48:49] op_sel:[0,0,1] op_sel_hi:[1,0,0]
	v_add_f32_e32 v73, v96, v102
	v_add_f32_e32 v72, v97, v105
	v_pk_add_f32 v[44:45], v[72:73], v[44:45]
	v_mov_b32_e32 v95, v47
	v_pk_add_f32 v[44:45], v[44:45], v[88:89]
	v_mov_b32_e32 v98, v79
	s_waitcnt vmcnt(9)
	v_pk_fma_f32 v[56:57], v[58:59], v[74:75], v[50:51] op_sel:[0,0,1] op_sel_hi:[1,1,0] neg_lo:[0,0,1] neg_hi:[0,0,1]
	v_pk_fma_f32 v[50:51], v[58:59], v[74:75], v[50:51] op_sel:[0,0,1] op_sel_hi:[1,0,0]
	v_mov_b32_e32 v55, v49
	v_pk_add_f32 v[44:45], v[44:45], v[94:95]
	v_mov_b32_e32 v100, v81
	s_waitcnt lgkmcnt(1)
	v_pk_mul_f32 v[90:91], v[62:63], v[98:99] op_sel_hi:[1,0]
	s_waitcnt vmcnt(5)
	v_pk_fma_f32 v[58:59], v[60:61], v[76:77], v[52:53] op_sel:[0,0,1] op_sel_hi:[1,1,0] neg_lo:[0,0,1] neg_hi:[0,0,1]
	v_pk_fma_f32 v[52:53], v[60:61], v[76:77], v[52:53] op_sel:[0,0,1] op_sel_hi:[1,0,0]
	v_mov_b32_e32 v57, v51
	v_pk_add_f32 v[44:45], v[44:45], v[54:55]
	s_waitcnt vmcnt(4)
	v_mov_b32_e32 v46, v83
	v_pk_mul_f32 v[92:93], v[64:65], v[100:101] op_sel_hi:[1,0]
	v_pk_fma_f32 v[60:61], v[62:63], v[78:79], v[90:91] op_sel:[0,0,1] op_sel_hi:[1,1,0] neg_lo:[0,0,1] neg_hi:[0,0,1]
	v_pk_fma_f32 v[62:63], v[62:63], v[78:79], v[90:91] op_sel:[0,0,1] op_sel_hi:[1,0,0]
	v_mov_b32_e32 v59, v53
	v_pk_add_f32 v[44:45], v[44:45], v[56:57]
	s_waitcnt lgkmcnt(0)
	v_pk_mul_f32 v[46:47], v[66:67], v[46:47] op_sel_hi:[1,0]
	v_pk_fma_f32 v[70:71], v[64:65], v[80:81], v[92:93] op_sel:[0,0,1] op_sel_hi:[1,1,0] neg_lo:[0,0,1] neg_hi:[0,0,1]
	v_pk_fma_f32 v[64:65], v[64:65], v[80:81], v[92:93] op_sel:[0,0,1] op_sel_hi:[1,0,0]
	v_mov_b32_e32 v61, v63
	v_pk_add_f32 v[44:45], v[44:45], v[58:59]
	v_pk_fma_f32 v[48:49], v[66:67], v[82:83], v[46:47] op_sel:[0,0,1] op_sel_hi:[1,1,0] neg_lo:[0,0,1] neg_hi:[0,0,1]
	v_pk_fma_f32 v[46:47], v[66:67], v[82:83], v[46:47] op_sel:[0,0,1] op_sel_hi:[1,0,0]
	v_mov_b32_e32 v71, v65
	v_pk_add_f32 v[44:45], v[44:45], v[60:61]
	s_waitcnt vmcnt(3)
	v_mov_b32_e32 v46, v85
	v_pk_add_f32 v[44:45], v[44:45], v[70:71]
	v_mov_b32_e32 v49, v47
	v_pk_mul_f32 v[46:47], v[68:69], v[46:47] op_sel_hi:[1,0]
	v_pk_add_f32 v[44:45], v[44:45], v[48:49]
	s_waitcnt vmcnt(2)
	v_pk_fma_f32 v[48:49], v[68:69], v[84:85], v[46:47] op_sel:[0,0,1] op_sel_hi:[1,1,0] neg_lo:[0,0,1] neg_hi:[0,0,1]
	v_pk_fma_f32 v[46:47], v[68:69], v[84:85], v[46:47] op_sel:[0,0,1] op_sel_hi:[1,0,0]
	v_mov_b32_e32 v49, v47
	v_pk_add_f32 v[44:45], v[44:45], v[48:49]
	s_waitcnt vmcnt(0)
	v_pk_add_f32 v[44:45], v[86:87], v[44:45] neg_lo:[0,1] neg_hi:[0,1]
	buffer_store_dword v45, off, s[0:3], 0 offset:68
	buffer_store_dword v44, off, s[0:3], 0 offset:64
	s_and_saveexec_b64 s[4:5], vcc
	s_cbranch_execz .LBB20_125
; %bb.124:
	buffer_load_dword v44, off, s[0:3], 0 offset:56
	buffer_load_dword v45, off, s[0:3], 0 offset:60
	v_mov_b32_e32 v46, 0
	buffer_store_dword v46, off, s[0:3], 0 offset:56
	buffer_store_dword v46, off, s[0:3], 0 offset:60
	s_waitcnt vmcnt(2)
	ds_write_b64 v1, v[44:45]
.LBB20_125:
	s_or_b64 exec, exec, s[4:5]
	s_waitcnt lgkmcnt(0)
	; wave barrier
	s_waitcnt lgkmcnt(0)
	buffer_load_dword v45, off, s[0:3], 0 offset:68
	buffer_load_dword v90, off, s[0:3], 0 offset:76
	;; [unrolled: 1-line block ×28, first 2 shown]
	v_mov_b32_e32 v44, 0
	ds_read_b128 v[46:49], v44 offset:240
	ds_read_b128 v[50:53], v44 offset:256
	;; [unrolled: 1-line block ×6, first 2 shown]
	ds_read_b64 v[88:89], v44 offset:336
	v_cmp_lt_u32_e32 vcc, 6, v0
	s_waitcnt vmcnt(27) lgkmcnt(6)
	v_mul_f32_e32 v105, v46, v45
	v_mul_f32_e32 v45, v47, v45
	s_waitcnt vmcnt(26)
	v_mul_f32_e32 v106, v48, v90
	s_waitcnt vmcnt(24) lgkmcnt(5)
	v_mul_f32_e32 v91, v52, v94
	s_waitcnt vmcnt(23) lgkmcnt(4)
	v_mul_f32_e32 v93, v54, v95
	v_mul_f32_e32 v108, v53, v94
	;; [unrolled: 1-line block ×3, first 2 shown]
	s_waitcnt vmcnt(22)
	v_mov_b32_e32 v94, v71
	v_mul_f32_e32 v107, v50, v92
	v_mul_f32_e32 v90, v49, v90
	v_mul_f32_e32 v92, v51, v92
	s_waitcnt vmcnt(17)
	v_fmac_f32_e32 v105, v47, v97
	v_fma_f32 v45, v46, v97, -v45
	v_pk_mul_f32 v[46:47], v[56:57], v[94:95] op_sel_hi:[1,0]
	s_waitcnt vmcnt(16)
	v_fmac_f32_e32 v106, v49, v99
	s_waitcnt vmcnt(13)
	v_fmac_f32_e32 v93, v55, v104
	v_fma_f32 v97, v48, v99, -v90
	v_fma_f32 v99, v50, v101, -v92
	;; [unrolled: 1-line block ×3, first 2 shown]
	v_add_f32_e32 v94, 0, v105
	v_add_f32_e32 v45, 0, v45
	s_waitcnt vmcnt(12)
	v_pk_fma_f32 v[54:55], v[56:57], v[70:71], v[46:47] op_sel:[0,0,1] op_sel_hi:[1,1,0] neg_lo:[0,0,1] neg_hi:[0,0,1]
	v_pk_fma_f32 v[46:47], v[56:57], v[70:71], v[46:47] op_sel:[0,0,1] op_sel_hi:[1,0,0]
	v_fmac_f32_e32 v107, v51, v101
	v_add_f32_e32 v46, v94, v106
	v_add_f32_e32 v45, v45, v97
	v_mov_b32_e32 v96, v73
	v_fmac_f32_e32 v91, v53, v103
	v_fma_f32 v90, v52, v103, -v108
	v_mov_b32_e32 v55, v47
	v_add_f32_e32 v47, v46, v107
	v_add_f32_e32 v46, v45, v99
	v_mov_b32_e32 v98, v75
	s_waitcnt lgkmcnt(3)
	v_pk_mul_f32 v[48:49], v[58:59], v[96:97] op_sel_hi:[1,0]
	v_pk_add_f32 v[46:47], v[46:47], v[90:91]
	v_mov_b32_e32 v100, v77
	v_mov_b32_e32 v102, v79
	v_pk_mul_f32 v[50:51], v[60:61], v[98:99] op_sel_hi:[1,0]
	s_waitcnt vmcnt(11)
	v_pk_fma_f32 v[56:57], v[58:59], v[72:73], v[48:49] op_sel:[0,0,1] op_sel_hi:[1,1,0] neg_lo:[0,0,1] neg_hi:[0,0,1]
	v_pk_fma_f32 v[48:49], v[58:59], v[72:73], v[48:49] op_sel:[0,0,1] op_sel_hi:[1,0,0]
	v_pk_add_f32 v[46:47], v[46:47], v[92:93]
	s_waitcnt lgkmcnt(2)
	v_pk_mul_f32 v[52:53], v[62:63], v[100:101] op_sel_hi:[1,0]
	s_waitcnt vmcnt(7)
	v_pk_fma_f32 v[58:59], v[60:61], v[74:75], v[50:51] op_sel:[0,0,1] op_sel_hi:[1,1,0] neg_lo:[0,0,1] neg_hi:[0,0,1]
	v_pk_fma_f32 v[50:51], v[60:61], v[74:75], v[50:51] op_sel:[0,0,1] op_sel_hi:[1,0,0]
	v_mov_b32_e32 v57, v49
	v_pk_add_f32 v[46:47], v[46:47], v[54:55]
	v_pk_mul_f32 v[48:49], v[64:65], v[102:103] op_sel_hi:[1,0]
	v_pk_fma_f32 v[60:61], v[62:63], v[76:77], v[52:53] op_sel:[0,0,1] op_sel_hi:[1,1,0] neg_lo:[0,0,1] neg_hi:[0,0,1]
	v_pk_fma_f32 v[52:53], v[62:63], v[76:77], v[52:53] op_sel:[0,0,1] op_sel_hi:[1,0,0]
	v_mov_b32_e32 v59, v51
	v_pk_add_f32 v[46:47], v[46:47], v[56:57]
	v_pk_fma_f32 v[50:51], v[64:65], v[78:79], v[48:49] op_sel:[0,0,1] op_sel_hi:[1,1,0] neg_lo:[0,0,1] neg_hi:[0,0,1]
	v_pk_fma_f32 v[48:49], v[64:65], v[78:79], v[48:49] op_sel:[0,0,1] op_sel_hi:[1,0,0]
	v_mov_b32_e32 v61, v53
	v_pk_add_f32 v[46:47], v[46:47], v[58:59]
	s_waitcnt vmcnt(6)
	v_mov_b32_e32 v48, v81
	v_pk_add_f32 v[46:47], v[46:47], v[60:61]
	v_mov_b32_e32 v51, v49
	s_waitcnt lgkmcnt(1)
	v_pk_mul_f32 v[48:49], v[66:67], v[48:49] op_sel_hi:[1,0]
	v_pk_add_f32 v[46:47], v[46:47], v[50:51]
	v_pk_fma_f32 v[50:51], v[66:67], v[80:81], v[48:49] op_sel:[0,0,1] op_sel_hi:[1,1,0] neg_lo:[0,0,1] neg_hi:[0,0,1]
	v_pk_fma_f32 v[48:49], v[66:67], v[80:81], v[48:49] op_sel:[0,0,1] op_sel_hi:[1,0,0]
	s_waitcnt vmcnt(5)
	v_mov_b32_e32 v48, v83
	v_mov_b32_e32 v51, v49
	v_pk_mul_f32 v[48:49], v[68:69], v[48:49] op_sel_hi:[1,0]
	v_pk_add_f32 v[46:47], v[46:47], v[50:51]
	s_waitcnt vmcnt(3)
	v_pk_fma_f32 v[50:51], v[68:69], v[82:83], v[48:49] op_sel:[0,0,1] op_sel_hi:[1,1,0] neg_lo:[0,0,1] neg_hi:[0,0,1]
	v_pk_fma_f32 v[48:49], v[68:69], v[82:83], v[48:49] op_sel:[0,0,1] op_sel_hi:[1,0,0]
	s_waitcnt vmcnt(2)
	v_mov_b32_e32 v48, v85
	v_mov_b32_e32 v51, v49
	s_waitcnt lgkmcnt(0)
	v_pk_mul_f32 v[48:49], v[88:89], v[48:49] op_sel_hi:[1,0]
	v_pk_add_f32 v[46:47], v[46:47], v[50:51]
	v_pk_fma_f32 v[50:51], v[88:89], v[84:85], v[48:49] op_sel:[0,0,1] op_sel_hi:[1,1,0] neg_lo:[0,0,1] neg_hi:[0,0,1]
	v_pk_fma_f32 v[48:49], v[88:89], v[84:85], v[48:49] op_sel:[0,0,1] op_sel_hi:[1,0,0]
	v_mov_b32_e32 v51, v49
	v_pk_add_f32 v[46:47], v[46:47], v[50:51]
	s_waitcnt vmcnt(0)
	v_pk_add_f32 v[46:47], v[86:87], v[46:47] neg_lo:[0,1] neg_hi:[0,1]
	buffer_store_dword v47, off, s[0:3], 0 offset:60
	buffer_store_dword v46, off, s[0:3], 0 offset:56
	s_and_saveexec_b64 s[4:5], vcc
	s_cbranch_execz .LBB20_127
; %bb.126:
	buffer_load_dword v46, off, s[0:3], 0 offset:48
	buffer_load_dword v47, off, s[0:3], 0 offset:52
	s_waitcnt vmcnt(0)
	ds_write_b64 v1, v[46:47]
	buffer_store_dword v44, off, s[0:3], 0 offset:48
	buffer_store_dword v44, off, s[0:3], 0 offset:52
.LBB20_127:
	s_or_b64 exec, exec, s[4:5]
	s_waitcnt lgkmcnt(0)
	; wave barrier
	s_waitcnt lgkmcnt(0)
	buffer_load_dword v92, off, s[0:3], 0 offset:60
	buffer_load_dword v94, off, s[0:3], 0 offset:68
	;; [unrolled: 1-line block ×30, first 2 shown]
	ds_read2_b64 v[46:49], v44 offset0:29 offset1:30
	ds_read2_b64 v[50:53], v44 offset0:31 offset1:32
	;; [unrolled: 1-line block ×7, first 2 shown]
	v_cmp_lt_u32_e32 vcc, 5, v0
	s_waitcnt vmcnt(29) lgkmcnt(6)
	v_mul_f32_e32 v105, v46, v92
	s_waitcnt vmcnt(28)
	v_mul_f32_e32 v106, v48, v94
	s_waitcnt vmcnt(27) lgkmcnt(5)
	v_mul_f32_e32 v107, v50, v95
	v_mul_f32_e32 v95, v51, v95
	s_waitcnt vmcnt(26)
	v_mul_f32_e32 v108, v52, v96
	s_waitcnt vmcnt(25) lgkmcnt(4)
	v_mul_f32_e32 v45, v54, v97
	v_mul_f32_e32 v44, v47, v92
	;; [unrolled: 1-line block ×5, first 2 shown]
	s_waitcnt vmcnt(23)
	v_mov_b32_e32 v94, v75
	s_waitcnt vmcnt(22)
	v_mov_b32_e32 v96, v77
	s_waitcnt vmcnt(18)
	v_fma_f32 v95, v50, v101, -v95
	v_fmac_f32_e32 v105, v47, v99
	v_fmac_f32_e32 v106, v49, v100
	s_waitcnt vmcnt(17)
	v_fmac_f32_e32 v108, v53, v102
	v_fma_f32 v53, v46, v99, -v44
	v_fma_f32 v99, v48, v100, -v92
	s_waitcnt lgkmcnt(3)
	v_pk_mul_f32 v[46:47], v[58:59], v[94:95] op_sel_hi:[1,0]
	v_pk_mul_f32 v[48:49], v[60:61], v[96:97] op_sel_hi:[1,0]
	s_waitcnt vmcnt(16)
	v_fmac_f32_e32 v45, v55, v103
	v_fma_f32 v100, v52, v102, -v109
	v_fma_f32 v44, v54, v103, -v97
	v_add_f32_e32 v94, 0, v105
	v_add_f32_e32 v96, 0, v53
	s_waitcnt vmcnt(14)
	v_pk_fma_f32 v[52:53], v[58:59], v[74:75], v[46:47] op_sel:[0,0,1] op_sel_hi:[1,1,0] neg_lo:[0,0,1] neg_hi:[0,0,1]
	v_pk_fma_f32 v[46:47], v[58:59], v[74:75], v[46:47] op_sel:[0,0,1] op_sel_hi:[1,0,0]
	s_waitcnt vmcnt(10)
	v_pk_fma_f32 v[54:55], v[60:61], v[76:77], v[48:49] op_sel:[0,0,1] op_sel_hi:[1,1,0] neg_lo:[0,0,1] neg_hi:[0,0,1]
	v_pk_fma_f32 v[48:49], v[60:61], v[76:77], v[48:49] op_sel:[0,0,1] op_sel_hi:[1,0,0]
	v_fmac_f32_e32 v107, v51, v101
	v_add_f32_e32 v46, v94, v106
	v_add_f32_e32 v48, v96, v99
	;; [unrolled: 1-line block ×4, first 2 shown]
	v_mul_f32_e32 v93, v56, v98
	v_mul_f32_e32 v110, v57, v98
	v_mov_b32_e32 v53, v47
	v_add_f32_e32 v47, v46, v108
	v_add_f32_e32 v46, v48, v100
	v_mov_b32_e32 v98, v79
	v_fmac_f32_e32 v93, v57, v104
	v_fma_f32 v92, v56, v104, -v110
	v_pk_add_f32 v[44:45], v[46:47], v[44:45]
	s_waitcnt vmcnt(9)
	v_mov_b32_e32 v46, v83
	s_waitcnt lgkmcnt(2)
	v_pk_mul_f32 v[50:51], v[62:63], v[98:99] op_sel_hi:[1,0]
	v_pk_add_f32 v[44:45], v[44:45], v[92:93]
	v_pk_mul_f32 v[46:47], v[64:65], v[46:47] op_sel_hi:[1,0]
	v_pk_fma_f32 v[56:57], v[62:63], v[78:79], v[50:51] op_sel:[0,0,1] op_sel_hi:[1,1,0] neg_lo:[0,0,1] neg_hi:[0,0,1]
	v_pk_fma_f32 v[50:51], v[62:63], v[78:79], v[50:51] op_sel:[0,0,1] op_sel_hi:[1,0,0]
	v_mov_b32_e32 v55, v49
	v_pk_add_f32 v[44:45], v[44:45], v[52:53]
	v_pk_fma_f32 v[48:49], v[64:65], v[82:83], v[46:47] op_sel:[0,0,1] op_sel_hi:[1,1,0] neg_lo:[0,0,1] neg_hi:[0,0,1]
	v_pk_fma_f32 v[46:47], v[64:65], v[82:83], v[46:47] op_sel:[0,0,1] op_sel_hi:[1,0,0]
	v_mov_b32_e32 v57, v51
	v_pk_add_f32 v[44:45], v[44:45], v[54:55]
	s_waitcnt vmcnt(8)
	v_mov_b32_e32 v46, v81
	v_pk_add_f32 v[44:45], v[44:45], v[56:57]
	v_mov_b32_e32 v49, v47
	s_waitcnt lgkmcnt(1)
	v_pk_mul_f32 v[46:47], v[66:67], v[46:47] op_sel_hi:[1,0]
	v_pk_add_f32 v[44:45], v[44:45], v[48:49]
	v_pk_fma_f32 v[48:49], v[66:67], v[80:81], v[46:47] op_sel:[0,0,1] op_sel_hi:[1,1,0] neg_lo:[0,0,1] neg_hi:[0,0,1]
	v_pk_fma_f32 v[46:47], v[66:67], v[80:81], v[46:47] op_sel:[0,0,1] op_sel_hi:[1,0,0]
	s_waitcnt vmcnt(7)
	v_mov_b32_e32 v46, v85
	v_mov_b32_e32 v49, v47
	v_pk_mul_f32 v[46:47], v[68:69], v[46:47] op_sel_hi:[1,0]
	v_pk_add_f32 v[44:45], v[44:45], v[48:49]
	s_waitcnt vmcnt(4)
	v_pk_fma_f32 v[48:49], v[68:69], v[84:85], v[46:47] op_sel:[0,0,1] op_sel_hi:[1,1,0] neg_lo:[0,0,1] neg_hi:[0,0,1]
	v_pk_fma_f32 v[46:47], v[68:69], v[84:85], v[46:47] op_sel:[0,0,1] op_sel_hi:[1,0,0]
	s_waitcnt vmcnt(3)
	v_mov_b32_e32 v46, v89
	v_mov_b32_e32 v49, v47
	s_waitcnt lgkmcnt(0)
	v_pk_mul_f32 v[46:47], v[70:71], v[46:47] op_sel_hi:[1,0]
	v_pk_add_f32 v[44:45], v[44:45], v[48:49]
	v_pk_fma_f32 v[48:49], v[70:71], v[88:89], v[46:47] op_sel:[0,0,1] op_sel_hi:[1,1,0] neg_lo:[0,0,1] neg_hi:[0,0,1]
	v_pk_fma_f32 v[46:47], v[70:71], v[88:89], v[46:47] op_sel:[0,0,1] op_sel_hi:[1,0,0]
	s_waitcnt vmcnt(0)
	v_mov_b32_e32 v46, v87
	v_mov_b32_e32 v49, v47
	v_pk_mul_f32 v[46:47], v[72:73], v[46:47] op_sel_hi:[1,0]
	v_pk_add_f32 v[44:45], v[44:45], v[48:49]
	v_pk_fma_f32 v[48:49], v[72:73], v[86:87], v[46:47] op_sel:[0,0,1] op_sel_hi:[1,1,0] neg_lo:[0,0,1] neg_hi:[0,0,1]
	v_pk_fma_f32 v[46:47], v[72:73], v[86:87], v[46:47] op_sel:[0,0,1] op_sel_hi:[1,0,0]
	v_mov_b32_e32 v49, v47
	v_pk_add_f32 v[44:45], v[44:45], v[48:49]
	v_pk_add_f32 v[44:45], v[90:91], v[44:45] neg_lo:[0,1] neg_hi:[0,1]
	buffer_store_dword v45, off, s[0:3], 0 offset:52
	buffer_store_dword v44, off, s[0:3], 0 offset:48
	s_and_saveexec_b64 s[4:5], vcc
	s_cbranch_execz .LBB20_129
; %bb.128:
	buffer_load_dword v44, off, s[0:3], 0 offset:40
	buffer_load_dword v45, off, s[0:3], 0 offset:44
	v_mov_b32_e32 v46, 0
	buffer_store_dword v46, off, s[0:3], 0 offset:40
	buffer_store_dword v46, off, s[0:3], 0 offset:44
	s_waitcnt vmcnt(2)
	ds_write_b64 v1, v[44:45]
.LBB20_129:
	s_or_b64 exec, exec, s[4:5]
	s_waitcnt lgkmcnt(0)
	; wave barrier
	s_waitcnt lgkmcnt(0)
	buffer_load_dword v45, off, s[0:3], 0 offset:52
	buffer_load_dword v94, off, s[0:3], 0 offset:60
	buffer_load_dword v96, off, s[0:3], 0 offset:68
	buffer_load_dword v98, off, s[0:3], 0 offset:76
	buffer_load_dword v99, off, s[0:3], 0 offset:84
	buffer_load_dword v100, off, s[0:3], 0 offset:92
	buffer_load_dword v101, off, s[0:3], 0 offset:100
	buffer_load_dword v75, off, s[0:3], 0 offset:108
	buffer_load_dword v77, off, s[0:3], 0 offset:116
	buffer_load_dword v102, off, s[0:3], 0 offset:48
	buffer_load_dword v103, off, s[0:3], 0 offset:56
	buffer_load_dword v104, off, s[0:3], 0 offset:64
	buffer_load_dword v105, off, s[0:3], 0 offset:72
	buffer_load_dword v106, off, s[0:3], 0 offset:80
	buffer_load_dword v107, off, s[0:3], 0 offset:88
	buffer_load_dword v108, off, s[0:3], 0 offset:96
	buffer_load_dword v78, off, s[0:3], 0 offset:128
	buffer_load_dword v80, off, s[0:3], 0 offset:120
	buffer_load_dword v76, off, s[0:3], 0 offset:112
	buffer_load_dword v74, off, s[0:3], 0 offset:104
	buffer_load_dword v81, off, s[0:3], 0 offset:124
	buffer_load_dword v79, off, s[0:3], 0 offset:132
	buffer_load_dword v83, off, s[0:3], 0 offset:140
	buffer_load_dword v84, off, s[0:3], 0 offset:160
	buffer_load_dword v86, off, s[0:3], 0 offset:152
	buffer_load_dword v89, off, s[0:3], 0 offset:148
	buffer_load_dword v88, off, s[0:3], 0 offset:144
	buffer_load_dword v82, off, s[0:3], 0 offset:136
	buffer_load_dword v87, off, s[0:3], 0 offset:156
	buffer_load_dword v90, off, s[0:3], 0 offset:40
	buffer_load_dword v91, off, s[0:3], 0 offset:44
	buffer_load_dword v85, off, s[0:3], 0 offset:164
	v_mov_b32_e32 v44, 0
	ds_read_b128 v[46:49], v44 offset:224
	ds_read_b128 v[50:53], v44 offset:240
	;; [unrolled: 1-line block ×7, first 2 shown]
	ds_read_b64 v[92:93], v44 offset:336
	v_cmp_lt_u32_e32 vcc, 4, v0
	s_waitcnt vmcnt(31) lgkmcnt(7)
	v_mul_f32_e32 v109, v46, v45
	v_mul_f32_e32 v45, v47, v45
	s_waitcnt vmcnt(30)
	v_mul_f32_e32 v110, v48, v94
	s_waitcnt vmcnt(28) lgkmcnt(6)
	v_mul_f32_e32 v112, v52, v98
	s_waitcnt vmcnt(27) lgkmcnt(5)
	v_mul_f32_e32 v113, v54, v99
	v_mul_f32_e32 v114, v53, v98
	;; [unrolled: 1-line block ×3, first 2 shown]
	s_waitcnt vmcnt(24)
	v_mov_b32_e32 v98, v75
	v_mul_f32_e32 v111, v50, v96
	v_mul_f32_e32 v94, v49, v94
	s_waitcnt vmcnt(22)
	v_fmac_f32_e32 v109, v47, v102
	v_fma_f32 v45, v46, v102, -v45
	s_waitcnt lgkmcnt(4)
	v_pk_mul_f32 v[46:47], v[60:61], v[98:99] op_sel_hi:[1,0]
	v_mul_f32_e32 v96, v51, v96
	s_waitcnt vmcnt(21)
	v_fmac_f32_e32 v110, v49, v103
	s_waitcnt vmcnt(20)
	v_fmac_f32_e32 v111, v51, v104
	;; [unrolled: 2-line block ×3, first 2 shown]
	v_fma_f32 v51, v48, v103, -v94
	s_waitcnt vmcnt(18)
	v_fma_f32 v53, v54, v106, -v99
	v_add_f32_e32 v54, 0, v109
	v_add_f32_e32 v45, 0, v45
	s_waitcnt vmcnt(12)
	v_pk_fma_f32 v[48:49], v[60:61], v[74:75], v[46:47] op_sel:[0,0,1] op_sel_hi:[1,1,0] neg_lo:[0,0,1] neg_hi:[0,0,1]
	v_pk_fma_f32 v[46:47], v[60:61], v[74:75], v[46:47] op_sel:[0,0,1] op_sel_hi:[1,0,0]
	v_fma_f32 v50, v50, v104, -v96
	v_add_f32_e32 v46, v54, v110
	v_add_f32_e32 v45, v45, v51
	v_fma_f32 v52, v52, v105, -v114
	v_add_f32_e32 v46, v46, v111
	v_add_f32_e32 v45, v45, v50
	v_mul_f32_e32 v95, v56, v100
	v_mul_f32_e32 v115, v57, v100
	v_fmac_f32_e32 v113, v55, v106
	v_add_f32_e32 v46, v46, v112
	v_add_f32_e32 v45, v45, v52
	v_mul_f32_e32 v97, v58, v101
	v_mul_f32_e32 v101, v59, v101
	v_fmac_f32_e32 v95, v57, v107
	v_fma_f32 v94, v56, v107, -v115
	v_mov_b32_e32 v49, v47
	v_add_f32_e32 v47, v46, v113
	v_add_f32_e32 v46, v45, v53
	v_fmac_f32_e32 v97, v59, v108
	v_fma_f32 v96, v58, v108, -v101
	v_pk_add_f32 v[46:47], v[46:47], v[94:95]
	v_mov_b32_e32 v100, v77
	v_pk_add_f32 v[46:47], v[46:47], v[96:97]
	v_pk_add_f32 v[46:47], v[46:47], v[48:49]
	s_waitcnt lgkmcnt(3)
	v_pk_mul_f32 v[48:49], v[62:63], v[100:101] op_sel_hi:[1,0]
	v_pk_fma_f32 v[50:51], v[62:63], v[76:77], v[48:49] op_sel:[0,0,1] op_sel_hi:[1,1,0] neg_lo:[0,0,1] neg_hi:[0,0,1]
	v_pk_fma_f32 v[48:49], v[62:63], v[76:77], v[48:49] op_sel:[0,0,1] op_sel_hi:[1,0,0]
	s_waitcnt vmcnt(11)
	v_mov_b32_e32 v48, v81
	v_mov_b32_e32 v51, v49
	v_pk_mul_f32 v[48:49], v[64:65], v[48:49] op_sel_hi:[1,0]
	v_pk_add_f32 v[46:47], v[46:47], v[50:51]
	v_pk_fma_f32 v[50:51], v[64:65], v[80:81], v[48:49] op_sel:[0,0,1] op_sel_hi:[1,1,0] neg_lo:[0,0,1] neg_hi:[0,0,1]
	v_pk_fma_f32 v[48:49], v[64:65], v[80:81], v[48:49] op_sel:[0,0,1] op_sel_hi:[1,0,0]
	s_waitcnt vmcnt(10)
	v_mov_b32_e32 v48, v79
	v_mov_b32_e32 v51, v49
	s_waitcnt lgkmcnt(2)
	v_pk_mul_f32 v[48:49], v[66:67], v[48:49] op_sel_hi:[1,0]
	v_pk_add_f32 v[46:47], v[46:47], v[50:51]
	v_pk_fma_f32 v[50:51], v[66:67], v[78:79], v[48:49] op_sel:[0,0,1] op_sel_hi:[1,1,0] neg_lo:[0,0,1] neg_hi:[0,0,1]
	v_pk_fma_f32 v[48:49], v[66:67], v[78:79], v[48:49] op_sel:[0,0,1] op_sel_hi:[1,0,0]
	s_waitcnt vmcnt(9)
	v_mov_b32_e32 v48, v83
	v_mov_b32_e32 v51, v49
	v_pk_mul_f32 v[48:49], v[68:69], v[48:49] op_sel_hi:[1,0]
	v_pk_add_f32 v[46:47], v[46:47], v[50:51]
	s_waitcnt vmcnt(4)
	v_pk_fma_f32 v[50:51], v[68:69], v[82:83], v[48:49] op_sel:[0,0,1] op_sel_hi:[1,1,0] neg_lo:[0,0,1] neg_hi:[0,0,1]
	v_pk_fma_f32 v[48:49], v[68:69], v[82:83], v[48:49] op_sel:[0,0,1] op_sel_hi:[1,0,0]
	v_mov_b32_e32 v48, v89
	v_mov_b32_e32 v51, v49
	s_waitcnt lgkmcnt(1)
	v_pk_mul_f32 v[48:49], v[70:71], v[48:49] op_sel_hi:[1,0]
	v_pk_add_f32 v[46:47], v[46:47], v[50:51]
	v_pk_fma_f32 v[50:51], v[70:71], v[88:89], v[48:49] op_sel:[0,0,1] op_sel_hi:[1,1,0] neg_lo:[0,0,1] neg_hi:[0,0,1]
	v_pk_fma_f32 v[48:49], v[70:71], v[88:89], v[48:49] op_sel:[0,0,1] op_sel_hi:[1,0,0]
	s_waitcnt vmcnt(3)
	v_mov_b32_e32 v48, v87
	v_mov_b32_e32 v51, v49
	v_pk_mul_f32 v[48:49], v[72:73], v[48:49] op_sel_hi:[1,0]
	v_pk_add_f32 v[46:47], v[46:47], v[50:51]
	v_pk_fma_f32 v[50:51], v[72:73], v[86:87], v[48:49] op_sel:[0,0,1] op_sel_hi:[1,1,0] neg_lo:[0,0,1] neg_hi:[0,0,1]
	v_pk_fma_f32 v[48:49], v[72:73], v[86:87], v[48:49] op_sel:[0,0,1] op_sel_hi:[1,0,0]
	s_waitcnt vmcnt(0)
	v_mov_b32_e32 v48, v85
	v_mov_b32_e32 v51, v49
	s_waitcnt lgkmcnt(0)
	v_pk_mul_f32 v[48:49], v[92:93], v[48:49] op_sel_hi:[1,0]
	v_pk_add_f32 v[46:47], v[46:47], v[50:51]
	v_pk_fma_f32 v[50:51], v[92:93], v[84:85], v[48:49] op_sel:[0,0,1] op_sel_hi:[1,1,0] neg_lo:[0,0,1] neg_hi:[0,0,1]
	v_pk_fma_f32 v[48:49], v[92:93], v[84:85], v[48:49] op_sel:[0,0,1] op_sel_hi:[1,0,0]
	v_mov_b32_e32 v51, v49
	v_pk_add_f32 v[46:47], v[46:47], v[50:51]
	v_pk_add_f32 v[46:47], v[90:91], v[46:47] neg_lo:[0,1] neg_hi:[0,1]
	buffer_store_dword v47, off, s[0:3], 0 offset:44
	buffer_store_dword v46, off, s[0:3], 0 offset:40
	s_and_saveexec_b64 s[4:5], vcc
	s_cbranch_execz .LBB20_131
; %bb.130:
	buffer_load_dword v46, off, s[0:3], 0 offset:32
	buffer_load_dword v47, off, s[0:3], 0 offset:36
	s_waitcnt vmcnt(0)
	ds_write_b64 v1, v[46:47]
	buffer_store_dword v44, off, s[0:3], 0 offset:32
	buffer_store_dword v44, off, s[0:3], 0 offset:36
.LBB20_131:
	s_or_b64 exec, exec, s[4:5]
	s_waitcnt lgkmcnt(0)
	; wave barrier
	s_waitcnt lgkmcnt(0)
	buffer_load_dword v96, off, s[0:3], 0 offset:44
	buffer_load_dword v98, off, s[0:3], 0 offset:52
	;; [unrolled: 1-line block ×32, first 2 shown]
	ds_read2_b64 v[46:49], v44 offset0:27 offset1:28
	ds_read2_b64 v[50:53], v44 offset0:29 offset1:30
	;; [unrolled: 1-line block ×4, first 2 shown]
	buffer_load_dword v95, off, s[0:3], 0 offset:164
	buffer_load_dword v94, off, s[0:3], 0 offset:160
	ds_read2_b64 v[62:65], v44 offset0:35 offset1:36
	ds_read2_b64 v[66:69], v44 offset0:37 offset1:38
	;; [unrolled: 1-line block ×4, first 2 shown]
	v_cmp_lt_u32_e32 vcc, 3, v0
	s_waitcnt vmcnt(33) lgkmcnt(7)
	v_mul_f32_e32 v113, v46, v96
	v_mul_f32_e32 v44, v47, v96
	s_waitcnt vmcnt(32)
	v_mul_f32_e32 v114, v48, v98
	s_waitcnt vmcnt(31) lgkmcnt(6)
	v_mul_f32_e32 v115, v50, v99
	v_mul_f32_e32 v96, v49, v98
	;; [unrolled: 1-line block ×3, first 2 shown]
	s_waitcnt vmcnt(30)
	v_mul_f32_e32 v99, v53, v100
	v_mul_f32_e32 v116, v52, v100
	s_waitcnt vmcnt(25)
	v_fmac_f32_e32 v113, v47, v105
	v_fma_f32 v46, v46, v105, -v44
	s_waitcnt vmcnt(24)
	v_fmac_f32_e32 v114, v49, v106
	v_fma_f32 v47, v48, v106, -v96
	s_waitcnt vmcnt(22)
	v_fma_f32 v49, v52, v108, -v99
	v_add_f32_e32 v52, 0, v113
	v_add_f32_e32 v46, 0, v46
	v_fmac_f32_e32 v115, v51, v107
	v_fma_f32 v48, v50, v107, -v98
	v_add_f32_e32 v52, v52, v114
	v_add_f32_e32 v46, v46, v47
	s_waitcnt lgkmcnt(5)
	v_mul_f32_e32 v117, v54, v101
	v_mul_f32_e32 v100, v55, v101
	v_fmac_f32_e32 v116, v53, v108
	v_add_f32_e32 v47, v52, v115
	v_add_f32_e32 v46, v46, v48
	v_mul_f32_e32 v118, v56, v102
	v_mul_f32_e32 v101, v57, v102
	s_waitcnt vmcnt(21)
	v_fmac_f32_e32 v117, v55, v109
	v_fma_f32 v50, v54, v109, -v100
	v_add_f32_e32 v47, v47, v116
	v_add_f32_e32 v46, v46, v49
	s_waitcnt lgkmcnt(4)
	v_mul_f32_e32 v45, v58, v103
	v_mul_f32_e32 v102, v59, v103
	s_waitcnt vmcnt(20)
	v_fmac_f32_e32 v118, v57, v110
	v_fma_f32 v51, v56, v110, -v101
	v_add_f32_e32 v47, v47, v117
	v_add_f32_e32 v46, v46, v50
	s_waitcnt vmcnt(19)
	v_fmac_f32_e32 v45, v59, v111
	v_fma_f32 v44, v58, v111, -v102
	v_add_f32_e32 v47, v47, v118
	v_add_f32_e32 v46, v46, v51
	v_pk_add_f32 v[44:45], v[46:47], v[44:45]
	s_waitcnt vmcnt(17)
	v_mov_b32_e32 v46, v79
	s_waitcnt lgkmcnt(3)
	v_pk_mul_f32 v[46:47], v[62:63], v[46:47] op_sel_hi:[1,0]
	v_mul_f32_e32 v97, v60, v104
	v_mul_f32_e32 v103, v61, v104
	s_waitcnt vmcnt(14)
	v_pk_fma_f32 v[48:49], v[62:63], v[78:79], v[46:47] op_sel:[0,0,1] op_sel_hi:[1,1,0] neg_lo:[0,0,1] neg_hi:[0,0,1]
	v_pk_fma_f32 v[46:47], v[62:63], v[78:79], v[46:47] op_sel:[0,0,1] op_sel_hi:[1,0,0]
	v_fmac_f32_e32 v97, v61, v112
	v_fma_f32 v96, v60, v112, -v103
	s_waitcnt vmcnt(13)
	v_mov_b32_e32 v46, v83
	v_pk_add_f32 v[44:45], v[44:45], v[96:97]
	v_mov_b32_e32 v49, v47
	v_pk_mul_f32 v[46:47], v[64:65], v[46:47] op_sel_hi:[1,0]
	v_pk_add_f32 v[44:45], v[44:45], v[48:49]
	v_pk_fma_f32 v[48:49], v[64:65], v[82:83], v[46:47] op_sel:[0,0,1] op_sel_hi:[1,1,0] neg_lo:[0,0,1] neg_hi:[0,0,1]
	v_pk_fma_f32 v[46:47], v[64:65], v[82:83], v[46:47] op_sel:[0,0,1] op_sel_hi:[1,0,0]
	s_waitcnt vmcnt(12)
	v_mov_b32_e32 v46, v81
	v_mov_b32_e32 v49, v47
	s_waitcnt lgkmcnt(2)
	v_pk_mul_f32 v[46:47], v[66:67], v[46:47] op_sel_hi:[1,0]
	v_pk_add_f32 v[44:45], v[44:45], v[48:49]
	v_pk_fma_f32 v[48:49], v[66:67], v[80:81], v[46:47] op_sel:[0,0,1] op_sel_hi:[1,1,0] neg_lo:[0,0,1] neg_hi:[0,0,1]
	v_pk_fma_f32 v[46:47], v[66:67], v[80:81], v[46:47] op_sel:[0,0,1] op_sel_hi:[1,0,0]
	s_waitcnt vmcnt(11)
	v_mov_b32_e32 v46, v85
	v_mov_b32_e32 v49, v47
	v_pk_mul_f32 v[46:47], v[68:69], v[46:47] op_sel_hi:[1,0]
	v_pk_add_f32 v[44:45], v[44:45], v[48:49]
	s_waitcnt vmcnt(5)
	v_pk_fma_f32 v[48:49], v[68:69], v[84:85], v[46:47] op_sel:[0,0,1] op_sel_hi:[1,1,0] neg_lo:[0,0,1] neg_hi:[0,0,1]
	v_pk_fma_f32 v[46:47], v[68:69], v[84:85], v[46:47] op_sel:[0,0,1] op_sel_hi:[1,0,0]
	v_mov_b32_e32 v46, v91
	v_mov_b32_e32 v49, v47
	s_waitcnt lgkmcnt(1)
	v_pk_mul_f32 v[46:47], v[70:71], v[46:47] op_sel_hi:[1,0]
	v_pk_add_f32 v[44:45], v[44:45], v[48:49]
	v_pk_fma_f32 v[48:49], v[70:71], v[90:91], v[46:47] op_sel:[0,0,1] op_sel_hi:[1,1,0] neg_lo:[0,0,1] neg_hi:[0,0,1]
	v_pk_fma_f32 v[46:47], v[70:71], v[90:91], v[46:47] op_sel:[0,0,1] op_sel_hi:[1,0,0]
	v_mov_b32_e32 v46, v89
	v_mov_b32_e32 v49, v47
	v_pk_mul_f32 v[46:47], v[72:73], v[46:47] op_sel_hi:[1,0]
	v_pk_add_f32 v[44:45], v[44:45], v[48:49]
	v_pk_fma_f32 v[48:49], v[72:73], v[88:89], v[46:47] op_sel:[0,0,1] op_sel_hi:[1,1,0] neg_lo:[0,0,1] neg_hi:[0,0,1]
	v_pk_fma_f32 v[46:47], v[72:73], v[88:89], v[46:47] op_sel:[0,0,1] op_sel_hi:[1,0,0]
	s_waitcnt vmcnt(2)
	v_mov_b32_e32 v46, v87
	v_mov_b32_e32 v49, v47
	s_waitcnt lgkmcnt(0)
	v_pk_mul_f32 v[46:47], v[74:75], v[46:47] op_sel_hi:[1,0]
	v_pk_add_f32 v[44:45], v[44:45], v[48:49]
	v_pk_fma_f32 v[48:49], v[74:75], v[86:87], v[46:47] op_sel:[0,0,1] op_sel_hi:[1,1,0] neg_lo:[0,0,1] neg_hi:[0,0,1]
	v_pk_fma_f32 v[46:47], v[74:75], v[86:87], v[46:47] op_sel:[0,0,1] op_sel_hi:[1,0,0]
	s_waitcnt vmcnt(1)
	v_mov_b32_e32 v46, v95
	v_mov_b32_e32 v49, v47
	v_pk_mul_f32 v[46:47], v[76:77], v[46:47] op_sel_hi:[1,0]
	v_pk_add_f32 v[44:45], v[44:45], v[48:49]
	s_waitcnt vmcnt(0)
	v_pk_fma_f32 v[48:49], v[76:77], v[94:95], v[46:47] op_sel:[0,0,1] op_sel_hi:[1,1,0] neg_lo:[0,0,1] neg_hi:[0,0,1]
	v_pk_fma_f32 v[46:47], v[76:77], v[94:95], v[46:47] op_sel:[0,0,1] op_sel_hi:[1,0,0]
	v_mov_b32_e32 v49, v47
	v_pk_add_f32 v[44:45], v[44:45], v[48:49]
	v_pk_add_f32 v[44:45], v[92:93], v[44:45] neg_lo:[0,1] neg_hi:[0,1]
	buffer_store_dword v45, off, s[0:3], 0 offset:36
	buffer_store_dword v44, off, s[0:3], 0 offset:32
	s_and_saveexec_b64 s[4:5], vcc
	s_cbranch_execz .LBB20_133
; %bb.132:
	buffer_load_dword v44, off, s[0:3], 0 offset:24
	buffer_load_dword v45, off, s[0:3], 0 offset:28
	v_mov_b32_e32 v46, 0
	buffer_store_dword v46, off, s[0:3], 0 offset:24
	buffer_store_dword v46, off, s[0:3], 0 offset:28
	s_waitcnt vmcnt(2)
	ds_write_b64 v1, v[44:45]
.LBB20_133:
	s_or_b64 exec, exec, s[4:5]
	s_waitcnt lgkmcnt(0)
	; wave barrier
	s_waitcnt lgkmcnt(0)
	buffer_load_dword v45, off, s[0:3], 0 offset:36
	buffer_load_dword v88, off, s[0:3], 0 offset:44
	;; [unrolled: 1-line block ×36, first 2 shown]
	v_mov_b32_e32 v44, 0
	ds_read_b128 v[46:49], v44 offset:208
	ds_read_b128 v[50:53], v44 offset:224
	;; [unrolled: 1-line block ×6, first 2 shown]
	v_cmp_lt_u32_e32 vcc, 2, v0
	s_waitcnt vmcnt(35) lgkmcnt(5)
	v_mul_f32_e32 v107, v46, v45
	s_waitcnt vmcnt(34)
	v_mul_f32_e32 v108, v48, v88
	s_waitcnt vmcnt(33) lgkmcnt(4)
	v_mul_f32_e32 v109, v50, v90
	v_mul_f32_e32 v45, v47, v45
	;; [unrolled: 1-line block ×4, first 2 shown]
	s_waitcnt vmcnt(32)
	v_mul_f32_e32 v110, v52, v92
	s_waitcnt vmcnt(31) lgkmcnt(3)
	v_mul_f32_e32 v111, v54, v93
	v_mul_f32_e32 v92, v53, v92
	s_waitcnt vmcnt(26)
	v_fmac_f32_e32 v107, v47, v98
	s_waitcnt vmcnt(25)
	v_fmac_f32_e32 v108, v49, v99
	;; [unrolled: 2-line block ×3, first 2 shown]
	v_fma_f32 v45, v46, v98, -v45
	v_add_f32_e32 v51, 0, v107
	v_fma_f32 v46, v48, v99, -v88
	v_add_f32_e32 v45, 0, v45
	v_add_f32_e32 v51, v51, v108
	s_waitcnt vmcnt(23)
	v_fmac_f32_e32 v110, v53, v101
	v_fma_f32 v47, v50, v100, -v90
	v_add_f32_e32 v45, v45, v46
	v_add_f32_e32 v46, v51, v109
	v_mul_f32_e32 v112, v56, v94
	v_mul_f32_e32 v93, v55, v93
	s_waitcnt vmcnt(22)
	v_fmac_f32_e32 v111, v55, v102
	v_fma_f32 v48, v52, v101, -v92
	v_add_f32_e32 v45, v45, v47
	v_add_f32_e32 v46, v46, v110
	s_waitcnt lgkmcnt(2)
	v_mul_f32_e32 v113, v58, v95
	v_mul_f32_e32 v94, v57, v94
	s_waitcnt vmcnt(21)
	v_fmac_f32_e32 v112, v57, v103
	v_fma_f32 v49, v54, v102, -v93
	v_add_f32_e32 v45, v45, v48
	v_add_f32_e32 v46, v46, v111
	v_mul_f32_e32 v95, v59, v95
	s_waitcnt vmcnt(20)
	v_fmac_f32_e32 v113, v59, v104
	v_fma_f32 v50, v56, v103, -v94
	v_add_f32_e32 v45, v45, v49
	v_add_f32_e32 v46, v46, v112
	;; [unrolled: 1-line block ×4, first 2 shown]
	v_fma_f32 v46, v58, v104, -v95
	s_waitcnt vmcnt(17)
	v_mov_b32_e32 v58, v71
	v_mul_f32_e32 v89, v60, v96
	v_add_f32_e32 v54, v45, v46
	v_mul_f32_e32 v45, v61, v96
	s_waitcnt lgkmcnt(1)
	v_pk_mul_f32 v[58:59], v[64:65], v[58:59] op_sel_hi:[1,0]
	v_mul_f32_e32 v91, v62, v97
	v_fmac_f32_e32 v89, v61, v105
	v_fma_f32 v88, v60, v105, -v45
	v_mul_f32_e32 v45, v63, v97
	s_waitcnt vmcnt(15)
	v_pk_fma_f32 v[60:61], v[64:65], v[70:71], v[58:59] op_sel:[0,0,1] op_sel_hi:[1,1,0] neg_lo:[0,0,1] neg_hi:[0,0,1]
	v_pk_fma_f32 v[58:59], v[64:65], v[70:71], v[58:59] op_sel:[0,0,1] op_sel_hi:[1,0,0]
	v_fmac_f32_e32 v91, v63, v106
	v_fma_f32 v90, v62, v106, -v45
	v_pk_add_f32 v[54:55], v[54:55], v[88:89]
	s_waitcnt vmcnt(12)
	v_mov_b32_e32 v58, v73
	v_pk_add_f32 v[54:55], v[54:55], v[90:91]
	v_mov_b32_e32 v61, v59
	s_waitcnt lgkmcnt(0)
	v_pk_mul_f32 v[58:59], v[66:67], v[58:59] op_sel_hi:[1,0]
	v_pk_add_f32 v[54:55], v[54:55], v[60:61]
	v_pk_fma_f32 v[60:61], v[66:67], v[72:73], v[58:59] op_sel:[0,0,1] op_sel_hi:[1,1,0] neg_lo:[0,0,1] neg_hi:[0,0,1]
	v_pk_fma_f32 v[58:59], v[66:67], v[72:73], v[58:59] op_sel:[0,0,1] op_sel_hi:[1,0,0]
	s_waitcnt vmcnt(11)
	v_mov_b32_e32 v58, v77
	ds_read_b128 v[46:49], v44 offset:304
	ds_read_b128 v[50:53], v44 offset:320
	ds_read_b64 v[56:57], v44 offset:336
	v_mov_b32_e32 v61, v59
	v_pk_mul_f32 v[58:59], v[68:69], v[58:59] op_sel_hi:[1,0]
	v_pk_add_f32 v[54:55], v[54:55], v[60:61]
	s_waitcnt vmcnt(4)
	v_pk_fma_f32 v[60:61], v[68:69], v[76:77], v[58:59] op_sel:[0,0,1] op_sel_hi:[1,1,0] neg_lo:[0,0,1] neg_hi:[0,0,1]
	v_pk_fma_f32 v[58:59], v[68:69], v[76:77], v[58:59] op_sel:[0,0,1] op_sel_hi:[1,0,0]
	v_mov_b32_e32 v58, v83
	v_mov_b32_e32 v61, v59
	s_waitcnt lgkmcnt(2)
	v_pk_mul_f32 v[58:59], v[46:47], v[58:59] op_sel_hi:[1,0]
	v_pk_add_f32 v[54:55], v[54:55], v[60:61]
	v_pk_fma_f32 v[60:61], v[46:47], v[82:83], v[58:59] op_sel:[0,0,1] op_sel_hi:[1,1,0] neg_lo:[0,0,1] neg_hi:[0,0,1]
	v_pk_fma_f32 v[46:47], v[46:47], v[82:83], v[58:59] op_sel:[0,0,1] op_sel_hi:[1,0,0]
	v_mov_b32_e32 v61, v47
	v_pk_add_f32 v[46:47], v[54:55], v[60:61]
	v_mov_b32_e32 v54, v81
	v_pk_mul_f32 v[54:55], v[48:49], v[54:55] op_sel_hi:[1,0]
	v_pk_fma_f32 v[58:59], v[48:49], v[80:81], v[54:55] op_sel:[0,0,1] op_sel_hi:[1,1,0] neg_lo:[0,0,1] neg_hi:[0,0,1]
	v_pk_fma_f32 v[48:49], v[48:49], v[80:81], v[54:55] op_sel:[0,0,1] op_sel_hi:[1,0,0]
	v_mov_b32_e32 v48, v79
	v_mov_b32_e32 v59, v49
	s_waitcnt lgkmcnt(1)
	v_pk_mul_f32 v[48:49], v[50:51], v[48:49] op_sel_hi:[1,0]
	v_pk_fma_f32 v[54:55], v[50:51], v[78:79], v[48:49] op_sel:[0,0,1] op_sel_hi:[1,1,0] neg_lo:[0,0,1] neg_hi:[0,0,1]
	v_pk_fma_f32 v[48:49], v[50:51], v[78:79], v[48:49] op_sel:[0,0,1] op_sel_hi:[1,0,0]
	s_waitcnt vmcnt(1)
	v_mov_b32_e32 v48, v87
	v_mov_b32_e32 v55, v49
	v_pk_mul_f32 v[48:49], v[52:53], v[48:49] op_sel_hi:[1,0]
	s_waitcnt vmcnt(0)
	v_pk_fma_f32 v[50:51], v[52:53], v[86:87], v[48:49] op_sel:[0,0,1] op_sel_hi:[1,1,0] neg_lo:[0,0,1] neg_hi:[0,0,1]
	v_pk_fma_f32 v[48:49], v[52:53], v[86:87], v[48:49] op_sel:[0,0,1] op_sel_hi:[1,0,0]
	v_pk_add_f32 v[46:47], v[46:47], v[58:59]
	v_mov_b32_e32 v48, v85
	v_pk_add_f32 v[46:47], v[46:47], v[54:55]
	v_mov_b32_e32 v51, v49
	s_waitcnt lgkmcnt(0)
	v_pk_mul_f32 v[48:49], v[56:57], v[48:49] op_sel_hi:[1,0]
	v_pk_add_f32 v[46:47], v[46:47], v[50:51]
	v_pk_fma_f32 v[50:51], v[56:57], v[84:85], v[48:49] op_sel:[0,0,1] op_sel_hi:[1,1,0] neg_lo:[0,0,1] neg_hi:[0,0,1]
	v_pk_fma_f32 v[48:49], v[56:57], v[84:85], v[48:49] op_sel:[0,0,1] op_sel_hi:[1,0,0]
	v_mov_b32_e32 v51, v49
	v_pk_add_f32 v[46:47], v[46:47], v[50:51]
	v_pk_add_f32 v[46:47], v[74:75], v[46:47] neg_lo:[0,1] neg_hi:[0,1]
	buffer_store_dword v47, off, s[0:3], 0 offset:28
	buffer_store_dword v46, off, s[0:3], 0 offset:24
	s_and_saveexec_b64 s[4:5], vcc
	s_cbranch_execz .LBB20_135
; %bb.134:
	buffer_load_dword v46, off, s[0:3], 0 offset:16
	buffer_load_dword v47, off, s[0:3], 0 offset:20
	s_waitcnt vmcnt(0)
	ds_write_b64 v1, v[46:47]
	buffer_store_dword v44, off, s[0:3], 0 offset:16
	buffer_store_dword v44, off, s[0:3], 0 offset:20
.LBB20_135:
	s_or_b64 exec, exec, s[4:5]
	s_waitcnt lgkmcnt(0)
	; wave barrier
	s_waitcnt lgkmcnt(0)
	buffer_load_dword v45, off, s[0:3], 0 offset:28
	buffer_load_dword v88, off, s[0:3], 0 offset:36
	;; [unrolled: 1-line block ×22, first 2 shown]
	ds_read2_b64 v[46:49], v44 offset0:25 offset1:26
	ds_read2_b64 v[50:53], v44 offset0:27 offset1:28
	buffer_load_dword v73, off, s[0:3], 0 offset:108
	buffer_load_dword v72, off, s[0:3], 0 offset:104
	;; [unrolled: 1-line block ×10, first 2 shown]
	ds_read2_b64 v[54:57], v44 offset0:29 offset1:30
	ds_read2_b64 v[58:61], v44 offset0:31 offset1:32
	;; [unrolled: 1-line block ×4, first 2 shown]
	buffer_load_dword v83, off, s[0:3], 0 offset:164
	buffer_load_dword v82, off, s[0:3], 0 offset:160
	;; [unrolled: 1-line block ×6, first 2 shown]
	v_cmp_lt_u32_e32 vcc, 1, v0
	s_waitcnt vmcnt(37) lgkmcnt(5)
	v_mul_f32_e32 v109, v46, v45
	s_waitcnt vmcnt(36)
	v_mul_f32_e32 v110, v48, v88
	s_waitcnt vmcnt(35) lgkmcnt(4)
	v_mul_f32_e32 v111, v50, v90
	v_mul_f32_e32 v45, v47, v45
	;; [unrolled: 1-line block ×4, first 2 shown]
	s_waitcnt vmcnt(34)
	v_mul_f32_e32 v112, v52, v92
	s_waitcnt vmcnt(33) lgkmcnt(3)
	v_mul_f32_e32 v113, v54, v93
	s_waitcnt vmcnt(32)
	v_mul_f32_e32 v114, v56, v94
	s_waitcnt vmcnt(31) lgkmcnt(2)
	v_mul_f32_e32 v115, v58, v95
	s_waitcnt vmcnt(27)
	v_fmac_f32_e32 v109, v47, v99
	s_waitcnt vmcnt(26)
	v_fmac_f32_e32 v110, v49, v100
	v_fma_f32 v45, v46, v99, -v45
	s_waitcnt vmcnt(25)
	v_fma_f32 v47, v50, v101, -v90
	v_add_f32_e32 v50, 0, v109
	v_fmac_f32_e32 v111, v51, v101
	v_fma_f32 v46, v48, v100, -v88
	v_add_f32_e32 v45, 0, v45
	v_add_f32_e32 v50, v50, v110
	s_waitcnt vmcnt(24)
	v_fmac_f32_e32 v112, v53, v102
	v_add_f32_e32 v45, v45, v46
	v_add_f32_e32 v46, v50, v111
	s_waitcnt vmcnt(23)
	v_fmac_f32_e32 v113, v55, v103
	v_add_f32_e32 v46, v46, v112
	v_mul_f32_e32 v92, v53, v92
	s_waitcnt vmcnt(22)
	v_fmac_f32_e32 v114, v57, v104
	v_add_f32_e32 v46, v46, v113
	v_mul_f32_e32 v116, v60, v96
	v_mul_f32_e32 v93, v55, v93
	s_waitcnt vmcnt(21)
	v_fmac_f32_e32 v115, v59, v105
	v_fma_f32 v48, v52, v102, -v92
	v_add_f32_e32 v45, v45, v47
	v_add_f32_e32 v46, v46, v114
	v_mul_f32_e32 v94, v57, v94
	s_waitcnt vmcnt(20)
	v_fmac_f32_e32 v116, v61, v106
	v_fma_f32 v49, v54, v103, -v93
	v_add_f32_e32 v45, v45, v48
	v_add_f32_e32 v46, v46, v115
	;; [unrolled: 1-line block ×4, first 2 shown]
	v_fma_f32 v46, v56, v104, -v94
	v_add_f32_e32 v45, v45, v46
	v_mul_f32_e32 v46, v59, v95
	v_fma_f32 v46, v58, v105, -v46
	v_add_f32_e32 v45, v45, v46
	v_mul_f32_e32 v46, v61, v96
	v_fma_f32 v46, v60, v106, -v46
	s_waitcnt vmcnt(15)
	v_mov_b32_e32 v58, v73
	s_waitcnt lgkmcnt(1)
	v_mul_f32_e32 v89, v62, v97
	v_add_f32_e32 v92, v45, v46
	v_mul_f32_e32 v45, v63, v97
	s_waitcnt lgkmcnt(0)
	v_pk_mul_f32 v[58:59], v[66:67], v[58:59] op_sel_hi:[1,0]
	v_mul_f32_e32 v91, v64, v98
	v_fmac_f32_e32 v89, v63, v107
	v_fma_f32 v88, v62, v107, -v45
	v_mul_f32_e32 v45, v65, v98
	s_waitcnt vmcnt(14)
	v_pk_fma_f32 v[60:61], v[66:67], v[72:73], v[58:59] op_sel:[0,0,1] op_sel_hi:[1,1,0] neg_lo:[0,0,1] neg_hi:[0,0,1]
	v_pk_fma_f32 v[58:59], v[66:67], v[72:73], v[58:59] op_sel:[0,0,1] op_sel_hi:[1,0,0]
	v_fmac_f32_e32 v91, v65, v108
	v_fma_f32 v90, v64, v108, -v45
	ds_read2_b64 v[46:49], v44 offset0:37 offset1:38
	ds_read2_b64 v[50:53], v44 offset0:39 offset1:40
	;; [unrolled: 1-line block ×3, first 2 shown]
	v_pk_add_f32 v[44:45], v[92:93], v[88:89]
	s_waitcnt vmcnt(13)
	v_mov_b32_e32 v58, v75
	v_pk_add_f32 v[44:45], v[44:45], v[90:91]
	v_mov_b32_e32 v61, v59
	v_pk_mul_f32 v[58:59], v[68:69], v[58:59] op_sel_hi:[1,0]
	v_pk_add_f32 v[44:45], v[44:45], v[60:61]
	s_waitcnt vmcnt(6)
	v_pk_fma_f32 v[60:61], v[68:69], v[74:75], v[58:59] op_sel:[0,0,1] op_sel_hi:[1,1,0] neg_lo:[0,0,1] neg_hi:[0,0,1]
	v_pk_fma_f32 v[58:59], v[68:69], v[74:75], v[58:59] op_sel:[0,0,1] op_sel_hi:[1,0,0]
	v_mov_b32_e32 v58, v81
	v_mov_b32_e32 v61, v59
	s_waitcnt lgkmcnt(2)
	v_pk_mul_f32 v[58:59], v[46:47], v[58:59] op_sel_hi:[1,0]
	v_pk_add_f32 v[44:45], v[44:45], v[60:61]
	v_pk_fma_f32 v[60:61], v[46:47], v[80:81], v[58:59] op_sel:[0,0,1] op_sel_hi:[1,1,0] neg_lo:[0,0,1] neg_hi:[0,0,1]
	v_pk_fma_f32 v[46:47], v[46:47], v[80:81], v[58:59] op_sel:[0,0,1] op_sel_hi:[1,0,0]
	v_mov_b32_e32 v46, v79
	v_mov_b32_e32 v61, v47
	v_pk_mul_f32 v[46:47], v[48:49], v[46:47] op_sel_hi:[1,0]
	v_pk_fma_f32 v[58:59], v[48:49], v[78:79], v[46:47] op_sel:[0,0,1] op_sel_hi:[1,1,0] neg_lo:[0,0,1] neg_hi:[0,0,1]
	v_pk_fma_f32 v[46:47], v[48:49], v[78:79], v[46:47] op_sel:[0,0,1] op_sel_hi:[1,0,0]
	v_mov_b32_e32 v46, v77
	v_mov_b32_e32 v59, v47
	s_waitcnt lgkmcnt(1)
	v_pk_mul_f32 v[46:47], v[50:51], v[46:47] op_sel_hi:[1,0]
	v_pk_fma_f32 v[48:49], v[50:51], v[76:77], v[46:47] op_sel:[0,0,1] op_sel_hi:[1,1,0] neg_lo:[0,0,1] neg_hi:[0,0,1]
	v_pk_fma_f32 v[46:47], v[50:51], v[76:77], v[46:47] op_sel:[0,0,1] op_sel_hi:[1,0,0]
	v_pk_add_f32 v[44:45], v[44:45], v[60:61]
	s_waitcnt vmcnt(1)
	v_mov_b32_e32 v46, v87
	v_pk_add_f32 v[44:45], v[44:45], v[58:59]
	v_mov_b32_e32 v49, v47
	v_pk_mul_f32 v[46:47], v[52:53], v[46:47] op_sel_hi:[1,0]
	v_pk_add_f32 v[44:45], v[44:45], v[48:49]
	s_waitcnt vmcnt(0)
	v_pk_fma_f32 v[48:49], v[52:53], v[86:87], v[46:47] op_sel:[0,0,1] op_sel_hi:[1,1,0] neg_lo:[0,0,1] neg_hi:[0,0,1]
	v_pk_fma_f32 v[46:47], v[52:53], v[86:87], v[46:47] op_sel:[0,0,1] op_sel_hi:[1,0,0]
	v_mov_b32_e32 v46, v85
	v_mov_b32_e32 v49, v47
	s_waitcnt lgkmcnt(0)
	v_pk_mul_f32 v[46:47], v[54:55], v[46:47] op_sel_hi:[1,0]
	v_pk_add_f32 v[44:45], v[44:45], v[48:49]
	v_pk_fma_f32 v[48:49], v[54:55], v[84:85], v[46:47] op_sel:[0,0,1] op_sel_hi:[1,1,0] neg_lo:[0,0,1] neg_hi:[0,0,1]
	v_pk_fma_f32 v[46:47], v[54:55], v[84:85], v[46:47] op_sel:[0,0,1] op_sel_hi:[1,0,0]
	v_mov_b32_e32 v46, v83
	v_mov_b32_e32 v49, v47
	v_pk_mul_f32 v[46:47], v[56:57], v[46:47] op_sel_hi:[1,0]
	v_pk_add_f32 v[44:45], v[44:45], v[48:49]
	v_pk_fma_f32 v[48:49], v[56:57], v[82:83], v[46:47] op_sel:[0,0,1] op_sel_hi:[1,1,0] neg_lo:[0,0,1] neg_hi:[0,0,1]
	v_pk_fma_f32 v[46:47], v[56:57], v[82:83], v[46:47] op_sel:[0,0,1] op_sel_hi:[1,0,0]
	v_mov_b32_e32 v49, v47
	v_pk_add_f32 v[44:45], v[44:45], v[48:49]
	v_pk_add_f32 v[44:45], v[70:71], v[44:45] neg_lo:[0,1] neg_hi:[0,1]
	buffer_store_dword v45, off, s[0:3], 0 offset:20
	buffer_store_dword v44, off, s[0:3], 0 offset:16
	s_and_saveexec_b64 s[4:5], vcc
	s_cbranch_execz .LBB20_137
; %bb.136:
	buffer_load_dword v44, off, s[0:3], 0 offset:8
	buffer_load_dword v45, off, s[0:3], 0 offset:12
	v_mov_b32_e32 v46, 0
	buffer_store_dword v46, off, s[0:3], 0 offset:8
	buffer_store_dword v46, off, s[0:3], 0 offset:12
	s_waitcnt vmcnt(2)
	ds_write_b64 v1, v[44:45]
.LBB20_137:
	s_or_b64 exec, exec, s[4:5]
	s_waitcnt lgkmcnt(0)
	; wave barrier
	s_waitcnt lgkmcnt(0)
	buffer_load_dword v45, off, s[0:3], 0 offset:20
	buffer_load_dword v88, off, s[0:3], 0 offset:28
	;; [unrolled: 1-line block ×40, first 2 shown]
	v_mov_b32_e32 v44, 0
	ds_read_b128 v[46:49], v44 offset:192
	ds_read_b128 v[50:53], v44 offset:208
	;; [unrolled: 1-line block ×6, first 2 shown]
	v_cmp_ne_u32_e32 vcc, 0, v0
	s_waitcnt vmcnt(39) lgkmcnt(5)
	v_mul_f32_e32 v111, v46, v45
	s_waitcnt vmcnt(38)
	v_mul_f32_e32 v112, v48, v88
	v_mul_f32_e32 v45, v47, v45
	s_waitcnt vmcnt(37) lgkmcnt(4)
	v_mul_f32_e32 v113, v50, v90
	v_mul_f32_e32 v88, v49, v88
	s_waitcnt vmcnt(36)
	v_mul_f32_e32 v114, v52, v92
	s_waitcnt vmcnt(35) lgkmcnt(3)
	v_mul_f32_e32 v115, v54, v94
	s_waitcnt vmcnt(34)
	v_mul_f32_e32 v116, v56, v95
	s_waitcnt vmcnt(33) lgkmcnt(2)
	;; [unrolled: 4-line block ×3, first 2 shown]
	v_mul_f32_e32 v119, v62, v98
	s_waitcnt vmcnt(28)
	v_fmac_f32_e32 v111, v47, v93
	s_waitcnt vmcnt(27)
	v_fmac_f32_e32 v112, v49, v101
	v_fma_f32 v45, v46, v93, -v45
	v_add_f32_e32 v49, 0, v111
	s_waitcnt vmcnt(26)
	v_fmac_f32_e32 v113, v51, v102
	v_fma_f32 v46, v48, v101, -v88
	v_add_f32_e32 v45, 0, v45
	v_add_f32_e32 v49, v49, v112
	s_waitcnt vmcnt(25)
	v_fmac_f32_e32 v114, v53, v103
	v_add_f32_e32 v45, v45, v46
	v_add_f32_e32 v46, v49, v113
	s_waitcnt vmcnt(24)
	v_fmac_f32_e32 v115, v55, v104
	v_add_f32_e32 v46, v46, v114
	s_waitcnt vmcnt(23)
	v_fmac_f32_e32 v116, v57, v105
	;; [unrolled: 3-line block ×3, first 2 shown]
	v_add_f32_e32 v46, v46, v116
	v_mul_f32_e32 v90, v51, v90
	s_waitcnt vmcnt(21)
	v_fmac_f32_e32 v118, v61, v107
	v_add_f32_e32 v46, v46, v117
	v_mul_f32_e32 v92, v53, v92
	s_waitcnt vmcnt(20)
	v_fmac_f32_e32 v119, v63, v108
	v_fma_f32 v47, v50, v102, -v90
	v_add_f32_e32 v46, v46, v118
	v_fma_f32 v48, v52, v103, -v92
	v_add_f32_e32 v45, v45, v47
	v_add_f32_e32 v93, v46, v119
	v_mul_f32_e32 v46, v55, v94
	v_add_f32_e32 v45, v45, v48
	v_fma_f32 v46, v54, v104, -v46
	v_add_f32_e32 v45, v45, v46
	v_mul_f32_e32 v46, v57, v95
	v_fma_f32 v46, v56, v105, -v46
	v_add_f32_e32 v45, v45, v46
	v_mul_f32_e32 v46, v59, v96
	;; [unrolled: 3-line block ×4, first 2 shown]
	v_fma_f32 v46, v62, v108, -v46
	s_waitcnt vmcnt(9)
	v_mov_b32_e32 v62, v79
	v_mul_f32_e32 v89, v64, v99
	v_add_f32_e32 v92, v45, v46
	v_mul_f32_e32 v45, v65, v99
	s_waitcnt lgkmcnt(0)
	v_pk_mul_f32 v[62:63], v[68:69], v[62:63] op_sel_hi:[1,0]
	v_mul_f32_e32 v91, v66, v100
	v_fmac_f32_e32 v89, v65, v109
	v_fma_f32 v88, v64, v109, -v45
	v_mul_f32_e32 v45, v67, v100
	ds_read_b128 v[46:49], v44 offset:288
	ds_read_b128 v[50:53], v44 offset:304
	ds_read_b128 v[54:57], v44 offset:320
	ds_read_b64 v[58:59], v44 offset:336
	s_waitcnt vmcnt(8)
	v_pk_fma_f32 v[64:65], v[68:69], v[78:79], v[62:63] op_sel:[0,0,1] op_sel_hi:[1,1,0] neg_lo:[0,0,1] neg_hi:[0,0,1]
	v_pk_fma_f32 v[62:63], v[68:69], v[78:79], v[62:63] op_sel:[0,0,1] op_sel_hi:[1,0,0]
	v_fmac_f32_e32 v91, v67, v110
	v_fma_f32 v90, v66, v110, -v45
	v_pk_add_f32 v[60:61], v[92:93], v[88:89]
	v_mov_b32_e32 v62, v77
	v_pk_add_f32 v[60:61], v[60:61], v[90:91]
	v_mov_b32_e32 v65, v63
	s_waitcnt lgkmcnt(3)
	v_pk_mul_f32 v[62:63], v[46:47], v[62:63] op_sel_hi:[1,0]
	v_pk_add_f32 v[60:61], v[60:61], v[64:65]
	v_pk_fma_f32 v[64:65], v[46:47], v[76:77], v[62:63] op_sel:[0,0,1] op_sel_hi:[1,1,0] neg_lo:[0,0,1] neg_hi:[0,0,1]
	v_pk_fma_f32 v[46:47], v[46:47], v[76:77], v[62:63] op_sel:[0,0,1] op_sel_hi:[1,0,0]
	v_mov_b32_e32 v65, v47
	v_pk_add_f32 v[46:47], v[60:61], v[64:65]
	v_mov_b32_e32 v60, v75
	v_pk_mul_f32 v[60:61], v[48:49], v[60:61] op_sel_hi:[1,0]
	v_pk_fma_f32 v[62:63], v[48:49], v[74:75], v[60:61] op_sel:[0,0,1] op_sel_hi:[1,1,0] neg_lo:[0,0,1] neg_hi:[0,0,1]
	v_pk_fma_f32 v[48:49], v[48:49], v[74:75], v[60:61] op_sel:[0,0,1] op_sel_hi:[1,0,0]
	v_mov_b32_e32 v48, v73
	v_mov_b32_e32 v63, v49
	s_waitcnt lgkmcnt(2)
	v_pk_mul_f32 v[48:49], v[50:51], v[48:49] op_sel_hi:[1,0]
	v_pk_fma_f32 v[60:61], v[50:51], v[72:73], v[48:49] op_sel:[0,0,1] op_sel_hi:[1,1,0] neg_lo:[0,0,1] neg_hi:[0,0,1]
	v_pk_fma_f32 v[48:49], v[50:51], v[72:73], v[48:49] op_sel:[0,0,1] op_sel_hi:[1,0,0]
	s_waitcnt vmcnt(1)
	v_mov_b32_e32 v48, v87
	v_mov_b32_e32 v61, v49
	v_pk_mul_f32 v[48:49], v[52:53], v[48:49] op_sel_hi:[1,0]
	s_waitcnt vmcnt(0)
	v_pk_fma_f32 v[50:51], v[52:53], v[86:87], v[48:49] op_sel:[0,0,1] op_sel_hi:[1,1,0] neg_lo:[0,0,1] neg_hi:[0,0,1]
	v_pk_fma_f32 v[48:49], v[52:53], v[86:87], v[48:49] op_sel:[0,0,1] op_sel_hi:[1,0,0]
	v_pk_add_f32 v[46:47], v[46:47], v[62:63]
	v_mov_b32_e32 v48, v85
	v_pk_add_f32 v[46:47], v[46:47], v[60:61]
	v_mov_b32_e32 v51, v49
	s_waitcnt lgkmcnt(1)
	v_pk_mul_f32 v[48:49], v[54:55], v[48:49] op_sel_hi:[1,0]
	v_pk_add_f32 v[46:47], v[46:47], v[50:51]
	v_pk_fma_f32 v[50:51], v[54:55], v[84:85], v[48:49] op_sel:[0,0,1] op_sel_hi:[1,1,0] neg_lo:[0,0,1] neg_hi:[0,0,1]
	v_pk_fma_f32 v[48:49], v[54:55], v[84:85], v[48:49] op_sel:[0,0,1] op_sel_hi:[1,0,0]
	v_mov_b32_e32 v48, v83
	v_mov_b32_e32 v51, v49
	v_pk_mul_f32 v[48:49], v[56:57], v[48:49] op_sel_hi:[1,0]
	v_pk_add_f32 v[46:47], v[46:47], v[50:51]
	v_pk_fma_f32 v[50:51], v[56:57], v[82:83], v[48:49] op_sel:[0,0,1] op_sel_hi:[1,1,0] neg_lo:[0,0,1] neg_hi:[0,0,1]
	v_pk_fma_f32 v[48:49], v[56:57], v[82:83], v[48:49] op_sel:[0,0,1] op_sel_hi:[1,0,0]
	v_mov_b32_e32 v48, v81
	v_mov_b32_e32 v51, v49
	s_waitcnt lgkmcnt(0)
	v_pk_mul_f32 v[48:49], v[58:59], v[48:49] op_sel_hi:[1,0]
	v_pk_add_f32 v[46:47], v[46:47], v[50:51]
	v_pk_fma_f32 v[50:51], v[58:59], v[80:81], v[48:49] op_sel:[0,0,1] op_sel_hi:[1,1,0] neg_lo:[0,0,1] neg_hi:[0,0,1]
	v_pk_fma_f32 v[48:49], v[58:59], v[80:81], v[48:49] op_sel:[0,0,1] op_sel_hi:[1,0,0]
	v_mov_b32_e32 v51, v49
	v_pk_add_f32 v[46:47], v[46:47], v[50:51]
	v_pk_add_f32 v[46:47], v[70:71], v[46:47] neg_lo:[0,1] neg_hi:[0,1]
	buffer_store_dword v47, off, s[0:3], 0 offset:12
	buffer_store_dword v46, off, s[0:3], 0 offset:8
	s_and_saveexec_b64 s[4:5], vcc
	s_cbranch_execz .LBB20_139
; %bb.138:
	buffer_load_dword v46, off, s[0:3], 0
	buffer_load_dword v47, off, s[0:3], 0 offset:4
	s_waitcnt vmcnt(0)
	ds_write_b64 v1, v[46:47]
	buffer_store_dword v44, off, s[0:3], 0
	buffer_store_dword v44, off, s[0:3], 0 offset:4
.LBB20_139:
	s_or_b64 exec, exec, s[4:5]
	s_waitcnt lgkmcnt(0)
	; wave barrier
	s_waitcnt lgkmcnt(0)
	buffer_load_dword v45, off, s[0:3], 0 offset:12
	buffer_load_dword v86, off, s[0:3], 0 offset:20
	;; [unrolled: 1-line block ×24, first 2 shown]
	buffer_load_dword v0, off, s[0:3], 0
	buffer_load_dword v1, off, s[0:3], 0 offset:4
	ds_read2_b64 v[46:49], v44 offset0:23 offset1:24
	ds_read2_b64 v[50:53], v44 offset0:25 offset1:26
	;; [unrolled: 1-line block ×6, first 2 shown]
	buffer_load_dword v71, off, s[0:3], 0 offset:124
	buffer_load_dword v70, off, s[0:3], 0 offset:120
	;; [unrolled: 1-line block ×16, first 2 shown]
	s_and_b64 vcc, exec, s[20:21]
	s_waitcnt vmcnt(41) lgkmcnt(5)
	v_mul_f32_e32 v111, v46, v45
	s_waitcnt vmcnt(40)
	v_mul_f32_e32 v112, v48, v86
	v_mul_f32_e32 v45, v47, v45
	;; [unrolled: 1-line block ×3, first 2 shown]
	s_waitcnt vmcnt(39) lgkmcnt(4)
	v_mul_f32_e32 v113, v50, v88
	s_waitcnt vmcnt(38)
	v_mul_f32_e32 v114, v52, v90
	s_waitcnt vmcnt(37) lgkmcnt(3)
	v_mul_f32_e32 v115, v54, v92
	s_waitcnt vmcnt(36)
	v_mul_f32_e32 v116, v56, v93
	;; [unrolled: 4-line block ×4, first 2 shown]
	s_waitcnt vmcnt(29)
	v_fmac_f32_e32 v111, v47, v91
	s_waitcnt vmcnt(28)
	v_fmac_f32_e32 v112, v49, v100
	v_fma_f32 v45, v46, v91, -v45
	v_fma_f32 v46, v48, v100, -v86
	v_add_f32_e32 v48, 0, v111
	s_waitcnt vmcnt(27)
	v_fmac_f32_e32 v113, v51, v101
	v_add_f32_e32 v45, 0, v45
	v_add_f32_e32 v48, v48, v112
	s_waitcnt vmcnt(26)
	v_fmac_f32_e32 v114, v53, v102
	v_add_f32_e32 v45, v45, v46
	;; [unrolled: 4-line block ×3, first 2 shown]
	s_waitcnt vmcnt(24)
	v_fmac_f32_e32 v116, v57, v104
	v_add_f32_e32 v46, v46, v115
	s_waitcnt vmcnt(23)
	v_fmac_f32_e32 v117, v59, v105
	v_add_f32_e32 v46, v46, v116
	;; [unrolled: 3-line block ×4, first 2 shown]
	v_mul_f32_e32 v88, v51, v88
	s_waitcnt vmcnt(20)
	v_fmac_f32_e32 v120, v65, v108
	v_add_f32_e32 v46, v46, v119
	v_fma_f32 v47, v50, v101, -v88
	v_add_f32_e32 v91, v46, v120
	v_mul_f32_e32 v46, v53, v90
	v_add_f32_e32 v45, v45, v47
	v_fma_f32 v46, v52, v102, -v46
	v_add_f32_e32 v45, v45, v46
	v_mul_f32_e32 v46, v55, v92
	v_fma_f32 v46, v54, v103, -v46
	v_add_f32_e32 v45, v45, v46
	v_mul_f32_e32 v46, v57, v93
	;; [unrolled: 3-line block ×6, first 2 shown]
	v_fma_f32 v46, v64, v108, -v46
	v_add_f32_e32 v90, v45, v46
	ds_read2_b64 v[46:49], v44 offset0:35 offset1:36
	ds_read2_b64 v[50:53], v44 offset0:37 offset1:38
	;; [unrolled: 1-line block ×4, first 2 shown]
	s_waitcnt vmcnt(11)
	v_mov_b32_e32 v62, v75
	s_waitcnt lgkmcnt(3)
	v_pk_mul_f32 v[62:63], v[46:47], v[62:63] op_sel_hi:[1,0]
	s_waitcnt vmcnt(10)
	v_pk_fma_f32 v[64:65], v[46:47], v[74:75], v[62:63] op_sel:[0,0,1] op_sel_hi:[1,1,0] neg_lo:[0,0,1] neg_hi:[0,0,1]
	v_pk_fma_f32 v[46:47], v[46:47], v[74:75], v[62:63] op_sel:[0,0,1] op_sel_hi:[1,0,0]
	v_mov_b32_e32 v46, v73
	v_mov_b32_e32 v65, v47
	v_pk_mul_f32 v[46:47], v[48:49], v[46:47] op_sel_hi:[1,0]
	v_mul_f32_e32 v87, v66, v98
	v_mul_f32_e32 v45, v67, v98
	v_pk_fma_f32 v[62:63], v[48:49], v[72:73], v[46:47] op_sel:[0,0,1] op_sel_hi:[1,1,0] neg_lo:[0,0,1] neg_hi:[0,0,1]
	v_pk_fma_f32 v[46:47], v[48:49], v[72:73], v[46:47] op_sel:[0,0,1] op_sel_hi:[1,0,0]
	v_mul_f32_e32 v89, v68, v99
	v_fmac_f32_e32 v87, v67, v109
	v_fma_f32 v86, v66, v109, -v45
	v_mul_f32_e32 v45, v69, v99
	v_mov_b32_e32 v46, v71
	v_fmac_f32_e32 v89, v69, v110
	v_fma_f32 v88, v68, v110, -v45
	v_pk_add_f32 v[44:45], v[90:91], v[86:87]
	v_mov_b32_e32 v63, v47
	s_waitcnt lgkmcnt(2)
	v_pk_mul_f32 v[46:47], v[50:51], v[46:47] op_sel_hi:[1,0]
	v_pk_add_f32 v[44:45], v[44:45], v[88:89]
	v_pk_fma_f32 v[48:49], v[50:51], v[70:71], v[46:47] op_sel:[0,0,1] op_sel_hi:[1,1,0] neg_lo:[0,0,1] neg_hi:[0,0,1]
	v_pk_fma_f32 v[46:47], v[50:51], v[70:71], v[46:47] op_sel:[0,0,1] op_sel_hi:[1,0,0]
	v_pk_add_f32 v[44:45], v[44:45], v[64:65]
	s_waitcnt vmcnt(3)
	v_mov_b32_e32 v46, v83
	v_pk_add_f32 v[44:45], v[44:45], v[62:63]
	v_mov_b32_e32 v49, v47
	v_pk_mul_f32 v[46:47], v[52:53], v[46:47] op_sel_hi:[1,0]
	v_pk_add_f32 v[44:45], v[44:45], v[48:49]
	s_waitcnt vmcnt(2)
	v_pk_fma_f32 v[48:49], v[52:53], v[82:83], v[46:47] op_sel:[0,0,1] op_sel_hi:[1,1,0] neg_lo:[0,0,1] neg_hi:[0,0,1]
	v_pk_fma_f32 v[46:47], v[52:53], v[82:83], v[46:47] op_sel:[0,0,1] op_sel_hi:[1,0,0]
	v_mov_b32_e32 v46, v81
	v_mov_b32_e32 v49, v47
	s_waitcnt lgkmcnt(1)
	v_pk_mul_f32 v[46:47], v[54:55], v[46:47] op_sel_hi:[1,0]
	v_pk_add_f32 v[44:45], v[44:45], v[48:49]
	v_pk_fma_f32 v[48:49], v[54:55], v[80:81], v[46:47] op_sel:[0,0,1] op_sel_hi:[1,1,0] neg_lo:[0,0,1] neg_hi:[0,0,1]
	v_pk_fma_f32 v[46:47], v[54:55], v[80:81], v[46:47] op_sel:[0,0,1] op_sel_hi:[1,0,0]
	v_mov_b32_e32 v46, v79
	v_mov_b32_e32 v49, v47
	v_pk_mul_f32 v[46:47], v[56:57], v[46:47] op_sel_hi:[1,0]
	v_pk_add_f32 v[44:45], v[44:45], v[48:49]
	v_pk_fma_f32 v[48:49], v[56:57], v[78:79], v[46:47] op_sel:[0,0,1] op_sel_hi:[1,1,0] neg_lo:[0,0,1] neg_hi:[0,0,1]
	v_pk_fma_f32 v[46:47], v[56:57], v[78:79], v[46:47] op_sel:[0,0,1] op_sel_hi:[1,0,0]
	v_mov_b32_e32 v46, v77
	v_mov_b32_e32 v49, v47
	s_waitcnt lgkmcnt(0)
	v_pk_mul_f32 v[46:47], v[58:59], v[46:47] op_sel_hi:[1,0]
	v_pk_add_f32 v[44:45], v[44:45], v[48:49]
	v_pk_fma_f32 v[48:49], v[58:59], v[76:77], v[46:47] op_sel:[0,0,1] op_sel_hi:[1,1,0] neg_lo:[0,0,1] neg_hi:[0,0,1]
	v_pk_fma_f32 v[46:47], v[58:59], v[76:77], v[46:47] op_sel:[0,0,1] op_sel_hi:[1,0,0]
	s_waitcnt vmcnt(1)
	v_mov_b32_e32 v46, v85
	v_mov_b32_e32 v49, v47
	v_pk_mul_f32 v[46:47], v[60:61], v[46:47] op_sel_hi:[1,0]
	v_pk_add_f32 v[44:45], v[44:45], v[48:49]
	s_waitcnt vmcnt(0)
	v_pk_fma_f32 v[48:49], v[60:61], v[84:85], v[46:47] op_sel:[0,0,1] op_sel_hi:[1,1,0] neg_lo:[0,0,1] neg_hi:[0,0,1]
	v_pk_fma_f32 v[46:47], v[60:61], v[84:85], v[46:47] op_sel:[0,0,1] op_sel_hi:[1,0,0]
	v_mov_b32_e32 v49, v47
	v_pk_add_f32 v[44:45], v[44:45], v[48:49]
	v_pk_add_f32 v[0:1], v[0:1], v[44:45] neg_lo:[0,1] neg_hi:[0,1]
	buffer_store_dword v1, off, s[0:3], 0 offset:4
	buffer_store_dword v0, off, s[0:3], 0
	s_cbranch_vccz .LBB20_181
; %bb.140:
	v_pk_mov_b32 v[0:1], s[10:11], s[10:11] op_sel:[0,1]
	flat_load_dword v0, v[0:1] offset:76
	s_waitcnt vmcnt(0) lgkmcnt(0)
	v_add_u32_e32 v0, -1, v0
	v_cmp_ne_u32_e32 vcc, 19, v0
	s_and_saveexec_b64 s[4:5], vcc
	s_cbranch_execz .LBB20_142
; %bb.141:
	v_mov_b32_e32 v1, 0
	v_lshl_add_u32 v0, v0, 3, v1
	buffer_load_dword v1, v0, s[0:3], 0 offen
	buffer_load_dword v44, v0, s[0:3], 0 offen offset:4
	buffer_load_dword v45, off, s[0:3], 0 offset:152
	buffer_load_dword v46, off, s[0:3], 0 offset:156
	s_waitcnt vmcnt(3)
	buffer_store_dword v1, off, s[0:3], 0 offset:152
	s_waitcnt vmcnt(3)
	buffer_store_dword v44, off, s[0:3], 0 offset:156
	s_waitcnt vmcnt(3)
	buffer_store_dword v45, v0, s[0:3], 0 offen
	s_waitcnt vmcnt(3)
	buffer_store_dword v46, v0, s[0:3], 0 offen offset:4
.LBB20_142:
	s_or_b64 exec, exec, s[4:5]
	v_pk_mov_b32 v[0:1], s[10:11], s[10:11] op_sel:[0,1]
	flat_load_dword v0, v[0:1] offset:72
	s_waitcnt vmcnt(0) lgkmcnt(0)
	v_add_u32_e32 v0, -1, v0
	v_cmp_ne_u32_e32 vcc, 18, v0
	s_and_saveexec_b64 s[4:5], vcc
	s_cbranch_execz .LBB20_144
; %bb.143:
	v_mov_b32_e32 v1, 0
	v_lshl_add_u32 v0, v0, 3, v1
	buffer_load_dword v1, v0, s[0:3], 0 offen
	buffer_load_dword v44, v0, s[0:3], 0 offen offset:4
	buffer_load_dword v45, off, s[0:3], 0 offset:148
	buffer_load_dword v46, off, s[0:3], 0 offset:144
	s_waitcnt vmcnt(3)
	buffer_store_dword v1, off, s[0:3], 0 offset:144
	s_waitcnt vmcnt(3)
	buffer_store_dword v44, off, s[0:3], 0 offset:148
	s_waitcnt vmcnt(3)
	buffer_store_dword v45, v0, s[0:3], 0 offen offset:4
	s_waitcnt vmcnt(3)
	buffer_store_dword v46, v0, s[0:3], 0 offen
.LBB20_144:
	s_or_b64 exec, exec, s[4:5]
	v_pk_mov_b32 v[0:1], s[10:11], s[10:11] op_sel:[0,1]
	flat_load_dword v0, v[0:1] offset:68
	s_waitcnt vmcnt(0) lgkmcnt(0)
	v_add_u32_e32 v0, -1, v0
	v_cmp_ne_u32_e32 vcc, 17, v0
	s_and_saveexec_b64 s[4:5], vcc
	s_cbranch_execz .LBB20_146
; %bb.145:
	v_mov_b32_e32 v1, 0
	v_lshl_add_u32 v0, v0, 3, v1
	buffer_load_dword v1, v0, s[0:3], 0 offen
	buffer_load_dword v44, v0, s[0:3], 0 offen offset:4
	buffer_load_dword v45, off, s[0:3], 0 offset:136
	buffer_load_dword v46, off, s[0:3], 0 offset:140
	s_waitcnt vmcnt(3)
	buffer_store_dword v1, off, s[0:3], 0 offset:136
	s_waitcnt vmcnt(3)
	buffer_store_dword v44, off, s[0:3], 0 offset:140
	s_waitcnt vmcnt(3)
	buffer_store_dword v45, v0, s[0:3], 0 offen
	s_waitcnt vmcnt(3)
	buffer_store_dword v46, v0, s[0:3], 0 offen offset:4
.LBB20_146:
	s_or_b64 exec, exec, s[4:5]
	v_pk_mov_b32 v[0:1], s[10:11], s[10:11] op_sel:[0,1]
	flat_load_dword v0, v[0:1] offset:64
	s_waitcnt vmcnt(0) lgkmcnt(0)
	v_add_u32_e32 v0, -1, v0
	v_cmp_ne_u32_e32 vcc, 16, v0
	s_and_saveexec_b64 s[4:5], vcc
	s_cbranch_execz .LBB20_148
; %bb.147:
	v_mov_b32_e32 v1, 0
	v_lshl_add_u32 v0, v0, 3, v1
	buffer_load_dword v1, v0, s[0:3], 0 offen
	buffer_load_dword v44, v0, s[0:3], 0 offen offset:4
	buffer_load_dword v45, off, s[0:3], 0 offset:132
	buffer_load_dword v46, off, s[0:3], 0 offset:128
	s_waitcnt vmcnt(3)
	buffer_store_dword v1, off, s[0:3], 0 offset:128
	s_waitcnt vmcnt(3)
	buffer_store_dword v44, off, s[0:3], 0 offset:132
	s_waitcnt vmcnt(3)
	buffer_store_dword v45, v0, s[0:3], 0 offen offset:4
	s_waitcnt vmcnt(3)
	buffer_store_dword v46, v0, s[0:3], 0 offen
.LBB20_148:
	s_or_b64 exec, exec, s[4:5]
	;; [unrolled: 48-line block ×9, first 2 shown]
	v_pk_mov_b32 v[0:1], s[10:11], s[10:11] op_sel:[0,1]
	flat_load_dword v0, v[0:1] offset:4
	s_waitcnt vmcnt(0) lgkmcnt(0)
	v_add_u32_e32 v0, -1, v0
	v_cmp_ne_u32_e32 vcc, 1, v0
	s_and_saveexec_b64 s[4:5], vcc
	s_cbranch_execz .LBB20_178
; %bb.177:
	v_mov_b32_e32 v1, 0
	v_lshl_add_u32 v0, v0, 3, v1
	buffer_load_dword v1, v0, s[0:3], 0 offen
	buffer_load_dword v44, v0, s[0:3], 0 offen offset:4
	buffer_load_dword v45, off, s[0:3], 0 offset:8
	buffer_load_dword v46, off, s[0:3], 0 offset:12
	s_waitcnt vmcnt(3)
	buffer_store_dword v1, off, s[0:3], 0 offset:8
	s_waitcnt vmcnt(3)
	buffer_store_dword v44, off, s[0:3], 0 offset:12
	s_waitcnt vmcnt(3)
	buffer_store_dword v45, v0, s[0:3], 0 offen
	s_waitcnt vmcnt(3)
	buffer_store_dword v46, v0, s[0:3], 0 offen offset:4
.LBB20_178:
	s_or_b64 exec, exec, s[4:5]
	v_pk_mov_b32 v[0:1], s[10:11], s[10:11] op_sel:[0,1]
	flat_load_dword v44, v[0:1]
	s_nop 0
	buffer_load_dword v0, off, s[0:3], 0
	buffer_load_dword v1, off, s[0:3], 0 offset:4
	s_waitcnt vmcnt(0) lgkmcnt(0)
	v_add_u32_e32 v44, -1, v44
	v_cmp_ne_u32_e32 vcc, 0, v44
	s_and_saveexec_b64 s[4:5], vcc
	s_cbranch_execz .LBB20_180
; %bb.179:
	v_mov_b32_e32 v45, 0
	v_lshl_add_u32 v44, v44, 3, v45
	buffer_load_dword v45, v44, s[0:3], 0 offen offset:4
	buffer_load_dword v46, v44, s[0:3], 0 offen
	s_waitcnt vmcnt(1)
	buffer_store_dword v45, off, s[0:3], 0 offset:4
	s_waitcnt vmcnt(1)
	buffer_store_dword v46, off, s[0:3], 0
	buffer_store_dword v1, v44, s[0:3], 0 offen offset:4
	buffer_store_dword v0, v44, s[0:3], 0 offen
	buffer_load_dword v0, off, s[0:3], 0
	s_nop 0
	buffer_load_dword v1, off, s[0:3], 0 offset:4
.LBB20_180:
	s_or_b64 exec, exec, s[4:5]
.LBB20_181:
	buffer_load_dword v44, off, s[0:3], 0 offset:8
	buffer_load_dword v45, off, s[0:3], 0 offset:12
	;; [unrolled: 1-line block ×40, first 2 shown]
	s_waitcnt vmcnt(40)
	global_store_dwordx2 v[2:3], v[0:1], off
	s_waitcnt vmcnt(39)
	global_store_dwordx2 v[4:5], v[44:45], off
	;; [unrolled: 2-line block ×21, first 2 shown]
	s_endpgm
	.section	.rodata,"a",@progbits
	.p2align	6, 0x0
	.amdhsa_kernel _ZN9rocsolver6v33100L18getri_kernel_smallILi21E19rocblas_complex_numIfEPS3_EEvT1_iilPiilS6_bb
		.amdhsa_group_segment_fixed_size 344
		.amdhsa_private_segment_fixed_size 176
		.amdhsa_kernarg_size 60
		.amdhsa_user_sgpr_count 8
		.amdhsa_user_sgpr_private_segment_buffer 1
		.amdhsa_user_sgpr_dispatch_ptr 0
		.amdhsa_user_sgpr_queue_ptr 0
		.amdhsa_user_sgpr_kernarg_segment_ptr 1
		.amdhsa_user_sgpr_dispatch_id 0
		.amdhsa_user_sgpr_flat_scratch_init 1
		.amdhsa_user_sgpr_kernarg_preload_length 0
		.amdhsa_user_sgpr_kernarg_preload_offset 0
		.amdhsa_user_sgpr_private_segment_size 0
		.amdhsa_uses_dynamic_stack 0
		.amdhsa_system_sgpr_private_segment_wavefront_offset 1
		.amdhsa_system_sgpr_workgroup_id_x 1
		.amdhsa_system_sgpr_workgroup_id_y 0
		.amdhsa_system_sgpr_workgroup_id_z 0
		.amdhsa_system_sgpr_workgroup_info 0
		.amdhsa_system_vgpr_workitem_id 0
		.amdhsa_next_free_vgpr 121
		.amdhsa_next_free_sgpr 23
		.amdhsa_accum_offset 124
		.amdhsa_reserve_vcc 1
		.amdhsa_reserve_flat_scratch 1
		.amdhsa_float_round_mode_32 0
		.amdhsa_float_round_mode_16_64 0
		.amdhsa_float_denorm_mode_32 3
		.amdhsa_float_denorm_mode_16_64 3
		.amdhsa_dx10_clamp 1
		.amdhsa_ieee_mode 1
		.amdhsa_fp16_overflow 0
		.amdhsa_tg_split 0
		.amdhsa_exception_fp_ieee_invalid_op 0
		.amdhsa_exception_fp_denorm_src 0
		.amdhsa_exception_fp_ieee_div_zero 0
		.amdhsa_exception_fp_ieee_overflow 0
		.amdhsa_exception_fp_ieee_underflow 0
		.amdhsa_exception_fp_ieee_inexact 0
		.amdhsa_exception_int_div_zero 0
	.end_amdhsa_kernel
	.section	.text._ZN9rocsolver6v33100L18getri_kernel_smallILi21E19rocblas_complex_numIfEPS3_EEvT1_iilPiilS6_bb,"axG",@progbits,_ZN9rocsolver6v33100L18getri_kernel_smallILi21E19rocblas_complex_numIfEPS3_EEvT1_iilPiilS6_bb,comdat
.Lfunc_end20:
	.size	_ZN9rocsolver6v33100L18getri_kernel_smallILi21E19rocblas_complex_numIfEPS3_EEvT1_iilPiilS6_bb, .Lfunc_end20-_ZN9rocsolver6v33100L18getri_kernel_smallILi21E19rocblas_complex_numIfEPS3_EEvT1_iilPiilS6_bb
                                        ; -- End function
	.section	.AMDGPU.csdata,"",@progbits
; Kernel info:
; codeLenInByte = 25284
; NumSgprs: 29
; NumVgprs: 121
; NumAgprs: 0
; TotalNumVgprs: 121
; ScratchSize: 176
; MemoryBound: 0
; FloatMode: 240
; IeeeMode: 1
; LDSByteSize: 344 bytes/workgroup (compile time only)
; SGPRBlocks: 3
; VGPRBlocks: 15
; NumSGPRsForWavesPerEU: 29
; NumVGPRsForWavesPerEU: 121
; AccumOffset: 124
; Occupancy: 4
; WaveLimiterHint : 1
; COMPUTE_PGM_RSRC2:SCRATCH_EN: 1
; COMPUTE_PGM_RSRC2:USER_SGPR: 8
; COMPUTE_PGM_RSRC2:TRAP_HANDLER: 0
; COMPUTE_PGM_RSRC2:TGID_X_EN: 1
; COMPUTE_PGM_RSRC2:TGID_Y_EN: 0
; COMPUTE_PGM_RSRC2:TGID_Z_EN: 0
; COMPUTE_PGM_RSRC2:TIDIG_COMP_CNT: 0
; COMPUTE_PGM_RSRC3_GFX90A:ACCUM_OFFSET: 30
; COMPUTE_PGM_RSRC3_GFX90A:TG_SPLIT: 0
	.section	.text._ZN9rocsolver6v33100L18getri_kernel_smallILi22E19rocblas_complex_numIfEPS3_EEvT1_iilPiilS6_bb,"axG",@progbits,_ZN9rocsolver6v33100L18getri_kernel_smallILi22E19rocblas_complex_numIfEPS3_EEvT1_iilPiilS6_bb,comdat
	.globl	_ZN9rocsolver6v33100L18getri_kernel_smallILi22E19rocblas_complex_numIfEPS3_EEvT1_iilPiilS6_bb ; -- Begin function _ZN9rocsolver6v33100L18getri_kernel_smallILi22E19rocblas_complex_numIfEPS3_EEvT1_iilPiilS6_bb
	.p2align	8
	.type	_ZN9rocsolver6v33100L18getri_kernel_smallILi22E19rocblas_complex_numIfEPS3_EEvT1_iilPiilS6_bb,@function
_ZN9rocsolver6v33100L18getri_kernel_smallILi22E19rocblas_complex_numIfEPS3_EEvT1_iilPiilS6_bb: ; @_ZN9rocsolver6v33100L18getri_kernel_smallILi22E19rocblas_complex_numIfEPS3_EEvT1_iilPiilS6_bb
; %bb.0:
	s_add_u32 flat_scratch_lo, s6, s9
	s_addc_u32 flat_scratch_hi, s7, 0
	s_add_u32 s0, s0, s9
	s_addc_u32 s1, s1, 0
	v_cmp_gt_u32_e32 vcc, 22, v0
	s_and_saveexec_b64 s[6:7], vcc
	s_cbranch_execz .LBB21_102
; %bb.1:
	s_load_dword s22, s[4:5], 0x38
	s_load_dwordx4 s[16:19], s[4:5], 0x10
	s_load_dwordx4 s[12:15], s[4:5], 0x28
                                        ; implicit-def: $sgpr10_sgpr11
	s_waitcnt lgkmcnt(0)
	s_bitcmp1_b32 s22, 8
	s_cselect_b64 s[20:21], -1, 0
	s_ashr_i32 s9, s8, 31
	s_bfe_u32 s6, s22, 0x10008
	s_cmp_eq_u32 s6, 0
	s_cbranch_scc1 .LBB21_3
; %bb.2:
	s_load_dword s6, s[4:5], 0x20
	s_mul_i32 s7, s8, s13
	s_mul_hi_u32 s10, s8, s12
	s_mul_i32 s11, s9, s12
	s_add_i32 s10, s10, s7
	s_add_i32 s11, s10, s11
	s_mul_i32 s10, s8, s12
	s_waitcnt lgkmcnt(0)
	s_ashr_i32 s7, s6, 31
	s_lshl_b64 s[10:11], s[10:11], 2
	s_add_u32 s10, s18, s10
	s_addc_u32 s11, s19, s11
	s_lshl_b64 s[6:7], s[6:7], 2
	s_add_u32 s10, s10, s6
	s_addc_u32 s11, s11, s7
.LBB21_3:
	s_load_dwordx4 s[4:7], s[4:5], 0x0
	s_mul_i32 s12, s8, s17
	s_mul_hi_u32 s13, s8, s16
	s_add_i32 s17, s13, s12
	v_lshlrev_b32_e32 v56, 3, v0
	s_waitcnt lgkmcnt(0)
	s_ashr_i32 s13, s6, 31
	s_mov_b32 s12, s6
	s_mul_i32 s6, s9, s16
	s_add_i32 s17, s17, s6
	s_mul_i32 s16, s8, s16
	s_lshl_b64 s[16:17], s[16:17], 3
	s_add_u32 s6, s4, s16
	s_addc_u32 s16, s5, s17
	s_lshl_b64 s[4:5], s[12:13], 3
	s_add_u32 s4, s6, s4
	s_addc_u32 s5, s16, s5
	v_mov_b32_e32 v1, s5
	v_add_co_u32_e32 v4, vcc, s4, v56
	s_ashr_i32 s13, s7, 31
	s_mov_b32 s12, s7
	s_add_i32 s6, s7, s7
	v_addc_co_u32_e32 v5, vcc, 0, v1, vcc
	s_lshl_b64 s[12:13], s[12:13], 3
	v_add_u32_e32 v10, s6, v0
	v_mov_b32_e32 v1, s13
	v_add_co_u32_e32 v6, vcc, s12, v4
	v_ashrrev_i32_e32 v11, 31, v10
	v_addc_co_u32_e32 v7, vcc, v5, v1, vcc
	v_lshlrev_b64 v[8:9], 3, v[10:11]
	v_add_u32_e32 v12, s7, v10
	v_mov_b32_e32 v1, s5
	v_add_co_u32_e32 v8, vcc, s4, v8
	v_ashrrev_i32_e32 v13, 31, v12
	v_addc_co_u32_e32 v9, vcc, v1, v9, vcc
	v_lshlrev_b64 v[10:11], 3, v[12:13]
	v_add_u32_e32 v14, s7, v12
	v_add_co_u32_e32 v10, vcc, s4, v10
	v_ashrrev_i32_e32 v15, 31, v14
	v_addc_co_u32_e32 v11, vcc, v1, v11, vcc
	v_lshlrev_b64 v[12:13], 3, v[14:15]
	v_add_u32_e32 v16, s7, v14
	;; [unrolled: 5-line block ×5, first 2 shown]
	v_add_co_u32_e32 v18, vcc, s4, v18
	v_ashrrev_i32_e32 v21, 31, v20
	v_addc_co_u32_e32 v19, vcc, v1, v19, vcc
	v_add_u32_e32 v22, s7, v20
	v_lshlrev_b64 v[20:21], 3, v[20:21]
	v_mov_b32_e32 v23, s5
	v_add_co_u32_e32 v20, vcc, s4, v20
	v_addc_co_u32_e32 v21, vcc, v23, v21, vcc
	v_ashrrev_i32_e32 v23, 31, v22
	v_add_u32_e32 v24, s7, v22
	v_lshlrev_b64 v[22:23], 3, v[22:23]
	v_mov_b32_e32 v25, s5
	v_add_co_u32_e32 v22, vcc, s4, v22
	v_addc_co_u32_e32 v23, vcc, v25, v23, vcc
	v_ashrrev_i32_e32 v25, 31, v24
	;; [unrolled: 6-line block ×12, first 2 shown]
	v_add_u32_e32 v46, s7, v44
	v_lshlrev_b64 v[44:45], 3, v[44:45]
	v_mov_b32_e32 v57, s5
	v_add_co_u32_e32 v44, vcc, s4, v44
	global_load_dwordx2 v[2:3], v56, s[4:5]
	global_load_dwordx2 v[54:55], v[6:7], off
	global_load_dwordx2 v[50:51], v[8:9], off
	;; [unrolled: 1-line block ×16, first 2 shown]
	v_addc_co_u32_e32 v45, vcc, v57, v45, vcc
	global_load_dwordx2 v[82:83], v[38:39], off
	global_load_dwordx2 v[84:85], v[40:41], off
	;; [unrolled: 1-line block ×4, first 2 shown]
	v_ashrrev_i32_e32 v47, 31, v46
	v_lshlrev_b64 v[46:47], 3, v[46:47]
	v_add_co_u32_e32 v46, vcc, s4, v46
	v_addc_co_u32_e32 v47, vcc, v1, v47, vcc
	global_load_dwordx2 v[90:91], v[46:47], off
	s_bitcmp0_b32 s22, 0
	s_mov_b64 s[6:7], -1
	s_waitcnt vmcnt(21)
	buffer_store_dword v3, off, s[0:3], 0 offset:4
	buffer_store_dword v2, off, s[0:3], 0
	s_waitcnt vmcnt(22)
	buffer_store_dword v55, off, s[0:3], 0 offset:12
	buffer_store_dword v54, off, s[0:3], 0 offset:8
	s_waitcnt vmcnt(23)
	buffer_store_dword v51, off, s[0:3], 0 offset:20
	buffer_store_dword v50, off, s[0:3], 0 offset:16
	;; [unrolled: 3-line block ×21, first 2 shown]
	s_cbranch_scc1 .LBB21_100
; %bb.4:
	v_cmp_eq_u32_e64 s[4:5], 0, v0
	s_and_saveexec_b64 s[6:7], s[4:5]
	s_cbranch_execz .LBB21_6
; %bb.5:
	v_mov_b32_e32 v1, 0
	ds_write_b32 v1, v1 offset:352
.LBB21_6:
	s_or_b64 exec, exec, s[6:7]
	v_mov_b32_e32 v1, 0
	v_lshl_add_u32 v50, v0, 3, v1
	s_waitcnt lgkmcnt(0)
	; wave barrier
	s_waitcnt lgkmcnt(0)
	buffer_load_dword v1, v50, s[0:3], 0 offen
	buffer_load_dword v2, v50, s[0:3], 0 offen offset:4
	s_waitcnt vmcnt(1)
	v_cmp_eq_f32_e32 vcc, 0, v1
	s_waitcnt vmcnt(0)
	v_cmp_eq_f32_e64 s[6:7], 0, v2
	s_and_b64 s[6:7], vcc, s[6:7]
	s_and_saveexec_b64 s[12:13], s[6:7]
	s_cbranch_execz .LBB21_10
; %bb.7:
	v_mov_b32_e32 v1, 0
	ds_read_b32 v3, v1 offset:352
	v_add_u32_e32 v2, 1, v0
	s_waitcnt lgkmcnt(0)
	v_readfirstlane_b32 s6, v3
	s_cmp_eq_u32 s6, 0
	s_cselect_b64 s[16:17], -1, 0
	v_cmp_gt_i32_e32 vcc, s6, v2
	s_or_b64 s[16:17], s[16:17], vcc
	s_and_b64 exec, exec, s[16:17]
	s_cbranch_execz .LBB21_10
; %bb.8:
	s_mov_b64 s[16:17], 0
	v_mov_b32_e32 v3, s6
.LBB21_9:                               ; =>This Inner Loop Header: Depth=1
	ds_cmpst_rtn_b32 v3, v1, v3, v2 offset:352
	s_waitcnt lgkmcnt(0)
	v_cmp_ne_u32_e32 vcc, 0, v3
	v_cmp_le_i32_e64 s[6:7], v3, v2
	s_and_b64 s[6:7], vcc, s[6:7]
	s_and_b64 s[6:7], exec, s[6:7]
	s_or_b64 s[16:17], s[6:7], s[16:17]
	s_andn2_b64 exec, exec, s[16:17]
	s_cbranch_execnz .LBB21_9
.LBB21_10:
	s_or_b64 exec, exec, s[12:13]
	v_mov_b32_e32 v2, 0
	s_waitcnt lgkmcnt(0)
	; wave barrier
	ds_read_b32 v1, v2 offset:352
	s_and_saveexec_b64 s[6:7], s[4:5]
	s_cbranch_execz .LBB21_12
; %bb.11:
	s_lshl_b64 s[12:13], s[8:9], 2
	s_add_u32 s12, s14, s12
	s_addc_u32 s13, s15, s13
	s_waitcnt lgkmcnt(0)
	global_store_dword v2, v1, s[12:13]
.LBB21_12:
	s_or_b64 exec, exec, s[6:7]
	s_waitcnt lgkmcnt(0)
	v_cmp_ne_u32_e32 vcc, 0, v1
	s_mov_b64 s[6:7], 0
	s_cbranch_vccnz .LBB21_100
; %bb.13:
	buffer_load_dword v51, v50, s[0:3], 0 offen offset:4
	buffer_load_dword v3, v50, s[0:3], 0 offen
	s_waitcnt vmcnt(1)
	v_cmp_gt_f32_e32 vcc, 0, v51
	v_cndmask_b32_e64 v1, v51, -v51, vcc
	s_waitcnt vmcnt(0)
	v_cmp_gt_f32_e32 vcc, 0, v3
	v_cndmask_b32_e64 v2, v3, -v3, vcc
	v_cmp_ngt_f32_e32 vcc, v2, v1
                                        ; implicit-def: $vgpr1
                                        ; implicit-def: $vgpr2
	s_and_saveexec_b64 s[6:7], vcc
	s_xor_b64 s[6:7], exec, s[6:7]
                                        ; implicit-def: $vgpr48_vgpr49
	s_cbranch_execz .LBB21_15
; %bb.14:
	v_div_scale_f32 v1, s[12:13], v51, v51, v3
	v_rcp_f32_e32 v2, v1
	v_div_scale_f32 v48, vcc, v3, v51, v3
	v_fma_f32 v49, -v1, v2, 1.0
	v_fmac_f32_e32 v2, v49, v2
	v_mul_f32_e32 v49, v48, v2
	v_fma_f32 v52, -v1, v49, v48
	v_fmac_f32_e32 v49, v52, v2
	v_fma_f32 v1, -v1, v49, v48
	v_div_fmas_f32 v1, v1, v2, v49
	v_div_fixup_f32 v2, v1, v51, v3
	v_fmac_f32_e32 v51, v3, v2
	v_div_scale_f32 v1, s[12:13], v51, v51, -1.0
	v_rcp_f32_e32 v3, v1
	v_fma_f32 v48, -v1, v3, 1.0
	v_fmac_f32_e32 v3, v48, v3
	v_div_scale_f32 v48, vcc, -1.0, v51, -1.0
	v_mul_f32_e32 v49, v48, v3
	v_fma_f32 v52, -v1, v49, v48
	v_fmac_f32_e32 v49, v52, v3
	v_fma_f32 v1, -v1, v49, v48
	v_div_fmas_f32 v1, v1, v3, v49
	v_div_fixup_f32 v1, v1, v51, -1.0
	v_mul_f32_e32 v2, v2, v1
	v_xor_b32_e32 v48, 0x80000000, v2
                                        ; implicit-def: $vgpr3
                                        ; implicit-def: $vgpr51
.LBB21_15:
	s_andn2_saveexec_b64 s[6:7], s[6:7]
	s_cbranch_execz .LBB21_17
; %bb.16:
	v_div_scale_f32 v1, s[12:13], v3, v3, v51
	v_rcp_f32_e32 v2, v1
	v_div_scale_f32 v48, vcc, v51, v3, v51
	v_fma_f32 v49, -v1, v2, 1.0
	v_fmac_f32_e32 v2, v49, v2
	v_mul_f32_e32 v49, v48, v2
	v_fma_f32 v52, -v1, v49, v48
	v_fmac_f32_e32 v49, v52, v2
	v_fma_f32 v1, -v1, v49, v48
	v_div_fmas_f32 v1, v1, v2, v49
	v_div_fixup_f32 v1, v1, v3, v51
	v_fmac_f32_e32 v3, v51, v1
	v_div_scale_f32 v2, s[12:13], v3, v3, 1.0
	v_rcp_f32_e32 v48, v2
	v_fma_f32 v49, -v2, v48, 1.0
	v_fmac_f32_e32 v48, v49, v48
	v_div_scale_f32 v49, vcc, 1.0, v3, 1.0
	v_mul_f32_e32 v51, v49, v48
	v_fma_f32 v52, -v2, v51, v49
	v_fmac_f32_e32 v51, v52, v48
	v_fma_f32 v2, -v2, v51, v49
	v_div_fmas_f32 v2, v2, v48, v51
	v_div_fixup_f32 v48, v2, v3, 1.0
	v_xor_b32_e32 v2, 0x80000000, v48
	v_mul_f32_e64 v1, v1, -v48
.LBB21_17:
	s_or_b64 exec, exec, s[6:7]
	buffer_store_dword v1, v50, s[0:3], 0 offen offset:4
	buffer_store_dword v48, v50, s[0:3], 0 offen
	buffer_load_dword v49, off, s[0:3], 0 offset:12
	s_nop 0
	buffer_load_dword v48, off, s[0:3], 0 offset:8
	v_xor_b32_e32 v3, 0x80000000, v1
	v_add_u32_e32 v1, 0xb0, v56
	s_waitcnt vmcnt(0)
	ds_write2_b64 v56, v[2:3], v[48:49] offset1:22
	s_waitcnt lgkmcnt(0)
	; wave barrier
	s_waitcnt lgkmcnt(0)
	s_and_saveexec_b64 s[6:7], s[4:5]
	s_cbranch_execz .LBB21_19
; %bb.18:
	buffer_load_dword v51, v50, s[0:3], 0 offen offset:4
	buffer_load_dword v52, v50, s[0:3], 0 offen
	ds_read_b64 v[2:3], v1
	v_mov_b32_e32 v48, 0
	ds_read_b64 v[48:49], v48 offset:8
	s_waitcnt vmcnt(1) lgkmcnt(1)
	v_mul_f32_e32 v53, v3, v51
	v_mul_f32_e32 v51, v2, v51
	s_waitcnt vmcnt(0)
	v_fmac_f32_e32 v51, v3, v52
	v_fma_f32 v2, v2, v52, -v53
	v_add_f32_e32 v3, 0, v51
	v_add_f32_e32 v2, 0, v2
	s_waitcnt lgkmcnt(0)
	v_mul_f32_e32 v51, v3, v49
	v_mul_f32_e32 v49, v2, v49
	v_fma_f32 v2, v2, v48, -v51
	v_fmac_f32_e32 v49, v3, v48
	buffer_store_dword v2, off, s[0:3], 0 offset:8
	buffer_store_dword v49, off, s[0:3], 0 offset:12
.LBB21_19:
	s_or_b64 exec, exec, s[6:7]
	s_waitcnt lgkmcnt(0)
	; wave barrier
	buffer_load_dword v2, off, s[0:3], 0 offset:16
	buffer_load_dword v3, off, s[0:3], 0 offset:20
	v_cmp_gt_u32_e32 vcc, 2, v0
	s_waitcnt vmcnt(0)
	ds_write_b64 v1, v[2:3]
	s_waitcnt lgkmcnt(0)
	; wave barrier
	s_waitcnt lgkmcnt(0)
	s_and_saveexec_b64 s[6:7], vcc
	s_cbranch_execz .LBB21_23
; %bb.20:
	buffer_load_dword v48, v50, s[0:3], 0 offen offset:4
	buffer_load_dword v49, v50, s[0:3], 0 offen
	ds_read_b64 v[2:3], v1
	s_waitcnt vmcnt(1) lgkmcnt(0)
	v_mul_f32_e32 v50, v3, v48
	v_mul_f32_e32 v48, v2, v48
	s_waitcnt vmcnt(0)
	v_fma_f32 v2, v2, v49, -v50
	v_fmac_f32_e32 v48, v3, v49
	v_add_f32_e32 v3, 0, v2
	v_add_f32_e32 v2, 0, v48
	s_and_saveexec_b64 s[12:13], s[4:5]
	s_cbranch_execz .LBB21_22
; %bb.21:
	buffer_load_dword v50, off, s[0:3], 0 offset:12
	buffer_load_dword v51, off, s[0:3], 0 offset:8
	v_mov_b32_e32 v48, 0
	ds_read_b64 v[48:49], v48 offset:184
	s_waitcnt vmcnt(1) lgkmcnt(0)
	v_mul_f32_e32 v52, v48, v50
	v_mul_f32_e32 v50, v49, v50
	s_waitcnt vmcnt(0)
	v_fmac_f32_e32 v52, v49, v51
	v_fma_f32 v48, v48, v51, -v50
	v_add_f32_e32 v2, v2, v52
	v_add_f32_e32 v3, v3, v48
.LBB21_22:
	s_or_b64 exec, exec, s[12:13]
	v_mov_b32_e32 v48, 0
	ds_read_b64 v[48:49], v48 offset:16
	s_waitcnt lgkmcnt(0)
	v_mul_f32_e32 v50, v2, v49
	v_mul_f32_e32 v49, v3, v49
	v_fma_f32 v3, v3, v48, -v50
	v_fmac_f32_e32 v49, v2, v48
	buffer_store_dword v3, off, s[0:3], 0 offset:16
	buffer_store_dword v49, off, s[0:3], 0 offset:20
.LBB21_23:
	s_or_b64 exec, exec, s[6:7]
	s_waitcnt lgkmcnt(0)
	; wave barrier
	buffer_load_dword v2, off, s[0:3], 0 offset:24
	buffer_load_dword v3, off, s[0:3], 0 offset:28
	v_cmp_gt_u32_e32 vcc, 3, v0
	s_waitcnt vmcnt(0)
	ds_write_b64 v1, v[2:3]
	v_add_u32_e32 v2, -1, v0
	s_waitcnt lgkmcnt(0)
	; wave barrier
	s_waitcnt lgkmcnt(0)
	s_and_saveexec_b64 s[4:5], vcc
	s_cbranch_execz .LBB21_27
; %bb.24:
	v_add_u32_e32 v48, -1, v0
	v_add_u32_e32 v49, 0xb0, v56
	v_add_u32_e32 v50, 0, v56
	s_mov_b64 s[6:7], 0
	v_mov_b32_e32 v3, 0
	v_mov_b32_e32 v51, 0
.LBB21_25:                              ; =>This Inner Loop Header: Depth=1
	buffer_load_dword v54, v50, s[0:3], 0 offen offset:4
	buffer_load_dword v55, v50, s[0:3], 0 offen
	ds_read_b64 v[52:53], v49
	v_add_u32_e32 v48, 1, v48
	v_cmp_lt_u32_e32 vcc, 1, v48
	v_add_u32_e32 v49, 8, v49
	v_add_u32_e32 v50, 8, v50
	s_or_b64 s[6:7], vcc, s[6:7]
	s_waitcnt vmcnt(1) lgkmcnt(0)
	v_mul_f32_e32 v57, v53, v54
	v_mul_f32_e32 v54, v52, v54
	s_waitcnt vmcnt(0)
	v_fma_f32 v52, v52, v55, -v57
	v_fmac_f32_e32 v54, v53, v55
	v_add_f32_e32 v51, v51, v52
	v_add_f32_e32 v3, v3, v54
	s_andn2_b64 exec, exec, s[6:7]
	s_cbranch_execnz .LBB21_25
; %bb.26:
	s_or_b64 exec, exec, s[6:7]
	v_mov_b32_e32 v48, 0
	ds_read_b64 v[48:49], v48 offset:24
	s_waitcnt lgkmcnt(0)
	v_mul_f32_e32 v50, v3, v49
	v_mul_f32_e32 v49, v51, v49
	v_fma_f32 v50, v51, v48, -v50
	v_fmac_f32_e32 v49, v3, v48
	buffer_store_dword v50, off, s[0:3], 0 offset:24
	buffer_store_dword v49, off, s[0:3], 0 offset:28
.LBB21_27:
	s_or_b64 exec, exec, s[4:5]
	s_waitcnt lgkmcnt(0)
	; wave barrier
	buffer_load_dword v48, off, s[0:3], 0 offset:32
	buffer_load_dword v49, off, s[0:3], 0 offset:36
	v_cmp_gt_u32_e32 vcc, 4, v0
	s_waitcnt vmcnt(0)
	ds_write_b64 v1, v[48:49]
	s_waitcnt lgkmcnt(0)
	; wave barrier
	s_waitcnt lgkmcnt(0)
	s_and_saveexec_b64 s[4:5], vcc
	s_cbranch_execz .LBB21_31
; %bb.28:
	v_add_u32_e32 v48, -1, v0
	v_add_u32_e32 v49, 0xb0, v56
	v_add_u32_e32 v50, 0, v56
	s_mov_b64 s[6:7], 0
	v_mov_b32_e32 v3, 0
	v_mov_b32_e32 v51, 0
.LBB21_29:                              ; =>This Inner Loop Header: Depth=1
	buffer_load_dword v54, v50, s[0:3], 0 offen offset:4
	buffer_load_dword v55, v50, s[0:3], 0 offen
	ds_read_b64 v[52:53], v49
	v_add_u32_e32 v48, 1, v48
	v_cmp_lt_u32_e32 vcc, 2, v48
	v_add_u32_e32 v49, 8, v49
	v_add_u32_e32 v50, 8, v50
	s_or_b64 s[6:7], vcc, s[6:7]
	s_waitcnt vmcnt(1) lgkmcnt(0)
	v_mul_f32_e32 v57, v53, v54
	v_mul_f32_e32 v54, v52, v54
	s_waitcnt vmcnt(0)
	v_fma_f32 v52, v52, v55, -v57
	v_fmac_f32_e32 v54, v53, v55
	v_add_f32_e32 v51, v51, v52
	v_add_f32_e32 v3, v3, v54
	s_andn2_b64 exec, exec, s[6:7]
	s_cbranch_execnz .LBB21_29
; %bb.30:
	s_or_b64 exec, exec, s[6:7]
	v_mov_b32_e32 v48, 0
	ds_read_b64 v[48:49], v48 offset:32
	s_waitcnt lgkmcnt(0)
	v_mul_f32_e32 v50, v3, v49
	v_mul_f32_e32 v49, v51, v49
	v_fma_f32 v50, v51, v48, -v50
	v_fmac_f32_e32 v49, v3, v48
	buffer_store_dword v50, off, s[0:3], 0 offset:32
	buffer_store_dword v49, off, s[0:3], 0 offset:36
.LBB21_31:
	s_or_b64 exec, exec, s[4:5]
	s_waitcnt lgkmcnt(0)
	; wave barrier
	buffer_load_dword v48, off, s[0:3], 0 offset:40
	buffer_load_dword v49, off, s[0:3], 0 offset:44
	v_cmp_gt_u32_e32 vcc, 5, v0
	s_waitcnt vmcnt(0)
	ds_write_b64 v1, v[48:49]
	;; [unrolled: 51-line block ×17, first 2 shown]
	s_waitcnt lgkmcnt(0)
	; wave barrier
	s_waitcnt lgkmcnt(0)
	s_and_saveexec_b64 s[4:5], vcc
	s_cbranch_execz .LBB21_95
; %bb.92:
	v_add_u32_e32 v48, -1, v0
	v_add_u32_e32 v49, 0xb0, v56
	v_add_u32_e32 v50, 0, v56
	s_mov_b64 s[6:7], 0
	v_mov_b32_e32 v3, 0
	v_mov_b32_e32 v51, 0
.LBB21_93:                              ; =>This Inner Loop Header: Depth=1
	buffer_load_dword v54, v50, s[0:3], 0 offen offset:4
	buffer_load_dword v55, v50, s[0:3], 0 offen
	ds_read_b64 v[52:53], v49
	v_add_u32_e32 v48, 1, v48
	v_cmp_lt_u32_e32 vcc, 18, v48
	v_add_u32_e32 v49, 8, v49
	v_add_u32_e32 v50, 8, v50
	s_or_b64 s[6:7], vcc, s[6:7]
	s_waitcnt vmcnt(1) lgkmcnt(0)
	v_mul_f32_e32 v57, v53, v54
	v_mul_f32_e32 v54, v52, v54
	s_waitcnt vmcnt(0)
	v_fma_f32 v52, v52, v55, -v57
	v_fmac_f32_e32 v54, v53, v55
	v_add_f32_e32 v51, v51, v52
	v_add_f32_e32 v3, v3, v54
	s_andn2_b64 exec, exec, s[6:7]
	s_cbranch_execnz .LBB21_93
; %bb.94:
	s_or_b64 exec, exec, s[6:7]
	v_mov_b32_e32 v48, 0
	ds_read_b64 v[48:49], v48 offset:160
	s_waitcnt lgkmcnt(0)
	v_mul_f32_e32 v50, v3, v49
	v_mul_f32_e32 v49, v51, v49
	v_fma_f32 v50, v51, v48, -v50
	v_fmac_f32_e32 v49, v3, v48
	buffer_store_dword v50, off, s[0:3], 0 offset:160
	buffer_store_dword v49, off, s[0:3], 0 offset:164
.LBB21_95:
	s_or_b64 exec, exec, s[4:5]
	s_waitcnt lgkmcnt(0)
	; wave barrier
	buffer_load_dword v48, off, s[0:3], 0 offset:168
	buffer_load_dword v49, off, s[0:3], 0 offset:172
	v_cmp_ne_u32_e32 vcc, 21, v0
	s_waitcnt vmcnt(0)
	ds_write_b64 v1, v[48:49]
	s_waitcnt lgkmcnt(0)
	; wave barrier
	s_waitcnt lgkmcnt(0)
	s_and_saveexec_b64 s[4:5], vcc
	s_cbranch_execz .LBB21_99
; %bb.96:
	v_add_u32_e32 v3, 0xb0, v56
	v_add_u32_e32 v48, 0, v56
	s_mov_b64 s[6:7], 0
	v_mov_b32_e32 v1, 0
	v_mov_b32_e32 v49, 0
.LBB21_97:                              ; =>This Inner Loop Header: Depth=1
	buffer_load_dword v52, v48, s[0:3], 0 offen offset:4
	buffer_load_dword v53, v48, s[0:3], 0 offen
	ds_read_b64 v[50:51], v3
	v_add_u32_e32 v2, 1, v2
	v_cmp_lt_u32_e32 vcc, 19, v2
	v_add_u32_e32 v3, 8, v3
	v_add_u32_e32 v48, 8, v48
	s_or_b64 s[6:7], vcc, s[6:7]
	s_waitcnt vmcnt(1) lgkmcnt(0)
	v_mul_f32_e32 v54, v51, v52
	v_mul_f32_e32 v52, v50, v52
	s_waitcnt vmcnt(0)
	v_fma_f32 v50, v50, v53, -v54
	v_fmac_f32_e32 v52, v51, v53
	v_add_f32_e32 v49, v49, v50
	v_add_f32_e32 v1, v1, v52
	s_andn2_b64 exec, exec, s[6:7]
	s_cbranch_execnz .LBB21_97
; %bb.98:
	s_or_b64 exec, exec, s[6:7]
	v_mov_b32_e32 v2, 0
	ds_read_b64 v[2:3], v2 offset:168
	s_waitcnt lgkmcnt(0)
	v_mul_f32_e32 v48, v1, v3
	v_mul_f32_e32 v3, v49, v3
	v_fma_f32 v48, v49, v2, -v48
	v_fmac_f32_e32 v3, v1, v2
	buffer_store_dword v48, off, s[0:3], 0 offset:168
	buffer_store_dword v3, off, s[0:3], 0 offset:172
.LBB21_99:
	s_or_b64 exec, exec, s[4:5]
	s_mov_b64 s[6:7], -1
	s_waitcnt lgkmcnt(0)
	; wave barrier
.LBB21_100:
	s_and_b64 vcc, exec, s[6:7]
	s_cbranch_vccz .LBB21_102
; %bb.101:
	s_lshl_b64 s[4:5], s[8:9], 2
	s_add_u32 s4, s14, s4
	s_addc_u32 s5, s15, s5
	v_mov_b32_e32 v1, 0
	global_load_dword v1, v1, s[4:5]
	s_waitcnt vmcnt(0)
	v_cmp_ne_u32_e32 vcc, 0, v1
	s_cbranch_vccz .LBB21_103
.LBB21_102:
	s_endpgm
.LBB21_103:
	v_mov_b32_e32 v1, 0xb0
	v_lshl_add_u32 v1, v0, 3, v1
	v_cmp_eq_u32_e32 vcc, 21, v0
	s_and_saveexec_b64 s[4:5], vcc
	s_cbranch_execz .LBB21_105
; %bb.104:
	buffer_load_dword v2, off, s[0:3], 0 offset:160
	buffer_load_dword v3, off, s[0:3], 0 offset:164
	v_mov_b32_e32 v48, 0
	buffer_store_dword v48, off, s[0:3], 0 offset:160
	buffer_store_dword v48, off, s[0:3], 0 offset:164
	s_waitcnt vmcnt(2)
	ds_write_b64 v1, v[2:3]
.LBB21_105:
	s_or_b64 exec, exec, s[4:5]
	s_waitcnt lgkmcnt(0)
	; wave barrier
	s_waitcnt lgkmcnt(0)
	buffer_load_dword v49, off, s[0:3], 0 offset:172
	buffer_load_dword v48, off, s[0:3], 0 offset:168
	;; [unrolled: 1-line block ×4, first 2 shown]
	v_mov_b32_e32 v2, 0
	ds_read_b64 v[52:53], v2 offset:344
	v_cmp_lt_u32_e32 vcc, 19, v0
	s_waitcnt vmcnt(3)
	v_mov_b32_e32 v54, v49
	s_waitcnt lgkmcnt(0)
	v_pk_mul_f32 v[54:55], v[52:53], v[54:55] op_sel_hi:[1,0]
	s_waitcnt vmcnt(2)
	v_pk_fma_f32 v[56:57], v[52:53], v[48:49], v[54:55] op_sel:[0,0,1] op_sel_hi:[1,1,0] neg_lo:[0,0,1] neg_hi:[0,0,1]
	v_pk_fma_f32 v[48:49], v[52:53], v[48:49], v[54:55] op_sel:[0,0,1] op_sel_hi:[1,0,0]
	v_mov_b32_e32 v57, v49
	v_pk_add_f32 v[48:49], v[56:57], 0 op_sel_hi:[1,0]
	s_waitcnt vmcnt(0)
	v_pk_add_f32 v[48:49], v[50:51], v[48:49] neg_lo:[0,1] neg_hi:[0,1]
	buffer_store_dword v48, off, s[0:3], 0 offset:160
	buffer_store_dword v49, off, s[0:3], 0 offset:164
	s_and_saveexec_b64 s[4:5], vcc
	s_cbranch_execz .LBB21_107
; %bb.106:
	buffer_load_dword v48, off, s[0:3], 0 offset:152
	buffer_load_dword v49, off, s[0:3], 0 offset:156
	s_waitcnt vmcnt(0)
	ds_write_b64 v1, v[48:49]
	buffer_store_dword v2, off, s[0:3], 0 offset:152
	buffer_store_dword v2, off, s[0:3], 0 offset:156
.LBB21_107:
	s_or_b64 exec, exec, s[4:5]
	s_waitcnt lgkmcnt(0)
	; wave barrier
	s_waitcnt lgkmcnt(0)
	buffer_load_dword v53, off, s[0:3], 0 offset:164
	buffer_load_dword v55, off, s[0:3], 0 offset:172
	;; [unrolled: 1-line block ×6, first 2 shown]
	ds_read_b128 v[48:51], v2 offset:336
	v_cmp_lt_u32_e32 vcc, 18, v0
	s_waitcnt vmcnt(5)
	v_mov_b32_e32 v2, v53
	s_waitcnt vmcnt(4)
	v_mov_b32_e32 v58, v55
	s_waitcnt lgkmcnt(0)
	v_pk_mul_f32 v[2:3], v[48:49], v[2:3] op_sel_hi:[1,0]
	v_pk_mul_f32 v[58:59], v[50:51], v[58:59] op_sel_hi:[1,0]
	s_waitcnt vmcnt(3)
	v_pk_fma_f32 v[60:61], v[48:49], v[52:53], v[2:3] op_sel:[0,0,1] op_sel_hi:[1,1,0] neg_lo:[0,0,1] neg_hi:[0,0,1]
	v_pk_fma_f32 v[2:3], v[48:49], v[52:53], v[2:3] op_sel:[0,0,1] op_sel_hi:[1,0,0]
	s_waitcnt vmcnt(2)
	v_pk_fma_f32 v[48:49], v[50:51], v[54:55], v[58:59] op_sel:[0,0,1] op_sel_hi:[1,1,0] neg_lo:[0,0,1] neg_hi:[0,0,1]
	v_pk_fma_f32 v[50:51], v[50:51], v[54:55], v[58:59] op_sel:[0,0,1] op_sel_hi:[1,0,0]
	v_mov_b32_e32 v61, v3
	v_mov_b32_e32 v49, v51
	v_pk_add_f32 v[2:3], v[60:61], 0 op_sel_hi:[1,0]
	v_pk_add_f32 v[2:3], v[2:3], v[48:49]
	s_waitcnt vmcnt(0)
	v_pk_add_f32 v[2:3], v[56:57], v[2:3] neg_lo:[0,1] neg_hi:[0,1]
	buffer_store_dword v2, off, s[0:3], 0 offset:152
	buffer_store_dword v3, off, s[0:3], 0 offset:156
	s_and_saveexec_b64 s[4:5], vcc
	s_cbranch_execz .LBB21_109
; %bb.108:
	buffer_load_dword v2, off, s[0:3], 0 offset:144
	buffer_load_dword v3, off, s[0:3], 0 offset:148
	v_mov_b32_e32 v48, 0
	buffer_store_dword v48, off, s[0:3], 0 offset:144
	buffer_store_dword v48, off, s[0:3], 0 offset:148
	s_waitcnt vmcnt(2)
	ds_write_b64 v1, v[2:3]
.LBB21_109:
	s_or_b64 exec, exec, s[4:5]
	s_waitcnt lgkmcnt(0)
	; wave barrier
	s_waitcnt lgkmcnt(0)
	buffer_load_dword v53, off, s[0:3], 0 offset:156
	buffer_load_dword v55, off, s[0:3], 0 offset:164
	;; [unrolled: 1-line block ×8, first 2 shown]
	v_mov_b32_e32 v2, 0
	ds_read2_b64 v[48:51], v2 offset0:41 offset1:42
	ds_read_b64 v[60:61], v2 offset:344
	v_cmp_lt_u32_e32 vcc, 17, v0
	s_waitcnt vmcnt(7)
	v_mov_b32_e32 v62, v53
	s_waitcnt vmcnt(6)
	v_mov_b32_e32 v64, v55
	s_waitcnt lgkmcnt(1)
	v_pk_mul_f32 v[62:63], v[48:49], v[62:63] op_sel_hi:[1,0]
	s_waitcnt vmcnt(5)
	v_mov_b32_e32 v66, v57
	v_pk_mul_f32 v[64:65], v[50:51], v[64:65] op_sel_hi:[1,0]
	s_waitcnt vmcnt(4)
	v_pk_fma_f32 v[68:69], v[48:49], v[52:53], v[62:63] op_sel:[0,0,1] op_sel_hi:[1,1,0] neg_lo:[0,0,1] neg_hi:[0,0,1]
	v_pk_fma_f32 v[48:49], v[48:49], v[52:53], v[62:63] op_sel:[0,0,1] op_sel_hi:[1,0,0]
	s_waitcnt lgkmcnt(0)
	v_pk_mul_f32 v[66:67], v[60:61], v[66:67] op_sel_hi:[1,0]
	s_waitcnt vmcnt(3)
	v_pk_fma_f32 v[52:53], v[50:51], v[54:55], v[64:65] op_sel:[0,0,1] op_sel_hi:[1,1,0] neg_lo:[0,0,1] neg_hi:[0,0,1]
	v_pk_fma_f32 v[50:51], v[50:51], v[54:55], v[64:65] op_sel:[0,0,1] op_sel_hi:[1,0,0]
	v_mov_b32_e32 v69, v49
	s_waitcnt vmcnt(2)
	v_pk_fma_f32 v[54:55], v[60:61], v[56:57], v[66:67] op_sel:[0,0,1] op_sel_hi:[1,1,0] neg_lo:[0,0,1] neg_hi:[0,0,1]
	v_pk_fma_f32 v[56:57], v[60:61], v[56:57], v[66:67] op_sel:[0,0,1] op_sel_hi:[1,0,0]
	v_mov_b32_e32 v53, v51
	v_pk_add_f32 v[48:49], v[68:69], 0 op_sel_hi:[1,0]
	v_mov_b32_e32 v55, v57
	v_pk_add_f32 v[48:49], v[48:49], v[52:53]
	v_pk_add_f32 v[48:49], v[48:49], v[54:55]
	s_waitcnt vmcnt(0)
	v_pk_add_f32 v[48:49], v[58:59], v[48:49] neg_lo:[0,1] neg_hi:[0,1]
	buffer_store_dword v48, off, s[0:3], 0 offset:144
	buffer_store_dword v49, off, s[0:3], 0 offset:148
	s_and_saveexec_b64 s[4:5], vcc
	s_cbranch_execz .LBB21_111
; %bb.110:
	buffer_load_dword v48, off, s[0:3], 0 offset:136
	buffer_load_dword v49, off, s[0:3], 0 offset:140
	s_waitcnt vmcnt(0)
	ds_write_b64 v1, v[48:49]
	buffer_store_dword v2, off, s[0:3], 0 offset:136
	buffer_store_dword v2, off, s[0:3], 0 offset:140
.LBB21_111:
	s_or_b64 exec, exec, s[4:5]
	s_waitcnt lgkmcnt(0)
	; wave barrier
	s_waitcnt lgkmcnt(0)
	buffer_load_dword v57, off, s[0:3], 0 offset:148
	buffer_load_dword v59, off, s[0:3], 0 offset:156
	;; [unrolled: 1-line block ×10, first 2 shown]
	ds_read_b128 v[48:51], v2 offset:320
	ds_read_b128 v[52:55], v2 offset:336
	v_cmp_lt_u32_e32 vcc, 16, v0
	s_waitcnt vmcnt(9)
	v_mov_b32_e32 v2, v57
	s_waitcnt vmcnt(8)
	v_mov_b32_e32 v66, v59
	s_waitcnt lgkmcnt(1)
	v_pk_mul_f32 v[2:3], v[48:49], v[2:3] op_sel_hi:[1,0]
	s_waitcnt vmcnt(7)
	v_mov_b32_e32 v68, v61
	v_pk_mul_f32 v[66:67], v[50:51], v[66:67] op_sel_hi:[1,0]
	s_waitcnt vmcnt(5)
	v_pk_fma_f32 v[72:73], v[48:49], v[56:57], v[2:3] op_sel:[0,0,1] op_sel_hi:[1,1,0] neg_lo:[0,0,1] neg_hi:[0,0,1]
	v_pk_fma_f32 v[2:3], v[48:49], v[56:57], v[2:3] op_sel:[0,0,1] op_sel_hi:[1,0,0]
	v_mov_b32_e32 v70, v63
	s_waitcnt lgkmcnt(0)
	v_pk_mul_f32 v[68:69], v[52:53], v[68:69] op_sel_hi:[1,0]
	s_waitcnt vmcnt(4)
	v_pk_fma_f32 v[48:49], v[50:51], v[58:59], v[66:67] op_sel:[0,0,1] op_sel_hi:[1,1,0] neg_lo:[0,0,1] neg_hi:[0,0,1]
	v_pk_fma_f32 v[50:51], v[50:51], v[58:59], v[66:67] op_sel:[0,0,1] op_sel_hi:[1,0,0]
	v_mov_b32_e32 v73, v3
	v_pk_mul_f32 v[70:71], v[54:55], v[70:71] op_sel_hi:[1,0]
	s_waitcnt vmcnt(3)
	v_pk_fma_f32 v[56:57], v[52:53], v[60:61], v[68:69] op_sel:[0,0,1] op_sel_hi:[1,1,0] neg_lo:[0,0,1] neg_hi:[0,0,1]
	v_pk_fma_f32 v[52:53], v[52:53], v[60:61], v[68:69] op_sel:[0,0,1] op_sel_hi:[1,0,0]
	v_mov_b32_e32 v49, v51
	v_pk_add_f32 v[2:3], v[72:73], 0 op_sel_hi:[1,0]
	s_waitcnt vmcnt(2)
	v_pk_fma_f32 v[58:59], v[54:55], v[62:63], v[70:71] op_sel:[0,0,1] op_sel_hi:[1,1,0] neg_lo:[0,0,1] neg_hi:[0,0,1]
	v_pk_fma_f32 v[54:55], v[54:55], v[62:63], v[70:71] op_sel:[0,0,1] op_sel_hi:[1,0,0]
	v_mov_b32_e32 v57, v53
	v_pk_add_f32 v[2:3], v[2:3], v[48:49]
	v_mov_b32_e32 v59, v55
	v_pk_add_f32 v[2:3], v[2:3], v[56:57]
	v_pk_add_f32 v[2:3], v[2:3], v[58:59]
	s_waitcnt vmcnt(0)
	v_pk_add_f32 v[2:3], v[64:65], v[2:3] neg_lo:[0,1] neg_hi:[0,1]
	buffer_store_dword v2, off, s[0:3], 0 offset:136
	buffer_store_dword v3, off, s[0:3], 0 offset:140
	s_and_saveexec_b64 s[4:5], vcc
	s_cbranch_execz .LBB21_113
; %bb.112:
	buffer_load_dword v2, off, s[0:3], 0 offset:128
	buffer_load_dword v3, off, s[0:3], 0 offset:132
	v_mov_b32_e32 v48, 0
	buffer_store_dword v48, off, s[0:3], 0 offset:128
	buffer_store_dword v48, off, s[0:3], 0 offset:132
	s_waitcnt vmcnt(2)
	ds_write_b64 v1, v[2:3]
.LBB21_113:
	s_or_b64 exec, exec, s[4:5]
	s_waitcnt lgkmcnt(0)
	; wave barrier
	s_waitcnt lgkmcnt(0)
	buffer_load_dword v57, off, s[0:3], 0 offset:140
	buffer_load_dword v59, off, s[0:3], 0 offset:148
	;; [unrolled: 1-line block ×12, first 2 shown]
	v_mov_b32_e32 v2, 0
	ds_read2_b64 v[48:51], v2 offset0:39 offset1:40
	ds_read2_b64 v[52:55], v2 offset0:41 offset1:42
	ds_read_b64 v[68:69], v2 offset:344
	v_cmp_lt_u32_e32 vcc, 15, v0
	s_waitcnt vmcnt(11)
	v_mov_b32_e32 v70, v57
	s_waitcnt vmcnt(10)
	v_mov_b32_e32 v72, v59
	s_waitcnt lgkmcnt(2)
	v_pk_mul_f32 v[70:71], v[48:49], v[70:71] op_sel_hi:[1,0]
	s_waitcnt vmcnt(9)
	v_mov_b32_e32 v74, v61
	v_pk_mul_f32 v[72:73], v[50:51], v[72:73] op_sel_hi:[1,0]
	s_waitcnt vmcnt(6)
	v_pk_fma_f32 v[80:81], v[48:49], v[56:57], v[70:71] op_sel:[0,0,1] op_sel_hi:[1,1,0] neg_lo:[0,0,1] neg_hi:[0,0,1]
	v_pk_fma_f32 v[48:49], v[48:49], v[56:57], v[70:71] op_sel:[0,0,1] op_sel_hi:[1,0,0]
	v_mov_b32_e32 v76, v63
	s_waitcnt lgkmcnt(1)
	v_pk_mul_f32 v[74:75], v[52:53], v[74:75] op_sel_hi:[1,0]
	s_waitcnt vmcnt(5)
	v_pk_fma_f32 v[56:57], v[50:51], v[58:59], v[72:73] op_sel:[0,0,1] op_sel_hi:[1,1,0] neg_lo:[0,0,1] neg_hi:[0,0,1]
	v_pk_fma_f32 v[50:51], v[50:51], v[58:59], v[72:73] op_sel:[0,0,1] op_sel_hi:[1,0,0]
	v_mov_b32_e32 v81, v49
	v_mov_b32_e32 v78, v65
	v_pk_mul_f32 v[76:77], v[54:55], v[76:77] op_sel_hi:[1,0]
	s_waitcnt vmcnt(4)
	v_pk_fma_f32 v[58:59], v[52:53], v[60:61], v[74:75] op_sel:[0,0,1] op_sel_hi:[1,1,0] neg_lo:[0,0,1] neg_hi:[0,0,1]
	v_pk_fma_f32 v[52:53], v[52:53], v[60:61], v[74:75] op_sel:[0,0,1] op_sel_hi:[1,0,0]
	v_mov_b32_e32 v57, v51
	v_pk_add_f32 v[48:49], v[80:81], 0 op_sel_hi:[1,0]
	s_waitcnt lgkmcnt(0)
	v_pk_mul_f32 v[78:79], v[68:69], v[78:79] op_sel_hi:[1,0]
	s_waitcnt vmcnt(3)
	v_pk_fma_f32 v[60:61], v[54:55], v[62:63], v[76:77] op_sel:[0,0,1] op_sel_hi:[1,1,0] neg_lo:[0,0,1] neg_hi:[0,0,1]
	v_pk_fma_f32 v[54:55], v[54:55], v[62:63], v[76:77] op_sel:[0,0,1] op_sel_hi:[1,0,0]
	v_mov_b32_e32 v59, v53
	v_pk_add_f32 v[48:49], v[48:49], v[56:57]
	s_waitcnt vmcnt(2)
	v_pk_fma_f32 v[62:63], v[68:69], v[64:65], v[78:79] op_sel:[0,0,1] op_sel_hi:[1,1,0] neg_lo:[0,0,1] neg_hi:[0,0,1]
	v_pk_fma_f32 v[64:65], v[68:69], v[64:65], v[78:79] op_sel:[0,0,1] op_sel_hi:[1,0,0]
	v_mov_b32_e32 v61, v55
	v_pk_add_f32 v[48:49], v[48:49], v[58:59]
	v_mov_b32_e32 v63, v65
	v_pk_add_f32 v[48:49], v[48:49], v[60:61]
	v_pk_add_f32 v[48:49], v[48:49], v[62:63]
	s_waitcnt vmcnt(0)
	v_pk_add_f32 v[48:49], v[66:67], v[48:49] neg_lo:[0,1] neg_hi:[0,1]
	buffer_store_dword v48, off, s[0:3], 0 offset:128
	buffer_store_dword v49, off, s[0:3], 0 offset:132
	s_and_saveexec_b64 s[4:5], vcc
	s_cbranch_execz .LBB21_115
; %bb.114:
	buffer_load_dword v48, off, s[0:3], 0 offset:120
	buffer_load_dword v49, off, s[0:3], 0 offset:124
	s_waitcnt vmcnt(0)
	ds_write_b64 v1, v[48:49]
	buffer_store_dword v2, off, s[0:3], 0 offset:120
	buffer_store_dword v2, off, s[0:3], 0 offset:124
.LBB21_115:
	s_or_b64 exec, exec, s[4:5]
	s_waitcnt lgkmcnt(0)
	; wave barrier
	s_waitcnt lgkmcnt(0)
	buffer_load_dword v61, off, s[0:3], 0 offset:132
	buffer_load_dword v63, off, s[0:3], 0 offset:140
	;; [unrolled: 1-line block ×14, first 2 shown]
	ds_read_b128 v[48:51], v2 offset:304
	ds_read_b128 v[52:55], v2 offset:320
	;; [unrolled: 1-line block ×3, first 2 shown]
	v_cmp_lt_u32_e32 vcc, 14, v0
	s_waitcnt vmcnt(13)
	v_mov_b32_e32 v2, v61
	s_waitcnt vmcnt(12)
	v_mov_b32_e32 v74, v63
	s_waitcnt lgkmcnt(2)
	v_pk_mul_f32 v[2:3], v[48:49], v[2:3] op_sel_hi:[1,0]
	s_waitcnt vmcnt(11)
	v_mov_b32_e32 v76, v65
	v_pk_mul_f32 v[74:75], v[50:51], v[74:75] op_sel_hi:[1,0]
	s_waitcnt vmcnt(10)
	v_mov_b32_e32 v78, v67
	s_waitcnt vmcnt(7)
	v_pk_fma_f32 v[84:85], v[48:49], v[60:61], v[2:3] op_sel:[0,0,1] op_sel_hi:[1,1,0] neg_lo:[0,0,1] neg_hi:[0,0,1]
	v_pk_fma_f32 v[2:3], v[48:49], v[60:61], v[2:3] op_sel:[0,0,1] op_sel_hi:[1,0,0]
	s_waitcnt lgkmcnt(1)
	v_pk_mul_f32 v[76:77], v[52:53], v[76:77] op_sel_hi:[1,0]
	s_waitcnt vmcnt(6)
	v_pk_fma_f32 v[48:49], v[50:51], v[62:63], v[74:75] op_sel:[0,0,1] op_sel_hi:[1,1,0] neg_lo:[0,0,1] neg_hi:[0,0,1]
	v_pk_fma_f32 v[50:51], v[50:51], v[62:63], v[74:75] op_sel:[0,0,1] op_sel_hi:[1,0,0]
	v_mov_b32_e32 v85, v3
	v_mov_b32_e32 v80, v69
	v_pk_mul_f32 v[78:79], v[54:55], v[78:79] op_sel_hi:[1,0]
	s_waitcnt vmcnt(5)
	v_pk_fma_f32 v[60:61], v[52:53], v[64:65], v[76:77] op_sel:[0,0,1] op_sel_hi:[1,1,0] neg_lo:[0,0,1] neg_hi:[0,0,1]
	v_pk_fma_f32 v[52:53], v[52:53], v[64:65], v[76:77] op_sel:[0,0,1] op_sel_hi:[1,0,0]
	v_mov_b32_e32 v49, v51
	v_pk_add_f32 v[2:3], v[84:85], 0 op_sel_hi:[1,0]
	v_mov_b32_e32 v82, v71
	s_waitcnt lgkmcnt(0)
	v_pk_mul_f32 v[80:81], v[56:57], v[80:81] op_sel_hi:[1,0]
	s_waitcnt vmcnt(4)
	v_pk_fma_f32 v[62:63], v[54:55], v[66:67], v[78:79] op_sel:[0,0,1] op_sel_hi:[1,1,0] neg_lo:[0,0,1] neg_hi:[0,0,1]
	v_pk_fma_f32 v[54:55], v[54:55], v[66:67], v[78:79] op_sel:[0,0,1] op_sel_hi:[1,0,0]
	v_mov_b32_e32 v61, v53
	v_pk_add_f32 v[2:3], v[2:3], v[48:49]
	v_pk_mul_f32 v[82:83], v[58:59], v[82:83] op_sel_hi:[1,0]
	s_waitcnt vmcnt(3)
	v_pk_fma_f32 v[64:65], v[56:57], v[68:69], v[80:81] op_sel:[0,0,1] op_sel_hi:[1,1,0] neg_lo:[0,0,1] neg_hi:[0,0,1]
	v_pk_fma_f32 v[56:57], v[56:57], v[68:69], v[80:81] op_sel:[0,0,1] op_sel_hi:[1,0,0]
	v_mov_b32_e32 v63, v55
	v_pk_add_f32 v[2:3], v[2:3], v[60:61]
	s_waitcnt vmcnt(2)
	v_pk_fma_f32 v[66:67], v[58:59], v[70:71], v[82:83] op_sel:[0,0,1] op_sel_hi:[1,1,0] neg_lo:[0,0,1] neg_hi:[0,0,1]
	v_pk_fma_f32 v[58:59], v[58:59], v[70:71], v[82:83] op_sel:[0,0,1] op_sel_hi:[1,0,0]
	v_mov_b32_e32 v65, v57
	v_pk_add_f32 v[2:3], v[2:3], v[62:63]
	v_mov_b32_e32 v67, v59
	v_pk_add_f32 v[2:3], v[2:3], v[64:65]
	v_pk_add_f32 v[2:3], v[2:3], v[66:67]
	s_waitcnt vmcnt(0)
	v_pk_add_f32 v[2:3], v[72:73], v[2:3] neg_lo:[0,1] neg_hi:[0,1]
	buffer_store_dword v2, off, s[0:3], 0 offset:120
	buffer_store_dword v3, off, s[0:3], 0 offset:124
	s_and_saveexec_b64 s[4:5], vcc
	s_cbranch_execz .LBB21_117
; %bb.116:
	buffer_load_dword v2, off, s[0:3], 0 offset:112
	buffer_load_dword v3, off, s[0:3], 0 offset:116
	v_mov_b32_e32 v48, 0
	buffer_store_dword v48, off, s[0:3], 0 offset:112
	buffer_store_dword v48, off, s[0:3], 0 offset:116
	s_waitcnt vmcnt(2)
	ds_write_b64 v1, v[2:3]
.LBB21_117:
	s_or_b64 exec, exec, s[4:5]
	s_waitcnt lgkmcnt(0)
	; wave barrier
	s_waitcnt lgkmcnt(0)
	buffer_load_dword v61, off, s[0:3], 0 offset:124
	buffer_load_dword v63, off, s[0:3], 0 offset:132
	;; [unrolled: 1-line block ×16, first 2 shown]
	v_mov_b32_e32 v2, 0
	ds_read2_b64 v[48:51], v2 offset0:37 offset1:38
	ds_read2_b64 v[52:55], v2 offset0:39 offset1:40
	;; [unrolled: 1-line block ×3, first 2 shown]
	ds_read_b64 v[76:77], v2 offset:344
	v_cmp_lt_u32_e32 vcc, 13, v0
	s_waitcnt vmcnt(15)
	v_mov_b32_e32 v78, v61
	s_waitcnt vmcnt(14)
	v_mov_b32_e32 v80, v63
	s_waitcnt lgkmcnt(3)
	v_pk_mul_f32 v[78:79], v[48:49], v[78:79] op_sel_hi:[1,0]
	s_waitcnt vmcnt(13)
	v_mov_b32_e32 v82, v65
	v_pk_mul_f32 v[80:81], v[50:51], v[80:81] op_sel_hi:[1,0]
	s_waitcnt vmcnt(12)
	v_mov_b32_e32 v84, v67
	s_waitcnt lgkmcnt(2)
	v_pk_mul_f32 v[82:83], v[52:53], v[82:83] op_sel_hi:[1,0]
	s_waitcnt vmcnt(8)
	v_pk_fma_f32 v[92:93], v[48:49], v[60:61], v[78:79] op_sel:[0,0,1] op_sel_hi:[1,1,0] neg_lo:[0,0,1] neg_hi:[0,0,1]
	v_pk_fma_f32 v[48:49], v[48:49], v[60:61], v[78:79] op_sel:[0,0,1] op_sel_hi:[1,0,0]
	s_waitcnt vmcnt(7)
	v_pk_fma_f32 v[60:61], v[50:51], v[62:63], v[80:81] op_sel:[0,0,1] op_sel_hi:[1,1,0] neg_lo:[0,0,1] neg_hi:[0,0,1]
	v_pk_fma_f32 v[50:51], v[50:51], v[62:63], v[80:81] op_sel:[0,0,1] op_sel_hi:[1,0,0]
	v_mov_b32_e32 v93, v49
	v_mov_b32_e32 v86, v69
	v_pk_mul_f32 v[84:85], v[54:55], v[84:85] op_sel_hi:[1,0]
	s_waitcnt vmcnt(6)
	v_pk_fma_f32 v[62:63], v[52:53], v[64:65], v[82:83] op_sel:[0,0,1] op_sel_hi:[1,1,0] neg_lo:[0,0,1] neg_hi:[0,0,1]
	v_pk_fma_f32 v[52:53], v[52:53], v[64:65], v[82:83] op_sel:[0,0,1] op_sel_hi:[1,0,0]
	v_mov_b32_e32 v61, v51
	v_pk_add_f32 v[48:49], v[92:93], 0 op_sel_hi:[1,0]
	v_mov_b32_e32 v88, v71
	s_waitcnt lgkmcnt(1)
	v_pk_mul_f32 v[86:87], v[56:57], v[86:87] op_sel_hi:[1,0]
	s_waitcnt vmcnt(5)
	v_pk_fma_f32 v[64:65], v[54:55], v[66:67], v[84:85] op_sel:[0,0,1] op_sel_hi:[1,1,0] neg_lo:[0,0,1] neg_hi:[0,0,1]
	v_pk_fma_f32 v[54:55], v[54:55], v[66:67], v[84:85] op_sel:[0,0,1] op_sel_hi:[1,0,0]
	v_mov_b32_e32 v63, v53
	v_pk_add_f32 v[48:49], v[48:49], v[60:61]
	v_mov_b32_e32 v90, v73
	v_pk_mul_f32 v[88:89], v[58:59], v[88:89] op_sel_hi:[1,0]
	s_waitcnt vmcnt(4)
	v_pk_fma_f32 v[66:67], v[56:57], v[68:69], v[86:87] op_sel:[0,0,1] op_sel_hi:[1,1,0] neg_lo:[0,0,1] neg_hi:[0,0,1]
	v_pk_fma_f32 v[56:57], v[56:57], v[68:69], v[86:87] op_sel:[0,0,1] op_sel_hi:[1,0,0]
	v_mov_b32_e32 v65, v55
	v_pk_add_f32 v[48:49], v[48:49], v[62:63]
	s_waitcnt lgkmcnt(0)
	v_pk_mul_f32 v[90:91], v[76:77], v[90:91] op_sel_hi:[1,0]
	s_waitcnt vmcnt(3)
	v_pk_fma_f32 v[68:69], v[58:59], v[70:71], v[88:89] op_sel:[0,0,1] op_sel_hi:[1,1,0] neg_lo:[0,0,1] neg_hi:[0,0,1]
	v_pk_fma_f32 v[58:59], v[58:59], v[70:71], v[88:89] op_sel:[0,0,1] op_sel_hi:[1,0,0]
	v_mov_b32_e32 v67, v57
	v_pk_add_f32 v[48:49], v[48:49], v[64:65]
	s_waitcnt vmcnt(2)
	v_pk_fma_f32 v[70:71], v[76:77], v[72:73], v[90:91] op_sel:[0,0,1] op_sel_hi:[1,1,0] neg_lo:[0,0,1] neg_hi:[0,0,1]
	v_pk_fma_f32 v[72:73], v[76:77], v[72:73], v[90:91] op_sel:[0,0,1] op_sel_hi:[1,0,0]
	v_mov_b32_e32 v69, v59
	v_pk_add_f32 v[48:49], v[48:49], v[66:67]
	v_mov_b32_e32 v71, v73
	v_pk_add_f32 v[48:49], v[48:49], v[68:69]
	v_pk_add_f32 v[48:49], v[48:49], v[70:71]
	s_waitcnt vmcnt(0)
	v_pk_add_f32 v[48:49], v[74:75], v[48:49] neg_lo:[0,1] neg_hi:[0,1]
	buffer_store_dword v48, off, s[0:3], 0 offset:112
	buffer_store_dword v49, off, s[0:3], 0 offset:116
	s_and_saveexec_b64 s[4:5], vcc
	s_cbranch_execz .LBB21_119
; %bb.118:
	buffer_load_dword v48, off, s[0:3], 0 offset:104
	buffer_load_dword v49, off, s[0:3], 0 offset:108
	s_waitcnt vmcnt(0)
	ds_write_b64 v1, v[48:49]
	buffer_store_dword v2, off, s[0:3], 0 offset:104
	buffer_store_dword v2, off, s[0:3], 0 offset:108
.LBB21_119:
	s_or_b64 exec, exec, s[4:5]
	s_waitcnt lgkmcnt(0)
	; wave barrier
	s_waitcnt lgkmcnt(0)
	buffer_load_dword v65, off, s[0:3], 0 offset:116
	buffer_load_dword v67, off, s[0:3], 0 offset:124
	;; [unrolled: 1-line block ×18, first 2 shown]
	ds_read_b128 v[48:51], v2 offset:288
	ds_read_b128 v[52:55], v2 offset:304
	;; [unrolled: 1-line block ×4, first 2 shown]
	v_cmp_lt_u32_e32 vcc, 12, v0
	s_waitcnt vmcnt(17)
	v_mov_b32_e32 v2, v65
	s_waitcnt vmcnt(16)
	v_mov_b32_e32 v82, v67
	s_waitcnt lgkmcnt(3)
	v_pk_mul_f32 v[2:3], v[48:49], v[2:3] op_sel_hi:[1,0]
	s_waitcnt vmcnt(15)
	v_mov_b32_e32 v84, v69
	v_pk_mul_f32 v[82:83], v[50:51], v[82:83] op_sel_hi:[1,0]
	s_waitcnt vmcnt(14)
	v_mov_b32_e32 v86, v71
	s_waitcnt lgkmcnt(2)
	v_pk_mul_f32 v[84:85], v[52:53], v[84:85] op_sel_hi:[1,0]
	s_waitcnt vmcnt(13)
	v_mov_b32_e32 v88, v73
	s_waitcnt vmcnt(9)
	v_pk_fma_f32 v[96:97], v[48:49], v[64:65], v[2:3] op_sel:[0,0,1] op_sel_hi:[1,1,0] neg_lo:[0,0,1] neg_hi:[0,0,1]
	v_pk_fma_f32 v[2:3], v[48:49], v[64:65], v[2:3] op_sel:[0,0,1] op_sel_hi:[1,0,0]
	s_waitcnt vmcnt(8)
	v_pk_fma_f32 v[48:49], v[50:51], v[66:67], v[82:83] op_sel:[0,0,1] op_sel_hi:[1,1,0] neg_lo:[0,0,1] neg_hi:[0,0,1]
	v_pk_fma_f32 v[50:51], v[50:51], v[66:67], v[82:83] op_sel:[0,0,1] op_sel_hi:[1,0,0]
	v_mov_b32_e32 v97, v3
	v_pk_mul_f32 v[86:87], v[54:55], v[86:87] op_sel_hi:[1,0]
	s_waitcnt vmcnt(7)
	v_pk_fma_f32 v[64:65], v[52:53], v[68:69], v[84:85] op_sel:[0,0,1] op_sel_hi:[1,1,0] neg_lo:[0,0,1] neg_hi:[0,0,1]
	v_pk_fma_f32 v[52:53], v[52:53], v[68:69], v[84:85] op_sel:[0,0,1] op_sel_hi:[1,0,0]
	v_mov_b32_e32 v49, v51
	v_pk_add_f32 v[2:3], v[96:97], 0 op_sel_hi:[1,0]
	v_mov_b32_e32 v90, v75
	s_waitcnt lgkmcnt(1)
	v_pk_mul_f32 v[88:89], v[56:57], v[88:89] op_sel_hi:[1,0]
	s_waitcnt vmcnt(6)
	v_pk_fma_f32 v[66:67], v[54:55], v[70:71], v[86:87] op_sel:[0,0,1] op_sel_hi:[1,1,0] neg_lo:[0,0,1] neg_hi:[0,0,1]
	v_pk_fma_f32 v[54:55], v[54:55], v[70:71], v[86:87] op_sel:[0,0,1] op_sel_hi:[1,0,0]
	v_mov_b32_e32 v65, v53
	v_pk_add_f32 v[2:3], v[2:3], v[48:49]
	v_mov_b32_e32 v92, v77
	v_pk_mul_f32 v[90:91], v[58:59], v[90:91] op_sel_hi:[1,0]
	s_waitcnt vmcnt(5)
	v_pk_fma_f32 v[68:69], v[56:57], v[72:73], v[88:89] op_sel:[0,0,1] op_sel_hi:[1,1,0] neg_lo:[0,0,1] neg_hi:[0,0,1]
	v_pk_fma_f32 v[56:57], v[56:57], v[72:73], v[88:89] op_sel:[0,0,1] op_sel_hi:[1,0,0]
	v_mov_b32_e32 v67, v55
	v_pk_add_f32 v[2:3], v[2:3], v[64:65]
	v_mov_b32_e32 v94, v79
	s_waitcnt lgkmcnt(0)
	v_pk_mul_f32 v[92:93], v[60:61], v[92:93] op_sel_hi:[1,0]
	s_waitcnt vmcnt(4)
	v_pk_fma_f32 v[70:71], v[58:59], v[74:75], v[90:91] op_sel:[0,0,1] op_sel_hi:[1,1,0] neg_lo:[0,0,1] neg_hi:[0,0,1]
	v_pk_fma_f32 v[58:59], v[58:59], v[74:75], v[90:91] op_sel:[0,0,1] op_sel_hi:[1,0,0]
	v_mov_b32_e32 v69, v57
	v_pk_add_f32 v[2:3], v[2:3], v[66:67]
	v_pk_mul_f32 v[94:95], v[62:63], v[94:95] op_sel_hi:[1,0]
	s_waitcnt vmcnt(3)
	v_pk_fma_f32 v[72:73], v[60:61], v[76:77], v[92:93] op_sel:[0,0,1] op_sel_hi:[1,1,0] neg_lo:[0,0,1] neg_hi:[0,0,1]
	v_pk_fma_f32 v[60:61], v[60:61], v[76:77], v[92:93] op_sel:[0,0,1] op_sel_hi:[1,0,0]
	v_mov_b32_e32 v71, v59
	v_pk_add_f32 v[2:3], v[2:3], v[68:69]
	s_waitcnt vmcnt(2)
	v_pk_fma_f32 v[74:75], v[62:63], v[78:79], v[94:95] op_sel:[0,0,1] op_sel_hi:[1,1,0] neg_lo:[0,0,1] neg_hi:[0,0,1]
	v_pk_fma_f32 v[62:63], v[62:63], v[78:79], v[94:95] op_sel:[0,0,1] op_sel_hi:[1,0,0]
	v_mov_b32_e32 v73, v61
	v_pk_add_f32 v[2:3], v[2:3], v[70:71]
	v_mov_b32_e32 v75, v63
	v_pk_add_f32 v[2:3], v[2:3], v[72:73]
	v_pk_add_f32 v[2:3], v[2:3], v[74:75]
	s_waitcnt vmcnt(0)
	v_pk_add_f32 v[2:3], v[80:81], v[2:3] neg_lo:[0,1] neg_hi:[0,1]
	buffer_store_dword v2, off, s[0:3], 0 offset:104
	buffer_store_dword v3, off, s[0:3], 0 offset:108
	s_and_saveexec_b64 s[4:5], vcc
	s_cbranch_execz .LBB21_121
; %bb.120:
	buffer_load_dword v2, off, s[0:3], 0 offset:96
	buffer_load_dword v3, off, s[0:3], 0 offset:100
	v_mov_b32_e32 v48, 0
	buffer_store_dword v48, off, s[0:3], 0 offset:96
	buffer_store_dword v48, off, s[0:3], 0 offset:100
	s_waitcnt vmcnt(2)
	ds_write_b64 v1, v[2:3]
.LBB21_121:
	s_or_b64 exec, exec, s[4:5]
	s_waitcnt lgkmcnt(0)
	; wave barrier
	s_waitcnt lgkmcnt(0)
	buffer_load_dword v3, off, s[0:3], 0 offset:108
	buffer_load_dword v65, off, s[0:3], 0 offset:116
	;; [unrolled: 1-line block ×20, first 2 shown]
	v_mov_b32_e32 v2, 0
	ds_read2_b64 v[48:51], v2 offset0:35 offset1:36
	ds_read2_b64 v[52:55], v2 offset0:37 offset1:38
	;; [unrolled: 1-line block ×4, first 2 shown]
	ds_read_b64 v[82:83], v2 offset:344
	v_cmp_lt_u32_e32 vcc, 11, v0
	s_waitcnt vmcnt(19) lgkmcnt(4)
	v_mul_f32_e32 v85, v48, v3
	v_mul_f32_e32 v3, v49, v3
	s_waitcnt vmcnt(18)
	v_mov_b32_e32 v86, v65
	s_waitcnt vmcnt(17)
	v_mov_b32_e32 v88, v67
	;; [unrolled: 2-line block ×8, first 2 shown]
	s_waitcnt vmcnt(10)
	v_fmac_f32_e32 v85, v49, v84
	v_fma_f32 v84, v48, v84, -v3
	v_pk_mul_f32 v[48:49], v[50:51], v[86:87] op_sel_hi:[1,0]
	s_waitcnt lgkmcnt(3)
	v_pk_mul_f32 v[86:87], v[52:53], v[88:89] op_sel_hi:[1,0]
	v_pk_mul_f32 v[88:89], v[54:55], v[90:91] op_sel_hi:[1,0]
	s_waitcnt lgkmcnt(2)
	v_pk_mul_f32 v[90:91], v[56:57], v[92:93] op_sel_hi:[1,0]
	;; [unrolled: 3-line block ×4, first 2 shown]
	s_waitcnt vmcnt(9)
	v_pk_fma_f32 v[100:101], v[50:51], v[64:65], v[48:49] op_sel:[0,0,1] op_sel_hi:[1,1,0] neg_lo:[0,0,1] neg_hi:[0,0,1]
	v_pk_fma_f32 v[48:49], v[50:51], v[64:65], v[48:49] op_sel:[0,0,1] op_sel_hi:[1,0,0]
	v_pk_add_f32 v[84:85], v[84:85], 0 op_sel_hi:[1,0]
	s_waitcnt vmcnt(8)
	v_pk_fma_f32 v[50:51], v[52:53], v[66:67], v[86:87] op_sel:[0,0,1] op_sel_hi:[1,1,0] neg_lo:[0,0,1] neg_hi:[0,0,1]
	v_pk_fma_f32 v[52:53], v[52:53], v[66:67], v[86:87] op_sel:[0,0,1] op_sel_hi:[1,0,0]
	v_mov_b32_e32 v101, v49
	s_waitcnt vmcnt(7)
	v_pk_fma_f32 v[64:65], v[54:55], v[68:69], v[88:89] op_sel:[0,0,1] op_sel_hi:[1,1,0] neg_lo:[0,0,1] neg_hi:[0,0,1]
	v_pk_fma_f32 v[54:55], v[54:55], v[68:69], v[88:89] op_sel:[0,0,1] op_sel_hi:[1,0,0]
	v_mov_b32_e32 v51, v53
	v_pk_add_f32 v[48:49], v[84:85], v[100:101]
	s_waitcnt vmcnt(6)
	v_pk_fma_f32 v[66:67], v[56:57], v[70:71], v[90:91] op_sel:[0,0,1] op_sel_hi:[1,1,0] neg_lo:[0,0,1] neg_hi:[0,0,1]
	v_pk_fma_f32 v[56:57], v[56:57], v[70:71], v[90:91] op_sel:[0,0,1] op_sel_hi:[1,0,0]
	v_mov_b32_e32 v65, v55
	v_pk_add_f32 v[48:49], v[48:49], v[50:51]
	;; [unrolled: 5-line block ×5, first 2 shown]
	v_pk_fma_f32 v[74:75], v[82:83], v[78:79], v[98:99] op_sel:[0,0,1] op_sel_hi:[1,1,0] neg_lo:[0,0,1] neg_hi:[0,0,1]
	v_pk_fma_f32 v[76:77], v[82:83], v[78:79], v[98:99] op_sel:[0,0,1] op_sel_hi:[1,0,0]
	v_mov_b32_e32 v73, v63
	v_pk_add_f32 v[48:49], v[48:49], v[70:71]
	v_mov_b32_e32 v75, v77
	v_pk_add_f32 v[48:49], v[48:49], v[72:73]
	v_pk_add_f32 v[48:49], v[48:49], v[74:75]
	s_waitcnt vmcnt(0)
	v_pk_add_f32 v[48:49], v[80:81], v[48:49] neg_lo:[0,1] neg_hi:[0,1]
	buffer_store_dword v48, off, s[0:3], 0 offset:96
	buffer_store_dword v49, off, s[0:3], 0 offset:100
	s_and_saveexec_b64 s[4:5], vcc
	s_cbranch_execz .LBB21_123
; %bb.122:
	buffer_load_dword v48, off, s[0:3], 0 offset:88
	buffer_load_dword v49, off, s[0:3], 0 offset:92
	s_waitcnt vmcnt(0)
	ds_write_b64 v1, v[48:49]
	buffer_store_dword v2, off, s[0:3], 0 offset:88
	buffer_store_dword v2, off, s[0:3], 0 offset:92
.LBB21_123:
	s_or_b64 exec, exec, s[4:5]
	s_waitcnt lgkmcnt(0)
	; wave barrier
	s_waitcnt lgkmcnt(0)
	buffer_load_dword v86, off, s[0:3], 0 offset:100
	buffer_load_dword v88, off, s[0:3], 0 offset:108
	;; [unrolled: 1-line block ×22, first 2 shown]
	ds_read_b128 v[48:51], v2 offset:272
	ds_read_b128 v[52:55], v2 offset:288
	;; [unrolled: 1-line block ×5, first 2 shown]
	v_cmp_lt_u32_e32 vcc, 10, v0
	s_waitcnt vmcnt(21) lgkmcnt(4)
	v_mul_f32_e32 v3, v48, v86
	s_waitcnt vmcnt(20)
	v_mul_f32_e32 v87, v50, v88
	v_mul_f32_e32 v2, v49, v86
	;; [unrolled: 1-line block ×3, first 2 shown]
	s_waitcnt vmcnt(19)
	v_mov_b32_e32 v88, v69
	s_waitcnt vmcnt(18)
	v_mov_b32_e32 v90, v71
	;; [unrolled: 2-line block ×5, first 2 shown]
	v_mov_b32_e32 v94, v75
	s_waitcnt vmcnt(11)
	v_fmac_f32_e32 v3, v49, v89
	v_fma_f32 v2, v48, v89, -v2
	s_waitcnt lgkmcnt(3)
	v_pk_mul_f32 v[48:49], v[52:53], v[88:89] op_sel_hi:[1,0]
	s_waitcnt vmcnt(10)
	v_fmac_f32_e32 v87, v51, v91
	v_fma_f32 v86, v50, v91, -v86
	v_pk_mul_f32 v[50:51], v[54:55], v[90:91] op_sel_hi:[1,0]
	s_waitcnt lgkmcnt(2)
	v_pk_mul_f32 v[88:89], v[56:57], v[92:93] op_sel_hi:[1,0]
	s_waitcnt lgkmcnt(1)
	;; [unrolled: 2-line block ×3, first 2 shown]
	v_pk_mul_f32 v[96:97], v[64:65], v[100:101] op_sel_hi:[1,0]
	v_pk_add_f32 v[2:3], v[2:3], 0 op_sel_hi:[1,0]
	s_waitcnt vmcnt(9)
	v_pk_fma_f32 v[100:101], v[52:53], v[68:69], v[48:49] op_sel:[0,0,1] op_sel_hi:[1,1,0] neg_lo:[0,0,1] neg_hi:[0,0,1]
	v_pk_fma_f32 v[48:49], v[52:53], v[68:69], v[48:49] op_sel:[0,0,1] op_sel_hi:[1,0,0]
	s_waitcnt vmcnt(8)
	v_pk_fma_f32 v[52:53], v[54:55], v[70:71], v[50:51] op_sel:[0,0,1] op_sel_hi:[1,1,0] neg_lo:[0,0,1] neg_hi:[0,0,1]
	v_pk_fma_f32 v[50:51], v[54:55], v[70:71], v[50:51] op_sel:[0,0,1] op_sel_hi:[1,0,0]
	v_pk_add_f32 v[2:3], v[2:3], v[86:87]
	v_mov_b32_e32 v101, v49
	v_pk_mul_f32 v[90:91], v[58:59], v[94:95] op_sel_hi:[1,0]
	s_waitcnt vmcnt(7)
	v_pk_fma_f32 v[54:55], v[56:57], v[72:73], v[88:89] op_sel:[0,0,1] op_sel_hi:[1,1,0] neg_lo:[0,0,1] neg_hi:[0,0,1]
	v_pk_fma_f32 v[56:57], v[56:57], v[72:73], v[88:89] op_sel:[0,0,1] op_sel_hi:[1,0,0]
	v_mov_b32_e32 v53, v51
	v_pk_add_f32 v[2:3], v[2:3], v[100:101]
	v_mov_b32_e32 v98, v79
	s_waitcnt vmcnt(6)
	v_pk_fma_f32 v[68:69], v[58:59], v[74:75], v[90:91] op_sel:[0,0,1] op_sel_hi:[1,1,0] neg_lo:[0,0,1] neg_hi:[0,0,1]
	v_pk_fma_f32 v[58:59], v[58:59], v[74:75], v[90:91] op_sel:[0,0,1] op_sel_hi:[1,0,0]
	v_mov_b32_e32 v55, v57
	v_pk_add_f32 v[2:3], v[2:3], v[52:53]
	v_pk_mul_f32 v[94:95], v[62:63], v[98:99] op_sel_hi:[1,0]
	s_waitcnt vmcnt(5)
	v_pk_fma_f32 v[70:71], v[60:61], v[76:77], v[92:93] op_sel:[0,0,1] op_sel_hi:[1,1,0] neg_lo:[0,0,1] neg_hi:[0,0,1]
	v_pk_fma_f32 v[60:61], v[60:61], v[76:77], v[92:93] op_sel:[0,0,1] op_sel_hi:[1,0,0]
	v_mov_b32_e32 v69, v59
	v_pk_add_f32 v[2:3], v[2:3], v[54:55]
	v_mov_b32_e32 v102, v83
	s_waitcnt vmcnt(2)
	v_pk_fma_f32 v[72:73], v[62:63], v[78:79], v[94:95] op_sel:[0,0,1] op_sel_hi:[1,1,0] neg_lo:[0,0,1] neg_hi:[0,0,1]
	v_pk_fma_f32 v[62:63], v[62:63], v[78:79], v[94:95] op_sel:[0,0,1] op_sel_hi:[1,0,0]
	v_mov_b32_e32 v71, v61
	v_pk_add_f32 v[2:3], v[2:3], v[68:69]
	v_pk_mul_f32 v[98:99], v[66:67], v[102:103] op_sel_hi:[1,0]
	v_pk_fma_f32 v[74:75], v[64:65], v[80:81], v[96:97] op_sel:[0,0,1] op_sel_hi:[1,1,0] neg_lo:[0,0,1] neg_hi:[0,0,1]
	v_pk_fma_f32 v[64:65], v[64:65], v[80:81], v[96:97] op_sel:[0,0,1] op_sel_hi:[1,0,0]
	v_mov_b32_e32 v73, v63
	v_pk_add_f32 v[2:3], v[2:3], v[70:71]
	v_pk_fma_f32 v[76:77], v[66:67], v[82:83], v[98:99] op_sel:[0,0,1] op_sel_hi:[1,1,0] neg_lo:[0,0,1] neg_hi:[0,0,1]
	v_pk_fma_f32 v[66:67], v[66:67], v[82:83], v[98:99] op_sel:[0,0,1] op_sel_hi:[1,0,0]
	v_mov_b32_e32 v75, v65
	v_pk_add_f32 v[2:3], v[2:3], v[72:73]
	v_mov_b32_e32 v77, v67
	v_pk_add_f32 v[2:3], v[2:3], v[74:75]
	v_pk_add_f32 v[2:3], v[2:3], v[76:77]
	s_waitcnt vmcnt(0)
	v_pk_add_f32 v[2:3], v[84:85], v[2:3] neg_lo:[0,1] neg_hi:[0,1]
	buffer_store_dword v2, off, s[0:3], 0 offset:88
	buffer_store_dword v3, off, s[0:3], 0 offset:92
	s_and_saveexec_b64 s[4:5], vcc
	s_cbranch_execz .LBB21_125
; %bb.124:
	buffer_load_dword v2, off, s[0:3], 0 offset:80
	buffer_load_dword v3, off, s[0:3], 0 offset:84
	v_mov_b32_e32 v48, 0
	buffer_store_dword v48, off, s[0:3], 0 offset:80
	buffer_store_dword v48, off, s[0:3], 0 offset:84
	s_waitcnt vmcnt(2)
	ds_write_b64 v1, v[2:3]
.LBB21_125:
	s_or_b64 exec, exec, s[4:5]
	s_waitcnt lgkmcnt(0)
	; wave barrier
	s_waitcnt lgkmcnt(0)
	buffer_load_dword v3, off, s[0:3], 0 offset:92
	buffer_load_dword v88, off, s[0:3], 0 offset:100
	;; [unrolled: 1-line block ×24, first 2 shown]
	v_mov_b32_e32 v2, 0
	ds_read2_b64 v[48:51], v2 offset0:33 offset1:34
	ds_read2_b64 v[52:55], v2 offset0:35 offset1:36
	;; [unrolled: 1-line block ×5, first 2 shown]
	ds_read_b64 v[86:87], v2 offset:344
	v_cmp_lt_u32_e32 vcc, 9, v0
	s_waitcnt vmcnt(23) lgkmcnt(5)
	v_mul_f32_e32 v101, v48, v3
	v_mul_f32_e32 v3, v49, v3
	s_waitcnt vmcnt(22)
	v_mul_f32_e32 v89, v50, v88
	s_waitcnt vmcnt(21) lgkmcnt(4)
	v_mul_f32_e32 v91, v52, v90
	v_mul_f32_e32 v88, v51, v88
	;; [unrolled: 1-line block ×3, first 2 shown]
	s_waitcnt vmcnt(20)
	v_mov_b32_e32 v92, v69
	s_waitcnt vmcnt(19)
	v_mov_b32_e32 v94, v71
	;; [unrolled: 2-line block ×5, first 2 shown]
	s_waitcnt vmcnt(12)
	v_fmac_f32_e32 v101, v49, v93
	v_fma_f32 v3, v48, v93, -v3
	v_mov_b32_e32 v102, v79
	s_waitcnt vmcnt(11)
	v_fmac_f32_e32 v89, v51, v95
	s_waitcnt vmcnt(10)
	v_fmac_f32_e32 v91, v53, v97
	v_fma_f32 v88, v50, v95, -v88
	v_fma_f32 v90, v52, v97, -v90
	v_pk_mul_f32 v[48:49], v[54:55], v[92:93] op_sel_hi:[1,0]
	s_waitcnt lgkmcnt(3)
	v_pk_mul_f32 v[50:51], v[56:57], v[94:95] op_sel_hi:[1,0]
	v_pk_mul_f32 v[52:53], v[58:59], v[96:97] op_sel_hi:[1,0]
	s_waitcnt lgkmcnt(2)
	v_pk_mul_f32 v[92:93], v[60:61], v[98:99] op_sel_hi:[1,0]
	v_pk_mul_f32 v[94:95], v[62:63], v[100:101] op_sel_hi:[1,0]
	v_add_f32_e32 v101, 0, v101
	v_add_f32_e32 v100, 0, v3
	s_waitcnt lgkmcnt(1)
	v_pk_mul_f32 v[96:97], v[64:65], v[102:103] op_sel_hi:[1,0]
	s_waitcnt vmcnt(9)
	v_pk_fma_f32 v[102:103], v[54:55], v[68:69], v[48:49] op_sel:[0,0,1] op_sel_hi:[1,1,0] neg_lo:[0,0,1] neg_hi:[0,0,1]
	v_pk_fma_f32 v[48:49], v[54:55], v[68:69], v[48:49] op_sel:[0,0,1] op_sel_hi:[1,0,0]
	s_waitcnt vmcnt(8)
	v_pk_fma_f32 v[54:55], v[56:57], v[70:71], v[50:51] op_sel:[0,0,1] op_sel_hi:[1,1,0] neg_lo:[0,0,1] neg_hi:[0,0,1]
	v_pk_fma_f32 v[50:51], v[56:57], v[70:71], v[50:51] op_sel:[0,0,1] op_sel_hi:[1,0,0]
	;; [unrolled: 3-line block ×4, first 2 shown]
	v_pk_add_f32 v[74:75], v[100:101], v[88:89]
	v_mov_b32_e32 v103, v49
	v_pk_add_f32 v[48:49], v[74:75], v[90:91]
	v_mov_b32_e32 v55, v51
	;; [unrolled: 2-line block ×4, first 2 shown]
	s_waitcnt vmcnt(2)
	v_pk_fma_f32 v[68:69], v[62:63], v[76:77], v[94:95] op_sel:[0,0,1] op_sel_hi:[1,1,0] neg_lo:[0,0,1] neg_hi:[0,0,1]
	v_pk_fma_f32 v[62:63], v[62:63], v[76:77], v[94:95] op_sel:[0,0,1] op_sel_hi:[1,0,0]
	v_mov_b32_e32 v59, v61
	v_pk_add_f32 v[48:49], v[48:49], v[56:57]
	v_mov_b32_e32 v106, v83
	v_pk_mul_f32 v[98:99], v[66:67], v[104:105] op_sel_hi:[1,0]
	v_pk_fma_f32 v[70:71], v[64:65], v[78:79], v[96:97] op_sel:[0,0,1] op_sel_hi:[1,1,0] neg_lo:[0,0,1] neg_hi:[0,0,1]
	v_pk_fma_f32 v[64:65], v[64:65], v[78:79], v[96:97] op_sel:[0,0,1] op_sel_hi:[1,0,0]
	v_mov_b32_e32 v69, v63
	v_pk_add_f32 v[48:49], v[48:49], v[58:59]
	v_pk_fma_f32 v[72:73], v[66:67], v[80:81], v[98:99] op_sel:[0,0,1] op_sel_hi:[1,1,0] neg_lo:[0,0,1] neg_hi:[0,0,1]
	v_pk_fma_f32 v[66:67], v[66:67], v[80:81], v[98:99] op_sel:[0,0,1] op_sel_hi:[1,0,0]
	v_mov_b32_e32 v71, v65
	v_pk_add_f32 v[48:49], v[48:49], v[68:69]
	s_waitcnt lgkmcnt(0)
	v_pk_mul_f32 v[50:51], v[86:87], v[106:107] op_sel_hi:[1,0]
	v_mov_b32_e32 v73, v67
	v_pk_add_f32 v[48:49], v[48:49], v[70:71]
	v_pk_fma_f32 v[52:53], v[86:87], v[82:83], v[50:51] op_sel:[0,0,1] op_sel_hi:[1,1,0] neg_lo:[0,0,1] neg_hi:[0,0,1]
	v_pk_fma_f32 v[50:51], v[86:87], v[82:83], v[50:51] op_sel:[0,0,1] op_sel_hi:[1,0,0]
	v_pk_add_f32 v[48:49], v[48:49], v[72:73]
	v_mov_b32_e32 v53, v51
	v_pk_add_f32 v[48:49], v[48:49], v[52:53]
	s_waitcnt vmcnt(0)
	v_pk_add_f32 v[48:49], v[84:85], v[48:49] neg_lo:[0,1] neg_hi:[0,1]
	buffer_store_dword v49, off, s[0:3], 0 offset:84
	buffer_store_dword v48, off, s[0:3], 0 offset:80
	s_and_saveexec_b64 s[4:5], vcc
	s_cbranch_execz .LBB21_127
; %bb.126:
	buffer_load_dword v48, off, s[0:3], 0 offset:72
	buffer_load_dword v49, off, s[0:3], 0 offset:76
	s_waitcnt vmcnt(0)
	ds_write_b64 v1, v[48:49]
	buffer_store_dword v2, off, s[0:3], 0 offset:72
	buffer_store_dword v2, off, s[0:3], 0 offset:76
.LBB21_127:
	s_or_b64 exec, exec, s[4:5]
	s_waitcnt lgkmcnt(0)
	; wave barrier
	s_waitcnt lgkmcnt(0)
	buffer_load_dword v90, off, s[0:3], 0 offset:84
	buffer_load_dword v92, off, s[0:3], 0 offset:92
	;; [unrolled: 1-line block ×26, first 2 shown]
	ds_read_b128 v[48:51], v2 offset:256
	ds_read_b128 v[52:55], v2 offset:272
	;; [unrolled: 1-line block ×6, first 2 shown]
	v_cmp_lt_u32_e32 vcc, 8, v0
	s_waitcnt vmcnt(25) lgkmcnt(5)
	v_mul_f32_e32 v103, v48, v90
	v_mul_f32_e32 v2, v49, v90
	s_waitcnt vmcnt(24)
	v_mul_f32_e32 v104, v50, v92
	s_waitcnt vmcnt(23) lgkmcnt(4)
	v_mul_f32_e32 v3, v52, v93
	s_waitcnt vmcnt(22)
	v_mul_f32_e32 v91, v54, v94
	v_mul_f32_e32 v90, v51, v92
	;; [unrolled: 1-line block ×4, first 2 shown]
	s_waitcnt vmcnt(21)
	v_mov_b32_e32 v92, v73
	s_waitcnt vmcnt(20)
	v_mov_b32_e32 v94, v75
	;; [unrolled: 2-line block ×3, first 2 shown]
	s_waitcnt vmcnt(15)
	v_fmac_f32_e32 v103, v49, v95
	v_fma_f32 v106, v48, v95, -v2
	v_mov_b32_e32 v96, v77
	s_waitcnt vmcnt(14)
	v_fmac_f32_e32 v104, v51, v97
	s_waitcnt vmcnt(13)
	v_fmac_f32_e32 v3, v53, v99
	;; [unrolled: 2-line block ×3, first 2 shown]
	v_fma_f32 v107, v50, v97, -v90
	v_fma_f32 v2, v52, v99, -v93
	;; [unrolled: 1-line block ×3, first 2 shown]
	s_waitcnt lgkmcnt(3)
	v_pk_mul_f32 v[48:49], v[56:57], v[92:93] op_sel_hi:[1,0]
	v_pk_mul_f32 v[50:51], v[58:59], v[94:95] op_sel_hi:[1,0]
	s_waitcnt lgkmcnt(2)
	v_pk_mul_f32 v[54:55], v[62:63], v[98:99] op_sel_hi:[1,0]
	v_add_f32_e32 v98, 0, v103
	v_add_f32_e32 v99, 0, v106
	v_pk_mul_f32 v[52:53], v[60:61], v[96:97] op_sel_hi:[1,0]
	s_waitcnt vmcnt(11)
	v_pk_fma_f32 v[96:97], v[56:57], v[72:73], v[48:49] op_sel:[0,0,1] op_sel_hi:[1,1,0] neg_lo:[0,0,1] neg_hi:[0,0,1]
	v_pk_fma_f32 v[48:49], v[56:57], v[72:73], v[48:49] op_sel:[0,0,1] op_sel_hi:[1,0,0]
	s_waitcnt vmcnt(10)
	v_pk_fma_f32 v[56:57], v[58:59], v[74:75], v[50:51] op_sel:[0,0,1] op_sel_hi:[1,1,0] neg_lo:[0,0,1] neg_hi:[0,0,1]
	v_pk_fma_f32 v[50:51], v[58:59], v[74:75], v[50:51] op_sel:[0,0,1] op_sel_hi:[1,0,0]
	v_add_f32_e32 v75, v98, v104
	v_add_f32_e32 v74, v99, v107
	v_pk_add_f32 v[2:3], v[74:75], v[2:3]
	v_mov_b32_e32 v97, v49
	v_pk_add_f32 v[2:3], v[2:3], v[90:91]
	v_mov_b32_e32 v100, v81
	s_waitcnt vmcnt(9)
	v_pk_fma_f32 v[58:59], v[60:61], v[76:77], v[52:53] op_sel:[0,0,1] op_sel_hi:[1,1,0] neg_lo:[0,0,1] neg_hi:[0,0,1]
	v_pk_fma_f32 v[52:53], v[60:61], v[76:77], v[52:53] op_sel:[0,0,1] op_sel_hi:[1,0,0]
	v_mov_b32_e32 v57, v51
	v_pk_add_f32 v[2:3], v[2:3], v[96:97]
	v_mov_b32_e32 v102, v83
	s_waitcnt lgkmcnt(1)
	v_pk_mul_f32 v[92:93], v[64:65], v[100:101] op_sel_hi:[1,0]
	s_waitcnt vmcnt(5)
	v_pk_fma_f32 v[60:61], v[62:63], v[78:79], v[54:55] op_sel:[0,0,1] op_sel_hi:[1,1,0] neg_lo:[0,0,1] neg_hi:[0,0,1]
	v_pk_fma_f32 v[54:55], v[62:63], v[78:79], v[54:55] op_sel:[0,0,1] op_sel_hi:[1,0,0]
	v_mov_b32_e32 v59, v53
	v_pk_add_f32 v[2:3], v[2:3], v[56:57]
	s_waitcnt vmcnt(4)
	v_mov_b32_e32 v48, v85
	v_pk_mul_f32 v[94:95], v[66:67], v[102:103] op_sel_hi:[1,0]
	v_pk_fma_f32 v[62:63], v[64:65], v[80:81], v[92:93] op_sel:[0,0,1] op_sel_hi:[1,1,0] neg_lo:[0,0,1] neg_hi:[0,0,1]
	v_pk_fma_f32 v[64:65], v[64:65], v[80:81], v[92:93] op_sel:[0,0,1] op_sel_hi:[1,0,0]
	v_mov_b32_e32 v61, v55
	v_pk_add_f32 v[2:3], v[2:3], v[58:59]
	s_waitcnt lgkmcnt(0)
	v_pk_mul_f32 v[48:49], v[68:69], v[48:49] op_sel_hi:[1,0]
	v_pk_fma_f32 v[72:73], v[66:67], v[82:83], v[94:95] op_sel:[0,0,1] op_sel_hi:[1,1,0] neg_lo:[0,0,1] neg_hi:[0,0,1]
	v_pk_fma_f32 v[66:67], v[66:67], v[82:83], v[94:95] op_sel:[0,0,1] op_sel_hi:[1,0,0]
	v_mov_b32_e32 v63, v65
	v_pk_add_f32 v[2:3], v[2:3], v[60:61]
	v_pk_fma_f32 v[50:51], v[68:69], v[84:85], v[48:49] op_sel:[0,0,1] op_sel_hi:[1,1,0] neg_lo:[0,0,1] neg_hi:[0,0,1]
	v_pk_fma_f32 v[48:49], v[68:69], v[84:85], v[48:49] op_sel:[0,0,1] op_sel_hi:[1,0,0]
	v_mov_b32_e32 v73, v67
	v_pk_add_f32 v[2:3], v[2:3], v[62:63]
	s_waitcnt vmcnt(3)
	v_mov_b32_e32 v48, v87
	v_pk_add_f32 v[2:3], v[2:3], v[72:73]
	v_mov_b32_e32 v51, v49
	v_pk_mul_f32 v[48:49], v[70:71], v[48:49] op_sel_hi:[1,0]
	v_pk_add_f32 v[2:3], v[2:3], v[50:51]
	s_waitcnt vmcnt(2)
	v_pk_fma_f32 v[50:51], v[70:71], v[86:87], v[48:49] op_sel:[0,0,1] op_sel_hi:[1,1,0] neg_lo:[0,0,1] neg_hi:[0,0,1]
	v_pk_fma_f32 v[48:49], v[70:71], v[86:87], v[48:49] op_sel:[0,0,1] op_sel_hi:[1,0,0]
	v_mov_b32_e32 v51, v49
	v_pk_add_f32 v[2:3], v[2:3], v[50:51]
	s_waitcnt vmcnt(0)
	v_pk_add_f32 v[2:3], v[88:89], v[2:3] neg_lo:[0,1] neg_hi:[0,1]
	buffer_store_dword v3, off, s[0:3], 0 offset:76
	buffer_store_dword v2, off, s[0:3], 0 offset:72
	s_and_saveexec_b64 s[4:5], vcc
	s_cbranch_execz .LBB21_129
; %bb.128:
	buffer_load_dword v2, off, s[0:3], 0 offset:64
	buffer_load_dword v3, off, s[0:3], 0 offset:68
	v_mov_b32_e32 v48, 0
	buffer_store_dword v48, off, s[0:3], 0 offset:64
	buffer_store_dword v48, off, s[0:3], 0 offset:68
	s_waitcnt vmcnt(2)
	ds_write_b64 v1, v[2:3]
.LBB21_129:
	s_or_b64 exec, exec, s[4:5]
	s_waitcnt lgkmcnt(0)
	; wave barrier
	s_waitcnt lgkmcnt(0)
	buffer_load_dword v3, off, s[0:3], 0 offset:76
	buffer_load_dword v92, off, s[0:3], 0 offset:84
	;; [unrolled: 1-line block ×28, first 2 shown]
	v_mov_b32_e32 v2, 0
	ds_read2_b64 v[48:51], v2 offset0:31 offset1:32
	ds_read2_b64 v[52:55], v2 offset0:33 offset1:34
	ds_read2_b64 v[56:59], v2 offset0:35 offset1:36
	ds_read2_b64 v[60:63], v2 offset0:37 offset1:38
	ds_read2_b64 v[64:67], v2 offset0:39 offset1:40
	ds_read2_b64 v[68:71], v2 offset0:41 offset1:42
	ds_read_b64 v[90:91], v2 offset:344
	v_cmp_lt_u32_e32 vcc, 7, v0
	s_waitcnt vmcnt(27) lgkmcnt(6)
	v_mul_f32_e32 v107, v48, v3
	v_mul_f32_e32 v3, v49, v3
	s_waitcnt vmcnt(26)
	v_mul_f32_e32 v108, v50, v92
	s_waitcnt vmcnt(24) lgkmcnt(5)
	v_mul_f32_e32 v93, v54, v96
	s_waitcnt vmcnt(23) lgkmcnt(4)
	v_mul_f32_e32 v95, v56, v97
	v_mul_f32_e32 v110, v55, v96
	;; [unrolled: 1-line block ×3, first 2 shown]
	s_waitcnt vmcnt(22)
	v_mov_b32_e32 v96, v73
	v_mul_f32_e32 v109, v52, v94
	v_mul_f32_e32 v92, v51, v92
	;; [unrolled: 1-line block ×3, first 2 shown]
	s_waitcnt vmcnt(17)
	v_fmac_f32_e32 v107, v49, v99
	v_fma_f32 v3, v48, v99, -v3
	v_pk_mul_f32 v[48:49], v[58:59], v[96:97] op_sel_hi:[1,0]
	s_waitcnt vmcnt(16)
	v_fmac_f32_e32 v108, v51, v101
	s_waitcnt vmcnt(13)
	v_fmac_f32_e32 v95, v57, v106
	v_fma_f32 v99, v50, v101, -v92
	v_fma_f32 v101, v52, v103, -v94
	;; [unrolled: 1-line block ×3, first 2 shown]
	v_add_f32_e32 v96, 0, v107
	v_add_f32_e32 v3, 0, v3
	s_waitcnt vmcnt(12)
	v_pk_fma_f32 v[56:57], v[58:59], v[72:73], v[48:49] op_sel:[0,0,1] op_sel_hi:[1,1,0] neg_lo:[0,0,1] neg_hi:[0,0,1]
	v_pk_fma_f32 v[48:49], v[58:59], v[72:73], v[48:49] op_sel:[0,0,1] op_sel_hi:[1,0,0]
	v_fmac_f32_e32 v109, v53, v103
	v_add_f32_e32 v48, v96, v108
	v_add_f32_e32 v3, v3, v99
	v_mov_b32_e32 v98, v75
	v_fmac_f32_e32 v93, v55, v105
	v_fma_f32 v92, v54, v105, -v110
	v_mov_b32_e32 v57, v49
	v_add_f32_e32 v49, v48, v109
	v_add_f32_e32 v48, v3, v101
	v_mov_b32_e32 v100, v77
	s_waitcnt lgkmcnt(3)
	v_pk_mul_f32 v[50:51], v[60:61], v[98:99] op_sel_hi:[1,0]
	v_pk_add_f32 v[48:49], v[48:49], v[92:93]
	v_mov_b32_e32 v102, v79
	v_mov_b32_e32 v104, v81
	v_pk_mul_f32 v[52:53], v[62:63], v[100:101] op_sel_hi:[1,0]
	s_waitcnt vmcnt(11)
	v_pk_fma_f32 v[58:59], v[60:61], v[74:75], v[50:51] op_sel:[0,0,1] op_sel_hi:[1,1,0] neg_lo:[0,0,1] neg_hi:[0,0,1]
	v_pk_fma_f32 v[50:51], v[60:61], v[74:75], v[50:51] op_sel:[0,0,1] op_sel_hi:[1,0,0]
	v_pk_add_f32 v[48:49], v[48:49], v[94:95]
	s_waitcnt lgkmcnt(2)
	v_pk_mul_f32 v[54:55], v[64:65], v[102:103] op_sel_hi:[1,0]
	s_waitcnt vmcnt(7)
	v_pk_fma_f32 v[60:61], v[62:63], v[76:77], v[52:53] op_sel:[0,0,1] op_sel_hi:[1,1,0] neg_lo:[0,0,1] neg_hi:[0,0,1]
	v_pk_fma_f32 v[52:53], v[62:63], v[76:77], v[52:53] op_sel:[0,0,1] op_sel_hi:[1,0,0]
	v_mov_b32_e32 v59, v51
	v_pk_add_f32 v[48:49], v[48:49], v[56:57]
	v_pk_mul_f32 v[50:51], v[66:67], v[104:105] op_sel_hi:[1,0]
	v_pk_fma_f32 v[62:63], v[64:65], v[78:79], v[54:55] op_sel:[0,0,1] op_sel_hi:[1,1,0] neg_lo:[0,0,1] neg_hi:[0,0,1]
	v_pk_fma_f32 v[54:55], v[64:65], v[78:79], v[54:55] op_sel:[0,0,1] op_sel_hi:[1,0,0]
	v_mov_b32_e32 v61, v53
	v_pk_add_f32 v[48:49], v[48:49], v[58:59]
	v_pk_fma_f32 v[52:53], v[66:67], v[80:81], v[50:51] op_sel:[0,0,1] op_sel_hi:[1,1,0] neg_lo:[0,0,1] neg_hi:[0,0,1]
	v_pk_fma_f32 v[50:51], v[66:67], v[80:81], v[50:51] op_sel:[0,0,1] op_sel_hi:[1,0,0]
	v_mov_b32_e32 v63, v55
	v_pk_add_f32 v[48:49], v[48:49], v[60:61]
	s_waitcnt vmcnt(6)
	v_mov_b32_e32 v50, v83
	v_pk_add_f32 v[48:49], v[48:49], v[62:63]
	v_mov_b32_e32 v53, v51
	s_waitcnt lgkmcnt(1)
	v_pk_mul_f32 v[50:51], v[68:69], v[50:51] op_sel_hi:[1,0]
	v_pk_add_f32 v[48:49], v[48:49], v[52:53]
	v_pk_fma_f32 v[52:53], v[68:69], v[82:83], v[50:51] op_sel:[0,0,1] op_sel_hi:[1,1,0] neg_lo:[0,0,1] neg_hi:[0,0,1]
	v_pk_fma_f32 v[50:51], v[68:69], v[82:83], v[50:51] op_sel:[0,0,1] op_sel_hi:[1,0,0]
	s_waitcnt vmcnt(5)
	v_mov_b32_e32 v50, v85
	v_mov_b32_e32 v53, v51
	v_pk_mul_f32 v[50:51], v[70:71], v[50:51] op_sel_hi:[1,0]
	v_pk_add_f32 v[48:49], v[48:49], v[52:53]
	s_waitcnt vmcnt(3)
	v_pk_fma_f32 v[52:53], v[70:71], v[84:85], v[50:51] op_sel:[0,0,1] op_sel_hi:[1,1,0] neg_lo:[0,0,1] neg_hi:[0,0,1]
	v_pk_fma_f32 v[50:51], v[70:71], v[84:85], v[50:51] op_sel:[0,0,1] op_sel_hi:[1,0,0]
	s_waitcnt vmcnt(2)
	v_mov_b32_e32 v50, v87
	v_mov_b32_e32 v53, v51
	s_waitcnt lgkmcnt(0)
	v_pk_mul_f32 v[50:51], v[90:91], v[50:51] op_sel_hi:[1,0]
	v_pk_add_f32 v[48:49], v[48:49], v[52:53]
	v_pk_fma_f32 v[52:53], v[90:91], v[86:87], v[50:51] op_sel:[0,0,1] op_sel_hi:[1,1,0] neg_lo:[0,0,1] neg_hi:[0,0,1]
	v_pk_fma_f32 v[50:51], v[90:91], v[86:87], v[50:51] op_sel:[0,0,1] op_sel_hi:[1,0,0]
	v_mov_b32_e32 v53, v51
	v_pk_add_f32 v[48:49], v[48:49], v[52:53]
	s_waitcnt vmcnt(0)
	v_pk_add_f32 v[48:49], v[88:89], v[48:49] neg_lo:[0,1] neg_hi:[0,1]
	buffer_store_dword v49, off, s[0:3], 0 offset:68
	buffer_store_dword v48, off, s[0:3], 0 offset:64
	s_and_saveexec_b64 s[4:5], vcc
	s_cbranch_execz .LBB21_131
; %bb.130:
	buffer_load_dword v48, off, s[0:3], 0 offset:56
	buffer_load_dword v49, off, s[0:3], 0 offset:60
	s_waitcnt vmcnt(0)
	ds_write_b64 v1, v[48:49]
	buffer_store_dword v2, off, s[0:3], 0 offset:56
	buffer_store_dword v2, off, s[0:3], 0 offset:60
.LBB21_131:
	s_or_b64 exec, exec, s[4:5]
	s_waitcnt lgkmcnt(0)
	; wave barrier
	s_waitcnt lgkmcnt(0)
	buffer_load_dword v94, off, s[0:3], 0 offset:68
	buffer_load_dword v96, off, s[0:3], 0 offset:76
	;; [unrolled: 1-line block ×30, first 2 shown]
	ds_read_b128 v[48:51], v2 offset:240
	ds_read_b128 v[52:55], v2 offset:256
	;; [unrolled: 1-line block ×7, first 2 shown]
	v_cmp_lt_u32_e32 vcc, 6, v0
	s_waitcnt vmcnt(29) lgkmcnt(6)
	v_mul_f32_e32 v107, v48, v94
	s_waitcnt vmcnt(28)
	v_mul_f32_e32 v108, v50, v96
	s_waitcnt vmcnt(27) lgkmcnt(5)
	v_mul_f32_e32 v109, v52, v97
	v_mul_f32_e32 v97, v53, v97
	s_waitcnt vmcnt(26)
	v_mul_f32_e32 v110, v54, v98
	s_waitcnt vmcnt(25) lgkmcnt(4)
	v_mul_f32_e32 v3, v56, v99
	v_mul_f32_e32 v2, v49, v94
	;; [unrolled: 1-line block ×5, first 2 shown]
	s_waitcnt vmcnt(23)
	v_mov_b32_e32 v96, v77
	s_waitcnt vmcnt(22)
	v_mov_b32_e32 v98, v79
	s_waitcnt vmcnt(18)
	v_fma_f32 v97, v52, v103, -v97
	v_fmac_f32_e32 v107, v49, v101
	v_fmac_f32_e32 v108, v51, v102
	s_waitcnt vmcnt(17)
	v_fmac_f32_e32 v110, v55, v104
	v_fma_f32 v55, v48, v101, -v2
	v_fma_f32 v101, v50, v102, -v94
	s_waitcnt lgkmcnt(3)
	v_pk_mul_f32 v[48:49], v[60:61], v[96:97] op_sel_hi:[1,0]
	v_pk_mul_f32 v[50:51], v[62:63], v[98:99] op_sel_hi:[1,0]
	s_waitcnt vmcnt(16)
	v_fmac_f32_e32 v3, v57, v105
	v_fma_f32 v102, v54, v104, -v111
	v_fma_f32 v2, v56, v105, -v99
	v_add_f32_e32 v96, 0, v107
	v_add_f32_e32 v98, 0, v55
	s_waitcnt vmcnt(14)
	v_pk_fma_f32 v[54:55], v[60:61], v[76:77], v[48:49] op_sel:[0,0,1] op_sel_hi:[1,1,0] neg_lo:[0,0,1] neg_hi:[0,0,1]
	v_pk_fma_f32 v[48:49], v[60:61], v[76:77], v[48:49] op_sel:[0,0,1] op_sel_hi:[1,0,0]
	s_waitcnt vmcnt(10)
	v_pk_fma_f32 v[56:57], v[62:63], v[78:79], v[50:51] op_sel:[0,0,1] op_sel_hi:[1,1,0] neg_lo:[0,0,1] neg_hi:[0,0,1]
	v_pk_fma_f32 v[50:51], v[62:63], v[78:79], v[50:51] op_sel:[0,0,1] op_sel_hi:[1,0,0]
	v_fmac_f32_e32 v109, v53, v103
	v_add_f32_e32 v48, v96, v108
	v_add_f32_e32 v50, v98, v101
	;; [unrolled: 1-line block ×4, first 2 shown]
	v_mul_f32_e32 v95, v58, v100
	v_mul_f32_e32 v112, v59, v100
	v_mov_b32_e32 v55, v49
	v_add_f32_e32 v49, v48, v110
	v_add_f32_e32 v48, v50, v102
	v_mov_b32_e32 v100, v81
	v_fmac_f32_e32 v95, v59, v106
	v_fma_f32 v94, v58, v106, -v112
	v_pk_add_f32 v[2:3], v[48:49], v[2:3]
	s_waitcnt vmcnt(9)
	v_mov_b32_e32 v48, v85
	s_waitcnt lgkmcnt(2)
	v_pk_mul_f32 v[52:53], v[64:65], v[100:101] op_sel_hi:[1,0]
	v_pk_add_f32 v[2:3], v[2:3], v[94:95]
	v_pk_mul_f32 v[48:49], v[66:67], v[48:49] op_sel_hi:[1,0]
	v_pk_fma_f32 v[58:59], v[64:65], v[80:81], v[52:53] op_sel:[0,0,1] op_sel_hi:[1,1,0] neg_lo:[0,0,1] neg_hi:[0,0,1]
	v_pk_fma_f32 v[52:53], v[64:65], v[80:81], v[52:53] op_sel:[0,0,1] op_sel_hi:[1,0,0]
	v_mov_b32_e32 v57, v51
	v_pk_add_f32 v[2:3], v[2:3], v[54:55]
	v_pk_fma_f32 v[50:51], v[66:67], v[84:85], v[48:49] op_sel:[0,0,1] op_sel_hi:[1,1,0] neg_lo:[0,0,1] neg_hi:[0,0,1]
	v_pk_fma_f32 v[48:49], v[66:67], v[84:85], v[48:49] op_sel:[0,0,1] op_sel_hi:[1,0,0]
	v_mov_b32_e32 v59, v53
	v_pk_add_f32 v[2:3], v[2:3], v[56:57]
	s_waitcnt vmcnt(8)
	v_mov_b32_e32 v48, v83
	v_pk_add_f32 v[2:3], v[2:3], v[58:59]
	v_mov_b32_e32 v51, v49
	s_waitcnt lgkmcnt(1)
	v_pk_mul_f32 v[48:49], v[68:69], v[48:49] op_sel_hi:[1,0]
	v_pk_add_f32 v[2:3], v[2:3], v[50:51]
	v_pk_fma_f32 v[50:51], v[68:69], v[82:83], v[48:49] op_sel:[0,0,1] op_sel_hi:[1,1,0] neg_lo:[0,0,1] neg_hi:[0,0,1]
	v_pk_fma_f32 v[48:49], v[68:69], v[82:83], v[48:49] op_sel:[0,0,1] op_sel_hi:[1,0,0]
	s_waitcnt vmcnt(7)
	v_mov_b32_e32 v48, v87
	v_mov_b32_e32 v51, v49
	v_pk_mul_f32 v[48:49], v[70:71], v[48:49] op_sel_hi:[1,0]
	v_pk_add_f32 v[2:3], v[2:3], v[50:51]
	s_waitcnt vmcnt(4)
	v_pk_fma_f32 v[50:51], v[70:71], v[86:87], v[48:49] op_sel:[0,0,1] op_sel_hi:[1,1,0] neg_lo:[0,0,1] neg_hi:[0,0,1]
	v_pk_fma_f32 v[48:49], v[70:71], v[86:87], v[48:49] op_sel:[0,0,1] op_sel_hi:[1,0,0]
	s_waitcnt vmcnt(3)
	v_mov_b32_e32 v48, v91
	v_mov_b32_e32 v51, v49
	s_waitcnt lgkmcnt(0)
	v_pk_mul_f32 v[48:49], v[72:73], v[48:49] op_sel_hi:[1,0]
	v_pk_add_f32 v[2:3], v[2:3], v[50:51]
	v_pk_fma_f32 v[50:51], v[72:73], v[90:91], v[48:49] op_sel:[0,0,1] op_sel_hi:[1,1,0] neg_lo:[0,0,1] neg_hi:[0,0,1]
	v_pk_fma_f32 v[48:49], v[72:73], v[90:91], v[48:49] op_sel:[0,0,1] op_sel_hi:[1,0,0]
	s_waitcnt vmcnt(0)
	v_mov_b32_e32 v48, v89
	v_mov_b32_e32 v51, v49
	v_pk_mul_f32 v[48:49], v[74:75], v[48:49] op_sel_hi:[1,0]
	v_pk_add_f32 v[2:3], v[2:3], v[50:51]
	v_pk_fma_f32 v[50:51], v[74:75], v[88:89], v[48:49] op_sel:[0,0,1] op_sel_hi:[1,1,0] neg_lo:[0,0,1] neg_hi:[0,0,1]
	v_pk_fma_f32 v[48:49], v[74:75], v[88:89], v[48:49] op_sel:[0,0,1] op_sel_hi:[1,0,0]
	v_mov_b32_e32 v51, v49
	v_pk_add_f32 v[2:3], v[2:3], v[50:51]
	v_pk_add_f32 v[2:3], v[92:93], v[2:3] neg_lo:[0,1] neg_hi:[0,1]
	buffer_store_dword v3, off, s[0:3], 0 offset:60
	buffer_store_dword v2, off, s[0:3], 0 offset:56
	s_and_saveexec_b64 s[4:5], vcc
	s_cbranch_execz .LBB21_133
; %bb.132:
	buffer_load_dword v2, off, s[0:3], 0 offset:48
	buffer_load_dword v3, off, s[0:3], 0 offset:52
	v_mov_b32_e32 v48, 0
	buffer_store_dword v48, off, s[0:3], 0 offset:48
	buffer_store_dword v48, off, s[0:3], 0 offset:52
	s_waitcnt vmcnt(2)
	ds_write_b64 v1, v[2:3]
.LBB21_133:
	s_or_b64 exec, exec, s[4:5]
	s_waitcnt lgkmcnt(0)
	; wave barrier
	s_waitcnt lgkmcnt(0)
	buffer_load_dword v3, off, s[0:3], 0 offset:60
	buffer_load_dword v96, off, s[0:3], 0 offset:68
	;; [unrolled: 1-line block ×32, first 2 shown]
	v_mov_b32_e32 v2, 0
	ds_read2_b64 v[48:51], v2 offset0:29 offset1:30
	ds_read2_b64 v[52:55], v2 offset0:31 offset1:32
	ds_read2_b64 v[56:59], v2 offset0:33 offset1:34
	ds_read2_b64 v[60:63], v2 offset0:35 offset1:36
	ds_read2_b64 v[64:67], v2 offset0:37 offset1:38
	ds_read2_b64 v[68:71], v2 offset0:39 offset1:40
	ds_read2_b64 v[72:75], v2 offset0:41 offset1:42
	ds_read_b64 v[94:95], v2 offset:344
	v_cmp_lt_u32_e32 vcc, 5, v0
	s_waitcnt vmcnt(31) lgkmcnt(7)
	v_mul_f32_e32 v111, v48, v3
	v_mul_f32_e32 v3, v49, v3
	s_waitcnt vmcnt(30)
	v_mul_f32_e32 v112, v50, v96
	s_waitcnt vmcnt(28) lgkmcnt(6)
	v_mul_f32_e32 v114, v54, v100
	s_waitcnt vmcnt(27) lgkmcnt(5)
	v_mul_f32_e32 v115, v56, v101
	v_mul_f32_e32 v116, v55, v100
	;; [unrolled: 1-line block ×3, first 2 shown]
	s_waitcnt vmcnt(24)
	v_mov_b32_e32 v100, v77
	v_mul_f32_e32 v113, v52, v98
	v_mul_f32_e32 v96, v51, v96
	s_waitcnt vmcnt(22)
	v_fmac_f32_e32 v111, v49, v104
	v_fma_f32 v3, v48, v104, -v3
	s_waitcnt lgkmcnt(4)
	v_pk_mul_f32 v[48:49], v[62:63], v[100:101] op_sel_hi:[1,0]
	v_mul_f32_e32 v98, v53, v98
	s_waitcnt vmcnt(21)
	v_fmac_f32_e32 v112, v51, v105
	s_waitcnt vmcnt(20)
	v_fmac_f32_e32 v113, v53, v106
	;; [unrolled: 2-line block ×3, first 2 shown]
	v_fma_f32 v53, v50, v105, -v96
	s_waitcnt vmcnt(18)
	v_fma_f32 v55, v56, v108, -v101
	v_add_f32_e32 v56, 0, v111
	v_add_f32_e32 v3, 0, v3
	s_waitcnt vmcnt(12)
	v_pk_fma_f32 v[50:51], v[62:63], v[76:77], v[48:49] op_sel:[0,0,1] op_sel_hi:[1,1,0] neg_lo:[0,0,1] neg_hi:[0,0,1]
	v_pk_fma_f32 v[48:49], v[62:63], v[76:77], v[48:49] op_sel:[0,0,1] op_sel_hi:[1,0,0]
	v_fma_f32 v52, v52, v106, -v98
	v_add_f32_e32 v48, v56, v112
	v_add_f32_e32 v3, v3, v53
	v_fma_f32 v54, v54, v107, -v116
	v_add_f32_e32 v48, v48, v113
	v_add_f32_e32 v3, v3, v52
	v_mul_f32_e32 v97, v58, v102
	v_mul_f32_e32 v117, v59, v102
	v_fmac_f32_e32 v115, v57, v108
	v_add_f32_e32 v48, v48, v114
	v_add_f32_e32 v3, v3, v54
	v_mul_f32_e32 v99, v60, v103
	v_mul_f32_e32 v103, v61, v103
	v_fmac_f32_e32 v97, v59, v109
	v_fma_f32 v96, v58, v109, -v117
	v_mov_b32_e32 v51, v49
	v_add_f32_e32 v49, v48, v115
	v_add_f32_e32 v48, v3, v55
	v_fmac_f32_e32 v99, v61, v110
	v_fma_f32 v98, v60, v110, -v103
	v_pk_add_f32 v[48:49], v[48:49], v[96:97]
	v_mov_b32_e32 v102, v79
	v_pk_add_f32 v[48:49], v[48:49], v[98:99]
	v_pk_add_f32 v[48:49], v[48:49], v[50:51]
	s_waitcnt lgkmcnt(3)
	v_pk_mul_f32 v[50:51], v[64:65], v[102:103] op_sel_hi:[1,0]
	v_pk_fma_f32 v[52:53], v[64:65], v[78:79], v[50:51] op_sel:[0,0,1] op_sel_hi:[1,1,0] neg_lo:[0,0,1] neg_hi:[0,0,1]
	v_pk_fma_f32 v[50:51], v[64:65], v[78:79], v[50:51] op_sel:[0,0,1] op_sel_hi:[1,0,0]
	s_waitcnt vmcnt(11)
	v_mov_b32_e32 v50, v83
	v_mov_b32_e32 v53, v51
	v_pk_mul_f32 v[50:51], v[66:67], v[50:51] op_sel_hi:[1,0]
	v_pk_add_f32 v[48:49], v[48:49], v[52:53]
	v_pk_fma_f32 v[52:53], v[66:67], v[82:83], v[50:51] op_sel:[0,0,1] op_sel_hi:[1,1,0] neg_lo:[0,0,1] neg_hi:[0,0,1]
	v_pk_fma_f32 v[50:51], v[66:67], v[82:83], v[50:51] op_sel:[0,0,1] op_sel_hi:[1,0,0]
	s_waitcnt vmcnt(10)
	v_mov_b32_e32 v50, v81
	v_mov_b32_e32 v53, v51
	s_waitcnt lgkmcnt(2)
	v_pk_mul_f32 v[50:51], v[68:69], v[50:51] op_sel_hi:[1,0]
	v_pk_add_f32 v[48:49], v[48:49], v[52:53]
	v_pk_fma_f32 v[52:53], v[68:69], v[80:81], v[50:51] op_sel:[0,0,1] op_sel_hi:[1,1,0] neg_lo:[0,0,1] neg_hi:[0,0,1]
	v_pk_fma_f32 v[50:51], v[68:69], v[80:81], v[50:51] op_sel:[0,0,1] op_sel_hi:[1,0,0]
	s_waitcnt vmcnt(9)
	v_mov_b32_e32 v50, v85
	v_mov_b32_e32 v53, v51
	v_pk_mul_f32 v[50:51], v[70:71], v[50:51] op_sel_hi:[1,0]
	v_pk_add_f32 v[48:49], v[48:49], v[52:53]
	s_waitcnt vmcnt(4)
	v_pk_fma_f32 v[52:53], v[70:71], v[84:85], v[50:51] op_sel:[0,0,1] op_sel_hi:[1,1,0] neg_lo:[0,0,1] neg_hi:[0,0,1]
	v_pk_fma_f32 v[50:51], v[70:71], v[84:85], v[50:51] op_sel:[0,0,1] op_sel_hi:[1,0,0]
	v_mov_b32_e32 v50, v91
	v_mov_b32_e32 v53, v51
	s_waitcnt lgkmcnt(1)
	v_pk_mul_f32 v[50:51], v[72:73], v[50:51] op_sel_hi:[1,0]
	v_pk_add_f32 v[48:49], v[48:49], v[52:53]
	v_pk_fma_f32 v[52:53], v[72:73], v[90:91], v[50:51] op_sel:[0,0,1] op_sel_hi:[1,1,0] neg_lo:[0,0,1] neg_hi:[0,0,1]
	v_pk_fma_f32 v[50:51], v[72:73], v[90:91], v[50:51] op_sel:[0,0,1] op_sel_hi:[1,0,0]
	s_waitcnt vmcnt(3)
	v_mov_b32_e32 v50, v89
	v_mov_b32_e32 v53, v51
	v_pk_mul_f32 v[50:51], v[74:75], v[50:51] op_sel_hi:[1,0]
	v_pk_add_f32 v[48:49], v[48:49], v[52:53]
	v_pk_fma_f32 v[52:53], v[74:75], v[88:89], v[50:51] op_sel:[0,0,1] op_sel_hi:[1,1,0] neg_lo:[0,0,1] neg_hi:[0,0,1]
	v_pk_fma_f32 v[50:51], v[74:75], v[88:89], v[50:51] op_sel:[0,0,1] op_sel_hi:[1,0,0]
	s_waitcnt vmcnt(0)
	v_mov_b32_e32 v50, v87
	v_mov_b32_e32 v53, v51
	s_waitcnt lgkmcnt(0)
	v_pk_mul_f32 v[50:51], v[94:95], v[50:51] op_sel_hi:[1,0]
	v_pk_add_f32 v[48:49], v[48:49], v[52:53]
	v_pk_fma_f32 v[52:53], v[94:95], v[86:87], v[50:51] op_sel:[0,0,1] op_sel_hi:[1,1,0] neg_lo:[0,0,1] neg_hi:[0,0,1]
	v_pk_fma_f32 v[50:51], v[94:95], v[86:87], v[50:51] op_sel:[0,0,1] op_sel_hi:[1,0,0]
	v_mov_b32_e32 v53, v51
	v_pk_add_f32 v[48:49], v[48:49], v[52:53]
	v_pk_add_f32 v[48:49], v[92:93], v[48:49] neg_lo:[0,1] neg_hi:[0,1]
	buffer_store_dword v49, off, s[0:3], 0 offset:52
	buffer_store_dword v48, off, s[0:3], 0 offset:48
	s_and_saveexec_b64 s[4:5], vcc
	s_cbranch_execz .LBB21_135
; %bb.134:
	buffer_load_dword v48, off, s[0:3], 0 offset:40
	buffer_load_dword v49, off, s[0:3], 0 offset:44
	s_waitcnt vmcnt(0)
	ds_write_b64 v1, v[48:49]
	buffer_store_dword v2, off, s[0:3], 0 offset:40
	buffer_store_dword v2, off, s[0:3], 0 offset:44
.LBB21_135:
	s_or_b64 exec, exec, s[4:5]
	s_waitcnt lgkmcnt(0)
	; wave barrier
	s_waitcnt lgkmcnt(0)
	buffer_load_dword v98, off, s[0:3], 0 offset:52
	buffer_load_dword v100, off, s[0:3], 0 offset:60
	;; [unrolled: 1-line block ×32, first 2 shown]
	ds_read_b128 v[48:51], v2 offset:224
	ds_read_b128 v[52:55], v2 offset:240
	;; [unrolled: 1-line block ×4, first 2 shown]
	buffer_load_dword v97, off, s[0:3], 0 offset:172
	buffer_load_dword v96, off, s[0:3], 0 offset:168
	ds_read_b128 v[64:67], v2 offset:288
	ds_read_b128 v[68:71], v2 offset:304
	;; [unrolled: 1-line block ×4, first 2 shown]
	v_cmp_lt_u32_e32 vcc, 4, v0
	s_waitcnt vmcnt(33) lgkmcnt(7)
	v_mul_f32_e32 v115, v48, v98
	v_mul_f32_e32 v2, v49, v98
	s_waitcnt vmcnt(32)
	v_mul_f32_e32 v116, v50, v100
	s_waitcnt vmcnt(31) lgkmcnt(6)
	v_mul_f32_e32 v117, v52, v101
	v_mul_f32_e32 v98, v51, v100
	;; [unrolled: 1-line block ×3, first 2 shown]
	s_waitcnt vmcnt(30)
	v_mul_f32_e32 v101, v55, v102
	v_mul_f32_e32 v118, v54, v102
	s_waitcnt vmcnt(25)
	v_fmac_f32_e32 v115, v49, v107
	v_fma_f32 v48, v48, v107, -v2
	s_waitcnt vmcnt(24)
	v_fmac_f32_e32 v116, v51, v108
	v_fma_f32 v49, v50, v108, -v98
	s_waitcnt vmcnt(22)
	v_fma_f32 v51, v54, v110, -v101
	v_add_f32_e32 v54, 0, v115
	v_add_f32_e32 v48, 0, v48
	v_fmac_f32_e32 v117, v53, v109
	v_fma_f32 v50, v52, v109, -v100
	v_add_f32_e32 v54, v54, v116
	v_add_f32_e32 v48, v48, v49
	s_waitcnt lgkmcnt(5)
	v_mul_f32_e32 v119, v56, v103
	v_mul_f32_e32 v102, v57, v103
	v_fmac_f32_e32 v118, v55, v110
	v_add_f32_e32 v49, v54, v117
	v_add_f32_e32 v48, v48, v50
	v_mul_f32_e32 v120, v58, v104
	v_mul_f32_e32 v103, v59, v104
	s_waitcnt vmcnt(21)
	v_fmac_f32_e32 v119, v57, v111
	v_fma_f32 v52, v56, v111, -v102
	v_add_f32_e32 v49, v49, v118
	v_add_f32_e32 v48, v48, v51
	s_waitcnt lgkmcnt(4)
	v_mul_f32_e32 v3, v60, v105
	v_mul_f32_e32 v104, v61, v105
	s_waitcnt vmcnt(20)
	v_fmac_f32_e32 v120, v59, v112
	v_fma_f32 v53, v58, v112, -v103
	v_add_f32_e32 v49, v49, v119
	v_add_f32_e32 v48, v48, v52
	s_waitcnt vmcnt(19)
	v_fmac_f32_e32 v3, v61, v113
	v_fma_f32 v2, v60, v113, -v104
	v_add_f32_e32 v49, v49, v120
	v_add_f32_e32 v48, v48, v53
	v_pk_add_f32 v[2:3], v[48:49], v[2:3]
	s_waitcnt vmcnt(17)
	v_mov_b32_e32 v48, v81
	s_waitcnt lgkmcnt(3)
	v_pk_mul_f32 v[48:49], v[64:65], v[48:49] op_sel_hi:[1,0]
	v_mul_f32_e32 v99, v62, v106
	v_mul_f32_e32 v105, v63, v106
	s_waitcnt vmcnt(14)
	v_pk_fma_f32 v[50:51], v[64:65], v[80:81], v[48:49] op_sel:[0,0,1] op_sel_hi:[1,1,0] neg_lo:[0,0,1] neg_hi:[0,0,1]
	v_pk_fma_f32 v[48:49], v[64:65], v[80:81], v[48:49] op_sel:[0,0,1] op_sel_hi:[1,0,0]
	v_fmac_f32_e32 v99, v63, v114
	v_fma_f32 v98, v62, v114, -v105
	s_waitcnt vmcnt(13)
	v_mov_b32_e32 v48, v85
	v_pk_add_f32 v[2:3], v[2:3], v[98:99]
	v_mov_b32_e32 v51, v49
	v_pk_mul_f32 v[48:49], v[66:67], v[48:49] op_sel_hi:[1,0]
	v_pk_add_f32 v[2:3], v[2:3], v[50:51]
	v_pk_fma_f32 v[50:51], v[66:67], v[84:85], v[48:49] op_sel:[0,0,1] op_sel_hi:[1,1,0] neg_lo:[0,0,1] neg_hi:[0,0,1]
	v_pk_fma_f32 v[48:49], v[66:67], v[84:85], v[48:49] op_sel:[0,0,1] op_sel_hi:[1,0,0]
	s_waitcnt vmcnt(12)
	v_mov_b32_e32 v48, v83
	v_mov_b32_e32 v51, v49
	s_waitcnt lgkmcnt(2)
	v_pk_mul_f32 v[48:49], v[68:69], v[48:49] op_sel_hi:[1,0]
	v_pk_add_f32 v[2:3], v[2:3], v[50:51]
	v_pk_fma_f32 v[50:51], v[68:69], v[82:83], v[48:49] op_sel:[0,0,1] op_sel_hi:[1,1,0] neg_lo:[0,0,1] neg_hi:[0,0,1]
	v_pk_fma_f32 v[48:49], v[68:69], v[82:83], v[48:49] op_sel:[0,0,1] op_sel_hi:[1,0,0]
	s_waitcnt vmcnt(11)
	v_mov_b32_e32 v48, v87
	v_mov_b32_e32 v51, v49
	v_pk_mul_f32 v[48:49], v[70:71], v[48:49] op_sel_hi:[1,0]
	v_pk_add_f32 v[2:3], v[2:3], v[50:51]
	s_waitcnt vmcnt(5)
	v_pk_fma_f32 v[50:51], v[70:71], v[86:87], v[48:49] op_sel:[0,0,1] op_sel_hi:[1,1,0] neg_lo:[0,0,1] neg_hi:[0,0,1]
	v_pk_fma_f32 v[48:49], v[70:71], v[86:87], v[48:49] op_sel:[0,0,1] op_sel_hi:[1,0,0]
	v_mov_b32_e32 v48, v93
	v_mov_b32_e32 v51, v49
	s_waitcnt lgkmcnt(1)
	v_pk_mul_f32 v[48:49], v[72:73], v[48:49] op_sel_hi:[1,0]
	v_pk_add_f32 v[2:3], v[2:3], v[50:51]
	v_pk_fma_f32 v[50:51], v[72:73], v[92:93], v[48:49] op_sel:[0,0,1] op_sel_hi:[1,1,0] neg_lo:[0,0,1] neg_hi:[0,0,1]
	v_pk_fma_f32 v[48:49], v[72:73], v[92:93], v[48:49] op_sel:[0,0,1] op_sel_hi:[1,0,0]
	v_mov_b32_e32 v48, v91
	v_mov_b32_e32 v51, v49
	v_pk_mul_f32 v[48:49], v[74:75], v[48:49] op_sel_hi:[1,0]
	v_pk_add_f32 v[2:3], v[2:3], v[50:51]
	v_pk_fma_f32 v[50:51], v[74:75], v[90:91], v[48:49] op_sel:[0,0,1] op_sel_hi:[1,1,0] neg_lo:[0,0,1] neg_hi:[0,0,1]
	v_pk_fma_f32 v[48:49], v[74:75], v[90:91], v[48:49] op_sel:[0,0,1] op_sel_hi:[1,0,0]
	s_waitcnt vmcnt(2)
	v_mov_b32_e32 v48, v89
	v_mov_b32_e32 v51, v49
	s_waitcnt lgkmcnt(0)
	v_pk_mul_f32 v[48:49], v[76:77], v[48:49] op_sel_hi:[1,0]
	v_pk_add_f32 v[2:3], v[2:3], v[50:51]
	v_pk_fma_f32 v[50:51], v[76:77], v[88:89], v[48:49] op_sel:[0,0,1] op_sel_hi:[1,1,0] neg_lo:[0,0,1] neg_hi:[0,0,1]
	v_pk_fma_f32 v[48:49], v[76:77], v[88:89], v[48:49] op_sel:[0,0,1] op_sel_hi:[1,0,0]
	s_waitcnt vmcnt(1)
	v_mov_b32_e32 v48, v97
	v_mov_b32_e32 v51, v49
	v_pk_mul_f32 v[48:49], v[78:79], v[48:49] op_sel_hi:[1,0]
	v_pk_add_f32 v[2:3], v[2:3], v[50:51]
	s_waitcnt vmcnt(0)
	v_pk_fma_f32 v[50:51], v[78:79], v[96:97], v[48:49] op_sel:[0,0,1] op_sel_hi:[1,1,0] neg_lo:[0,0,1] neg_hi:[0,0,1]
	v_pk_fma_f32 v[48:49], v[78:79], v[96:97], v[48:49] op_sel:[0,0,1] op_sel_hi:[1,0,0]
	v_mov_b32_e32 v51, v49
	v_pk_add_f32 v[2:3], v[2:3], v[50:51]
	v_pk_add_f32 v[2:3], v[94:95], v[2:3] neg_lo:[0,1] neg_hi:[0,1]
	buffer_store_dword v3, off, s[0:3], 0 offset:44
	buffer_store_dword v2, off, s[0:3], 0 offset:40
	s_and_saveexec_b64 s[4:5], vcc
	s_cbranch_execz .LBB21_137
; %bb.136:
	buffer_load_dword v2, off, s[0:3], 0 offset:32
	buffer_load_dword v3, off, s[0:3], 0 offset:36
	v_mov_b32_e32 v48, 0
	buffer_store_dword v48, off, s[0:3], 0 offset:32
	buffer_store_dword v48, off, s[0:3], 0 offset:36
	s_waitcnt vmcnt(2)
	ds_write_b64 v1, v[2:3]
.LBB21_137:
	s_or_b64 exec, exec, s[4:5]
	s_waitcnt lgkmcnt(0)
	; wave barrier
	s_waitcnt lgkmcnt(0)
	buffer_load_dword v3, off, s[0:3], 0 offset:44
	buffer_load_dword v90, off, s[0:3], 0 offset:52
	;; [unrolled: 1-line block ×36, first 2 shown]
	v_mov_b32_e32 v2, 0
	ds_read2_b64 v[48:51], v2 offset0:27 offset1:28
	ds_read2_b64 v[52:55], v2 offset0:29 offset1:30
	ds_read2_b64 v[56:59], v2 offset0:31 offset1:32
	ds_read2_b64 v[60:63], v2 offset0:33 offset1:34
	ds_read2_b64 v[64:67], v2 offset0:35 offset1:36
	ds_read2_b64 v[68:71], v2 offset0:37 offset1:38
	v_cmp_lt_u32_e32 vcc, 3, v0
	s_waitcnt vmcnt(35) lgkmcnt(5)
	v_mul_f32_e32 v109, v48, v3
	s_waitcnt vmcnt(34)
	v_mul_f32_e32 v110, v50, v90
	s_waitcnt vmcnt(33) lgkmcnt(4)
	v_mul_f32_e32 v111, v52, v92
	v_mul_f32_e32 v3, v49, v3
	;; [unrolled: 1-line block ×4, first 2 shown]
	s_waitcnt vmcnt(32)
	v_mul_f32_e32 v112, v54, v94
	s_waitcnt vmcnt(31) lgkmcnt(3)
	v_mul_f32_e32 v113, v56, v95
	v_mul_f32_e32 v94, v55, v94
	s_waitcnt vmcnt(26)
	v_fmac_f32_e32 v109, v49, v100
	s_waitcnt vmcnt(25)
	v_fmac_f32_e32 v110, v51, v101
	;; [unrolled: 2-line block ×3, first 2 shown]
	v_fma_f32 v3, v48, v100, -v3
	v_add_f32_e32 v53, 0, v109
	v_fma_f32 v48, v50, v101, -v90
	v_add_f32_e32 v3, 0, v3
	v_add_f32_e32 v53, v53, v110
	s_waitcnt vmcnt(23)
	v_fmac_f32_e32 v112, v55, v103
	v_fma_f32 v49, v52, v102, -v92
	v_add_f32_e32 v3, v3, v48
	v_add_f32_e32 v48, v53, v111
	v_mul_f32_e32 v114, v58, v96
	v_mul_f32_e32 v95, v57, v95
	s_waitcnt vmcnt(22)
	v_fmac_f32_e32 v113, v57, v104
	v_fma_f32 v50, v54, v103, -v94
	v_add_f32_e32 v3, v3, v49
	v_add_f32_e32 v48, v48, v112
	s_waitcnt lgkmcnt(2)
	v_mul_f32_e32 v115, v60, v97
	v_mul_f32_e32 v96, v59, v96
	s_waitcnt vmcnt(21)
	v_fmac_f32_e32 v114, v59, v105
	v_fma_f32 v51, v56, v104, -v95
	v_add_f32_e32 v3, v3, v50
	v_add_f32_e32 v48, v48, v113
	v_mul_f32_e32 v97, v61, v97
	s_waitcnt vmcnt(20)
	v_fmac_f32_e32 v115, v61, v106
	v_fma_f32 v52, v58, v105, -v96
	v_add_f32_e32 v3, v3, v51
	v_add_f32_e32 v48, v48, v114
	v_add_f32_e32 v3, v3, v52
	v_add_f32_e32 v57, v48, v115
	v_fma_f32 v48, v60, v106, -v97
	s_waitcnt vmcnt(17)
	v_mov_b32_e32 v60, v73
	v_mul_f32_e32 v91, v62, v98
	v_add_f32_e32 v56, v3, v48
	v_mul_f32_e32 v3, v63, v98
	s_waitcnt lgkmcnt(1)
	v_pk_mul_f32 v[60:61], v[66:67], v[60:61] op_sel_hi:[1,0]
	v_mul_f32_e32 v93, v64, v99
	v_fmac_f32_e32 v91, v63, v107
	v_fma_f32 v90, v62, v107, -v3
	v_mul_f32_e32 v3, v65, v99
	s_waitcnt vmcnt(15)
	v_pk_fma_f32 v[62:63], v[66:67], v[72:73], v[60:61] op_sel:[0,0,1] op_sel_hi:[1,1,0] neg_lo:[0,0,1] neg_hi:[0,0,1]
	v_pk_fma_f32 v[60:61], v[66:67], v[72:73], v[60:61] op_sel:[0,0,1] op_sel_hi:[1,0,0]
	v_fmac_f32_e32 v93, v65, v108
	v_fma_f32 v92, v64, v108, -v3
	v_pk_add_f32 v[56:57], v[56:57], v[90:91]
	s_waitcnt vmcnt(12)
	v_mov_b32_e32 v60, v75
	v_pk_add_f32 v[56:57], v[56:57], v[92:93]
	v_mov_b32_e32 v63, v61
	s_waitcnt lgkmcnt(0)
	v_pk_mul_f32 v[60:61], v[68:69], v[60:61] op_sel_hi:[1,0]
	v_pk_add_f32 v[56:57], v[56:57], v[62:63]
	v_pk_fma_f32 v[62:63], v[68:69], v[74:75], v[60:61] op_sel:[0,0,1] op_sel_hi:[1,1,0] neg_lo:[0,0,1] neg_hi:[0,0,1]
	v_pk_fma_f32 v[60:61], v[68:69], v[74:75], v[60:61] op_sel:[0,0,1] op_sel_hi:[1,0,0]
	s_waitcnt vmcnt(11)
	v_mov_b32_e32 v60, v79
	ds_read2_b64 v[48:51], v2 offset0:39 offset1:40
	ds_read2_b64 v[52:55], v2 offset0:41 offset1:42
	ds_read_b64 v[58:59], v2 offset:344
	v_mov_b32_e32 v63, v61
	v_pk_mul_f32 v[60:61], v[70:71], v[60:61] op_sel_hi:[1,0]
	v_pk_add_f32 v[56:57], v[56:57], v[62:63]
	s_waitcnt vmcnt(4)
	v_pk_fma_f32 v[62:63], v[70:71], v[78:79], v[60:61] op_sel:[0,0,1] op_sel_hi:[1,1,0] neg_lo:[0,0,1] neg_hi:[0,0,1]
	v_pk_fma_f32 v[60:61], v[70:71], v[78:79], v[60:61] op_sel:[0,0,1] op_sel_hi:[1,0,0]
	v_mov_b32_e32 v60, v85
	v_mov_b32_e32 v63, v61
	s_waitcnt lgkmcnt(2)
	v_pk_mul_f32 v[60:61], v[48:49], v[60:61] op_sel_hi:[1,0]
	v_pk_add_f32 v[56:57], v[56:57], v[62:63]
	v_pk_fma_f32 v[62:63], v[48:49], v[84:85], v[60:61] op_sel:[0,0,1] op_sel_hi:[1,1,0] neg_lo:[0,0,1] neg_hi:[0,0,1]
	v_pk_fma_f32 v[48:49], v[48:49], v[84:85], v[60:61] op_sel:[0,0,1] op_sel_hi:[1,0,0]
	v_mov_b32_e32 v63, v49
	v_pk_add_f32 v[48:49], v[56:57], v[62:63]
	v_mov_b32_e32 v56, v83
	v_pk_mul_f32 v[56:57], v[50:51], v[56:57] op_sel_hi:[1,0]
	v_pk_fma_f32 v[60:61], v[50:51], v[82:83], v[56:57] op_sel:[0,0,1] op_sel_hi:[1,1,0] neg_lo:[0,0,1] neg_hi:[0,0,1]
	v_pk_fma_f32 v[50:51], v[50:51], v[82:83], v[56:57] op_sel:[0,0,1] op_sel_hi:[1,0,0]
	v_mov_b32_e32 v50, v81
	v_mov_b32_e32 v61, v51
	s_waitcnt lgkmcnt(1)
	v_pk_mul_f32 v[50:51], v[52:53], v[50:51] op_sel_hi:[1,0]
	v_pk_fma_f32 v[56:57], v[52:53], v[80:81], v[50:51] op_sel:[0,0,1] op_sel_hi:[1,1,0] neg_lo:[0,0,1] neg_hi:[0,0,1]
	v_pk_fma_f32 v[50:51], v[52:53], v[80:81], v[50:51] op_sel:[0,0,1] op_sel_hi:[1,0,0]
	s_waitcnt vmcnt(1)
	v_mov_b32_e32 v50, v89
	v_mov_b32_e32 v57, v51
	v_pk_mul_f32 v[50:51], v[54:55], v[50:51] op_sel_hi:[1,0]
	s_waitcnt vmcnt(0)
	v_pk_fma_f32 v[52:53], v[54:55], v[88:89], v[50:51] op_sel:[0,0,1] op_sel_hi:[1,1,0] neg_lo:[0,0,1] neg_hi:[0,0,1]
	v_pk_fma_f32 v[50:51], v[54:55], v[88:89], v[50:51] op_sel:[0,0,1] op_sel_hi:[1,0,0]
	v_pk_add_f32 v[48:49], v[48:49], v[60:61]
	v_mov_b32_e32 v50, v87
	v_pk_add_f32 v[48:49], v[48:49], v[56:57]
	v_mov_b32_e32 v53, v51
	s_waitcnt lgkmcnt(0)
	v_pk_mul_f32 v[50:51], v[58:59], v[50:51] op_sel_hi:[1,0]
	v_pk_add_f32 v[48:49], v[48:49], v[52:53]
	v_pk_fma_f32 v[52:53], v[58:59], v[86:87], v[50:51] op_sel:[0,0,1] op_sel_hi:[1,1,0] neg_lo:[0,0,1] neg_hi:[0,0,1]
	v_pk_fma_f32 v[50:51], v[58:59], v[86:87], v[50:51] op_sel:[0,0,1] op_sel_hi:[1,0,0]
	v_mov_b32_e32 v53, v51
	v_pk_add_f32 v[48:49], v[48:49], v[52:53]
	v_pk_add_f32 v[48:49], v[76:77], v[48:49] neg_lo:[0,1] neg_hi:[0,1]
	buffer_store_dword v49, off, s[0:3], 0 offset:36
	buffer_store_dword v48, off, s[0:3], 0 offset:32
	s_and_saveexec_b64 s[4:5], vcc
	s_cbranch_execz .LBB21_139
; %bb.138:
	buffer_load_dword v48, off, s[0:3], 0 offset:24
	buffer_load_dword v49, off, s[0:3], 0 offset:28
	s_waitcnt vmcnt(0)
	ds_write_b64 v1, v[48:49]
	buffer_store_dword v2, off, s[0:3], 0 offset:24
	buffer_store_dword v2, off, s[0:3], 0 offset:28
.LBB21_139:
	s_or_b64 exec, exec, s[4:5]
	s_waitcnt lgkmcnt(0)
	; wave barrier
	s_waitcnt lgkmcnt(0)
	buffer_load_dword v3, off, s[0:3], 0 offset:36
	buffer_load_dword v90, off, s[0:3], 0 offset:44
	;; [unrolled: 1-line block ×22, first 2 shown]
	ds_read_b128 v[48:51], v2 offset:208
	ds_read_b128 v[52:55], v2 offset:224
	buffer_load_dword v75, off, s[0:3], 0 offset:116
	buffer_load_dword v74, off, s[0:3], 0 offset:112
	;; [unrolled: 1-line block ×10, first 2 shown]
	ds_read_b128 v[56:59], v2 offset:240
	ds_read_b128 v[60:63], v2 offset:256
	;; [unrolled: 1-line block ×4, first 2 shown]
	buffer_load_dword v85, off, s[0:3], 0 offset:172
	buffer_load_dword v84, off, s[0:3], 0 offset:168
	;; [unrolled: 1-line block ×6, first 2 shown]
	v_cmp_lt_u32_e32 vcc, 2, v0
	s_waitcnt vmcnt(37) lgkmcnt(5)
	v_mul_f32_e32 v111, v48, v3
	s_waitcnt vmcnt(36)
	v_mul_f32_e32 v112, v50, v90
	s_waitcnt vmcnt(35) lgkmcnt(4)
	v_mul_f32_e32 v113, v52, v92
	v_mul_f32_e32 v3, v49, v3
	;; [unrolled: 1-line block ×4, first 2 shown]
	s_waitcnt vmcnt(34)
	v_mul_f32_e32 v114, v54, v94
	s_waitcnt vmcnt(33) lgkmcnt(3)
	v_mul_f32_e32 v115, v56, v95
	s_waitcnt vmcnt(32)
	v_mul_f32_e32 v116, v58, v96
	s_waitcnt vmcnt(31) lgkmcnt(2)
	v_mul_f32_e32 v117, v60, v97
	s_waitcnt vmcnt(27)
	v_fmac_f32_e32 v111, v49, v101
	s_waitcnt vmcnt(26)
	v_fmac_f32_e32 v112, v51, v102
	v_fma_f32 v3, v48, v101, -v3
	s_waitcnt vmcnt(25)
	v_fma_f32 v49, v52, v103, -v92
	v_add_f32_e32 v52, 0, v111
	v_fmac_f32_e32 v113, v53, v103
	v_fma_f32 v48, v50, v102, -v90
	v_add_f32_e32 v3, 0, v3
	v_add_f32_e32 v52, v52, v112
	s_waitcnt vmcnt(24)
	v_fmac_f32_e32 v114, v55, v104
	v_add_f32_e32 v3, v3, v48
	v_add_f32_e32 v48, v52, v113
	s_waitcnt vmcnt(23)
	v_fmac_f32_e32 v115, v57, v105
	v_add_f32_e32 v48, v48, v114
	v_mul_f32_e32 v94, v55, v94
	s_waitcnt vmcnt(22)
	v_fmac_f32_e32 v116, v59, v106
	v_add_f32_e32 v48, v48, v115
	v_mul_f32_e32 v118, v62, v98
	v_mul_f32_e32 v95, v57, v95
	s_waitcnt vmcnt(21)
	v_fmac_f32_e32 v117, v61, v107
	v_fma_f32 v50, v54, v104, -v94
	v_add_f32_e32 v3, v3, v49
	v_add_f32_e32 v48, v48, v116
	v_mul_f32_e32 v96, v59, v96
	s_waitcnt vmcnt(20)
	v_fmac_f32_e32 v118, v63, v108
	v_fma_f32 v51, v56, v105, -v95
	v_add_f32_e32 v3, v3, v50
	v_add_f32_e32 v48, v48, v117
	;; [unrolled: 1-line block ×4, first 2 shown]
	v_fma_f32 v48, v58, v106, -v96
	v_add_f32_e32 v3, v3, v48
	v_mul_f32_e32 v48, v61, v97
	v_fma_f32 v48, v60, v107, -v48
	v_add_f32_e32 v3, v3, v48
	v_mul_f32_e32 v48, v63, v98
	v_fma_f32 v48, v62, v108, -v48
	s_waitcnt vmcnt(15)
	v_mov_b32_e32 v60, v75
	s_waitcnt lgkmcnt(1)
	v_mul_f32_e32 v91, v64, v99
	v_add_f32_e32 v94, v3, v48
	v_mul_f32_e32 v3, v65, v99
	s_waitcnt lgkmcnt(0)
	v_pk_mul_f32 v[60:61], v[68:69], v[60:61] op_sel_hi:[1,0]
	v_mul_f32_e32 v93, v66, v100
	v_fmac_f32_e32 v91, v65, v109
	v_fma_f32 v90, v64, v109, -v3
	v_mul_f32_e32 v3, v67, v100
	s_waitcnt vmcnt(14)
	v_pk_fma_f32 v[62:63], v[68:69], v[74:75], v[60:61] op_sel:[0,0,1] op_sel_hi:[1,1,0] neg_lo:[0,0,1] neg_hi:[0,0,1]
	v_pk_fma_f32 v[60:61], v[68:69], v[74:75], v[60:61] op_sel:[0,0,1] op_sel_hi:[1,0,0]
	v_fmac_f32_e32 v93, v67, v110
	v_fma_f32 v92, v66, v110, -v3
	ds_read_b128 v[48:51], v2 offset:304
	ds_read_b128 v[52:55], v2 offset:320
	;; [unrolled: 1-line block ×3, first 2 shown]
	v_pk_add_f32 v[2:3], v[94:95], v[90:91]
	s_waitcnt vmcnt(13)
	v_mov_b32_e32 v60, v77
	v_pk_add_f32 v[2:3], v[2:3], v[92:93]
	v_mov_b32_e32 v63, v61
	v_pk_mul_f32 v[60:61], v[70:71], v[60:61] op_sel_hi:[1,0]
	v_pk_add_f32 v[2:3], v[2:3], v[62:63]
	s_waitcnt vmcnt(6)
	v_pk_fma_f32 v[62:63], v[70:71], v[76:77], v[60:61] op_sel:[0,0,1] op_sel_hi:[1,1,0] neg_lo:[0,0,1] neg_hi:[0,0,1]
	v_pk_fma_f32 v[60:61], v[70:71], v[76:77], v[60:61] op_sel:[0,0,1] op_sel_hi:[1,0,0]
	v_mov_b32_e32 v60, v83
	v_mov_b32_e32 v63, v61
	s_waitcnt lgkmcnt(2)
	v_pk_mul_f32 v[60:61], v[48:49], v[60:61] op_sel_hi:[1,0]
	v_pk_add_f32 v[2:3], v[2:3], v[62:63]
	v_pk_fma_f32 v[62:63], v[48:49], v[82:83], v[60:61] op_sel:[0,0,1] op_sel_hi:[1,1,0] neg_lo:[0,0,1] neg_hi:[0,0,1]
	v_pk_fma_f32 v[48:49], v[48:49], v[82:83], v[60:61] op_sel:[0,0,1] op_sel_hi:[1,0,0]
	v_mov_b32_e32 v48, v81
	v_mov_b32_e32 v63, v49
	v_pk_mul_f32 v[48:49], v[50:51], v[48:49] op_sel_hi:[1,0]
	v_pk_fma_f32 v[60:61], v[50:51], v[80:81], v[48:49] op_sel:[0,0,1] op_sel_hi:[1,1,0] neg_lo:[0,0,1] neg_hi:[0,0,1]
	v_pk_fma_f32 v[48:49], v[50:51], v[80:81], v[48:49] op_sel:[0,0,1] op_sel_hi:[1,0,0]
	v_mov_b32_e32 v48, v79
	v_mov_b32_e32 v61, v49
	s_waitcnt lgkmcnt(1)
	v_pk_mul_f32 v[48:49], v[52:53], v[48:49] op_sel_hi:[1,0]
	v_pk_fma_f32 v[50:51], v[52:53], v[78:79], v[48:49] op_sel:[0,0,1] op_sel_hi:[1,1,0] neg_lo:[0,0,1] neg_hi:[0,0,1]
	v_pk_fma_f32 v[48:49], v[52:53], v[78:79], v[48:49] op_sel:[0,0,1] op_sel_hi:[1,0,0]
	v_pk_add_f32 v[2:3], v[2:3], v[62:63]
	s_waitcnt vmcnt(1)
	v_mov_b32_e32 v48, v89
	v_pk_add_f32 v[2:3], v[2:3], v[60:61]
	v_mov_b32_e32 v51, v49
	v_pk_mul_f32 v[48:49], v[54:55], v[48:49] op_sel_hi:[1,0]
	v_pk_add_f32 v[2:3], v[2:3], v[50:51]
	s_waitcnt vmcnt(0)
	v_pk_fma_f32 v[50:51], v[54:55], v[88:89], v[48:49] op_sel:[0,0,1] op_sel_hi:[1,1,0] neg_lo:[0,0,1] neg_hi:[0,0,1]
	v_pk_fma_f32 v[48:49], v[54:55], v[88:89], v[48:49] op_sel:[0,0,1] op_sel_hi:[1,0,0]
	v_mov_b32_e32 v48, v87
	v_mov_b32_e32 v51, v49
	s_waitcnt lgkmcnt(0)
	v_pk_mul_f32 v[48:49], v[56:57], v[48:49] op_sel_hi:[1,0]
	v_pk_add_f32 v[2:3], v[2:3], v[50:51]
	v_pk_fma_f32 v[50:51], v[56:57], v[86:87], v[48:49] op_sel:[0,0,1] op_sel_hi:[1,1,0] neg_lo:[0,0,1] neg_hi:[0,0,1]
	v_pk_fma_f32 v[48:49], v[56:57], v[86:87], v[48:49] op_sel:[0,0,1] op_sel_hi:[1,0,0]
	v_mov_b32_e32 v48, v85
	v_mov_b32_e32 v51, v49
	v_pk_mul_f32 v[48:49], v[58:59], v[48:49] op_sel_hi:[1,0]
	v_pk_add_f32 v[2:3], v[2:3], v[50:51]
	v_pk_fma_f32 v[50:51], v[58:59], v[84:85], v[48:49] op_sel:[0,0,1] op_sel_hi:[1,1,0] neg_lo:[0,0,1] neg_hi:[0,0,1]
	v_pk_fma_f32 v[48:49], v[58:59], v[84:85], v[48:49] op_sel:[0,0,1] op_sel_hi:[1,0,0]
	v_mov_b32_e32 v51, v49
	v_pk_add_f32 v[2:3], v[2:3], v[50:51]
	v_pk_add_f32 v[2:3], v[72:73], v[2:3] neg_lo:[0,1] neg_hi:[0,1]
	buffer_store_dword v3, off, s[0:3], 0 offset:28
	buffer_store_dword v2, off, s[0:3], 0 offset:24
	s_and_saveexec_b64 s[4:5], vcc
	s_cbranch_execz .LBB21_141
; %bb.140:
	buffer_load_dword v2, off, s[0:3], 0 offset:16
	buffer_load_dword v3, off, s[0:3], 0 offset:20
	v_mov_b32_e32 v48, 0
	buffer_store_dword v48, off, s[0:3], 0 offset:16
	buffer_store_dword v48, off, s[0:3], 0 offset:20
	s_waitcnt vmcnt(2)
	ds_write_b64 v1, v[2:3]
.LBB21_141:
	s_or_b64 exec, exec, s[4:5]
	s_waitcnt lgkmcnt(0)
	; wave barrier
	s_waitcnt lgkmcnt(0)
	buffer_load_dword v3, off, s[0:3], 0 offset:28
	buffer_load_dword v90, off, s[0:3], 0 offset:36
	;; [unrolled: 1-line block ×40, first 2 shown]
	v_mov_b32_e32 v2, 0
	ds_read2_b64 v[48:51], v2 offset0:25 offset1:26
	ds_read2_b64 v[52:55], v2 offset0:27 offset1:28
	;; [unrolled: 1-line block ×6, first 2 shown]
	v_cmp_lt_u32_e32 vcc, 1, v0
	s_waitcnt vmcnt(39) lgkmcnt(5)
	v_mul_f32_e32 v113, v48, v3
	s_waitcnt vmcnt(38)
	v_mul_f32_e32 v114, v50, v90
	v_mul_f32_e32 v3, v49, v3
	s_waitcnt vmcnt(37) lgkmcnt(4)
	v_mul_f32_e32 v115, v52, v92
	v_mul_f32_e32 v90, v51, v90
	s_waitcnt vmcnt(36)
	v_mul_f32_e32 v116, v54, v94
	s_waitcnt vmcnt(35) lgkmcnt(3)
	v_mul_f32_e32 v117, v56, v96
	s_waitcnt vmcnt(34)
	v_mul_f32_e32 v118, v58, v97
	s_waitcnt vmcnt(33) lgkmcnt(2)
	;; [unrolled: 4-line block ×3, first 2 shown]
	v_mul_f32_e32 v121, v64, v100
	s_waitcnt vmcnt(28)
	v_fmac_f32_e32 v113, v49, v95
	s_waitcnt vmcnt(27)
	v_fmac_f32_e32 v114, v51, v103
	v_fma_f32 v3, v48, v95, -v3
	v_add_f32_e32 v51, 0, v113
	s_waitcnt vmcnt(26)
	v_fmac_f32_e32 v115, v53, v104
	v_fma_f32 v48, v50, v103, -v90
	v_add_f32_e32 v3, 0, v3
	v_add_f32_e32 v51, v51, v114
	s_waitcnt vmcnt(25)
	v_fmac_f32_e32 v116, v55, v105
	v_add_f32_e32 v3, v3, v48
	v_add_f32_e32 v48, v51, v115
	s_waitcnt vmcnt(24)
	v_fmac_f32_e32 v117, v57, v106
	v_add_f32_e32 v48, v48, v116
	s_waitcnt vmcnt(23)
	v_fmac_f32_e32 v118, v59, v107
	;; [unrolled: 3-line block ×3, first 2 shown]
	v_add_f32_e32 v48, v48, v118
	v_mul_f32_e32 v92, v53, v92
	s_waitcnt vmcnt(21)
	v_fmac_f32_e32 v120, v63, v109
	v_add_f32_e32 v48, v48, v119
	v_mul_f32_e32 v94, v55, v94
	s_waitcnt vmcnt(20)
	v_fmac_f32_e32 v121, v65, v110
	v_fma_f32 v49, v52, v104, -v92
	v_add_f32_e32 v48, v48, v120
	v_fma_f32 v50, v54, v105, -v94
	v_add_f32_e32 v3, v3, v49
	v_add_f32_e32 v95, v48, v121
	v_mul_f32_e32 v48, v57, v96
	v_add_f32_e32 v3, v3, v50
	v_fma_f32 v48, v56, v106, -v48
	v_add_f32_e32 v3, v3, v48
	v_mul_f32_e32 v48, v59, v97
	v_fma_f32 v48, v58, v107, -v48
	v_add_f32_e32 v3, v3, v48
	v_mul_f32_e32 v48, v61, v98
	;; [unrolled: 3-line block ×4, first 2 shown]
	v_fma_f32 v48, v64, v110, -v48
	s_waitcnt vmcnt(9)
	v_mov_b32_e32 v64, v81
	v_mul_f32_e32 v91, v66, v101
	v_add_f32_e32 v94, v3, v48
	v_mul_f32_e32 v3, v67, v101
	s_waitcnt lgkmcnt(0)
	v_pk_mul_f32 v[64:65], v[70:71], v[64:65] op_sel_hi:[1,0]
	v_mul_f32_e32 v93, v68, v102
	v_fmac_f32_e32 v91, v67, v111
	v_fma_f32 v90, v66, v111, -v3
	v_mul_f32_e32 v3, v69, v102
	ds_read2_b64 v[48:51], v2 offset0:37 offset1:38
	ds_read2_b64 v[52:55], v2 offset0:39 offset1:40
	;; [unrolled: 1-line block ×3, first 2 shown]
	ds_read_b64 v[60:61], v2 offset:344
	s_waitcnt vmcnt(8)
	v_pk_fma_f32 v[66:67], v[70:71], v[80:81], v[64:65] op_sel:[0,0,1] op_sel_hi:[1,1,0] neg_lo:[0,0,1] neg_hi:[0,0,1]
	v_pk_fma_f32 v[64:65], v[70:71], v[80:81], v[64:65] op_sel:[0,0,1] op_sel_hi:[1,0,0]
	v_fmac_f32_e32 v93, v69, v112
	v_fma_f32 v92, v68, v112, -v3
	v_pk_add_f32 v[62:63], v[94:95], v[90:91]
	v_mov_b32_e32 v64, v79
	v_pk_add_f32 v[62:63], v[62:63], v[92:93]
	v_mov_b32_e32 v67, v65
	s_waitcnt lgkmcnt(3)
	v_pk_mul_f32 v[64:65], v[48:49], v[64:65] op_sel_hi:[1,0]
	v_pk_add_f32 v[62:63], v[62:63], v[66:67]
	v_pk_fma_f32 v[66:67], v[48:49], v[78:79], v[64:65] op_sel:[0,0,1] op_sel_hi:[1,1,0] neg_lo:[0,0,1] neg_hi:[0,0,1]
	v_pk_fma_f32 v[48:49], v[48:49], v[78:79], v[64:65] op_sel:[0,0,1] op_sel_hi:[1,0,0]
	v_mov_b32_e32 v67, v49
	v_pk_add_f32 v[48:49], v[62:63], v[66:67]
	v_mov_b32_e32 v62, v77
	v_pk_mul_f32 v[62:63], v[50:51], v[62:63] op_sel_hi:[1,0]
	v_pk_fma_f32 v[64:65], v[50:51], v[76:77], v[62:63] op_sel:[0,0,1] op_sel_hi:[1,1,0] neg_lo:[0,0,1] neg_hi:[0,0,1]
	v_pk_fma_f32 v[50:51], v[50:51], v[76:77], v[62:63] op_sel:[0,0,1] op_sel_hi:[1,0,0]
	v_mov_b32_e32 v50, v75
	v_mov_b32_e32 v65, v51
	s_waitcnt lgkmcnt(2)
	v_pk_mul_f32 v[50:51], v[52:53], v[50:51] op_sel_hi:[1,0]
	v_pk_fma_f32 v[62:63], v[52:53], v[74:75], v[50:51] op_sel:[0,0,1] op_sel_hi:[1,1,0] neg_lo:[0,0,1] neg_hi:[0,0,1]
	v_pk_fma_f32 v[50:51], v[52:53], v[74:75], v[50:51] op_sel:[0,0,1] op_sel_hi:[1,0,0]
	s_waitcnt vmcnt(1)
	v_mov_b32_e32 v50, v89
	v_mov_b32_e32 v63, v51
	v_pk_mul_f32 v[50:51], v[54:55], v[50:51] op_sel_hi:[1,0]
	s_waitcnt vmcnt(0)
	v_pk_fma_f32 v[52:53], v[54:55], v[88:89], v[50:51] op_sel:[0,0,1] op_sel_hi:[1,1,0] neg_lo:[0,0,1] neg_hi:[0,0,1]
	v_pk_fma_f32 v[50:51], v[54:55], v[88:89], v[50:51] op_sel:[0,0,1] op_sel_hi:[1,0,0]
	v_pk_add_f32 v[48:49], v[48:49], v[64:65]
	v_mov_b32_e32 v50, v87
	v_pk_add_f32 v[48:49], v[48:49], v[62:63]
	v_mov_b32_e32 v53, v51
	s_waitcnt lgkmcnt(1)
	v_pk_mul_f32 v[50:51], v[56:57], v[50:51] op_sel_hi:[1,0]
	v_pk_add_f32 v[48:49], v[48:49], v[52:53]
	v_pk_fma_f32 v[52:53], v[56:57], v[86:87], v[50:51] op_sel:[0,0,1] op_sel_hi:[1,1,0] neg_lo:[0,0,1] neg_hi:[0,0,1]
	v_pk_fma_f32 v[50:51], v[56:57], v[86:87], v[50:51] op_sel:[0,0,1] op_sel_hi:[1,0,0]
	v_mov_b32_e32 v50, v85
	v_mov_b32_e32 v53, v51
	v_pk_mul_f32 v[50:51], v[58:59], v[50:51] op_sel_hi:[1,0]
	v_pk_add_f32 v[48:49], v[48:49], v[52:53]
	v_pk_fma_f32 v[52:53], v[58:59], v[84:85], v[50:51] op_sel:[0,0,1] op_sel_hi:[1,1,0] neg_lo:[0,0,1] neg_hi:[0,0,1]
	v_pk_fma_f32 v[50:51], v[58:59], v[84:85], v[50:51] op_sel:[0,0,1] op_sel_hi:[1,0,0]
	v_mov_b32_e32 v50, v83
	v_mov_b32_e32 v53, v51
	s_waitcnt lgkmcnt(0)
	v_pk_mul_f32 v[50:51], v[60:61], v[50:51] op_sel_hi:[1,0]
	v_pk_add_f32 v[48:49], v[48:49], v[52:53]
	v_pk_fma_f32 v[52:53], v[60:61], v[82:83], v[50:51] op_sel:[0,0,1] op_sel_hi:[1,1,0] neg_lo:[0,0,1] neg_hi:[0,0,1]
	v_pk_fma_f32 v[50:51], v[60:61], v[82:83], v[50:51] op_sel:[0,0,1] op_sel_hi:[1,0,0]
	v_mov_b32_e32 v53, v51
	v_pk_add_f32 v[48:49], v[48:49], v[52:53]
	v_pk_add_f32 v[48:49], v[72:73], v[48:49] neg_lo:[0,1] neg_hi:[0,1]
	buffer_store_dword v49, off, s[0:3], 0 offset:20
	buffer_store_dword v48, off, s[0:3], 0 offset:16
	s_and_saveexec_b64 s[4:5], vcc
	s_cbranch_execz .LBB21_143
; %bb.142:
	buffer_load_dword v48, off, s[0:3], 0 offset:8
	buffer_load_dword v49, off, s[0:3], 0 offset:12
	s_waitcnt vmcnt(0)
	ds_write_b64 v1, v[48:49]
	buffer_store_dword v2, off, s[0:3], 0 offset:8
	buffer_store_dword v2, off, s[0:3], 0 offset:12
.LBB21_143:
	s_or_b64 exec, exec, s[4:5]
	s_waitcnt lgkmcnt(0)
	; wave barrier
	s_waitcnt lgkmcnt(0)
	buffer_load_dword v3, off, s[0:3], 0 offset:20
	buffer_load_dword v90, off, s[0:3], 0 offset:28
	;; [unrolled: 1-line block ×26, first 2 shown]
	ds_read_b128 v[48:51], v2 offset:192
	ds_read_b128 v[52:55], v2 offset:208
	ds_read_b128 v[56:59], v2 offset:224
	ds_read_b128 v[60:63], v2 offset:240
	ds_read_b128 v[64:67], v2 offset:256
	ds_read_b128 v[68:71], v2 offset:272
	buffer_load_dword v75, off, s[0:3], 0 offset:132
	buffer_load_dword v74, off, s[0:3], 0 offset:128
	;; [unrolled: 1-line block ×16, first 2 shown]
	v_cmp_ne_u32_e32 vcc, 0, v0
	s_waitcnt vmcnt(41) lgkmcnt(5)
	v_mul_f32_e32 v115, v48, v3
	s_waitcnt vmcnt(40)
	v_mul_f32_e32 v116, v50, v90
	v_mul_f32_e32 v3, v49, v3
	;; [unrolled: 1-line block ×3, first 2 shown]
	s_waitcnt vmcnt(39) lgkmcnt(4)
	v_mul_f32_e32 v117, v52, v92
	s_waitcnt vmcnt(38)
	v_mul_f32_e32 v118, v54, v94
	s_waitcnt vmcnt(37) lgkmcnt(3)
	v_mul_f32_e32 v119, v56, v96
	s_waitcnt vmcnt(36)
	v_mul_f32_e32 v120, v58, v97
	;; [unrolled: 4-line block ×4, first 2 shown]
	s_waitcnt vmcnt(29)
	v_fmac_f32_e32 v115, v49, v95
	s_waitcnt vmcnt(28)
	v_fmac_f32_e32 v116, v51, v104
	v_fma_f32 v3, v48, v95, -v3
	v_fma_f32 v48, v50, v104, -v90
	v_add_f32_e32 v50, 0, v115
	s_waitcnt vmcnt(27)
	v_fmac_f32_e32 v117, v53, v105
	v_add_f32_e32 v3, 0, v3
	v_add_f32_e32 v50, v50, v116
	s_waitcnt vmcnt(26)
	v_fmac_f32_e32 v118, v55, v106
	v_add_f32_e32 v3, v3, v48
	;; [unrolled: 4-line block ×3, first 2 shown]
	s_waitcnt vmcnt(24)
	v_fmac_f32_e32 v120, v59, v108
	v_add_f32_e32 v48, v48, v119
	s_waitcnt vmcnt(23)
	v_fmac_f32_e32 v121, v61, v109
	v_add_f32_e32 v48, v48, v120
	;; [unrolled: 3-line block ×4, first 2 shown]
	v_mul_f32_e32 v92, v53, v92
	s_waitcnt vmcnt(20)
	v_fmac_f32_e32 v124, v67, v112
	v_add_f32_e32 v48, v48, v123
	v_fma_f32 v49, v52, v105, -v92
	v_add_f32_e32 v95, v48, v124
	v_mul_f32_e32 v48, v55, v94
	v_add_f32_e32 v3, v3, v49
	v_fma_f32 v48, v54, v106, -v48
	v_add_f32_e32 v3, v3, v48
	v_mul_f32_e32 v48, v57, v96
	v_fma_f32 v48, v56, v107, -v48
	v_add_f32_e32 v3, v3, v48
	v_mul_f32_e32 v48, v59, v97
	;; [unrolled: 3-line block ×6, first 2 shown]
	v_fma_f32 v48, v66, v112, -v48
	v_add_f32_e32 v94, v3, v48
	ds_read_b128 v[48:51], v2 offset:288
	ds_read_b128 v[52:55], v2 offset:304
	;; [unrolled: 1-line block ×4, first 2 shown]
	s_waitcnt vmcnt(11)
	v_mov_b32_e32 v64, v79
	s_waitcnt lgkmcnt(3)
	v_pk_mul_f32 v[64:65], v[48:49], v[64:65] op_sel_hi:[1,0]
	s_waitcnt vmcnt(10)
	v_pk_fma_f32 v[66:67], v[48:49], v[78:79], v[64:65] op_sel:[0,0,1] op_sel_hi:[1,1,0] neg_lo:[0,0,1] neg_hi:[0,0,1]
	v_pk_fma_f32 v[48:49], v[48:49], v[78:79], v[64:65] op_sel:[0,0,1] op_sel_hi:[1,0,0]
	v_mov_b32_e32 v48, v77
	v_mov_b32_e32 v67, v49
	v_pk_mul_f32 v[48:49], v[50:51], v[48:49] op_sel_hi:[1,0]
	v_mul_f32_e32 v91, v68, v102
	v_mul_f32_e32 v3, v69, v102
	v_pk_fma_f32 v[64:65], v[50:51], v[76:77], v[48:49] op_sel:[0,0,1] op_sel_hi:[1,1,0] neg_lo:[0,0,1] neg_hi:[0,0,1]
	v_pk_fma_f32 v[48:49], v[50:51], v[76:77], v[48:49] op_sel:[0,0,1] op_sel_hi:[1,0,0]
	v_mul_f32_e32 v93, v70, v103
	v_fmac_f32_e32 v91, v69, v113
	v_fma_f32 v90, v68, v113, -v3
	v_mul_f32_e32 v3, v71, v103
	v_mov_b32_e32 v48, v75
	v_fmac_f32_e32 v93, v71, v114
	v_fma_f32 v92, v70, v114, -v3
	v_pk_add_f32 v[2:3], v[94:95], v[90:91]
	v_mov_b32_e32 v65, v49
	s_waitcnt lgkmcnt(2)
	v_pk_mul_f32 v[48:49], v[52:53], v[48:49] op_sel_hi:[1,0]
	v_pk_add_f32 v[2:3], v[2:3], v[92:93]
	v_pk_fma_f32 v[50:51], v[52:53], v[74:75], v[48:49] op_sel:[0,0,1] op_sel_hi:[1,1,0] neg_lo:[0,0,1] neg_hi:[0,0,1]
	v_pk_fma_f32 v[48:49], v[52:53], v[74:75], v[48:49] op_sel:[0,0,1] op_sel_hi:[1,0,0]
	v_pk_add_f32 v[2:3], v[2:3], v[66:67]
	s_waitcnt vmcnt(3)
	v_mov_b32_e32 v48, v87
	v_pk_add_f32 v[2:3], v[2:3], v[64:65]
	v_mov_b32_e32 v51, v49
	v_pk_mul_f32 v[48:49], v[54:55], v[48:49] op_sel_hi:[1,0]
	v_pk_add_f32 v[2:3], v[2:3], v[50:51]
	s_waitcnt vmcnt(2)
	v_pk_fma_f32 v[50:51], v[54:55], v[86:87], v[48:49] op_sel:[0,0,1] op_sel_hi:[1,1,0] neg_lo:[0,0,1] neg_hi:[0,0,1]
	v_pk_fma_f32 v[48:49], v[54:55], v[86:87], v[48:49] op_sel:[0,0,1] op_sel_hi:[1,0,0]
	v_mov_b32_e32 v48, v85
	v_mov_b32_e32 v51, v49
	s_waitcnt lgkmcnt(1)
	v_pk_mul_f32 v[48:49], v[56:57], v[48:49] op_sel_hi:[1,0]
	v_pk_add_f32 v[2:3], v[2:3], v[50:51]
	v_pk_fma_f32 v[50:51], v[56:57], v[84:85], v[48:49] op_sel:[0,0,1] op_sel_hi:[1,1,0] neg_lo:[0,0,1] neg_hi:[0,0,1]
	v_pk_fma_f32 v[48:49], v[56:57], v[84:85], v[48:49] op_sel:[0,0,1] op_sel_hi:[1,0,0]
	v_mov_b32_e32 v48, v83
	v_mov_b32_e32 v51, v49
	v_pk_mul_f32 v[48:49], v[58:59], v[48:49] op_sel_hi:[1,0]
	v_pk_add_f32 v[2:3], v[2:3], v[50:51]
	v_pk_fma_f32 v[50:51], v[58:59], v[82:83], v[48:49] op_sel:[0,0,1] op_sel_hi:[1,1,0] neg_lo:[0,0,1] neg_hi:[0,0,1]
	v_pk_fma_f32 v[48:49], v[58:59], v[82:83], v[48:49] op_sel:[0,0,1] op_sel_hi:[1,0,0]
	v_mov_b32_e32 v48, v81
	v_mov_b32_e32 v51, v49
	s_waitcnt lgkmcnt(0)
	v_pk_mul_f32 v[48:49], v[60:61], v[48:49] op_sel_hi:[1,0]
	v_pk_add_f32 v[2:3], v[2:3], v[50:51]
	v_pk_fma_f32 v[50:51], v[60:61], v[80:81], v[48:49] op_sel:[0,0,1] op_sel_hi:[1,1,0] neg_lo:[0,0,1] neg_hi:[0,0,1]
	v_pk_fma_f32 v[48:49], v[60:61], v[80:81], v[48:49] op_sel:[0,0,1] op_sel_hi:[1,0,0]
	s_waitcnt vmcnt(1)
	v_mov_b32_e32 v48, v89
	v_mov_b32_e32 v51, v49
	v_pk_mul_f32 v[48:49], v[62:63], v[48:49] op_sel_hi:[1,0]
	v_pk_add_f32 v[2:3], v[2:3], v[50:51]
	s_waitcnt vmcnt(0)
	v_pk_fma_f32 v[50:51], v[62:63], v[88:89], v[48:49] op_sel:[0,0,1] op_sel_hi:[1,1,0] neg_lo:[0,0,1] neg_hi:[0,0,1]
	v_pk_fma_f32 v[48:49], v[62:63], v[88:89], v[48:49] op_sel:[0,0,1] op_sel_hi:[1,0,0]
	v_mov_b32_e32 v51, v49
	v_pk_add_f32 v[2:3], v[2:3], v[50:51]
	v_pk_add_f32 v[2:3], v[72:73], v[2:3] neg_lo:[0,1] neg_hi:[0,1]
	buffer_store_dword v3, off, s[0:3], 0 offset:12
	buffer_store_dword v2, off, s[0:3], 0 offset:8
	s_and_saveexec_b64 s[4:5], vcc
	s_cbranch_execz .LBB21_145
; %bb.144:
	buffer_load_dword v2, off, s[0:3], 0
	buffer_load_dword v3, off, s[0:3], 0 offset:4
	v_mov_b32_e32 v0, 0
	buffer_store_dword v0, off, s[0:3], 0
	buffer_store_dword v0, off, s[0:3], 0 offset:4
	s_waitcnt vmcnt(2)
	ds_write_b64 v1, v[2:3]
.LBB21_145:
	s_or_b64 exec, exec, s[4:5]
	v_mov_b32_e32 v96, 0
	s_waitcnt lgkmcnt(0)
	; wave barrier
	s_waitcnt lgkmcnt(0)
	ds_read2_b64 v[54:57], v96 offset0:23 offset1:24
	buffer_load_dword v48, off, s[0:3], 0
	buffer_load_dword v49, off, s[0:3], 0 offset:4
	buffer_load_dword v50, off, s[0:3], 0 offset:8
	;; [unrolled: 1-line block ×15, first 2 shown]
	ds_read2_b64 v[58:61], v96 offset0:25 offset1:26
	ds_read2_b64 v[62:65], v96 offset0:27 offset1:28
	;; [unrolled: 1-line block ×3, first 2 shown]
	buffer_load_dword v108, off, s[0:3], 0 offset:64
	buffer_load_dword v109, off, s[0:3], 0 offset:68
	ds_read2_b64 v[70:73], v96 offset0:31 offset1:32
	buffer_load_dword v110, off, s[0:3], 0 offset:72
	buffer_load_dword v111, off, s[0:3], 0 offset:76
	;; [unrolled: 1-line block ×4, first 2 shown]
	ds_read2_b64 v[74:77], v96 offset0:33 offset1:34
	buffer_load_dword v114, off, s[0:3], 0 offset:88
	buffer_load_dword v115, off, s[0:3], 0 offset:92
	;; [unrolled: 1-line block ×4, first 2 shown]
	s_and_b64 vcc, exec, s[20:21]
	s_waitcnt vmcnt(22) lgkmcnt(5)
	v_mul_f32_e32 v0, v54, v52
	v_fmac_f32_e32 v0, v55, v50
	s_waitcnt vmcnt(20)
	v_mul_f32_e32 v1, v56, v97
	v_add_f32_e32 v0, 0, v0
	v_fmac_f32_e32 v1, v57, v78
	v_add_f32_e32 v0, v0, v1
	s_waitcnt vmcnt(18) lgkmcnt(4)
	v_mul_f32_e32 v1, v58, v99
	v_fmac_f32_e32 v1, v59, v98
	v_add_f32_e32 v0, v0, v1
	s_waitcnt vmcnt(16)
	v_mul_f32_e32 v1, v60, v101
	v_fmac_f32_e32 v1, v61, v100
	v_add_f32_e32 v0, v0, v1
	s_waitcnt vmcnt(14) lgkmcnt(3)
	v_mul_f32_e32 v1, v62, v103
	v_fmac_f32_e32 v1, v63, v102
	v_add_f32_e32 v0, v0, v1
	s_waitcnt vmcnt(12)
	v_mul_f32_e32 v1, v64, v105
	;; [unrolled: 8-line block ×4, first 2 shown]
	v_fmac_f32_e32 v1, v73, v112
	v_add_f32_e32 v0, v0, v1
	s_waitcnt vmcnt(2) lgkmcnt(0)
	v_mul_f32_e32 v1, v74, v115
	v_fmac_f32_e32 v1, v75, v114
	v_add_f32_e32 v51, v0, v1
	ds_read2_b64 v[0:3], v96 offset0:35 offset1:36
	buffer_load_dword v118, off, s[0:3], 0 offset:104
	buffer_load_dword v119, off, s[0:3], 0 offset:108
	;; [unrolled: 1-line block ×18, first 2 shown]
	v_mul_f32_e32 v52, v55, v52
	v_fma_f32 v50, v54, v50, -v52
	v_mul_f32_e32 v52, v57, v97
	v_add_f32_e32 v50, 0, v50
	v_fma_f32 v52, v56, v78, -v52
	v_add_f32_e32 v50, v50, v52
	v_mul_f32_e32 v52, v59, v99
	v_fma_f32 v52, v58, v98, -v52
	v_add_f32_e32 v50, v50, v52
	v_mul_f32_e32 v52, v61, v101
	;; [unrolled: 3-line block ×9, first 2 shown]
	v_fma_f32 v52, v74, v114, -v52
	s_waitcnt vmcnt(18)
	v_mul_f32_e32 v53, v76, v117
	v_add_f32_e32 v50, v50, v52
	v_mul_f32_e32 v52, v77, v117
	v_fmac_f32_e32 v53, v77, v116
	v_fma_f32 v52, v76, v116, -v52
	v_pk_add_f32 v[50:51], v[50:51], v[52:53]
	s_waitcnt vmcnt(15)
	v_mov_b32_e32 v52, v81
	s_waitcnt lgkmcnt(0)
	v_pk_mul_f32 v[52:53], v[2:3], v[52:53] op_sel_hi:[1,0]
	s_waitcnt vmcnt(14)
	v_pk_fma_f32 v[66:67], v[2:3], v[80:81], v[52:53] op_sel:[0,0,1] op_sel_hi:[1,1,0] neg_lo:[0,0,1] neg_hi:[0,0,1]
	v_pk_fma_f32 v[2:3], v[2:3], v[80:81], v[52:53] op_sel:[0,0,1] op_sel_hi:[1,0,0]
	v_mov_b32_e32 v67, v3
	v_mul_f32_e32 v79, v0, v119
	v_fmac_f32_e32 v79, v1, v118
	v_mul_f32_e32 v1, v1, v119
	v_fma_f32 v78, v0, v118, -v1
	ds_read2_b64 v[54:57], v96 offset0:37 offset1:38
	ds_read2_b64 v[58:61], v96 offset0:39 offset1:40
	;; [unrolled: 1-line block ×3, first 2 shown]
	ds_read_b64 v[0:1], v96 offset:344
	v_pk_add_f32 v[50:51], v[50:51], v[78:79]
	v_pk_add_f32 v[2:3], v[50:51], v[66:67]
	s_waitcnt vmcnt(13)
	v_mov_b32_e32 v50, v83
	s_waitcnt lgkmcnt(3)
	v_pk_mul_f32 v[50:51], v[54:55], v[50:51] op_sel_hi:[1,0]
	s_waitcnt vmcnt(12)
	v_pk_fma_f32 v[52:53], v[54:55], v[82:83], v[50:51] op_sel:[0,0,1] op_sel_hi:[1,1,0] neg_lo:[0,0,1] neg_hi:[0,0,1]
	v_pk_fma_f32 v[50:51], v[54:55], v[82:83], v[50:51] op_sel:[0,0,1] op_sel_hi:[1,0,0]
	s_waitcnt vmcnt(11)
	v_mov_b32_e32 v50, v85
	v_mov_b32_e32 v53, v51
	v_pk_mul_f32 v[50:51], v[56:57], v[50:51] op_sel_hi:[1,0]
	v_pk_add_f32 v[2:3], v[2:3], v[52:53]
	s_waitcnt vmcnt(10)
	v_pk_fma_f32 v[52:53], v[56:57], v[84:85], v[50:51] op_sel:[0,0,1] op_sel_hi:[1,1,0] neg_lo:[0,0,1] neg_hi:[0,0,1]
	v_pk_fma_f32 v[50:51], v[56:57], v[84:85], v[50:51] op_sel:[0,0,1] op_sel_hi:[1,0,0]
	s_waitcnt vmcnt(9)
	v_mov_b32_e32 v50, v87
	v_mov_b32_e32 v53, v51
	s_waitcnt lgkmcnt(2)
	v_pk_mul_f32 v[50:51], v[58:59], v[50:51] op_sel_hi:[1,0]
	v_pk_add_f32 v[2:3], v[2:3], v[52:53]
	s_waitcnt vmcnt(8)
	v_pk_fma_f32 v[52:53], v[58:59], v[86:87], v[50:51] op_sel:[0,0,1] op_sel_hi:[1,1,0] neg_lo:[0,0,1] neg_hi:[0,0,1]
	v_pk_fma_f32 v[50:51], v[58:59], v[86:87], v[50:51] op_sel:[0,0,1] op_sel_hi:[1,0,0]
	s_waitcnt vmcnt(7)
	v_mov_b32_e32 v50, v89
	v_mov_b32_e32 v53, v51
	v_pk_mul_f32 v[50:51], v[60:61], v[50:51] op_sel_hi:[1,0]
	v_pk_add_f32 v[2:3], v[2:3], v[52:53]
	s_waitcnt vmcnt(6)
	v_pk_fma_f32 v[52:53], v[60:61], v[88:89], v[50:51] op_sel:[0,0,1] op_sel_hi:[1,1,0] neg_lo:[0,0,1] neg_hi:[0,0,1]
	v_pk_fma_f32 v[50:51], v[60:61], v[88:89], v[50:51] op_sel:[0,0,1] op_sel_hi:[1,0,0]
	s_waitcnt vmcnt(5)
	v_mov_b32_e32 v50, v91
	v_mov_b32_e32 v53, v51
	s_waitcnt lgkmcnt(1)
	v_pk_mul_f32 v[50:51], v[62:63], v[50:51] op_sel_hi:[1,0]
	v_pk_add_f32 v[2:3], v[2:3], v[52:53]
	;; [unrolled: 17-line block ×3, first 2 shown]
	s_waitcnt vmcnt(0)
	v_pk_fma_f32 v[52:53], v[0:1], v[94:95], v[50:51] op_sel:[0,0,1] op_sel_hi:[1,1,0] neg_lo:[0,0,1] neg_hi:[0,0,1]
	v_pk_fma_f32 v[0:1], v[0:1], v[94:95], v[50:51] op_sel:[0,0,1] op_sel_hi:[1,0,0]
	v_mov_b32_e32 v53, v1
	v_pk_add_f32 v[0:1], v[2:3], v[52:53]
	v_pk_add_f32 v[0:1], v[48:49], v[0:1] neg_lo:[0,1] neg_hi:[0,1]
	buffer_store_dword v1, off, s[0:3], 0 offset:4
	buffer_store_dword v0, off, s[0:3], 0
	s_cbranch_vccz .LBB21_189
; %bb.146:
	v_pk_mov_b32 v[0:1], s[10:11], s[10:11] op_sel:[0,1]
	flat_load_dword v0, v[0:1] offset:80
	s_waitcnt vmcnt(0) lgkmcnt(0)
	v_add_u32_e32 v0, -1, v0
	v_cmp_ne_u32_e32 vcc, 20, v0
	s_and_saveexec_b64 s[4:5], vcc
	s_cbranch_execz .LBB21_148
; %bb.147:
	v_mov_b32_e32 v1, 0
	v_lshl_add_u32 v0, v0, 3, v1
	buffer_load_dword v1, v0, s[0:3], 0 offen
	buffer_load_dword v2, v0, s[0:3], 0 offen offset:4
	buffer_load_dword v3, off, s[0:3], 0 offset:164
	buffer_load_dword v48, off, s[0:3], 0 offset:160
	s_waitcnt vmcnt(3)
	buffer_store_dword v1, off, s[0:3], 0 offset:160
	s_waitcnt vmcnt(3)
	buffer_store_dword v2, off, s[0:3], 0 offset:164
	s_waitcnt vmcnt(3)
	buffer_store_dword v3, v0, s[0:3], 0 offen offset:4
	s_waitcnt vmcnt(3)
	buffer_store_dword v48, v0, s[0:3], 0 offen
.LBB21_148:
	s_or_b64 exec, exec, s[4:5]
	v_pk_mov_b32 v[0:1], s[10:11], s[10:11] op_sel:[0,1]
	flat_load_dword v0, v[0:1] offset:76
	s_waitcnt vmcnt(0) lgkmcnt(0)
	v_add_u32_e32 v0, -1, v0
	v_cmp_ne_u32_e32 vcc, 19, v0
	s_and_saveexec_b64 s[4:5], vcc
	s_cbranch_execz .LBB21_150
; %bb.149:
	v_mov_b32_e32 v1, 0
	v_lshl_add_u32 v0, v0, 3, v1
	buffer_load_dword v1, v0, s[0:3], 0 offen
	buffer_load_dword v2, v0, s[0:3], 0 offen offset:4
	buffer_load_dword v3, off, s[0:3], 0 offset:152
	buffer_load_dword v48, off, s[0:3], 0 offset:156
	s_waitcnt vmcnt(3)
	buffer_store_dword v1, off, s[0:3], 0 offset:152
	s_waitcnt vmcnt(3)
	buffer_store_dword v2, off, s[0:3], 0 offset:156
	s_waitcnt vmcnt(3)
	buffer_store_dword v3, v0, s[0:3], 0 offen
	s_waitcnt vmcnt(3)
	buffer_store_dword v48, v0, s[0:3], 0 offen offset:4
.LBB21_150:
	s_or_b64 exec, exec, s[4:5]
	v_pk_mov_b32 v[0:1], s[10:11], s[10:11] op_sel:[0,1]
	flat_load_dword v0, v[0:1] offset:72
	s_waitcnt vmcnt(0) lgkmcnt(0)
	v_add_u32_e32 v0, -1, v0
	v_cmp_ne_u32_e32 vcc, 18, v0
	s_and_saveexec_b64 s[4:5], vcc
	s_cbranch_execz .LBB21_152
; %bb.151:
	v_mov_b32_e32 v1, 0
	v_lshl_add_u32 v0, v0, 3, v1
	buffer_load_dword v1, v0, s[0:3], 0 offen
	buffer_load_dword v2, v0, s[0:3], 0 offen offset:4
	buffer_load_dword v3, off, s[0:3], 0 offset:148
	buffer_load_dword v48, off, s[0:3], 0 offset:144
	s_waitcnt vmcnt(3)
	buffer_store_dword v1, off, s[0:3], 0 offset:144
	s_waitcnt vmcnt(3)
	buffer_store_dword v2, off, s[0:3], 0 offset:148
	s_waitcnt vmcnt(3)
	buffer_store_dword v3, v0, s[0:3], 0 offen offset:4
	s_waitcnt vmcnt(3)
	buffer_store_dword v48, v0, s[0:3], 0 offen
.LBB21_152:
	s_or_b64 exec, exec, s[4:5]
	v_pk_mov_b32 v[0:1], s[10:11], s[10:11] op_sel:[0,1]
	flat_load_dword v0, v[0:1] offset:68
	s_waitcnt vmcnt(0) lgkmcnt(0)
	v_add_u32_e32 v0, -1, v0
	v_cmp_ne_u32_e32 vcc, 17, v0
	s_and_saveexec_b64 s[4:5], vcc
	s_cbranch_execz .LBB21_154
; %bb.153:
	v_mov_b32_e32 v1, 0
	v_lshl_add_u32 v0, v0, 3, v1
	buffer_load_dword v1, v0, s[0:3], 0 offen
	buffer_load_dword v2, v0, s[0:3], 0 offen offset:4
	buffer_load_dword v3, off, s[0:3], 0 offset:136
	buffer_load_dword v48, off, s[0:3], 0 offset:140
	s_waitcnt vmcnt(3)
	buffer_store_dword v1, off, s[0:3], 0 offset:136
	s_waitcnt vmcnt(3)
	buffer_store_dword v2, off, s[0:3], 0 offset:140
	s_waitcnt vmcnt(3)
	buffer_store_dword v3, v0, s[0:3], 0 offen
	s_waitcnt vmcnt(3)
	buffer_store_dword v48, v0, s[0:3], 0 offen offset:4
.LBB21_154:
	s_or_b64 exec, exec, s[4:5]
	v_pk_mov_b32 v[0:1], s[10:11], s[10:11] op_sel:[0,1]
	flat_load_dword v0, v[0:1] offset:64
	s_waitcnt vmcnt(0) lgkmcnt(0)
	v_add_u32_e32 v0, -1, v0
	v_cmp_ne_u32_e32 vcc, 16, v0
	s_and_saveexec_b64 s[4:5], vcc
	s_cbranch_execz .LBB21_156
; %bb.155:
	v_mov_b32_e32 v1, 0
	v_lshl_add_u32 v0, v0, 3, v1
	buffer_load_dword v1, v0, s[0:3], 0 offen
	buffer_load_dword v2, v0, s[0:3], 0 offen offset:4
	buffer_load_dword v3, off, s[0:3], 0 offset:132
	buffer_load_dword v48, off, s[0:3], 0 offset:128
	s_waitcnt vmcnt(3)
	buffer_store_dword v1, off, s[0:3], 0 offset:128
	s_waitcnt vmcnt(3)
	buffer_store_dword v2, off, s[0:3], 0 offset:132
	s_waitcnt vmcnt(3)
	buffer_store_dword v3, v0, s[0:3], 0 offen offset:4
	s_waitcnt vmcnt(3)
	buffer_store_dword v48, v0, s[0:3], 0 offen
.LBB21_156:
	s_or_b64 exec, exec, s[4:5]
	v_pk_mov_b32 v[0:1], s[10:11], s[10:11] op_sel:[0,1]
	flat_load_dword v0, v[0:1] offset:60
	s_waitcnt vmcnt(0) lgkmcnt(0)
	v_add_u32_e32 v0, -1, v0
	v_cmp_ne_u32_e32 vcc, 15, v0
	s_and_saveexec_b64 s[4:5], vcc
	s_cbranch_execz .LBB21_158
; %bb.157:
	v_mov_b32_e32 v1, 0
	v_lshl_add_u32 v0, v0, 3, v1
	buffer_load_dword v1, v0, s[0:3], 0 offen
	buffer_load_dword v2, v0, s[0:3], 0 offen offset:4
	buffer_load_dword v3, off, s[0:3], 0 offset:120
	buffer_load_dword v48, off, s[0:3], 0 offset:124
	s_waitcnt vmcnt(3)
	buffer_store_dword v1, off, s[0:3], 0 offset:120
	s_waitcnt vmcnt(3)
	buffer_store_dword v2, off, s[0:3], 0 offset:124
	s_waitcnt vmcnt(3)
	buffer_store_dword v3, v0, s[0:3], 0 offen
	s_waitcnt vmcnt(3)
	buffer_store_dword v48, v0, s[0:3], 0 offen offset:4
.LBB21_158:
	s_or_b64 exec, exec, s[4:5]
	v_pk_mov_b32 v[0:1], s[10:11], s[10:11] op_sel:[0,1]
	flat_load_dword v0, v[0:1] offset:56
	s_waitcnt vmcnt(0) lgkmcnt(0)
	v_add_u32_e32 v0, -1, v0
	v_cmp_ne_u32_e32 vcc, 14, v0
	s_and_saveexec_b64 s[4:5], vcc
	s_cbranch_execz .LBB21_160
; %bb.159:
	v_mov_b32_e32 v1, 0
	v_lshl_add_u32 v0, v0, 3, v1
	buffer_load_dword v1, v0, s[0:3], 0 offen
	buffer_load_dword v2, v0, s[0:3], 0 offen offset:4
	buffer_load_dword v3, off, s[0:3], 0 offset:116
	buffer_load_dword v48, off, s[0:3], 0 offset:112
	s_waitcnt vmcnt(3)
	buffer_store_dword v1, off, s[0:3], 0 offset:112
	s_waitcnt vmcnt(3)
	buffer_store_dword v2, off, s[0:3], 0 offset:116
	s_waitcnt vmcnt(3)
	buffer_store_dword v3, v0, s[0:3], 0 offen offset:4
	s_waitcnt vmcnt(3)
	buffer_store_dword v48, v0, s[0:3], 0 offen
.LBB21_160:
	s_or_b64 exec, exec, s[4:5]
	v_pk_mov_b32 v[0:1], s[10:11], s[10:11] op_sel:[0,1]
	flat_load_dword v0, v[0:1] offset:52
	s_waitcnt vmcnt(0) lgkmcnt(0)
	v_add_u32_e32 v0, -1, v0
	v_cmp_ne_u32_e32 vcc, 13, v0
	s_and_saveexec_b64 s[4:5], vcc
	s_cbranch_execz .LBB21_162
; %bb.161:
	v_mov_b32_e32 v1, 0
	v_lshl_add_u32 v0, v0, 3, v1
	buffer_load_dword v1, v0, s[0:3], 0 offen
	buffer_load_dword v2, v0, s[0:3], 0 offen offset:4
	buffer_load_dword v3, off, s[0:3], 0 offset:104
	buffer_load_dword v48, off, s[0:3], 0 offset:108
	s_waitcnt vmcnt(3)
	buffer_store_dword v1, off, s[0:3], 0 offset:104
	s_waitcnt vmcnt(3)
	buffer_store_dword v2, off, s[0:3], 0 offset:108
	s_waitcnt vmcnt(3)
	buffer_store_dword v3, v0, s[0:3], 0 offen
	s_waitcnt vmcnt(3)
	buffer_store_dword v48, v0, s[0:3], 0 offen offset:4
.LBB21_162:
	s_or_b64 exec, exec, s[4:5]
	v_pk_mov_b32 v[0:1], s[10:11], s[10:11] op_sel:[0,1]
	flat_load_dword v0, v[0:1] offset:48
	s_waitcnt vmcnt(0) lgkmcnt(0)
	v_add_u32_e32 v0, -1, v0
	v_cmp_ne_u32_e32 vcc, 12, v0
	s_and_saveexec_b64 s[4:5], vcc
	s_cbranch_execz .LBB21_164
; %bb.163:
	v_mov_b32_e32 v1, 0
	v_lshl_add_u32 v0, v0, 3, v1
	buffer_load_dword v1, v0, s[0:3], 0 offen
	buffer_load_dword v2, v0, s[0:3], 0 offen offset:4
	buffer_load_dword v3, off, s[0:3], 0 offset:100
	buffer_load_dword v48, off, s[0:3], 0 offset:96
	s_waitcnt vmcnt(3)
	buffer_store_dword v1, off, s[0:3], 0 offset:96
	s_waitcnt vmcnt(3)
	buffer_store_dword v2, off, s[0:3], 0 offset:100
	s_waitcnt vmcnt(3)
	buffer_store_dword v3, v0, s[0:3], 0 offen offset:4
	s_waitcnt vmcnt(3)
	buffer_store_dword v48, v0, s[0:3], 0 offen
.LBB21_164:
	s_or_b64 exec, exec, s[4:5]
	v_pk_mov_b32 v[0:1], s[10:11], s[10:11] op_sel:[0,1]
	flat_load_dword v0, v[0:1] offset:44
	s_waitcnt vmcnt(0) lgkmcnt(0)
	v_add_u32_e32 v0, -1, v0
	v_cmp_ne_u32_e32 vcc, 11, v0
	s_and_saveexec_b64 s[4:5], vcc
	s_cbranch_execz .LBB21_166
; %bb.165:
	v_mov_b32_e32 v1, 0
	v_lshl_add_u32 v0, v0, 3, v1
	buffer_load_dword v1, v0, s[0:3], 0 offen
	buffer_load_dword v2, v0, s[0:3], 0 offen offset:4
	buffer_load_dword v3, off, s[0:3], 0 offset:88
	buffer_load_dword v48, off, s[0:3], 0 offset:92
	s_waitcnt vmcnt(3)
	buffer_store_dword v1, off, s[0:3], 0 offset:88
	s_waitcnt vmcnt(3)
	buffer_store_dword v2, off, s[0:3], 0 offset:92
	s_waitcnt vmcnt(3)
	buffer_store_dword v3, v0, s[0:3], 0 offen
	s_waitcnt vmcnt(3)
	buffer_store_dword v48, v0, s[0:3], 0 offen offset:4
.LBB21_166:
	s_or_b64 exec, exec, s[4:5]
	v_pk_mov_b32 v[0:1], s[10:11], s[10:11] op_sel:[0,1]
	flat_load_dword v0, v[0:1] offset:40
	s_waitcnt vmcnt(0) lgkmcnt(0)
	v_add_u32_e32 v0, -1, v0
	v_cmp_ne_u32_e32 vcc, 10, v0
	s_and_saveexec_b64 s[4:5], vcc
	s_cbranch_execz .LBB21_168
; %bb.167:
	v_mov_b32_e32 v1, 0
	v_lshl_add_u32 v0, v0, 3, v1
	buffer_load_dword v1, v0, s[0:3], 0 offen
	buffer_load_dword v2, v0, s[0:3], 0 offen offset:4
	buffer_load_dword v3, off, s[0:3], 0 offset:84
	buffer_load_dword v48, off, s[0:3], 0 offset:80
	s_waitcnt vmcnt(3)
	buffer_store_dword v1, off, s[0:3], 0 offset:80
	s_waitcnt vmcnt(3)
	buffer_store_dword v2, off, s[0:3], 0 offset:84
	s_waitcnt vmcnt(3)
	buffer_store_dword v3, v0, s[0:3], 0 offen offset:4
	s_waitcnt vmcnt(3)
	buffer_store_dword v48, v0, s[0:3], 0 offen
.LBB21_168:
	s_or_b64 exec, exec, s[4:5]
	v_pk_mov_b32 v[0:1], s[10:11], s[10:11] op_sel:[0,1]
	flat_load_dword v0, v[0:1] offset:36
	s_waitcnt vmcnt(0) lgkmcnt(0)
	v_add_u32_e32 v0, -1, v0
	v_cmp_ne_u32_e32 vcc, 9, v0
	s_and_saveexec_b64 s[4:5], vcc
	s_cbranch_execz .LBB21_170
; %bb.169:
	v_mov_b32_e32 v1, 0
	v_lshl_add_u32 v0, v0, 3, v1
	buffer_load_dword v1, v0, s[0:3], 0 offen
	buffer_load_dword v2, v0, s[0:3], 0 offen offset:4
	buffer_load_dword v3, off, s[0:3], 0 offset:72
	buffer_load_dword v48, off, s[0:3], 0 offset:76
	s_waitcnt vmcnt(3)
	buffer_store_dword v1, off, s[0:3], 0 offset:72
	s_waitcnt vmcnt(3)
	buffer_store_dword v2, off, s[0:3], 0 offset:76
	s_waitcnt vmcnt(3)
	buffer_store_dword v3, v0, s[0:3], 0 offen
	s_waitcnt vmcnt(3)
	buffer_store_dword v48, v0, s[0:3], 0 offen offset:4
.LBB21_170:
	s_or_b64 exec, exec, s[4:5]
	v_pk_mov_b32 v[0:1], s[10:11], s[10:11] op_sel:[0,1]
	flat_load_dword v0, v[0:1] offset:32
	s_waitcnt vmcnt(0) lgkmcnt(0)
	v_add_u32_e32 v0, -1, v0
	v_cmp_ne_u32_e32 vcc, 8, v0
	s_and_saveexec_b64 s[4:5], vcc
	s_cbranch_execz .LBB21_172
; %bb.171:
	v_mov_b32_e32 v1, 0
	v_lshl_add_u32 v0, v0, 3, v1
	buffer_load_dword v1, v0, s[0:3], 0 offen
	buffer_load_dword v2, v0, s[0:3], 0 offen offset:4
	buffer_load_dword v3, off, s[0:3], 0 offset:68
	buffer_load_dword v48, off, s[0:3], 0 offset:64
	s_waitcnt vmcnt(3)
	buffer_store_dword v1, off, s[0:3], 0 offset:64
	s_waitcnt vmcnt(3)
	buffer_store_dword v2, off, s[0:3], 0 offset:68
	s_waitcnt vmcnt(3)
	buffer_store_dword v3, v0, s[0:3], 0 offen offset:4
	s_waitcnt vmcnt(3)
	buffer_store_dword v48, v0, s[0:3], 0 offen
.LBB21_172:
	s_or_b64 exec, exec, s[4:5]
	v_pk_mov_b32 v[0:1], s[10:11], s[10:11] op_sel:[0,1]
	flat_load_dword v0, v[0:1] offset:28
	s_waitcnt vmcnt(0) lgkmcnt(0)
	v_add_u32_e32 v0, -1, v0
	v_cmp_ne_u32_e32 vcc, 7, v0
	s_and_saveexec_b64 s[4:5], vcc
	s_cbranch_execz .LBB21_174
; %bb.173:
	v_mov_b32_e32 v1, 0
	v_lshl_add_u32 v0, v0, 3, v1
	buffer_load_dword v1, v0, s[0:3], 0 offen
	buffer_load_dword v2, v0, s[0:3], 0 offen offset:4
	buffer_load_dword v3, off, s[0:3], 0 offset:56
	buffer_load_dword v48, off, s[0:3], 0 offset:60
	s_waitcnt vmcnt(3)
	buffer_store_dword v1, off, s[0:3], 0 offset:56
	s_waitcnt vmcnt(3)
	buffer_store_dword v2, off, s[0:3], 0 offset:60
	s_waitcnt vmcnt(3)
	buffer_store_dword v3, v0, s[0:3], 0 offen
	s_waitcnt vmcnt(3)
	buffer_store_dword v48, v0, s[0:3], 0 offen offset:4
.LBB21_174:
	s_or_b64 exec, exec, s[4:5]
	v_pk_mov_b32 v[0:1], s[10:11], s[10:11] op_sel:[0,1]
	flat_load_dword v0, v[0:1] offset:24
	s_waitcnt vmcnt(0) lgkmcnt(0)
	v_add_u32_e32 v0, -1, v0
	v_cmp_ne_u32_e32 vcc, 6, v0
	s_and_saveexec_b64 s[4:5], vcc
	s_cbranch_execz .LBB21_176
; %bb.175:
	v_mov_b32_e32 v1, 0
	v_lshl_add_u32 v0, v0, 3, v1
	buffer_load_dword v1, v0, s[0:3], 0 offen
	buffer_load_dword v2, v0, s[0:3], 0 offen offset:4
	buffer_load_dword v3, off, s[0:3], 0 offset:52
	buffer_load_dword v48, off, s[0:3], 0 offset:48
	s_waitcnt vmcnt(3)
	buffer_store_dword v1, off, s[0:3], 0 offset:48
	s_waitcnt vmcnt(3)
	buffer_store_dword v2, off, s[0:3], 0 offset:52
	s_waitcnt vmcnt(3)
	buffer_store_dword v3, v0, s[0:3], 0 offen offset:4
	s_waitcnt vmcnt(3)
	buffer_store_dword v48, v0, s[0:3], 0 offen
.LBB21_176:
	s_or_b64 exec, exec, s[4:5]
	v_pk_mov_b32 v[0:1], s[10:11], s[10:11] op_sel:[0,1]
	flat_load_dword v0, v[0:1] offset:20
	s_waitcnt vmcnt(0) lgkmcnt(0)
	v_add_u32_e32 v0, -1, v0
	v_cmp_ne_u32_e32 vcc, 5, v0
	s_and_saveexec_b64 s[4:5], vcc
	s_cbranch_execz .LBB21_178
; %bb.177:
	v_mov_b32_e32 v1, 0
	v_lshl_add_u32 v0, v0, 3, v1
	buffer_load_dword v1, v0, s[0:3], 0 offen
	buffer_load_dword v2, v0, s[0:3], 0 offen offset:4
	buffer_load_dword v3, off, s[0:3], 0 offset:40
	buffer_load_dword v48, off, s[0:3], 0 offset:44
	s_waitcnt vmcnt(3)
	buffer_store_dword v1, off, s[0:3], 0 offset:40
	s_waitcnt vmcnt(3)
	buffer_store_dword v2, off, s[0:3], 0 offset:44
	s_waitcnt vmcnt(3)
	buffer_store_dword v3, v0, s[0:3], 0 offen
	s_waitcnt vmcnt(3)
	buffer_store_dword v48, v0, s[0:3], 0 offen offset:4
.LBB21_178:
	s_or_b64 exec, exec, s[4:5]
	v_pk_mov_b32 v[0:1], s[10:11], s[10:11] op_sel:[0,1]
	flat_load_dword v0, v[0:1] offset:16
	s_waitcnt vmcnt(0) lgkmcnt(0)
	v_add_u32_e32 v0, -1, v0
	v_cmp_ne_u32_e32 vcc, 4, v0
	s_and_saveexec_b64 s[4:5], vcc
	s_cbranch_execz .LBB21_180
; %bb.179:
	v_mov_b32_e32 v1, 0
	v_lshl_add_u32 v0, v0, 3, v1
	buffer_load_dword v1, v0, s[0:3], 0 offen
	buffer_load_dword v2, v0, s[0:3], 0 offen offset:4
	buffer_load_dword v3, off, s[0:3], 0 offset:36
	buffer_load_dword v48, off, s[0:3], 0 offset:32
	s_waitcnt vmcnt(3)
	buffer_store_dword v1, off, s[0:3], 0 offset:32
	s_waitcnt vmcnt(3)
	buffer_store_dword v2, off, s[0:3], 0 offset:36
	s_waitcnt vmcnt(3)
	buffer_store_dword v3, v0, s[0:3], 0 offen offset:4
	s_waitcnt vmcnt(3)
	buffer_store_dword v48, v0, s[0:3], 0 offen
.LBB21_180:
	s_or_b64 exec, exec, s[4:5]
	v_pk_mov_b32 v[0:1], s[10:11], s[10:11] op_sel:[0,1]
	flat_load_dword v0, v[0:1] offset:12
	s_waitcnt vmcnt(0) lgkmcnt(0)
	v_add_u32_e32 v0, -1, v0
	v_cmp_ne_u32_e32 vcc, 3, v0
	s_and_saveexec_b64 s[4:5], vcc
	s_cbranch_execz .LBB21_182
; %bb.181:
	v_mov_b32_e32 v1, 0
	v_lshl_add_u32 v0, v0, 3, v1
	buffer_load_dword v1, v0, s[0:3], 0 offen
	buffer_load_dword v2, v0, s[0:3], 0 offen offset:4
	buffer_load_dword v3, off, s[0:3], 0 offset:24
	buffer_load_dword v48, off, s[0:3], 0 offset:28
	s_waitcnt vmcnt(3)
	buffer_store_dword v1, off, s[0:3], 0 offset:24
	s_waitcnt vmcnt(3)
	buffer_store_dword v2, off, s[0:3], 0 offset:28
	s_waitcnt vmcnt(3)
	buffer_store_dword v3, v0, s[0:3], 0 offen
	s_waitcnt vmcnt(3)
	buffer_store_dword v48, v0, s[0:3], 0 offen offset:4
.LBB21_182:
	s_or_b64 exec, exec, s[4:5]
	v_pk_mov_b32 v[0:1], s[10:11], s[10:11] op_sel:[0,1]
	flat_load_dword v0, v[0:1] offset:8
	s_waitcnt vmcnt(0) lgkmcnt(0)
	v_add_u32_e32 v0, -1, v0
	v_cmp_ne_u32_e32 vcc, 2, v0
	s_and_saveexec_b64 s[4:5], vcc
	s_cbranch_execz .LBB21_184
; %bb.183:
	v_mov_b32_e32 v1, 0
	v_lshl_add_u32 v0, v0, 3, v1
	buffer_load_dword v1, v0, s[0:3], 0 offen
	buffer_load_dword v2, v0, s[0:3], 0 offen offset:4
	buffer_load_dword v3, off, s[0:3], 0 offset:20
	buffer_load_dword v48, off, s[0:3], 0 offset:16
	s_waitcnt vmcnt(3)
	buffer_store_dword v1, off, s[0:3], 0 offset:16
	s_waitcnt vmcnt(3)
	buffer_store_dword v2, off, s[0:3], 0 offset:20
	s_waitcnt vmcnt(3)
	buffer_store_dword v3, v0, s[0:3], 0 offen offset:4
	s_waitcnt vmcnt(3)
	buffer_store_dword v48, v0, s[0:3], 0 offen
.LBB21_184:
	s_or_b64 exec, exec, s[4:5]
	v_pk_mov_b32 v[0:1], s[10:11], s[10:11] op_sel:[0,1]
	flat_load_dword v0, v[0:1] offset:4
	s_waitcnt vmcnt(0) lgkmcnt(0)
	v_add_u32_e32 v0, -1, v0
	v_cmp_ne_u32_e32 vcc, 1, v0
	s_and_saveexec_b64 s[4:5], vcc
	s_cbranch_execz .LBB21_186
; %bb.185:
	v_mov_b32_e32 v1, 0
	v_lshl_add_u32 v0, v0, 3, v1
	buffer_load_dword v1, v0, s[0:3], 0 offen
	buffer_load_dword v2, v0, s[0:3], 0 offen offset:4
	buffer_load_dword v3, off, s[0:3], 0 offset:8
	buffer_load_dword v48, off, s[0:3], 0 offset:12
	s_waitcnt vmcnt(3)
	buffer_store_dword v1, off, s[0:3], 0 offset:8
	s_waitcnt vmcnt(3)
	buffer_store_dword v2, off, s[0:3], 0 offset:12
	s_waitcnt vmcnt(3)
	buffer_store_dword v3, v0, s[0:3], 0 offen
	s_waitcnt vmcnt(3)
	buffer_store_dword v48, v0, s[0:3], 0 offen offset:4
.LBB21_186:
	s_or_b64 exec, exec, s[4:5]
	v_pk_mov_b32 v[0:1], s[10:11], s[10:11] op_sel:[0,1]
	flat_load_dword v2, v[0:1]
	s_nop 0
	buffer_load_dword v0, off, s[0:3], 0
	buffer_load_dword v1, off, s[0:3], 0 offset:4
	s_waitcnt vmcnt(0) lgkmcnt(0)
	v_add_u32_e32 v2, -1, v2
	v_cmp_ne_u32_e32 vcc, 0, v2
	s_and_saveexec_b64 s[4:5], vcc
	s_cbranch_execz .LBB21_188
; %bb.187:
	v_mov_b32_e32 v3, 0
	v_lshl_add_u32 v2, v2, 3, v3
	buffer_load_dword v3, v2, s[0:3], 0 offen offset:4
	buffer_load_dword v48, v2, s[0:3], 0 offen
	s_waitcnt vmcnt(1)
	buffer_store_dword v3, off, s[0:3], 0 offset:4
	s_waitcnt vmcnt(1)
	buffer_store_dword v48, off, s[0:3], 0
	buffer_store_dword v1, v2, s[0:3], 0 offen offset:4
	buffer_store_dword v0, v2, s[0:3], 0 offen
	buffer_load_dword v0, off, s[0:3], 0
	s_nop 0
	buffer_load_dword v1, off, s[0:3], 0 offset:4
.LBB21_188:
	s_or_b64 exec, exec, s[4:5]
.LBB21_189:
	buffer_load_dword v2, off, s[0:3], 0 offset:8
	buffer_load_dword v3, off, s[0:3], 0 offset:12
	;; [unrolled: 1-line block ×42, first 2 shown]
	s_waitcnt vmcnt(42)
	global_store_dwordx2 v[4:5], v[0:1], off
	s_waitcnt vmcnt(41)
	global_store_dwordx2 v[6:7], v[2:3], off
	;; [unrolled: 2-line block ×22, first 2 shown]
	s_endpgm
	.section	.rodata,"a",@progbits
	.p2align	6, 0x0
	.amdhsa_kernel _ZN9rocsolver6v33100L18getri_kernel_smallILi22E19rocblas_complex_numIfEPS3_EEvT1_iilPiilS6_bb
		.amdhsa_group_segment_fixed_size 356
		.amdhsa_private_segment_fixed_size 192
		.amdhsa_kernarg_size 60
		.amdhsa_user_sgpr_count 8
		.amdhsa_user_sgpr_private_segment_buffer 1
		.amdhsa_user_sgpr_dispatch_ptr 0
		.amdhsa_user_sgpr_queue_ptr 0
		.amdhsa_user_sgpr_kernarg_segment_ptr 1
		.amdhsa_user_sgpr_dispatch_id 0
		.amdhsa_user_sgpr_flat_scratch_init 1
		.amdhsa_user_sgpr_kernarg_preload_length 0
		.amdhsa_user_sgpr_kernarg_preload_offset 0
		.amdhsa_user_sgpr_private_segment_size 0
		.amdhsa_uses_dynamic_stack 0
		.amdhsa_system_sgpr_private_segment_wavefront_offset 1
		.amdhsa_system_sgpr_workgroup_id_x 1
		.amdhsa_system_sgpr_workgroup_id_y 0
		.amdhsa_system_sgpr_workgroup_id_z 0
		.amdhsa_system_sgpr_workgroup_info 0
		.amdhsa_system_vgpr_workitem_id 0
		.amdhsa_next_free_vgpr 125
		.amdhsa_next_free_sgpr 23
		.amdhsa_accum_offset 128
		.amdhsa_reserve_vcc 1
		.amdhsa_reserve_flat_scratch 1
		.amdhsa_float_round_mode_32 0
		.amdhsa_float_round_mode_16_64 0
		.amdhsa_float_denorm_mode_32 3
		.amdhsa_float_denorm_mode_16_64 3
		.amdhsa_dx10_clamp 1
		.amdhsa_ieee_mode 1
		.amdhsa_fp16_overflow 0
		.amdhsa_tg_split 0
		.amdhsa_exception_fp_ieee_invalid_op 0
		.amdhsa_exception_fp_denorm_src 0
		.amdhsa_exception_fp_ieee_div_zero 0
		.amdhsa_exception_fp_ieee_overflow 0
		.amdhsa_exception_fp_ieee_underflow 0
		.amdhsa_exception_fp_ieee_inexact 0
		.amdhsa_exception_int_div_zero 0
	.end_amdhsa_kernel
	.section	.text._ZN9rocsolver6v33100L18getri_kernel_smallILi22E19rocblas_complex_numIfEPS3_EEvT1_iilPiilS6_bb,"axG",@progbits,_ZN9rocsolver6v33100L18getri_kernel_smallILi22E19rocblas_complex_numIfEPS3_EEvT1_iilPiilS6_bb,comdat
.Lfunc_end21:
	.size	_ZN9rocsolver6v33100L18getri_kernel_smallILi22E19rocblas_complex_numIfEPS3_EEvT1_iilPiilS6_bb, .Lfunc_end21-_ZN9rocsolver6v33100L18getri_kernel_smallILi22E19rocblas_complex_numIfEPS3_EEvT1_iilPiilS6_bb
                                        ; -- End function
	.section	.AMDGPU.csdata,"",@progbits
; Kernel info:
; codeLenInByte = 27128
; NumSgprs: 29
; NumVgprs: 125
; NumAgprs: 0
; TotalNumVgprs: 125
; ScratchSize: 192
; MemoryBound: 0
; FloatMode: 240
; IeeeMode: 1
; LDSByteSize: 356 bytes/workgroup (compile time only)
; SGPRBlocks: 3
; VGPRBlocks: 15
; NumSGPRsForWavesPerEU: 29
; NumVGPRsForWavesPerEU: 125
; AccumOffset: 128
; Occupancy: 4
; WaveLimiterHint : 1
; COMPUTE_PGM_RSRC2:SCRATCH_EN: 1
; COMPUTE_PGM_RSRC2:USER_SGPR: 8
; COMPUTE_PGM_RSRC2:TRAP_HANDLER: 0
; COMPUTE_PGM_RSRC2:TGID_X_EN: 1
; COMPUTE_PGM_RSRC2:TGID_Y_EN: 0
; COMPUTE_PGM_RSRC2:TGID_Z_EN: 0
; COMPUTE_PGM_RSRC2:TIDIG_COMP_CNT: 0
; COMPUTE_PGM_RSRC3_GFX90A:ACCUM_OFFSET: 31
; COMPUTE_PGM_RSRC3_GFX90A:TG_SPLIT: 0
	.section	.text._ZN9rocsolver6v33100L18getri_kernel_smallILi23E19rocblas_complex_numIfEPS3_EEvT1_iilPiilS6_bb,"axG",@progbits,_ZN9rocsolver6v33100L18getri_kernel_smallILi23E19rocblas_complex_numIfEPS3_EEvT1_iilPiilS6_bb,comdat
	.globl	_ZN9rocsolver6v33100L18getri_kernel_smallILi23E19rocblas_complex_numIfEPS3_EEvT1_iilPiilS6_bb ; -- Begin function _ZN9rocsolver6v33100L18getri_kernel_smallILi23E19rocblas_complex_numIfEPS3_EEvT1_iilPiilS6_bb
	.p2align	8
	.type	_ZN9rocsolver6v33100L18getri_kernel_smallILi23E19rocblas_complex_numIfEPS3_EEvT1_iilPiilS6_bb,@function
_ZN9rocsolver6v33100L18getri_kernel_smallILi23E19rocblas_complex_numIfEPS3_EEvT1_iilPiilS6_bb: ; @_ZN9rocsolver6v33100L18getri_kernel_smallILi23E19rocblas_complex_numIfEPS3_EEvT1_iilPiilS6_bb
; %bb.0:
	s_add_u32 flat_scratch_lo, s6, s9
	s_addc_u32 flat_scratch_hi, s7, 0
	s_add_u32 s0, s0, s9
	s_addc_u32 s1, s1, 0
	v_cmp_gt_u32_e32 vcc, 23, v0
	s_and_saveexec_b64 s[6:7], vcc
	s_cbranch_execz .LBB22_106
; %bb.1:
	s_load_dword s22, s[4:5], 0x38
	s_load_dwordx4 s[16:19], s[4:5], 0x10
	s_load_dwordx4 s[12:15], s[4:5], 0x28
                                        ; implicit-def: $sgpr10_sgpr11
	s_waitcnt lgkmcnt(0)
	s_bitcmp1_b32 s22, 8
	s_cselect_b64 s[20:21], -1, 0
	s_ashr_i32 s9, s8, 31
	s_bfe_u32 s6, s22, 0x10008
	s_cmp_eq_u32 s6, 0
	s_cbranch_scc1 .LBB22_3
; %bb.2:
	s_load_dword s6, s[4:5], 0x20
	s_mul_i32 s7, s8, s13
	s_mul_hi_u32 s10, s8, s12
	s_mul_i32 s11, s9, s12
	s_add_i32 s10, s10, s7
	s_add_i32 s11, s10, s11
	s_mul_i32 s10, s8, s12
	s_waitcnt lgkmcnt(0)
	s_ashr_i32 s7, s6, 31
	s_lshl_b64 s[10:11], s[10:11], 2
	s_add_u32 s10, s18, s10
	s_addc_u32 s11, s19, s11
	s_lshl_b64 s[6:7], s[6:7], 2
	s_add_u32 s10, s10, s6
	s_addc_u32 s11, s11, s7
.LBB22_3:
	s_load_dwordx4 s[4:7], s[4:5], 0x0
	s_mul_i32 s12, s8, s17
	s_mul_hi_u32 s13, s8, s16
	s_add_i32 s17, s13, s12
	v_lshlrev_b32_e32 v52, 3, v0
	s_waitcnt lgkmcnt(0)
	s_ashr_i32 s13, s6, 31
	s_mov_b32 s12, s6
	s_mul_i32 s6, s9, s16
	s_add_i32 s17, s17, s6
	s_mul_i32 s16, s8, s16
	s_lshl_b64 s[16:17], s[16:17], 3
	s_add_u32 s6, s4, s16
	s_addc_u32 s16, s5, s17
	s_lshl_b64 s[4:5], s[12:13], 3
	s_add_u32 s4, s6, s4
	s_addc_u32 s5, s16, s5
	s_add_i32 s6, s7, s7
	v_add_u32_e32 v4, s6, v0
	v_ashrrev_i32_e32 v5, 31, v4
	v_lshlrev_b64 v[10:11], 3, v[4:5]
	v_add_u32_e32 v4, s7, v4
	v_ashrrev_i32_e32 v5, 31, v4
	v_lshlrev_b64 v[12:13], 3, v[4:5]
	;; [unrolled: 3-line block ×3, first 2 shown]
	v_add_u32_e32 v4, s7, v4
	v_add_u32_e32 v18, s7, v4
	;; [unrolled: 1-line block ×9, first 2 shown]
	v_mov_b32_e32 v1, s5
	v_add_co_u32_e32 v6, vcc, s4, v52
	s_ashr_i32 s13, s7, 31
	s_mov_b32 s12, s7
	v_add_u32_e32 v34, s7, v32
	v_addc_co_u32_e32 v7, vcc, 0, v1, vcc
	s_lshl_b64 s[12:13], s[12:13], 3
	v_add_u32_e32 v36, s7, v34
	v_mov_b32_e32 v1, s13
	v_add_co_u32_e32 v8, vcc, s12, v6
	v_add_u32_e32 v38, s7, v36
	v_addc_co_u32_e32 v9, vcc, v7, v1, vcc
	v_add_u32_e32 v40, s7, v38
	v_mov_b32_e32 v1, s5
	v_add_co_u32_e32 v10, vcc, s4, v10
	v_add_u32_e32 v42, s7, v40
	v_addc_co_u32_e32 v11, vcc, v1, v11, vcc
	v_add_u32_e32 v44, s7, v42
	v_add_co_u32_e32 v12, vcc, s4, v12
	v_add_u32_e32 v46, s7, v44
	v_addc_co_u32_e32 v13, vcc, v1, v13, vcc
	v_add_u32_e32 v48, s7, v46
	v_add_co_u32_e32 v14, vcc, s4, v14
	v_add_u32_e32 v16, s7, v48
	v_ashrrev_i32_e32 v5, 31, v4
	v_addc_co_u32_e32 v15, vcc, v1, v15, vcc
	v_ashrrev_i32_e32 v17, 31, v16
	v_lshlrev_b64 v[4:5], 3, v[4:5]
	v_lshlrev_b64 v[50:51], 3, v[16:17]
	v_mov_b32_e32 v17, s5
	v_add_co_u32_e32 v16, vcc, s4, v4
	v_ashrrev_i32_e32 v19, 31, v18
	v_addc_co_u32_e32 v17, vcc, v17, v5, vcc
	v_lshlrev_b64 v[4:5], 3, v[18:19]
	v_mov_b32_e32 v19, s5
	v_add_co_u32_e32 v18, vcc, s4, v4
	v_ashrrev_i32_e32 v21, 31, v20
	v_addc_co_u32_e32 v19, vcc, v19, v5, vcc
	;; [unrolled: 5-line block ×6, first 2 shown]
	v_lshlrev_b64 v[28:29], 3, v[28:29]
	v_mov_b32_e32 v31, s5
	v_add_co_u32_e32 v28, vcc, s4, v28
	v_addc_co_u32_e32 v29, vcc, v31, v29, vcc
	v_ashrrev_i32_e32 v31, 31, v30
	v_lshlrev_b64 v[30:31], 3, v[30:31]
	v_mov_b32_e32 v33, s5
	v_add_co_u32_e32 v30, vcc, s4, v30
	v_addc_co_u32_e32 v31, vcc, v33, v31, vcc
	v_ashrrev_i32_e32 v33, 31, v32
	v_lshlrev_b64 v[32:33], 3, v[32:33]
	v_mov_b32_e32 v35, s5
	v_add_co_u32_e32 v32, vcc, s4, v32
	v_addc_co_u32_e32 v33, vcc, v35, v33, vcc
	v_ashrrev_i32_e32 v35, 31, v34
	v_lshlrev_b64 v[34:35], 3, v[34:35]
	v_mov_b32_e32 v37, s5
	v_add_co_u32_e32 v34, vcc, s4, v34
	v_addc_co_u32_e32 v35, vcc, v37, v35, vcc
	v_ashrrev_i32_e32 v37, 31, v36
	v_lshlrev_b64 v[36:37], 3, v[36:37]
	v_mov_b32_e32 v39, s5
	v_add_co_u32_e32 v36, vcc, s4, v36
	v_addc_co_u32_e32 v37, vcc, v39, v37, vcc
	v_ashrrev_i32_e32 v39, 31, v38
	v_lshlrev_b64 v[38:39], 3, v[38:39]
	v_mov_b32_e32 v41, s5
	v_add_co_u32_e32 v38, vcc, s4, v38
	v_addc_co_u32_e32 v39, vcc, v41, v39, vcc
	v_ashrrev_i32_e32 v41, 31, v40
	v_lshlrev_b64 v[40:41], 3, v[40:41]
	v_mov_b32_e32 v43, s5
	v_add_co_u32_e32 v40, vcc, s4, v40
	v_addc_co_u32_e32 v41, vcc, v43, v41, vcc
	v_ashrrev_i32_e32 v43, 31, v42
	v_lshlrev_b64 v[42:43], 3, v[42:43]
	v_mov_b32_e32 v45, s5
	v_add_co_u32_e32 v42, vcc, s4, v42
	v_addc_co_u32_e32 v43, vcc, v45, v43, vcc
	v_ashrrev_i32_e32 v45, 31, v44
	v_lshlrev_b64 v[44:45], 3, v[44:45]
	v_mov_b32_e32 v47, s5
	v_add_co_u32_e32 v44, vcc, s4, v44
	v_addc_co_u32_e32 v45, vcc, v47, v45, vcc
	v_ashrrev_i32_e32 v47, 31, v46
	v_lshlrev_b64 v[46:47], 3, v[46:47]
	v_mov_b32_e32 v49, s5
	v_add_co_u32_e32 v46, vcc, s4, v46
	v_addc_co_u32_e32 v47, vcc, v49, v47, vcc
	v_ashrrev_i32_e32 v49, 31, v48
	v_lshlrev_b64 v[48:49], 3, v[48:49]
	v_mov_b32_e32 v53, s5
	v_add_co_u32_e32 v48, vcc, s4, v48
	global_load_dwordx2 v[2:3], v52, s[4:5]
	global_load_dwordx2 v[54:55], v[8:9], off
	global_load_dwordx2 v[56:57], v[10:11], off
	global_load_dwordx2 v[58:59], v[12:13], off
	global_load_dwordx2 v[60:61], v[14:15], off
	global_load_dwordx2 v[4:5], v[16:17], off
	global_load_dwordx2 v[62:63], v[18:19], off
	global_load_dwordx2 v[64:65], v[20:21], off
	global_load_dwordx2 v[66:67], v[22:23], off
	global_load_dwordx2 v[68:69], v[24:25], off
	global_load_dwordx2 v[70:71], v[26:27], off
	global_load_dwordx2 v[72:73], v[28:29], off
	global_load_dwordx2 v[74:75], v[30:31], off
	global_load_dwordx2 v[76:77], v[32:33], off
	global_load_dwordx2 v[78:79], v[34:35], off
	global_load_dwordx2 v[80:81], v[36:37], off
	global_load_dwordx2 v[82:83], v[38:39], off
	global_load_dwordx2 v[84:85], v[40:41], off
	v_addc_co_u32_e32 v49, vcc, v53, v49, vcc
	global_load_dwordx2 v[86:87], v[42:43], off
	global_load_dwordx2 v[88:89], v[44:45], off
	;; [unrolled: 1-line block ×4, first 2 shown]
	v_add_co_u32_e32 v50, vcc, s4, v50
	v_addc_co_u32_e32 v51, vcc, v1, v51, vcc
	global_load_dwordx2 v[94:95], v[50:51], off
	s_bitcmp0_b32 s22, 0
	s_mov_b64 s[6:7], -1
	s_waitcnt vmcnt(22)
	buffer_store_dword v3, off, s[0:3], 0 offset:4
	buffer_store_dword v2, off, s[0:3], 0
	s_waitcnt vmcnt(23)
	buffer_store_dword v55, off, s[0:3], 0 offset:12
	buffer_store_dword v54, off, s[0:3], 0 offset:8
	s_waitcnt vmcnt(24)
	buffer_store_dword v57, off, s[0:3], 0 offset:20
	buffer_store_dword v56, off, s[0:3], 0 offset:16
	;; [unrolled: 3-line block ×22, first 2 shown]
	s_cbranch_scc1 .LBB22_104
; %bb.4:
	v_cmp_eq_u32_e64 s[4:5], 0, v0
	s_and_saveexec_b64 s[6:7], s[4:5]
	s_cbranch_execz .LBB22_6
; %bb.5:
	v_mov_b32_e32 v1, 0
	ds_write_b32 v1, v1 offset:184
.LBB22_6:
	s_or_b64 exec, exec, s[6:7]
	v_mov_b32_e32 v1, 0
	v_lshl_add_u32 v53, v0, 3, v1
	s_waitcnt lgkmcnt(0)
	; wave barrier
	s_waitcnt lgkmcnt(0)
	buffer_load_dword v1, v53, s[0:3], 0 offen
	buffer_load_dword v2, v53, s[0:3], 0 offen offset:4
	s_waitcnt vmcnt(1)
	v_cmp_eq_f32_e32 vcc, 0, v1
	s_waitcnt vmcnt(0)
	v_cmp_eq_f32_e64 s[6:7], 0, v2
	s_and_b64 s[6:7], vcc, s[6:7]
	s_and_saveexec_b64 s[12:13], s[6:7]
	s_cbranch_execz .LBB22_10
; %bb.7:
	v_mov_b32_e32 v1, 0
	ds_read_b32 v3, v1 offset:184
	v_add_u32_e32 v2, 1, v0
	s_waitcnt lgkmcnt(0)
	v_readfirstlane_b32 s6, v3
	s_cmp_eq_u32 s6, 0
	s_cselect_b64 s[16:17], -1, 0
	v_cmp_gt_i32_e32 vcc, s6, v2
	s_or_b64 s[16:17], s[16:17], vcc
	s_and_b64 exec, exec, s[16:17]
	s_cbranch_execz .LBB22_10
; %bb.8:
	s_mov_b64 s[16:17], 0
	v_mov_b32_e32 v3, s6
.LBB22_9:                               ; =>This Inner Loop Header: Depth=1
	ds_cmpst_rtn_b32 v3, v1, v3, v2 offset:184
	s_waitcnt lgkmcnt(0)
	v_cmp_ne_u32_e32 vcc, 0, v3
	v_cmp_le_i32_e64 s[6:7], v3, v2
	s_and_b64 s[6:7], vcc, s[6:7]
	s_and_b64 s[6:7], exec, s[6:7]
	s_or_b64 s[16:17], s[6:7], s[16:17]
	s_andn2_b64 exec, exec, s[16:17]
	s_cbranch_execnz .LBB22_9
.LBB22_10:
	s_or_b64 exec, exec, s[12:13]
	v_mov_b32_e32 v2, 0
	s_waitcnt lgkmcnt(0)
	; wave barrier
	ds_read_b32 v1, v2 offset:184
	s_and_saveexec_b64 s[6:7], s[4:5]
	s_cbranch_execz .LBB22_12
; %bb.11:
	s_lshl_b64 s[12:13], s[8:9], 2
	s_add_u32 s12, s14, s12
	s_addc_u32 s13, s15, s13
	s_waitcnt lgkmcnt(0)
	global_store_dword v2, v1, s[12:13]
.LBB22_12:
	s_or_b64 exec, exec, s[6:7]
	s_waitcnt lgkmcnt(0)
	v_cmp_ne_u32_e32 vcc, 0, v1
	s_mov_b64 s[6:7], 0
	s_cbranch_vccnz .LBB22_104
; %bb.13:
	buffer_load_dword v54, v53, s[0:3], 0 offen offset:4
	buffer_load_dword v3, v53, s[0:3], 0 offen
	s_waitcnt vmcnt(1)
	v_cmp_gt_f32_e32 vcc, 0, v54
	v_cndmask_b32_e64 v1, v54, -v54, vcc
	s_waitcnt vmcnt(0)
	v_cmp_gt_f32_e32 vcc, 0, v3
	v_cndmask_b32_e64 v2, v3, -v3, vcc
	v_cmp_ngt_f32_e32 vcc, v2, v1
                                        ; implicit-def: $vgpr1
                                        ; implicit-def: $vgpr2
	s_and_saveexec_b64 s[6:7], vcc
	s_xor_b64 s[6:7], exec, s[6:7]
                                        ; implicit-def: $vgpr4_vgpr5
	s_cbranch_execz .LBB22_15
; %bb.14:
	v_div_scale_f32 v1, s[12:13], v54, v54, v3
	v_rcp_f32_e32 v2, v1
	v_div_scale_f32 v4, vcc, v3, v54, v3
	v_fma_f32 v5, -v1, v2, 1.0
	v_fmac_f32_e32 v2, v5, v2
	v_mul_f32_e32 v5, v4, v2
	v_fma_f32 v55, -v1, v5, v4
	v_fmac_f32_e32 v5, v55, v2
	v_fma_f32 v1, -v1, v5, v4
	v_div_fmas_f32 v1, v1, v2, v5
	v_div_fixup_f32 v2, v1, v54, v3
	v_fmac_f32_e32 v54, v3, v2
	v_div_scale_f32 v1, s[12:13], v54, v54, -1.0
	v_rcp_f32_e32 v3, v1
	v_fma_f32 v4, -v1, v3, 1.0
	v_fmac_f32_e32 v3, v4, v3
	v_div_scale_f32 v4, vcc, -1.0, v54, -1.0
	v_mul_f32_e32 v5, v4, v3
	v_fma_f32 v55, -v1, v5, v4
	v_fmac_f32_e32 v5, v55, v3
	v_fma_f32 v1, -v1, v5, v4
	v_div_fmas_f32 v1, v1, v3, v5
	v_div_fixup_f32 v1, v1, v54, -1.0
	v_mul_f32_e32 v2, v2, v1
	v_xor_b32_e32 v4, 0x80000000, v2
                                        ; implicit-def: $vgpr3
                                        ; implicit-def: $vgpr54
.LBB22_15:
	s_andn2_saveexec_b64 s[6:7], s[6:7]
	s_cbranch_execz .LBB22_17
; %bb.16:
	v_div_scale_f32 v1, s[12:13], v3, v3, v54
	v_rcp_f32_e32 v2, v1
	v_div_scale_f32 v4, vcc, v54, v3, v54
	v_fma_f32 v5, -v1, v2, 1.0
	v_fmac_f32_e32 v2, v5, v2
	v_mul_f32_e32 v5, v4, v2
	v_fma_f32 v55, -v1, v5, v4
	v_fmac_f32_e32 v5, v55, v2
	v_fma_f32 v1, -v1, v5, v4
	v_div_fmas_f32 v1, v1, v2, v5
	v_div_fixup_f32 v1, v1, v3, v54
	v_fmac_f32_e32 v3, v54, v1
	v_div_scale_f32 v2, s[12:13], v3, v3, 1.0
	v_rcp_f32_e32 v4, v2
	v_fma_f32 v5, -v2, v4, 1.0
	v_fmac_f32_e32 v4, v5, v4
	v_div_scale_f32 v5, vcc, 1.0, v3, 1.0
	v_mul_f32_e32 v54, v5, v4
	v_fma_f32 v55, -v2, v54, v5
	v_fmac_f32_e32 v54, v55, v4
	v_fma_f32 v2, -v2, v54, v5
	v_div_fmas_f32 v2, v2, v4, v54
	v_div_fixup_f32 v4, v2, v3, 1.0
	v_xor_b32_e32 v2, 0x80000000, v4
	v_mul_f32_e64 v1, v1, -v4
.LBB22_17:
	s_or_b64 exec, exec, s[6:7]
	buffer_store_dword v1, v53, s[0:3], 0 offen offset:4
	buffer_store_dword v4, v53, s[0:3], 0 offen
	buffer_load_dword v5, off, s[0:3], 0 offset:12
	s_nop 0
	buffer_load_dword v4, off, s[0:3], 0 offset:8
	v_xor_b32_e32 v3, 0x80000000, v1
	v_add_u32_e32 v1, 0xc0, v52
	s_waitcnt vmcnt(0)
	ds_write2_b64 v52, v[2:3], v[4:5] offset1:24
	s_waitcnt lgkmcnt(0)
	; wave barrier
	s_waitcnt lgkmcnt(0)
	s_and_saveexec_b64 s[6:7], s[4:5]
	s_cbranch_execz .LBB22_19
; %bb.18:
	buffer_load_dword v54, v53, s[0:3], 0 offen offset:4
	buffer_load_dword v55, v53, s[0:3], 0 offen
	ds_read_b64 v[2:3], v1
	v_mov_b32_e32 v4, 0
	ds_read_b64 v[4:5], v4 offset:8
	s_waitcnt vmcnt(1) lgkmcnt(1)
	v_mul_f32_e32 v56, v3, v54
	v_mul_f32_e32 v54, v2, v54
	s_waitcnt vmcnt(0)
	v_fmac_f32_e32 v54, v3, v55
	v_fma_f32 v2, v2, v55, -v56
	v_add_f32_e32 v3, 0, v54
	v_add_f32_e32 v2, 0, v2
	s_waitcnt lgkmcnt(0)
	v_mul_f32_e32 v54, v3, v5
	v_mul_f32_e32 v5, v2, v5
	v_fma_f32 v2, v2, v4, -v54
	v_fmac_f32_e32 v5, v3, v4
	buffer_store_dword v2, off, s[0:3], 0 offset:8
	buffer_store_dword v5, off, s[0:3], 0 offset:12
.LBB22_19:
	s_or_b64 exec, exec, s[6:7]
	s_waitcnt lgkmcnt(0)
	; wave barrier
	buffer_load_dword v2, off, s[0:3], 0 offset:16
	buffer_load_dword v3, off, s[0:3], 0 offset:20
	v_cmp_gt_u32_e32 vcc, 2, v0
	s_waitcnt vmcnt(0)
	ds_write_b64 v1, v[2:3]
	s_waitcnt lgkmcnt(0)
	; wave barrier
	s_waitcnt lgkmcnt(0)
	s_and_saveexec_b64 s[6:7], vcc
	s_cbranch_execz .LBB22_23
; %bb.20:
	buffer_load_dword v4, v53, s[0:3], 0 offen offset:4
	buffer_load_dword v5, v53, s[0:3], 0 offen
	ds_read_b64 v[2:3], v1
	s_waitcnt vmcnt(1) lgkmcnt(0)
	v_mul_f32_e32 v53, v3, v4
	v_mul_f32_e32 v4, v2, v4
	s_waitcnt vmcnt(0)
	v_fma_f32 v2, v2, v5, -v53
	v_fmac_f32_e32 v4, v3, v5
	v_add_f32_e32 v3, 0, v2
	v_add_f32_e32 v2, 0, v4
	s_and_saveexec_b64 s[12:13], s[4:5]
	s_cbranch_execz .LBB22_22
; %bb.21:
	buffer_load_dword v53, off, s[0:3], 0 offset:12
	buffer_load_dword v54, off, s[0:3], 0 offset:8
	v_mov_b32_e32 v4, 0
	ds_read_b64 v[4:5], v4 offset:200
	s_waitcnt vmcnt(1) lgkmcnt(0)
	v_mul_f32_e32 v55, v4, v53
	v_mul_f32_e32 v53, v5, v53
	s_waitcnt vmcnt(0)
	v_fmac_f32_e32 v55, v5, v54
	v_fma_f32 v4, v4, v54, -v53
	v_add_f32_e32 v2, v2, v55
	v_add_f32_e32 v3, v3, v4
.LBB22_22:
	s_or_b64 exec, exec, s[12:13]
	v_mov_b32_e32 v4, 0
	ds_read_b64 v[4:5], v4 offset:16
	s_waitcnt lgkmcnt(0)
	v_mul_f32_e32 v53, v2, v5
	v_mul_f32_e32 v5, v3, v5
	v_fma_f32 v3, v3, v4, -v53
	v_fmac_f32_e32 v5, v2, v4
	buffer_store_dword v3, off, s[0:3], 0 offset:16
	buffer_store_dword v5, off, s[0:3], 0 offset:20
.LBB22_23:
	s_or_b64 exec, exec, s[6:7]
	s_waitcnt lgkmcnt(0)
	; wave barrier
	buffer_load_dword v2, off, s[0:3], 0 offset:24
	buffer_load_dword v3, off, s[0:3], 0 offset:28
	v_cmp_gt_u32_e32 vcc, 3, v0
	s_waitcnt vmcnt(0)
	ds_write_b64 v1, v[2:3]
	v_add_u32_e32 v2, -1, v0
	s_waitcnt lgkmcnt(0)
	; wave barrier
	s_waitcnt lgkmcnt(0)
	s_and_saveexec_b64 s[4:5], vcc
	s_cbranch_execz .LBB22_27
; %bb.24:
	v_add_u32_e32 v4, -1, v0
	v_add_u32_e32 v5, 0xc0, v52
	v_add_u32_e32 v53, 0, v52
	s_mov_b64 s[6:7], 0
	v_mov_b32_e32 v3, 0
	v_mov_b32_e32 v54, 0
.LBB22_25:                              ; =>This Inner Loop Header: Depth=1
	buffer_load_dword v55, v53, s[0:3], 0 offen offset:4
	buffer_load_dword v58, v53, s[0:3], 0 offen
	ds_read_b64 v[56:57], v5
	v_add_u32_e32 v4, 1, v4
	v_cmp_lt_u32_e32 vcc, 1, v4
	v_add_u32_e32 v5, 8, v5
	v_add_u32_e32 v53, 8, v53
	s_or_b64 s[6:7], vcc, s[6:7]
	s_waitcnt vmcnt(1) lgkmcnt(0)
	v_mul_f32_e32 v59, v57, v55
	v_mul_f32_e32 v55, v56, v55
	s_waitcnt vmcnt(0)
	v_fma_f32 v56, v56, v58, -v59
	v_fmac_f32_e32 v55, v57, v58
	v_add_f32_e32 v54, v54, v56
	v_add_f32_e32 v3, v3, v55
	s_andn2_b64 exec, exec, s[6:7]
	s_cbranch_execnz .LBB22_25
; %bb.26:
	s_or_b64 exec, exec, s[6:7]
	v_mov_b32_e32 v4, 0
	ds_read_b64 v[4:5], v4 offset:24
	s_waitcnt lgkmcnt(0)
	v_mul_f32_e32 v53, v3, v5
	v_mul_f32_e32 v5, v54, v5
	v_fma_f32 v53, v54, v4, -v53
	v_fmac_f32_e32 v5, v3, v4
	buffer_store_dword v53, off, s[0:3], 0 offset:24
	buffer_store_dword v5, off, s[0:3], 0 offset:28
.LBB22_27:
	s_or_b64 exec, exec, s[4:5]
	s_waitcnt lgkmcnt(0)
	; wave barrier
	buffer_load_dword v4, off, s[0:3], 0 offset:32
	buffer_load_dword v5, off, s[0:3], 0 offset:36
	v_cmp_gt_u32_e32 vcc, 4, v0
	s_waitcnt vmcnt(0)
	ds_write_b64 v1, v[4:5]
	s_waitcnt lgkmcnt(0)
	; wave barrier
	s_waitcnt lgkmcnt(0)
	s_and_saveexec_b64 s[4:5], vcc
	s_cbranch_execz .LBB22_31
; %bb.28:
	v_add_u32_e32 v4, -1, v0
	v_add_u32_e32 v5, 0xc0, v52
	v_add_u32_e32 v53, 0, v52
	s_mov_b64 s[6:7], 0
	v_mov_b32_e32 v3, 0
	v_mov_b32_e32 v54, 0
.LBB22_29:                              ; =>This Inner Loop Header: Depth=1
	buffer_load_dword v55, v53, s[0:3], 0 offen offset:4
	buffer_load_dword v58, v53, s[0:3], 0 offen
	ds_read_b64 v[56:57], v5
	v_add_u32_e32 v4, 1, v4
	v_cmp_lt_u32_e32 vcc, 2, v4
	v_add_u32_e32 v5, 8, v5
	v_add_u32_e32 v53, 8, v53
	s_or_b64 s[6:7], vcc, s[6:7]
	s_waitcnt vmcnt(1) lgkmcnt(0)
	v_mul_f32_e32 v59, v57, v55
	v_mul_f32_e32 v55, v56, v55
	s_waitcnt vmcnt(0)
	v_fma_f32 v56, v56, v58, -v59
	v_fmac_f32_e32 v55, v57, v58
	v_add_f32_e32 v54, v54, v56
	v_add_f32_e32 v3, v3, v55
	s_andn2_b64 exec, exec, s[6:7]
	s_cbranch_execnz .LBB22_29
; %bb.30:
	s_or_b64 exec, exec, s[6:7]
	v_mov_b32_e32 v4, 0
	ds_read_b64 v[4:5], v4 offset:32
	s_waitcnt lgkmcnt(0)
	v_mul_f32_e32 v53, v3, v5
	v_mul_f32_e32 v5, v54, v5
	v_fma_f32 v53, v54, v4, -v53
	v_fmac_f32_e32 v5, v3, v4
	buffer_store_dword v53, off, s[0:3], 0 offset:32
	buffer_store_dword v5, off, s[0:3], 0 offset:36
.LBB22_31:
	s_or_b64 exec, exec, s[4:5]
	s_waitcnt lgkmcnt(0)
	; wave barrier
	buffer_load_dword v4, off, s[0:3], 0 offset:40
	buffer_load_dword v5, off, s[0:3], 0 offset:44
	v_cmp_gt_u32_e32 vcc, 5, v0
	s_waitcnt vmcnt(0)
	ds_write_b64 v1, v[4:5]
	;; [unrolled: 51-line block ×18, first 2 shown]
	s_waitcnt lgkmcnt(0)
	; wave barrier
	s_waitcnt lgkmcnt(0)
	s_and_saveexec_b64 s[4:5], vcc
	s_cbranch_execz .LBB22_99
; %bb.96:
	v_add_u32_e32 v4, -1, v0
	v_add_u32_e32 v5, 0xc0, v52
	v_add_u32_e32 v53, 0, v52
	s_mov_b64 s[6:7], 0
	v_mov_b32_e32 v3, 0
	v_mov_b32_e32 v54, 0
.LBB22_97:                              ; =>This Inner Loop Header: Depth=1
	buffer_load_dword v55, v53, s[0:3], 0 offen offset:4
	buffer_load_dword v58, v53, s[0:3], 0 offen
	ds_read_b64 v[56:57], v5
	v_add_u32_e32 v4, 1, v4
	v_cmp_lt_u32_e32 vcc, 19, v4
	v_add_u32_e32 v5, 8, v5
	v_add_u32_e32 v53, 8, v53
	s_or_b64 s[6:7], vcc, s[6:7]
	s_waitcnt vmcnt(1) lgkmcnt(0)
	v_mul_f32_e32 v59, v57, v55
	v_mul_f32_e32 v55, v56, v55
	s_waitcnt vmcnt(0)
	v_fma_f32 v56, v56, v58, -v59
	v_fmac_f32_e32 v55, v57, v58
	v_add_f32_e32 v54, v54, v56
	v_add_f32_e32 v3, v3, v55
	s_andn2_b64 exec, exec, s[6:7]
	s_cbranch_execnz .LBB22_97
; %bb.98:
	s_or_b64 exec, exec, s[6:7]
	v_mov_b32_e32 v4, 0
	ds_read_b64 v[4:5], v4 offset:168
	s_waitcnt lgkmcnt(0)
	v_mul_f32_e32 v53, v3, v5
	v_mul_f32_e32 v5, v54, v5
	v_fma_f32 v53, v54, v4, -v53
	v_fmac_f32_e32 v5, v3, v4
	buffer_store_dword v53, off, s[0:3], 0 offset:168
	buffer_store_dword v5, off, s[0:3], 0 offset:172
.LBB22_99:
	s_or_b64 exec, exec, s[4:5]
	s_waitcnt lgkmcnt(0)
	; wave barrier
	buffer_load_dword v4, off, s[0:3], 0 offset:176
	buffer_load_dword v5, off, s[0:3], 0 offset:180
	v_cmp_ne_u32_e32 vcc, 22, v0
	s_waitcnt vmcnt(0)
	ds_write_b64 v1, v[4:5]
	s_waitcnt lgkmcnt(0)
	; wave barrier
	s_waitcnt lgkmcnt(0)
	s_and_saveexec_b64 s[4:5], vcc
	s_cbranch_execz .LBB22_103
; %bb.100:
	v_add_u32_e32 v3, 0xc0, v52
	v_add_u32_e32 v4, 0, v52
	s_mov_b64 s[6:7], 0
	v_mov_b32_e32 v1, 0
	v_mov_b32_e32 v5, 0
.LBB22_101:                             ; =>This Inner Loop Header: Depth=1
	buffer_load_dword v54, v4, s[0:3], 0 offen offset:4
	buffer_load_dword v55, v4, s[0:3], 0 offen
	ds_read_b64 v[52:53], v3
	v_add_u32_e32 v2, 1, v2
	v_cmp_lt_u32_e32 vcc, 20, v2
	v_add_u32_e32 v3, 8, v3
	v_add_u32_e32 v4, 8, v4
	s_or_b64 s[6:7], vcc, s[6:7]
	s_waitcnt vmcnt(1) lgkmcnt(0)
	v_mul_f32_e32 v56, v53, v54
	v_mul_f32_e32 v54, v52, v54
	s_waitcnt vmcnt(0)
	v_fma_f32 v52, v52, v55, -v56
	v_fmac_f32_e32 v54, v53, v55
	v_add_f32_e32 v5, v5, v52
	v_add_f32_e32 v1, v1, v54
	s_andn2_b64 exec, exec, s[6:7]
	s_cbranch_execnz .LBB22_101
; %bb.102:
	s_or_b64 exec, exec, s[6:7]
	v_mov_b32_e32 v2, 0
	ds_read_b64 v[2:3], v2 offset:176
	s_waitcnt lgkmcnt(0)
	v_mul_f32_e32 v4, v1, v3
	v_mul_f32_e32 v3, v5, v3
	v_fma_f32 v4, v5, v2, -v4
	v_fmac_f32_e32 v3, v1, v2
	buffer_store_dword v4, off, s[0:3], 0 offset:176
	buffer_store_dword v3, off, s[0:3], 0 offset:180
.LBB22_103:
	s_or_b64 exec, exec, s[4:5]
	s_mov_b64 s[6:7], -1
	s_waitcnt lgkmcnt(0)
	; wave barrier
.LBB22_104:
	s_and_b64 vcc, exec, s[6:7]
	s_cbranch_vccz .LBB22_106
; %bb.105:
	s_lshl_b64 s[4:5], s[8:9], 2
	s_add_u32 s4, s14, s4
	s_addc_u32 s5, s15, s5
	v_mov_b32_e32 v1, 0
	global_load_dword v1, v1, s[4:5]
	s_waitcnt vmcnt(0)
	v_cmp_ne_u32_e32 vcc, 0, v1
	s_cbranch_vccz .LBB22_107
.LBB22_106:
	s_endpgm
.LBB22_107:
	v_mov_b32_e32 v1, 0xc0
	v_lshl_add_u32 v1, v0, 3, v1
	v_cmp_eq_u32_e32 vcc, 22, v0
	s_and_saveexec_b64 s[4:5], vcc
	s_cbranch_execz .LBB22_109
; %bb.108:
	buffer_load_dword v2, off, s[0:3], 0 offset:168
	buffer_load_dword v3, off, s[0:3], 0 offset:172
	v_mov_b32_e32 v4, 0
	buffer_store_dword v4, off, s[0:3], 0 offset:168
	buffer_store_dword v4, off, s[0:3], 0 offset:172
	s_waitcnt vmcnt(2)
	ds_write_b64 v1, v[2:3]
.LBB22_109:
	s_or_b64 exec, exec, s[4:5]
	s_waitcnt lgkmcnt(0)
	; wave barrier
	s_waitcnt lgkmcnt(0)
	buffer_load_dword v5, off, s[0:3], 0 offset:180
	buffer_load_dword v4, off, s[0:3], 0 offset:176
	;; [unrolled: 1-line block ×4, first 2 shown]
	v_mov_b32_e32 v2, 0
	ds_read_b64 v[54:55], v2 offset:368
	v_cmp_lt_u32_e32 vcc, 20, v0
	s_waitcnt vmcnt(3)
	v_mov_b32_e32 v56, v5
	s_waitcnt lgkmcnt(0)
	v_pk_mul_f32 v[56:57], v[54:55], v[56:57] op_sel_hi:[1,0]
	s_waitcnt vmcnt(2)
	v_pk_fma_f32 v[58:59], v[54:55], v[4:5], v[56:57] op_sel:[0,0,1] op_sel_hi:[1,1,0] neg_lo:[0,0,1] neg_hi:[0,0,1]
	v_pk_fma_f32 v[4:5], v[54:55], v[4:5], v[56:57] op_sel:[0,0,1] op_sel_hi:[1,0,0]
	v_mov_b32_e32 v59, v5
	v_pk_add_f32 v[4:5], v[58:59], 0 op_sel_hi:[1,0]
	s_waitcnt vmcnt(0)
	v_pk_add_f32 v[4:5], v[52:53], v[4:5] neg_lo:[0,1] neg_hi:[0,1]
	buffer_store_dword v4, off, s[0:3], 0 offset:168
	buffer_store_dword v5, off, s[0:3], 0 offset:172
	s_and_saveexec_b64 s[4:5], vcc
	s_cbranch_execz .LBB22_111
; %bb.110:
	buffer_load_dword v4, off, s[0:3], 0 offset:160
	buffer_load_dword v5, off, s[0:3], 0 offset:164
	s_waitcnt vmcnt(0)
	ds_write_b64 v1, v[4:5]
	buffer_store_dword v2, off, s[0:3], 0 offset:160
	buffer_store_dword v2, off, s[0:3], 0 offset:164
.LBB22_111:
	s_or_b64 exec, exec, s[4:5]
	s_waitcnt lgkmcnt(0)
	; wave barrier
	s_waitcnt lgkmcnt(0)
	buffer_load_dword v53, off, s[0:3], 0 offset:172
	buffer_load_dword v55, off, s[0:3], 0 offset:180
	;; [unrolled: 1-line block ×6, first 2 shown]
	ds_read2_b64 v[2:5], v2 offset0:45 offset1:46
	v_cmp_lt_u32_e32 vcc, 19, v0
	s_waitcnt vmcnt(5)
	v_mov_b32_e32 v58, v53
	s_waitcnt vmcnt(4)
	v_mov_b32_e32 v60, v55
	s_waitcnt lgkmcnt(0)
	v_pk_mul_f32 v[58:59], v[2:3], v[58:59] op_sel_hi:[1,0]
	v_pk_mul_f32 v[60:61], v[4:5], v[60:61] op_sel_hi:[1,0]
	s_waitcnt vmcnt(3)
	v_pk_fma_f32 v[62:63], v[2:3], v[52:53], v[58:59] op_sel:[0,0,1] op_sel_hi:[1,1,0] neg_lo:[0,0,1] neg_hi:[0,0,1]
	v_pk_fma_f32 v[2:3], v[2:3], v[52:53], v[58:59] op_sel:[0,0,1] op_sel_hi:[1,0,0]
	s_waitcnt vmcnt(2)
	v_pk_fma_f32 v[52:53], v[4:5], v[54:55], v[60:61] op_sel:[0,0,1] op_sel_hi:[1,1,0] neg_lo:[0,0,1] neg_hi:[0,0,1]
	v_pk_fma_f32 v[4:5], v[4:5], v[54:55], v[60:61] op_sel:[0,0,1] op_sel_hi:[1,0,0]
	v_mov_b32_e32 v63, v3
	v_mov_b32_e32 v53, v5
	v_pk_add_f32 v[2:3], v[62:63], 0 op_sel_hi:[1,0]
	v_pk_add_f32 v[2:3], v[2:3], v[52:53]
	s_waitcnt vmcnt(0)
	v_pk_add_f32 v[2:3], v[56:57], v[2:3] neg_lo:[0,1] neg_hi:[0,1]
	buffer_store_dword v2, off, s[0:3], 0 offset:160
	buffer_store_dword v3, off, s[0:3], 0 offset:164
	s_and_saveexec_b64 s[4:5], vcc
	s_cbranch_execz .LBB22_113
; %bb.112:
	buffer_load_dword v2, off, s[0:3], 0 offset:152
	buffer_load_dword v3, off, s[0:3], 0 offset:156
	v_mov_b32_e32 v4, 0
	buffer_store_dword v4, off, s[0:3], 0 offset:152
	buffer_store_dword v4, off, s[0:3], 0 offset:156
	s_waitcnt vmcnt(2)
	ds_write_b64 v1, v[2:3]
.LBB22_113:
	s_or_b64 exec, exec, s[4:5]
	s_waitcnt lgkmcnt(0)
	; wave barrier
	s_waitcnt lgkmcnt(0)
	buffer_load_dword v5, off, s[0:3], 0 offset:164
	buffer_load_dword v57, off, s[0:3], 0 offset:172
	;; [unrolled: 1-line block ×8, first 2 shown]
	v_mov_b32_e32 v2, 0
	ds_read_b128 v[52:55], v2 offset:352
	ds_read_b64 v[62:63], v2 offset:368
	v_cmp_lt_u32_e32 vcc, 18, v0
	s_waitcnt vmcnt(7)
	v_mov_b32_e32 v64, v5
	s_waitcnt vmcnt(6)
	v_mov_b32_e32 v66, v57
	s_waitcnt lgkmcnt(1)
	v_pk_mul_f32 v[64:65], v[52:53], v[64:65] op_sel_hi:[1,0]
	s_waitcnt vmcnt(5)
	v_mov_b32_e32 v68, v59
	v_pk_mul_f32 v[66:67], v[54:55], v[66:67] op_sel_hi:[1,0]
	s_waitcnt vmcnt(4)
	v_pk_fma_f32 v[70:71], v[52:53], v[4:5], v[64:65] op_sel:[0,0,1] op_sel_hi:[1,1,0] neg_lo:[0,0,1] neg_hi:[0,0,1]
	v_pk_fma_f32 v[4:5], v[52:53], v[4:5], v[64:65] op_sel:[0,0,1] op_sel_hi:[1,0,0]
	s_waitcnt lgkmcnt(0)
	v_pk_mul_f32 v[68:69], v[62:63], v[68:69] op_sel_hi:[1,0]
	s_waitcnt vmcnt(3)
	v_pk_fma_f32 v[52:53], v[54:55], v[56:57], v[66:67] op_sel:[0,0,1] op_sel_hi:[1,1,0] neg_lo:[0,0,1] neg_hi:[0,0,1]
	v_pk_fma_f32 v[54:55], v[54:55], v[56:57], v[66:67] op_sel:[0,0,1] op_sel_hi:[1,0,0]
	v_mov_b32_e32 v71, v5
	s_waitcnt vmcnt(2)
	v_pk_fma_f32 v[56:57], v[62:63], v[58:59], v[68:69] op_sel:[0,0,1] op_sel_hi:[1,1,0] neg_lo:[0,0,1] neg_hi:[0,0,1]
	v_pk_fma_f32 v[58:59], v[62:63], v[58:59], v[68:69] op_sel:[0,0,1] op_sel_hi:[1,0,0]
	v_mov_b32_e32 v53, v55
	v_pk_add_f32 v[4:5], v[70:71], 0 op_sel_hi:[1,0]
	v_mov_b32_e32 v57, v59
	v_pk_add_f32 v[4:5], v[4:5], v[52:53]
	v_pk_add_f32 v[4:5], v[4:5], v[56:57]
	s_waitcnt vmcnt(0)
	v_pk_add_f32 v[4:5], v[60:61], v[4:5] neg_lo:[0,1] neg_hi:[0,1]
	buffer_store_dword v4, off, s[0:3], 0 offset:152
	buffer_store_dword v5, off, s[0:3], 0 offset:156
	s_and_saveexec_b64 s[4:5], vcc
	s_cbranch_execz .LBB22_115
; %bb.114:
	buffer_load_dword v4, off, s[0:3], 0 offset:144
	buffer_load_dword v5, off, s[0:3], 0 offset:148
	s_waitcnt vmcnt(0)
	ds_write_b64 v1, v[4:5]
	buffer_store_dword v2, off, s[0:3], 0 offset:144
	buffer_store_dword v2, off, s[0:3], 0 offset:148
.LBB22_115:
	s_or_b64 exec, exec, s[4:5]
	s_waitcnt lgkmcnt(0)
	; wave barrier
	s_waitcnt lgkmcnt(0)
	buffer_load_dword v57, off, s[0:3], 0 offset:156
	buffer_load_dword v59, off, s[0:3], 0 offset:164
	;; [unrolled: 1-line block ×10, first 2 shown]
	ds_read2_b64 v[52:55], v2 offset0:43 offset1:44
	ds_read2_b64 v[2:5], v2 offset0:45 offset1:46
	v_cmp_lt_u32_e32 vcc, 17, v0
	s_waitcnt vmcnt(9)
	v_mov_b32_e32 v66, v57
	s_waitcnt vmcnt(8)
	v_mov_b32_e32 v68, v59
	;; [unrolled: 2-line block ×3, first 2 shown]
	s_waitcnt lgkmcnt(1)
	v_pk_mul_f32 v[66:67], v[52:53], v[66:67] op_sel_hi:[1,0]
	v_pk_mul_f32 v[68:69], v[54:55], v[68:69] op_sel_hi:[1,0]
	s_waitcnt lgkmcnt(0)
	v_pk_mul_f32 v[70:71], v[2:3], v[70:71] op_sel_hi:[1,0]
	s_waitcnt vmcnt(5)
	v_pk_fma_f32 v[74:75], v[52:53], v[56:57], v[66:67] op_sel:[0,0,1] op_sel_hi:[1,1,0] neg_lo:[0,0,1] neg_hi:[0,0,1]
	v_pk_fma_f32 v[52:53], v[52:53], v[56:57], v[66:67] op_sel:[0,0,1] op_sel_hi:[1,0,0]
	v_mov_b32_e32 v72, v63
	s_waitcnt vmcnt(4)
	v_pk_fma_f32 v[56:57], v[54:55], v[58:59], v[68:69] op_sel:[0,0,1] op_sel_hi:[1,1,0] neg_lo:[0,0,1] neg_hi:[0,0,1]
	v_pk_fma_f32 v[54:55], v[54:55], v[58:59], v[68:69] op_sel:[0,0,1] op_sel_hi:[1,0,0]
	s_waitcnt vmcnt(3)
	v_pk_fma_f32 v[58:59], v[2:3], v[60:61], v[70:71] op_sel:[0,0,1] op_sel_hi:[1,1,0] neg_lo:[0,0,1] neg_hi:[0,0,1]
	v_pk_fma_f32 v[2:3], v[2:3], v[60:61], v[70:71] op_sel:[0,0,1] op_sel_hi:[1,0,0]
	v_mov_b32_e32 v75, v53
	v_pk_mul_f32 v[72:73], v[4:5], v[72:73] op_sel_hi:[1,0]
	v_mov_b32_e32 v57, v55
	v_mov_b32_e32 v59, v3
	v_pk_add_f32 v[2:3], v[74:75], 0 op_sel_hi:[1,0]
	s_waitcnt vmcnt(2)
	v_pk_fma_f32 v[60:61], v[4:5], v[62:63], v[72:73] op_sel:[0,0,1] op_sel_hi:[1,1,0] neg_lo:[0,0,1] neg_hi:[0,0,1]
	v_pk_fma_f32 v[4:5], v[4:5], v[62:63], v[72:73] op_sel:[0,0,1] op_sel_hi:[1,0,0]
	v_pk_add_f32 v[2:3], v[2:3], v[56:57]
	v_mov_b32_e32 v61, v5
	v_pk_add_f32 v[2:3], v[2:3], v[58:59]
	v_pk_add_f32 v[2:3], v[2:3], v[60:61]
	s_waitcnt vmcnt(0)
	v_pk_add_f32 v[2:3], v[64:65], v[2:3] neg_lo:[0,1] neg_hi:[0,1]
	buffer_store_dword v2, off, s[0:3], 0 offset:144
	buffer_store_dword v3, off, s[0:3], 0 offset:148
	s_and_saveexec_b64 s[4:5], vcc
	s_cbranch_execz .LBB22_117
; %bb.116:
	buffer_load_dword v2, off, s[0:3], 0 offset:136
	buffer_load_dword v3, off, s[0:3], 0 offset:140
	v_mov_b32_e32 v4, 0
	buffer_store_dword v4, off, s[0:3], 0 offset:136
	buffer_store_dword v4, off, s[0:3], 0 offset:140
	s_waitcnt vmcnt(2)
	ds_write_b64 v1, v[2:3]
.LBB22_117:
	s_or_b64 exec, exec, s[4:5]
	s_waitcnt lgkmcnt(0)
	; wave barrier
	s_waitcnt lgkmcnt(0)
	buffer_load_dword v5, off, s[0:3], 0 offset:148
	buffer_load_dword v61, off, s[0:3], 0 offset:156
	;; [unrolled: 1-line block ×12, first 2 shown]
	v_mov_b32_e32 v2, 0
	ds_read_b128 v[52:55], v2 offset:336
	ds_read_b128 v[56:59], v2 offset:352
	ds_read_b64 v[70:71], v2 offset:368
	v_cmp_lt_u32_e32 vcc, 16, v0
	s_waitcnt vmcnt(11)
	v_mov_b32_e32 v72, v5
	s_waitcnt vmcnt(10)
	v_mov_b32_e32 v74, v61
	s_waitcnt lgkmcnt(2)
	v_pk_mul_f32 v[72:73], v[52:53], v[72:73] op_sel_hi:[1,0]
	s_waitcnt vmcnt(9)
	v_mov_b32_e32 v76, v63
	v_pk_mul_f32 v[74:75], v[54:55], v[74:75] op_sel_hi:[1,0]
	s_waitcnt vmcnt(6)
	v_pk_fma_f32 v[82:83], v[52:53], v[4:5], v[72:73] op_sel:[0,0,1] op_sel_hi:[1,1,0] neg_lo:[0,0,1] neg_hi:[0,0,1]
	v_pk_fma_f32 v[4:5], v[52:53], v[4:5], v[72:73] op_sel:[0,0,1] op_sel_hi:[1,0,0]
	v_mov_b32_e32 v78, v65
	s_waitcnt lgkmcnt(1)
	v_pk_mul_f32 v[76:77], v[56:57], v[76:77] op_sel_hi:[1,0]
	s_waitcnt vmcnt(5)
	v_pk_fma_f32 v[52:53], v[54:55], v[60:61], v[74:75] op_sel:[0,0,1] op_sel_hi:[1,1,0] neg_lo:[0,0,1] neg_hi:[0,0,1]
	v_pk_fma_f32 v[54:55], v[54:55], v[60:61], v[74:75] op_sel:[0,0,1] op_sel_hi:[1,0,0]
	v_mov_b32_e32 v83, v5
	v_mov_b32_e32 v80, v67
	v_pk_mul_f32 v[78:79], v[58:59], v[78:79] op_sel_hi:[1,0]
	s_waitcnt vmcnt(4)
	v_pk_fma_f32 v[60:61], v[56:57], v[62:63], v[76:77] op_sel:[0,0,1] op_sel_hi:[1,1,0] neg_lo:[0,0,1] neg_hi:[0,0,1]
	v_pk_fma_f32 v[56:57], v[56:57], v[62:63], v[76:77] op_sel:[0,0,1] op_sel_hi:[1,0,0]
	v_mov_b32_e32 v53, v55
	v_pk_add_f32 v[4:5], v[82:83], 0 op_sel_hi:[1,0]
	s_waitcnt lgkmcnt(0)
	v_pk_mul_f32 v[80:81], v[70:71], v[80:81] op_sel_hi:[1,0]
	s_waitcnt vmcnt(3)
	v_pk_fma_f32 v[62:63], v[58:59], v[64:65], v[78:79] op_sel:[0,0,1] op_sel_hi:[1,1,0] neg_lo:[0,0,1] neg_hi:[0,0,1]
	v_pk_fma_f32 v[58:59], v[58:59], v[64:65], v[78:79] op_sel:[0,0,1] op_sel_hi:[1,0,0]
	v_mov_b32_e32 v61, v57
	v_pk_add_f32 v[4:5], v[4:5], v[52:53]
	s_waitcnt vmcnt(2)
	v_pk_fma_f32 v[64:65], v[70:71], v[66:67], v[80:81] op_sel:[0,0,1] op_sel_hi:[1,1,0] neg_lo:[0,0,1] neg_hi:[0,0,1]
	v_pk_fma_f32 v[66:67], v[70:71], v[66:67], v[80:81] op_sel:[0,0,1] op_sel_hi:[1,0,0]
	v_mov_b32_e32 v63, v59
	v_pk_add_f32 v[4:5], v[4:5], v[60:61]
	v_mov_b32_e32 v65, v67
	v_pk_add_f32 v[4:5], v[4:5], v[62:63]
	v_pk_add_f32 v[4:5], v[4:5], v[64:65]
	s_waitcnt vmcnt(0)
	v_pk_add_f32 v[4:5], v[68:69], v[4:5] neg_lo:[0,1] neg_hi:[0,1]
	buffer_store_dword v4, off, s[0:3], 0 offset:136
	buffer_store_dword v5, off, s[0:3], 0 offset:140
	s_and_saveexec_b64 s[4:5], vcc
	s_cbranch_execz .LBB22_119
; %bb.118:
	buffer_load_dword v4, off, s[0:3], 0 offset:128
	buffer_load_dword v5, off, s[0:3], 0 offset:132
	s_waitcnt vmcnt(0)
	ds_write_b64 v1, v[4:5]
	buffer_store_dword v2, off, s[0:3], 0 offset:128
	buffer_store_dword v2, off, s[0:3], 0 offset:132
.LBB22_119:
	s_or_b64 exec, exec, s[4:5]
	s_waitcnt lgkmcnt(0)
	; wave barrier
	s_waitcnt lgkmcnt(0)
	buffer_load_dword v61, off, s[0:3], 0 offset:140
	buffer_load_dword v63, off, s[0:3], 0 offset:148
	;; [unrolled: 1-line block ×14, first 2 shown]
	ds_read2_b64 v[52:55], v2 offset0:41 offset1:42
	ds_read2_b64 v[56:59], v2 offset0:43 offset1:44
	;; [unrolled: 1-line block ×3, first 2 shown]
	v_cmp_lt_u32_e32 vcc, 15, v0
	s_waitcnt vmcnt(13)
	v_mov_b32_e32 v74, v61
	s_waitcnt vmcnt(12)
	v_mov_b32_e32 v76, v63
	;; [unrolled: 2-line block ×5, first 2 shown]
	s_waitcnt lgkmcnt(2)
	v_pk_mul_f32 v[74:75], v[52:53], v[74:75] op_sel_hi:[1,0]
	v_pk_mul_f32 v[76:77], v[54:55], v[76:77] op_sel_hi:[1,0]
	s_waitcnt lgkmcnt(1)
	v_pk_mul_f32 v[78:79], v[56:57], v[78:79] op_sel_hi:[1,0]
	v_pk_mul_f32 v[80:81], v[58:59], v[80:81] op_sel_hi:[1,0]
	s_waitcnt lgkmcnt(0)
	v_pk_mul_f32 v[82:83], v[2:3], v[82:83] op_sel_hi:[1,0]
	s_waitcnt vmcnt(7)
	v_pk_fma_f32 v[86:87], v[52:53], v[60:61], v[74:75] op_sel:[0,0,1] op_sel_hi:[1,1,0] neg_lo:[0,0,1] neg_hi:[0,0,1]
	v_pk_fma_f32 v[52:53], v[52:53], v[60:61], v[74:75] op_sel:[0,0,1] op_sel_hi:[1,0,0]
	s_waitcnt vmcnt(6)
	v_pk_fma_f32 v[60:61], v[54:55], v[62:63], v[76:77] op_sel:[0,0,1] op_sel_hi:[1,1,0] neg_lo:[0,0,1] neg_hi:[0,0,1]
	v_pk_fma_f32 v[54:55], v[54:55], v[62:63], v[76:77] op_sel:[0,0,1] op_sel_hi:[1,0,0]
	;; [unrolled: 3-line block ×5, first 2 shown]
	v_mov_b32_e32 v87, v53
	v_mov_b32_e32 v61, v55
	;; [unrolled: 1-line block ×3, first 2 shown]
	v_pk_add_f32 v[2:3], v[86:87], 0 op_sel_hi:[1,0]
	v_mov_b32_e32 v84, v71
	v_mov_b32_e32 v63, v57
	v_pk_add_f32 v[2:3], v[2:3], v[60:61]
	v_pk_mul_f32 v[84:85], v[4:5], v[84:85] op_sel_hi:[1,0]
	v_mov_b32_e32 v65, v59
	v_pk_add_f32 v[2:3], v[2:3], v[62:63]
	s_waitcnt vmcnt(2)
	v_pk_fma_f32 v[68:69], v[4:5], v[70:71], v[84:85] op_sel:[0,0,1] op_sel_hi:[1,1,0] neg_lo:[0,0,1] neg_hi:[0,0,1]
	v_pk_fma_f32 v[4:5], v[4:5], v[70:71], v[84:85] op_sel:[0,0,1] op_sel_hi:[1,0,0]
	v_pk_add_f32 v[2:3], v[2:3], v[64:65]
	v_mov_b32_e32 v69, v5
	v_pk_add_f32 v[2:3], v[2:3], v[66:67]
	v_pk_add_f32 v[2:3], v[2:3], v[68:69]
	s_waitcnt vmcnt(0)
	v_pk_add_f32 v[2:3], v[72:73], v[2:3] neg_lo:[0,1] neg_hi:[0,1]
	buffer_store_dword v2, off, s[0:3], 0 offset:128
	buffer_store_dword v3, off, s[0:3], 0 offset:132
	s_and_saveexec_b64 s[4:5], vcc
	s_cbranch_execz .LBB22_121
; %bb.120:
	buffer_load_dword v2, off, s[0:3], 0 offset:120
	buffer_load_dword v3, off, s[0:3], 0 offset:124
	v_mov_b32_e32 v4, 0
	buffer_store_dword v4, off, s[0:3], 0 offset:120
	buffer_store_dword v4, off, s[0:3], 0 offset:124
	s_waitcnt vmcnt(2)
	ds_write_b64 v1, v[2:3]
.LBB22_121:
	s_or_b64 exec, exec, s[4:5]
	s_waitcnt lgkmcnt(0)
	; wave barrier
	s_waitcnt lgkmcnt(0)
	buffer_load_dword v5, off, s[0:3], 0 offset:132
	buffer_load_dword v65, off, s[0:3], 0 offset:140
	;; [unrolled: 1-line block ×16, first 2 shown]
	v_mov_b32_e32 v2, 0
	ds_read_b128 v[52:55], v2 offset:320
	ds_read_b128 v[56:59], v2 offset:336
	ds_read_b128 v[60:63], v2 offset:352
	ds_read_b64 v[78:79], v2 offset:368
	v_cmp_lt_u32_e32 vcc, 14, v0
	s_waitcnt vmcnt(15)
	v_mov_b32_e32 v80, v5
	s_waitcnt vmcnt(14)
	v_mov_b32_e32 v82, v65
	s_waitcnt lgkmcnt(3)
	v_pk_mul_f32 v[80:81], v[52:53], v[80:81] op_sel_hi:[1,0]
	s_waitcnt vmcnt(13)
	v_mov_b32_e32 v84, v67
	v_pk_mul_f32 v[82:83], v[54:55], v[82:83] op_sel_hi:[1,0]
	s_waitcnt vmcnt(12)
	v_mov_b32_e32 v86, v69
	s_waitcnt lgkmcnt(2)
	v_pk_mul_f32 v[84:85], v[56:57], v[84:85] op_sel_hi:[1,0]
	s_waitcnt vmcnt(8)
	v_pk_fma_f32 v[94:95], v[52:53], v[4:5], v[80:81] op_sel:[0,0,1] op_sel_hi:[1,1,0] neg_lo:[0,0,1] neg_hi:[0,0,1]
	v_pk_fma_f32 v[4:5], v[52:53], v[4:5], v[80:81] op_sel:[0,0,1] op_sel_hi:[1,0,0]
	s_waitcnt vmcnt(7)
	v_pk_fma_f32 v[52:53], v[54:55], v[64:65], v[82:83] op_sel:[0,0,1] op_sel_hi:[1,1,0] neg_lo:[0,0,1] neg_hi:[0,0,1]
	v_pk_fma_f32 v[54:55], v[54:55], v[64:65], v[82:83] op_sel:[0,0,1] op_sel_hi:[1,0,0]
	v_mov_b32_e32 v95, v5
	v_mov_b32_e32 v88, v71
	v_pk_mul_f32 v[86:87], v[58:59], v[86:87] op_sel_hi:[1,0]
	s_waitcnt vmcnt(6)
	v_pk_fma_f32 v[64:65], v[56:57], v[66:67], v[84:85] op_sel:[0,0,1] op_sel_hi:[1,1,0] neg_lo:[0,0,1] neg_hi:[0,0,1]
	v_pk_fma_f32 v[56:57], v[56:57], v[66:67], v[84:85] op_sel:[0,0,1] op_sel_hi:[1,0,0]
	v_mov_b32_e32 v53, v55
	v_pk_add_f32 v[4:5], v[94:95], 0 op_sel_hi:[1,0]
	v_mov_b32_e32 v90, v73
	s_waitcnt lgkmcnt(1)
	v_pk_mul_f32 v[88:89], v[60:61], v[88:89] op_sel_hi:[1,0]
	s_waitcnt vmcnt(5)
	v_pk_fma_f32 v[66:67], v[58:59], v[68:69], v[86:87] op_sel:[0,0,1] op_sel_hi:[1,1,0] neg_lo:[0,0,1] neg_hi:[0,0,1]
	v_pk_fma_f32 v[58:59], v[58:59], v[68:69], v[86:87] op_sel:[0,0,1] op_sel_hi:[1,0,0]
	v_mov_b32_e32 v65, v57
	v_pk_add_f32 v[4:5], v[4:5], v[52:53]
	v_mov_b32_e32 v92, v75
	v_pk_mul_f32 v[90:91], v[62:63], v[90:91] op_sel_hi:[1,0]
	s_waitcnt vmcnt(4)
	v_pk_fma_f32 v[68:69], v[60:61], v[70:71], v[88:89] op_sel:[0,0,1] op_sel_hi:[1,1,0] neg_lo:[0,0,1] neg_hi:[0,0,1]
	v_pk_fma_f32 v[60:61], v[60:61], v[70:71], v[88:89] op_sel:[0,0,1] op_sel_hi:[1,0,0]
	v_mov_b32_e32 v67, v59
	v_pk_add_f32 v[4:5], v[4:5], v[64:65]
	s_waitcnt lgkmcnt(0)
	v_pk_mul_f32 v[92:93], v[78:79], v[92:93] op_sel_hi:[1,0]
	s_waitcnt vmcnt(3)
	v_pk_fma_f32 v[70:71], v[62:63], v[72:73], v[90:91] op_sel:[0,0,1] op_sel_hi:[1,1,0] neg_lo:[0,0,1] neg_hi:[0,0,1]
	v_pk_fma_f32 v[62:63], v[62:63], v[72:73], v[90:91] op_sel:[0,0,1] op_sel_hi:[1,0,0]
	v_mov_b32_e32 v69, v61
	v_pk_add_f32 v[4:5], v[4:5], v[66:67]
	s_waitcnt vmcnt(2)
	v_pk_fma_f32 v[72:73], v[78:79], v[74:75], v[92:93] op_sel:[0,0,1] op_sel_hi:[1,1,0] neg_lo:[0,0,1] neg_hi:[0,0,1]
	v_pk_fma_f32 v[74:75], v[78:79], v[74:75], v[92:93] op_sel:[0,0,1] op_sel_hi:[1,0,0]
	v_mov_b32_e32 v71, v63
	v_pk_add_f32 v[4:5], v[4:5], v[68:69]
	v_mov_b32_e32 v73, v75
	v_pk_add_f32 v[4:5], v[4:5], v[70:71]
	v_pk_add_f32 v[4:5], v[4:5], v[72:73]
	s_waitcnt vmcnt(0)
	v_pk_add_f32 v[4:5], v[76:77], v[4:5] neg_lo:[0,1] neg_hi:[0,1]
	buffer_store_dword v4, off, s[0:3], 0 offset:120
	buffer_store_dword v5, off, s[0:3], 0 offset:124
	s_and_saveexec_b64 s[4:5], vcc
	s_cbranch_execz .LBB22_123
; %bb.122:
	buffer_load_dword v4, off, s[0:3], 0 offset:112
	buffer_load_dword v5, off, s[0:3], 0 offset:116
	s_waitcnt vmcnt(0)
	ds_write_b64 v1, v[4:5]
	buffer_store_dword v2, off, s[0:3], 0 offset:112
	buffer_store_dword v2, off, s[0:3], 0 offset:116
.LBB22_123:
	s_or_b64 exec, exec, s[4:5]
	s_waitcnt lgkmcnt(0)
	; wave barrier
	s_waitcnt lgkmcnt(0)
	buffer_load_dword v65, off, s[0:3], 0 offset:124
	buffer_load_dword v67, off, s[0:3], 0 offset:132
	;; [unrolled: 1-line block ×18, first 2 shown]
	ds_read2_b64 v[52:55], v2 offset0:39 offset1:40
	ds_read2_b64 v[56:59], v2 offset0:41 offset1:42
	;; [unrolled: 1-line block ×4, first 2 shown]
	v_cmp_lt_u32_e32 vcc, 13, v0
	s_waitcnt vmcnt(17)
	v_mov_b32_e32 v82, v65
	s_waitcnt vmcnt(16)
	v_mov_b32_e32 v84, v67
	;; [unrolled: 2-line block ×7, first 2 shown]
	s_waitcnt lgkmcnt(3)
	v_pk_mul_f32 v[82:83], v[52:53], v[82:83] op_sel_hi:[1,0]
	v_pk_mul_f32 v[84:85], v[54:55], v[84:85] op_sel_hi:[1,0]
	s_waitcnt lgkmcnt(2)
	v_pk_mul_f32 v[86:87], v[56:57], v[86:87] op_sel_hi:[1,0]
	v_pk_mul_f32 v[88:89], v[58:59], v[88:89] op_sel_hi:[1,0]
	;; [unrolled: 3-line block ×3, first 2 shown]
	s_waitcnt lgkmcnt(0)
	v_pk_mul_f32 v[94:95], v[2:3], v[94:95] op_sel_hi:[1,0]
	s_waitcnt vmcnt(9)
	v_pk_fma_f32 v[98:99], v[52:53], v[64:65], v[82:83] op_sel:[0,0,1] op_sel_hi:[1,1,0] neg_lo:[0,0,1] neg_hi:[0,0,1]
	v_pk_fma_f32 v[52:53], v[52:53], v[64:65], v[82:83] op_sel:[0,0,1] op_sel_hi:[1,0,0]
	s_waitcnt vmcnt(8)
	v_pk_fma_f32 v[64:65], v[54:55], v[66:67], v[84:85] op_sel:[0,0,1] op_sel_hi:[1,1,0] neg_lo:[0,0,1] neg_hi:[0,0,1]
	v_pk_fma_f32 v[54:55], v[54:55], v[66:67], v[84:85] op_sel:[0,0,1] op_sel_hi:[1,0,0]
	;; [unrolled: 3-line block ×7, first 2 shown]
	v_mov_b32_e32 v99, v53
	v_mov_b32_e32 v65, v55
	;; [unrolled: 1-line block ×3, first 2 shown]
	v_pk_add_f32 v[2:3], v[98:99], 0 op_sel_hi:[1,0]
	v_mov_b32_e32 v67, v57
	v_pk_add_f32 v[2:3], v[2:3], v[64:65]
	v_mov_b32_e32 v69, v59
	v_pk_add_f32 v[2:3], v[2:3], v[66:67]
	v_mov_b32_e32 v96, v79
	v_mov_b32_e32 v71, v61
	v_pk_add_f32 v[2:3], v[2:3], v[68:69]
	v_pk_mul_f32 v[96:97], v[4:5], v[96:97] op_sel_hi:[1,0]
	v_mov_b32_e32 v73, v63
	v_pk_add_f32 v[2:3], v[2:3], v[70:71]
	s_waitcnt vmcnt(2)
	v_pk_fma_f32 v[76:77], v[4:5], v[78:79], v[96:97] op_sel:[0,0,1] op_sel_hi:[1,1,0] neg_lo:[0,0,1] neg_hi:[0,0,1]
	v_pk_fma_f32 v[4:5], v[4:5], v[78:79], v[96:97] op_sel:[0,0,1] op_sel_hi:[1,0,0]
	v_pk_add_f32 v[2:3], v[2:3], v[72:73]
	v_mov_b32_e32 v77, v5
	v_pk_add_f32 v[2:3], v[2:3], v[74:75]
	v_pk_add_f32 v[2:3], v[2:3], v[76:77]
	s_waitcnt vmcnt(0)
	v_pk_add_f32 v[2:3], v[80:81], v[2:3] neg_lo:[0,1] neg_hi:[0,1]
	buffer_store_dword v2, off, s[0:3], 0 offset:112
	buffer_store_dword v3, off, s[0:3], 0 offset:116
	s_and_saveexec_b64 s[4:5], vcc
	s_cbranch_execz .LBB22_125
; %bb.124:
	buffer_load_dword v2, off, s[0:3], 0 offset:104
	buffer_load_dword v3, off, s[0:3], 0 offset:108
	v_mov_b32_e32 v4, 0
	buffer_store_dword v4, off, s[0:3], 0 offset:104
	buffer_store_dword v4, off, s[0:3], 0 offset:108
	s_waitcnt vmcnt(2)
	ds_write_b64 v1, v[2:3]
.LBB22_125:
	s_or_b64 exec, exec, s[4:5]
	s_waitcnt lgkmcnt(0)
	; wave barrier
	s_waitcnt lgkmcnt(0)
	buffer_load_dword v3, off, s[0:3], 0 offset:116
	buffer_load_dword v5, off, s[0:3], 0 offset:124
	;; [unrolled: 1-line block ×20, first 2 shown]
	v_mov_b32_e32 v2, 0
	ds_read_b128 v[52:55], v2 offset:304
	ds_read_b128 v[56:59], v2 offset:320
	;; [unrolled: 1-line block ×4, first 2 shown]
	ds_read_b64 v[84:85], v2 offset:368
	v_cmp_lt_u32_e32 vcc, 12, v0
	s_waitcnt vmcnt(19) lgkmcnt(4)
	v_mul_f32_e32 v87, v52, v3
	v_mul_f32_e32 v3, v53, v3
	s_waitcnt vmcnt(18)
	v_mov_b32_e32 v88, v5
	s_waitcnt vmcnt(17)
	v_mov_b32_e32 v90, v69
	;; [unrolled: 2-line block ×8, first 2 shown]
	s_waitcnt vmcnt(10)
	v_fmac_f32_e32 v87, v53, v86
	v_fma_f32 v86, v52, v86, -v3
	v_pk_mul_f32 v[52:53], v[54:55], v[88:89] op_sel_hi:[1,0]
	s_waitcnt lgkmcnt(3)
	v_pk_mul_f32 v[88:89], v[56:57], v[90:91] op_sel_hi:[1,0]
	v_pk_mul_f32 v[90:91], v[58:59], v[92:93] op_sel_hi:[1,0]
	s_waitcnt lgkmcnt(2)
	v_pk_mul_f32 v[92:93], v[60:61], v[94:95] op_sel_hi:[1,0]
	;; [unrolled: 3-line block ×4, first 2 shown]
	s_waitcnt vmcnt(9)
	v_pk_fma_f32 v[102:103], v[54:55], v[4:5], v[52:53] op_sel:[0,0,1] op_sel_hi:[1,1,0] neg_lo:[0,0,1] neg_hi:[0,0,1]
	v_pk_fma_f32 v[4:5], v[54:55], v[4:5], v[52:53] op_sel:[0,0,1] op_sel_hi:[1,0,0]
	v_pk_add_f32 v[86:87], v[86:87], 0 op_sel_hi:[1,0]
	s_waitcnt vmcnt(8)
	v_pk_fma_f32 v[52:53], v[56:57], v[68:69], v[88:89] op_sel:[0,0,1] op_sel_hi:[1,1,0] neg_lo:[0,0,1] neg_hi:[0,0,1]
	v_pk_fma_f32 v[54:55], v[56:57], v[68:69], v[88:89] op_sel:[0,0,1] op_sel_hi:[1,0,0]
	v_mov_b32_e32 v103, v5
	s_waitcnt vmcnt(7)
	v_pk_fma_f32 v[56:57], v[58:59], v[70:71], v[90:91] op_sel:[0,0,1] op_sel_hi:[1,1,0] neg_lo:[0,0,1] neg_hi:[0,0,1]
	v_pk_fma_f32 v[58:59], v[58:59], v[70:71], v[90:91] op_sel:[0,0,1] op_sel_hi:[1,0,0]
	v_mov_b32_e32 v53, v55
	v_pk_add_f32 v[4:5], v[86:87], v[102:103]
	s_waitcnt vmcnt(6)
	v_pk_fma_f32 v[68:69], v[60:61], v[72:73], v[92:93] op_sel:[0,0,1] op_sel_hi:[1,1,0] neg_lo:[0,0,1] neg_hi:[0,0,1]
	v_pk_fma_f32 v[60:61], v[60:61], v[72:73], v[92:93] op_sel:[0,0,1] op_sel_hi:[1,0,0]
	v_mov_b32_e32 v57, v59
	v_pk_add_f32 v[4:5], v[4:5], v[52:53]
	s_waitcnt vmcnt(5)
	v_pk_fma_f32 v[70:71], v[62:63], v[74:75], v[94:95] op_sel:[0,0,1] op_sel_hi:[1,1,0] neg_lo:[0,0,1] neg_hi:[0,0,1]
	v_pk_fma_f32 v[62:63], v[62:63], v[74:75], v[94:95] op_sel:[0,0,1] op_sel_hi:[1,0,0]
	v_mov_b32_e32 v69, v61
	v_pk_add_f32 v[4:5], v[4:5], v[56:57]
	s_waitcnt vmcnt(4)
	v_pk_fma_f32 v[72:73], v[64:65], v[76:77], v[96:97] op_sel:[0,0,1] op_sel_hi:[1,1,0] neg_lo:[0,0,1] neg_hi:[0,0,1]
	v_pk_fma_f32 v[64:65], v[64:65], v[76:77], v[96:97] op_sel:[0,0,1] op_sel_hi:[1,0,0]
	v_mov_b32_e32 v71, v63
	v_pk_add_f32 v[4:5], v[4:5], v[68:69]
	s_waitcnt vmcnt(2)
	v_pk_fma_f32 v[74:75], v[66:67], v[78:79], v[98:99] op_sel:[0,0,1] op_sel_hi:[1,1,0] neg_lo:[0,0,1] neg_hi:[0,0,1]
	v_pk_fma_f32 v[66:67], v[66:67], v[78:79], v[98:99] op_sel:[0,0,1] op_sel_hi:[1,0,0]
	v_mov_b32_e32 v73, v65
	v_pk_add_f32 v[4:5], v[4:5], v[70:71]
	v_pk_fma_f32 v[76:77], v[84:85], v[80:81], v[100:101] op_sel:[0,0,1] op_sel_hi:[1,1,0] neg_lo:[0,0,1] neg_hi:[0,0,1]
	v_pk_fma_f32 v[78:79], v[84:85], v[80:81], v[100:101] op_sel:[0,0,1] op_sel_hi:[1,0,0]
	v_mov_b32_e32 v75, v67
	v_pk_add_f32 v[4:5], v[4:5], v[72:73]
	v_mov_b32_e32 v77, v79
	v_pk_add_f32 v[4:5], v[4:5], v[74:75]
	v_pk_add_f32 v[4:5], v[4:5], v[76:77]
	s_waitcnt vmcnt(0)
	v_pk_add_f32 v[4:5], v[82:83], v[4:5] neg_lo:[0,1] neg_hi:[0,1]
	buffer_store_dword v4, off, s[0:3], 0 offset:104
	buffer_store_dword v5, off, s[0:3], 0 offset:108
	s_and_saveexec_b64 s[4:5], vcc
	s_cbranch_execz .LBB22_127
; %bb.126:
	buffer_load_dword v4, off, s[0:3], 0 offset:96
	buffer_load_dword v5, off, s[0:3], 0 offset:100
	s_waitcnt vmcnt(0)
	ds_write_b64 v1, v[4:5]
	buffer_store_dword v2, off, s[0:3], 0 offset:96
	buffer_store_dword v2, off, s[0:3], 0 offset:100
.LBB22_127:
	s_or_b64 exec, exec, s[4:5]
	s_waitcnt lgkmcnt(0)
	; wave barrier
	s_waitcnt lgkmcnt(0)
	buffer_load_dword v86, off, s[0:3], 0 offset:108
	buffer_load_dword v88, off, s[0:3], 0 offset:116
	;; [unrolled: 1-line block ×22, first 2 shown]
	ds_read2_b64 v[52:55], v2 offset0:37 offset1:38
	ds_read2_b64 v[56:59], v2 offset0:39 offset1:40
	;; [unrolled: 1-line block ×5, first 2 shown]
	v_cmp_lt_u32_e32 vcc, 11, v0
	s_waitcnt vmcnt(21) lgkmcnt(4)
	v_mul_f32_e32 v87, v52, v86
	v_mul_f32_e32 v86, v53, v86
	s_waitcnt vmcnt(19)
	v_mov_b32_e32 v90, v69
	v_mul_f32_e32 v89, v54, v88
	v_mul_f32_e32 v88, v55, v88
	s_waitcnt vmcnt(18)
	v_mov_b32_e32 v92, v71
	s_waitcnt vmcnt(17)
	v_mov_b32_e32 v94, v73
	;; [unrolled: 2-line block ×6, first 2 shown]
	s_waitcnt vmcnt(11)
	v_fmac_f32_e32 v87, v53, v91
	v_fma_f32 v86, v52, v91, -v86
	s_waitcnt lgkmcnt(3)
	v_pk_mul_f32 v[52:53], v[56:57], v[90:91] op_sel_hi:[1,0]
	s_waitcnt vmcnt(10)
	v_fmac_f32_e32 v89, v55, v93
	v_fma_f32 v88, v54, v93, -v88
	v_pk_mul_f32 v[54:55], v[58:59], v[92:93] op_sel_hi:[1,0]
	s_waitcnt lgkmcnt(2)
	v_pk_mul_f32 v[90:91], v[60:61], v[94:95] op_sel_hi:[1,0]
	v_pk_mul_f32 v[92:93], v[62:63], v[96:97] op_sel_hi:[1,0]
	s_waitcnt lgkmcnt(1)
	v_pk_mul_f32 v[94:95], v[64:65], v[98:99] op_sel_hi:[1,0]
	;; [unrolled: 3-line block ×3, first 2 shown]
	v_pk_add_f32 v[86:87], v[86:87], 0 op_sel_hi:[1,0]
	s_waitcnt vmcnt(9)
	v_pk_fma_f32 v[102:103], v[56:57], v[68:69], v[52:53] op_sel:[0,0,1] op_sel_hi:[1,1,0] neg_lo:[0,0,1] neg_hi:[0,0,1]
	v_pk_fma_f32 v[52:53], v[56:57], v[68:69], v[52:53] op_sel:[0,0,1] op_sel_hi:[1,0,0]
	s_waitcnt vmcnt(8)
	v_pk_fma_f32 v[56:57], v[58:59], v[70:71], v[54:55] op_sel:[0,0,1] op_sel_hi:[1,1,0] neg_lo:[0,0,1] neg_hi:[0,0,1]
	v_pk_fma_f32 v[54:55], v[58:59], v[70:71], v[54:55] op_sel:[0,0,1] op_sel_hi:[1,0,0]
	;; [unrolled: 3-line block ×5, first 2 shown]
	v_pk_fma_f32 v[74:75], v[2:3], v[80:81], v[98:99] op_sel:[0,0,1] op_sel_hi:[1,1,0] neg_lo:[0,0,1] neg_hi:[0,0,1]
	v_pk_fma_f32 v[2:3], v[2:3], v[80:81], v[98:99] op_sel:[0,0,1] op_sel_hi:[1,0,0]
	v_pk_add_f32 v[78:79], v[86:87], v[88:89]
	v_mov_b32_e32 v103, v53
	v_mov_b32_e32 v57, v55
	;; [unrolled: 1-line block ×3, first 2 shown]
	v_pk_add_f32 v[2:3], v[78:79], v[102:103]
	v_mov_b32_e32 v59, v61
	v_pk_add_f32 v[2:3], v[2:3], v[56:57]
	v_pk_fma_f32 v[70:71], v[64:65], v[76:77], v[94:95] op_sel:[0,0,1] op_sel_hi:[1,1,0] neg_lo:[0,0,1] neg_hi:[0,0,1]
	v_pk_fma_f32 v[64:65], v[64:65], v[76:77], v[94:95] op_sel:[0,0,1] op_sel_hi:[1,0,0]
	v_mov_b32_e32 v69, v63
	v_pk_add_f32 v[2:3], v[2:3], v[58:59]
	v_mov_b32_e32 v104, v83
	v_mov_b32_e32 v71, v65
	v_pk_add_f32 v[2:3], v[2:3], v[68:69]
	v_pk_mul_f32 v[100:101], v[4:5], v[104:105] op_sel_hi:[1,0]
	v_mov_b32_e32 v73, v67
	v_pk_add_f32 v[2:3], v[2:3], v[70:71]
	v_pk_fma_f32 v[76:77], v[4:5], v[82:83], v[100:101] op_sel:[0,0,1] op_sel_hi:[1,1,0] neg_lo:[0,0,1] neg_hi:[0,0,1]
	v_pk_fma_f32 v[4:5], v[4:5], v[82:83], v[100:101] op_sel:[0,0,1] op_sel_hi:[1,0,0]
	v_pk_add_f32 v[2:3], v[2:3], v[72:73]
	v_mov_b32_e32 v77, v5
	v_pk_add_f32 v[2:3], v[2:3], v[74:75]
	v_pk_add_f32 v[2:3], v[2:3], v[76:77]
	s_waitcnt vmcnt(0)
	v_pk_add_f32 v[2:3], v[84:85], v[2:3] neg_lo:[0,1] neg_hi:[0,1]
	buffer_store_dword v2, off, s[0:3], 0 offset:96
	buffer_store_dword v3, off, s[0:3], 0 offset:100
	s_and_saveexec_b64 s[4:5], vcc
	s_cbranch_execz .LBB22_129
; %bb.128:
	buffer_load_dword v2, off, s[0:3], 0 offset:88
	buffer_load_dword v3, off, s[0:3], 0 offset:92
	v_mov_b32_e32 v4, 0
	buffer_store_dword v4, off, s[0:3], 0 offset:88
	buffer_store_dword v4, off, s[0:3], 0 offset:92
	s_waitcnt vmcnt(2)
	ds_write_b64 v1, v[2:3]
.LBB22_129:
	s_or_b64 exec, exec, s[4:5]
	s_waitcnt lgkmcnt(0)
	; wave barrier
	s_waitcnt lgkmcnt(0)
	buffer_load_dword v3, off, s[0:3], 0 offset:100
	buffer_load_dword v90, off, s[0:3], 0 offset:108
	;; [unrolled: 1-line block ×24, first 2 shown]
	v_mov_b32_e32 v2, 0
	ds_read_b128 v[52:55], v2 offset:288
	ds_read_b128 v[56:59], v2 offset:304
	;; [unrolled: 1-line block ×5, first 2 shown]
	ds_read_b64 v[88:89], v2 offset:368
	v_cmp_lt_u32_e32 vcc, 10, v0
	s_waitcnt vmcnt(23) lgkmcnt(5)
	v_mul_f32_e32 v103, v52, v3
	v_mul_f32_e32 v3, v53, v3
	s_waitcnt vmcnt(22)
	v_mul_f32_e32 v91, v54, v90
	s_waitcnt vmcnt(21) lgkmcnt(4)
	v_mul_f32_e32 v93, v56, v92
	v_mul_f32_e32 v90, v55, v90
	;; [unrolled: 1-line block ×3, first 2 shown]
	s_waitcnt vmcnt(20)
	v_mov_b32_e32 v94, v5
	s_waitcnt vmcnt(19)
	v_mov_b32_e32 v96, v73
	;; [unrolled: 2-line block ×5, first 2 shown]
	s_waitcnt vmcnt(12)
	v_fmac_f32_e32 v103, v53, v95
	v_fma_f32 v3, v52, v95, -v3
	v_mov_b32_e32 v104, v81
	s_waitcnt vmcnt(11)
	v_fmac_f32_e32 v91, v55, v97
	s_waitcnt vmcnt(10)
	v_fmac_f32_e32 v93, v57, v99
	v_fma_f32 v90, v54, v97, -v90
	v_fma_f32 v92, v56, v99, -v92
	v_pk_mul_f32 v[52:53], v[58:59], v[94:95] op_sel_hi:[1,0]
	s_waitcnt lgkmcnt(3)
	v_pk_mul_f32 v[54:55], v[60:61], v[96:97] op_sel_hi:[1,0]
	v_pk_mul_f32 v[56:57], v[62:63], v[98:99] op_sel_hi:[1,0]
	s_waitcnt lgkmcnt(2)
	v_pk_mul_f32 v[94:95], v[64:65], v[100:101] op_sel_hi:[1,0]
	v_pk_mul_f32 v[96:97], v[66:67], v[102:103] op_sel_hi:[1,0]
	v_add_f32_e32 v103, 0, v103
	v_add_f32_e32 v102, 0, v3
	s_waitcnt lgkmcnt(1)
	v_pk_mul_f32 v[98:99], v[68:69], v[104:105] op_sel_hi:[1,0]
	s_waitcnt vmcnt(9)
	v_pk_fma_f32 v[104:105], v[58:59], v[4:5], v[52:53] op_sel:[0,0,1] op_sel_hi:[1,1,0] neg_lo:[0,0,1] neg_hi:[0,0,1]
	v_pk_fma_f32 v[4:5], v[58:59], v[4:5], v[52:53] op_sel:[0,0,1] op_sel_hi:[1,0,0]
	s_waitcnt vmcnt(8)
	v_pk_fma_f32 v[52:53], v[60:61], v[72:73], v[54:55] op_sel:[0,0,1] op_sel_hi:[1,1,0] neg_lo:[0,0,1] neg_hi:[0,0,1]
	v_pk_fma_f32 v[54:55], v[60:61], v[72:73], v[54:55] op_sel:[0,0,1] op_sel_hi:[1,0,0]
	;; [unrolled: 3-line block ×4, first 2 shown]
	v_pk_add_f32 v[76:77], v[102:103], v[90:91]
	v_mov_b32_e32 v105, v5
	v_pk_add_f32 v[4:5], v[76:77], v[92:93]
	v_mov_b32_e32 v53, v55
	;; [unrolled: 2-line block ×4, first 2 shown]
	s_waitcnt vmcnt(2)
	v_pk_fma_f32 v[64:65], v[66:67], v[78:79], v[96:97] op_sel:[0,0,1] op_sel_hi:[1,1,0] neg_lo:[0,0,1] neg_hi:[0,0,1]
	v_pk_fma_f32 v[66:67], v[66:67], v[78:79], v[96:97] op_sel:[0,0,1] op_sel_hi:[1,0,0]
	v_mov_b32_e32 v61, v63
	v_pk_add_f32 v[4:5], v[4:5], v[58:59]
	v_mov_b32_e32 v108, v85
	v_pk_mul_f32 v[100:101], v[70:71], v[106:107] op_sel_hi:[1,0]
	v_pk_fma_f32 v[72:73], v[68:69], v[80:81], v[98:99] op_sel:[0,0,1] op_sel_hi:[1,1,0] neg_lo:[0,0,1] neg_hi:[0,0,1]
	v_pk_fma_f32 v[68:69], v[68:69], v[80:81], v[98:99] op_sel:[0,0,1] op_sel_hi:[1,0,0]
	v_mov_b32_e32 v65, v67
	v_pk_add_f32 v[4:5], v[4:5], v[60:61]
	v_pk_fma_f32 v[74:75], v[70:71], v[82:83], v[100:101] op_sel:[0,0,1] op_sel_hi:[1,1,0] neg_lo:[0,0,1] neg_hi:[0,0,1]
	v_pk_fma_f32 v[70:71], v[70:71], v[82:83], v[100:101] op_sel:[0,0,1] op_sel_hi:[1,0,0]
	v_mov_b32_e32 v73, v69
	v_pk_add_f32 v[4:5], v[4:5], v[64:65]
	s_waitcnt lgkmcnt(0)
	v_pk_mul_f32 v[52:53], v[88:89], v[108:109] op_sel_hi:[1,0]
	v_mov_b32_e32 v75, v71
	v_pk_add_f32 v[4:5], v[4:5], v[72:73]
	v_pk_fma_f32 v[54:55], v[88:89], v[84:85], v[52:53] op_sel:[0,0,1] op_sel_hi:[1,1,0] neg_lo:[0,0,1] neg_hi:[0,0,1]
	v_pk_fma_f32 v[52:53], v[88:89], v[84:85], v[52:53] op_sel:[0,0,1] op_sel_hi:[1,0,0]
	v_pk_add_f32 v[4:5], v[4:5], v[74:75]
	v_mov_b32_e32 v55, v53
	v_pk_add_f32 v[4:5], v[4:5], v[54:55]
	s_waitcnt vmcnt(0)
	v_pk_add_f32 v[4:5], v[86:87], v[4:5] neg_lo:[0,1] neg_hi:[0,1]
	buffer_store_dword v5, off, s[0:3], 0 offset:92
	buffer_store_dword v4, off, s[0:3], 0 offset:88
	s_and_saveexec_b64 s[4:5], vcc
	s_cbranch_execz .LBB22_131
; %bb.130:
	buffer_load_dword v4, off, s[0:3], 0 offset:80
	buffer_load_dword v5, off, s[0:3], 0 offset:84
	s_waitcnt vmcnt(0)
	ds_write_b64 v1, v[4:5]
	buffer_store_dword v2, off, s[0:3], 0 offset:80
	buffer_store_dword v2, off, s[0:3], 0 offset:84
.LBB22_131:
	s_or_b64 exec, exec, s[4:5]
	s_waitcnt lgkmcnt(0)
	; wave barrier
	s_waitcnt lgkmcnt(0)
	buffer_load_dword v90, off, s[0:3], 0 offset:92
	buffer_load_dword v92, off, s[0:3], 0 offset:100
	;; [unrolled: 1-line block ×26, first 2 shown]
	ds_read2_b64 v[52:55], v2 offset0:35 offset1:36
	ds_read2_b64 v[56:59], v2 offset0:37 offset1:38
	;; [unrolled: 1-line block ×6, first 2 shown]
	v_cmp_lt_u32_e32 vcc, 9, v0
	s_waitcnt vmcnt(25) lgkmcnt(5)
	v_mul_f32_e32 v105, v52, v90
	v_mul_f32_e32 v90, v53, v90
	s_waitcnt vmcnt(24)
	v_mul_f32_e32 v106, v54, v92
	s_waitcnt vmcnt(23) lgkmcnt(4)
	v_mul_f32_e32 v91, v56, v94
	s_waitcnt vmcnt(22)
	v_mul_f32_e32 v93, v58, v95
	v_mul_f32_e32 v92, v55, v92
	;; [unrolled: 1-line block ×4, first 2 shown]
	s_waitcnt vmcnt(21)
	v_mov_b32_e32 v94, v73
	s_waitcnt vmcnt(20)
	v_mov_b32_e32 v96, v75
	;; [unrolled: 2-line block ×3, first 2 shown]
	s_waitcnt vmcnt(15)
	v_fmac_f32_e32 v105, v53, v97
	v_fma_f32 v108, v52, v97, -v90
	v_mov_b32_e32 v98, v77
	s_waitcnt vmcnt(14)
	v_fmac_f32_e32 v106, v55, v99
	s_waitcnt vmcnt(13)
	v_fmac_f32_e32 v91, v57, v101
	;; [unrolled: 2-line block ×3, first 2 shown]
	v_fma_f32 v109, v54, v99, -v92
	v_fma_f32 v90, v56, v101, -v107
	v_fma_f32 v92, v58, v103, -v95
	s_waitcnt lgkmcnt(3)
	v_pk_mul_f32 v[52:53], v[60:61], v[94:95] op_sel_hi:[1,0]
	v_pk_mul_f32 v[54:55], v[62:63], v[96:97] op_sel_hi:[1,0]
	s_waitcnt lgkmcnt(2)
	v_pk_mul_f32 v[58:59], v[66:67], v[100:101] op_sel_hi:[1,0]
	v_add_f32_e32 v100, 0, v105
	v_add_f32_e32 v101, 0, v108
	v_pk_mul_f32 v[56:57], v[64:65], v[98:99] op_sel_hi:[1,0]
	s_waitcnt vmcnt(11)
	v_pk_fma_f32 v[98:99], v[60:61], v[72:73], v[52:53] op_sel:[0,0,1] op_sel_hi:[1,1,0] neg_lo:[0,0,1] neg_hi:[0,0,1]
	v_pk_fma_f32 v[52:53], v[60:61], v[72:73], v[52:53] op_sel:[0,0,1] op_sel_hi:[1,0,0]
	s_waitcnt vmcnt(10)
	v_pk_fma_f32 v[60:61], v[62:63], v[74:75], v[54:55] op_sel:[0,0,1] op_sel_hi:[1,1,0] neg_lo:[0,0,1] neg_hi:[0,0,1]
	v_pk_fma_f32 v[54:55], v[62:63], v[74:75], v[54:55] op_sel:[0,0,1] op_sel_hi:[1,0,0]
	v_add_f32_e32 v75, v100, v106
	v_add_f32_e32 v74, v101, v109
	v_mov_b32_e32 v99, v53
	v_pk_add_f32 v[52:53], v[74:75], v[90:91]
	v_pk_add_f32 v[52:53], v[52:53], v[92:93]
	v_mov_b32_e32 v102, v81
	s_waitcnt vmcnt(9)
	v_pk_fma_f32 v[62:63], v[64:65], v[76:77], v[56:57] op_sel:[0,0,1] op_sel_hi:[1,1,0] neg_lo:[0,0,1] neg_hi:[0,0,1]
	v_pk_fma_f32 v[56:57], v[64:65], v[76:77], v[56:57] op_sel:[0,0,1] op_sel_hi:[1,0,0]
	v_mov_b32_e32 v61, v55
	v_pk_add_f32 v[52:53], v[52:53], v[98:99]
	v_mov_b32_e32 v104, v83
	s_waitcnt lgkmcnt(1)
	v_pk_mul_f32 v[94:95], v[68:69], v[102:103] op_sel_hi:[1,0]
	s_waitcnt vmcnt(5)
	v_pk_fma_f32 v[64:65], v[66:67], v[78:79], v[58:59] op_sel:[0,0,1] op_sel_hi:[1,1,0] neg_lo:[0,0,1] neg_hi:[0,0,1]
	v_pk_fma_f32 v[58:59], v[66:67], v[78:79], v[58:59] op_sel:[0,0,1] op_sel_hi:[1,0,0]
	v_mov_b32_e32 v63, v57
	v_pk_add_f32 v[52:53], v[52:53], v[60:61]
	v_pk_mul_f32 v[96:97], v[70:71], v[104:105] op_sel_hi:[1,0]
	v_pk_fma_f32 v[66:67], v[68:69], v[80:81], v[94:95] op_sel:[0,0,1] op_sel_hi:[1,1,0] neg_lo:[0,0,1] neg_hi:[0,0,1]
	v_pk_fma_f32 v[68:69], v[68:69], v[80:81], v[94:95] op_sel:[0,0,1] op_sel_hi:[1,0,0]
	v_mov_b32_e32 v65, v59
	v_pk_add_f32 v[52:53], v[52:53], v[62:63]
	s_waitcnt vmcnt(4)
	v_mov_b32_e32 v54, v85
	v_pk_fma_f32 v[72:73], v[70:71], v[82:83], v[96:97] op_sel:[0,0,1] op_sel_hi:[1,1,0] neg_lo:[0,0,1] neg_hi:[0,0,1]
	v_pk_fma_f32 v[70:71], v[70:71], v[82:83], v[96:97] op_sel:[0,0,1] op_sel_hi:[1,0,0]
	v_mov_b32_e32 v67, v69
	v_pk_add_f32 v[52:53], v[52:53], v[64:65]
	s_waitcnt lgkmcnt(0)
	v_pk_mul_f32 v[54:55], v[2:3], v[54:55] op_sel_hi:[1,0]
	v_mov_b32_e32 v73, v71
	v_pk_add_f32 v[52:53], v[52:53], v[66:67]
	v_pk_fma_f32 v[56:57], v[2:3], v[84:85], v[54:55] op_sel:[0,0,1] op_sel_hi:[1,1,0] neg_lo:[0,0,1] neg_hi:[0,0,1]
	v_pk_fma_f32 v[2:3], v[2:3], v[84:85], v[54:55] op_sel:[0,0,1] op_sel_hi:[1,0,0]
	v_pk_add_f32 v[52:53], v[52:53], v[72:73]
	v_mov_b32_e32 v57, v3
	v_pk_add_f32 v[2:3], v[52:53], v[56:57]
	s_waitcnt vmcnt(3)
	v_mov_b32_e32 v52, v87
	v_pk_mul_f32 v[52:53], v[4:5], v[52:53] op_sel_hi:[1,0]
	s_waitcnt vmcnt(2)
	v_pk_fma_f32 v[54:55], v[4:5], v[86:87], v[52:53] op_sel:[0,0,1] op_sel_hi:[1,1,0] neg_lo:[0,0,1] neg_hi:[0,0,1]
	v_pk_fma_f32 v[4:5], v[4:5], v[86:87], v[52:53] op_sel:[0,0,1] op_sel_hi:[1,0,0]
	v_mov_b32_e32 v55, v5
	v_pk_add_f32 v[2:3], v[2:3], v[54:55]
	s_waitcnt vmcnt(0)
	v_pk_add_f32 v[2:3], v[88:89], v[2:3] neg_lo:[0,1] neg_hi:[0,1]
	buffer_store_dword v3, off, s[0:3], 0 offset:84
	buffer_store_dword v2, off, s[0:3], 0 offset:80
	s_and_saveexec_b64 s[4:5], vcc
	s_cbranch_execz .LBB22_133
; %bb.132:
	buffer_load_dword v2, off, s[0:3], 0 offset:72
	buffer_load_dword v3, off, s[0:3], 0 offset:76
	v_mov_b32_e32 v4, 0
	buffer_store_dword v4, off, s[0:3], 0 offset:72
	buffer_store_dword v4, off, s[0:3], 0 offset:76
	s_waitcnt vmcnt(2)
	ds_write_b64 v1, v[2:3]
.LBB22_133:
	s_or_b64 exec, exec, s[4:5]
	s_waitcnt lgkmcnt(0)
	; wave barrier
	s_waitcnt lgkmcnt(0)
	buffer_load_dword v3, off, s[0:3], 0 offset:84
	buffer_load_dword v94, off, s[0:3], 0 offset:92
	;; [unrolled: 1-line block ×28, first 2 shown]
	v_mov_b32_e32 v2, 0
	ds_read_b128 v[52:55], v2 offset:272
	ds_read_b128 v[56:59], v2 offset:288
	;; [unrolled: 1-line block ×6, first 2 shown]
	ds_read_b64 v[92:93], v2 offset:368
	v_cmp_lt_u32_e32 vcc, 8, v0
	s_waitcnt vmcnt(27) lgkmcnt(6)
	v_mul_f32_e32 v109, v52, v3
	v_mul_f32_e32 v3, v53, v3
	s_waitcnt vmcnt(26)
	v_mul_f32_e32 v110, v54, v94
	s_waitcnt vmcnt(24) lgkmcnt(5)
	v_mul_f32_e32 v95, v58, v98
	s_waitcnt vmcnt(23) lgkmcnt(4)
	v_mul_f32_e32 v97, v60, v99
	v_mul_f32_e32 v112, v59, v98
	;; [unrolled: 1-line block ×3, first 2 shown]
	s_waitcnt vmcnt(22)
	v_mov_b32_e32 v98, v5
	v_mul_f32_e32 v111, v56, v96
	v_mul_f32_e32 v94, v55, v94
	;; [unrolled: 1-line block ×3, first 2 shown]
	s_waitcnt vmcnt(17)
	v_fmac_f32_e32 v109, v53, v101
	v_fma_f32 v3, v52, v101, -v3
	v_pk_mul_f32 v[52:53], v[62:63], v[98:99] op_sel_hi:[1,0]
	s_waitcnt vmcnt(16)
	v_fmac_f32_e32 v110, v55, v103
	s_waitcnt vmcnt(13)
	v_fmac_f32_e32 v97, v61, v108
	v_fma_f32 v101, v54, v103, -v94
	v_fma_f32 v103, v56, v105, -v96
	v_fma_f32 v96, v60, v108, -v99
	v_add_f32_e32 v98, 0, v109
	v_add_f32_e32 v3, 0, v3
	s_waitcnt vmcnt(12)
	v_pk_fma_f32 v[60:61], v[62:63], v[4:5], v[52:53] op_sel:[0,0,1] op_sel_hi:[1,1,0] neg_lo:[0,0,1] neg_hi:[0,0,1]
	v_pk_fma_f32 v[4:5], v[62:63], v[4:5], v[52:53] op_sel:[0,0,1] op_sel_hi:[1,0,0]
	v_fmac_f32_e32 v111, v57, v105
	v_add_f32_e32 v4, v98, v110
	v_add_f32_e32 v3, v3, v101
	v_mov_b32_e32 v100, v77
	v_fmac_f32_e32 v95, v59, v107
	v_fma_f32 v94, v58, v107, -v112
	v_mov_b32_e32 v61, v5
	v_add_f32_e32 v5, v4, v111
	v_add_f32_e32 v4, v3, v103
	s_waitcnt lgkmcnt(3)
	v_pk_mul_f32 v[54:55], v[64:65], v[100:101] op_sel_hi:[1,0]
	v_pk_add_f32 v[4:5], v[4:5], v[94:95]
	v_mov_b32_e32 v102, v79
	s_waitcnt vmcnt(11)
	v_pk_fma_f32 v[52:53], v[64:65], v[76:77], v[54:55] op_sel:[0,0,1] op_sel_hi:[1,1,0] neg_lo:[0,0,1] neg_hi:[0,0,1]
	v_pk_fma_f32 v[54:55], v[64:65], v[76:77], v[54:55] op_sel:[0,0,1] op_sel_hi:[1,0,0]
	v_pk_add_f32 v[4:5], v[4:5], v[96:97]
	v_mov_b32_e32 v104, v81
	v_mov_b32_e32 v106, v83
	v_pk_mul_f32 v[56:57], v[66:67], v[102:103] op_sel_hi:[1,0]
	v_mov_b32_e32 v53, v55
	v_pk_add_f32 v[4:5], v[4:5], v[60:61]
	s_waitcnt lgkmcnt(2)
	v_pk_mul_f32 v[58:59], v[68:69], v[104:105] op_sel_hi:[1,0]
	s_waitcnt vmcnt(7)
	v_pk_fma_f32 v[62:63], v[66:67], v[78:79], v[56:57] op_sel:[0,0,1] op_sel_hi:[1,1,0] neg_lo:[0,0,1] neg_hi:[0,0,1]
	v_pk_fma_f32 v[56:57], v[66:67], v[78:79], v[56:57] op_sel:[0,0,1] op_sel_hi:[1,0,0]
	v_pk_add_f32 v[4:5], v[4:5], v[52:53]
	v_pk_mul_f32 v[52:53], v[70:71], v[106:107] op_sel_hi:[1,0]
	v_pk_fma_f32 v[64:65], v[68:69], v[80:81], v[58:59] op_sel:[0,0,1] op_sel_hi:[1,1,0] neg_lo:[0,0,1] neg_hi:[0,0,1]
	v_pk_fma_f32 v[58:59], v[68:69], v[80:81], v[58:59] op_sel:[0,0,1] op_sel_hi:[1,0,0]
	v_mov_b32_e32 v63, v57
	v_pk_fma_f32 v[54:55], v[70:71], v[82:83], v[52:53] op_sel:[0,0,1] op_sel_hi:[1,1,0] neg_lo:[0,0,1] neg_hi:[0,0,1]
	v_pk_fma_f32 v[52:53], v[70:71], v[82:83], v[52:53] op_sel:[0,0,1] op_sel_hi:[1,0,0]
	v_mov_b32_e32 v65, v59
	v_pk_add_f32 v[4:5], v[4:5], v[62:63]
	s_waitcnt vmcnt(6)
	v_mov_b32_e32 v52, v85
	v_pk_add_f32 v[4:5], v[4:5], v[64:65]
	v_mov_b32_e32 v55, v53
	s_waitcnt lgkmcnt(1)
	v_pk_mul_f32 v[52:53], v[72:73], v[52:53] op_sel_hi:[1,0]
	v_pk_add_f32 v[4:5], v[4:5], v[54:55]
	v_pk_fma_f32 v[54:55], v[72:73], v[84:85], v[52:53] op_sel:[0,0,1] op_sel_hi:[1,1,0] neg_lo:[0,0,1] neg_hi:[0,0,1]
	v_pk_fma_f32 v[52:53], v[72:73], v[84:85], v[52:53] op_sel:[0,0,1] op_sel_hi:[1,0,0]
	s_waitcnt vmcnt(5)
	v_mov_b32_e32 v52, v87
	v_mov_b32_e32 v55, v53
	v_pk_mul_f32 v[52:53], v[74:75], v[52:53] op_sel_hi:[1,0]
	v_pk_add_f32 v[4:5], v[4:5], v[54:55]
	s_waitcnt vmcnt(3)
	v_pk_fma_f32 v[54:55], v[74:75], v[86:87], v[52:53] op_sel:[0,0,1] op_sel_hi:[1,1,0] neg_lo:[0,0,1] neg_hi:[0,0,1]
	v_pk_fma_f32 v[52:53], v[74:75], v[86:87], v[52:53] op_sel:[0,0,1] op_sel_hi:[1,0,0]
	s_waitcnt vmcnt(2)
	v_mov_b32_e32 v52, v89
	v_mov_b32_e32 v55, v53
	s_waitcnt lgkmcnt(0)
	v_pk_mul_f32 v[52:53], v[92:93], v[52:53] op_sel_hi:[1,0]
	v_pk_add_f32 v[4:5], v[4:5], v[54:55]
	v_pk_fma_f32 v[54:55], v[92:93], v[88:89], v[52:53] op_sel:[0,0,1] op_sel_hi:[1,1,0] neg_lo:[0,0,1] neg_hi:[0,0,1]
	v_pk_fma_f32 v[52:53], v[92:93], v[88:89], v[52:53] op_sel:[0,0,1] op_sel_hi:[1,0,0]
	v_mov_b32_e32 v55, v53
	v_pk_add_f32 v[4:5], v[4:5], v[54:55]
	s_waitcnt vmcnt(0)
	v_pk_add_f32 v[4:5], v[90:91], v[4:5] neg_lo:[0,1] neg_hi:[0,1]
	buffer_store_dword v5, off, s[0:3], 0 offset:76
	buffer_store_dword v4, off, s[0:3], 0 offset:72
	s_and_saveexec_b64 s[4:5], vcc
	s_cbranch_execz .LBB22_135
; %bb.134:
	buffer_load_dword v4, off, s[0:3], 0 offset:64
	buffer_load_dword v5, off, s[0:3], 0 offset:68
	s_waitcnt vmcnt(0)
	ds_write_b64 v1, v[4:5]
	buffer_store_dword v2, off, s[0:3], 0 offset:64
	buffer_store_dword v2, off, s[0:3], 0 offset:68
.LBB22_135:
	s_or_b64 exec, exec, s[4:5]
	s_waitcnt lgkmcnt(0)
	; wave barrier
	s_waitcnt lgkmcnt(0)
	buffer_load_dword v94, off, s[0:3], 0 offset:76
	buffer_load_dword v96, off, s[0:3], 0 offset:84
	buffer_load_dword v98, off, s[0:3], 0 offset:92
	buffer_load_dword v99, off, s[0:3], 0 offset:100
	buffer_load_dword v100, off, s[0:3], 0 offset:108
	buffer_load_dword v101, off, s[0:3], 0 offset:116
	buffer_load_dword v77, off, s[0:3], 0 offset:124
	buffer_load_dword v79, off, s[0:3], 0 offset:132
	buffer_load_dword v81, off, s[0:3], 0 offset:140
	buffer_load_dword v103, off, s[0:3], 0 offset:72
	buffer_load_dword v104, off, s[0:3], 0 offset:80
	buffer_load_dword v105, off, s[0:3], 0 offset:88
	buffer_load_dword v106, off, s[0:3], 0 offset:96
	buffer_load_dword v107, off, s[0:3], 0 offset:104
	buffer_load_dword v108, off, s[0:3], 0 offset:112
	buffer_load_dword v76, off, s[0:3], 0 offset:120
	buffer_load_dword v82, off, s[0:3], 0 offset:152
	buffer_load_dword v84, off, s[0:3], 0 offset:144
	buffer_load_dword v80, off, s[0:3], 0 offset:136
	buffer_load_dword v78, off, s[0:3], 0 offset:128
	buffer_load_dword v85, off, s[0:3], 0 offset:148
	buffer_load_dword v83, off, s[0:3], 0 offset:156
	buffer_load_dword v87, off, s[0:3], 0 offset:164
	buffer_load_dword v88, off, s[0:3], 0 offset:176
	buffer_load_dword v90, off, s[0:3], 0 offset:168
	buffer_load_dword v86, off, s[0:3], 0 offset:160
	buffer_load_dword v91, off, s[0:3], 0 offset:172
	buffer_load_dword v92, off, s[0:3], 0 offset:64
	buffer_load_dword v93, off, s[0:3], 0 offset:68
	buffer_load_dword v89, off, s[0:3], 0 offset:180
	ds_read2_b64 v[52:55], v2 offset0:33 offset1:34
	ds_read2_b64 v[56:59], v2 offset0:35 offset1:36
	;; [unrolled: 1-line block ×7, first 2 shown]
	v_cmp_lt_u32_e32 vcc, 7, v0
	s_waitcnt vmcnt(29) lgkmcnt(6)
	v_mul_f32_e32 v109, v52, v94
	s_waitcnt vmcnt(28)
	v_mul_f32_e32 v110, v54, v96
	s_waitcnt vmcnt(27) lgkmcnt(5)
	v_mul_f32_e32 v111, v56, v98
	s_waitcnt vmcnt(26)
	v_mul_f32_e32 v112, v58, v99
	v_mul_f32_e32 v99, v59, v99
	s_waitcnt vmcnt(25) lgkmcnt(4)
	v_mul_f32_e32 v95, v60, v100
	s_waitcnt vmcnt(24)
	v_mul_f32_e32 v97, v62, v101
	v_mul_f32_e32 v94, v53, v94
	;; [unrolled: 1-line block ×6, first 2 shown]
	s_waitcnt vmcnt(23)
	v_mov_b32_e32 v98, v77
	s_waitcnt vmcnt(22)
	v_mov_b32_e32 v100, v79
	s_waitcnt vmcnt(17)
	v_fma_f32 v99, v58, v106, -v99
	v_fmac_f32_e32 v109, v53, v103
	v_fmac_f32_e32 v110, v55, v104
	;; [unrolled: 1-line block ×3, first 2 shown]
	v_fma_f32 v59, v52, v103, -v94
	v_fma_f32 v103, v54, v104, -v96
	s_waitcnt lgkmcnt(3)
	v_pk_mul_f32 v[52:53], v[64:65], v[98:99] op_sel_hi:[1,0]
	v_pk_mul_f32 v[54:55], v[66:67], v[100:101] op_sel_hi:[1,0]
	s_waitcnt vmcnt(16)
	v_fmac_f32_e32 v95, v61, v107
	v_fma_f32 v94, v60, v107, -v114
	v_add_f32_e32 v98, 0, v109
	v_add_f32_e32 v100, 0, v59
	s_waitcnt vmcnt(14)
	v_pk_fma_f32 v[58:59], v[64:65], v[76:77], v[52:53] op_sel:[0,0,1] op_sel_hi:[1,1,0] neg_lo:[0,0,1] neg_hi:[0,0,1]
	v_pk_fma_f32 v[52:53], v[64:65], v[76:77], v[52:53] op_sel:[0,0,1] op_sel_hi:[1,0,0]
	s_waitcnt vmcnt(10)
	v_pk_fma_f32 v[60:61], v[66:67], v[78:79], v[54:55] op_sel:[0,0,1] op_sel_hi:[1,1,0] neg_lo:[0,0,1] neg_hi:[0,0,1]
	v_pk_fma_f32 v[54:55], v[66:67], v[78:79], v[54:55] op_sel:[0,0,1] op_sel_hi:[1,0,0]
	v_fmac_f32_e32 v111, v57, v105
	v_fma_f32 v104, v56, v105, -v113
	v_add_f32_e32 v52, v98, v110
	v_add_f32_e32 v54, v100, v103
	;; [unrolled: 1-line block ×4, first 2 shown]
	v_mov_b32_e32 v102, v81
	v_mov_b32_e32 v59, v53
	v_add_f32_e32 v53, v52, v112
	v_add_f32_e32 v52, v54, v99
	v_fmac_f32_e32 v97, v63, v108
	v_fma_f32 v96, v62, v108, -v101
	s_waitcnt lgkmcnt(2)
	v_pk_mul_f32 v[56:57], v[68:69], v[102:103] op_sel_hi:[1,0]
	v_pk_add_f32 v[52:53], v[52:53], v[94:95]
	s_waitcnt vmcnt(9)
	v_mov_b32_e32 v54, v85
	v_pk_fma_f32 v[62:63], v[68:69], v[80:81], v[56:57] op_sel:[0,0,1] op_sel_hi:[1,1,0] neg_lo:[0,0,1] neg_hi:[0,0,1]
	v_pk_fma_f32 v[56:57], v[68:69], v[80:81], v[56:57] op_sel:[0,0,1] op_sel_hi:[1,0,0]
	v_mov_b32_e32 v61, v55
	v_pk_add_f32 v[52:53], v[52:53], v[96:97]
	v_pk_mul_f32 v[54:55], v[70:71], v[54:55] op_sel_hi:[1,0]
	v_mov_b32_e32 v63, v57
	v_pk_add_f32 v[52:53], v[52:53], v[58:59]
	v_pk_fma_f32 v[56:57], v[70:71], v[84:85], v[54:55] op_sel:[0,0,1] op_sel_hi:[1,1,0] neg_lo:[0,0,1] neg_hi:[0,0,1]
	v_pk_fma_f32 v[54:55], v[70:71], v[84:85], v[54:55] op_sel:[0,0,1] op_sel_hi:[1,0,0]
	v_pk_add_f32 v[52:53], v[52:53], v[60:61]
	s_waitcnt vmcnt(8)
	v_mov_b32_e32 v54, v83
	v_pk_add_f32 v[52:53], v[52:53], v[62:63]
	v_mov_b32_e32 v57, v55
	s_waitcnt lgkmcnt(1)
	v_pk_mul_f32 v[54:55], v[72:73], v[54:55] op_sel_hi:[1,0]
	v_pk_add_f32 v[52:53], v[52:53], v[56:57]
	v_pk_fma_f32 v[56:57], v[72:73], v[82:83], v[54:55] op_sel:[0,0,1] op_sel_hi:[1,1,0] neg_lo:[0,0,1] neg_hi:[0,0,1]
	v_pk_fma_f32 v[54:55], v[72:73], v[82:83], v[54:55] op_sel:[0,0,1] op_sel_hi:[1,0,0]
	s_waitcnt vmcnt(7)
	v_mov_b32_e32 v54, v87
	v_mov_b32_e32 v57, v55
	v_pk_mul_f32 v[54:55], v[74:75], v[54:55] op_sel_hi:[1,0]
	v_pk_add_f32 v[52:53], v[52:53], v[56:57]
	s_waitcnt vmcnt(4)
	v_pk_fma_f32 v[56:57], v[74:75], v[86:87], v[54:55] op_sel:[0,0,1] op_sel_hi:[1,1,0] neg_lo:[0,0,1] neg_hi:[0,0,1]
	v_pk_fma_f32 v[54:55], v[74:75], v[86:87], v[54:55] op_sel:[0,0,1] op_sel_hi:[1,0,0]
	s_waitcnt vmcnt(3)
	v_mov_b32_e32 v54, v91
	v_mov_b32_e32 v57, v55
	s_waitcnt lgkmcnt(0)
	v_pk_mul_f32 v[54:55], v[2:3], v[54:55] op_sel_hi:[1,0]
	v_pk_add_f32 v[52:53], v[52:53], v[56:57]
	v_pk_fma_f32 v[56:57], v[2:3], v[90:91], v[54:55] op_sel:[0,0,1] op_sel_hi:[1,1,0] neg_lo:[0,0,1] neg_hi:[0,0,1]
	v_pk_fma_f32 v[2:3], v[2:3], v[90:91], v[54:55] op_sel:[0,0,1] op_sel_hi:[1,0,0]
	v_mov_b32_e32 v57, v3
	v_pk_add_f32 v[2:3], v[52:53], v[56:57]
	s_waitcnt vmcnt(0)
	v_mov_b32_e32 v52, v89
	v_pk_mul_f32 v[52:53], v[4:5], v[52:53] op_sel_hi:[1,0]
	v_pk_fma_f32 v[54:55], v[4:5], v[88:89], v[52:53] op_sel:[0,0,1] op_sel_hi:[1,1,0] neg_lo:[0,0,1] neg_hi:[0,0,1]
	v_pk_fma_f32 v[4:5], v[4:5], v[88:89], v[52:53] op_sel:[0,0,1] op_sel_hi:[1,0,0]
	v_mov_b32_e32 v55, v5
	v_pk_add_f32 v[2:3], v[2:3], v[54:55]
	v_pk_add_f32 v[2:3], v[92:93], v[2:3] neg_lo:[0,1] neg_hi:[0,1]
	buffer_store_dword v3, off, s[0:3], 0 offset:68
	buffer_store_dword v2, off, s[0:3], 0 offset:64
	s_and_saveexec_b64 s[4:5], vcc
	s_cbranch_execz .LBB22_137
; %bb.136:
	buffer_load_dword v2, off, s[0:3], 0 offset:56
	buffer_load_dword v3, off, s[0:3], 0 offset:60
	v_mov_b32_e32 v4, 0
	buffer_store_dword v4, off, s[0:3], 0 offset:56
	buffer_store_dword v4, off, s[0:3], 0 offset:60
	s_waitcnt vmcnt(2)
	ds_write_b64 v1, v[2:3]
.LBB22_137:
	s_or_b64 exec, exec, s[4:5]
	s_waitcnt lgkmcnt(0)
	; wave barrier
	s_waitcnt lgkmcnt(0)
	buffer_load_dword v3, off, s[0:3], 0 offset:68
	buffer_load_dword v98, off, s[0:3], 0 offset:76
	;; [unrolled: 1-line block ×32, first 2 shown]
	v_mov_b32_e32 v2, 0
	ds_read_b128 v[52:55], v2 offset:256
	ds_read_b128 v[56:59], v2 offset:272
	;; [unrolled: 1-line block ×7, first 2 shown]
	ds_read_b64 v[96:97], v2 offset:368
	v_cmp_lt_u32_e32 vcc, 6, v0
	s_waitcnt vmcnt(31) lgkmcnt(7)
	v_mul_f32_e32 v113, v52, v3
	v_mul_f32_e32 v3, v53, v3
	s_waitcnt vmcnt(30)
	v_mul_f32_e32 v114, v54, v98
	s_waitcnt vmcnt(28) lgkmcnt(6)
	v_mul_f32_e32 v116, v58, v102
	s_waitcnt vmcnt(27) lgkmcnt(5)
	v_mul_f32_e32 v117, v60, v103
	v_mul_f32_e32 v118, v59, v102
	;; [unrolled: 1-line block ×3, first 2 shown]
	s_waitcnt vmcnt(24)
	v_mov_b32_e32 v102, v5
	v_mul_f32_e32 v115, v56, v100
	v_mul_f32_e32 v98, v55, v98
	s_waitcnt vmcnt(22)
	v_fmac_f32_e32 v113, v53, v106
	v_fma_f32 v3, v52, v106, -v3
	s_waitcnt lgkmcnt(4)
	v_pk_mul_f32 v[52:53], v[66:67], v[102:103] op_sel_hi:[1,0]
	v_mul_f32_e32 v100, v57, v100
	s_waitcnt vmcnt(21)
	v_fmac_f32_e32 v114, v55, v107
	s_waitcnt vmcnt(20)
	v_fmac_f32_e32 v115, v57, v108
	;; [unrolled: 2-line block ×3, first 2 shown]
	v_fma_f32 v57, v54, v107, -v98
	s_waitcnt vmcnt(18)
	v_fma_f32 v59, v60, v110, -v103
	v_add_f32_e32 v60, 0, v113
	v_add_f32_e32 v3, 0, v3
	s_waitcnt vmcnt(12)
	v_pk_fma_f32 v[54:55], v[66:67], v[4:5], v[52:53] op_sel:[0,0,1] op_sel_hi:[1,1,0] neg_lo:[0,0,1] neg_hi:[0,0,1]
	v_pk_fma_f32 v[4:5], v[66:67], v[4:5], v[52:53] op_sel:[0,0,1] op_sel_hi:[1,0,0]
	v_fma_f32 v56, v56, v108, -v100
	v_add_f32_e32 v4, v60, v114
	v_add_f32_e32 v3, v3, v57
	v_fma_f32 v58, v58, v109, -v118
	v_add_f32_e32 v4, v4, v115
	v_add_f32_e32 v3, v3, v56
	v_mul_f32_e32 v99, v62, v104
	v_mul_f32_e32 v119, v63, v104
	v_fmac_f32_e32 v117, v61, v110
	v_add_f32_e32 v4, v4, v116
	v_add_f32_e32 v3, v3, v58
	v_mul_f32_e32 v101, v64, v105
	v_mul_f32_e32 v105, v65, v105
	v_fmac_f32_e32 v99, v63, v111
	v_fma_f32 v98, v62, v111, -v119
	v_mov_b32_e32 v55, v5
	v_add_f32_e32 v5, v4, v117
	v_add_f32_e32 v4, v3, v59
	v_mov_b32_e32 v104, v81
	v_fmac_f32_e32 v101, v65, v112
	v_fma_f32 v100, v64, v112, -v105
	v_pk_add_f32 v[4:5], v[4:5], v[98:99]
	v_pk_add_f32 v[4:5], v[4:5], v[100:101]
	s_waitcnt lgkmcnt(3)
	v_pk_mul_f32 v[52:53], v[68:69], v[104:105] op_sel_hi:[1,0]
	v_pk_add_f32 v[4:5], v[4:5], v[54:55]
	v_pk_fma_f32 v[54:55], v[68:69], v[80:81], v[52:53] op_sel:[0,0,1] op_sel_hi:[1,1,0] neg_lo:[0,0,1] neg_hi:[0,0,1]
	v_pk_fma_f32 v[52:53], v[68:69], v[80:81], v[52:53] op_sel:[0,0,1] op_sel_hi:[1,0,0]
	s_waitcnt vmcnt(11)
	v_mov_b32_e32 v52, v85
	v_mov_b32_e32 v55, v53
	v_pk_mul_f32 v[52:53], v[70:71], v[52:53] op_sel_hi:[1,0]
	v_pk_add_f32 v[4:5], v[4:5], v[54:55]
	v_pk_fma_f32 v[54:55], v[70:71], v[84:85], v[52:53] op_sel:[0,0,1] op_sel_hi:[1,1,0] neg_lo:[0,0,1] neg_hi:[0,0,1]
	v_pk_fma_f32 v[52:53], v[70:71], v[84:85], v[52:53] op_sel:[0,0,1] op_sel_hi:[1,0,0]
	s_waitcnt vmcnt(10)
	v_mov_b32_e32 v52, v83
	v_mov_b32_e32 v55, v53
	s_waitcnt lgkmcnt(2)
	v_pk_mul_f32 v[52:53], v[72:73], v[52:53] op_sel_hi:[1,0]
	v_pk_add_f32 v[4:5], v[4:5], v[54:55]
	v_pk_fma_f32 v[54:55], v[72:73], v[82:83], v[52:53] op_sel:[0,0,1] op_sel_hi:[1,1,0] neg_lo:[0,0,1] neg_hi:[0,0,1]
	v_pk_fma_f32 v[52:53], v[72:73], v[82:83], v[52:53] op_sel:[0,0,1] op_sel_hi:[1,0,0]
	s_waitcnt vmcnt(9)
	v_mov_b32_e32 v52, v87
	v_mov_b32_e32 v55, v53
	v_pk_mul_f32 v[52:53], v[74:75], v[52:53] op_sel_hi:[1,0]
	v_pk_add_f32 v[4:5], v[4:5], v[54:55]
	s_waitcnt vmcnt(4)
	v_pk_fma_f32 v[54:55], v[74:75], v[86:87], v[52:53] op_sel:[0,0,1] op_sel_hi:[1,1,0] neg_lo:[0,0,1] neg_hi:[0,0,1]
	v_pk_fma_f32 v[52:53], v[74:75], v[86:87], v[52:53] op_sel:[0,0,1] op_sel_hi:[1,0,0]
	v_mov_b32_e32 v52, v93
	v_mov_b32_e32 v55, v53
	s_waitcnt lgkmcnt(1)
	v_pk_mul_f32 v[52:53], v[76:77], v[52:53] op_sel_hi:[1,0]
	v_pk_add_f32 v[4:5], v[4:5], v[54:55]
	v_pk_fma_f32 v[54:55], v[76:77], v[92:93], v[52:53] op_sel:[0,0,1] op_sel_hi:[1,1,0] neg_lo:[0,0,1] neg_hi:[0,0,1]
	v_pk_fma_f32 v[52:53], v[76:77], v[92:93], v[52:53] op_sel:[0,0,1] op_sel_hi:[1,0,0]
	s_waitcnt vmcnt(3)
	v_mov_b32_e32 v52, v91
	v_mov_b32_e32 v55, v53
	v_pk_mul_f32 v[52:53], v[78:79], v[52:53] op_sel_hi:[1,0]
	v_pk_add_f32 v[4:5], v[4:5], v[54:55]
	v_pk_fma_f32 v[54:55], v[78:79], v[90:91], v[52:53] op_sel:[0,0,1] op_sel_hi:[1,1,0] neg_lo:[0,0,1] neg_hi:[0,0,1]
	v_pk_fma_f32 v[52:53], v[78:79], v[90:91], v[52:53] op_sel:[0,0,1] op_sel_hi:[1,0,0]
	s_waitcnt vmcnt(0)
	v_mov_b32_e32 v52, v89
	v_mov_b32_e32 v55, v53
	s_waitcnt lgkmcnt(0)
	v_pk_mul_f32 v[52:53], v[96:97], v[52:53] op_sel_hi:[1,0]
	v_pk_add_f32 v[4:5], v[4:5], v[54:55]
	v_pk_fma_f32 v[54:55], v[96:97], v[88:89], v[52:53] op_sel:[0,0,1] op_sel_hi:[1,1,0] neg_lo:[0,0,1] neg_hi:[0,0,1]
	v_pk_fma_f32 v[52:53], v[96:97], v[88:89], v[52:53] op_sel:[0,0,1] op_sel_hi:[1,0,0]
	v_mov_b32_e32 v55, v53
	v_pk_add_f32 v[4:5], v[4:5], v[54:55]
	v_pk_add_f32 v[4:5], v[94:95], v[4:5] neg_lo:[0,1] neg_hi:[0,1]
	buffer_store_dword v5, off, s[0:3], 0 offset:60
	buffer_store_dword v4, off, s[0:3], 0 offset:56
	s_and_saveexec_b64 s[4:5], vcc
	s_cbranch_execz .LBB22_139
; %bb.138:
	buffer_load_dword v4, off, s[0:3], 0 offset:48
	buffer_load_dword v5, off, s[0:3], 0 offset:52
	s_waitcnt vmcnt(0)
	ds_write_b64 v1, v[4:5]
	buffer_store_dword v2, off, s[0:3], 0 offset:48
	buffer_store_dword v2, off, s[0:3], 0 offset:52
.LBB22_139:
	s_or_b64 exec, exec, s[4:5]
	s_waitcnt lgkmcnt(0)
	; wave barrier
	s_waitcnt lgkmcnt(0)
	buffer_load_dword v98, off, s[0:3], 0 offset:60
	buffer_load_dword v100, off, s[0:3], 0 offset:68
	;; [unrolled: 1-line block ×32, first 2 shown]
	ds_read2_b64 v[52:55], v2 offset0:31 offset1:32
	ds_read2_b64 v[56:59], v2 offset0:33 offset1:34
	;; [unrolled: 1-line block ×4, first 2 shown]
	buffer_load_dword v97, off, s[0:3], 0 offset:180
	buffer_load_dword v96, off, s[0:3], 0 offset:176
	ds_read2_b64 v[68:71], v2 offset0:39 offset1:40
	ds_read2_b64 v[72:75], v2 offset0:41 offset1:42
	;; [unrolled: 1-line block ×4, first 2 shown]
	v_cmp_lt_u32_e32 vcc, 5, v0
	s_waitcnt vmcnt(33) lgkmcnt(7)
	v_mul_f32_e32 v116, v52, v98
	v_mul_f32_e32 v98, v53, v98
	s_waitcnt vmcnt(32)
	v_mul_f32_e32 v117, v54, v100
	s_waitcnt vmcnt(30) lgkmcnt(6)
	v_mul_f32_e32 v119, v58, v103
	v_mul_f32_e32 v100, v55, v100
	v_mul_f32_e32 v103, v59, v103
	v_mul_f32_e32 v118, v56, v102
	v_mul_f32_e32 v102, v57, v102
	s_waitcnt vmcnt(25)
	v_fmac_f32_e32 v116, v53, v108
	v_fma_f32 v52, v52, v108, -v98
	s_waitcnt vmcnt(24)
	v_fmac_f32_e32 v117, v55, v109
	v_fma_f32 v53, v54, v109, -v100
	s_waitcnt vmcnt(22)
	v_fma_f32 v55, v58, v111, -v103
	v_add_f32_e32 v58, 0, v116
	v_add_f32_e32 v52, 0, v52
	v_fmac_f32_e32 v118, v57, v110
	v_fma_f32 v54, v56, v110, -v102
	v_add_f32_e32 v58, v58, v117
	v_add_f32_e32 v52, v52, v53
	s_waitcnt lgkmcnt(5)
	v_mul_f32_e32 v120, v60, v104
	v_mul_f32_e32 v104, v61, v104
	v_fmac_f32_e32 v119, v59, v111
	v_add_f32_e32 v53, v58, v118
	v_add_f32_e32 v52, v52, v54
	v_mul_f32_e32 v121, v62, v105
	v_mul_f32_e32 v105, v63, v105
	s_waitcnt vmcnt(21)
	v_fmac_f32_e32 v120, v61, v112
	v_fma_f32 v56, v60, v112, -v104
	v_add_f32_e32 v53, v53, v119
	v_add_f32_e32 v52, v52, v55
	s_waitcnt vmcnt(17)
	v_mov_b32_e32 v54, v81
	s_waitcnt lgkmcnt(4)
	v_mul_f32_e32 v99, v64, v106
	v_mul_f32_e32 v106, v65, v106
	v_fmac_f32_e32 v121, v63, v113
	v_fma_f32 v57, v62, v113, -v105
	v_add_f32_e32 v53, v53, v120
	v_add_f32_e32 v52, v52, v56
	s_waitcnt lgkmcnt(3)
	v_pk_mul_f32 v[54:55], v[68:69], v[54:55] op_sel_hi:[1,0]
	v_mul_f32_e32 v101, v66, v107
	v_mul_f32_e32 v107, v67, v107
	v_fmac_f32_e32 v99, v65, v114
	v_fma_f32 v98, v64, v114, -v106
	v_add_f32_e32 v53, v53, v121
	v_add_f32_e32 v52, v52, v57
	s_waitcnt vmcnt(14)
	v_pk_fma_f32 v[56:57], v[68:69], v[80:81], v[54:55] op_sel:[0,0,1] op_sel_hi:[1,1,0] neg_lo:[0,0,1] neg_hi:[0,0,1]
	v_pk_fma_f32 v[54:55], v[68:69], v[80:81], v[54:55] op_sel:[0,0,1] op_sel_hi:[1,0,0]
	v_fmac_f32_e32 v101, v67, v115
	v_fma_f32 v100, v66, v115, -v107
	v_pk_add_f32 v[52:53], v[52:53], v[98:99]
	s_waitcnt vmcnt(13)
	v_mov_b32_e32 v54, v85
	v_pk_add_f32 v[52:53], v[52:53], v[100:101]
	v_mov_b32_e32 v57, v55
	v_pk_mul_f32 v[54:55], v[70:71], v[54:55] op_sel_hi:[1,0]
	v_pk_add_f32 v[52:53], v[52:53], v[56:57]
	v_pk_fma_f32 v[56:57], v[70:71], v[84:85], v[54:55] op_sel:[0,0,1] op_sel_hi:[1,1,0] neg_lo:[0,0,1] neg_hi:[0,0,1]
	v_pk_fma_f32 v[54:55], v[70:71], v[84:85], v[54:55] op_sel:[0,0,1] op_sel_hi:[1,0,0]
	s_waitcnt vmcnt(12)
	v_mov_b32_e32 v54, v83
	v_mov_b32_e32 v57, v55
	s_waitcnt lgkmcnt(2)
	v_pk_mul_f32 v[54:55], v[72:73], v[54:55] op_sel_hi:[1,0]
	v_pk_add_f32 v[52:53], v[52:53], v[56:57]
	v_pk_fma_f32 v[56:57], v[72:73], v[82:83], v[54:55] op_sel:[0,0,1] op_sel_hi:[1,1,0] neg_lo:[0,0,1] neg_hi:[0,0,1]
	v_pk_fma_f32 v[54:55], v[72:73], v[82:83], v[54:55] op_sel:[0,0,1] op_sel_hi:[1,0,0]
	s_waitcnt vmcnt(11)
	v_mov_b32_e32 v54, v87
	v_mov_b32_e32 v57, v55
	v_pk_mul_f32 v[54:55], v[74:75], v[54:55] op_sel_hi:[1,0]
	v_pk_add_f32 v[52:53], v[52:53], v[56:57]
	s_waitcnt vmcnt(5)
	v_pk_fma_f32 v[56:57], v[74:75], v[86:87], v[54:55] op_sel:[0,0,1] op_sel_hi:[1,1,0] neg_lo:[0,0,1] neg_hi:[0,0,1]
	v_pk_fma_f32 v[54:55], v[74:75], v[86:87], v[54:55] op_sel:[0,0,1] op_sel_hi:[1,0,0]
	v_mov_b32_e32 v54, v93
	v_mov_b32_e32 v57, v55
	s_waitcnt lgkmcnt(1)
	v_pk_mul_f32 v[54:55], v[76:77], v[54:55] op_sel_hi:[1,0]
	v_pk_add_f32 v[52:53], v[52:53], v[56:57]
	v_pk_fma_f32 v[56:57], v[76:77], v[92:93], v[54:55] op_sel:[0,0,1] op_sel_hi:[1,1,0] neg_lo:[0,0,1] neg_hi:[0,0,1]
	v_pk_fma_f32 v[54:55], v[76:77], v[92:93], v[54:55] op_sel:[0,0,1] op_sel_hi:[1,0,0]
	v_mov_b32_e32 v54, v91
	v_mov_b32_e32 v57, v55
	v_pk_mul_f32 v[54:55], v[78:79], v[54:55] op_sel_hi:[1,0]
	v_pk_add_f32 v[52:53], v[52:53], v[56:57]
	v_pk_fma_f32 v[56:57], v[78:79], v[90:91], v[54:55] op_sel:[0,0,1] op_sel_hi:[1,1,0] neg_lo:[0,0,1] neg_hi:[0,0,1]
	v_pk_fma_f32 v[54:55], v[78:79], v[90:91], v[54:55] op_sel:[0,0,1] op_sel_hi:[1,0,0]
	s_waitcnt vmcnt(2)
	v_mov_b32_e32 v54, v89
	v_mov_b32_e32 v57, v55
	s_waitcnt lgkmcnt(0)
	v_pk_mul_f32 v[54:55], v[2:3], v[54:55] op_sel_hi:[1,0]
	v_pk_add_f32 v[52:53], v[52:53], v[56:57]
	v_pk_fma_f32 v[56:57], v[2:3], v[88:89], v[54:55] op_sel:[0,0,1] op_sel_hi:[1,1,0] neg_lo:[0,0,1] neg_hi:[0,0,1]
	v_pk_fma_f32 v[2:3], v[2:3], v[88:89], v[54:55] op_sel:[0,0,1] op_sel_hi:[1,0,0]
	v_mov_b32_e32 v57, v3
	v_pk_add_f32 v[2:3], v[52:53], v[56:57]
	s_waitcnt vmcnt(1)
	v_mov_b32_e32 v52, v97
	v_pk_mul_f32 v[52:53], v[4:5], v[52:53] op_sel_hi:[1,0]
	s_waitcnt vmcnt(0)
	v_pk_fma_f32 v[54:55], v[4:5], v[96:97], v[52:53] op_sel:[0,0,1] op_sel_hi:[1,1,0] neg_lo:[0,0,1] neg_hi:[0,0,1]
	v_pk_fma_f32 v[4:5], v[4:5], v[96:97], v[52:53] op_sel:[0,0,1] op_sel_hi:[1,0,0]
	v_mov_b32_e32 v55, v5
	v_pk_add_f32 v[2:3], v[2:3], v[54:55]
	v_pk_add_f32 v[2:3], v[94:95], v[2:3] neg_lo:[0,1] neg_hi:[0,1]
	buffer_store_dword v3, off, s[0:3], 0 offset:52
	buffer_store_dword v2, off, s[0:3], 0 offset:48
	s_and_saveexec_b64 s[4:5], vcc
	s_cbranch_execz .LBB22_141
; %bb.140:
	buffer_load_dword v2, off, s[0:3], 0 offset:40
	buffer_load_dword v3, off, s[0:3], 0 offset:44
	v_mov_b32_e32 v4, 0
	buffer_store_dword v4, off, s[0:3], 0 offset:40
	buffer_store_dword v4, off, s[0:3], 0 offset:44
	s_waitcnt vmcnt(2)
	ds_write_b64 v1, v[2:3]
.LBB22_141:
	s_or_b64 exec, exec, s[4:5]
	s_waitcnt lgkmcnt(0)
	; wave barrier
	s_waitcnt lgkmcnt(0)
	buffer_load_dword v3, off, s[0:3], 0 offset:52
	buffer_load_dword v92, off, s[0:3], 0 offset:60
	;; [unrolled: 1-line block ×36, first 2 shown]
	v_mov_b32_e32 v2, 0
	ds_read_b128 v[52:55], v2 offset:240
	ds_read_b128 v[56:59], v2 offset:256
	ds_read_b128 v[60:63], v2 offset:272
	ds_read_b128 v[64:67], v2 offset:288
	ds_read_b128 v[68:71], v2 offset:304
	ds_read_b128 v[72:75], v2 offset:320
	v_cmp_lt_u32_e32 vcc, 4, v0
	s_waitcnt vmcnt(35) lgkmcnt(5)
	v_mul_f32_e32 v111, v52, v3
	s_waitcnt vmcnt(34)
	v_mul_f32_e32 v112, v54, v92
	s_waitcnt vmcnt(33) lgkmcnt(4)
	v_mul_f32_e32 v113, v56, v94
	v_mul_f32_e32 v3, v53, v3
	;; [unrolled: 1-line block ×4, first 2 shown]
	s_waitcnt vmcnt(32)
	v_mul_f32_e32 v114, v58, v96
	s_waitcnt vmcnt(31) lgkmcnt(3)
	v_mul_f32_e32 v115, v60, v97
	v_mul_f32_e32 v96, v59, v96
	s_waitcnt vmcnt(26)
	v_fmac_f32_e32 v111, v53, v102
	s_waitcnt vmcnt(25)
	v_fmac_f32_e32 v112, v55, v103
	;; [unrolled: 2-line block ×3, first 2 shown]
	v_fma_f32 v3, v52, v102, -v3
	v_add_f32_e32 v57, 0, v111
	v_fma_f32 v52, v54, v103, -v92
	v_add_f32_e32 v3, 0, v3
	v_add_f32_e32 v57, v57, v112
	s_waitcnt vmcnt(23)
	v_fmac_f32_e32 v114, v59, v105
	v_fma_f32 v53, v56, v104, -v94
	v_add_f32_e32 v3, v3, v52
	v_add_f32_e32 v52, v57, v113
	v_mul_f32_e32 v116, v62, v98
	v_mul_f32_e32 v97, v61, v97
	s_waitcnt vmcnt(22)
	v_fmac_f32_e32 v115, v61, v106
	v_fma_f32 v54, v58, v105, -v96
	v_add_f32_e32 v3, v3, v53
	v_add_f32_e32 v52, v52, v114
	s_waitcnt lgkmcnt(2)
	v_mul_f32_e32 v117, v64, v99
	v_mul_f32_e32 v98, v63, v98
	s_waitcnt vmcnt(21)
	v_fmac_f32_e32 v116, v63, v107
	v_fma_f32 v55, v60, v106, -v97
	v_add_f32_e32 v3, v3, v54
	v_add_f32_e32 v52, v52, v115
	v_mul_f32_e32 v99, v65, v99
	s_waitcnt vmcnt(20)
	v_fmac_f32_e32 v117, v65, v108
	v_fma_f32 v56, v62, v107, -v98
	v_add_f32_e32 v3, v3, v55
	v_add_f32_e32 v52, v52, v116
	;; [unrolled: 1-line block ×4, first 2 shown]
	v_fma_f32 v52, v64, v108, -v99
	v_mul_f32_e32 v93, v66, v100
	v_add_f32_e32 v60, v3, v52
	v_mul_f32_e32 v3, v67, v100
	s_waitcnt vmcnt(17)
	v_mov_b32_e32 v64, v5
	s_waitcnt lgkmcnt(1)
	v_mul_f32_e32 v95, v68, v101
	v_fmac_f32_e32 v93, v67, v109
	v_fma_f32 v92, v66, v109, -v3
	v_mul_f32_e32 v3, v69, v101
	v_pk_mul_f32 v[64:65], v[70:71], v[64:65] op_sel_hi:[1,0]
	v_fmac_f32_e32 v95, v69, v110
	v_fma_f32 v94, v68, v110, -v3
	v_pk_add_f32 v[60:61], v[60:61], v[92:93]
	s_waitcnt vmcnt(15)
	v_pk_fma_f32 v[66:67], v[70:71], v[4:5], v[64:65] op_sel:[0,0,1] op_sel_hi:[1,1,0] neg_lo:[0,0,1] neg_hi:[0,0,1]
	v_pk_fma_f32 v[4:5], v[70:71], v[4:5], v[64:65] op_sel:[0,0,1] op_sel_hi:[1,0,0]
	v_pk_add_f32 v[60:61], v[60:61], v[94:95]
	v_mov_b32_e32 v67, v5
	v_pk_add_f32 v[4:5], v[60:61], v[66:67]
	s_waitcnt vmcnt(12)
	v_mov_b32_e32 v60, v77
	s_waitcnt lgkmcnt(0)
	v_pk_mul_f32 v[60:61], v[72:73], v[60:61] op_sel_hi:[1,0]
	v_pk_fma_f32 v[64:65], v[72:73], v[76:77], v[60:61] op_sel:[0,0,1] op_sel_hi:[1,1,0] neg_lo:[0,0,1] neg_hi:[0,0,1]
	v_pk_fma_f32 v[60:61], v[72:73], v[76:77], v[60:61] op_sel:[0,0,1] op_sel_hi:[1,0,0]
	s_waitcnt vmcnt(11)
	v_mov_b32_e32 v60, v81
	ds_read_b128 v[52:55], v2 offset:336
	ds_read_b128 v[56:59], v2 offset:352
	ds_read_b64 v[62:63], v2 offset:368
	v_mov_b32_e32 v65, v61
	v_pk_mul_f32 v[60:61], v[74:75], v[60:61] op_sel_hi:[1,0]
	v_pk_add_f32 v[4:5], v[4:5], v[64:65]
	s_waitcnt vmcnt(4)
	v_pk_fma_f32 v[64:65], v[74:75], v[80:81], v[60:61] op_sel:[0,0,1] op_sel_hi:[1,1,0] neg_lo:[0,0,1] neg_hi:[0,0,1]
	v_pk_fma_f32 v[60:61], v[74:75], v[80:81], v[60:61] op_sel:[0,0,1] op_sel_hi:[1,0,0]
	v_mov_b32_e32 v60, v87
	v_mov_b32_e32 v65, v61
	s_waitcnt lgkmcnt(2)
	v_pk_mul_f32 v[60:61], v[52:53], v[60:61] op_sel_hi:[1,0]
	v_pk_add_f32 v[4:5], v[4:5], v[64:65]
	v_pk_fma_f32 v[64:65], v[52:53], v[86:87], v[60:61] op_sel:[0,0,1] op_sel_hi:[1,1,0] neg_lo:[0,0,1] neg_hi:[0,0,1]
	v_pk_fma_f32 v[52:53], v[52:53], v[86:87], v[60:61] op_sel:[0,0,1] op_sel_hi:[1,0,0]
	v_mov_b32_e32 v52, v85
	v_mov_b32_e32 v65, v53
	v_pk_mul_f32 v[52:53], v[54:55], v[52:53] op_sel_hi:[1,0]
	v_pk_fma_f32 v[60:61], v[54:55], v[84:85], v[52:53] op_sel:[0,0,1] op_sel_hi:[1,1,0] neg_lo:[0,0,1] neg_hi:[0,0,1]
	v_pk_fma_f32 v[52:53], v[54:55], v[84:85], v[52:53] op_sel:[0,0,1] op_sel_hi:[1,0,0]
	v_mov_b32_e32 v52, v83
	v_mov_b32_e32 v61, v53
	s_waitcnt lgkmcnt(1)
	v_pk_mul_f32 v[52:53], v[56:57], v[52:53] op_sel_hi:[1,0]
	v_pk_fma_f32 v[54:55], v[56:57], v[82:83], v[52:53] op_sel:[0,0,1] op_sel_hi:[1,1,0] neg_lo:[0,0,1] neg_hi:[0,0,1]
	v_pk_fma_f32 v[52:53], v[56:57], v[82:83], v[52:53] op_sel:[0,0,1] op_sel_hi:[1,0,0]
	v_pk_add_f32 v[4:5], v[4:5], v[64:65]
	s_waitcnt vmcnt(1)
	v_mov_b32_e32 v52, v91
	v_pk_add_f32 v[4:5], v[4:5], v[60:61]
	v_mov_b32_e32 v55, v53
	v_pk_mul_f32 v[52:53], v[58:59], v[52:53] op_sel_hi:[1,0]
	v_pk_add_f32 v[4:5], v[4:5], v[54:55]
	s_waitcnt vmcnt(0)
	v_pk_fma_f32 v[54:55], v[58:59], v[90:91], v[52:53] op_sel:[0,0,1] op_sel_hi:[1,1,0] neg_lo:[0,0,1] neg_hi:[0,0,1]
	v_pk_fma_f32 v[52:53], v[58:59], v[90:91], v[52:53] op_sel:[0,0,1] op_sel_hi:[1,0,0]
	v_mov_b32_e32 v52, v89
	v_mov_b32_e32 v55, v53
	s_waitcnt lgkmcnt(0)
	v_pk_mul_f32 v[52:53], v[62:63], v[52:53] op_sel_hi:[1,0]
	v_pk_add_f32 v[4:5], v[4:5], v[54:55]
	v_pk_fma_f32 v[54:55], v[62:63], v[88:89], v[52:53] op_sel:[0,0,1] op_sel_hi:[1,1,0] neg_lo:[0,0,1] neg_hi:[0,0,1]
	v_pk_fma_f32 v[52:53], v[62:63], v[88:89], v[52:53] op_sel:[0,0,1] op_sel_hi:[1,0,0]
	v_mov_b32_e32 v55, v53
	v_pk_add_f32 v[4:5], v[4:5], v[54:55]
	v_pk_add_f32 v[4:5], v[78:79], v[4:5] neg_lo:[0,1] neg_hi:[0,1]
	buffer_store_dword v5, off, s[0:3], 0 offset:44
	buffer_store_dword v4, off, s[0:3], 0 offset:40
	s_and_saveexec_b64 s[4:5], vcc
	s_cbranch_execz .LBB22_143
; %bb.142:
	buffer_load_dword v4, off, s[0:3], 0 offset:32
	buffer_load_dword v5, off, s[0:3], 0 offset:36
	s_waitcnt vmcnt(0)
	ds_write_b64 v1, v[4:5]
	buffer_store_dword v2, off, s[0:3], 0 offset:32
	buffer_store_dword v2, off, s[0:3], 0 offset:36
.LBB22_143:
	s_or_b64 exec, exec, s[4:5]
	s_waitcnt lgkmcnt(0)
	; wave barrier
	s_waitcnt lgkmcnt(0)
	buffer_load_dword v3, off, s[0:3], 0 offset:44
	buffer_load_dword v4, off, s[0:3], 0 offset:52
	;; [unrolled: 1-line block ×22, first 2 shown]
	ds_read2_b64 v[52:55], v2 offset0:29 offset1:30
	ds_read2_b64 v[56:59], v2 offset0:31 offset1:32
	buffer_load_dword v79, off, s[0:3], 0 offset:124
	buffer_load_dword v78, off, s[0:3], 0 offset:120
	;; [unrolled: 1-line block ×10, first 2 shown]
	ds_read2_b64 v[60:63], v2 offset0:33 offset1:34
	ds_read2_b64 v[64:67], v2 offset0:35 offset1:36
	;; [unrolled: 1-line block ×4, first 2 shown]
	buffer_load_dword v89, off, s[0:3], 0 offset:180
	buffer_load_dword v88, off, s[0:3], 0 offset:176
	;; [unrolled: 1-line block ×6, first 2 shown]
	v_cmp_lt_u32_e32 vcc, 3, v0
	s_waitcnt vmcnt(37) lgkmcnt(5)
	v_mul_f32_e32 v113, v52, v3
	s_waitcnt vmcnt(36)
	v_mul_f32_e32 v114, v54, v4
	v_mul_f32_e32 v3, v53, v3
	;; [unrolled: 1-line block ×3, first 2 shown]
	s_waitcnt vmcnt(35) lgkmcnt(4)
	v_mul_f32_e32 v115, v56, v5
	s_waitcnt vmcnt(34)
	v_mul_f32_e32 v116, v58, v94
	s_waitcnt vmcnt(33) lgkmcnt(3)
	v_mul_f32_e32 v117, v60, v96
	s_waitcnt vmcnt(32)
	v_mul_f32_e32 v118, v62, v98
	v_mul_f32_e32 v5, v57, v5
	s_waitcnt vmcnt(31) lgkmcnt(2)
	v_mul_f32_e32 v119, v64, v99
	s_waitcnt vmcnt(27)
	v_fmac_f32_e32 v113, v53, v103
	s_waitcnt vmcnt(26)
	v_fmac_f32_e32 v114, v55, v104
	v_fma_f32 v3, v52, v103, -v3
	v_fma_f32 v4, v54, v104, -v4
	v_add_f32_e32 v54, 0, v113
	s_waitcnt vmcnt(25)
	v_fmac_f32_e32 v115, v57, v105
	v_add_f32_e32 v3, 0, v3
	v_add_f32_e32 v54, v54, v114
	s_waitcnt vmcnt(24)
	v_fmac_f32_e32 v116, v59, v106
	v_add_f32_e32 v3, v3, v4
	;; [unrolled: 4-line block ×3, first 2 shown]
	v_mul_f32_e32 v94, v59, v94
	s_waitcnt vmcnt(22)
	v_fmac_f32_e32 v118, v63, v108
	v_fma_f32 v5, v56, v105, -v5
	v_add_f32_e32 v4, v4, v117
	v_mul_f32_e32 v120, v66, v100
	v_mul_f32_e32 v96, v61, v96
	s_waitcnt vmcnt(21)
	v_fmac_f32_e32 v119, v65, v109
	v_fma_f32 v52, v58, v106, -v94
	v_add_f32_e32 v3, v3, v5
	v_add_f32_e32 v4, v4, v118
	v_mul_f32_e32 v98, v63, v98
	s_waitcnt vmcnt(20)
	v_fmac_f32_e32 v120, v67, v110
	v_fma_f32 v53, v60, v107, -v96
	v_add_f32_e32 v3, v3, v52
	v_add_f32_e32 v4, v4, v119
	;; [unrolled: 1-line block ×4, first 2 shown]
	v_fma_f32 v4, v62, v108, -v98
	v_add_f32_e32 v3, v3, v4
	v_mul_f32_e32 v4, v65, v99
	v_fma_f32 v4, v64, v109, -v4
	v_add_f32_e32 v3, v3, v4
	v_mul_f32_e32 v4, v67, v100
	v_fma_f32 v4, v66, v110, -v4
	s_waitcnt vmcnt(15)
	v_mov_b32_e32 v62, v79
	s_waitcnt lgkmcnt(1)
	v_mul_f32_e32 v95, v68, v101
	v_add_f32_e32 v60, v3, v4
	v_mul_f32_e32 v3, v69, v101
	s_waitcnt lgkmcnt(0)
	v_pk_mul_f32 v[62:63], v[72:73], v[62:63] op_sel_hi:[1,0]
	v_mul_f32_e32 v97, v70, v102
	v_fmac_f32_e32 v95, v69, v111
	v_fma_f32 v94, v68, v111, -v3
	v_mul_f32_e32 v3, v71, v102
	s_waitcnt vmcnt(14)
	v_pk_fma_f32 v[64:65], v[72:73], v[78:79], v[62:63] op_sel:[0,0,1] op_sel_hi:[1,1,0] neg_lo:[0,0,1] neg_hi:[0,0,1]
	v_pk_fma_f32 v[62:63], v[72:73], v[78:79], v[62:63] op_sel:[0,0,1] op_sel_hi:[1,0,0]
	v_fmac_f32_e32 v97, v71, v112
	v_fma_f32 v96, v70, v112, -v3
	v_pk_add_f32 v[60:61], v[60:61], v[94:95]
	s_waitcnt vmcnt(13)
	v_mov_b32_e32 v62, v81
	ds_read2_b64 v[52:55], v2 offset0:41 offset1:42
	ds_read2_b64 v[56:59], v2 offset0:43 offset1:44
	;; [unrolled: 1-line block ×3, first 2 shown]
	v_pk_add_f32 v[60:61], v[60:61], v[96:97]
	v_mov_b32_e32 v65, v63
	v_pk_mul_f32 v[62:63], v[74:75], v[62:63] op_sel_hi:[1,0]
	v_pk_add_f32 v[60:61], v[60:61], v[64:65]
	s_waitcnt vmcnt(6)
	v_pk_fma_f32 v[64:65], v[74:75], v[80:81], v[62:63] op_sel:[0,0,1] op_sel_hi:[1,1,0] neg_lo:[0,0,1] neg_hi:[0,0,1]
	v_pk_fma_f32 v[62:63], v[74:75], v[80:81], v[62:63] op_sel:[0,0,1] op_sel_hi:[1,0,0]
	v_mov_b32_e32 v62, v87
	v_mov_b32_e32 v65, v63
	s_waitcnt lgkmcnt(2)
	v_pk_mul_f32 v[62:63], v[52:53], v[62:63] op_sel_hi:[1,0]
	v_pk_add_f32 v[60:61], v[60:61], v[64:65]
	v_pk_fma_f32 v[64:65], v[52:53], v[86:87], v[62:63] op_sel:[0,0,1] op_sel_hi:[1,1,0] neg_lo:[0,0,1] neg_hi:[0,0,1]
	v_pk_fma_f32 v[52:53], v[52:53], v[86:87], v[62:63] op_sel:[0,0,1] op_sel_hi:[1,0,0]
	v_mov_b32_e32 v65, v53
	v_pk_add_f32 v[52:53], v[60:61], v[64:65]
	v_mov_b32_e32 v60, v85
	v_pk_mul_f32 v[60:61], v[54:55], v[60:61] op_sel_hi:[1,0]
	v_pk_fma_f32 v[62:63], v[54:55], v[84:85], v[60:61] op_sel:[0,0,1] op_sel_hi:[1,1,0] neg_lo:[0,0,1] neg_hi:[0,0,1]
	v_pk_fma_f32 v[54:55], v[54:55], v[84:85], v[60:61] op_sel:[0,0,1] op_sel_hi:[1,0,0]
	v_mov_b32_e32 v54, v83
	v_mov_b32_e32 v63, v55
	s_waitcnt lgkmcnt(1)
	v_pk_mul_f32 v[54:55], v[56:57], v[54:55] op_sel_hi:[1,0]
	v_pk_fma_f32 v[60:61], v[56:57], v[82:83], v[54:55] op_sel:[0,0,1] op_sel_hi:[1,1,0] neg_lo:[0,0,1] neg_hi:[0,0,1]
	v_pk_fma_f32 v[54:55], v[56:57], v[82:83], v[54:55] op_sel:[0,0,1] op_sel_hi:[1,0,0]
	s_waitcnt vmcnt(1)
	v_mov_b32_e32 v54, v93
	v_mov_b32_e32 v61, v55
	v_pk_mul_f32 v[54:55], v[58:59], v[54:55] op_sel_hi:[1,0]
	s_waitcnt vmcnt(0)
	v_pk_fma_f32 v[56:57], v[58:59], v[92:93], v[54:55] op_sel:[0,0,1] op_sel_hi:[1,1,0] neg_lo:[0,0,1] neg_hi:[0,0,1]
	v_pk_fma_f32 v[54:55], v[58:59], v[92:93], v[54:55] op_sel:[0,0,1] op_sel_hi:[1,0,0]
	v_pk_add_f32 v[52:53], v[52:53], v[62:63]
	v_mov_b32_e32 v54, v91
	v_pk_add_f32 v[52:53], v[52:53], v[60:61]
	v_mov_b32_e32 v57, v55
	s_waitcnt lgkmcnt(0)
	v_pk_mul_f32 v[54:55], v[2:3], v[54:55] op_sel_hi:[1,0]
	v_pk_add_f32 v[52:53], v[52:53], v[56:57]
	v_pk_fma_f32 v[56:57], v[2:3], v[90:91], v[54:55] op_sel:[0,0,1] op_sel_hi:[1,1,0] neg_lo:[0,0,1] neg_hi:[0,0,1]
	v_pk_fma_f32 v[2:3], v[2:3], v[90:91], v[54:55] op_sel:[0,0,1] op_sel_hi:[1,0,0]
	v_mov_b32_e32 v57, v3
	v_pk_add_f32 v[2:3], v[52:53], v[56:57]
	v_mov_b32_e32 v52, v89
	v_pk_mul_f32 v[52:53], v[4:5], v[52:53] op_sel_hi:[1,0]
	v_pk_fma_f32 v[54:55], v[4:5], v[88:89], v[52:53] op_sel:[0,0,1] op_sel_hi:[1,1,0] neg_lo:[0,0,1] neg_hi:[0,0,1]
	v_pk_fma_f32 v[4:5], v[4:5], v[88:89], v[52:53] op_sel:[0,0,1] op_sel_hi:[1,0,0]
	v_mov_b32_e32 v55, v5
	v_pk_add_f32 v[2:3], v[2:3], v[54:55]
	v_pk_add_f32 v[2:3], v[76:77], v[2:3] neg_lo:[0,1] neg_hi:[0,1]
	buffer_store_dword v3, off, s[0:3], 0 offset:36
	buffer_store_dword v2, off, s[0:3], 0 offset:32
	s_and_saveexec_b64 s[4:5], vcc
	s_cbranch_execz .LBB22_145
; %bb.144:
	buffer_load_dword v2, off, s[0:3], 0 offset:24
	buffer_load_dword v3, off, s[0:3], 0 offset:28
	v_mov_b32_e32 v4, 0
	buffer_store_dword v4, off, s[0:3], 0 offset:24
	buffer_store_dword v4, off, s[0:3], 0 offset:28
	s_waitcnt vmcnt(2)
	ds_write_b64 v1, v[2:3]
.LBB22_145:
	s_or_b64 exec, exec, s[4:5]
	s_waitcnt lgkmcnt(0)
	; wave barrier
	s_waitcnt lgkmcnt(0)
	buffer_load_dword v3, off, s[0:3], 0 offset:36
	buffer_load_dword v92, off, s[0:3], 0 offset:44
	;; [unrolled: 1-line block ×40, first 2 shown]
	v_mov_b32_e32 v2, 0
	ds_read_b128 v[52:55], v2 offset:224
	ds_read_b128 v[56:59], v2 offset:240
	;; [unrolled: 1-line block ×6, first 2 shown]
	v_cmp_lt_u32_e32 vcc, 2, v0
	s_waitcnt vmcnt(39) lgkmcnt(5)
	v_mul_f32_e32 v115, v52, v3
	s_waitcnt vmcnt(38)
	v_mul_f32_e32 v116, v54, v92
	v_mul_f32_e32 v3, v53, v3
	s_waitcnt vmcnt(37) lgkmcnt(4)
	v_mul_f32_e32 v117, v56, v94
	v_mul_f32_e32 v92, v55, v92
	s_waitcnt vmcnt(36)
	v_mul_f32_e32 v118, v58, v96
	s_waitcnt vmcnt(35) lgkmcnt(3)
	v_mul_f32_e32 v119, v60, v98
	s_waitcnt vmcnt(34)
	v_mul_f32_e32 v120, v62, v99
	s_waitcnt vmcnt(33) lgkmcnt(2)
	;; [unrolled: 4-line block ×3, first 2 shown]
	v_mul_f32_e32 v123, v68, v102
	s_waitcnt vmcnt(28)
	v_fmac_f32_e32 v115, v53, v97
	s_waitcnt vmcnt(27)
	v_fmac_f32_e32 v116, v55, v105
	v_fma_f32 v3, v52, v97, -v3
	v_add_f32_e32 v55, 0, v115
	s_waitcnt vmcnt(26)
	v_fmac_f32_e32 v117, v57, v106
	v_fma_f32 v52, v54, v105, -v92
	v_add_f32_e32 v3, 0, v3
	v_add_f32_e32 v55, v55, v116
	s_waitcnt vmcnt(25)
	v_fmac_f32_e32 v118, v59, v107
	v_add_f32_e32 v3, v3, v52
	v_add_f32_e32 v52, v55, v117
	s_waitcnt vmcnt(24)
	v_fmac_f32_e32 v119, v61, v108
	v_add_f32_e32 v52, v52, v118
	s_waitcnt vmcnt(23)
	v_fmac_f32_e32 v120, v63, v109
	v_add_f32_e32 v52, v52, v119
	s_waitcnt vmcnt(22)
	v_fmac_f32_e32 v121, v65, v110
	v_add_f32_e32 v52, v52, v120
	v_mul_f32_e32 v94, v57, v94
	s_waitcnt vmcnt(21)
	v_fmac_f32_e32 v122, v67, v111
	v_add_f32_e32 v52, v52, v121
	v_mul_f32_e32 v96, v59, v96
	s_waitcnt vmcnt(20)
	v_fmac_f32_e32 v123, v69, v112
	v_fma_f32 v53, v56, v106, -v94
	v_add_f32_e32 v52, v52, v122
	v_fma_f32 v54, v58, v107, -v96
	v_add_f32_e32 v3, v3, v53
	v_add_f32_e32 v97, v52, v123
	v_mul_f32_e32 v52, v61, v98
	v_add_f32_e32 v3, v3, v54
	v_fma_f32 v52, v60, v108, -v52
	v_add_f32_e32 v3, v3, v52
	v_mul_f32_e32 v52, v63, v99
	v_fma_f32 v52, v62, v109, -v52
	v_add_f32_e32 v3, v3, v52
	v_mul_f32_e32 v52, v65, v100
	v_fma_f32 v52, v64, v110, -v52
	v_add_f32_e32 v3, v3, v52
	v_mul_f32_e32 v52, v67, v101
	v_fma_f32 v52, v66, v111, -v52
	v_add_f32_e32 v3, v3, v52
	v_mul_f32_e32 v52, v69, v102
	v_fma_f32 v52, v68, v112, -v52
	s_waitcnt vmcnt(9)
	v_mov_b32_e32 v68, v83
	v_mul_f32_e32 v93, v70, v103
	v_add_f32_e32 v96, v3, v52
	v_mul_f32_e32 v3, v71, v103
	s_waitcnt lgkmcnt(0)
	v_pk_mul_f32 v[68:69], v[74:75], v[68:69] op_sel_hi:[1,0]
	v_mul_f32_e32 v95, v72, v104
	v_fmac_f32_e32 v93, v71, v113
	v_fma_f32 v92, v70, v113, -v3
	v_mul_f32_e32 v3, v73, v104
	ds_read_b128 v[52:55], v2 offset:320
	ds_read_b128 v[56:59], v2 offset:336
	;; [unrolled: 1-line block ×3, first 2 shown]
	ds_read_b64 v[64:65], v2 offset:368
	s_waitcnt vmcnt(8)
	v_pk_fma_f32 v[70:71], v[74:75], v[82:83], v[68:69] op_sel:[0,0,1] op_sel_hi:[1,1,0] neg_lo:[0,0,1] neg_hi:[0,0,1]
	v_pk_fma_f32 v[68:69], v[74:75], v[82:83], v[68:69] op_sel:[0,0,1] op_sel_hi:[1,0,0]
	v_fmac_f32_e32 v95, v73, v114
	v_fma_f32 v94, v72, v114, -v3
	v_pk_add_f32 v[66:67], v[96:97], v[92:93]
	v_mov_b32_e32 v68, v81
	v_pk_add_f32 v[66:67], v[66:67], v[94:95]
	v_mov_b32_e32 v71, v69
	s_waitcnt lgkmcnt(3)
	v_pk_mul_f32 v[68:69], v[52:53], v[68:69] op_sel_hi:[1,0]
	v_pk_add_f32 v[66:67], v[66:67], v[70:71]
	v_pk_fma_f32 v[70:71], v[52:53], v[80:81], v[68:69] op_sel:[0,0,1] op_sel_hi:[1,1,0] neg_lo:[0,0,1] neg_hi:[0,0,1]
	v_pk_fma_f32 v[52:53], v[52:53], v[80:81], v[68:69] op_sel:[0,0,1] op_sel_hi:[1,0,0]
	v_mov_b32_e32 v71, v53
	v_pk_add_f32 v[52:53], v[66:67], v[70:71]
	v_mov_b32_e32 v66, v79
	v_pk_mul_f32 v[66:67], v[54:55], v[66:67] op_sel_hi:[1,0]
	v_pk_fma_f32 v[68:69], v[54:55], v[78:79], v[66:67] op_sel:[0,0,1] op_sel_hi:[1,1,0] neg_lo:[0,0,1] neg_hi:[0,0,1]
	v_pk_fma_f32 v[54:55], v[54:55], v[78:79], v[66:67] op_sel:[0,0,1] op_sel_hi:[1,0,0]
	v_mov_b32_e32 v54, v77
	v_mov_b32_e32 v69, v55
	s_waitcnt lgkmcnt(2)
	v_pk_mul_f32 v[54:55], v[56:57], v[54:55] op_sel_hi:[1,0]
	v_pk_fma_f32 v[66:67], v[56:57], v[76:77], v[54:55] op_sel:[0,0,1] op_sel_hi:[1,1,0] neg_lo:[0,0,1] neg_hi:[0,0,1]
	v_pk_fma_f32 v[54:55], v[56:57], v[76:77], v[54:55] op_sel:[0,0,1] op_sel_hi:[1,0,0]
	s_waitcnt vmcnt(1)
	v_mov_b32_e32 v54, v91
	v_mov_b32_e32 v67, v55
	v_pk_mul_f32 v[54:55], v[58:59], v[54:55] op_sel_hi:[1,0]
	s_waitcnt vmcnt(0)
	v_pk_fma_f32 v[56:57], v[58:59], v[90:91], v[54:55] op_sel:[0,0,1] op_sel_hi:[1,1,0] neg_lo:[0,0,1] neg_hi:[0,0,1]
	v_pk_fma_f32 v[54:55], v[58:59], v[90:91], v[54:55] op_sel:[0,0,1] op_sel_hi:[1,0,0]
	v_pk_add_f32 v[52:53], v[52:53], v[68:69]
	v_mov_b32_e32 v54, v89
	v_pk_add_f32 v[52:53], v[52:53], v[66:67]
	v_mov_b32_e32 v57, v55
	s_waitcnt lgkmcnt(1)
	v_pk_mul_f32 v[54:55], v[60:61], v[54:55] op_sel_hi:[1,0]
	v_pk_add_f32 v[52:53], v[52:53], v[56:57]
	v_pk_fma_f32 v[56:57], v[60:61], v[88:89], v[54:55] op_sel:[0,0,1] op_sel_hi:[1,1,0] neg_lo:[0,0,1] neg_hi:[0,0,1]
	v_pk_fma_f32 v[54:55], v[60:61], v[88:89], v[54:55] op_sel:[0,0,1] op_sel_hi:[1,0,0]
	v_mov_b32_e32 v54, v87
	v_mov_b32_e32 v57, v55
	v_pk_mul_f32 v[54:55], v[62:63], v[54:55] op_sel_hi:[1,0]
	v_pk_add_f32 v[52:53], v[52:53], v[56:57]
	v_pk_fma_f32 v[56:57], v[62:63], v[86:87], v[54:55] op_sel:[0,0,1] op_sel_hi:[1,1,0] neg_lo:[0,0,1] neg_hi:[0,0,1]
	v_pk_fma_f32 v[54:55], v[62:63], v[86:87], v[54:55] op_sel:[0,0,1] op_sel_hi:[1,0,0]
	v_mov_b32_e32 v54, v85
	v_mov_b32_e32 v57, v55
	s_waitcnt lgkmcnt(0)
	v_pk_mul_f32 v[54:55], v[64:65], v[54:55] op_sel_hi:[1,0]
	v_pk_add_f32 v[52:53], v[52:53], v[56:57]
	v_pk_fma_f32 v[56:57], v[64:65], v[84:85], v[54:55] op_sel:[0,0,1] op_sel_hi:[1,1,0] neg_lo:[0,0,1] neg_hi:[0,0,1]
	v_pk_fma_f32 v[54:55], v[64:65], v[84:85], v[54:55] op_sel:[0,0,1] op_sel_hi:[1,0,0]
	v_mov_b32_e32 v57, v55
	v_pk_add_f32 v[52:53], v[52:53], v[56:57]
	v_pk_add_f32 v[4:5], v[4:5], v[52:53] neg_lo:[0,1] neg_hi:[0,1]
	buffer_store_dword v5, off, s[0:3], 0 offset:28
	buffer_store_dword v4, off, s[0:3], 0 offset:24
	s_and_saveexec_b64 s[4:5], vcc
	s_cbranch_execz .LBB22_147
; %bb.146:
	buffer_load_dword v4, off, s[0:3], 0 offset:16
	buffer_load_dword v5, off, s[0:3], 0 offset:20
	s_waitcnt vmcnt(0)
	ds_write_b64 v1, v[4:5]
	buffer_store_dword v2, off, s[0:3], 0 offset:16
	buffer_store_dword v2, off, s[0:3], 0 offset:20
.LBB22_147:
	s_or_b64 exec, exec, s[4:5]
	s_waitcnt lgkmcnt(0)
	; wave barrier
	s_waitcnt lgkmcnt(0)
	buffer_load_dword v3, off, s[0:3], 0 offset:28
	buffer_load_dword v4, off, s[0:3], 0 offset:36
	;; [unrolled: 1-line block ×26, first 2 shown]
	ds_read2_b64 v[52:55], v2 offset0:27 offset1:28
	ds_read2_b64 v[56:59], v2 offset0:29 offset1:30
	;; [unrolled: 1-line block ×6, first 2 shown]
	buffer_load_dword v79, off, s[0:3], 0 offset:140
	buffer_load_dword v78, off, s[0:3], 0 offset:136
	;; [unrolled: 1-line block ×16, first 2 shown]
	v_cmp_lt_u32_e32 vcc, 1, v0
	s_waitcnt vmcnt(41) lgkmcnt(5)
	v_mul_f32_e32 v117, v52, v3
	s_waitcnt vmcnt(40)
	v_mul_f32_e32 v118, v54, v4
	v_mul_f32_e32 v3, v53, v3
	s_waitcnt vmcnt(39) lgkmcnt(4)
	v_mul_f32_e32 v119, v56, v5
	v_mul_f32_e32 v4, v55, v4
	s_waitcnt vmcnt(38)
	v_mul_f32_e32 v120, v58, v94
	s_waitcnt vmcnt(37) lgkmcnt(3)
	v_mul_f32_e32 v121, v60, v96
	s_waitcnt vmcnt(36)
	v_mul_f32_e32 v122, v62, v98
	s_waitcnt vmcnt(35) lgkmcnt(2)
	;; [unrolled: 4-line block ×3, first 2 shown]
	v_mul_f32_e32 v125, v68, v102
	s_waitcnt vmcnt(32)
	v_mul_f32_e32 v126, v70, v103
	s_waitcnt vmcnt(29)
	v_fmac_f32_e32 v117, v53, v99
	s_waitcnt vmcnt(28)
	v_fmac_f32_e32 v118, v55, v106
	v_fma_f32 v3, v52, v99, -v3
	v_add_f32_e32 v52, 0, v117
	s_waitcnt vmcnt(27)
	v_fmac_f32_e32 v119, v57, v107
	v_fma_f32 v4, v54, v106, -v4
	v_add_f32_e32 v3, 0, v3
	v_add_f32_e32 v52, v52, v118
	s_waitcnt vmcnt(26)
	v_fmac_f32_e32 v120, v59, v108
	v_add_f32_e32 v3, v3, v4
	v_add_f32_e32 v4, v52, v119
	s_waitcnt vmcnt(25)
	v_fmac_f32_e32 v121, v61, v109
	v_add_f32_e32 v4, v4, v120
	s_waitcnt vmcnt(24)
	v_fmac_f32_e32 v122, v63, v110
	;; [unrolled: 3-line block ×5, first 2 shown]
	v_add_f32_e32 v4, v4, v124
	v_mul_f32_e32 v5, v57, v5
	s_waitcnt vmcnt(20)
	v_fmac_f32_e32 v126, v71, v114
	v_add_f32_e32 v4, v4, v125
	v_fma_f32 v5, v56, v107, -v5
	v_add_f32_e32 v99, v4, v126
	v_mul_f32_e32 v4, v59, v94
	v_add_f32_e32 v3, v3, v5
	v_fma_f32 v4, v58, v108, -v4
	v_add_f32_e32 v3, v3, v4
	v_mul_f32_e32 v4, v61, v96
	v_fma_f32 v4, v60, v109, -v4
	v_add_f32_e32 v3, v3, v4
	v_mul_f32_e32 v4, v63, v98
	;; [unrolled: 3-line block ×6, first 2 shown]
	v_fma_f32 v4, v70, v114, -v4
	v_add_f32_e32 v98, v3, v4
	s_waitcnt lgkmcnt(0)
	v_mul_f32_e32 v3, v73, v104
	s_waitcnt vmcnt(19)
	v_fma_f32 v94, v72, v115, -v3
	v_mul_f32_e32 v3, v75, v105
	s_waitcnt vmcnt(18)
	v_fma_f32 v96, v74, v116, -v3
	ds_read2_b64 v[52:55], v2 offset0:39 offset1:40
	ds_read2_b64 v[56:59], v2 offset0:41 offset1:42
	;; [unrolled: 1-line block ×4, first 2 shown]
	v_mul_f32_e32 v95, v72, v104
	s_waitcnt vmcnt(11)
	v_mov_b32_e32 v66, v83
	v_mul_f32_e32 v97, v74, v105
	v_fmac_f32_e32 v95, v73, v115
	s_waitcnt lgkmcnt(3)
	v_pk_mul_f32 v[66:67], v[52:53], v[66:67] op_sel_hi:[1,0]
	v_fmac_f32_e32 v97, v75, v116
	v_pk_add_f32 v[64:65], v[98:99], v[94:95]
	s_waitcnt vmcnt(10)
	v_pk_fma_f32 v[68:69], v[52:53], v[82:83], v[66:67] op_sel:[0,0,1] op_sel_hi:[1,1,0] neg_lo:[0,0,1] neg_hi:[0,0,1]
	v_pk_fma_f32 v[52:53], v[52:53], v[82:83], v[66:67] op_sel:[0,0,1] op_sel_hi:[1,0,0]
	v_pk_add_f32 v[64:65], v[64:65], v[96:97]
	v_mov_b32_e32 v69, v53
	v_pk_add_f32 v[52:53], v[64:65], v[68:69]
	v_mov_b32_e32 v64, v81
	v_pk_mul_f32 v[64:65], v[54:55], v[64:65] op_sel_hi:[1,0]
	v_pk_fma_f32 v[66:67], v[54:55], v[80:81], v[64:65] op_sel:[0,0,1] op_sel_hi:[1,1,0] neg_lo:[0,0,1] neg_hi:[0,0,1]
	v_pk_fma_f32 v[54:55], v[54:55], v[80:81], v[64:65] op_sel:[0,0,1] op_sel_hi:[1,0,0]
	v_mov_b32_e32 v54, v79
	v_mov_b32_e32 v67, v55
	s_waitcnt lgkmcnt(2)
	v_pk_mul_f32 v[54:55], v[56:57], v[54:55] op_sel_hi:[1,0]
	v_pk_fma_f32 v[64:65], v[56:57], v[78:79], v[54:55] op_sel:[0,0,1] op_sel_hi:[1,1,0] neg_lo:[0,0,1] neg_hi:[0,0,1]
	v_pk_fma_f32 v[54:55], v[56:57], v[78:79], v[54:55] op_sel:[0,0,1] op_sel_hi:[1,0,0]
	s_waitcnt vmcnt(3)
	v_mov_b32_e32 v54, v91
	v_mov_b32_e32 v65, v55
	v_pk_mul_f32 v[54:55], v[58:59], v[54:55] op_sel_hi:[1,0]
	s_waitcnt vmcnt(2)
	v_pk_fma_f32 v[56:57], v[58:59], v[90:91], v[54:55] op_sel:[0,0,1] op_sel_hi:[1,1,0] neg_lo:[0,0,1] neg_hi:[0,0,1]
	v_pk_fma_f32 v[54:55], v[58:59], v[90:91], v[54:55] op_sel:[0,0,1] op_sel_hi:[1,0,0]
	v_pk_add_f32 v[52:53], v[52:53], v[66:67]
	v_mov_b32_e32 v54, v89
	v_pk_add_f32 v[52:53], v[52:53], v[64:65]
	v_mov_b32_e32 v57, v55
	s_waitcnt lgkmcnt(1)
	v_pk_mul_f32 v[54:55], v[60:61], v[54:55] op_sel_hi:[1,0]
	v_pk_add_f32 v[52:53], v[52:53], v[56:57]
	v_pk_fma_f32 v[56:57], v[60:61], v[88:89], v[54:55] op_sel:[0,0,1] op_sel_hi:[1,1,0] neg_lo:[0,0,1] neg_hi:[0,0,1]
	v_pk_fma_f32 v[54:55], v[60:61], v[88:89], v[54:55] op_sel:[0,0,1] op_sel_hi:[1,0,0]
	v_mov_b32_e32 v54, v87
	v_mov_b32_e32 v57, v55
	v_pk_mul_f32 v[54:55], v[62:63], v[54:55] op_sel_hi:[1,0]
	v_pk_add_f32 v[52:53], v[52:53], v[56:57]
	v_pk_fma_f32 v[56:57], v[62:63], v[86:87], v[54:55] op_sel:[0,0,1] op_sel_hi:[1,1,0] neg_lo:[0,0,1] neg_hi:[0,0,1]
	v_pk_fma_f32 v[54:55], v[62:63], v[86:87], v[54:55] op_sel:[0,0,1] op_sel_hi:[1,0,0]
	v_mov_b32_e32 v54, v85
	v_mov_b32_e32 v57, v55
	s_waitcnt lgkmcnt(0)
	v_pk_mul_f32 v[54:55], v[2:3], v[54:55] op_sel_hi:[1,0]
	v_pk_add_f32 v[52:53], v[52:53], v[56:57]
	v_pk_fma_f32 v[56:57], v[2:3], v[84:85], v[54:55] op_sel:[0,0,1] op_sel_hi:[1,1,0] neg_lo:[0,0,1] neg_hi:[0,0,1]
	v_pk_fma_f32 v[2:3], v[2:3], v[84:85], v[54:55] op_sel:[0,0,1] op_sel_hi:[1,0,0]
	v_mov_b32_e32 v57, v3
	v_pk_add_f32 v[2:3], v[52:53], v[56:57]
	s_waitcnt vmcnt(1)
	v_mov_b32_e32 v52, v93
	v_pk_mul_f32 v[52:53], v[4:5], v[52:53] op_sel_hi:[1,0]
	s_waitcnt vmcnt(0)
	v_pk_fma_f32 v[54:55], v[4:5], v[92:93], v[52:53] op_sel:[0,0,1] op_sel_hi:[1,1,0] neg_lo:[0,0,1] neg_hi:[0,0,1]
	v_pk_fma_f32 v[4:5], v[4:5], v[92:93], v[52:53] op_sel:[0,0,1] op_sel_hi:[1,0,0]
	v_mov_b32_e32 v55, v5
	v_pk_add_f32 v[2:3], v[2:3], v[54:55]
	v_pk_add_f32 v[2:3], v[76:77], v[2:3] neg_lo:[0,1] neg_hi:[0,1]
	buffer_store_dword v3, off, s[0:3], 0 offset:20
	buffer_store_dword v2, off, s[0:3], 0 offset:16
	s_and_saveexec_b64 s[4:5], vcc
	s_cbranch_execz .LBB22_149
; %bb.148:
	buffer_load_dword v2, off, s[0:3], 0 offset:8
	buffer_load_dword v3, off, s[0:3], 0 offset:12
	v_mov_b32_e32 v4, 0
	buffer_store_dword v4, off, s[0:3], 0 offset:8
	buffer_store_dword v4, off, s[0:3], 0 offset:12
	s_waitcnt vmcnt(2)
	ds_write_b64 v1, v[2:3]
.LBB22_149:
	s_or_b64 exec, exec, s[4:5]
	v_mov_b32_e32 v58, 0
	s_waitcnt lgkmcnt(0)
	; wave barrier
	s_waitcnt lgkmcnt(0)
	ds_read_b128 v[60:63], v58 offset:208
	ds_read_b128 v[64:67], v58 offset:224
	;; [unrolled: 1-line block ×4, first 2 shown]
	buffer_load_dword v52, off, s[0:3], 0 offset:8
	buffer_load_dword v53, off, s[0:3], 0 offset:12
	;; [unrolled: 1-line block ×18, first 2 shown]
	ds_read_b128 v[76:79], v58 offset:272
	buffer_load_dword v114, off, s[0:3], 0 offset:80
	buffer_load_dword v115, off, s[0:3], 0 offset:84
	;; [unrolled: 1-line block ×4, first 2 shown]
	ds_read_b128 v[80:83], v58 offset:288
	buffer_load_dword v118, off, s[0:3], 0 offset:96
	buffer_load_dword v119, off, s[0:3], 0 offset:100
	;; [unrolled: 1-line block ×4, first 2 shown]
	v_cmp_ne_u32_e32 vcc, 0, v0
	s_waitcnt vmcnt(22) lgkmcnt(5)
	v_mul_f32_e32 v2, v60, v56
	v_fmac_f32_e32 v2, v61, v54
	s_waitcnt vmcnt(20)
	v_mul_f32_e32 v3, v62, v84
	v_add_f32_e32 v2, 0, v2
	v_fmac_f32_e32 v3, v63, v59
	v_add_f32_e32 v2, v2, v3
	s_waitcnt vmcnt(18) lgkmcnt(4)
	v_mul_f32_e32 v3, v64, v103
	v_fmac_f32_e32 v3, v65, v102
	v_add_f32_e32 v2, v2, v3
	s_waitcnt vmcnt(16)
	v_mul_f32_e32 v3, v66, v105
	v_fmac_f32_e32 v3, v67, v104
	v_add_f32_e32 v2, v2, v3
	s_waitcnt vmcnt(14) lgkmcnt(3)
	v_mul_f32_e32 v3, v68, v107
	v_fmac_f32_e32 v3, v69, v106
	v_add_f32_e32 v2, v2, v3
	s_waitcnt vmcnt(12)
	v_mul_f32_e32 v3, v70, v109
	;; [unrolled: 8-line block ×4, first 2 shown]
	v_fmac_f32_e32 v3, v79, v116
	v_add_f32_e32 v2, v2, v3
	s_waitcnt vmcnt(2) lgkmcnt(0)
	v_mul_f32_e32 v3, v80, v119
	v_fmac_f32_e32 v3, v81, v118
	v_add_f32_e32 v55, v2, v3
	ds_read_b128 v[2:5], v58 offset:304
	buffer_load_dword v122, off, s[0:3], 0 offset:112
	buffer_load_dword v123, off, s[0:3], 0 offset:116
	;; [unrolled: 1-line block ×18, first 2 shown]
	v_mul_f32_e32 v56, v61, v56
	v_fma_f32 v54, v60, v54, -v56
	v_mul_f32_e32 v56, v63, v84
	v_add_f32_e32 v54, 0, v54
	v_fma_f32 v56, v62, v59, -v56
	v_add_f32_e32 v54, v54, v56
	v_mul_f32_e32 v56, v65, v103
	v_fma_f32 v56, v64, v102, -v56
	v_add_f32_e32 v54, v54, v56
	v_mul_f32_e32 v56, v67, v105
	;; [unrolled: 3-line block ×9, first 2 shown]
	v_fma_f32 v56, v80, v118, -v56
	s_waitcnt vmcnt(18)
	v_mul_f32_e32 v57, v82, v121
	v_add_f32_e32 v54, v54, v56
	v_mul_f32_e32 v56, v83, v121
	v_fmac_f32_e32 v57, v83, v120
	v_fma_f32 v56, v82, v120, -v56
	v_pk_add_f32 v[54:55], v[54:55], v[56:57]
	s_waitcnt vmcnt(15)
	v_mov_b32_e32 v56, v87
	s_waitcnt lgkmcnt(0)
	v_pk_mul_f32 v[56:57], v[4:5], v[56:57] op_sel_hi:[1,0]
	s_waitcnt vmcnt(14)
	v_pk_fma_f32 v[72:73], v[4:5], v[86:87], v[56:57] op_sel:[0,0,1] op_sel_hi:[1,1,0] neg_lo:[0,0,1] neg_hi:[0,0,1]
	v_pk_fma_f32 v[4:5], v[4:5], v[86:87], v[56:57] op_sel:[0,0,1] op_sel_hi:[1,0,0]
	v_mov_b32_e32 v73, v5
	v_mul_f32_e32 v85, v2, v123
	v_fmac_f32_e32 v85, v3, v122
	v_mul_f32_e32 v3, v3, v123
	v_fma_f32 v84, v2, v122, -v3
	ds_read_b128 v[60:63], v58 offset:320
	ds_read_b128 v[64:67], v58 offset:336
	;; [unrolled: 1-line block ×3, first 2 shown]
	ds_read_b64 v[2:3], v58 offset:368
	v_pk_add_f32 v[54:55], v[54:55], v[84:85]
	v_pk_add_f32 v[4:5], v[54:55], v[72:73]
	s_waitcnt vmcnt(13)
	v_mov_b32_e32 v54, v89
	s_waitcnt lgkmcnt(3)
	v_pk_mul_f32 v[54:55], v[60:61], v[54:55] op_sel_hi:[1,0]
	s_waitcnt vmcnt(12)
	v_pk_fma_f32 v[56:57], v[60:61], v[88:89], v[54:55] op_sel:[0,0,1] op_sel_hi:[1,1,0] neg_lo:[0,0,1] neg_hi:[0,0,1]
	v_pk_fma_f32 v[54:55], v[60:61], v[88:89], v[54:55] op_sel:[0,0,1] op_sel_hi:[1,0,0]
	s_waitcnt vmcnt(11)
	v_mov_b32_e32 v54, v91
	v_mov_b32_e32 v57, v55
	v_pk_mul_f32 v[54:55], v[62:63], v[54:55] op_sel_hi:[1,0]
	v_pk_add_f32 v[4:5], v[4:5], v[56:57]
	s_waitcnt vmcnt(10)
	v_pk_fma_f32 v[56:57], v[62:63], v[90:91], v[54:55] op_sel:[0,0,1] op_sel_hi:[1,1,0] neg_lo:[0,0,1] neg_hi:[0,0,1]
	v_pk_fma_f32 v[54:55], v[62:63], v[90:91], v[54:55] op_sel:[0,0,1] op_sel_hi:[1,0,0]
	s_waitcnt vmcnt(9)
	v_mov_b32_e32 v54, v93
	v_mov_b32_e32 v57, v55
	s_waitcnt lgkmcnt(2)
	v_pk_mul_f32 v[54:55], v[64:65], v[54:55] op_sel_hi:[1,0]
	v_pk_add_f32 v[4:5], v[4:5], v[56:57]
	s_waitcnt vmcnt(8)
	v_pk_fma_f32 v[56:57], v[64:65], v[92:93], v[54:55] op_sel:[0,0,1] op_sel_hi:[1,1,0] neg_lo:[0,0,1] neg_hi:[0,0,1]
	v_pk_fma_f32 v[54:55], v[64:65], v[92:93], v[54:55] op_sel:[0,0,1] op_sel_hi:[1,0,0]
	s_waitcnt vmcnt(7)
	v_mov_b32_e32 v54, v95
	v_mov_b32_e32 v57, v55
	v_pk_mul_f32 v[54:55], v[66:67], v[54:55] op_sel_hi:[1,0]
	v_pk_add_f32 v[4:5], v[4:5], v[56:57]
	s_waitcnt vmcnt(6)
	v_pk_fma_f32 v[56:57], v[66:67], v[94:95], v[54:55] op_sel:[0,0,1] op_sel_hi:[1,1,0] neg_lo:[0,0,1] neg_hi:[0,0,1]
	v_pk_fma_f32 v[54:55], v[66:67], v[94:95], v[54:55] op_sel:[0,0,1] op_sel_hi:[1,0,0]
	s_waitcnt vmcnt(5)
	v_mov_b32_e32 v54, v97
	v_mov_b32_e32 v57, v55
	s_waitcnt lgkmcnt(1)
	v_pk_mul_f32 v[54:55], v[68:69], v[54:55] op_sel_hi:[1,0]
	v_pk_add_f32 v[4:5], v[4:5], v[56:57]
	;; [unrolled: 17-line block ×3, first 2 shown]
	s_waitcnt vmcnt(0)
	v_pk_fma_f32 v[56:57], v[2:3], v[100:101], v[54:55] op_sel:[0,0,1] op_sel_hi:[1,1,0] neg_lo:[0,0,1] neg_hi:[0,0,1]
	v_pk_fma_f32 v[2:3], v[2:3], v[100:101], v[54:55] op_sel:[0,0,1] op_sel_hi:[1,0,0]
	v_mov_b32_e32 v57, v3
	v_pk_add_f32 v[2:3], v[4:5], v[56:57]
	v_pk_add_f32 v[2:3], v[52:53], v[2:3] neg_lo:[0,1] neg_hi:[0,1]
	buffer_store_dword v3, off, s[0:3], 0 offset:12
	buffer_store_dword v2, off, s[0:3], 0 offset:8
	s_and_saveexec_b64 s[4:5], vcc
	s_cbranch_execz .LBB22_151
; %bb.150:
	buffer_load_dword v2, off, s[0:3], 0
	buffer_load_dword v3, off, s[0:3], 0 offset:4
	s_waitcnt vmcnt(0)
	ds_write_b64 v1, v[2:3]
	buffer_store_dword v58, off, s[0:3], 0
	buffer_store_dword v58, off, s[0:3], 0 offset:4
.LBB22_151:
	s_or_b64 exec, exec, s[4:5]
	s_waitcnt lgkmcnt(0)
	; wave barrier
	s_waitcnt lgkmcnt(0)
	buffer_load_dword v56, off, s[0:3], 0 offset:12
	buffer_load_dword v57, off, s[0:3], 0 offset:20
	buffer_load_dword v59, off, s[0:3], 0 offset:28
	buffer_load_dword v100, off, s[0:3], 0 offset:36
	buffer_load_dword v102, off, s[0:3], 0 offset:44
	buffer_load_dword v104, off, s[0:3], 0 offset:52
	buffer_load_dword v106, off, s[0:3], 0 offset:60
	buffer_load_dword v107, off, s[0:3], 0 offset:68
	buffer_load_dword v108, off, s[0:3], 0 offset:76
	buffer_load_dword v109, off, s[0:3], 0 offset:84
	buffer_load_dword v110, off, s[0:3], 0 offset:92
	buffer_load_dword v111, off, s[0:3], 0 offset:100
	buffer_load_dword v112, off, s[0:3], 0 offset:108
	buffer_load_dword v113, off, s[0:3], 0 offset:8
	buffer_load_dword v114, off, s[0:3], 0 offset:16
	buffer_load_dword v115, off, s[0:3], 0 offset:24
	buffer_load_dword v116, off, s[0:3], 0 offset:32
	buffer_load_dword v117, off, s[0:3], 0 offset:40
	buffer_load_dword v118, off, s[0:3], 0 offset:48
	buffer_load_dword v119, off, s[0:3], 0 offset:56
	buffer_load_dword v120, off, s[0:3], 0 offset:64
	buffer_load_dword v121, off, s[0:3], 0 offset:72
	buffer_load_dword v122, off, s[0:3], 0 offset:80
	buffer_load_dword v123, off, s[0:3], 0 offset:88
	buffer_load_dword v124, off, s[0:3], 0 offset:96
	buffer_load_dword v125, off, s[0:3], 0 offset:104
	buffer_load_dword v126, off, s[0:3], 0 offset:116
	buffer_load_dword v127, off, s[0:3], 0 offset:112
	buffer_load_dword v4, off, s[0:3], 0
	buffer_load_dword v5, off, s[0:3], 0 offset:4
	ds_read2_b64 v[0:3], v58 offset0:25 offset1:26
	ds_read2_b64 v[52:55], v58 offset0:27 offset1:28
	;; [unrolled: 1-line block ×6, first 2 shown]
	buffer_load_dword v85, off, s[0:3], 0 offset:124
	buffer_load_dword v84, off, s[0:3], 0 offset:120
	ds_read2_b64 v[76:79], v58 offset0:37 offset1:38
	ds_read2_b64 v[80:83], v58 offset0:39 offset1:40
	buffer_load_dword v87, off, s[0:3], 0 offset:156
	buffer_load_dword v86, off, s[0:3], 0 offset:152
	;; [unrolled: 1-line block ×14, first 2 shown]
	s_and_b64 vcc, exec, s[20:21]
	s_waitcnt vmcnt(45) lgkmcnt(7)
	v_mul_f32_e32 v103, v0, v56
	s_waitcnt vmcnt(44)
	v_mul_f32_e32 v105, v2, v57
	s_waitcnt vmcnt(43) lgkmcnt(6)
	v_mul_f32_e32 v128, v52, v59
	s_waitcnt vmcnt(42)
	v_mul_f32_e32 v129, v54, v100
	;; [unrolled: 4-line block ×6, first 2 shown]
	s_waitcnt vmcnt(33) lgkmcnt(1)
	v_mul_f32_e32 v101, v76, v112
	s_waitcnt vmcnt(32)
	v_fmac_f32_e32 v103, v1, v113
	v_mul_f32_e32 v1, v1, v56
	v_fma_f32 v0, v0, v113, -v1
	v_mul_f32_e32 v1, v3, v57
	v_add_f32_e32 v0, 0, v0
	s_waitcnt vmcnt(31)
	v_fma_f32 v1, v2, v114, -v1
	v_add_f32_e32 v0, v0, v1
	v_mul_f32_e32 v1, v53, v59
	s_waitcnt vmcnt(30)
	v_fma_f32 v1, v52, v115, -v1
	v_add_f32_e32 v0, v0, v1
	v_mul_f32_e32 v1, v55, v100
	s_waitcnt vmcnt(29)
	v_fma_f32 v1, v54, v116, -v1
	v_add_f32_e32 v0, v0, v1
	v_mul_f32_e32 v1, v61, v102
	s_waitcnt vmcnt(28)
	v_fma_f32 v1, v60, v117, -v1
	v_add_f32_e32 v0, v0, v1
	v_mul_f32_e32 v1, v63, v104
	s_waitcnt vmcnt(27)
	v_fma_f32 v1, v62, v118, -v1
	v_add_f32_e32 v0, v0, v1
	v_mul_f32_e32 v1, v65, v106
	s_waitcnt vmcnt(26)
	v_fma_f32 v1, v64, v119, -v1
	v_fmac_f32_e32 v105, v3, v114
	v_add_f32_e32 v103, 0, v103
	v_add_f32_e32 v0, v0, v1
	v_mul_f32_e32 v1, v67, v107
	v_fmac_f32_e32 v128, v53, v115
	v_add_f32_e32 v103, v103, v105
	s_waitcnt vmcnt(25)
	v_fma_f32 v1, v66, v120, -v1
	v_fmac_f32_e32 v129, v55, v116
	v_add_f32_e32 v103, v103, v128
	v_add_f32_e32 v0, v0, v1
	v_mul_f32_e32 v1, v69, v108
	v_fmac_f32_e32 v130, v61, v117
	v_add_f32_e32 v103, v103, v129
	;; [unrolled: 8-line block ×5, first 2 shown]
	s_waitcnt vmcnt(21)
	v_fma_f32 v1, v74, v124, -v1
	s_waitcnt vmcnt(15)
	v_mov_b32_e32 v62, v85
	v_fmac_f32_e32 v137, v75, v124
	v_add_f32_e32 v103, v103, v136
	v_add_f32_e32 v102, v0, v1
	v_mul_f32_e32 v0, v77, v112
	s_waitcnt lgkmcnt(0)
	v_pk_mul_f32 v[62:63], v[80:81], v[62:63] op_sel_hi:[1,0]
	v_fmac_f32_e32 v101, v77, v125
	v_add_f32_e32 v103, v103, v137
	v_mul_f32_e32 v105, v78, v126
	v_fma_f32 v100, v76, v125, -v0
	v_mul_f32_e32 v0, v79, v126
	s_waitcnt vmcnt(14)
	v_pk_fma_f32 v[64:65], v[80:81], v[84:85], v[62:63] op_sel:[0,0,1] op_sel_hi:[1,1,0] neg_lo:[0,0,1] neg_hi:[0,0,1]
	v_pk_fma_f32 v[62:63], v[80:81], v[84:85], v[62:63] op_sel:[0,0,1] op_sel_hi:[1,0,0]
	v_fmac_f32_e32 v105, v79, v127
	v_fma_f32 v104, v78, v127, -v0
	v_pk_add_f32 v[60:61], v[102:103], v[100:101]
	s_waitcnt vmcnt(7)
	v_mov_b32_e32 v62, v93
	ds_read2_b64 v[0:3], v58 offset0:41 offset1:42
	ds_read2_b64 v[52:55], v58 offset0:43 offset1:44
	;; [unrolled: 1-line block ×3, first 2 shown]
	v_pk_add_f32 v[60:61], v[60:61], v[104:105]
	v_mov_b32_e32 v65, v63
	v_pk_mul_f32 v[62:63], v[82:83], v[62:63] op_sel_hi:[1,0]
	v_pk_add_f32 v[60:61], v[60:61], v[64:65]
	s_waitcnt vmcnt(6)
	v_pk_fma_f32 v[64:65], v[82:83], v[92:93], v[62:63] op_sel:[0,0,1] op_sel_hi:[1,1,0] neg_lo:[0,0,1] neg_hi:[0,0,1]
	v_pk_fma_f32 v[62:63], v[82:83], v[92:93], v[62:63] op_sel:[0,0,1] op_sel_hi:[1,0,0]
	v_mov_b32_e32 v62, v91
	v_mov_b32_e32 v65, v63
	s_waitcnt lgkmcnt(2)
	v_pk_mul_f32 v[62:63], v[0:1], v[62:63] op_sel_hi:[1,0]
	v_pk_add_f32 v[60:61], v[60:61], v[64:65]
	v_pk_fma_f32 v[64:65], v[0:1], v[90:91], v[62:63] op_sel:[0,0,1] op_sel_hi:[1,1,0] neg_lo:[0,0,1] neg_hi:[0,0,1]
	v_pk_fma_f32 v[0:1], v[0:1], v[90:91], v[62:63] op_sel:[0,0,1] op_sel_hi:[1,0,0]
	v_mov_b32_e32 v65, v1
	v_pk_add_f32 v[0:1], v[60:61], v[64:65]
	v_mov_b32_e32 v60, v89
	v_pk_mul_f32 v[60:61], v[2:3], v[60:61] op_sel_hi:[1,0]
	v_pk_fma_f32 v[62:63], v[2:3], v[88:89], v[60:61] op_sel:[0,0,1] op_sel_hi:[1,1,0] neg_lo:[0,0,1] neg_hi:[0,0,1]
	v_pk_fma_f32 v[2:3], v[2:3], v[88:89], v[60:61] op_sel:[0,0,1] op_sel_hi:[1,0,0]
	v_mov_b32_e32 v2, v87
	v_mov_b32_e32 v63, v3
	s_waitcnt lgkmcnt(1)
	v_pk_mul_f32 v[2:3], v[52:53], v[2:3] op_sel_hi:[1,0]
	v_pk_fma_f32 v[60:61], v[52:53], v[86:87], v[2:3] op_sel:[0,0,1] op_sel_hi:[1,1,0] neg_lo:[0,0,1] neg_hi:[0,0,1]
	v_pk_fma_f32 v[2:3], v[52:53], v[86:87], v[2:3] op_sel:[0,0,1] op_sel_hi:[1,0,0]
	s_waitcnt vmcnt(1)
	v_mov_b32_e32 v2, v99
	v_mov_b32_e32 v61, v3
	v_pk_mul_f32 v[2:3], v[54:55], v[2:3] op_sel_hi:[1,0]
	s_waitcnt vmcnt(0)
	v_pk_fma_f32 v[52:53], v[54:55], v[98:99], v[2:3] op_sel:[0,0,1] op_sel_hi:[1,1,0] neg_lo:[0,0,1] neg_hi:[0,0,1]
	v_pk_fma_f32 v[2:3], v[54:55], v[98:99], v[2:3] op_sel:[0,0,1] op_sel_hi:[1,0,0]
	v_pk_add_f32 v[0:1], v[0:1], v[62:63]
	v_mov_b32_e32 v2, v97
	v_pk_add_f32 v[0:1], v[0:1], v[60:61]
	v_mov_b32_e32 v53, v3
	s_waitcnt lgkmcnt(0)
	v_pk_mul_f32 v[2:3], v[56:57], v[2:3] op_sel_hi:[1,0]
	v_pk_add_f32 v[0:1], v[0:1], v[52:53]
	v_pk_fma_f32 v[52:53], v[56:57], v[96:97], v[2:3] op_sel:[0,0,1] op_sel_hi:[1,1,0] neg_lo:[0,0,1] neg_hi:[0,0,1]
	v_pk_fma_f32 v[2:3], v[56:57], v[96:97], v[2:3] op_sel:[0,0,1] op_sel_hi:[1,0,0]
	v_mov_b32_e32 v2, v95
	v_mov_b32_e32 v53, v3
	v_pk_mul_f32 v[2:3], v[58:59], v[2:3] op_sel_hi:[1,0]
	v_pk_add_f32 v[0:1], v[0:1], v[52:53]
	v_pk_fma_f32 v[52:53], v[58:59], v[94:95], v[2:3] op_sel:[0,0,1] op_sel_hi:[1,1,0] neg_lo:[0,0,1] neg_hi:[0,0,1]
	v_pk_fma_f32 v[2:3], v[58:59], v[94:95], v[2:3] op_sel:[0,0,1] op_sel_hi:[1,0,0]
	v_mov_b32_e32 v53, v3
	v_pk_add_f32 v[0:1], v[0:1], v[52:53]
	v_pk_add_f32 v[0:1], v[4:5], v[0:1] neg_lo:[0,1] neg_hi:[0,1]
	buffer_store_dword v1, off, s[0:3], 0 offset:4
	buffer_store_dword v0, off, s[0:3], 0
	s_cbranch_vccz .LBB22_197
; %bb.152:
	v_pk_mov_b32 v[0:1], s[10:11], s[10:11] op_sel:[0,1]
	flat_load_dword v0, v[0:1] offset:84
	s_waitcnt vmcnt(0) lgkmcnt(0)
	v_add_u32_e32 v0, -1, v0
	v_cmp_ne_u32_e32 vcc, 21, v0
	s_and_saveexec_b64 s[4:5], vcc
	s_cbranch_execz .LBB22_154
; %bb.153:
	v_mov_b32_e32 v1, 0
	v_lshl_add_u32 v0, v0, 3, v1
	buffer_load_dword v1, v0, s[0:3], 0 offen
	buffer_load_dword v2, v0, s[0:3], 0 offen offset:4
	buffer_load_dword v3, off, s[0:3], 0 offset:168
	buffer_load_dword v4, off, s[0:3], 0 offset:172
	s_waitcnt vmcnt(3)
	buffer_store_dword v1, off, s[0:3], 0 offset:168
	s_waitcnt vmcnt(3)
	buffer_store_dword v2, off, s[0:3], 0 offset:172
	s_waitcnt vmcnt(3)
	buffer_store_dword v3, v0, s[0:3], 0 offen
	s_waitcnt vmcnt(3)
	buffer_store_dword v4, v0, s[0:3], 0 offen offset:4
.LBB22_154:
	s_or_b64 exec, exec, s[4:5]
	v_pk_mov_b32 v[0:1], s[10:11], s[10:11] op_sel:[0,1]
	flat_load_dword v0, v[0:1] offset:80
	s_waitcnt vmcnt(0) lgkmcnt(0)
	v_add_u32_e32 v0, -1, v0
	v_cmp_ne_u32_e32 vcc, 20, v0
	s_and_saveexec_b64 s[4:5], vcc
	s_cbranch_execz .LBB22_156
; %bb.155:
	v_mov_b32_e32 v1, 0
	v_lshl_add_u32 v0, v0, 3, v1
	buffer_load_dword v1, v0, s[0:3], 0 offen
	buffer_load_dword v2, v0, s[0:3], 0 offen offset:4
	buffer_load_dword v3, off, s[0:3], 0 offset:164
	buffer_load_dword v4, off, s[0:3], 0 offset:160
	s_waitcnt vmcnt(3)
	buffer_store_dword v1, off, s[0:3], 0 offset:160
	s_waitcnt vmcnt(3)
	buffer_store_dword v2, off, s[0:3], 0 offset:164
	s_waitcnt vmcnt(3)
	buffer_store_dword v3, v0, s[0:3], 0 offen offset:4
	s_waitcnt vmcnt(3)
	buffer_store_dword v4, v0, s[0:3], 0 offen
.LBB22_156:
	s_or_b64 exec, exec, s[4:5]
	v_pk_mov_b32 v[0:1], s[10:11], s[10:11] op_sel:[0,1]
	flat_load_dword v0, v[0:1] offset:76
	s_waitcnt vmcnt(0) lgkmcnt(0)
	v_add_u32_e32 v0, -1, v0
	v_cmp_ne_u32_e32 vcc, 19, v0
	s_and_saveexec_b64 s[4:5], vcc
	s_cbranch_execz .LBB22_158
; %bb.157:
	v_mov_b32_e32 v1, 0
	v_lshl_add_u32 v0, v0, 3, v1
	buffer_load_dword v1, v0, s[0:3], 0 offen
	buffer_load_dword v2, v0, s[0:3], 0 offen offset:4
	buffer_load_dword v3, off, s[0:3], 0 offset:152
	buffer_load_dword v4, off, s[0:3], 0 offset:156
	s_waitcnt vmcnt(3)
	buffer_store_dword v1, off, s[0:3], 0 offset:152
	s_waitcnt vmcnt(3)
	buffer_store_dword v2, off, s[0:3], 0 offset:156
	s_waitcnt vmcnt(3)
	buffer_store_dword v3, v0, s[0:3], 0 offen
	s_waitcnt vmcnt(3)
	buffer_store_dword v4, v0, s[0:3], 0 offen offset:4
.LBB22_158:
	s_or_b64 exec, exec, s[4:5]
	v_pk_mov_b32 v[0:1], s[10:11], s[10:11] op_sel:[0,1]
	flat_load_dword v0, v[0:1] offset:72
	s_waitcnt vmcnt(0) lgkmcnt(0)
	v_add_u32_e32 v0, -1, v0
	v_cmp_ne_u32_e32 vcc, 18, v0
	s_and_saveexec_b64 s[4:5], vcc
	s_cbranch_execz .LBB22_160
; %bb.159:
	v_mov_b32_e32 v1, 0
	v_lshl_add_u32 v0, v0, 3, v1
	buffer_load_dword v1, v0, s[0:3], 0 offen
	buffer_load_dword v2, v0, s[0:3], 0 offen offset:4
	buffer_load_dword v3, off, s[0:3], 0 offset:148
	buffer_load_dword v4, off, s[0:3], 0 offset:144
	s_waitcnt vmcnt(3)
	buffer_store_dword v1, off, s[0:3], 0 offset:144
	s_waitcnt vmcnt(3)
	buffer_store_dword v2, off, s[0:3], 0 offset:148
	s_waitcnt vmcnt(3)
	buffer_store_dword v3, v0, s[0:3], 0 offen offset:4
	s_waitcnt vmcnt(3)
	buffer_store_dword v4, v0, s[0:3], 0 offen
.LBB22_160:
	s_or_b64 exec, exec, s[4:5]
	;; [unrolled: 48-line block ×10, first 2 shown]
	v_pk_mov_b32 v[0:1], s[10:11], s[10:11] op_sel:[0,1]
	flat_load_dword v0, v[0:1] offset:4
	s_waitcnt vmcnt(0) lgkmcnt(0)
	v_add_u32_e32 v0, -1, v0
	v_cmp_ne_u32_e32 vcc, 1, v0
	s_and_saveexec_b64 s[4:5], vcc
	s_cbranch_execz .LBB22_194
; %bb.193:
	v_mov_b32_e32 v1, 0
	v_lshl_add_u32 v0, v0, 3, v1
	buffer_load_dword v1, v0, s[0:3], 0 offen
	buffer_load_dword v2, v0, s[0:3], 0 offen offset:4
	buffer_load_dword v3, off, s[0:3], 0 offset:8
	buffer_load_dword v4, off, s[0:3], 0 offset:12
	s_waitcnt vmcnt(3)
	buffer_store_dword v1, off, s[0:3], 0 offset:8
	s_waitcnt vmcnt(3)
	buffer_store_dword v2, off, s[0:3], 0 offset:12
	s_waitcnt vmcnt(3)
	buffer_store_dword v3, v0, s[0:3], 0 offen
	s_waitcnt vmcnt(3)
	buffer_store_dword v4, v0, s[0:3], 0 offen offset:4
.LBB22_194:
	s_or_b64 exec, exec, s[4:5]
	v_pk_mov_b32 v[0:1], s[10:11], s[10:11] op_sel:[0,1]
	flat_load_dword v2, v[0:1]
	s_nop 0
	buffer_load_dword v0, off, s[0:3], 0
	buffer_load_dword v1, off, s[0:3], 0 offset:4
	s_waitcnt vmcnt(0) lgkmcnt(0)
	v_add_u32_e32 v2, -1, v2
	v_cmp_ne_u32_e32 vcc, 0, v2
	s_and_saveexec_b64 s[4:5], vcc
	s_cbranch_execz .LBB22_196
; %bb.195:
	v_mov_b32_e32 v3, 0
	v_lshl_add_u32 v2, v2, 3, v3
	buffer_load_dword v3, v2, s[0:3], 0 offen offset:4
	buffer_load_dword v4, v2, s[0:3], 0 offen
	s_waitcnt vmcnt(1)
	buffer_store_dword v3, off, s[0:3], 0 offset:4
	s_waitcnt vmcnt(1)
	buffer_store_dword v4, off, s[0:3], 0
	buffer_store_dword v1, v2, s[0:3], 0 offen offset:4
	buffer_store_dword v0, v2, s[0:3], 0 offen
	buffer_load_dword v0, off, s[0:3], 0
	s_nop 0
	buffer_load_dword v1, off, s[0:3], 0 offset:4
.LBB22_196:
	s_or_b64 exec, exec, s[4:5]
.LBB22_197:
	buffer_load_dword v2, off, s[0:3], 0 offset:8
	buffer_load_dword v3, off, s[0:3], 0 offset:12
	;; [unrolled: 1-line block ×44, first 2 shown]
	s_waitcnt vmcnt(44)
	global_store_dwordx2 v[6:7], v[0:1], off
	s_waitcnt vmcnt(43)
	global_store_dwordx2 v[8:9], v[2:3], off
	;; [unrolled: 2-line block ×23, first 2 shown]
	s_endpgm
	.section	.rodata,"a",@progbits
	.p2align	6, 0x0
	.amdhsa_kernel _ZN9rocsolver6v33100L18getri_kernel_smallILi23E19rocblas_complex_numIfEPS3_EEvT1_iilPiilS6_bb
		.amdhsa_group_segment_fixed_size 376
		.amdhsa_private_segment_fixed_size 192
		.amdhsa_kernarg_size 60
		.amdhsa_user_sgpr_count 8
		.amdhsa_user_sgpr_private_segment_buffer 1
		.amdhsa_user_sgpr_dispatch_ptr 0
		.amdhsa_user_sgpr_queue_ptr 0
		.amdhsa_user_sgpr_kernarg_segment_ptr 1
		.amdhsa_user_sgpr_dispatch_id 0
		.amdhsa_user_sgpr_flat_scratch_init 1
		.amdhsa_user_sgpr_kernarg_preload_length 0
		.amdhsa_user_sgpr_kernarg_preload_offset 0
		.amdhsa_user_sgpr_private_segment_size 0
		.amdhsa_uses_dynamic_stack 0
		.amdhsa_system_sgpr_private_segment_wavefront_offset 1
		.amdhsa_system_sgpr_workgroup_id_x 1
		.amdhsa_system_sgpr_workgroup_id_y 0
		.amdhsa_system_sgpr_workgroup_id_z 0
		.amdhsa_system_sgpr_workgroup_info 0
		.amdhsa_system_vgpr_workitem_id 0
		.amdhsa_next_free_vgpr 138
		.amdhsa_next_free_sgpr 23
		.amdhsa_accum_offset 140
		.amdhsa_reserve_vcc 1
		.amdhsa_reserve_flat_scratch 1
		.amdhsa_float_round_mode_32 0
		.amdhsa_float_round_mode_16_64 0
		.amdhsa_float_denorm_mode_32 3
		.amdhsa_float_denorm_mode_16_64 3
		.amdhsa_dx10_clamp 1
		.amdhsa_ieee_mode 1
		.amdhsa_fp16_overflow 0
		.amdhsa_tg_split 0
		.amdhsa_exception_fp_ieee_invalid_op 0
		.amdhsa_exception_fp_denorm_src 0
		.amdhsa_exception_fp_ieee_div_zero 0
		.amdhsa_exception_fp_ieee_overflow 0
		.amdhsa_exception_fp_ieee_underflow 0
		.amdhsa_exception_fp_ieee_inexact 0
		.amdhsa_exception_int_div_zero 0
	.end_amdhsa_kernel
	.section	.text._ZN9rocsolver6v33100L18getri_kernel_smallILi23E19rocblas_complex_numIfEPS3_EEvT1_iilPiilS6_bb,"axG",@progbits,_ZN9rocsolver6v33100L18getri_kernel_smallILi23E19rocblas_complex_numIfEPS3_EEvT1_iilPiilS6_bb,comdat
.Lfunc_end22:
	.size	_ZN9rocsolver6v33100L18getri_kernel_smallILi23E19rocblas_complex_numIfEPS3_EEvT1_iilPiilS6_bb, .Lfunc_end22-_ZN9rocsolver6v33100L18getri_kernel_smallILi23E19rocblas_complex_numIfEPS3_EEvT1_iilPiilS6_bb
                                        ; -- End function
	.section	.AMDGPU.csdata,"",@progbits
; Kernel info:
; codeLenInByte = 28996
; NumSgprs: 29
; NumVgprs: 138
; NumAgprs: 0
; TotalNumVgprs: 138
; ScratchSize: 192
; MemoryBound: 0
; FloatMode: 240
; IeeeMode: 1
; LDSByteSize: 376 bytes/workgroup (compile time only)
; SGPRBlocks: 3
; VGPRBlocks: 17
; NumSGPRsForWavesPerEU: 29
; NumVGPRsForWavesPerEU: 138
; AccumOffset: 140
; Occupancy: 3
; WaveLimiterHint : 1
; COMPUTE_PGM_RSRC2:SCRATCH_EN: 1
; COMPUTE_PGM_RSRC2:USER_SGPR: 8
; COMPUTE_PGM_RSRC2:TRAP_HANDLER: 0
; COMPUTE_PGM_RSRC2:TGID_X_EN: 1
; COMPUTE_PGM_RSRC2:TGID_Y_EN: 0
; COMPUTE_PGM_RSRC2:TGID_Z_EN: 0
; COMPUTE_PGM_RSRC2:TIDIG_COMP_CNT: 0
; COMPUTE_PGM_RSRC3_GFX90A:ACCUM_OFFSET: 34
; COMPUTE_PGM_RSRC3_GFX90A:TG_SPLIT: 0
	.section	.text._ZN9rocsolver6v33100L18getri_kernel_smallILi24E19rocblas_complex_numIfEPS3_EEvT1_iilPiilS6_bb,"axG",@progbits,_ZN9rocsolver6v33100L18getri_kernel_smallILi24E19rocblas_complex_numIfEPS3_EEvT1_iilPiilS6_bb,comdat
	.globl	_ZN9rocsolver6v33100L18getri_kernel_smallILi24E19rocblas_complex_numIfEPS3_EEvT1_iilPiilS6_bb ; -- Begin function _ZN9rocsolver6v33100L18getri_kernel_smallILi24E19rocblas_complex_numIfEPS3_EEvT1_iilPiilS6_bb
	.p2align	8
	.type	_ZN9rocsolver6v33100L18getri_kernel_smallILi24E19rocblas_complex_numIfEPS3_EEvT1_iilPiilS6_bb,@function
_ZN9rocsolver6v33100L18getri_kernel_smallILi24E19rocblas_complex_numIfEPS3_EEvT1_iilPiilS6_bb: ; @_ZN9rocsolver6v33100L18getri_kernel_smallILi24E19rocblas_complex_numIfEPS3_EEvT1_iilPiilS6_bb
; %bb.0:
	s_add_u32 flat_scratch_lo, s6, s9
	s_addc_u32 flat_scratch_hi, s7, 0
	s_add_u32 s0, s0, s9
	s_addc_u32 s1, s1, 0
	v_cmp_gt_u32_e32 vcc, 24, v0
	s_and_saveexec_b64 s[6:7], vcc
	s_cbranch_execz .LBB23_110
; %bb.1:
	s_load_dword s22, s[4:5], 0x38
	s_load_dwordx4 s[16:19], s[4:5], 0x10
	s_load_dwordx4 s[12:15], s[4:5], 0x28
                                        ; implicit-def: $sgpr10_sgpr11
	s_waitcnt lgkmcnt(0)
	s_bitcmp1_b32 s22, 8
	s_cselect_b64 s[20:21], -1, 0
	s_ashr_i32 s9, s8, 31
	s_bfe_u32 s6, s22, 0x10008
	s_cmp_eq_u32 s6, 0
	s_cbranch_scc1 .LBB23_3
; %bb.2:
	s_load_dword s6, s[4:5], 0x20
	s_mul_i32 s7, s8, s13
	s_mul_hi_u32 s10, s8, s12
	s_mul_i32 s11, s9, s12
	s_add_i32 s10, s10, s7
	s_add_i32 s11, s10, s11
	s_mul_i32 s10, s8, s12
	s_waitcnt lgkmcnt(0)
	s_ashr_i32 s7, s6, 31
	s_lshl_b64 s[10:11], s[10:11], 2
	s_add_u32 s10, s18, s10
	s_addc_u32 s11, s19, s11
	s_lshl_b64 s[6:7], s[6:7], 2
	s_add_u32 s10, s10, s6
	s_addc_u32 s11, s11, s7
.LBB23_3:
	s_load_dwordx4 s[4:7], s[4:5], 0x0
	s_mul_i32 s12, s8, s17
	s_mul_hi_u32 s13, s8, s16
	s_add_i32 s17, s13, s12
	v_lshlrev_b32_e32 v6, 3, v0
	s_waitcnt lgkmcnt(0)
	s_ashr_i32 s13, s6, 31
	s_mov_b32 s12, s6
	s_mul_i32 s6, s9, s16
	s_add_i32 s17, s17, s6
	s_mul_i32 s16, s8, s16
	s_lshl_b64 s[16:17], s[16:17], 3
	s_add_u32 s6, s4, s16
	s_addc_u32 s16, s5, s17
	s_lshl_b64 s[4:5], s[12:13], 3
	s_add_u32 s4, s6, s4
	s_addc_u32 s5, s16, s5
	v_mov_b32_e32 v1, s5
	v_add_co_u32_e32 v14, vcc, s4, v6
	s_ashr_i32 s13, s7, 31
	s_mov_b32 s12, s7
	s_add_i32 s6, s7, s7
	v_addc_co_u32_e32 v15, vcc, 0, v1, vcc
	s_lshl_b64 s[12:13], s[12:13], 3
	v_add_u32_e32 v4, s6, v0
	v_mov_b32_e32 v1, s13
	v_add_co_u32_e32 v16, vcc, s12, v14
	v_ashrrev_i32_e32 v5, 31, v4
	v_addc_co_u32_e32 v17, vcc, v15, v1, vcc
	v_lshlrev_b64 v[8:9], 3, v[4:5]
	v_add_u32_e32 v4, s7, v4
	v_mov_b32_e32 v1, s5
	v_add_co_u32_e32 v18, vcc, s4, v8
	v_ashrrev_i32_e32 v5, 31, v4
	v_addc_co_u32_e32 v19, vcc, v1, v9, vcc
	v_lshlrev_b64 v[8:9], 3, v[4:5]
	v_add_u32_e32 v4, s7, v4
	v_add_co_u32_e32 v20, vcc, s4, v8
	v_ashrrev_i32_e32 v5, 31, v4
	v_addc_co_u32_e32 v21, vcc, v1, v9, vcc
	v_lshlrev_b64 v[8:9], 3, v[4:5]
	v_add_u32_e32 v4, s7, v4
	;; [unrolled: 5-line block ×16, first 2 shown]
	v_add_co_u32_e32 v50, vcc, s4, v8
	v_add_u32_e32 v8, s7, v4
	v_add_u32_e32 v10, s7, v8
	v_add_u32_e32 v12, s7, v10
	v_add_u32_e32 v52, s7, v12
	v_ashrrev_i32_e32 v5, 31, v4
	v_addc_co_u32_e32 v51, vcc, v1, v9, vcc
	v_ashrrev_i32_e32 v53, 31, v52
	v_lshlrev_b64 v[4:5], 3, v[4:5]
	v_lshlrev_b64 v[60:61], 3, v[52:53]
	v_mov_b32_e32 v7, s5
	v_add_co_u32_e32 v52, vcc, s4, v4
	v_ashrrev_i32_e32 v9, 31, v8
	v_addc_co_u32_e32 v53, vcc, v7, v5, vcc
	v_lshlrev_b64 v[4:5], 3, v[8:9]
	v_add_co_u32_e32 v54, vcc, s4, v4
	v_ashrrev_i32_e32 v11, 31, v10
	v_addc_co_u32_e32 v55, vcc, v7, v5, vcc
	v_lshlrev_b64 v[4:5], 3, v[10:11]
	;; [unrolled: 4-line block ×3, first 2 shown]
	v_add_co_u32_e32 v58, vcc, s4, v4
	global_load_dwordx2 v[2:3], v6, s[4:5]
	global_load_dwordx2 v[62:63], v[16:17], off
	global_load_dwordx2 v[64:65], v[18:19], off
	;; [unrolled: 1-line block ×18, first 2 shown]
	v_addc_co_u32_e32 v59, vcc, v7, v5, vcc
	global_load_dwordx2 v[4:5], v[52:53], off
	global_load_dwordx2 v[8:9], v[54:55], off
	;; [unrolled: 1-line block ×4, first 2 shown]
	v_add_co_u32_e32 v60, vcc, s4, v60
	v_addc_co_u32_e32 v61, vcc, v1, v61, vcc
	global_load_dwordx2 v[98:99], v[60:61], off
	s_bitcmp0_b32 s22, 0
	s_mov_b64 s[6:7], -1
	s_waitcnt vmcnt(23)
	buffer_store_dword v3, off, s[0:3], 0 offset:4
	buffer_store_dword v2, off, s[0:3], 0
	s_waitcnt vmcnt(24)
	buffer_store_dword v63, off, s[0:3], 0 offset:12
	buffer_store_dword v62, off, s[0:3], 0 offset:8
	s_waitcnt vmcnt(25)
	buffer_store_dword v65, off, s[0:3], 0 offset:20
	buffer_store_dword v64, off, s[0:3], 0 offset:16
	s_waitcnt vmcnt(26)
	buffer_store_dword v67, off, s[0:3], 0 offset:28
	buffer_store_dword v66, off, s[0:3], 0 offset:24
	s_waitcnt vmcnt(27)
	buffer_store_dword v69, off, s[0:3], 0 offset:36
	buffer_store_dword v68, off, s[0:3], 0 offset:32
	s_waitcnt vmcnt(28)
	buffer_store_dword v71, off, s[0:3], 0 offset:44
	buffer_store_dword v70, off, s[0:3], 0 offset:40
	s_waitcnt vmcnt(29)
	buffer_store_dword v73, off, s[0:3], 0 offset:52
	buffer_store_dword v72, off, s[0:3], 0 offset:48
	s_waitcnt vmcnt(30)
	buffer_store_dword v75, off, s[0:3], 0 offset:60
	buffer_store_dword v74, off, s[0:3], 0 offset:56
	s_waitcnt vmcnt(31)
	buffer_store_dword v77, off, s[0:3], 0 offset:68
	buffer_store_dword v76, off, s[0:3], 0 offset:64
	s_waitcnt vmcnt(32)
	buffer_store_dword v78, off, s[0:3], 0 offset:72
	buffer_store_dword v79, off, s[0:3], 0 offset:76
	s_waitcnt vmcnt(33)
	buffer_store_dword v80, off, s[0:3], 0 offset:80
	buffer_store_dword v81, off, s[0:3], 0 offset:84
	s_waitcnt vmcnt(34)
	buffer_store_dword v82, off, s[0:3], 0 offset:88
	buffer_store_dword v83, off, s[0:3], 0 offset:92
	s_waitcnt vmcnt(35)
	buffer_store_dword v84, off, s[0:3], 0 offset:96
	buffer_store_dword v85, off, s[0:3], 0 offset:100
	s_waitcnt vmcnt(36)
	buffer_store_dword v86, off, s[0:3], 0 offset:104
	buffer_store_dword v87, off, s[0:3], 0 offset:108
	s_waitcnt vmcnt(37)
	buffer_store_dword v89, off, s[0:3], 0 offset:116
	buffer_store_dword v88, off, s[0:3], 0 offset:112
	s_waitcnt vmcnt(38)
	buffer_store_dword v90, off, s[0:3], 0 offset:120
	buffer_store_dword v91, off, s[0:3], 0 offset:124
	s_waitcnt vmcnt(39)
	buffer_store_dword v92, off, s[0:3], 0 offset:128
	buffer_store_dword v93, off, s[0:3], 0 offset:132
	s_waitcnt vmcnt(40)
	buffer_store_dword v94, off, s[0:3], 0 offset:136
	buffer_store_dword v95, off, s[0:3], 0 offset:140
	s_waitcnt vmcnt(41)
	buffer_store_dword v96, off, s[0:3], 0 offset:144
	buffer_store_dword v97, off, s[0:3], 0 offset:148
	s_waitcnt vmcnt(42)
	buffer_store_dword v5, off, s[0:3], 0 offset:156
	buffer_store_dword v4, off, s[0:3], 0 offset:152
	s_waitcnt vmcnt(43)
	buffer_store_dword v9, off, s[0:3], 0 offset:164
	buffer_store_dword v8, off, s[0:3], 0 offset:160
	s_waitcnt vmcnt(44)
	buffer_store_dword v10, off, s[0:3], 0 offset:168
	buffer_store_dword v11, off, s[0:3], 0 offset:172
	s_waitcnt vmcnt(45)
	buffer_store_dword v12, off, s[0:3], 0 offset:176
	buffer_store_dword v13, off, s[0:3], 0 offset:180
	s_waitcnt vmcnt(46)
	buffer_store_dword v98, off, s[0:3], 0 offset:184
	buffer_store_dword v99, off, s[0:3], 0 offset:188
	s_cbranch_scc1 .LBB23_108
; %bb.4:
	v_cmp_eq_u32_e64 s[4:5], 0, v0
	s_and_saveexec_b64 s[6:7], s[4:5]
	s_cbranch_execz .LBB23_6
; %bb.5:
	v_mov_b32_e32 v1, 0
	ds_write_b32 v1, v1 offset:384
.LBB23_6:
	s_or_b64 exec, exec, s[6:7]
	v_mov_b32_e32 v1, 0
	v_lshl_add_u32 v7, v0, 3, v1
	s_waitcnt lgkmcnt(0)
	; wave barrier
	s_waitcnt lgkmcnt(0)
	buffer_load_dword v1, v7, s[0:3], 0 offen
	buffer_load_dword v2, v7, s[0:3], 0 offen offset:4
	s_waitcnt vmcnt(1)
	v_cmp_eq_f32_e32 vcc, 0, v1
	s_waitcnt vmcnt(0)
	v_cmp_eq_f32_e64 s[6:7], 0, v2
	s_and_b64 s[6:7], vcc, s[6:7]
	s_and_saveexec_b64 s[12:13], s[6:7]
	s_cbranch_execz .LBB23_10
; %bb.7:
	v_mov_b32_e32 v1, 0
	ds_read_b32 v3, v1 offset:384
	v_add_u32_e32 v2, 1, v0
	s_waitcnt lgkmcnt(0)
	v_readfirstlane_b32 s6, v3
	s_cmp_eq_u32 s6, 0
	s_cselect_b64 s[16:17], -1, 0
	v_cmp_gt_i32_e32 vcc, s6, v2
	s_or_b64 s[16:17], s[16:17], vcc
	s_and_b64 exec, exec, s[16:17]
	s_cbranch_execz .LBB23_10
; %bb.8:
	s_mov_b64 s[16:17], 0
	v_mov_b32_e32 v3, s6
.LBB23_9:                               ; =>This Inner Loop Header: Depth=1
	ds_cmpst_rtn_b32 v3, v1, v3, v2 offset:384
	s_waitcnt lgkmcnt(0)
	v_cmp_ne_u32_e32 vcc, 0, v3
	v_cmp_le_i32_e64 s[6:7], v3, v2
	s_and_b64 s[6:7], vcc, s[6:7]
	s_and_b64 s[6:7], exec, s[6:7]
	s_or_b64 s[16:17], s[6:7], s[16:17]
	s_andn2_b64 exec, exec, s[16:17]
	s_cbranch_execnz .LBB23_9
.LBB23_10:
	s_or_b64 exec, exec, s[12:13]
	v_mov_b32_e32 v2, 0
	s_waitcnt lgkmcnt(0)
	; wave barrier
	ds_read_b32 v1, v2 offset:384
	s_and_saveexec_b64 s[6:7], s[4:5]
	s_cbranch_execz .LBB23_12
; %bb.11:
	s_lshl_b64 s[12:13], s[8:9], 2
	s_add_u32 s12, s14, s12
	s_addc_u32 s13, s15, s13
	s_waitcnt lgkmcnt(0)
	global_store_dword v2, v1, s[12:13]
.LBB23_12:
	s_or_b64 exec, exec, s[6:7]
	s_waitcnt lgkmcnt(0)
	v_cmp_ne_u32_e32 vcc, 0, v1
	s_mov_b64 s[6:7], 0
	s_cbranch_vccnz .LBB23_108
; %bb.13:
	buffer_load_dword v8, v7, s[0:3], 0 offen offset:4
	buffer_load_dword v3, v7, s[0:3], 0 offen
	s_waitcnt vmcnt(1)
	v_cmp_gt_f32_e32 vcc, 0, v8
	v_cndmask_b32_e64 v1, v8, -v8, vcc
	s_waitcnt vmcnt(0)
	v_cmp_gt_f32_e32 vcc, 0, v3
	v_cndmask_b32_e64 v2, v3, -v3, vcc
	v_cmp_ngt_f32_e32 vcc, v2, v1
                                        ; implicit-def: $vgpr1
                                        ; implicit-def: $vgpr2
	s_and_saveexec_b64 s[6:7], vcc
	s_xor_b64 s[6:7], exec, s[6:7]
                                        ; implicit-def: $vgpr4_vgpr5
	s_cbranch_execz .LBB23_15
; %bb.14:
	v_div_scale_f32 v1, s[12:13], v8, v8, v3
	v_rcp_f32_e32 v2, v1
	v_div_scale_f32 v4, vcc, v3, v8, v3
	v_fma_f32 v5, -v1, v2, 1.0
	v_fmac_f32_e32 v2, v5, v2
	v_mul_f32_e32 v5, v4, v2
	v_fma_f32 v9, -v1, v5, v4
	v_fmac_f32_e32 v5, v9, v2
	v_fma_f32 v1, -v1, v5, v4
	v_div_fmas_f32 v1, v1, v2, v5
	v_div_fixup_f32 v2, v1, v8, v3
	v_fmac_f32_e32 v8, v3, v2
	v_div_scale_f32 v1, s[12:13], v8, v8, -1.0
	v_rcp_f32_e32 v3, v1
	v_fma_f32 v4, -v1, v3, 1.0
	v_fmac_f32_e32 v3, v4, v3
	v_div_scale_f32 v4, vcc, -1.0, v8, -1.0
	v_mul_f32_e32 v5, v4, v3
	v_fma_f32 v9, -v1, v5, v4
	v_fmac_f32_e32 v5, v9, v3
	v_fma_f32 v1, -v1, v5, v4
	v_div_fmas_f32 v1, v1, v3, v5
	v_div_fixup_f32 v1, v1, v8, -1.0
	v_mul_f32_e32 v2, v2, v1
	v_xor_b32_e32 v4, 0x80000000, v2
                                        ; implicit-def: $vgpr3
                                        ; implicit-def: $vgpr8
.LBB23_15:
	s_andn2_saveexec_b64 s[6:7], s[6:7]
	s_cbranch_execz .LBB23_17
; %bb.16:
	v_div_scale_f32 v1, s[12:13], v3, v3, v8
	v_rcp_f32_e32 v2, v1
	v_div_scale_f32 v4, vcc, v8, v3, v8
	v_fma_f32 v5, -v1, v2, 1.0
	v_fmac_f32_e32 v2, v5, v2
	v_mul_f32_e32 v5, v4, v2
	v_fma_f32 v9, -v1, v5, v4
	v_fmac_f32_e32 v5, v9, v2
	v_fma_f32 v1, -v1, v5, v4
	v_div_fmas_f32 v1, v1, v2, v5
	v_div_fixup_f32 v1, v1, v3, v8
	v_fmac_f32_e32 v3, v8, v1
	v_div_scale_f32 v2, s[12:13], v3, v3, 1.0
	v_rcp_f32_e32 v4, v2
	v_fma_f32 v5, -v2, v4, 1.0
	v_fmac_f32_e32 v4, v5, v4
	v_div_scale_f32 v5, vcc, 1.0, v3, 1.0
	v_mul_f32_e32 v8, v5, v4
	v_fma_f32 v9, -v2, v8, v5
	v_fmac_f32_e32 v8, v9, v4
	v_fma_f32 v2, -v2, v8, v5
	v_div_fmas_f32 v2, v2, v4, v8
	v_div_fixup_f32 v4, v2, v3, 1.0
	v_xor_b32_e32 v2, 0x80000000, v4
	v_mul_f32_e64 v1, v1, -v4
.LBB23_17:
	s_or_b64 exec, exec, s[6:7]
	buffer_store_dword v1, v7, s[0:3], 0 offen offset:4
	buffer_store_dword v4, v7, s[0:3], 0 offen
	buffer_load_dword v5, off, s[0:3], 0 offset:12
	s_nop 0
	buffer_load_dword v4, off, s[0:3], 0 offset:8
	v_xor_b32_e32 v3, 0x80000000, v1
	v_add_u32_e32 v1, 0xc0, v6
	s_waitcnt vmcnt(0)
	ds_write2_b64 v6, v[2:3], v[4:5] offset1:24
	s_waitcnt lgkmcnt(0)
	; wave barrier
	s_waitcnt lgkmcnt(0)
	s_and_saveexec_b64 s[6:7], s[4:5]
	s_cbranch_execz .LBB23_19
; %bb.18:
	buffer_load_dword v8, v7, s[0:3], 0 offen offset:4
	buffer_load_dword v9, v7, s[0:3], 0 offen
	ds_read_b64 v[2:3], v1
	v_mov_b32_e32 v4, 0
	ds_read_b64 v[4:5], v4 offset:8
	s_waitcnt vmcnt(1) lgkmcnt(1)
	v_mul_f32_e32 v10, v3, v8
	v_mul_f32_e32 v8, v2, v8
	s_waitcnt vmcnt(0)
	v_fmac_f32_e32 v8, v3, v9
	v_fma_f32 v2, v2, v9, -v10
	v_add_f32_e32 v3, 0, v8
	v_add_f32_e32 v2, 0, v2
	s_waitcnt lgkmcnt(0)
	v_mul_f32_e32 v8, v3, v5
	v_mul_f32_e32 v5, v2, v5
	v_fma_f32 v2, v2, v4, -v8
	v_fmac_f32_e32 v5, v3, v4
	buffer_store_dword v2, off, s[0:3], 0 offset:8
	buffer_store_dword v5, off, s[0:3], 0 offset:12
.LBB23_19:
	s_or_b64 exec, exec, s[6:7]
	s_waitcnt lgkmcnt(0)
	; wave barrier
	buffer_load_dword v2, off, s[0:3], 0 offset:16
	buffer_load_dword v3, off, s[0:3], 0 offset:20
	v_cmp_gt_u32_e32 vcc, 2, v0
	s_waitcnt vmcnt(0)
	ds_write_b64 v1, v[2:3]
	s_waitcnt lgkmcnt(0)
	; wave barrier
	s_waitcnt lgkmcnt(0)
	s_and_saveexec_b64 s[6:7], vcc
	s_cbranch_execz .LBB23_23
; %bb.20:
	buffer_load_dword v4, v7, s[0:3], 0 offen offset:4
	buffer_load_dword v5, v7, s[0:3], 0 offen
	ds_read_b64 v[2:3], v1
	s_waitcnt vmcnt(1) lgkmcnt(0)
	v_mul_f32_e32 v7, v3, v4
	v_mul_f32_e32 v4, v2, v4
	s_waitcnt vmcnt(0)
	v_fma_f32 v2, v2, v5, -v7
	v_fmac_f32_e32 v4, v3, v5
	v_add_f32_e32 v3, 0, v2
	v_add_f32_e32 v2, 0, v4
	s_and_saveexec_b64 s[12:13], s[4:5]
	s_cbranch_execz .LBB23_22
; %bb.21:
	buffer_load_dword v7, off, s[0:3], 0 offset:12
	buffer_load_dword v8, off, s[0:3], 0 offset:8
	v_mov_b32_e32 v4, 0
	ds_read_b64 v[4:5], v4 offset:200
	s_waitcnt vmcnt(1) lgkmcnt(0)
	v_mul_f32_e32 v9, v4, v7
	v_mul_f32_e32 v7, v5, v7
	s_waitcnt vmcnt(0)
	v_fmac_f32_e32 v9, v5, v8
	v_fma_f32 v4, v4, v8, -v7
	v_add_f32_e32 v2, v2, v9
	v_add_f32_e32 v3, v3, v4
.LBB23_22:
	s_or_b64 exec, exec, s[12:13]
	v_mov_b32_e32 v4, 0
	ds_read_b64 v[4:5], v4 offset:16
	s_waitcnt lgkmcnt(0)
	v_mul_f32_e32 v7, v2, v5
	v_mul_f32_e32 v5, v3, v5
	v_fma_f32 v3, v3, v4, -v7
	v_fmac_f32_e32 v5, v2, v4
	buffer_store_dword v3, off, s[0:3], 0 offset:16
	buffer_store_dword v5, off, s[0:3], 0 offset:20
.LBB23_23:
	s_or_b64 exec, exec, s[6:7]
	s_waitcnt lgkmcnt(0)
	; wave barrier
	buffer_load_dword v2, off, s[0:3], 0 offset:24
	buffer_load_dword v3, off, s[0:3], 0 offset:28
	v_cmp_gt_u32_e32 vcc, 3, v0
	s_waitcnt vmcnt(0)
	ds_write_b64 v1, v[2:3]
	v_add_u32_e32 v2, -1, v0
	s_waitcnt lgkmcnt(0)
	; wave barrier
	s_waitcnt lgkmcnt(0)
	s_and_saveexec_b64 s[4:5], vcc
	s_cbranch_execz .LBB23_27
; %bb.24:
	v_add_u32_e32 v4, -1, v0
	v_add_u32_e32 v5, 0xc0, v6
	v_add_u32_e32 v7, 0, v6
	s_mov_b64 s[6:7], 0
	v_mov_b32_e32 v3, 0
	v_mov_b32_e32 v8, 0
.LBB23_25:                              ; =>This Inner Loop Header: Depth=1
	buffer_load_dword v9, v7, s[0:3], 0 offen offset:4
	buffer_load_dword v12, v7, s[0:3], 0 offen
	ds_read_b64 v[10:11], v5
	v_add_u32_e32 v4, 1, v4
	v_cmp_lt_u32_e32 vcc, 1, v4
	v_add_u32_e32 v5, 8, v5
	v_add_u32_e32 v7, 8, v7
	s_or_b64 s[6:7], vcc, s[6:7]
	s_waitcnt vmcnt(1) lgkmcnt(0)
	v_mul_f32_e32 v13, v11, v9
	v_mul_f32_e32 v9, v10, v9
	s_waitcnt vmcnt(0)
	v_fma_f32 v10, v10, v12, -v13
	v_fmac_f32_e32 v9, v11, v12
	v_add_f32_e32 v8, v8, v10
	v_add_f32_e32 v3, v3, v9
	s_andn2_b64 exec, exec, s[6:7]
	s_cbranch_execnz .LBB23_25
; %bb.26:
	s_or_b64 exec, exec, s[6:7]
	v_mov_b32_e32 v4, 0
	ds_read_b64 v[4:5], v4 offset:24
	s_waitcnt lgkmcnt(0)
	v_mul_f32_e32 v7, v3, v5
	v_mul_f32_e32 v5, v8, v5
	v_fma_f32 v7, v8, v4, -v7
	v_fmac_f32_e32 v5, v3, v4
	buffer_store_dword v7, off, s[0:3], 0 offset:24
	buffer_store_dword v5, off, s[0:3], 0 offset:28
.LBB23_27:
	s_or_b64 exec, exec, s[4:5]
	s_waitcnt lgkmcnt(0)
	; wave barrier
	buffer_load_dword v4, off, s[0:3], 0 offset:32
	buffer_load_dword v5, off, s[0:3], 0 offset:36
	v_cmp_gt_u32_e32 vcc, 4, v0
	s_waitcnt vmcnt(0)
	ds_write_b64 v1, v[4:5]
	s_waitcnt lgkmcnt(0)
	; wave barrier
	s_waitcnt lgkmcnt(0)
	s_and_saveexec_b64 s[4:5], vcc
	s_cbranch_execz .LBB23_31
; %bb.28:
	v_add_u32_e32 v4, -1, v0
	v_add_u32_e32 v5, 0xc0, v6
	v_add_u32_e32 v7, 0, v6
	s_mov_b64 s[6:7], 0
	v_mov_b32_e32 v3, 0
	v_mov_b32_e32 v8, 0
.LBB23_29:                              ; =>This Inner Loop Header: Depth=1
	buffer_load_dword v9, v7, s[0:3], 0 offen offset:4
	buffer_load_dword v12, v7, s[0:3], 0 offen
	ds_read_b64 v[10:11], v5
	v_add_u32_e32 v4, 1, v4
	v_cmp_lt_u32_e32 vcc, 2, v4
	v_add_u32_e32 v5, 8, v5
	v_add_u32_e32 v7, 8, v7
	s_or_b64 s[6:7], vcc, s[6:7]
	s_waitcnt vmcnt(1) lgkmcnt(0)
	v_mul_f32_e32 v13, v11, v9
	v_mul_f32_e32 v9, v10, v9
	s_waitcnt vmcnt(0)
	v_fma_f32 v10, v10, v12, -v13
	v_fmac_f32_e32 v9, v11, v12
	v_add_f32_e32 v8, v8, v10
	v_add_f32_e32 v3, v3, v9
	s_andn2_b64 exec, exec, s[6:7]
	s_cbranch_execnz .LBB23_29
; %bb.30:
	s_or_b64 exec, exec, s[6:7]
	v_mov_b32_e32 v4, 0
	ds_read_b64 v[4:5], v4 offset:32
	s_waitcnt lgkmcnt(0)
	v_mul_f32_e32 v7, v3, v5
	v_mul_f32_e32 v5, v8, v5
	v_fma_f32 v7, v8, v4, -v7
	v_fmac_f32_e32 v5, v3, v4
	buffer_store_dword v7, off, s[0:3], 0 offset:32
	buffer_store_dword v5, off, s[0:3], 0 offset:36
.LBB23_31:
	s_or_b64 exec, exec, s[4:5]
	s_waitcnt lgkmcnt(0)
	; wave barrier
	buffer_load_dword v4, off, s[0:3], 0 offset:40
	buffer_load_dword v5, off, s[0:3], 0 offset:44
	v_cmp_gt_u32_e32 vcc, 5, v0
	s_waitcnt vmcnt(0)
	ds_write_b64 v1, v[4:5]
	;; [unrolled: 51-line block ×19, first 2 shown]
	s_waitcnt lgkmcnt(0)
	; wave barrier
	s_waitcnt lgkmcnt(0)
	s_and_saveexec_b64 s[4:5], vcc
	s_cbranch_execz .LBB23_103
; %bb.100:
	v_add_u32_e32 v4, -1, v0
	v_add_u32_e32 v5, 0xc0, v6
	v_add_u32_e32 v7, 0, v6
	s_mov_b64 s[6:7], 0
	v_mov_b32_e32 v3, 0
	v_mov_b32_e32 v8, 0
.LBB23_101:                             ; =>This Inner Loop Header: Depth=1
	buffer_load_dword v9, v7, s[0:3], 0 offen offset:4
	buffer_load_dword v12, v7, s[0:3], 0 offen
	ds_read_b64 v[10:11], v5
	v_add_u32_e32 v4, 1, v4
	v_cmp_lt_u32_e32 vcc, 20, v4
	v_add_u32_e32 v5, 8, v5
	v_add_u32_e32 v7, 8, v7
	s_or_b64 s[6:7], vcc, s[6:7]
	s_waitcnt vmcnt(1) lgkmcnt(0)
	v_mul_f32_e32 v13, v11, v9
	v_mul_f32_e32 v9, v10, v9
	s_waitcnt vmcnt(0)
	v_fma_f32 v10, v10, v12, -v13
	v_fmac_f32_e32 v9, v11, v12
	v_add_f32_e32 v8, v8, v10
	v_add_f32_e32 v3, v3, v9
	s_andn2_b64 exec, exec, s[6:7]
	s_cbranch_execnz .LBB23_101
; %bb.102:
	s_or_b64 exec, exec, s[6:7]
	v_mov_b32_e32 v4, 0
	ds_read_b64 v[4:5], v4 offset:176
	s_waitcnt lgkmcnt(0)
	v_mul_f32_e32 v7, v3, v5
	v_mul_f32_e32 v5, v8, v5
	v_fma_f32 v7, v8, v4, -v7
	v_fmac_f32_e32 v5, v3, v4
	buffer_store_dword v7, off, s[0:3], 0 offset:176
	buffer_store_dword v5, off, s[0:3], 0 offset:180
.LBB23_103:
	s_or_b64 exec, exec, s[4:5]
	s_waitcnt lgkmcnt(0)
	; wave barrier
	buffer_load_dword v4, off, s[0:3], 0 offset:184
	buffer_load_dword v5, off, s[0:3], 0 offset:188
	v_cmp_ne_u32_e32 vcc, 23, v0
	s_waitcnt vmcnt(0)
	ds_write_b64 v1, v[4:5]
	s_waitcnt lgkmcnt(0)
	; wave barrier
	s_waitcnt lgkmcnt(0)
	s_and_saveexec_b64 s[4:5], vcc
	s_cbranch_execz .LBB23_107
; %bb.104:
	v_add_u32_e32 v3, 0xc0, v6
	v_add_u32_e32 v4, 0, v6
	s_mov_b64 s[6:7], 0
	v_mov_b32_e32 v1, 0
	v_mov_b32_e32 v5, 0
.LBB23_105:                             ; =>This Inner Loop Header: Depth=1
	buffer_load_dword v8, v4, s[0:3], 0 offen offset:4
	buffer_load_dword v9, v4, s[0:3], 0 offen
	ds_read_b64 v[6:7], v3
	v_add_u32_e32 v2, 1, v2
	v_cmp_lt_u32_e32 vcc, 21, v2
	v_add_u32_e32 v3, 8, v3
	v_add_u32_e32 v4, 8, v4
	s_or_b64 s[6:7], vcc, s[6:7]
	s_waitcnt vmcnt(1) lgkmcnt(0)
	v_mul_f32_e32 v10, v7, v8
	v_mul_f32_e32 v8, v6, v8
	s_waitcnt vmcnt(0)
	v_fma_f32 v6, v6, v9, -v10
	v_fmac_f32_e32 v8, v7, v9
	v_add_f32_e32 v5, v5, v6
	v_add_f32_e32 v1, v1, v8
	s_andn2_b64 exec, exec, s[6:7]
	s_cbranch_execnz .LBB23_105
; %bb.106:
	s_or_b64 exec, exec, s[6:7]
	v_mov_b32_e32 v2, 0
	ds_read_b64 v[2:3], v2 offset:184
	s_waitcnt lgkmcnt(0)
	v_mul_f32_e32 v4, v1, v3
	v_mul_f32_e32 v3, v5, v3
	v_fma_f32 v4, v5, v2, -v4
	v_fmac_f32_e32 v3, v1, v2
	buffer_store_dword v4, off, s[0:3], 0 offset:184
	buffer_store_dword v3, off, s[0:3], 0 offset:188
.LBB23_107:
	s_or_b64 exec, exec, s[4:5]
	s_mov_b64 s[6:7], -1
	s_waitcnt lgkmcnt(0)
	; wave barrier
.LBB23_108:
	s_and_b64 vcc, exec, s[6:7]
	s_cbranch_vccz .LBB23_110
; %bb.109:
	s_lshl_b64 s[4:5], s[8:9], 2
	s_add_u32 s4, s14, s4
	s_addc_u32 s5, s15, s5
	v_mov_b32_e32 v1, 0
	global_load_dword v1, v1, s[4:5]
	s_waitcnt vmcnt(0)
	v_cmp_ne_u32_e32 vcc, 0, v1
	s_cbranch_vccz .LBB23_111
.LBB23_110:
	s_endpgm
.LBB23_111:
	v_mov_b32_e32 v1, 0xc0
	v_lshl_add_u32 v1, v0, 3, v1
	v_cmp_eq_u32_e32 vcc, 23, v0
	s_and_saveexec_b64 s[4:5], vcc
	s_cbranch_execz .LBB23_113
; %bb.112:
	buffer_load_dword v2, off, s[0:3], 0 offset:176
	buffer_load_dword v3, off, s[0:3], 0 offset:180
	v_mov_b32_e32 v4, 0
	buffer_store_dword v4, off, s[0:3], 0 offset:176
	buffer_store_dword v4, off, s[0:3], 0 offset:180
	s_waitcnt vmcnt(2)
	ds_write_b64 v1, v[2:3]
.LBB23_113:
	s_or_b64 exec, exec, s[4:5]
	s_waitcnt lgkmcnt(0)
	; wave barrier
	s_waitcnt lgkmcnt(0)
	buffer_load_dword v5, off, s[0:3], 0 offset:188
	buffer_load_dword v4, off, s[0:3], 0 offset:184
	;; [unrolled: 1-line block ×4, first 2 shown]
	v_mov_b32_e32 v2, 0
	ds_read_b64 v[8:9], v2 offset:376
	v_cmp_lt_u32_e32 vcc, 21, v0
	s_waitcnt vmcnt(3)
	v_mov_b32_e32 v10, v5
	s_waitcnt lgkmcnt(0)
	v_pk_mul_f32 v[10:11], v[8:9], v[10:11] op_sel_hi:[1,0]
	s_waitcnt vmcnt(2)
	v_pk_fma_f32 v[12:13], v[8:9], v[4:5], v[10:11] op_sel:[0,0,1] op_sel_hi:[1,1,0] neg_lo:[0,0,1] neg_hi:[0,0,1]
	v_pk_fma_f32 v[4:5], v[8:9], v[4:5], v[10:11] op_sel:[0,0,1] op_sel_hi:[1,0,0]
	v_mov_b32_e32 v13, v5
	v_pk_add_f32 v[4:5], v[12:13], 0 op_sel_hi:[1,0]
	s_waitcnt vmcnt(0)
	v_pk_add_f32 v[4:5], v[6:7], v[4:5] neg_lo:[0,1] neg_hi:[0,1]
	buffer_store_dword v4, off, s[0:3], 0 offset:176
	buffer_store_dword v5, off, s[0:3], 0 offset:180
	s_and_saveexec_b64 s[4:5], vcc
	s_cbranch_execz .LBB23_115
; %bb.114:
	buffer_load_dword v4, off, s[0:3], 0 offset:168
	buffer_load_dword v5, off, s[0:3], 0 offset:172
	s_waitcnt vmcnt(0)
	ds_write_b64 v1, v[4:5]
	buffer_store_dword v2, off, s[0:3], 0 offset:168
	buffer_store_dword v2, off, s[0:3], 0 offset:172
.LBB23_115:
	s_or_b64 exec, exec, s[4:5]
	s_waitcnt lgkmcnt(0)
	; wave barrier
	s_waitcnt lgkmcnt(0)
	buffer_load_dword v7, off, s[0:3], 0 offset:180
	buffer_load_dword v9, off, s[0:3], 0 offset:188
	;; [unrolled: 1-line block ×6, first 2 shown]
	ds_read_b128 v[2:5], v2 offset:368
	v_cmp_lt_u32_e32 vcc, 20, v0
	s_waitcnt vmcnt(5)
	v_mov_b32_e32 v12, v7
	s_waitcnt vmcnt(4)
	v_mov_b32_e32 v62, v9
	s_waitcnt lgkmcnt(0)
	v_pk_mul_f32 v[12:13], v[2:3], v[12:13] op_sel_hi:[1,0]
	v_pk_mul_f32 v[62:63], v[4:5], v[62:63] op_sel_hi:[1,0]
	s_waitcnt vmcnt(3)
	v_pk_fma_f32 v[64:65], v[2:3], v[6:7], v[12:13] op_sel:[0,0,1] op_sel_hi:[1,1,0] neg_lo:[0,0,1] neg_hi:[0,0,1]
	v_pk_fma_f32 v[2:3], v[2:3], v[6:7], v[12:13] op_sel:[0,0,1] op_sel_hi:[1,0,0]
	s_waitcnt vmcnt(2)
	v_pk_fma_f32 v[6:7], v[4:5], v[8:9], v[62:63] op_sel:[0,0,1] op_sel_hi:[1,1,0] neg_lo:[0,0,1] neg_hi:[0,0,1]
	v_pk_fma_f32 v[4:5], v[4:5], v[8:9], v[62:63] op_sel:[0,0,1] op_sel_hi:[1,0,0]
	v_mov_b32_e32 v65, v3
	v_mov_b32_e32 v7, v5
	v_pk_add_f32 v[2:3], v[64:65], 0 op_sel_hi:[1,0]
	v_pk_add_f32 v[2:3], v[2:3], v[6:7]
	s_waitcnt vmcnt(0)
	v_pk_add_f32 v[2:3], v[10:11], v[2:3] neg_lo:[0,1] neg_hi:[0,1]
	buffer_store_dword v2, off, s[0:3], 0 offset:168
	buffer_store_dword v3, off, s[0:3], 0 offset:172
	s_and_saveexec_b64 s[4:5], vcc
	s_cbranch_execz .LBB23_117
; %bb.116:
	buffer_load_dword v2, off, s[0:3], 0 offset:160
	buffer_load_dword v3, off, s[0:3], 0 offset:164
	v_mov_b32_e32 v4, 0
	buffer_store_dword v4, off, s[0:3], 0 offset:160
	buffer_store_dword v4, off, s[0:3], 0 offset:164
	s_waitcnt vmcnt(2)
	ds_write_b64 v1, v[2:3]
.LBB23_117:
	s_or_b64 exec, exec, s[4:5]
	s_waitcnt lgkmcnt(0)
	; wave barrier
	s_waitcnt lgkmcnt(0)
	buffer_load_dword v9, off, s[0:3], 0 offset:172
	buffer_load_dword v11, off, s[0:3], 0 offset:180
	;; [unrolled: 1-line block ×8, first 2 shown]
	v_mov_b32_e32 v2, 0
	ds_read2_b64 v[4:7], v2 offset0:45 offset1:46
	ds_read_b64 v[64:65], v2 offset:376
	v_cmp_lt_u32_e32 vcc, 19, v0
	s_waitcnt vmcnt(7)
	v_mov_b32_e32 v66, v9
	s_waitcnt vmcnt(6)
	v_mov_b32_e32 v68, v11
	s_waitcnt lgkmcnt(1)
	v_pk_mul_f32 v[66:67], v[4:5], v[66:67] op_sel_hi:[1,0]
	s_waitcnt vmcnt(5)
	v_mov_b32_e32 v70, v13
	v_pk_mul_f32 v[68:69], v[6:7], v[68:69] op_sel_hi:[1,0]
	s_waitcnt vmcnt(4)
	v_pk_fma_f32 v[72:73], v[4:5], v[8:9], v[66:67] op_sel:[0,0,1] op_sel_hi:[1,1,0] neg_lo:[0,0,1] neg_hi:[0,0,1]
	v_pk_fma_f32 v[4:5], v[4:5], v[8:9], v[66:67] op_sel:[0,0,1] op_sel_hi:[1,0,0]
	s_waitcnt lgkmcnt(0)
	v_pk_mul_f32 v[70:71], v[64:65], v[70:71] op_sel_hi:[1,0]
	s_waitcnt vmcnt(3)
	v_pk_fma_f32 v[8:9], v[6:7], v[10:11], v[68:69] op_sel:[0,0,1] op_sel_hi:[1,1,0] neg_lo:[0,0,1] neg_hi:[0,0,1]
	v_pk_fma_f32 v[6:7], v[6:7], v[10:11], v[68:69] op_sel:[0,0,1] op_sel_hi:[1,0,0]
	v_mov_b32_e32 v73, v5
	s_waitcnt vmcnt(2)
	v_pk_fma_f32 v[10:11], v[64:65], v[12:13], v[70:71] op_sel:[0,0,1] op_sel_hi:[1,1,0] neg_lo:[0,0,1] neg_hi:[0,0,1]
	v_pk_fma_f32 v[12:13], v[64:65], v[12:13], v[70:71] op_sel:[0,0,1] op_sel_hi:[1,0,0]
	v_mov_b32_e32 v9, v7
	v_pk_add_f32 v[4:5], v[72:73], 0 op_sel_hi:[1,0]
	v_mov_b32_e32 v11, v13
	v_pk_add_f32 v[4:5], v[4:5], v[8:9]
	v_pk_add_f32 v[4:5], v[4:5], v[10:11]
	s_waitcnt vmcnt(0)
	v_pk_add_f32 v[4:5], v[62:63], v[4:5] neg_lo:[0,1] neg_hi:[0,1]
	buffer_store_dword v4, off, s[0:3], 0 offset:160
	buffer_store_dword v5, off, s[0:3], 0 offset:164
	s_and_saveexec_b64 s[4:5], vcc
	s_cbranch_execz .LBB23_119
; %bb.118:
	buffer_load_dword v4, off, s[0:3], 0 offset:152
	buffer_load_dword v5, off, s[0:3], 0 offset:156
	s_waitcnt vmcnt(0)
	ds_write_b64 v1, v[4:5]
	buffer_store_dword v2, off, s[0:3], 0 offset:152
	buffer_store_dword v2, off, s[0:3], 0 offset:156
.LBB23_119:
	s_or_b64 exec, exec, s[4:5]
	s_waitcnt lgkmcnt(0)
	; wave barrier
	s_waitcnt lgkmcnt(0)
	buffer_load_dword v13, off, s[0:3], 0 offset:164
	buffer_load_dword v63, off, s[0:3], 0 offset:172
	;; [unrolled: 1-line block ×10, first 2 shown]
	ds_read_b128 v[4:7], v2 offset:352
	ds_read_b128 v[8:11], v2 offset:368
	v_cmp_lt_u32_e32 vcc, 18, v0
	s_waitcnt vmcnt(9)
	v_mov_b32_e32 v2, v13
	s_waitcnt vmcnt(8)
	v_mov_b32_e32 v70, v63
	s_waitcnt lgkmcnt(1)
	v_pk_mul_f32 v[2:3], v[4:5], v[2:3] op_sel_hi:[1,0]
	s_waitcnt vmcnt(7)
	v_mov_b32_e32 v72, v65
	v_pk_mul_f32 v[70:71], v[6:7], v[70:71] op_sel_hi:[1,0]
	s_waitcnt vmcnt(5)
	v_pk_fma_f32 v[76:77], v[4:5], v[12:13], v[2:3] op_sel:[0,0,1] op_sel_hi:[1,1,0] neg_lo:[0,0,1] neg_hi:[0,0,1]
	v_pk_fma_f32 v[2:3], v[4:5], v[12:13], v[2:3] op_sel:[0,0,1] op_sel_hi:[1,0,0]
	v_mov_b32_e32 v74, v67
	s_waitcnt lgkmcnt(0)
	v_pk_mul_f32 v[72:73], v[8:9], v[72:73] op_sel_hi:[1,0]
	s_waitcnt vmcnt(4)
	v_pk_fma_f32 v[4:5], v[6:7], v[62:63], v[70:71] op_sel:[0,0,1] op_sel_hi:[1,1,0] neg_lo:[0,0,1] neg_hi:[0,0,1]
	v_pk_fma_f32 v[6:7], v[6:7], v[62:63], v[70:71] op_sel:[0,0,1] op_sel_hi:[1,0,0]
	v_mov_b32_e32 v77, v3
	v_pk_mul_f32 v[74:75], v[10:11], v[74:75] op_sel_hi:[1,0]
	s_waitcnt vmcnt(3)
	v_pk_fma_f32 v[12:13], v[8:9], v[64:65], v[72:73] op_sel:[0,0,1] op_sel_hi:[1,1,0] neg_lo:[0,0,1] neg_hi:[0,0,1]
	v_pk_fma_f32 v[8:9], v[8:9], v[64:65], v[72:73] op_sel:[0,0,1] op_sel_hi:[1,0,0]
	v_mov_b32_e32 v5, v7
	v_pk_add_f32 v[2:3], v[76:77], 0 op_sel_hi:[1,0]
	s_waitcnt vmcnt(2)
	v_pk_fma_f32 v[62:63], v[10:11], v[66:67], v[74:75] op_sel:[0,0,1] op_sel_hi:[1,1,0] neg_lo:[0,0,1] neg_hi:[0,0,1]
	v_pk_fma_f32 v[10:11], v[10:11], v[66:67], v[74:75] op_sel:[0,0,1] op_sel_hi:[1,0,0]
	v_mov_b32_e32 v13, v9
	v_pk_add_f32 v[2:3], v[2:3], v[4:5]
	v_mov_b32_e32 v63, v11
	v_pk_add_f32 v[2:3], v[2:3], v[12:13]
	v_pk_add_f32 v[2:3], v[2:3], v[62:63]
	s_waitcnt vmcnt(0)
	v_pk_add_f32 v[2:3], v[68:69], v[2:3] neg_lo:[0,1] neg_hi:[0,1]
	buffer_store_dword v2, off, s[0:3], 0 offset:152
	buffer_store_dword v3, off, s[0:3], 0 offset:156
	s_and_saveexec_b64 s[4:5], vcc
	s_cbranch_execz .LBB23_121
; %bb.120:
	buffer_load_dword v2, off, s[0:3], 0 offset:144
	buffer_load_dword v3, off, s[0:3], 0 offset:148
	v_mov_b32_e32 v4, 0
	buffer_store_dword v4, off, s[0:3], 0 offset:144
	buffer_store_dword v4, off, s[0:3], 0 offset:148
	s_waitcnt vmcnt(2)
	ds_write_b64 v1, v[2:3]
.LBB23_121:
	s_or_b64 exec, exec, s[4:5]
	s_waitcnt lgkmcnt(0)
	; wave barrier
	s_waitcnt lgkmcnt(0)
	buffer_load_dword v13, off, s[0:3], 0 offset:156
	buffer_load_dword v63, off, s[0:3], 0 offset:164
	;; [unrolled: 1-line block ×12, first 2 shown]
	v_mov_b32_e32 v2, 0
	ds_read2_b64 v[4:7], v2 offset0:43 offset1:44
	ds_read2_b64 v[8:11], v2 offset0:45 offset1:46
	ds_read_b64 v[72:73], v2 offset:376
	v_cmp_lt_u32_e32 vcc, 17, v0
	s_waitcnt vmcnt(11)
	v_mov_b32_e32 v74, v13
	s_waitcnt vmcnt(10)
	v_mov_b32_e32 v76, v63
	s_waitcnt lgkmcnt(2)
	v_pk_mul_f32 v[74:75], v[4:5], v[74:75] op_sel_hi:[1,0]
	s_waitcnt vmcnt(9)
	v_mov_b32_e32 v78, v65
	v_pk_mul_f32 v[76:77], v[6:7], v[76:77] op_sel_hi:[1,0]
	s_waitcnt vmcnt(6)
	v_pk_fma_f32 v[84:85], v[4:5], v[12:13], v[74:75] op_sel:[0,0,1] op_sel_hi:[1,1,0] neg_lo:[0,0,1] neg_hi:[0,0,1]
	v_pk_fma_f32 v[4:5], v[4:5], v[12:13], v[74:75] op_sel:[0,0,1] op_sel_hi:[1,0,0]
	v_mov_b32_e32 v80, v67
	s_waitcnt lgkmcnt(1)
	v_pk_mul_f32 v[78:79], v[8:9], v[78:79] op_sel_hi:[1,0]
	s_waitcnt vmcnt(5)
	v_pk_fma_f32 v[12:13], v[6:7], v[62:63], v[76:77] op_sel:[0,0,1] op_sel_hi:[1,1,0] neg_lo:[0,0,1] neg_hi:[0,0,1]
	v_pk_fma_f32 v[6:7], v[6:7], v[62:63], v[76:77] op_sel:[0,0,1] op_sel_hi:[1,0,0]
	v_mov_b32_e32 v85, v5
	v_mov_b32_e32 v82, v69
	v_pk_mul_f32 v[80:81], v[10:11], v[80:81] op_sel_hi:[1,0]
	s_waitcnt vmcnt(4)
	v_pk_fma_f32 v[62:63], v[8:9], v[64:65], v[78:79] op_sel:[0,0,1] op_sel_hi:[1,1,0] neg_lo:[0,0,1] neg_hi:[0,0,1]
	v_pk_fma_f32 v[8:9], v[8:9], v[64:65], v[78:79] op_sel:[0,0,1] op_sel_hi:[1,0,0]
	v_mov_b32_e32 v13, v7
	v_pk_add_f32 v[4:5], v[84:85], 0 op_sel_hi:[1,0]
	s_waitcnt lgkmcnt(0)
	v_pk_mul_f32 v[82:83], v[72:73], v[82:83] op_sel_hi:[1,0]
	s_waitcnt vmcnt(3)
	v_pk_fma_f32 v[64:65], v[10:11], v[66:67], v[80:81] op_sel:[0,0,1] op_sel_hi:[1,1,0] neg_lo:[0,0,1] neg_hi:[0,0,1]
	v_pk_fma_f32 v[10:11], v[10:11], v[66:67], v[80:81] op_sel:[0,0,1] op_sel_hi:[1,0,0]
	v_mov_b32_e32 v63, v9
	v_pk_add_f32 v[4:5], v[4:5], v[12:13]
	s_waitcnt vmcnt(2)
	v_pk_fma_f32 v[66:67], v[72:73], v[68:69], v[82:83] op_sel:[0,0,1] op_sel_hi:[1,1,0] neg_lo:[0,0,1] neg_hi:[0,0,1]
	v_pk_fma_f32 v[68:69], v[72:73], v[68:69], v[82:83] op_sel:[0,0,1] op_sel_hi:[1,0,0]
	v_mov_b32_e32 v65, v11
	v_pk_add_f32 v[4:5], v[4:5], v[62:63]
	v_mov_b32_e32 v67, v69
	v_pk_add_f32 v[4:5], v[4:5], v[64:65]
	v_pk_add_f32 v[4:5], v[4:5], v[66:67]
	s_waitcnt vmcnt(0)
	v_pk_add_f32 v[4:5], v[70:71], v[4:5] neg_lo:[0,1] neg_hi:[0,1]
	buffer_store_dword v4, off, s[0:3], 0 offset:144
	buffer_store_dword v5, off, s[0:3], 0 offset:148
	s_and_saveexec_b64 s[4:5], vcc
	s_cbranch_execz .LBB23_123
; %bb.122:
	buffer_load_dword v4, off, s[0:3], 0 offset:136
	buffer_load_dword v5, off, s[0:3], 0 offset:140
	s_waitcnt vmcnt(0)
	ds_write_b64 v1, v[4:5]
	buffer_store_dword v2, off, s[0:3], 0 offset:136
	buffer_store_dword v2, off, s[0:3], 0 offset:140
.LBB23_123:
	s_or_b64 exec, exec, s[4:5]
	s_waitcnt lgkmcnt(0)
	; wave barrier
	s_waitcnt lgkmcnt(0)
	buffer_load_dword v13, off, s[0:3], 0 offset:148
	buffer_load_dword v67, off, s[0:3], 0 offset:156
	;; [unrolled: 1-line block ×14, first 2 shown]
	ds_read_b128 v[4:7], v2 offset:336
	ds_read_b128 v[8:11], v2 offset:352
	ds_read_b128 v[62:65], v2 offset:368
	v_cmp_lt_u32_e32 vcc, 16, v0
	s_waitcnt vmcnt(13)
	v_mov_b32_e32 v2, v13
	s_waitcnt vmcnt(12)
	v_mov_b32_e32 v78, v67
	s_waitcnt lgkmcnt(2)
	v_pk_mul_f32 v[2:3], v[4:5], v[2:3] op_sel_hi:[1,0]
	s_waitcnt vmcnt(11)
	v_mov_b32_e32 v80, v69
	v_pk_mul_f32 v[78:79], v[6:7], v[78:79] op_sel_hi:[1,0]
	s_waitcnt vmcnt(10)
	v_mov_b32_e32 v82, v71
	s_waitcnt vmcnt(7)
	v_pk_fma_f32 v[88:89], v[4:5], v[12:13], v[2:3] op_sel:[0,0,1] op_sel_hi:[1,1,0] neg_lo:[0,0,1] neg_hi:[0,0,1]
	v_pk_fma_f32 v[2:3], v[4:5], v[12:13], v[2:3] op_sel:[0,0,1] op_sel_hi:[1,0,0]
	s_waitcnt lgkmcnt(1)
	v_pk_mul_f32 v[80:81], v[8:9], v[80:81] op_sel_hi:[1,0]
	s_waitcnt vmcnt(6)
	v_pk_fma_f32 v[4:5], v[6:7], v[66:67], v[78:79] op_sel:[0,0,1] op_sel_hi:[1,1,0] neg_lo:[0,0,1] neg_hi:[0,0,1]
	v_pk_fma_f32 v[6:7], v[6:7], v[66:67], v[78:79] op_sel:[0,0,1] op_sel_hi:[1,0,0]
	v_mov_b32_e32 v89, v3
	v_mov_b32_e32 v84, v73
	v_pk_mul_f32 v[82:83], v[10:11], v[82:83] op_sel_hi:[1,0]
	s_waitcnt vmcnt(5)
	v_pk_fma_f32 v[12:13], v[8:9], v[68:69], v[80:81] op_sel:[0,0,1] op_sel_hi:[1,1,0] neg_lo:[0,0,1] neg_hi:[0,0,1]
	v_pk_fma_f32 v[8:9], v[8:9], v[68:69], v[80:81] op_sel:[0,0,1] op_sel_hi:[1,0,0]
	v_mov_b32_e32 v5, v7
	v_pk_add_f32 v[2:3], v[88:89], 0 op_sel_hi:[1,0]
	v_mov_b32_e32 v86, v75
	s_waitcnt lgkmcnt(0)
	v_pk_mul_f32 v[84:85], v[62:63], v[84:85] op_sel_hi:[1,0]
	s_waitcnt vmcnt(4)
	v_pk_fma_f32 v[66:67], v[10:11], v[70:71], v[82:83] op_sel:[0,0,1] op_sel_hi:[1,1,0] neg_lo:[0,0,1] neg_hi:[0,0,1]
	v_pk_fma_f32 v[10:11], v[10:11], v[70:71], v[82:83] op_sel:[0,0,1] op_sel_hi:[1,0,0]
	v_mov_b32_e32 v13, v9
	v_pk_add_f32 v[2:3], v[2:3], v[4:5]
	v_pk_mul_f32 v[86:87], v[64:65], v[86:87] op_sel_hi:[1,0]
	s_waitcnt vmcnt(3)
	v_pk_fma_f32 v[68:69], v[62:63], v[72:73], v[84:85] op_sel:[0,0,1] op_sel_hi:[1,1,0] neg_lo:[0,0,1] neg_hi:[0,0,1]
	v_pk_fma_f32 v[62:63], v[62:63], v[72:73], v[84:85] op_sel:[0,0,1] op_sel_hi:[1,0,0]
	v_mov_b32_e32 v67, v11
	v_pk_add_f32 v[2:3], v[2:3], v[12:13]
	s_waitcnt vmcnt(2)
	v_pk_fma_f32 v[70:71], v[64:65], v[74:75], v[86:87] op_sel:[0,0,1] op_sel_hi:[1,1,0] neg_lo:[0,0,1] neg_hi:[0,0,1]
	v_pk_fma_f32 v[64:65], v[64:65], v[74:75], v[86:87] op_sel:[0,0,1] op_sel_hi:[1,0,0]
	v_mov_b32_e32 v69, v63
	v_pk_add_f32 v[2:3], v[2:3], v[66:67]
	v_mov_b32_e32 v71, v65
	v_pk_add_f32 v[2:3], v[2:3], v[68:69]
	v_pk_add_f32 v[2:3], v[2:3], v[70:71]
	s_waitcnt vmcnt(0)
	v_pk_add_f32 v[2:3], v[76:77], v[2:3] neg_lo:[0,1] neg_hi:[0,1]
	buffer_store_dword v2, off, s[0:3], 0 offset:136
	buffer_store_dword v3, off, s[0:3], 0 offset:140
	s_and_saveexec_b64 s[4:5], vcc
	s_cbranch_execz .LBB23_125
; %bb.124:
	buffer_load_dword v2, off, s[0:3], 0 offset:128
	buffer_load_dword v3, off, s[0:3], 0 offset:132
	v_mov_b32_e32 v4, 0
	buffer_store_dword v4, off, s[0:3], 0 offset:128
	buffer_store_dword v4, off, s[0:3], 0 offset:132
	s_waitcnt vmcnt(2)
	ds_write_b64 v1, v[2:3]
.LBB23_125:
	s_or_b64 exec, exec, s[4:5]
	s_waitcnt lgkmcnt(0)
	; wave barrier
	s_waitcnt lgkmcnt(0)
	buffer_load_dword v13, off, s[0:3], 0 offset:140
	buffer_load_dword v67, off, s[0:3], 0 offset:148
	;; [unrolled: 1-line block ×16, first 2 shown]
	v_mov_b32_e32 v2, 0
	ds_read2_b64 v[4:7], v2 offset0:41 offset1:42
	ds_read2_b64 v[8:11], v2 offset0:43 offset1:44
	;; [unrolled: 1-line block ×3, first 2 shown]
	ds_read_b64 v[80:81], v2 offset:376
	v_cmp_lt_u32_e32 vcc, 15, v0
	s_waitcnt vmcnt(15)
	v_mov_b32_e32 v82, v13
	s_waitcnt vmcnt(14)
	v_mov_b32_e32 v84, v67
	s_waitcnt lgkmcnt(3)
	v_pk_mul_f32 v[82:83], v[4:5], v[82:83] op_sel_hi:[1,0]
	s_waitcnt vmcnt(13)
	v_mov_b32_e32 v86, v69
	v_pk_mul_f32 v[84:85], v[6:7], v[84:85] op_sel_hi:[1,0]
	s_waitcnt vmcnt(12)
	v_mov_b32_e32 v88, v71
	s_waitcnt lgkmcnt(2)
	v_pk_mul_f32 v[86:87], v[8:9], v[86:87] op_sel_hi:[1,0]
	s_waitcnt vmcnt(8)
	v_pk_fma_f32 v[96:97], v[4:5], v[12:13], v[82:83] op_sel:[0,0,1] op_sel_hi:[1,1,0] neg_lo:[0,0,1] neg_hi:[0,0,1]
	v_pk_fma_f32 v[4:5], v[4:5], v[12:13], v[82:83] op_sel:[0,0,1] op_sel_hi:[1,0,0]
	s_waitcnt vmcnt(7)
	v_pk_fma_f32 v[12:13], v[6:7], v[66:67], v[84:85] op_sel:[0,0,1] op_sel_hi:[1,1,0] neg_lo:[0,0,1] neg_hi:[0,0,1]
	v_pk_fma_f32 v[6:7], v[6:7], v[66:67], v[84:85] op_sel:[0,0,1] op_sel_hi:[1,0,0]
	v_mov_b32_e32 v97, v5
	v_mov_b32_e32 v90, v73
	v_pk_mul_f32 v[88:89], v[10:11], v[88:89] op_sel_hi:[1,0]
	s_waitcnt vmcnt(6)
	v_pk_fma_f32 v[66:67], v[8:9], v[68:69], v[86:87] op_sel:[0,0,1] op_sel_hi:[1,1,0] neg_lo:[0,0,1] neg_hi:[0,0,1]
	v_pk_fma_f32 v[8:9], v[8:9], v[68:69], v[86:87] op_sel:[0,0,1] op_sel_hi:[1,0,0]
	v_mov_b32_e32 v13, v7
	v_pk_add_f32 v[4:5], v[96:97], 0 op_sel_hi:[1,0]
	v_mov_b32_e32 v92, v75
	s_waitcnt lgkmcnt(1)
	v_pk_mul_f32 v[90:91], v[62:63], v[90:91] op_sel_hi:[1,0]
	s_waitcnt vmcnt(5)
	v_pk_fma_f32 v[68:69], v[10:11], v[70:71], v[88:89] op_sel:[0,0,1] op_sel_hi:[1,1,0] neg_lo:[0,0,1] neg_hi:[0,0,1]
	v_pk_fma_f32 v[10:11], v[10:11], v[70:71], v[88:89] op_sel:[0,0,1] op_sel_hi:[1,0,0]
	v_mov_b32_e32 v67, v9
	v_pk_add_f32 v[4:5], v[4:5], v[12:13]
	v_mov_b32_e32 v94, v77
	v_pk_mul_f32 v[92:93], v[64:65], v[92:93] op_sel_hi:[1,0]
	s_waitcnt vmcnt(4)
	v_pk_fma_f32 v[70:71], v[62:63], v[72:73], v[90:91] op_sel:[0,0,1] op_sel_hi:[1,1,0] neg_lo:[0,0,1] neg_hi:[0,0,1]
	v_pk_fma_f32 v[62:63], v[62:63], v[72:73], v[90:91] op_sel:[0,0,1] op_sel_hi:[1,0,0]
	v_mov_b32_e32 v69, v11
	v_pk_add_f32 v[4:5], v[4:5], v[66:67]
	s_waitcnt lgkmcnt(0)
	v_pk_mul_f32 v[94:95], v[80:81], v[94:95] op_sel_hi:[1,0]
	s_waitcnt vmcnt(3)
	v_pk_fma_f32 v[72:73], v[64:65], v[74:75], v[92:93] op_sel:[0,0,1] op_sel_hi:[1,1,0] neg_lo:[0,0,1] neg_hi:[0,0,1]
	v_pk_fma_f32 v[64:65], v[64:65], v[74:75], v[92:93] op_sel:[0,0,1] op_sel_hi:[1,0,0]
	v_mov_b32_e32 v71, v63
	v_pk_add_f32 v[4:5], v[4:5], v[68:69]
	s_waitcnt vmcnt(2)
	v_pk_fma_f32 v[74:75], v[80:81], v[76:77], v[94:95] op_sel:[0,0,1] op_sel_hi:[1,1,0] neg_lo:[0,0,1] neg_hi:[0,0,1]
	v_pk_fma_f32 v[76:77], v[80:81], v[76:77], v[94:95] op_sel:[0,0,1] op_sel_hi:[1,0,0]
	v_mov_b32_e32 v73, v65
	v_pk_add_f32 v[4:5], v[4:5], v[70:71]
	v_mov_b32_e32 v75, v77
	v_pk_add_f32 v[4:5], v[4:5], v[72:73]
	v_pk_add_f32 v[4:5], v[4:5], v[74:75]
	s_waitcnt vmcnt(0)
	v_pk_add_f32 v[4:5], v[78:79], v[4:5] neg_lo:[0,1] neg_hi:[0,1]
	buffer_store_dword v4, off, s[0:3], 0 offset:128
	buffer_store_dword v5, off, s[0:3], 0 offset:132
	s_and_saveexec_b64 s[4:5], vcc
	s_cbranch_execz .LBB23_127
; %bb.126:
	buffer_load_dword v4, off, s[0:3], 0 offset:120
	buffer_load_dword v5, off, s[0:3], 0 offset:124
	s_waitcnt vmcnt(0)
	ds_write_b64 v1, v[4:5]
	buffer_store_dword v2, off, s[0:3], 0 offset:120
	buffer_store_dword v2, off, s[0:3], 0 offset:124
.LBB23_127:
	s_or_b64 exec, exec, s[4:5]
	s_waitcnt lgkmcnt(0)
	; wave barrier
	s_waitcnt lgkmcnt(0)
	buffer_load_dword v13, off, s[0:3], 0 offset:132
	buffer_load_dword v71, off, s[0:3], 0 offset:140
	;; [unrolled: 1-line block ×18, first 2 shown]
	ds_read_b128 v[4:7], v2 offset:320
	ds_read_b128 v[8:11], v2 offset:336
	;; [unrolled: 1-line block ×4, first 2 shown]
	v_cmp_lt_u32_e32 vcc, 14, v0
	s_waitcnt vmcnt(17)
	v_mov_b32_e32 v2, v13
	s_waitcnt vmcnt(16)
	v_mov_b32_e32 v86, v71
	s_waitcnt lgkmcnt(3)
	v_pk_mul_f32 v[2:3], v[4:5], v[2:3] op_sel_hi:[1,0]
	s_waitcnt vmcnt(15)
	v_mov_b32_e32 v88, v73
	v_pk_mul_f32 v[86:87], v[6:7], v[86:87] op_sel_hi:[1,0]
	s_waitcnt vmcnt(14)
	v_mov_b32_e32 v90, v75
	s_waitcnt lgkmcnt(2)
	v_pk_mul_f32 v[88:89], v[8:9], v[88:89] op_sel_hi:[1,0]
	s_waitcnt vmcnt(13)
	v_mov_b32_e32 v92, v77
	s_waitcnt vmcnt(9)
	v_pk_fma_f32 v[100:101], v[4:5], v[12:13], v[2:3] op_sel:[0,0,1] op_sel_hi:[1,1,0] neg_lo:[0,0,1] neg_hi:[0,0,1]
	v_pk_fma_f32 v[2:3], v[4:5], v[12:13], v[2:3] op_sel:[0,0,1] op_sel_hi:[1,0,0]
	s_waitcnt vmcnt(8)
	v_pk_fma_f32 v[4:5], v[6:7], v[70:71], v[86:87] op_sel:[0,0,1] op_sel_hi:[1,1,0] neg_lo:[0,0,1] neg_hi:[0,0,1]
	v_pk_fma_f32 v[6:7], v[6:7], v[70:71], v[86:87] op_sel:[0,0,1] op_sel_hi:[1,0,0]
	v_mov_b32_e32 v101, v3
	v_pk_mul_f32 v[90:91], v[10:11], v[90:91] op_sel_hi:[1,0]
	s_waitcnt vmcnt(7)
	v_pk_fma_f32 v[12:13], v[8:9], v[72:73], v[88:89] op_sel:[0,0,1] op_sel_hi:[1,1,0] neg_lo:[0,0,1] neg_hi:[0,0,1]
	v_pk_fma_f32 v[8:9], v[8:9], v[72:73], v[88:89] op_sel:[0,0,1] op_sel_hi:[1,0,0]
	v_mov_b32_e32 v5, v7
	v_pk_add_f32 v[2:3], v[100:101], 0 op_sel_hi:[1,0]
	v_mov_b32_e32 v94, v79
	s_waitcnt lgkmcnt(1)
	v_pk_mul_f32 v[92:93], v[62:63], v[92:93] op_sel_hi:[1,0]
	s_waitcnt vmcnt(6)
	v_pk_fma_f32 v[70:71], v[10:11], v[74:75], v[90:91] op_sel:[0,0,1] op_sel_hi:[1,1,0] neg_lo:[0,0,1] neg_hi:[0,0,1]
	v_pk_fma_f32 v[10:11], v[10:11], v[74:75], v[90:91] op_sel:[0,0,1] op_sel_hi:[1,0,0]
	v_mov_b32_e32 v13, v9
	v_pk_add_f32 v[2:3], v[2:3], v[4:5]
	v_mov_b32_e32 v96, v81
	v_pk_mul_f32 v[94:95], v[64:65], v[94:95] op_sel_hi:[1,0]
	s_waitcnt vmcnt(5)
	v_pk_fma_f32 v[72:73], v[62:63], v[76:77], v[92:93] op_sel:[0,0,1] op_sel_hi:[1,1,0] neg_lo:[0,0,1] neg_hi:[0,0,1]
	v_pk_fma_f32 v[62:63], v[62:63], v[76:77], v[92:93] op_sel:[0,0,1] op_sel_hi:[1,0,0]
	v_mov_b32_e32 v71, v11
	v_pk_add_f32 v[2:3], v[2:3], v[12:13]
	v_mov_b32_e32 v98, v83
	s_waitcnt lgkmcnt(0)
	v_pk_mul_f32 v[96:97], v[66:67], v[96:97] op_sel_hi:[1,0]
	s_waitcnt vmcnt(4)
	v_pk_fma_f32 v[74:75], v[64:65], v[78:79], v[94:95] op_sel:[0,0,1] op_sel_hi:[1,1,0] neg_lo:[0,0,1] neg_hi:[0,0,1]
	v_pk_fma_f32 v[64:65], v[64:65], v[78:79], v[94:95] op_sel:[0,0,1] op_sel_hi:[1,0,0]
	v_mov_b32_e32 v73, v63
	v_pk_add_f32 v[2:3], v[2:3], v[70:71]
	v_pk_mul_f32 v[98:99], v[68:69], v[98:99] op_sel_hi:[1,0]
	s_waitcnt vmcnt(3)
	v_pk_fma_f32 v[76:77], v[66:67], v[80:81], v[96:97] op_sel:[0,0,1] op_sel_hi:[1,1,0] neg_lo:[0,0,1] neg_hi:[0,0,1]
	v_pk_fma_f32 v[66:67], v[66:67], v[80:81], v[96:97] op_sel:[0,0,1] op_sel_hi:[1,0,0]
	v_mov_b32_e32 v75, v65
	v_pk_add_f32 v[2:3], v[2:3], v[72:73]
	s_waitcnt vmcnt(2)
	v_pk_fma_f32 v[78:79], v[68:69], v[82:83], v[98:99] op_sel:[0,0,1] op_sel_hi:[1,1,0] neg_lo:[0,0,1] neg_hi:[0,0,1]
	v_pk_fma_f32 v[68:69], v[68:69], v[82:83], v[98:99] op_sel:[0,0,1] op_sel_hi:[1,0,0]
	v_mov_b32_e32 v77, v67
	v_pk_add_f32 v[2:3], v[2:3], v[74:75]
	v_mov_b32_e32 v79, v69
	v_pk_add_f32 v[2:3], v[2:3], v[76:77]
	v_pk_add_f32 v[2:3], v[2:3], v[78:79]
	s_waitcnt vmcnt(0)
	v_pk_add_f32 v[2:3], v[84:85], v[2:3] neg_lo:[0,1] neg_hi:[0,1]
	buffer_store_dword v2, off, s[0:3], 0 offset:120
	buffer_store_dword v3, off, s[0:3], 0 offset:124
	s_and_saveexec_b64 s[4:5], vcc
	s_cbranch_execz .LBB23_129
; %bb.128:
	buffer_load_dword v2, off, s[0:3], 0 offset:112
	buffer_load_dword v3, off, s[0:3], 0 offset:116
	v_mov_b32_e32 v4, 0
	buffer_store_dword v4, off, s[0:3], 0 offset:112
	buffer_store_dword v4, off, s[0:3], 0 offset:116
	s_waitcnt vmcnt(2)
	ds_write_b64 v1, v[2:3]
.LBB23_129:
	s_or_b64 exec, exec, s[4:5]
	s_waitcnt lgkmcnt(0)
	; wave barrier
	s_waitcnt lgkmcnt(0)
	buffer_load_dword v3, off, s[0:3], 0 offset:124
	buffer_load_dword v13, off, s[0:3], 0 offset:132
	;; [unrolled: 1-line block ×20, first 2 shown]
	v_mov_b32_e32 v2, 0
	ds_read2_b64 v[4:7], v2 offset0:39 offset1:40
	ds_read2_b64 v[8:11], v2 offset0:41 offset1:42
	;; [unrolled: 1-line block ×4, first 2 shown]
	ds_read_b64 v[86:87], v2 offset:376
	v_cmp_lt_u32_e32 vcc, 13, v0
	s_waitcnt vmcnt(19) lgkmcnt(4)
	v_mul_f32_e32 v89, v4, v3
	v_mul_f32_e32 v3, v5, v3
	s_waitcnt vmcnt(18)
	v_mov_b32_e32 v90, v13
	s_waitcnt vmcnt(17)
	v_mov_b32_e32 v92, v71
	s_waitcnt vmcnt(16)
	v_mov_b32_e32 v94, v73
	s_waitcnt vmcnt(15)
	v_mov_b32_e32 v96, v75
	s_waitcnt vmcnt(14)
	v_mov_b32_e32 v98, v77
	s_waitcnt vmcnt(13)
	v_mov_b32_e32 v100, v79
	s_waitcnt vmcnt(12)
	v_mov_b32_e32 v102, v81
	s_waitcnt vmcnt(11)
	v_mov_b32_e32 v104, v83
	s_waitcnt vmcnt(10)
	v_fmac_f32_e32 v89, v5, v88
	v_fma_f32 v88, v4, v88, -v3
	v_pk_mul_f32 v[4:5], v[6:7], v[90:91] op_sel_hi:[1,0]
	s_waitcnt lgkmcnt(3)
	v_pk_mul_f32 v[90:91], v[8:9], v[92:93] op_sel_hi:[1,0]
	v_pk_mul_f32 v[92:93], v[10:11], v[94:95] op_sel_hi:[1,0]
	s_waitcnt lgkmcnt(2)
	v_pk_mul_f32 v[94:95], v[62:63], v[96:97] op_sel_hi:[1,0]
	;; [unrolled: 3-line block ×4, first 2 shown]
	s_waitcnt vmcnt(9)
	v_pk_fma_f32 v[104:105], v[6:7], v[12:13], v[4:5] op_sel:[0,0,1] op_sel_hi:[1,1,0] neg_lo:[0,0,1] neg_hi:[0,0,1]
	v_pk_fma_f32 v[4:5], v[6:7], v[12:13], v[4:5] op_sel:[0,0,1] op_sel_hi:[1,0,0]
	v_pk_add_f32 v[88:89], v[88:89], 0 op_sel_hi:[1,0]
	s_waitcnt vmcnt(8)
	v_pk_fma_f32 v[6:7], v[8:9], v[70:71], v[90:91] op_sel:[0,0,1] op_sel_hi:[1,1,0] neg_lo:[0,0,1] neg_hi:[0,0,1]
	v_pk_fma_f32 v[8:9], v[8:9], v[70:71], v[90:91] op_sel:[0,0,1] op_sel_hi:[1,0,0]
	v_mov_b32_e32 v105, v5
	s_waitcnt vmcnt(7)
	v_pk_fma_f32 v[12:13], v[10:11], v[72:73], v[92:93] op_sel:[0,0,1] op_sel_hi:[1,1,0] neg_lo:[0,0,1] neg_hi:[0,0,1]
	v_pk_fma_f32 v[10:11], v[10:11], v[72:73], v[92:93] op_sel:[0,0,1] op_sel_hi:[1,0,0]
	v_mov_b32_e32 v7, v9
	v_pk_add_f32 v[4:5], v[88:89], v[104:105]
	s_waitcnt vmcnt(6)
	v_pk_fma_f32 v[70:71], v[62:63], v[74:75], v[94:95] op_sel:[0,0,1] op_sel_hi:[1,1,0] neg_lo:[0,0,1] neg_hi:[0,0,1]
	v_pk_fma_f32 v[62:63], v[62:63], v[74:75], v[94:95] op_sel:[0,0,1] op_sel_hi:[1,0,0]
	v_mov_b32_e32 v13, v11
	v_pk_add_f32 v[4:5], v[4:5], v[6:7]
	;; [unrolled: 5-line block ×5, first 2 shown]
	v_pk_fma_f32 v[78:79], v[86:87], v[82:83], v[102:103] op_sel:[0,0,1] op_sel_hi:[1,1,0] neg_lo:[0,0,1] neg_hi:[0,0,1]
	v_pk_fma_f32 v[80:81], v[86:87], v[82:83], v[102:103] op_sel:[0,0,1] op_sel_hi:[1,0,0]
	v_mov_b32_e32 v77, v69
	v_pk_add_f32 v[4:5], v[4:5], v[74:75]
	v_mov_b32_e32 v79, v81
	v_pk_add_f32 v[4:5], v[4:5], v[76:77]
	v_pk_add_f32 v[4:5], v[4:5], v[78:79]
	s_waitcnt vmcnt(0)
	v_pk_add_f32 v[4:5], v[84:85], v[4:5] neg_lo:[0,1] neg_hi:[0,1]
	buffer_store_dword v4, off, s[0:3], 0 offset:112
	buffer_store_dword v5, off, s[0:3], 0 offset:116
	s_and_saveexec_b64 s[4:5], vcc
	s_cbranch_execz .LBB23_131
; %bb.130:
	buffer_load_dword v4, off, s[0:3], 0 offset:104
	buffer_load_dword v5, off, s[0:3], 0 offset:108
	s_waitcnt vmcnt(0)
	ds_write_b64 v1, v[4:5]
	buffer_store_dword v2, off, s[0:3], 0 offset:104
	buffer_store_dword v2, off, s[0:3], 0 offset:108
.LBB23_131:
	s_or_b64 exec, exec, s[4:5]
	s_waitcnt lgkmcnt(0)
	; wave barrier
	s_waitcnt lgkmcnt(0)
	buffer_load_dword v90, off, s[0:3], 0 offset:116
	buffer_load_dword v92, off, s[0:3], 0 offset:124
	;; [unrolled: 1-line block ×22, first 2 shown]
	ds_read_b128 v[4:7], v2 offset:304
	ds_read_b128 v[8:11], v2 offset:320
	;; [unrolled: 1-line block ×5, first 2 shown]
	v_cmp_lt_u32_e32 vcc, 12, v0
	s_waitcnt vmcnt(21) lgkmcnt(4)
	v_mul_f32_e32 v3, v4, v90
	s_waitcnt vmcnt(20)
	v_mul_f32_e32 v91, v6, v92
	v_mul_f32_e32 v2, v5, v90
	;; [unrolled: 1-line block ×3, first 2 shown]
	s_waitcnt vmcnt(19)
	v_mov_b32_e32 v92, v13
	s_waitcnt vmcnt(18)
	v_mov_b32_e32 v94, v75
	;; [unrolled: 2-line block ×5, first 2 shown]
	v_mov_b32_e32 v98, v79
	s_waitcnt vmcnt(11)
	v_fmac_f32_e32 v3, v5, v93
	v_fma_f32 v2, v4, v93, -v2
	s_waitcnt lgkmcnt(3)
	v_pk_mul_f32 v[4:5], v[8:9], v[92:93] op_sel_hi:[1,0]
	s_waitcnt vmcnt(10)
	v_fmac_f32_e32 v91, v7, v95
	v_fma_f32 v90, v6, v95, -v90
	v_pk_mul_f32 v[6:7], v[10:11], v[94:95] op_sel_hi:[1,0]
	s_waitcnt lgkmcnt(2)
	v_pk_mul_f32 v[92:93], v[62:63], v[96:97] op_sel_hi:[1,0]
	s_waitcnt lgkmcnt(1)
	v_pk_mul_f32 v[96:97], v[66:67], v[100:101] op_sel_hi:[1,0]
	s_waitcnt lgkmcnt(0)
	v_pk_mul_f32 v[100:101], v[70:71], v[104:105] op_sel_hi:[1,0]
	v_pk_add_f32 v[2:3], v[2:3], 0 op_sel_hi:[1,0]
	s_waitcnt vmcnt(9)
	v_pk_fma_f32 v[104:105], v[8:9], v[12:13], v[4:5] op_sel:[0,0,1] op_sel_hi:[1,1,0] neg_lo:[0,0,1] neg_hi:[0,0,1]
	v_pk_fma_f32 v[4:5], v[8:9], v[12:13], v[4:5] op_sel:[0,0,1] op_sel_hi:[1,0,0]
	s_waitcnt vmcnt(8)
	v_pk_fma_f32 v[8:9], v[10:11], v[74:75], v[6:7] op_sel:[0,0,1] op_sel_hi:[1,1,0] neg_lo:[0,0,1] neg_hi:[0,0,1]
	v_pk_fma_f32 v[6:7], v[10:11], v[74:75], v[6:7] op_sel:[0,0,1] op_sel_hi:[1,0,0]
	v_pk_add_f32 v[2:3], v[2:3], v[90:91]
	v_mov_b32_e32 v105, v5
	v_pk_mul_f32 v[94:95], v[64:65], v[98:99] op_sel_hi:[1,0]
	s_waitcnt vmcnt(7)
	v_pk_fma_f32 v[10:11], v[62:63], v[76:77], v[92:93] op_sel:[0,0,1] op_sel_hi:[1,1,0] neg_lo:[0,0,1] neg_hi:[0,0,1]
	v_pk_fma_f32 v[12:13], v[62:63], v[76:77], v[92:93] op_sel:[0,0,1] op_sel_hi:[1,0,0]
	v_mov_b32_e32 v9, v7
	v_pk_add_f32 v[2:3], v[2:3], v[104:105]
	v_mov_b32_e32 v102, v83
	s_waitcnt vmcnt(6)
	v_pk_fma_f32 v[62:63], v[64:65], v[78:79], v[94:95] op_sel:[0,0,1] op_sel_hi:[1,1,0] neg_lo:[0,0,1] neg_hi:[0,0,1]
	v_pk_fma_f32 v[64:65], v[64:65], v[78:79], v[94:95] op_sel:[0,0,1] op_sel_hi:[1,0,0]
	v_mov_b32_e32 v11, v13
	v_pk_add_f32 v[2:3], v[2:3], v[8:9]
	v_pk_mul_f32 v[98:99], v[68:69], v[102:103] op_sel_hi:[1,0]
	s_waitcnt vmcnt(5)
	v_pk_fma_f32 v[74:75], v[66:67], v[80:81], v[96:97] op_sel:[0,0,1] op_sel_hi:[1,1,0] neg_lo:[0,0,1] neg_hi:[0,0,1]
	v_pk_fma_f32 v[66:67], v[66:67], v[80:81], v[96:97] op_sel:[0,0,1] op_sel_hi:[1,0,0]
	v_mov_b32_e32 v63, v65
	v_pk_add_f32 v[2:3], v[2:3], v[10:11]
	v_mov_b32_e32 v106, v87
	s_waitcnt vmcnt(2)
	v_pk_fma_f32 v[76:77], v[68:69], v[82:83], v[98:99] op_sel:[0,0,1] op_sel_hi:[1,1,0] neg_lo:[0,0,1] neg_hi:[0,0,1]
	v_pk_fma_f32 v[68:69], v[68:69], v[82:83], v[98:99] op_sel:[0,0,1] op_sel_hi:[1,0,0]
	v_mov_b32_e32 v75, v67
	v_pk_add_f32 v[2:3], v[2:3], v[62:63]
	v_pk_mul_f32 v[102:103], v[72:73], v[106:107] op_sel_hi:[1,0]
	v_pk_fma_f32 v[78:79], v[70:71], v[84:85], v[100:101] op_sel:[0,0,1] op_sel_hi:[1,1,0] neg_lo:[0,0,1] neg_hi:[0,0,1]
	v_pk_fma_f32 v[70:71], v[70:71], v[84:85], v[100:101] op_sel:[0,0,1] op_sel_hi:[1,0,0]
	v_mov_b32_e32 v77, v69
	v_pk_add_f32 v[2:3], v[2:3], v[74:75]
	v_pk_fma_f32 v[80:81], v[72:73], v[86:87], v[102:103] op_sel:[0,0,1] op_sel_hi:[1,1,0] neg_lo:[0,0,1] neg_hi:[0,0,1]
	v_pk_fma_f32 v[72:73], v[72:73], v[86:87], v[102:103] op_sel:[0,0,1] op_sel_hi:[1,0,0]
	v_mov_b32_e32 v79, v71
	v_pk_add_f32 v[2:3], v[2:3], v[76:77]
	v_mov_b32_e32 v81, v73
	v_pk_add_f32 v[2:3], v[2:3], v[78:79]
	v_pk_add_f32 v[2:3], v[2:3], v[80:81]
	s_waitcnt vmcnt(0)
	v_pk_add_f32 v[2:3], v[88:89], v[2:3] neg_lo:[0,1] neg_hi:[0,1]
	buffer_store_dword v2, off, s[0:3], 0 offset:104
	buffer_store_dword v3, off, s[0:3], 0 offset:108
	s_and_saveexec_b64 s[4:5], vcc
	s_cbranch_execz .LBB23_133
; %bb.132:
	buffer_load_dword v2, off, s[0:3], 0 offset:96
	buffer_load_dword v3, off, s[0:3], 0 offset:100
	v_mov_b32_e32 v4, 0
	buffer_store_dword v4, off, s[0:3], 0 offset:96
	buffer_store_dword v4, off, s[0:3], 0 offset:100
	s_waitcnt vmcnt(2)
	ds_write_b64 v1, v[2:3]
.LBB23_133:
	s_or_b64 exec, exec, s[4:5]
	s_waitcnt lgkmcnt(0)
	; wave barrier
	s_waitcnt lgkmcnt(0)
	buffer_load_dword v3, off, s[0:3], 0 offset:108
	buffer_load_dword v92, off, s[0:3], 0 offset:116
	;; [unrolled: 1-line block ×24, first 2 shown]
	v_mov_b32_e32 v2, 0
	ds_read2_b64 v[4:7], v2 offset0:37 offset1:38
	ds_read2_b64 v[8:11], v2 offset0:39 offset1:40
	ds_read2_b64 v[62:65], v2 offset0:41 offset1:42
	ds_read2_b64 v[66:69], v2 offset0:43 offset1:44
	ds_read2_b64 v[70:73], v2 offset0:45 offset1:46
	ds_read_b64 v[90:91], v2 offset:376
	v_cmp_lt_u32_e32 vcc, 11, v0
	s_waitcnt vmcnt(23) lgkmcnt(5)
	v_mul_f32_e32 v105, v4, v3
	v_mul_f32_e32 v3, v5, v3
	s_waitcnt vmcnt(22)
	v_mul_f32_e32 v93, v6, v92
	s_waitcnt vmcnt(21) lgkmcnt(4)
	v_mul_f32_e32 v95, v8, v94
	v_mul_f32_e32 v92, v7, v92
	;; [unrolled: 1-line block ×3, first 2 shown]
	s_waitcnt vmcnt(20)
	v_mov_b32_e32 v96, v13
	s_waitcnt vmcnt(19)
	v_mov_b32_e32 v98, v75
	;; [unrolled: 2-line block ×5, first 2 shown]
	s_waitcnt vmcnt(12)
	v_fmac_f32_e32 v105, v5, v97
	v_fma_f32 v3, v4, v97, -v3
	v_mov_b32_e32 v106, v83
	s_waitcnt vmcnt(11)
	v_fmac_f32_e32 v93, v7, v99
	s_waitcnt vmcnt(10)
	v_fmac_f32_e32 v95, v9, v101
	v_fma_f32 v92, v6, v99, -v92
	v_fma_f32 v94, v8, v101, -v94
	v_pk_mul_f32 v[4:5], v[10:11], v[96:97] op_sel_hi:[1,0]
	s_waitcnt lgkmcnt(3)
	v_pk_mul_f32 v[6:7], v[62:63], v[98:99] op_sel_hi:[1,0]
	v_pk_mul_f32 v[8:9], v[64:65], v[100:101] op_sel_hi:[1,0]
	s_waitcnt lgkmcnt(2)
	v_pk_mul_f32 v[96:97], v[66:67], v[102:103] op_sel_hi:[1,0]
	v_pk_mul_f32 v[98:99], v[68:69], v[104:105] op_sel_hi:[1,0]
	v_add_f32_e32 v105, 0, v105
	v_add_f32_e32 v104, 0, v3
	s_waitcnt lgkmcnt(1)
	v_pk_mul_f32 v[100:101], v[70:71], v[106:107] op_sel_hi:[1,0]
	s_waitcnt vmcnt(9)
	v_pk_fma_f32 v[106:107], v[10:11], v[12:13], v[4:5] op_sel:[0,0,1] op_sel_hi:[1,1,0] neg_lo:[0,0,1] neg_hi:[0,0,1]
	v_pk_fma_f32 v[4:5], v[10:11], v[12:13], v[4:5] op_sel:[0,0,1] op_sel_hi:[1,0,0]
	s_waitcnt vmcnt(8)
	v_pk_fma_f32 v[10:11], v[62:63], v[74:75], v[6:7] op_sel:[0,0,1] op_sel_hi:[1,1,0] neg_lo:[0,0,1] neg_hi:[0,0,1]
	v_pk_fma_f32 v[6:7], v[62:63], v[74:75], v[6:7] op_sel:[0,0,1] op_sel_hi:[1,0,0]
	;; [unrolled: 3-line block ×4, first 2 shown]
	v_pk_add_f32 v[78:79], v[104:105], v[92:93]
	v_mov_b32_e32 v107, v5
	v_pk_add_f32 v[4:5], v[78:79], v[94:95]
	v_mov_b32_e32 v11, v7
	;; [unrolled: 2-line block ×4, first 2 shown]
	s_waitcnt vmcnt(2)
	v_pk_fma_f32 v[66:67], v[68:69], v[80:81], v[98:99] op_sel:[0,0,1] op_sel_hi:[1,1,0] neg_lo:[0,0,1] neg_hi:[0,0,1]
	v_pk_fma_f32 v[68:69], v[68:69], v[80:81], v[98:99] op_sel:[0,0,1] op_sel_hi:[1,0,0]
	v_mov_b32_e32 v63, v65
	v_pk_add_f32 v[4:5], v[4:5], v[12:13]
	v_mov_b32_e32 v110, v87
	v_pk_mul_f32 v[102:103], v[72:73], v[108:109] op_sel_hi:[1,0]
	v_pk_fma_f32 v[74:75], v[70:71], v[82:83], v[100:101] op_sel:[0,0,1] op_sel_hi:[1,1,0] neg_lo:[0,0,1] neg_hi:[0,0,1]
	v_pk_fma_f32 v[70:71], v[70:71], v[82:83], v[100:101] op_sel:[0,0,1] op_sel_hi:[1,0,0]
	v_mov_b32_e32 v67, v69
	v_pk_add_f32 v[4:5], v[4:5], v[62:63]
	v_pk_fma_f32 v[76:77], v[72:73], v[84:85], v[102:103] op_sel:[0,0,1] op_sel_hi:[1,1,0] neg_lo:[0,0,1] neg_hi:[0,0,1]
	v_pk_fma_f32 v[72:73], v[72:73], v[84:85], v[102:103] op_sel:[0,0,1] op_sel_hi:[1,0,0]
	v_mov_b32_e32 v75, v71
	v_pk_add_f32 v[4:5], v[4:5], v[66:67]
	s_waitcnt lgkmcnt(0)
	v_pk_mul_f32 v[6:7], v[90:91], v[110:111] op_sel_hi:[1,0]
	v_mov_b32_e32 v77, v73
	v_pk_add_f32 v[4:5], v[4:5], v[74:75]
	v_pk_fma_f32 v[8:9], v[90:91], v[86:87], v[6:7] op_sel:[0,0,1] op_sel_hi:[1,1,0] neg_lo:[0,0,1] neg_hi:[0,0,1]
	v_pk_fma_f32 v[6:7], v[90:91], v[86:87], v[6:7] op_sel:[0,0,1] op_sel_hi:[1,0,0]
	v_pk_add_f32 v[4:5], v[4:5], v[76:77]
	v_mov_b32_e32 v9, v7
	v_pk_add_f32 v[4:5], v[4:5], v[8:9]
	s_waitcnt vmcnt(0)
	v_pk_add_f32 v[4:5], v[88:89], v[4:5] neg_lo:[0,1] neg_hi:[0,1]
	buffer_store_dword v5, off, s[0:3], 0 offset:100
	buffer_store_dword v4, off, s[0:3], 0 offset:96
	s_and_saveexec_b64 s[4:5], vcc
	s_cbranch_execz .LBB23_135
; %bb.134:
	buffer_load_dword v4, off, s[0:3], 0 offset:88
	buffer_load_dword v5, off, s[0:3], 0 offset:92
	s_waitcnt vmcnt(0)
	ds_write_b64 v1, v[4:5]
	buffer_store_dword v2, off, s[0:3], 0 offset:88
	buffer_store_dword v2, off, s[0:3], 0 offset:92
.LBB23_135:
	s_or_b64 exec, exec, s[4:5]
	s_waitcnt lgkmcnt(0)
	; wave barrier
	s_waitcnt lgkmcnt(0)
	buffer_load_dword v94, off, s[0:3], 0 offset:100
	buffer_load_dword v96, off, s[0:3], 0 offset:108
	;; [unrolled: 1-line block ×26, first 2 shown]
	ds_read_b128 v[4:7], v2 offset:288
	ds_read_b128 v[8:11], v2 offset:304
	;; [unrolled: 1-line block ×6, first 2 shown]
	v_cmp_lt_u32_e32 vcc, 10, v0
	s_waitcnt vmcnt(25) lgkmcnt(5)
	v_mul_f32_e32 v107, v4, v94
	v_mul_f32_e32 v2, v5, v94
	s_waitcnt vmcnt(24)
	v_mul_f32_e32 v108, v6, v96
	s_waitcnt vmcnt(23) lgkmcnt(4)
	v_mul_f32_e32 v3, v8, v97
	s_waitcnt vmcnt(22)
	v_mul_f32_e32 v95, v10, v98
	v_mul_f32_e32 v94, v7, v96
	;; [unrolled: 1-line block ×4, first 2 shown]
	s_waitcnt vmcnt(21)
	v_mov_b32_e32 v96, v13
	s_waitcnt vmcnt(20)
	v_mov_b32_e32 v98, v79
	;; [unrolled: 2-line block ×3, first 2 shown]
	s_waitcnt vmcnt(15)
	v_fmac_f32_e32 v107, v5, v99
	v_fma_f32 v110, v4, v99, -v2
	v_mov_b32_e32 v100, v81
	s_waitcnt vmcnt(14)
	v_fmac_f32_e32 v108, v7, v101
	s_waitcnt vmcnt(13)
	v_fmac_f32_e32 v3, v9, v103
	;; [unrolled: 2-line block ×3, first 2 shown]
	v_fma_f32 v111, v6, v101, -v94
	v_fma_f32 v2, v8, v103, -v97
	;; [unrolled: 1-line block ×3, first 2 shown]
	s_waitcnt lgkmcnt(3)
	v_pk_mul_f32 v[4:5], v[62:63], v[96:97] op_sel_hi:[1,0]
	v_pk_mul_f32 v[6:7], v[64:65], v[98:99] op_sel_hi:[1,0]
	s_waitcnt lgkmcnt(2)
	v_pk_mul_f32 v[10:11], v[68:69], v[102:103] op_sel_hi:[1,0]
	v_add_f32_e32 v102, 0, v107
	v_add_f32_e32 v103, 0, v110
	v_pk_mul_f32 v[8:9], v[66:67], v[100:101] op_sel_hi:[1,0]
	s_waitcnt vmcnt(11)
	v_pk_fma_f32 v[100:101], v[62:63], v[12:13], v[4:5] op_sel:[0,0,1] op_sel_hi:[1,1,0] neg_lo:[0,0,1] neg_hi:[0,0,1]
	v_pk_fma_f32 v[4:5], v[62:63], v[12:13], v[4:5] op_sel:[0,0,1] op_sel_hi:[1,0,0]
	s_waitcnt vmcnt(10)
	v_pk_fma_f32 v[12:13], v[64:65], v[78:79], v[6:7] op_sel:[0,0,1] op_sel_hi:[1,1,0] neg_lo:[0,0,1] neg_hi:[0,0,1]
	v_pk_fma_f32 v[6:7], v[64:65], v[78:79], v[6:7] op_sel:[0,0,1] op_sel_hi:[1,0,0]
	v_add_f32_e32 v79, v102, v108
	v_add_f32_e32 v78, v103, v111
	v_pk_add_f32 v[2:3], v[78:79], v[2:3]
	v_mov_b32_e32 v101, v5
	v_pk_add_f32 v[2:3], v[2:3], v[94:95]
	v_mov_b32_e32 v104, v85
	s_waitcnt vmcnt(9)
	v_pk_fma_f32 v[62:63], v[66:67], v[80:81], v[8:9] op_sel:[0,0,1] op_sel_hi:[1,1,0] neg_lo:[0,0,1] neg_hi:[0,0,1]
	v_pk_fma_f32 v[8:9], v[66:67], v[80:81], v[8:9] op_sel:[0,0,1] op_sel_hi:[1,0,0]
	v_mov_b32_e32 v13, v7
	v_pk_add_f32 v[2:3], v[2:3], v[100:101]
	v_mov_b32_e32 v106, v87
	s_waitcnt lgkmcnt(1)
	v_pk_mul_f32 v[96:97], v[70:71], v[104:105] op_sel_hi:[1,0]
	s_waitcnt vmcnt(5)
	v_pk_fma_f32 v[64:65], v[68:69], v[82:83], v[10:11] op_sel:[0,0,1] op_sel_hi:[1,1,0] neg_lo:[0,0,1] neg_hi:[0,0,1]
	v_pk_fma_f32 v[10:11], v[68:69], v[82:83], v[10:11] op_sel:[0,0,1] op_sel_hi:[1,0,0]
	v_mov_b32_e32 v63, v9
	v_pk_add_f32 v[2:3], v[2:3], v[12:13]
	s_waitcnt vmcnt(4)
	v_mov_b32_e32 v4, v89
	v_pk_mul_f32 v[98:99], v[72:73], v[106:107] op_sel_hi:[1,0]
	v_pk_fma_f32 v[66:67], v[70:71], v[84:85], v[96:97] op_sel:[0,0,1] op_sel_hi:[1,1,0] neg_lo:[0,0,1] neg_hi:[0,0,1]
	v_pk_fma_f32 v[68:69], v[70:71], v[84:85], v[96:97] op_sel:[0,0,1] op_sel_hi:[1,0,0]
	v_mov_b32_e32 v65, v11
	v_pk_add_f32 v[2:3], v[2:3], v[62:63]
	s_waitcnt lgkmcnt(0)
	v_pk_mul_f32 v[4:5], v[74:75], v[4:5] op_sel_hi:[1,0]
	v_pk_fma_f32 v[70:71], v[72:73], v[86:87], v[98:99] op_sel:[0,0,1] op_sel_hi:[1,1,0] neg_lo:[0,0,1] neg_hi:[0,0,1]
	v_pk_fma_f32 v[72:73], v[72:73], v[86:87], v[98:99] op_sel:[0,0,1] op_sel_hi:[1,0,0]
	v_mov_b32_e32 v67, v69
	v_pk_add_f32 v[2:3], v[2:3], v[64:65]
	v_pk_fma_f32 v[6:7], v[74:75], v[88:89], v[4:5] op_sel:[0,0,1] op_sel_hi:[1,1,0] neg_lo:[0,0,1] neg_hi:[0,0,1]
	v_pk_fma_f32 v[4:5], v[74:75], v[88:89], v[4:5] op_sel:[0,0,1] op_sel_hi:[1,0,0]
	v_mov_b32_e32 v71, v73
	v_pk_add_f32 v[2:3], v[2:3], v[66:67]
	s_waitcnt vmcnt(3)
	v_mov_b32_e32 v4, v91
	v_pk_add_f32 v[2:3], v[2:3], v[70:71]
	v_mov_b32_e32 v7, v5
	v_pk_mul_f32 v[4:5], v[76:77], v[4:5] op_sel_hi:[1,0]
	v_pk_add_f32 v[2:3], v[2:3], v[6:7]
	s_waitcnt vmcnt(2)
	v_pk_fma_f32 v[6:7], v[76:77], v[90:91], v[4:5] op_sel:[0,0,1] op_sel_hi:[1,1,0] neg_lo:[0,0,1] neg_hi:[0,0,1]
	v_pk_fma_f32 v[4:5], v[76:77], v[90:91], v[4:5] op_sel:[0,0,1] op_sel_hi:[1,0,0]
	v_mov_b32_e32 v7, v5
	v_pk_add_f32 v[2:3], v[2:3], v[6:7]
	s_waitcnt vmcnt(0)
	v_pk_add_f32 v[2:3], v[92:93], v[2:3] neg_lo:[0,1] neg_hi:[0,1]
	buffer_store_dword v3, off, s[0:3], 0 offset:92
	buffer_store_dword v2, off, s[0:3], 0 offset:88
	s_and_saveexec_b64 s[4:5], vcc
	s_cbranch_execz .LBB23_137
; %bb.136:
	buffer_load_dword v2, off, s[0:3], 0 offset:80
	buffer_load_dword v3, off, s[0:3], 0 offset:84
	v_mov_b32_e32 v4, 0
	buffer_store_dword v4, off, s[0:3], 0 offset:80
	buffer_store_dword v4, off, s[0:3], 0 offset:84
	s_waitcnt vmcnt(2)
	ds_write_b64 v1, v[2:3]
.LBB23_137:
	s_or_b64 exec, exec, s[4:5]
	s_waitcnt lgkmcnt(0)
	; wave barrier
	s_waitcnt lgkmcnt(0)
	buffer_load_dword v3, off, s[0:3], 0 offset:92
	buffer_load_dword v96, off, s[0:3], 0 offset:100
	;; [unrolled: 1-line block ×28, first 2 shown]
	v_mov_b32_e32 v2, 0
	ds_read2_b64 v[4:7], v2 offset0:35 offset1:36
	ds_read2_b64 v[8:11], v2 offset0:37 offset1:38
	ds_read2_b64 v[62:65], v2 offset0:39 offset1:40
	ds_read2_b64 v[66:69], v2 offset0:41 offset1:42
	ds_read2_b64 v[70:73], v2 offset0:43 offset1:44
	ds_read2_b64 v[74:77], v2 offset0:45 offset1:46
	ds_read_b64 v[94:95], v2 offset:376
	v_cmp_lt_u32_e32 vcc, 9, v0
	s_waitcnt vmcnt(27) lgkmcnt(6)
	v_mul_f32_e32 v111, v4, v3
	v_mul_f32_e32 v3, v5, v3
	s_waitcnt vmcnt(26)
	v_mul_f32_e32 v112, v6, v96
	s_waitcnt vmcnt(24) lgkmcnt(5)
	v_mul_f32_e32 v97, v10, v100
	s_waitcnt vmcnt(23) lgkmcnt(4)
	v_mul_f32_e32 v99, v62, v101
	v_mul_f32_e32 v114, v11, v100
	;; [unrolled: 1-line block ×3, first 2 shown]
	s_waitcnt vmcnt(22)
	v_mov_b32_e32 v100, v13
	v_mul_f32_e32 v113, v8, v98
	v_mul_f32_e32 v96, v7, v96
	;; [unrolled: 1-line block ×3, first 2 shown]
	s_waitcnt vmcnt(17)
	v_fmac_f32_e32 v111, v5, v103
	v_fma_f32 v3, v4, v103, -v3
	v_pk_mul_f32 v[4:5], v[64:65], v[100:101] op_sel_hi:[1,0]
	s_waitcnt vmcnt(16)
	v_fmac_f32_e32 v112, v7, v105
	s_waitcnt vmcnt(13)
	v_fmac_f32_e32 v99, v63, v110
	v_fma_f32 v103, v6, v105, -v96
	v_fma_f32 v105, v8, v107, -v98
	;; [unrolled: 1-line block ×3, first 2 shown]
	v_add_f32_e32 v100, 0, v111
	v_add_f32_e32 v3, 0, v3
	s_waitcnt vmcnt(12)
	v_pk_fma_f32 v[62:63], v[64:65], v[12:13], v[4:5] op_sel:[0,0,1] op_sel_hi:[1,1,0] neg_lo:[0,0,1] neg_hi:[0,0,1]
	v_pk_fma_f32 v[4:5], v[64:65], v[12:13], v[4:5] op_sel:[0,0,1] op_sel_hi:[1,0,0]
	v_fmac_f32_e32 v113, v9, v107
	v_add_f32_e32 v4, v100, v112
	v_add_f32_e32 v3, v3, v103
	v_mov_b32_e32 v102, v79
	v_fmac_f32_e32 v97, v11, v109
	v_fma_f32 v96, v10, v109, -v114
	v_mov_b32_e32 v63, v5
	v_add_f32_e32 v5, v4, v113
	v_add_f32_e32 v4, v3, v105
	v_mov_b32_e32 v104, v81
	s_waitcnt lgkmcnt(3)
	v_pk_mul_f32 v[6:7], v[66:67], v[102:103] op_sel_hi:[1,0]
	v_pk_add_f32 v[4:5], v[4:5], v[96:97]
	v_mov_b32_e32 v106, v83
	v_mov_b32_e32 v108, v85
	v_pk_mul_f32 v[8:9], v[68:69], v[104:105] op_sel_hi:[1,0]
	s_waitcnt vmcnt(11)
	v_pk_fma_f32 v[12:13], v[66:67], v[78:79], v[6:7] op_sel:[0,0,1] op_sel_hi:[1,1,0] neg_lo:[0,0,1] neg_hi:[0,0,1]
	v_pk_fma_f32 v[6:7], v[66:67], v[78:79], v[6:7] op_sel:[0,0,1] op_sel_hi:[1,0,0]
	v_pk_add_f32 v[4:5], v[4:5], v[98:99]
	s_waitcnt lgkmcnt(2)
	v_pk_mul_f32 v[10:11], v[70:71], v[106:107] op_sel_hi:[1,0]
	s_waitcnt vmcnt(7)
	v_pk_fma_f32 v[64:65], v[68:69], v[80:81], v[8:9] op_sel:[0,0,1] op_sel_hi:[1,1,0] neg_lo:[0,0,1] neg_hi:[0,0,1]
	v_pk_fma_f32 v[8:9], v[68:69], v[80:81], v[8:9] op_sel:[0,0,1] op_sel_hi:[1,0,0]
	v_mov_b32_e32 v13, v7
	v_pk_add_f32 v[4:5], v[4:5], v[62:63]
	v_pk_mul_f32 v[6:7], v[72:73], v[108:109] op_sel_hi:[1,0]
	v_pk_fma_f32 v[66:67], v[70:71], v[82:83], v[10:11] op_sel:[0,0,1] op_sel_hi:[1,1,0] neg_lo:[0,0,1] neg_hi:[0,0,1]
	v_pk_fma_f32 v[10:11], v[70:71], v[82:83], v[10:11] op_sel:[0,0,1] op_sel_hi:[1,0,0]
	v_mov_b32_e32 v65, v9
	v_pk_add_f32 v[4:5], v[4:5], v[12:13]
	v_pk_fma_f32 v[8:9], v[72:73], v[84:85], v[6:7] op_sel:[0,0,1] op_sel_hi:[1,1,0] neg_lo:[0,0,1] neg_hi:[0,0,1]
	v_pk_fma_f32 v[6:7], v[72:73], v[84:85], v[6:7] op_sel:[0,0,1] op_sel_hi:[1,0,0]
	v_mov_b32_e32 v67, v11
	v_pk_add_f32 v[4:5], v[4:5], v[64:65]
	s_waitcnt vmcnt(6)
	v_mov_b32_e32 v6, v87
	v_pk_add_f32 v[4:5], v[4:5], v[66:67]
	v_mov_b32_e32 v9, v7
	s_waitcnt lgkmcnt(1)
	v_pk_mul_f32 v[6:7], v[74:75], v[6:7] op_sel_hi:[1,0]
	v_pk_add_f32 v[4:5], v[4:5], v[8:9]
	v_pk_fma_f32 v[8:9], v[74:75], v[86:87], v[6:7] op_sel:[0,0,1] op_sel_hi:[1,1,0] neg_lo:[0,0,1] neg_hi:[0,0,1]
	v_pk_fma_f32 v[6:7], v[74:75], v[86:87], v[6:7] op_sel:[0,0,1] op_sel_hi:[1,0,0]
	s_waitcnt vmcnt(5)
	v_mov_b32_e32 v6, v89
	v_mov_b32_e32 v9, v7
	v_pk_mul_f32 v[6:7], v[76:77], v[6:7] op_sel_hi:[1,0]
	v_pk_add_f32 v[4:5], v[4:5], v[8:9]
	s_waitcnt vmcnt(3)
	v_pk_fma_f32 v[8:9], v[76:77], v[88:89], v[6:7] op_sel:[0,0,1] op_sel_hi:[1,1,0] neg_lo:[0,0,1] neg_hi:[0,0,1]
	v_pk_fma_f32 v[6:7], v[76:77], v[88:89], v[6:7] op_sel:[0,0,1] op_sel_hi:[1,0,0]
	s_waitcnt vmcnt(2)
	v_mov_b32_e32 v6, v91
	v_mov_b32_e32 v9, v7
	s_waitcnt lgkmcnt(0)
	v_pk_mul_f32 v[6:7], v[94:95], v[6:7] op_sel_hi:[1,0]
	v_pk_add_f32 v[4:5], v[4:5], v[8:9]
	v_pk_fma_f32 v[8:9], v[94:95], v[90:91], v[6:7] op_sel:[0,0,1] op_sel_hi:[1,1,0] neg_lo:[0,0,1] neg_hi:[0,0,1]
	v_pk_fma_f32 v[6:7], v[94:95], v[90:91], v[6:7] op_sel:[0,0,1] op_sel_hi:[1,0,0]
	v_mov_b32_e32 v9, v7
	v_pk_add_f32 v[4:5], v[4:5], v[8:9]
	s_waitcnt vmcnt(0)
	v_pk_add_f32 v[4:5], v[92:93], v[4:5] neg_lo:[0,1] neg_hi:[0,1]
	buffer_store_dword v5, off, s[0:3], 0 offset:84
	buffer_store_dword v4, off, s[0:3], 0 offset:80
	s_and_saveexec_b64 s[4:5], vcc
	s_cbranch_execz .LBB23_139
; %bb.138:
	buffer_load_dword v4, off, s[0:3], 0 offset:72
	buffer_load_dword v5, off, s[0:3], 0 offset:76
	s_waitcnt vmcnt(0)
	ds_write_b64 v1, v[4:5]
	buffer_store_dword v2, off, s[0:3], 0 offset:72
	buffer_store_dword v2, off, s[0:3], 0 offset:76
.LBB23_139:
	s_or_b64 exec, exec, s[4:5]
	s_waitcnt lgkmcnt(0)
	; wave barrier
	s_waitcnt lgkmcnt(0)
	buffer_load_dword v98, off, s[0:3], 0 offset:84
	buffer_load_dword v100, off, s[0:3], 0 offset:92
	buffer_load_dword v101, off, s[0:3], 0 offset:100
	buffer_load_dword v102, off, s[0:3], 0 offset:108
	buffer_load_dword v103, off, s[0:3], 0 offset:116
	buffer_load_dword v104, off, s[0:3], 0 offset:124
	buffer_load_dword v13, off, s[0:3], 0 offset:132
	buffer_load_dword v83, off, s[0:3], 0 offset:140
	buffer_load_dword v85, off, s[0:3], 0 offset:148
	buffer_load_dword v105, off, s[0:3], 0 offset:80
	buffer_load_dword v106, off, s[0:3], 0 offset:88
	buffer_load_dword v107, off, s[0:3], 0 offset:96
	buffer_load_dword v108, off, s[0:3], 0 offset:104
	buffer_load_dword v109, off, s[0:3], 0 offset:112
	buffer_load_dword v110, off, s[0:3], 0 offset:120
	buffer_load_dword v12, off, s[0:3], 0 offset:128
	buffer_load_dword v86, off, s[0:3], 0 offset:160
	buffer_load_dword v88, off, s[0:3], 0 offset:152
	buffer_load_dword v84, off, s[0:3], 0 offset:144
	buffer_load_dword v82, off, s[0:3], 0 offset:136
	buffer_load_dword v89, off, s[0:3], 0 offset:156
	buffer_load_dword v87, off, s[0:3], 0 offset:164
	buffer_load_dword v91, off, s[0:3], 0 offset:172
	buffer_load_dword v92, off, s[0:3], 0 offset:184
	buffer_load_dword v94, off, s[0:3], 0 offset:176
	buffer_load_dword v90, off, s[0:3], 0 offset:168
	buffer_load_dword v95, off, s[0:3], 0 offset:180
	buffer_load_dword v96, off, s[0:3], 0 offset:72
	buffer_load_dword v97, off, s[0:3], 0 offset:76
	buffer_load_dword v93, off, s[0:3], 0 offset:188
	ds_read_b128 v[4:7], v2 offset:272
	ds_read_b128 v[8:11], v2 offset:288
	;; [unrolled: 1-line block ×7, first 2 shown]
	v_cmp_lt_u32_e32 vcc, 8, v0
	s_waitcnt vmcnt(29) lgkmcnt(6)
	v_mul_f32_e32 v111, v4, v98
	s_waitcnt vmcnt(28)
	v_mul_f32_e32 v112, v6, v100
	s_waitcnt vmcnt(27) lgkmcnt(5)
	v_mul_f32_e32 v113, v8, v101
	v_mul_f32_e32 v101, v9, v101
	s_waitcnt vmcnt(26)
	v_mul_f32_e32 v114, v10, v102
	s_waitcnt vmcnt(25) lgkmcnt(4)
	v_mul_f32_e32 v3, v62, v103
	s_waitcnt vmcnt(24)
	v_mul_f32_e32 v99, v64, v104
	v_mul_f32_e32 v2, v5, v98
	;; [unrolled: 1-line block ×5, first 2 shown]
	s_waitcnt vmcnt(23)
	v_mov_b32_e32 v100, v13
	s_waitcnt vmcnt(22)
	v_mov_b32_e32 v102, v83
	s_waitcnt vmcnt(18)
	v_fma_f32 v101, v8, v107, -v101
	v_mul_f32_e32 v116, v65, v104
	v_fmac_f32_e32 v111, v5, v105
	v_fmac_f32_e32 v112, v7, v106
	s_waitcnt vmcnt(17)
	v_fmac_f32_e32 v114, v11, v108
	s_waitcnt vmcnt(15)
	v_fmac_f32_e32 v99, v65, v110
	v_fma_f32 v11, v4, v105, -v2
	v_fma_f32 v65, v6, v106, -v98
	s_waitcnt lgkmcnt(3)
	v_pk_mul_f32 v[4:5], v[66:67], v[100:101] op_sel_hi:[1,0]
	v_pk_mul_f32 v[6:7], v[68:69], v[102:103] op_sel_hi:[1,0]
	v_fma_f32 v105, v10, v108, -v115
	v_fma_f32 v98, v64, v110, -v116
	v_add_f32_e32 v64, 0, v111
	v_add_f32_e32 v100, 0, v11
	s_waitcnt vmcnt(14)
	v_pk_fma_f32 v[10:11], v[66:67], v[12:13], v[4:5] op_sel:[0,0,1] op_sel_hi:[1,1,0] neg_lo:[0,0,1] neg_hi:[0,0,1]
	v_pk_fma_f32 v[4:5], v[66:67], v[12:13], v[4:5] op_sel:[0,0,1] op_sel_hi:[1,0,0]
	s_waitcnt vmcnt(10)
	v_pk_fma_f32 v[12:13], v[68:69], v[82:83], v[6:7] op_sel:[0,0,1] op_sel_hi:[1,1,0] neg_lo:[0,0,1] neg_hi:[0,0,1]
	v_pk_fma_f32 v[6:7], v[68:69], v[82:83], v[6:7] op_sel:[0,0,1] op_sel_hi:[1,0,0]
	v_fmac_f32_e32 v113, v9, v107
	v_add_f32_e32 v4, v64, v112
	v_add_f32_e32 v6, v100, v65
	v_add_f32_e32 v4, v4, v113
	v_add_f32_e32 v6, v6, v101
	v_fmac_f32_e32 v3, v63, v109
	v_fma_f32 v2, v62, v109, -v103
	v_mov_b32_e32 v11, v5
	v_add_f32_e32 v5, v4, v114
	v_add_f32_e32 v4, v6, v105
	v_mov_b32_e32 v104, v85
	v_pk_add_f32 v[2:3], v[4:5], v[2:3]
	s_waitcnt vmcnt(9)
	v_mov_b32_e32 v4, v89
	s_waitcnt lgkmcnt(2)
	v_pk_mul_f32 v[8:9], v[70:71], v[104:105] op_sel_hi:[1,0]
	v_pk_add_f32 v[2:3], v[2:3], v[98:99]
	v_pk_mul_f32 v[4:5], v[72:73], v[4:5] op_sel_hi:[1,0]
	v_pk_fma_f32 v[62:63], v[70:71], v[84:85], v[8:9] op_sel:[0,0,1] op_sel_hi:[1,1,0] neg_lo:[0,0,1] neg_hi:[0,0,1]
	v_pk_fma_f32 v[8:9], v[70:71], v[84:85], v[8:9] op_sel:[0,0,1] op_sel_hi:[1,0,0]
	v_mov_b32_e32 v13, v7
	v_pk_add_f32 v[2:3], v[2:3], v[10:11]
	v_pk_fma_f32 v[6:7], v[72:73], v[88:89], v[4:5] op_sel:[0,0,1] op_sel_hi:[1,1,0] neg_lo:[0,0,1] neg_hi:[0,0,1]
	v_pk_fma_f32 v[4:5], v[72:73], v[88:89], v[4:5] op_sel:[0,0,1] op_sel_hi:[1,0,0]
	v_mov_b32_e32 v63, v9
	v_pk_add_f32 v[2:3], v[2:3], v[12:13]
	s_waitcnt vmcnt(8)
	v_mov_b32_e32 v4, v87
	v_pk_add_f32 v[2:3], v[2:3], v[62:63]
	v_mov_b32_e32 v7, v5
	s_waitcnt lgkmcnt(1)
	v_pk_mul_f32 v[4:5], v[74:75], v[4:5] op_sel_hi:[1,0]
	v_pk_add_f32 v[2:3], v[2:3], v[6:7]
	v_pk_fma_f32 v[6:7], v[74:75], v[86:87], v[4:5] op_sel:[0,0,1] op_sel_hi:[1,1,0] neg_lo:[0,0,1] neg_hi:[0,0,1]
	v_pk_fma_f32 v[4:5], v[74:75], v[86:87], v[4:5] op_sel:[0,0,1] op_sel_hi:[1,0,0]
	s_waitcnt vmcnt(7)
	v_mov_b32_e32 v4, v91
	v_mov_b32_e32 v7, v5
	v_pk_mul_f32 v[4:5], v[76:77], v[4:5] op_sel_hi:[1,0]
	v_pk_add_f32 v[2:3], v[2:3], v[6:7]
	s_waitcnt vmcnt(4)
	v_pk_fma_f32 v[6:7], v[76:77], v[90:91], v[4:5] op_sel:[0,0,1] op_sel_hi:[1,1,0] neg_lo:[0,0,1] neg_hi:[0,0,1]
	v_pk_fma_f32 v[4:5], v[76:77], v[90:91], v[4:5] op_sel:[0,0,1] op_sel_hi:[1,0,0]
	s_waitcnt vmcnt(3)
	v_mov_b32_e32 v4, v95
	v_mov_b32_e32 v7, v5
	s_waitcnt lgkmcnt(0)
	v_pk_mul_f32 v[4:5], v[78:79], v[4:5] op_sel_hi:[1,0]
	v_pk_add_f32 v[2:3], v[2:3], v[6:7]
	v_pk_fma_f32 v[6:7], v[78:79], v[94:95], v[4:5] op_sel:[0,0,1] op_sel_hi:[1,1,0] neg_lo:[0,0,1] neg_hi:[0,0,1]
	v_pk_fma_f32 v[4:5], v[78:79], v[94:95], v[4:5] op_sel:[0,0,1] op_sel_hi:[1,0,0]
	s_waitcnt vmcnt(0)
	v_mov_b32_e32 v4, v93
	v_mov_b32_e32 v7, v5
	v_pk_mul_f32 v[4:5], v[80:81], v[4:5] op_sel_hi:[1,0]
	v_pk_add_f32 v[2:3], v[2:3], v[6:7]
	v_pk_fma_f32 v[6:7], v[80:81], v[92:93], v[4:5] op_sel:[0,0,1] op_sel_hi:[1,1,0] neg_lo:[0,0,1] neg_hi:[0,0,1]
	v_pk_fma_f32 v[4:5], v[80:81], v[92:93], v[4:5] op_sel:[0,0,1] op_sel_hi:[1,0,0]
	v_mov_b32_e32 v7, v5
	v_pk_add_f32 v[2:3], v[2:3], v[6:7]
	v_pk_add_f32 v[2:3], v[96:97], v[2:3] neg_lo:[0,1] neg_hi:[0,1]
	buffer_store_dword v3, off, s[0:3], 0 offset:76
	buffer_store_dword v2, off, s[0:3], 0 offset:72
	s_and_saveexec_b64 s[4:5], vcc
	s_cbranch_execz .LBB23_141
; %bb.140:
	buffer_load_dword v2, off, s[0:3], 0 offset:64
	buffer_load_dword v3, off, s[0:3], 0 offset:68
	v_mov_b32_e32 v4, 0
	buffer_store_dword v4, off, s[0:3], 0 offset:64
	buffer_store_dword v4, off, s[0:3], 0 offset:68
	s_waitcnt vmcnt(2)
	ds_write_b64 v1, v[2:3]
.LBB23_141:
	s_or_b64 exec, exec, s[4:5]
	s_waitcnt lgkmcnt(0)
	; wave barrier
	s_waitcnt lgkmcnt(0)
	buffer_load_dword v3, off, s[0:3], 0 offset:76
	buffer_load_dword v100, off, s[0:3], 0 offset:84
	;; [unrolled: 1-line block ×32, first 2 shown]
	v_mov_b32_e32 v2, 0
	ds_read2_b64 v[4:7], v2 offset0:33 offset1:34
	ds_read2_b64 v[8:11], v2 offset0:35 offset1:36
	;; [unrolled: 1-line block ×7, first 2 shown]
	ds_read_b64 v[98:99], v2 offset:376
	v_cmp_lt_u32_e32 vcc, 7, v0
	s_waitcnt vmcnt(31) lgkmcnt(7)
	v_mul_f32_e32 v115, v4, v3
	v_mul_f32_e32 v3, v5, v3
	s_waitcnt vmcnt(30)
	v_mul_f32_e32 v116, v6, v100
	s_waitcnt vmcnt(28) lgkmcnt(6)
	v_mul_f32_e32 v118, v10, v104
	s_waitcnt vmcnt(27) lgkmcnt(5)
	v_mul_f32_e32 v119, v62, v105
	v_mul_f32_e32 v120, v11, v104
	;; [unrolled: 1-line block ×3, first 2 shown]
	s_waitcnt vmcnt(24)
	v_mov_b32_e32 v104, v13
	v_mul_f32_e32 v117, v8, v102
	v_mul_f32_e32 v100, v7, v100
	s_waitcnt vmcnt(22)
	v_fmac_f32_e32 v115, v5, v108
	v_fma_f32 v3, v4, v108, -v3
	s_waitcnt lgkmcnt(4)
	v_pk_mul_f32 v[4:5], v[68:69], v[104:105] op_sel_hi:[1,0]
	v_mul_f32_e32 v102, v9, v102
	s_waitcnt vmcnt(21)
	v_fmac_f32_e32 v116, v7, v109
	s_waitcnt vmcnt(20)
	v_fmac_f32_e32 v117, v9, v110
	;; [unrolled: 2-line block ×3, first 2 shown]
	v_fma_f32 v9, v6, v109, -v100
	s_waitcnt vmcnt(18)
	v_fma_f32 v11, v62, v112, -v105
	v_add_f32_e32 v62, 0, v115
	v_add_f32_e32 v3, 0, v3
	s_waitcnt vmcnt(12)
	v_pk_fma_f32 v[6:7], v[68:69], v[12:13], v[4:5] op_sel:[0,0,1] op_sel_hi:[1,1,0] neg_lo:[0,0,1] neg_hi:[0,0,1]
	v_pk_fma_f32 v[4:5], v[68:69], v[12:13], v[4:5] op_sel:[0,0,1] op_sel_hi:[1,0,0]
	v_fma_f32 v8, v8, v110, -v102
	v_add_f32_e32 v4, v62, v116
	v_add_f32_e32 v3, v3, v9
	v_fma_f32 v10, v10, v111, -v120
	v_add_f32_e32 v4, v4, v117
	v_add_f32_e32 v3, v3, v8
	v_mul_f32_e32 v101, v64, v106
	v_mul_f32_e32 v121, v65, v106
	v_fmac_f32_e32 v119, v63, v112
	v_add_f32_e32 v4, v4, v118
	v_add_f32_e32 v3, v3, v10
	v_mul_f32_e32 v103, v66, v107
	v_mul_f32_e32 v107, v67, v107
	v_fmac_f32_e32 v101, v65, v113
	v_fma_f32 v100, v64, v113, -v121
	v_mov_b32_e32 v7, v5
	v_add_f32_e32 v5, v4, v119
	v_add_f32_e32 v4, v3, v11
	v_fmac_f32_e32 v103, v67, v114
	v_fma_f32 v102, v66, v114, -v107
	v_pk_add_f32 v[4:5], v[4:5], v[100:101]
	v_mov_b32_e32 v106, v83
	v_pk_add_f32 v[4:5], v[4:5], v[102:103]
	v_pk_add_f32 v[4:5], v[4:5], v[6:7]
	s_waitcnt lgkmcnt(3)
	v_pk_mul_f32 v[6:7], v[70:71], v[106:107] op_sel_hi:[1,0]
	v_pk_fma_f32 v[8:9], v[70:71], v[82:83], v[6:7] op_sel:[0,0,1] op_sel_hi:[1,1,0] neg_lo:[0,0,1] neg_hi:[0,0,1]
	v_pk_fma_f32 v[6:7], v[70:71], v[82:83], v[6:7] op_sel:[0,0,1] op_sel_hi:[1,0,0]
	s_waitcnt vmcnt(11)
	v_mov_b32_e32 v6, v87
	v_mov_b32_e32 v9, v7
	v_pk_mul_f32 v[6:7], v[72:73], v[6:7] op_sel_hi:[1,0]
	v_pk_add_f32 v[4:5], v[4:5], v[8:9]
	v_pk_fma_f32 v[8:9], v[72:73], v[86:87], v[6:7] op_sel:[0,0,1] op_sel_hi:[1,1,0] neg_lo:[0,0,1] neg_hi:[0,0,1]
	v_pk_fma_f32 v[6:7], v[72:73], v[86:87], v[6:7] op_sel:[0,0,1] op_sel_hi:[1,0,0]
	s_waitcnt vmcnt(10)
	v_mov_b32_e32 v6, v85
	v_mov_b32_e32 v9, v7
	s_waitcnt lgkmcnt(2)
	v_pk_mul_f32 v[6:7], v[74:75], v[6:7] op_sel_hi:[1,0]
	v_pk_add_f32 v[4:5], v[4:5], v[8:9]
	v_pk_fma_f32 v[8:9], v[74:75], v[84:85], v[6:7] op_sel:[0,0,1] op_sel_hi:[1,1,0] neg_lo:[0,0,1] neg_hi:[0,0,1]
	v_pk_fma_f32 v[6:7], v[74:75], v[84:85], v[6:7] op_sel:[0,0,1] op_sel_hi:[1,0,0]
	s_waitcnt vmcnt(9)
	v_mov_b32_e32 v6, v89
	v_mov_b32_e32 v9, v7
	v_pk_mul_f32 v[6:7], v[76:77], v[6:7] op_sel_hi:[1,0]
	v_pk_add_f32 v[4:5], v[4:5], v[8:9]
	s_waitcnt vmcnt(4)
	v_pk_fma_f32 v[8:9], v[76:77], v[88:89], v[6:7] op_sel:[0,0,1] op_sel_hi:[1,1,0] neg_lo:[0,0,1] neg_hi:[0,0,1]
	v_pk_fma_f32 v[6:7], v[76:77], v[88:89], v[6:7] op_sel:[0,0,1] op_sel_hi:[1,0,0]
	v_mov_b32_e32 v6, v95
	v_mov_b32_e32 v9, v7
	s_waitcnt lgkmcnt(1)
	v_pk_mul_f32 v[6:7], v[78:79], v[6:7] op_sel_hi:[1,0]
	v_pk_add_f32 v[4:5], v[4:5], v[8:9]
	v_pk_fma_f32 v[8:9], v[78:79], v[94:95], v[6:7] op_sel:[0,0,1] op_sel_hi:[1,1,0] neg_lo:[0,0,1] neg_hi:[0,0,1]
	v_pk_fma_f32 v[6:7], v[78:79], v[94:95], v[6:7] op_sel:[0,0,1] op_sel_hi:[1,0,0]
	s_waitcnt vmcnt(3)
	v_mov_b32_e32 v6, v93
	v_mov_b32_e32 v9, v7
	v_pk_mul_f32 v[6:7], v[80:81], v[6:7] op_sel_hi:[1,0]
	v_pk_add_f32 v[4:5], v[4:5], v[8:9]
	v_pk_fma_f32 v[8:9], v[80:81], v[92:93], v[6:7] op_sel:[0,0,1] op_sel_hi:[1,1,0] neg_lo:[0,0,1] neg_hi:[0,0,1]
	v_pk_fma_f32 v[6:7], v[80:81], v[92:93], v[6:7] op_sel:[0,0,1] op_sel_hi:[1,0,0]
	s_waitcnt vmcnt(0)
	v_mov_b32_e32 v6, v91
	v_mov_b32_e32 v9, v7
	s_waitcnt lgkmcnt(0)
	v_pk_mul_f32 v[6:7], v[98:99], v[6:7] op_sel_hi:[1,0]
	v_pk_add_f32 v[4:5], v[4:5], v[8:9]
	v_pk_fma_f32 v[8:9], v[98:99], v[90:91], v[6:7] op_sel:[0,0,1] op_sel_hi:[1,1,0] neg_lo:[0,0,1] neg_hi:[0,0,1]
	v_pk_fma_f32 v[6:7], v[98:99], v[90:91], v[6:7] op_sel:[0,0,1] op_sel_hi:[1,0,0]
	v_mov_b32_e32 v9, v7
	v_pk_add_f32 v[4:5], v[4:5], v[8:9]
	v_pk_add_f32 v[4:5], v[96:97], v[4:5] neg_lo:[0,1] neg_hi:[0,1]
	buffer_store_dword v5, off, s[0:3], 0 offset:68
	buffer_store_dword v4, off, s[0:3], 0 offset:64
	s_and_saveexec_b64 s[4:5], vcc
	s_cbranch_execz .LBB23_143
; %bb.142:
	buffer_load_dword v4, off, s[0:3], 0 offset:56
	buffer_load_dword v5, off, s[0:3], 0 offset:60
	s_waitcnt vmcnt(0)
	ds_write_b64 v1, v[4:5]
	buffer_store_dword v2, off, s[0:3], 0 offset:56
	buffer_store_dword v2, off, s[0:3], 0 offset:60
.LBB23_143:
	s_or_b64 exec, exec, s[4:5]
	s_waitcnt lgkmcnt(0)
	; wave barrier
	s_waitcnt lgkmcnt(0)
	buffer_load_dword v102, off, s[0:3], 0 offset:68
	buffer_load_dword v104, off, s[0:3], 0 offset:76
	;; [unrolled: 1-line block ×32, first 2 shown]
	ds_read_b128 v[4:7], v2 offset:256
	ds_read_b128 v[8:11], v2 offset:272
	;; [unrolled: 1-line block ×4, first 2 shown]
	buffer_load_dword v101, off, s[0:3], 0 offset:188
	buffer_load_dword v100, off, s[0:3], 0 offset:184
	ds_read_b128 v[70:73], v2 offset:320
	ds_read_b128 v[74:77], v2 offset:336
	;; [unrolled: 1-line block ×4, first 2 shown]
	v_cmp_lt_u32_e32 vcc, 6, v0
	s_waitcnt vmcnt(33) lgkmcnt(7)
	v_mul_f32_e32 v119, v4, v102
	v_mul_f32_e32 v2, v5, v102
	s_waitcnt vmcnt(32)
	v_mul_f32_e32 v120, v6, v104
	s_waitcnt vmcnt(31) lgkmcnt(6)
	v_mul_f32_e32 v121, v8, v105
	v_mul_f32_e32 v102, v7, v104
	;; [unrolled: 1-line block ×3, first 2 shown]
	s_waitcnt vmcnt(30)
	v_mul_f32_e32 v105, v11, v106
	v_mul_f32_e32 v122, v10, v106
	s_waitcnt vmcnt(25)
	v_fmac_f32_e32 v119, v5, v111
	v_fma_f32 v4, v4, v111, -v2
	s_waitcnt vmcnt(24)
	v_fmac_f32_e32 v120, v7, v112
	v_fma_f32 v5, v6, v112, -v102
	s_waitcnt vmcnt(22)
	v_fma_f32 v7, v10, v114, -v105
	v_add_f32_e32 v10, 0, v119
	v_add_f32_e32 v4, 0, v4
	v_fmac_f32_e32 v121, v9, v113
	v_fma_f32 v6, v8, v113, -v104
	v_add_f32_e32 v10, v10, v120
	v_add_f32_e32 v4, v4, v5
	s_waitcnt lgkmcnt(5)
	v_mul_f32_e32 v123, v62, v107
	v_mul_f32_e32 v106, v63, v107
	v_fmac_f32_e32 v122, v11, v114
	v_add_f32_e32 v5, v10, v121
	v_add_f32_e32 v4, v4, v6
	v_mul_f32_e32 v124, v64, v108
	v_mul_f32_e32 v107, v65, v108
	s_waitcnt vmcnt(21)
	v_fmac_f32_e32 v123, v63, v115
	v_fma_f32 v8, v62, v115, -v106
	v_add_f32_e32 v5, v5, v122
	v_add_f32_e32 v4, v4, v7
	s_waitcnt lgkmcnt(4)
	v_mul_f32_e32 v3, v66, v109
	v_mul_f32_e32 v108, v67, v109
	s_waitcnt vmcnt(20)
	v_fmac_f32_e32 v124, v65, v116
	v_fma_f32 v9, v64, v116, -v107
	v_add_f32_e32 v5, v5, v123
	v_add_f32_e32 v4, v4, v8
	s_waitcnt vmcnt(19)
	v_fmac_f32_e32 v3, v67, v117
	v_fma_f32 v2, v66, v117, -v108
	v_add_f32_e32 v5, v5, v124
	v_add_f32_e32 v4, v4, v9
	v_pk_add_f32 v[2:3], v[4:5], v[2:3]
	s_waitcnt vmcnt(17)
	v_mov_b32_e32 v4, v13
	s_waitcnt lgkmcnt(3)
	v_pk_mul_f32 v[4:5], v[70:71], v[4:5] op_sel_hi:[1,0]
	v_mul_f32_e32 v103, v68, v110
	v_mul_f32_e32 v109, v69, v110
	s_waitcnt vmcnt(14)
	v_pk_fma_f32 v[6:7], v[70:71], v[12:13], v[4:5] op_sel:[0,0,1] op_sel_hi:[1,1,0] neg_lo:[0,0,1] neg_hi:[0,0,1]
	v_pk_fma_f32 v[4:5], v[70:71], v[12:13], v[4:5] op_sel:[0,0,1] op_sel_hi:[1,0,0]
	v_fmac_f32_e32 v103, v69, v118
	v_fma_f32 v102, v68, v118, -v109
	s_waitcnt vmcnt(13)
	v_mov_b32_e32 v4, v89
	v_pk_add_f32 v[2:3], v[2:3], v[102:103]
	v_mov_b32_e32 v7, v5
	v_pk_mul_f32 v[4:5], v[72:73], v[4:5] op_sel_hi:[1,0]
	v_pk_add_f32 v[2:3], v[2:3], v[6:7]
	v_pk_fma_f32 v[6:7], v[72:73], v[88:89], v[4:5] op_sel:[0,0,1] op_sel_hi:[1,1,0] neg_lo:[0,0,1] neg_hi:[0,0,1]
	v_pk_fma_f32 v[4:5], v[72:73], v[88:89], v[4:5] op_sel:[0,0,1] op_sel_hi:[1,0,0]
	s_waitcnt vmcnt(12)
	v_mov_b32_e32 v4, v87
	v_mov_b32_e32 v7, v5
	s_waitcnt lgkmcnt(2)
	v_pk_mul_f32 v[4:5], v[74:75], v[4:5] op_sel_hi:[1,0]
	v_pk_add_f32 v[2:3], v[2:3], v[6:7]
	v_pk_fma_f32 v[6:7], v[74:75], v[86:87], v[4:5] op_sel:[0,0,1] op_sel_hi:[1,1,0] neg_lo:[0,0,1] neg_hi:[0,0,1]
	v_pk_fma_f32 v[4:5], v[74:75], v[86:87], v[4:5] op_sel:[0,0,1] op_sel_hi:[1,0,0]
	s_waitcnt vmcnt(11)
	v_mov_b32_e32 v4, v91
	v_mov_b32_e32 v7, v5
	v_pk_mul_f32 v[4:5], v[76:77], v[4:5] op_sel_hi:[1,0]
	v_pk_add_f32 v[2:3], v[2:3], v[6:7]
	s_waitcnt vmcnt(5)
	v_pk_fma_f32 v[6:7], v[76:77], v[90:91], v[4:5] op_sel:[0,0,1] op_sel_hi:[1,1,0] neg_lo:[0,0,1] neg_hi:[0,0,1]
	v_pk_fma_f32 v[4:5], v[76:77], v[90:91], v[4:5] op_sel:[0,0,1] op_sel_hi:[1,0,0]
	v_mov_b32_e32 v4, v97
	v_mov_b32_e32 v7, v5
	s_waitcnt lgkmcnt(1)
	v_pk_mul_f32 v[4:5], v[78:79], v[4:5] op_sel_hi:[1,0]
	v_pk_add_f32 v[2:3], v[2:3], v[6:7]
	v_pk_fma_f32 v[6:7], v[78:79], v[96:97], v[4:5] op_sel:[0,0,1] op_sel_hi:[1,1,0] neg_lo:[0,0,1] neg_hi:[0,0,1]
	v_pk_fma_f32 v[4:5], v[78:79], v[96:97], v[4:5] op_sel:[0,0,1] op_sel_hi:[1,0,0]
	v_mov_b32_e32 v4, v95
	v_mov_b32_e32 v7, v5
	v_pk_mul_f32 v[4:5], v[80:81], v[4:5] op_sel_hi:[1,0]
	v_pk_add_f32 v[2:3], v[2:3], v[6:7]
	v_pk_fma_f32 v[6:7], v[80:81], v[94:95], v[4:5] op_sel:[0,0,1] op_sel_hi:[1,1,0] neg_lo:[0,0,1] neg_hi:[0,0,1]
	v_pk_fma_f32 v[4:5], v[80:81], v[94:95], v[4:5] op_sel:[0,0,1] op_sel_hi:[1,0,0]
	s_waitcnt vmcnt(2)
	v_mov_b32_e32 v4, v93
	v_mov_b32_e32 v7, v5
	s_waitcnt lgkmcnt(0)
	v_pk_mul_f32 v[4:5], v[82:83], v[4:5] op_sel_hi:[1,0]
	v_pk_add_f32 v[2:3], v[2:3], v[6:7]
	v_pk_fma_f32 v[6:7], v[82:83], v[92:93], v[4:5] op_sel:[0,0,1] op_sel_hi:[1,1,0] neg_lo:[0,0,1] neg_hi:[0,0,1]
	v_pk_fma_f32 v[4:5], v[82:83], v[92:93], v[4:5] op_sel:[0,0,1] op_sel_hi:[1,0,0]
	s_waitcnt vmcnt(1)
	v_mov_b32_e32 v4, v101
	v_mov_b32_e32 v7, v5
	v_pk_mul_f32 v[4:5], v[84:85], v[4:5] op_sel_hi:[1,0]
	v_pk_add_f32 v[2:3], v[2:3], v[6:7]
	s_waitcnt vmcnt(0)
	v_pk_fma_f32 v[6:7], v[84:85], v[100:101], v[4:5] op_sel:[0,0,1] op_sel_hi:[1,1,0] neg_lo:[0,0,1] neg_hi:[0,0,1]
	v_pk_fma_f32 v[4:5], v[84:85], v[100:101], v[4:5] op_sel:[0,0,1] op_sel_hi:[1,0,0]
	v_mov_b32_e32 v7, v5
	v_pk_add_f32 v[2:3], v[2:3], v[6:7]
	v_pk_add_f32 v[2:3], v[98:99], v[2:3] neg_lo:[0,1] neg_hi:[0,1]
	buffer_store_dword v3, off, s[0:3], 0 offset:60
	buffer_store_dword v2, off, s[0:3], 0 offset:56
	s_and_saveexec_b64 s[4:5], vcc
	s_cbranch_execz .LBB23_145
; %bb.144:
	buffer_load_dword v2, off, s[0:3], 0 offset:48
	buffer_load_dword v3, off, s[0:3], 0 offset:52
	v_mov_b32_e32 v4, 0
	buffer_store_dword v4, off, s[0:3], 0 offset:48
	buffer_store_dword v4, off, s[0:3], 0 offset:52
	s_waitcnt vmcnt(2)
	ds_write_b64 v1, v[2:3]
.LBB23_145:
	s_or_b64 exec, exec, s[4:5]
	s_waitcnt lgkmcnt(0)
	; wave barrier
	s_waitcnt lgkmcnt(0)
	buffer_load_dword v3, off, s[0:3], 0 offset:60
	buffer_load_dword v94, off, s[0:3], 0 offset:68
	;; [unrolled: 1-line block ×36, first 2 shown]
	v_mov_b32_e32 v2, 0
	ds_read2_b64 v[4:7], v2 offset0:31 offset1:32
	ds_read2_b64 v[8:11], v2 offset0:33 offset1:34
	;; [unrolled: 1-line block ×6, first 2 shown]
	v_cmp_lt_u32_e32 vcc, 5, v0
	s_waitcnt vmcnt(35) lgkmcnt(5)
	v_mul_f32_e32 v113, v4, v3
	s_waitcnt vmcnt(34)
	v_mul_f32_e32 v114, v6, v94
	s_waitcnt vmcnt(33) lgkmcnt(4)
	v_mul_f32_e32 v115, v8, v96
	v_mul_f32_e32 v3, v5, v3
	;; [unrolled: 1-line block ×4, first 2 shown]
	s_waitcnt vmcnt(32)
	v_mul_f32_e32 v116, v10, v98
	s_waitcnt vmcnt(31) lgkmcnt(3)
	v_mul_f32_e32 v117, v62, v99
	v_mul_f32_e32 v98, v11, v98
	s_waitcnt vmcnt(26)
	v_fmac_f32_e32 v113, v5, v104
	s_waitcnt vmcnt(25)
	v_fmac_f32_e32 v114, v7, v105
	;; [unrolled: 2-line block ×3, first 2 shown]
	v_fma_f32 v3, v4, v104, -v3
	v_add_f32_e32 v9, 0, v113
	v_fma_f32 v4, v6, v105, -v94
	v_add_f32_e32 v3, 0, v3
	v_add_f32_e32 v9, v9, v114
	s_waitcnt vmcnt(23)
	v_fmac_f32_e32 v116, v11, v107
	v_fma_f32 v5, v8, v106, -v96
	v_add_f32_e32 v3, v3, v4
	v_add_f32_e32 v4, v9, v115
	v_mul_f32_e32 v118, v64, v100
	v_mul_f32_e32 v99, v63, v99
	s_waitcnt vmcnt(22)
	v_fmac_f32_e32 v117, v63, v108
	v_fma_f32 v6, v10, v107, -v98
	v_add_f32_e32 v3, v3, v5
	v_add_f32_e32 v4, v4, v116
	s_waitcnt lgkmcnt(2)
	v_mul_f32_e32 v119, v66, v101
	v_mul_f32_e32 v100, v65, v100
	s_waitcnt vmcnt(21)
	v_fmac_f32_e32 v118, v65, v109
	v_fma_f32 v7, v62, v108, -v99
	v_add_f32_e32 v3, v3, v6
	v_add_f32_e32 v4, v4, v117
	v_mul_f32_e32 v101, v67, v101
	s_waitcnt vmcnt(20)
	v_fmac_f32_e32 v119, v67, v110
	v_fma_f32 v8, v64, v109, -v100
	v_add_f32_e32 v3, v3, v7
	v_add_f32_e32 v4, v4, v118
	;; [unrolled: 1-line block ×4, first 2 shown]
	v_fma_f32 v4, v66, v110, -v101
	v_mul_f32_e32 v95, v68, v102
	v_add_f32_e32 v62, v3, v4
	v_mul_f32_e32 v3, v69, v102
	s_waitcnt vmcnt(17)
	v_mov_b32_e32 v66, v13
	s_waitcnt lgkmcnt(1)
	v_mul_f32_e32 v97, v70, v103
	v_fmac_f32_e32 v95, v69, v111
	v_fma_f32 v94, v68, v111, -v3
	v_mul_f32_e32 v3, v71, v103
	v_pk_mul_f32 v[66:67], v[72:73], v[66:67] op_sel_hi:[1,0]
	v_fmac_f32_e32 v97, v71, v112
	v_fma_f32 v96, v70, v112, -v3
	v_pk_add_f32 v[62:63], v[62:63], v[94:95]
	s_waitcnt vmcnt(15)
	v_pk_fma_f32 v[68:69], v[72:73], v[12:13], v[66:67] op_sel:[0,0,1] op_sel_hi:[1,1,0] neg_lo:[0,0,1] neg_hi:[0,0,1]
	v_pk_fma_f32 v[12:13], v[72:73], v[12:13], v[66:67] op_sel:[0,0,1] op_sel_hi:[1,0,0]
	v_pk_add_f32 v[62:63], v[62:63], v[96:97]
	v_mov_b32_e32 v69, v13
	v_pk_add_f32 v[12:13], v[62:63], v[68:69]
	s_waitcnt vmcnt(12)
	v_mov_b32_e32 v62, v79
	s_waitcnt lgkmcnt(0)
	v_pk_mul_f32 v[62:63], v[74:75], v[62:63] op_sel_hi:[1,0]
	v_pk_fma_f32 v[66:67], v[74:75], v[78:79], v[62:63] op_sel:[0,0,1] op_sel_hi:[1,1,0] neg_lo:[0,0,1] neg_hi:[0,0,1]
	v_pk_fma_f32 v[62:63], v[74:75], v[78:79], v[62:63] op_sel:[0,0,1] op_sel_hi:[1,0,0]
	s_waitcnt vmcnt(11)
	v_mov_b32_e32 v62, v83
	ds_read2_b64 v[4:7], v2 offset0:43 offset1:44
	ds_read2_b64 v[8:11], v2 offset0:45 offset1:46
	ds_read_b64 v[64:65], v2 offset:376
	v_mov_b32_e32 v67, v63
	v_pk_mul_f32 v[62:63], v[76:77], v[62:63] op_sel_hi:[1,0]
	v_pk_add_f32 v[12:13], v[12:13], v[66:67]
	s_waitcnt vmcnt(4)
	v_pk_fma_f32 v[66:67], v[76:77], v[82:83], v[62:63] op_sel:[0,0,1] op_sel_hi:[1,1,0] neg_lo:[0,0,1] neg_hi:[0,0,1]
	v_pk_fma_f32 v[62:63], v[76:77], v[82:83], v[62:63] op_sel:[0,0,1] op_sel_hi:[1,0,0]
	v_mov_b32_e32 v62, v89
	v_mov_b32_e32 v67, v63
	s_waitcnt lgkmcnt(2)
	v_pk_mul_f32 v[62:63], v[4:5], v[62:63] op_sel_hi:[1,0]
	v_pk_add_f32 v[12:13], v[12:13], v[66:67]
	v_pk_fma_f32 v[66:67], v[4:5], v[88:89], v[62:63] op_sel:[0,0,1] op_sel_hi:[1,1,0] neg_lo:[0,0,1] neg_hi:[0,0,1]
	v_pk_fma_f32 v[4:5], v[4:5], v[88:89], v[62:63] op_sel:[0,0,1] op_sel_hi:[1,0,0]
	v_mov_b32_e32 v67, v5
	v_pk_add_f32 v[4:5], v[12:13], v[66:67]
	v_mov_b32_e32 v12, v87
	v_pk_mul_f32 v[12:13], v[6:7], v[12:13] op_sel_hi:[1,0]
	v_pk_fma_f32 v[62:63], v[6:7], v[86:87], v[12:13] op_sel:[0,0,1] op_sel_hi:[1,1,0] neg_lo:[0,0,1] neg_hi:[0,0,1]
	v_pk_fma_f32 v[6:7], v[6:7], v[86:87], v[12:13] op_sel:[0,0,1] op_sel_hi:[1,0,0]
	v_mov_b32_e32 v6, v85
	v_mov_b32_e32 v63, v7
	s_waitcnt lgkmcnt(1)
	v_pk_mul_f32 v[6:7], v[8:9], v[6:7] op_sel_hi:[1,0]
	v_pk_fma_f32 v[12:13], v[8:9], v[84:85], v[6:7] op_sel:[0,0,1] op_sel_hi:[1,1,0] neg_lo:[0,0,1] neg_hi:[0,0,1]
	v_pk_fma_f32 v[6:7], v[8:9], v[84:85], v[6:7] op_sel:[0,0,1] op_sel_hi:[1,0,0]
	s_waitcnt vmcnt(1)
	v_mov_b32_e32 v6, v93
	v_mov_b32_e32 v13, v7
	v_pk_mul_f32 v[6:7], v[10:11], v[6:7] op_sel_hi:[1,0]
	s_waitcnt vmcnt(0)
	v_pk_fma_f32 v[8:9], v[10:11], v[92:93], v[6:7] op_sel:[0,0,1] op_sel_hi:[1,1,0] neg_lo:[0,0,1] neg_hi:[0,0,1]
	v_pk_fma_f32 v[6:7], v[10:11], v[92:93], v[6:7] op_sel:[0,0,1] op_sel_hi:[1,0,0]
	v_pk_add_f32 v[4:5], v[4:5], v[62:63]
	v_mov_b32_e32 v6, v91
	v_pk_add_f32 v[4:5], v[4:5], v[12:13]
	v_mov_b32_e32 v9, v7
	s_waitcnt lgkmcnt(0)
	v_pk_mul_f32 v[6:7], v[64:65], v[6:7] op_sel_hi:[1,0]
	v_pk_add_f32 v[4:5], v[4:5], v[8:9]
	v_pk_fma_f32 v[8:9], v[64:65], v[90:91], v[6:7] op_sel:[0,0,1] op_sel_hi:[1,1,0] neg_lo:[0,0,1] neg_hi:[0,0,1]
	v_pk_fma_f32 v[6:7], v[64:65], v[90:91], v[6:7] op_sel:[0,0,1] op_sel_hi:[1,0,0]
	v_mov_b32_e32 v9, v7
	v_pk_add_f32 v[4:5], v[4:5], v[8:9]
	v_pk_add_f32 v[4:5], v[80:81], v[4:5] neg_lo:[0,1] neg_hi:[0,1]
	buffer_store_dword v5, off, s[0:3], 0 offset:52
	buffer_store_dword v4, off, s[0:3], 0 offset:48
	s_and_saveexec_b64 s[4:5], vcc
	s_cbranch_execz .LBB23_147
; %bb.146:
	buffer_load_dword v4, off, s[0:3], 0 offset:40
	buffer_load_dword v5, off, s[0:3], 0 offset:44
	s_waitcnt vmcnt(0)
	ds_write_b64 v1, v[4:5]
	buffer_store_dword v2, off, s[0:3], 0 offset:40
	buffer_store_dword v2, off, s[0:3], 0 offset:44
.LBB23_147:
	s_or_b64 exec, exec, s[4:5]
	s_waitcnt lgkmcnt(0)
	; wave barrier
	s_waitcnt lgkmcnt(0)
	buffer_load_dword v3, off, s[0:3], 0 offset:52
	buffer_load_dword v94, off, s[0:3], 0 offset:60
	;; [unrolled: 1-line block ×22, first 2 shown]
	ds_read_b128 v[4:7], v2 offset:240
	ds_read_b128 v[8:11], v2 offset:256
	buffer_load_dword v79, off, s[0:3], 0 offset:132
	buffer_load_dword v78, off, s[0:3], 0 offset:128
	;; [unrolled: 1-line block ×10, first 2 shown]
	ds_read_b128 v[62:65], v2 offset:272
	ds_read_b128 v[66:69], v2 offset:288
	;; [unrolled: 1-line block ×4, first 2 shown]
	buffer_load_dword v89, off, s[0:3], 0 offset:188
	buffer_load_dword v88, off, s[0:3], 0 offset:184
	;; [unrolled: 1-line block ×6, first 2 shown]
	v_cmp_lt_u32_e32 vcc, 4, v0
	s_waitcnt vmcnt(37) lgkmcnt(5)
	v_mul_f32_e32 v115, v4, v3
	s_waitcnt vmcnt(36)
	v_mul_f32_e32 v116, v6, v94
	s_waitcnt vmcnt(35) lgkmcnt(4)
	v_mul_f32_e32 v117, v8, v96
	v_mul_f32_e32 v3, v5, v3
	v_mul_f32_e32 v96, v9, v96
	v_mul_f32_e32 v94, v7, v94
	s_waitcnt vmcnt(34)
	v_mul_f32_e32 v118, v10, v98
	s_waitcnt vmcnt(33) lgkmcnt(3)
	v_mul_f32_e32 v119, v62, v99
	s_waitcnt vmcnt(32)
	v_mul_f32_e32 v120, v64, v100
	s_waitcnt vmcnt(31) lgkmcnt(2)
	v_mul_f32_e32 v121, v66, v101
	s_waitcnt vmcnt(27)
	v_fmac_f32_e32 v115, v5, v105
	s_waitcnt vmcnt(26)
	v_fmac_f32_e32 v116, v7, v106
	v_fma_f32 v3, v4, v105, -v3
	s_waitcnt vmcnt(25)
	v_fma_f32 v5, v8, v107, -v96
	v_add_f32_e32 v8, 0, v115
	v_fmac_f32_e32 v117, v9, v107
	v_fma_f32 v4, v6, v106, -v94
	v_add_f32_e32 v3, 0, v3
	v_add_f32_e32 v8, v8, v116
	s_waitcnt vmcnt(24)
	v_fmac_f32_e32 v118, v11, v108
	v_add_f32_e32 v3, v3, v4
	v_add_f32_e32 v4, v8, v117
	s_waitcnt vmcnt(23)
	v_fmac_f32_e32 v119, v63, v109
	v_add_f32_e32 v4, v4, v118
	v_mul_f32_e32 v98, v11, v98
	s_waitcnt vmcnt(22)
	v_fmac_f32_e32 v120, v65, v110
	v_add_f32_e32 v4, v4, v119
	v_mul_f32_e32 v122, v68, v102
	v_mul_f32_e32 v99, v63, v99
	s_waitcnt vmcnt(21)
	v_fmac_f32_e32 v121, v67, v111
	v_fma_f32 v6, v10, v108, -v98
	v_add_f32_e32 v3, v3, v5
	v_add_f32_e32 v4, v4, v120
	v_mul_f32_e32 v100, v65, v100
	s_waitcnt vmcnt(20)
	v_fmac_f32_e32 v122, v69, v112
	v_fma_f32 v7, v62, v109, -v99
	v_add_f32_e32 v3, v3, v6
	v_add_f32_e32 v4, v4, v121
	;; [unrolled: 1-line block ×4, first 2 shown]
	v_fma_f32 v4, v64, v110, -v100
	v_add_f32_e32 v3, v3, v4
	v_mul_f32_e32 v4, v67, v101
	v_fma_f32 v4, v66, v111, -v4
	v_add_f32_e32 v3, v3, v4
	v_mul_f32_e32 v4, v69, v102
	v_fma_f32 v4, v68, v112, -v4
	s_waitcnt vmcnt(15)
	v_mov_b32_e32 v66, v79
	s_waitcnt lgkmcnt(1)
	v_mul_f32_e32 v95, v70, v103
	v_add_f32_e32 v98, v3, v4
	v_mul_f32_e32 v3, v71, v103
	s_waitcnt lgkmcnt(0)
	v_pk_mul_f32 v[66:67], v[74:75], v[66:67] op_sel_hi:[1,0]
	v_mul_f32_e32 v97, v72, v104
	v_fmac_f32_e32 v95, v71, v113
	v_fma_f32 v94, v70, v113, -v3
	v_mul_f32_e32 v3, v73, v104
	s_waitcnt vmcnt(14)
	v_pk_fma_f32 v[68:69], v[74:75], v[78:79], v[66:67] op_sel:[0,0,1] op_sel_hi:[1,1,0] neg_lo:[0,0,1] neg_hi:[0,0,1]
	v_pk_fma_f32 v[66:67], v[74:75], v[78:79], v[66:67] op_sel:[0,0,1] op_sel_hi:[1,0,0]
	v_fmac_f32_e32 v97, v73, v114
	v_fma_f32 v96, v72, v114, -v3
	ds_read_b128 v[4:7], v2 offset:336
	ds_read_b128 v[8:11], v2 offset:352
	ds_read_b128 v[62:65], v2 offset:368
	v_pk_add_f32 v[2:3], v[98:99], v[94:95]
	s_waitcnt vmcnt(13)
	v_mov_b32_e32 v66, v81
	v_pk_add_f32 v[2:3], v[2:3], v[96:97]
	v_mov_b32_e32 v69, v67
	v_pk_mul_f32 v[66:67], v[76:77], v[66:67] op_sel_hi:[1,0]
	v_pk_add_f32 v[2:3], v[2:3], v[68:69]
	s_waitcnt vmcnt(6)
	v_pk_fma_f32 v[68:69], v[76:77], v[80:81], v[66:67] op_sel:[0,0,1] op_sel_hi:[1,1,0] neg_lo:[0,0,1] neg_hi:[0,0,1]
	v_pk_fma_f32 v[66:67], v[76:77], v[80:81], v[66:67] op_sel:[0,0,1] op_sel_hi:[1,0,0]
	v_mov_b32_e32 v66, v87
	v_mov_b32_e32 v69, v67
	s_waitcnt lgkmcnt(2)
	v_pk_mul_f32 v[66:67], v[4:5], v[66:67] op_sel_hi:[1,0]
	v_pk_add_f32 v[2:3], v[2:3], v[68:69]
	v_pk_fma_f32 v[68:69], v[4:5], v[86:87], v[66:67] op_sel:[0,0,1] op_sel_hi:[1,1,0] neg_lo:[0,0,1] neg_hi:[0,0,1]
	v_pk_fma_f32 v[4:5], v[4:5], v[86:87], v[66:67] op_sel:[0,0,1] op_sel_hi:[1,0,0]
	v_mov_b32_e32 v4, v85
	v_mov_b32_e32 v69, v5
	v_pk_mul_f32 v[4:5], v[6:7], v[4:5] op_sel_hi:[1,0]
	v_pk_fma_f32 v[66:67], v[6:7], v[84:85], v[4:5] op_sel:[0,0,1] op_sel_hi:[1,1,0] neg_lo:[0,0,1] neg_hi:[0,0,1]
	v_pk_fma_f32 v[4:5], v[6:7], v[84:85], v[4:5] op_sel:[0,0,1] op_sel_hi:[1,0,0]
	v_mov_b32_e32 v4, v83
	v_mov_b32_e32 v67, v5
	s_waitcnt lgkmcnt(1)
	v_pk_mul_f32 v[4:5], v[8:9], v[4:5] op_sel_hi:[1,0]
	v_pk_fma_f32 v[6:7], v[8:9], v[82:83], v[4:5] op_sel:[0,0,1] op_sel_hi:[1,1,0] neg_lo:[0,0,1] neg_hi:[0,0,1]
	v_pk_fma_f32 v[4:5], v[8:9], v[82:83], v[4:5] op_sel:[0,0,1] op_sel_hi:[1,0,0]
	v_pk_add_f32 v[2:3], v[2:3], v[68:69]
	s_waitcnt vmcnt(1)
	v_mov_b32_e32 v4, v93
	v_pk_add_f32 v[2:3], v[2:3], v[66:67]
	v_mov_b32_e32 v7, v5
	v_pk_mul_f32 v[4:5], v[10:11], v[4:5] op_sel_hi:[1,0]
	v_pk_add_f32 v[2:3], v[2:3], v[6:7]
	s_waitcnt vmcnt(0)
	v_pk_fma_f32 v[6:7], v[10:11], v[92:93], v[4:5] op_sel:[0,0,1] op_sel_hi:[1,1,0] neg_lo:[0,0,1] neg_hi:[0,0,1]
	v_pk_fma_f32 v[4:5], v[10:11], v[92:93], v[4:5] op_sel:[0,0,1] op_sel_hi:[1,0,0]
	v_mov_b32_e32 v4, v91
	v_mov_b32_e32 v7, v5
	s_waitcnt lgkmcnt(0)
	v_pk_mul_f32 v[4:5], v[62:63], v[4:5] op_sel_hi:[1,0]
	v_pk_add_f32 v[2:3], v[2:3], v[6:7]
	v_pk_fma_f32 v[6:7], v[62:63], v[90:91], v[4:5] op_sel:[0,0,1] op_sel_hi:[1,1,0] neg_lo:[0,0,1] neg_hi:[0,0,1]
	v_pk_fma_f32 v[4:5], v[62:63], v[90:91], v[4:5] op_sel:[0,0,1] op_sel_hi:[1,0,0]
	v_mov_b32_e32 v4, v89
	v_mov_b32_e32 v7, v5
	v_pk_mul_f32 v[4:5], v[64:65], v[4:5] op_sel_hi:[1,0]
	v_pk_add_f32 v[2:3], v[2:3], v[6:7]
	v_pk_fma_f32 v[6:7], v[64:65], v[88:89], v[4:5] op_sel:[0,0,1] op_sel_hi:[1,1,0] neg_lo:[0,0,1] neg_hi:[0,0,1]
	v_pk_fma_f32 v[4:5], v[64:65], v[88:89], v[4:5] op_sel:[0,0,1] op_sel_hi:[1,0,0]
	v_mov_b32_e32 v7, v5
	v_pk_add_f32 v[2:3], v[2:3], v[6:7]
	v_pk_add_f32 v[2:3], v[12:13], v[2:3] neg_lo:[0,1] neg_hi:[0,1]
	buffer_store_dword v3, off, s[0:3], 0 offset:44
	buffer_store_dword v2, off, s[0:3], 0 offset:40
	s_and_saveexec_b64 s[4:5], vcc
	s_cbranch_execz .LBB23_149
; %bb.148:
	buffer_load_dword v2, off, s[0:3], 0 offset:32
	buffer_load_dword v3, off, s[0:3], 0 offset:36
	v_mov_b32_e32 v4, 0
	buffer_store_dword v4, off, s[0:3], 0 offset:32
	buffer_store_dword v4, off, s[0:3], 0 offset:36
	s_waitcnt vmcnt(2)
	ds_write_b64 v1, v[2:3]
.LBB23_149:
	s_or_b64 exec, exec, s[4:5]
	s_waitcnt lgkmcnt(0)
	; wave barrier
	s_waitcnt lgkmcnt(0)
	buffer_load_dword v65, off, s[0:3], 0 offset:44
	buffer_load_dword v94, off, s[0:3], 0 offset:52
	;; [unrolled: 1-line block ×40, first 2 shown]
	v_mov_b32_e32 v64, 0
	ds_read2_b64 v[2:5], v64 offset0:29 offset1:30
	ds_read2_b64 v[6:9], v64 offset0:31 offset1:32
	;; [unrolled: 1-line block ×6, first 2 shown]
	v_cmp_lt_u32_e32 vcc, 3, v0
	s_waitcnt vmcnt(39) lgkmcnt(5)
	v_mul_f32_e32 v117, v2, v65
	s_waitcnt vmcnt(38)
	v_mul_f32_e32 v118, v4, v94
	s_waitcnt vmcnt(37) lgkmcnt(4)
	v_mul_f32_e32 v119, v6, v96
	v_mul_f32_e32 v65, v3, v65
	;; [unrolled: 1-line block ×4, first 2 shown]
	s_waitcnt vmcnt(36)
	v_mul_f32_e32 v120, v8, v98
	s_waitcnt vmcnt(35) lgkmcnt(3)
	v_mul_f32_e32 v121, v10, v100
	s_waitcnt vmcnt(34)
	v_mul_f32_e32 v122, v12, v101
	s_waitcnt vmcnt(33) lgkmcnt(2)
	v_mul_f32_e32 v123, v66, v102
	s_waitcnt vmcnt(32)
	v_mul_f32_e32 v124, v68, v103
	s_waitcnt vmcnt(28)
	v_fmac_f32_e32 v117, v3, v99
	s_waitcnt vmcnt(27)
	v_fmac_f32_e32 v118, v5, v107
	v_fma_f32 v2, v2, v99, -v65
	v_fma_f32 v3, v4, v107, -v94
	s_waitcnt vmcnt(26)
	v_fma_f32 v4, v6, v108, -v96
	v_add_f32_e32 v6, 0, v117
	v_fmac_f32_e32 v119, v7, v108
	v_add_f32_e32 v2, 0, v2
	v_add_f32_e32 v6, v6, v118
	s_waitcnt vmcnt(25)
	v_fmac_f32_e32 v120, v9, v109
	v_add_f32_e32 v2, v2, v3
	v_add_f32_e32 v3, v6, v119
	s_waitcnt vmcnt(24)
	v_fmac_f32_e32 v121, v11, v110
	v_add_f32_e32 v3, v3, v120
	s_waitcnt vmcnt(23)
	v_fmac_f32_e32 v122, v13, v111
	;; [unrolled: 3-line block ×3, first 2 shown]
	v_add_f32_e32 v3, v3, v122
	s_waitcnt lgkmcnt(1)
	v_mul_f32_e32 v125, v70, v104
	s_waitcnt vmcnt(21)
	v_fmac_f32_e32 v124, v69, v113
	v_add_f32_e32 v3, v3, v123
	v_mul_f32_e32 v98, v9, v98
	s_waitcnt vmcnt(20)
	v_fmac_f32_e32 v125, v71, v114
	v_add_f32_e32 v3, v3, v124
	v_fma_f32 v5, v8, v109, -v98
	v_add_f32_e32 v2, v2, v4
	v_add_f32_e32 v99, v3, v125
	v_mul_f32_e32 v3, v11, v100
	v_add_f32_e32 v2, v2, v5
	v_fma_f32 v3, v10, v110, -v3
	v_add_f32_e32 v2, v2, v3
	v_mul_f32_e32 v3, v13, v101
	v_fma_f32 v3, v12, v111, -v3
	v_add_f32_e32 v2, v2, v3
	v_mul_f32_e32 v3, v67, v102
	;; [unrolled: 3-line block ×5, first 2 shown]
	s_waitcnt vmcnt(9)
	v_mov_b32_e32 v70, v85
	v_mul_f32_e32 v95, v72, v105
	v_fma_f32 v94, v72, v115, -v2
	s_waitcnt lgkmcnt(0)
	v_mul_f32_e32 v2, v75, v106
	v_pk_mul_f32 v[70:71], v[76:77], v[70:71] op_sel_hi:[1,0]
	v_mul_f32_e32 v97, v74, v106
	v_fmac_f32_e32 v95, v73, v115
	v_fma_f32 v96, v74, v116, -v2
	ds_read2_b64 v[2:5], v64 offset0:41 offset1:42
	ds_read2_b64 v[6:9], v64 offset0:43 offset1:44
	;; [unrolled: 1-line block ×3, first 2 shown]
	ds_read_b64 v[66:67], v64 offset:376
	s_waitcnt vmcnt(8)
	v_pk_fma_f32 v[72:73], v[76:77], v[84:85], v[70:71] op_sel:[0,0,1] op_sel_hi:[1,1,0] neg_lo:[0,0,1] neg_hi:[0,0,1]
	v_pk_fma_f32 v[70:71], v[76:77], v[84:85], v[70:71] op_sel:[0,0,1] op_sel_hi:[1,0,0]
	v_fmac_f32_e32 v97, v75, v116
	v_pk_add_f32 v[68:69], v[98:99], v[94:95]
	v_mov_b32_e32 v70, v83
	v_pk_add_f32 v[68:69], v[68:69], v[96:97]
	v_mov_b32_e32 v73, v71
	s_waitcnt lgkmcnt(3)
	v_pk_mul_f32 v[70:71], v[2:3], v[70:71] op_sel_hi:[1,0]
	v_pk_add_f32 v[68:69], v[68:69], v[72:73]
	v_pk_fma_f32 v[72:73], v[2:3], v[82:83], v[70:71] op_sel:[0,0,1] op_sel_hi:[1,1,0] neg_lo:[0,0,1] neg_hi:[0,0,1]
	v_pk_fma_f32 v[2:3], v[2:3], v[82:83], v[70:71] op_sel:[0,0,1] op_sel_hi:[1,0,0]
	v_mov_b32_e32 v73, v3
	v_pk_add_f32 v[2:3], v[68:69], v[72:73]
	v_mov_b32_e32 v68, v81
	v_pk_mul_f32 v[68:69], v[4:5], v[68:69] op_sel_hi:[1,0]
	v_pk_fma_f32 v[70:71], v[4:5], v[80:81], v[68:69] op_sel:[0,0,1] op_sel_hi:[1,1,0] neg_lo:[0,0,1] neg_hi:[0,0,1]
	v_pk_fma_f32 v[4:5], v[4:5], v[80:81], v[68:69] op_sel:[0,0,1] op_sel_hi:[1,0,0]
	v_mov_b32_e32 v4, v79
	v_mov_b32_e32 v71, v5
	s_waitcnt lgkmcnt(2)
	v_pk_mul_f32 v[4:5], v[6:7], v[4:5] op_sel_hi:[1,0]
	v_pk_fma_f32 v[68:69], v[6:7], v[78:79], v[4:5] op_sel:[0,0,1] op_sel_hi:[1,1,0] neg_lo:[0,0,1] neg_hi:[0,0,1]
	v_pk_fma_f32 v[4:5], v[6:7], v[78:79], v[4:5] op_sel:[0,0,1] op_sel_hi:[1,0,0]
	s_waitcnt vmcnt(1)
	v_mov_b32_e32 v4, v93
	v_mov_b32_e32 v69, v5
	v_pk_mul_f32 v[4:5], v[8:9], v[4:5] op_sel_hi:[1,0]
	s_waitcnt vmcnt(0)
	v_pk_fma_f32 v[6:7], v[8:9], v[92:93], v[4:5] op_sel:[0,0,1] op_sel_hi:[1,1,0] neg_lo:[0,0,1] neg_hi:[0,0,1]
	v_pk_fma_f32 v[4:5], v[8:9], v[92:93], v[4:5] op_sel:[0,0,1] op_sel_hi:[1,0,0]
	v_pk_add_f32 v[2:3], v[2:3], v[70:71]
	v_mov_b32_e32 v4, v91
	v_pk_add_f32 v[2:3], v[2:3], v[68:69]
	v_mov_b32_e32 v7, v5
	s_waitcnt lgkmcnt(1)
	v_pk_mul_f32 v[4:5], v[10:11], v[4:5] op_sel_hi:[1,0]
	v_pk_add_f32 v[2:3], v[2:3], v[6:7]
	v_pk_fma_f32 v[6:7], v[10:11], v[90:91], v[4:5] op_sel:[0,0,1] op_sel_hi:[1,1,0] neg_lo:[0,0,1] neg_hi:[0,0,1]
	v_pk_fma_f32 v[4:5], v[10:11], v[90:91], v[4:5] op_sel:[0,0,1] op_sel_hi:[1,0,0]
	v_mov_b32_e32 v4, v89
	v_mov_b32_e32 v7, v5
	v_pk_mul_f32 v[4:5], v[12:13], v[4:5] op_sel_hi:[1,0]
	v_pk_add_f32 v[2:3], v[2:3], v[6:7]
	v_pk_fma_f32 v[6:7], v[12:13], v[88:89], v[4:5] op_sel:[0,0,1] op_sel_hi:[1,1,0] neg_lo:[0,0,1] neg_hi:[0,0,1]
	v_pk_fma_f32 v[4:5], v[12:13], v[88:89], v[4:5] op_sel:[0,0,1] op_sel_hi:[1,0,0]
	v_mov_b32_e32 v4, v87
	v_mov_b32_e32 v7, v5
	s_waitcnt lgkmcnt(0)
	v_pk_mul_f32 v[4:5], v[66:67], v[4:5] op_sel_hi:[1,0]
	v_pk_add_f32 v[2:3], v[2:3], v[6:7]
	v_pk_fma_f32 v[6:7], v[66:67], v[86:87], v[4:5] op_sel:[0,0,1] op_sel_hi:[1,1,0] neg_lo:[0,0,1] neg_hi:[0,0,1]
	v_pk_fma_f32 v[4:5], v[66:67], v[86:87], v[4:5] op_sel:[0,0,1] op_sel_hi:[1,0,0]
	v_mov_b32_e32 v7, v5
	v_pk_add_f32 v[2:3], v[2:3], v[6:7]
	v_pk_add_f32 v[2:3], v[62:63], v[2:3] neg_lo:[0,1] neg_hi:[0,1]
	buffer_store_dword v3, off, s[0:3], 0 offset:36
	buffer_store_dword v2, off, s[0:3], 0 offset:32
	s_and_saveexec_b64 s[4:5], vcc
	s_cbranch_execz .LBB23_151
; %bb.150:
	buffer_load_dword v2, off, s[0:3], 0 offset:24
	buffer_load_dword v3, off, s[0:3], 0 offset:28
	s_waitcnt vmcnt(0)
	ds_write_b64 v1, v[2:3]
	buffer_store_dword v64, off, s[0:3], 0 offset:24
	buffer_store_dword v64, off, s[0:3], 0 offset:28
.LBB23_151:
	s_or_b64 exec, exec, s[4:5]
	s_waitcnt lgkmcnt(0)
	; wave barrier
	s_waitcnt lgkmcnt(0)
	ds_read_b128 v[66:69], v64 offset:224
	ds_read_b128 v[10:13], v64 offset:240
	;; [unrolled: 1-line block ×4, first 2 shown]
	buffer_load_dword v62, off, s[0:3], 0 offset:24
	buffer_load_dword v63, off, s[0:3], 0 offset:28
	;; [unrolled: 1-line block ×18, first 2 shown]
	v_cmp_lt_u32_e32 vcc, 2, v0
	s_waitcnt vmcnt(14) lgkmcnt(3)
	v_mul_f32_e32 v70, v66, v82
	v_fmac_f32_e32 v70, v67, v65
	s_waitcnt vmcnt(12)
	v_mul_f32_e32 v71, v68, v86
	v_add_f32_e32 v70, 0, v70
	v_fmac_f32_e32 v71, v69, v84
	v_add_f32_e32 v70, v70, v71
	s_waitcnt vmcnt(10) lgkmcnt(2)
	v_mul_f32_e32 v71, v10, v105
	v_fmac_f32_e32 v71, v11, v104
	v_add_f32_e32 v70, v70, v71
	s_waitcnt vmcnt(8)
	v_mul_f32_e32 v71, v12, v107
	v_fmac_f32_e32 v71, v13, v106
	v_add_f32_e32 v70, v70, v71
	s_waitcnt vmcnt(6) lgkmcnt(1)
	v_mul_f32_e32 v71, v6, v109
	v_fmac_f32_e32 v71, v7, v108
	v_add_f32_e32 v70, v70, v71
	s_waitcnt vmcnt(4)
	v_mul_f32_e32 v71, v8, v111
	;; [unrolled: 8-line block ×3, first 2 shown]
	v_fmac_f32_e32 v71, v5, v114
	v_add_f32_e32 v74, v70, v71
	ds_read_b128 v[70:73], v64 offset:288
	buffer_load_dword v116, off, s[0:3], 0 offset:96
	buffer_load_dword v117, off, s[0:3], 0 offset:100
	;; [unrolled: 1-line block ×4, first 2 shown]
	v_mul_f32_e32 v67, v67, v82
	v_fma_f32 v65, v66, v65, -v67
	v_mul_f32_e32 v66, v69, v86
	v_add_f32_e32 v65, 0, v65
	v_fma_f32 v66, v68, v84, -v66
	v_mul_f32_e32 v11, v11, v105
	v_add_f32_e32 v65, v65, v66
	;; [unrolled: 3-line block ×7, first 2 shown]
	v_fma_f32 v3, v4, v114, -v3
	v_add_f32_e32 v2, v2, v3
	s_waitcnt vmcnt(2) lgkmcnt(0)
	v_mul_f32_e32 v75, v70, v117
	v_fmac_f32_e32 v75, v71, v116
	v_add_f32_e32 v74, v74, v75
	s_waitcnt vmcnt(0)
	v_mul_f32_e32 v75, v72, v119
	v_fmac_f32_e32 v75, v73, v118
	v_add_f32_e32 v83, v74, v75
	ds_read_b128 v[74:77], v64 offset:304
	buffer_load_dword v120, off, s[0:3], 0 offset:112
	buffer_load_dword v121, off, s[0:3], 0 offset:116
	;; [unrolled: 1-line block ×6, first 2 shown]
	ds_read_b128 v[78:81], v64 offset:320
	buffer_load_dword v91, off, s[0:3], 0 offset:140
	buffer_load_dword v90, off, s[0:3], 0 offset:136
	;; [unrolled: 1-line block ×14, first 2 shown]
	v_mul_f32_e32 v3, v71, v117
	v_fma_f32 v3, v70, v116, -v3
	v_add_f32_e32 v2, v2, v3
	v_mul_f32_e32 v3, v73, v119
	v_fma_f32 v3, v72, v118, -v3
	v_add_f32_e32 v82, v2, v3
	s_waitcnt vmcnt(18) lgkmcnt(1)
	v_mul_f32_e32 v85, v74, v121
	s_waitcnt vmcnt(15)
	v_mov_b32_e32 v66, v89
	v_mul_f32_e32 v2, v75, v121
	s_waitcnt lgkmcnt(0)
	v_pk_mul_f32 v[66:67], v[78:79], v[66:67] op_sel_hi:[1,0]
	v_fmac_f32_e32 v85, v75, v120
	v_mul_f32_e32 v87, v76, v123
	v_fma_f32 v84, v74, v120, -v2
	v_mul_f32_e32 v2, v77, v123
	s_waitcnt vmcnt(14)
	v_pk_fma_f32 v[68:69], v[78:79], v[88:89], v[66:67] op_sel:[0,0,1] op_sel_hi:[1,1,0] neg_lo:[0,0,1] neg_hi:[0,0,1]
	v_pk_fma_f32 v[66:67], v[78:79], v[88:89], v[66:67] op_sel:[0,0,1] op_sel_hi:[1,0,0]
	v_fmac_f32_e32 v87, v77, v122
	v_fma_f32 v86, v76, v122, -v2
	ds_read_b128 v[2:5], v64 offset:336
	ds_read_b128 v[6:9], v64 offset:352
	;; [unrolled: 1-line block ×3, first 2 shown]
	v_pk_add_f32 v[64:65], v[82:83], v[84:85]
	s_waitcnt vmcnt(13)
	v_mov_b32_e32 v66, v91
	v_pk_add_f32 v[64:65], v[64:65], v[86:87]
	v_mov_b32_e32 v69, v67
	v_pk_mul_f32 v[66:67], v[80:81], v[66:67] op_sel_hi:[1,0]
	v_pk_add_f32 v[64:65], v[64:65], v[68:69]
	s_waitcnt vmcnt(12)
	v_pk_fma_f32 v[68:69], v[80:81], v[90:91], v[66:67] op_sel:[0,0,1] op_sel_hi:[1,1,0] neg_lo:[0,0,1] neg_hi:[0,0,1]
	v_pk_fma_f32 v[66:67], v[80:81], v[90:91], v[66:67] op_sel:[0,0,1] op_sel_hi:[1,0,0]
	s_waitcnt vmcnt(11)
	v_mov_b32_e32 v66, v93
	v_mov_b32_e32 v69, v67
	s_waitcnt lgkmcnt(2)
	v_pk_mul_f32 v[66:67], v[2:3], v[66:67] op_sel_hi:[1,0]
	v_pk_add_f32 v[64:65], v[64:65], v[68:69]
	s_waitcnt vmcnt(10)
	v_pk_fma_f32 v[68:69], v[2:3], v[92:93], v[66:67] op_sel:[0,0,1] op_sel_hi:[1,1,0] neg_lo:[0,0,1] neg_hi:[0,0,1]
	v_pk_fma_f32 v[2:3], v[2:3], v[92:93], v[66:67] op_sel:[0,0,1] op_sel_hi:[1,0,0]
	v_mov_b32_e32 v69, v3
	v_pk_add_f32 v[2:3], v[64:65], v[68:69]
	s_waitcnt vmcnt(9)
	v_mov_b32_e32 v64, v95
	v_pk_mul_f32 v[64:65], v[4:5], v[64:65] op_sel_hi:[1,0]
	s_waitcnt vmcnt(8)
	v_pk_fma_f32 v[66:67], v[4:5], v[94:95], v[64:65] op_sel:[0,0,1] op_sel_hi:[1,1,0] neg_lo:[0,0,1] neg_hi:[0,0,1]
	v_pk_fma_f32 v[4:5], v[4:5], v[94:95], v[64:65] op_sel:[0,0,1] op_sel_hi:[1,0,0]
	s_waitcnt vmcnt(7)
	v_mov_b32_e32 v4, v97
	v_mov_b32_e32 v67, v5
	s_waitcnt lgkmcnt(1)
	v_pk_mul_f32 v[4:5], v[6:7], v[4:5] op_sel_hi:[1,0]
	s_waitcnt vmcnt(6)
	v_pk_fma_f32 v[64:65], v[6:7], v[96:97], v[4:5] op_sel:[0,0,1] op_sel_hi:[1,1,0] neg_lo:[0,0,1] neg_hi:[0,0,1]
	v_pk_fma_f32 v[4:5], v[6:7], v[96:97], v[4:5] op_sel:[0,0,1] op_sel_hi:[1,0,0]
	s_waitcnt vmcnt(5)
	v_mov_b32_e32 v4, v99
	v_mov_b32_e32 v65, v5
	v_pk_mul_f32 v[4:5], v[8:9], v[4:5] op_sel_hi:[1,0]
	s_waitcnt vmcnt(4)
	v_pk_fma_f32 v[6:7], v[8:9], v[98:99], v[4:5] op_sel:[0,0,1] op_sel_hi:[1,1,0] neg_lo:[0,0,1] neg_hi:[0,0,1]
	v_pk_fma_f32 v[4:5], v[8:9], v[98:99], v[4:5] op_sel:[0,0,1] op_sel_hi:[1,0,0]
	v_pk_add_f32 v[2:3], v[2:3], v[66:67]
	s_waitcnt vmcnt(3)
	v_mov_b32_e32 v4, v101
	v_pk_add_f32 v[2:3], v[2:3], v[64:65]
	v_mov_b32_e32 v7, v5
	s_waitcnt lgkmcnt(0)
	v_pk_mul_f32 v[4:5], v[10:11], v[4:5] op_sel_hi:[1,0]
	v_pk_add_f32 v[2:3], v[2:3], v[6:7]
	s_waitcnt vmcnt(2)
	v_pk_fma_f32 v[6:7], v[10:11], v[100:101], v[4:5] op_sel:[0,0,1] op_sel_hi:[1,1,0] neg_lo:[0,0,1] neg_hi:[0,0,1]
	v_pk_fma_f32 v[4:5], v[10:11], v[100:101], v[4:5] op_sel:[0,0,1] op_sel_hi:[1,0,0]
	s_waitcnt vmcnt(1)
	v_mov_b32_e32 v4, v103
	v_mov_b32_e32 v7, v5
	v_pk_mul_f32 v[4:5], v[12:13], v[4:5] op_sel_hi:[1,0]
	v_pk_add_f32 v[2:3], v[2:3], v[6:7]
	s_waitcnt vmcnt(0)
	v_pk_fma_f32 v[6:7], v[12:13], v[102:103], v[4:5] op_sel:[0,0,1] op_sel_hi:[1,1,0] neg_lo:[0,0,1] neg_hi:[0,0,1]
	v_pk_fma_f32 v[4:5], v[12:13], v[102:103], v[4:5] op_sel:[0,0,1] op_sel_hi:[1,0,0]
	v_mov_b32_e32 v7, v5
	v_pk_add_f32 v[2:3], v[2:3], v[6:7]
	v_pk_add_f32 v[2:3], v[62:63], v[2:3] neg_lo:[0,1] neg_hi:[0,1]
	buffer_store_dword v3, off, s[0:3], 0 offset:28
	buffer_store_dword v2, off, s[0:3], 0 offset:24
	s_and_saveexec_b64 s[4:5], vcc
	s_cbranch_execz .LBB23_153
; %bb.152:
	buffer_load_dword v2, off, s[0:3], 0 offset:16
	buffer_load_dword v3, off, s[0:3], 0 offset:20
	v_mov_b32_e32 v4, 0
	buffer_store_dword v4, off, s[0:3], 0 offset:16
	buffer_store_dword v4, off, s[0:3], 0 offset:20
	s_waitcnt vmcnt(2)
	ds_write_b64 v1, v[2:3]
.LBB23_153:
	s_or_b64 exec, exec, s[4:5]
	v_mov_b32_e32 v12, 0
	s_waitcnt lgkmcnt(0)
	; wave barrier
	s_waitcnt lgkmcnt(0)
	ds_read2_b64 v[62:65], v12 offset0:27 offset1:28
	buffer_load_dword v6, off, s[0:3], 0 offset:16
	buffer_load_dword v7, off, s[0:3], 0 offset:20
	;; [unrolled: 1-line block ×16, first 2 shown]
	ds_read2_b64 v[66:69], v12 offset0:29 offset1:30
	ds_read2_b64 v[70:73], v12 offset0:31 offset1:32
	;; [unrolled: 1-line block ×3, first 2 shown]
	buffer_load_dword v114, off, s[0:3], 0 offset:80
	buffer_load_dword v115, off, s[0:3], 0 offset:84
	ds_read2_b64 v[78:81], v12 offset0:35 offset1:36
	buffer_load_dword v116, off, s[0:3], 0 offset:88
	buffer_load_dword v117, off, s[0:3], 0 offset:92
	;; [unrolled: 1-line block ×4, first 2 shown]
	ds_read2_b64 v[82:85], v12 offset0:37 offset1:38
	buffer_load_dword v120, off, s[0:3], 0 offset:104
	buffer_load_dword v121, off, s[0:3], 0 offset:108
	;; [unrolled: 1-line block ×4, first 2 shown]
	v_cmp_lt_u32_e32 vcc, 1, v0
	s_waitcnt vmcnt(22) lgkmcnt(5)
	v_mul_f32_e32 v2, v62, v10
	v_fmac_f32_e32 v2, v63, v8
	s_waitcnt vmcnt(20)
	v_mul_f32_e32 v3, v64, v86
	v_add_f32_e32 v2, 0, v2
	v_fmac_f32_e32 v3, v65, v13
	v_add_f32_e32 v2, v2, v3
	s_waitcnt vmcnt(18) lgkmcnt(4)
	v_mul_f32_e32 v3, v66, v105
	v_fmac_f32_e32 v3, v67, v104
	v_add_f32_e32 v2, v2, v3
	s_waitcnt vmcnt(16)
	v_mul_f32_e32 v3, v68, v107
	v_fmac_f32_e32 v3, v69, v106
	v_add_f32_e32 v2, v2, v3
	s_waitcnt vmcnt(14) lgkmcnt(3)
	v_mul_f32_e32 v3, v70, v109
	v_fmac_f32_e32 v3, v71, v108
	v_add_f32_e32 v2, v2, v3
	s_waitcnt vmcnt(12)
	v_mul_f32_e32 v3, v72, v111
	;; [unrolled: 8-line block ×4, first 2 shown]
	v_fmac_f32_e32 v3, v81, v118
	v_add_f32_e32 v2, v2, v3
	s_waitcnt vmcnt(2) lgkmcnt(0)
	v_mul_f32_e32 v3, v82, v121
	v_fmac_f32_e32 v3, v83, v120
	v_add_f32_e32 v9, v2, v3
	ds_read2_b64 v[2:5], v12 offset0:39 offset1:40
	buffer_load_dword v124, off, s[0:3], 0 offset:120
	buffer_load_dword v125, off, s[0:3], 0 offset:124
	;; [unrolled: 1-line block ×18, first 2 shown]
	v_mul_f32_e32 v10, v63, v10
	v_fma_f32 v8, v62, v8, -v10
	v_mul_f32_e32 v10, v65, v86
	v_add_f32_e32 v8, 0, v8
	v_fma_f32 v10, v64, v13, -v10
	v_add_f32_e32 v8, v8, v10
	v_mul_f32_e32 v10, v67, v105
	v_fma_f32 v10, v66, v104, -v10
	v_add_f32_e32 v8, v8, v10
	v_mul_f32_e32 v10, v69, v107
	;; [unrolled: 3-line block ×9, first 2 shown]
	v_fma_f32 v10, v82, v120, -v10
	s_waitcnt vmcnt(18)
	v_mul_f32_e32 v11, v84, v123
	v_add_f32_e32 v8, v8, v10
	v_mul_f32_e32 v10, v85, v123
	v_fmac_f32_e32 v11, v85, v122
	v_fma_f32 v10, v84, v122, -v10
	v_pk_add_f32 v[8:9], v[8:9], v[10:11]
	s_waitcnt vmcnt(15)
	v_mov_b32_e32 v10, v89
	s_waitcnt lgkmcnt(0)
	v_pk_mul_f32 v[10:11], v[4:5], v[10:11] op_sel_hi:[1,0]
	s_waitcnt vmcnt(14)
	v_pk_fma_f32 v[74:75], v[4:5], v[88:89], v[10:11] op_sel:[0,0,1] op_sel_hi:[1,1,0] neg_lo:[0,0,1] neg_hi:[0,0,1]
	v_pk_fma_f32 v[4:5], v[4:5], v[88:89], v[10:11] op_sel:[0,0,1] op_sel_hi:[1,0,0]
	v_mov_b32_e32 v75, v5
	v_mul_f32_e32 v87, v2, v125
	v_fmac_f32_e32 v87, v3, v124
	v_mul_f32_e32 v3, v3, v125
	v_fma_f32 v86, v2, v124, -v3
	ds_read2_b64 v[62:65], v12 offset0:41 offset1:42
	ds_read2_b64 v[66:69], v12 offset0:43 offset1:44
	;; [unrolled: 1-line block ×3, first 2 shown]
	ds_read_b64 v[2:3], v12 offset:376
	v_pk_add_f32 v[8:9], v[8:9], v[86:87]
	v_pk_add_f32 v[4:5], v[8:9], v[74:75]
	s_waitcnt vmcnt(13)
	v_mov_b32_e32 v8, v91
	s_waitcnt lgkmcnt(3)
	v_pk_mul_f32 v[8:9], v[62:63], v[8:9] op_sel_hi:[1,0]
	s_waitcnt vmcnt(12)
	v_pk_fma_f32 v[10:11], v[62:63], v[90:91], v[8:9] op_sel:[0,0,1] op_sel_hi:[1,1,0] neg_lo:[0,0,1] neg_hi:[0,0,1]
	v_pk_fma_f32 v[8:9], v[62:63], v[90:91], v[8:9] op_sel:[0,0,1] op_sel_hi:[1,0,0]
	s_waitcnt vmcnt(11)
	v_mov_b32_e32 v8, v93
	v_mov_b32_e32 v11, v9
	v_pk_mul_f32 v[8:9], v[64:65], v[8:9] op_sel_hi:[1,0]
	v_pk_add_f32 v[4:5], v[4:5], v[10:11]
	s_waitcnt vmcnt(10)
	v_pk_fma_f32 v[10:11], v[64:65], v[92:93], v[8:9] op_sel:[0,0,1] op_sel_hi:[1,1,0] neg_lo:[0,0,1] neg_hi:[0,0,1]
	v_pk_fma_f32 v[8:9], v[64:65], v[92:93], v[8:9] op_sel:[0,0,1] op_sel_hi:[1,0,0]
	s_waitcnt vmcnt(9)
	v_mov_b32_e32 v8, v95
	v_mov_b32_e32 v11, v9
	s_waitcnt lgkmcnt(2)
	v_pk_mul_f32 v[8:9], v[66:67], v[8:9] op_sel_hi:[1,0]
	v_pk_add_f32 v[4:5], v[4:5], v[10:11]
	s_waitcnt vmcnt(8)
	v_pk_fma_f32 v[10:11], v[66:67], v[94:95], v[8:9] op_sel:[0,0,1] op_sel_hi:[1,1,0] neg_lo:[0,0,1] neg_hi:[0,0,1]
	v_pk_fma_f32 v[8:9], v[66:67], v[94:95], v[8:9] op_sel:[0,0,1] op_sel_hi:[1,0,0]
	s_waitcnt vmcnt(7)
	v_mov_b32_e32 v8, v97
	v_mov_b32_e32 v11, v9
	v_pk_mul_f32 v[8:9], v[68:69], v[8:9] op_sel_hi:[1,0]
	v_pk_add_f32 v[4:5], v[4:5], v[10:11]
	s_waitcnt vmcnt(6)
	v_pk_fma_f32 v[10:11], v[68:69], v[96:97], v[8:9] op_sel:[0,0,1] op_sel_hi:[1,1,0] neg_lo:[0,0,1] neg_hi:[0,0,1]
	v_pk_fma_f32 v[8:9], v[68:69], v[96:97], v[8:9] op_sel:[0,0,1] op_sel_hi:[1,0,0]
	s_waitcnt vmcnt(5)
	v_mov_b32_e32 v8, v99
	v_mov_b32_e32 v11, v9
	s_waitcnt lgkmcnt(1)
	v_pk_mul_f32 v[8:9], v[70:71], v[8:9] op_sel_hi:[1,0]
	v_pk_add_f32 v[4:5], v[4:5], v[10:11]
	;; [unrolled: 17-line block ×3, first 2 shown]
	s_waitcnt vmcnt(0)
	v_pk_fma_f32 v[10:11], v[2:3], v[102:103], v[8:9] op_sel:[0,0,1] op_sel_hi:[1,1,0] neg_lo:[0,0,1] neg_hi:[0,0,1]
	v_pk_fma_f32 v[2:3], v[2:3], v[102:103], v[8:9] op_sel:[0,0,1] op_sel_hi:[1,0,0]
	v_mov_b32_e32 v11, v3
	v_pk_add_f32 v[2:3], v[4:5], v[10:11]
	v_pk_add_f32 v[2:3], v[6:7], v[2:3] neg_lo:[0,1] neg_hi:[0,1]
	buffer_store_dword v3, off, s[0:3], 0 offset:20
	buffer_store_dword v2, off, s[0:3], 0 offset:16
	s_and_saveexec_b64 s[4:5], vcc
	s_cbranch_execz .LBB23_155
; %bb.154:
	buffer_load_dword v2, off, s[0:3], 0 offset:8
	buffer_load_dword v3, off, s[0:3], 0 offset:12
	s_waitcnt vmcnt(0)
	ds_write_b64 v1, v[2:3]
	buffer_store_dword v12, off, s[0:3], 0 offset:8
	buffer_store_dword v12, off, s[0:3], 0 offset:12
.LBB23_155:
	s_or_b64 exec, exec, s[4:5]
	s_waitcnt lgkmcnt(0)
	; wave barrier
	s_waitcnt lgkmcnt(0)
	buffer_load_dword v10, off, s[0:3], 0 offset:20
	buffer_load_dword v11, off, s[0:3], 0 offset:28
	;; [unrolled: 1-line block ×30, first 2 shown]
	ds_read_b128 v[2:5], v12 offset:208
	ds_read_b128 v[6:9], v12 offset:224
	;; [unrolled: 1-line block ×6, first 2 shown]
	buffer_load_dword v89, off, s[0:3], 0 offset:132
	buffer_load_dword v88, off, s[0:3], 0 offset:128
	ds_read_b128 v[78:81], v12 offset:304
	ds_read_b128 v[82:85], v12 offset:320
	buffer_load_dword v91, off, s[0:3], 0 offset:164
	buffer_load_dword v90, off, s[0:3], 0 offset:160
	buffer_load_dword v93, off, s[0:3], 0 offset:156
	buffer_load_dword v92, off, s[0:3], 0 offset:152
	buffer_load_dword v95, off, s[0:3], 0 offset:148
	buffer_load_dword v94, off, s[0:3], 0 offset:144
	buffer_load_dword v97, off, s[0:3], 0 offset:140
	buffer_load_dword v96, off, s[0:3], 0 offset:136
	buffer_load_dword v99, off, s[0:3], 0 offset:188
	buffer_load_dword v98, off, s[0:3], 0 offset:184
	buffer_load_dword v101, off, s[0:3], 0 offset:180
	buffer_load_dword v100, off, s[0:3], 0 offset:176
	buffer_load_dword v103, off, s[0:3], 0 offset:172
	buffer_load_dword v102, off, s[0:3], 0 offset:168
	v_cmp_ne_u32_e32 vcc, 0, v0
	s_waitcnt vmcnt(45) lgkmcnt(7)
	v_mul_f32_e32 v107, v2, v10
	s_waitcnt vmcnt(44)
	v_mul_f32_e32 v109, v4, v11
	s_waitcnt vmcnt(43) lgkmcnt(6)
	v_mul_f32_e32 v132, v6, v13
	s_waitcnt vmcnt(42)
	v_mul_f32_e32 v133, v8, v104
	;; [unrolled: 4-line block ×6, first 2 shown]
	s_waitcnt vmcnt(33) lgkmcnt(1)
	v_mul_f32_e32 v105, v78, v116
	s_waitcnt vmcnt(32)
	v_fmac_f32_e32 v107, v3, v117
	v_mul_f32_e32 v3, v3, v10
	v_fma_f32 v2, v2, v117, -v3
	v_mul_f32_e32 v3, v5, v11
	v_add_f32_e32 v2, 0, v2
	s_waitcnt vmcnt(31)
	v_fma_f32 v3, v4, v118, -v3
	v_add_f32_e32 v2, v2, v3
	v_mul_f32_e32 v3, v7, v13
	s_waitcnt vmcnt(30)
	v_fma_f32 v3, v6, v119, -v3
	v_add_f32_e32 v2, v2, v3
	v_mul_f32_e32 v3, v9, v104
	;; [unrolled: 4-line block ×5, first 2 shown]
	s_waitcnt vmcnt(26)
	v_fma_f32 v3, v66, v123, -v3
	v_fmac_f32_e32 v109, v5, v118
	v_add_f32_e32 v107, 0, v107
	v_add_f32_e32 v2, v2, v3
	v_mul_f32_e32 v3, v69, v111
	v_fmac_f32_e32 v132, v7, v119
	v_add_f32_e32 v107, v107, v109
	s_waitcnt vmcnt(25)
	v_fma_f32 v3, v68, v124, -v3
	v_fmac_f32_e32 v133, v9, v120
	v_add_f32_e32 v107, v107, v132
	v_add_f32_e32 v2, v2, v3
	v_mul_f32_e32 v3, v71, v112
	v_fmac_f32_e32 v134, v63, v121
	v_add_f32_e32 v107, v107, v133
	;; [unrolled: 8-line block ×5, first 2 shown]
	s_waitcnt vmcnt(21)
	v_fma_f32 v3, v76, v128, -v3
	s_waitcnt vmcnt(15)
	v_mov_b32_e32 v64, v89
	v_fmac_f32_e32 v141, v77, v128
	v_add_f32_e32 v107, v107, v140
	v_add_f32_e32 v106, v2, v3
	v_mul_f32_e32 v2, v79, v116
	s_waitcnt lgkmcnt(0)
	v_pk_mul_f32 v[64:65], v[82:83], v[64:65] op_sel_hi:[1,0]
	v_fmac_f32_e32 v105, v79, v129
	v_add_f32_e32 v107, v107, v141
	v_mul_f32_e32 v109, v80, v130
	v_fma_f32 v104, v78, v129, -v2
	v_mul_f32_e32 v2, v81, v130
	s_waitcnt vmcnt(14)
	v_pk_fma_f32 v[66:67], v[82:83], v[88:89], v[64:65] op_sel:[0,0,1] op_sel_hi:[1,1,0] neg_lo:[0,0,1] neg_hi:[0,0,1]
	v_pk_fma_f32 v[64:65], v[82:83], v[88:89], v[64:65] op_sel:[0,0,1] op_sel_hi:[1,0,0]
	v_fmac_f32_e32 v109, v81, v131
	v_fma_f32 v108, v80, v131, -v2
	v_pk_add_f32 v[62:63], v[106:107], v[104:105]
	s_waitcnt vmcnt(7)
	v_mov_b32_e32 v64, v97
	ds_read_b128 v[2:5], v12 offset:336
	ds_read_b128 v[6:9], v12 offset:352
	;; [unrolled: 1-line block ×3, first 2 shown]
	v_pk_add_f32 v[62:63], v[62:63], v[108:109]
	v_mov_b32_e32 v67, v65
	v_pk_mul_f32 v[64:65], v[84:85], v[64:65] op_sel_hi:[1,0]
	v_pk_add_f32 v[62:63], v[62:63], v[66:67]
	s_waitcnt vmcnt(6)
	v_pk_fma_f32 v[66:67], v[84:85], v[96:97], v[64:65] op_sel:[0,0,1] op_sel_hi:[1,1,0] neg_lo:[0,0,1] neg_hi:[0,0,1]
	v_pk_fma_f32 v[64:65], v[84:85], v[96:97], v[64:65] op_sel:[0,0,1] op_sel_hi:[1,0,0]
	v_mov_b32_e32 v64, v95
	v_mov_b32_e32 v67, v65
	s_waitcnt lgkmcnt(2)
	v_pk_mul_f32 v[64:65], v[2:3], v[64:65] op_sel_hi:[1,0]
	v_pk_add_f32 v[62:63], v[62:63], v[66:67]
	v_pk_fma_f32 v[66:67], v[2:3], v[94:95], v[64:65] op_sel:[0,0,1] op_sel_hi:[1,1,0] neg_lo:[0,0,1] neg_hi:[0,0,1]
	v_pk_fma_f32 v[2:3], v[2:3], v[94:95], v[64:65] op_sel:[0,0,1] op_sel_hi:[1,0,0]
	v_mov_b32_e32 v67, v3
	v_pk_add_f32 v[2:3], v[62:63], v[66:67]
	v_mov_b32_e32 v62, v93
	v_pk_mul_f32 v[62:63], v[4:5], v[62:63] op_sel_hi:[1,0]
	v_pk_fma_f32 v[64:65], v[4:5], v[92:93], v[62:63] op_sel:[0,0,1] op_sel_hi:[1,1,0] neg_lo:[0,0,1] neg_hi:[0,0,1]
	v_pk_fma_f32 v[4:5], v[4:5], v[92:93], v[62:63] op_sel:[0,0,1] op_sel_hi:[1,0,0]
	v_mov_b32_e32 v4, v91
	v_mov_b32_e32 v65, v5
	s_waitcnt lgkmcnt(1)
	v_pk_mul_f32 v[4:5], v[6:7], v[4:5] op_sel_hi:[1,0]
	v_pk_fma_f32 v[62:63], v[6:7], v[90:91], v[4:5] op_sel:[0,0,1] op_sel_hi:[1,1,0] neg_lo:[0,0,1] neg_hi:[0,0,1]
	v_pk_fma_f32 v[4:5], v[6:7], v[90:91], v[4:5] op_sel:[0,0,1] op_sel_hi:[1,0,0]
	s_waitcnt vmcnt(1)
	v_mov_b32_e32 v4, v103
	v_mov_b32_e32 v63, v5
	v_pk_mul_f32 v[4:5], v[8:9], v[4:5] op_sel_hi:[1,0]
	s_waitcnt vmcnt(0)
	v_pk_fma_f32 v[6:7], v[8:9], v[102:103], v[4:5] op_sel:[0,0,1] op_sel_hi:[1,1,0] neg_lo:[0,0,1] neg_hi:[0,0,1]
	v_pk_fma_f32 v[4:5], v[8:9], v[102:103], v[4:5] op_sel:[0,0,1] op_sel_hi:[1,0,0]
	v_pk_add_f32 v[2:3], v[2:3], v[64:65]
	v_mov_b32_e32 v4, v101
	v_pk_add_f32 v[2:3], v[2:3], v[62:63]
	v_mov_b32_e32 v7, v5
	s_waitcnt lgkmcnt(0)
	v_pk_mul_f32 v[4:5], v[10:11], v[4:5] op_sel_hi:[1,0]
	v_pk_add_f32 v[2:3], v[2:3], v[6:7]
	v_pk_fma_f32 v[6:7], v[10:11], v[100:101], v[4:5] op_sel:[0,0,1] op_sel_hi:[1,1,0] neg_lo:[0,0,1] neg_hi:[0,0,1]
	v_pk_fma_f32 v[4:5], v[10:11], v[100:101], v[4:5] op_sel:[0,0,1] op_sel_hi:[1,0,0]
	v_mov_b32_e32 v4, v99
	v_mov_b32_e32 v7, v5
	v_pk_mul_f32 v[4:5], v[12:13], v[4:5] op_sel_hi:[1,0]
	v_pk_add_f32 v[2:3], v[2:3], v[6:7]
	v_pk_fma_f32 v[6:7], v[12:13], v[98:99], v[4:5] op_sel:[0,0,1] op_sel_hi:[1,1,0] neg_lo:[0,0,1] neg_hi:[0,0,1]
	v_pk_fma_f32 v[4:5], v[12:13], v[98:99], v[4:5] op_sel:[0,0,1] op_sel_hi:[1,0,0]
	v_mov_b32_e32 v7, v5
	v_pk_add_f32 v[2:3], v[2:3], v[6:7]
	v_pk_add_f32 v[2:3], v[86:87], v[2:3] neg_lo:[0,1] neg_hi:[0,1]
	buffer_store_dword v3, off, s[0:3], 0 offset:12
	buffer_store_dword v2, off, s[0:3], 0 offset:8
	s_and_saveexec_b64 s[4:5], vcc
	s_cbranch_execz .LBB23_157
; %bb.156:
	buffer_load_dword v2, off, s[0:3], 0
	buffer_load_dword v3, off, s[0:3], 0 offset:4
	v_mov_b32_e32 v0, 0
	buffer_store_dword v0, off, s[0:3], 0
	buffer_store_dword v0, off, s[0:3], 0 offset:4
	s_waitcnt vmcnt(2)
	ds_write_b64 v1, v[2:3]
.LBB23_157:
	s_or_b64 exec, exec, s[4:5]
	s_waitcnt lgkmcnt(0)
	; wave barrier
	s_waitcnt lgkmcnt(0)
	buffer_load_dword v96, off, s[0:3], 0 offset:12
	buffer_load_dword v100, off, s[0:3], 0 offset:20
	;; [unrolled: 1-line block ×30, first 2 shown]
	buffer_load_dword v12, off, s[0:3], 0
	buffer_load_dword v13, off, s[0:3], 0 offset:4
	v_mov_b32_e32 v131, 0
	buffer_load_dword v83, off, s[0:3], 0 offset:156
	buffer_load_dword v82, off, s[0:3], 0 offset:152
	;; [unrolled: 1-line block ×13, first 2 shown]
	ds_read2_b64 v[0:3], v131 offset0:25 offset1:26
	ds_read2_b64 v[4:7], v131 offset0:27 offset1:28
	;; [unrolled: 1-line block ×8, first 2 shown]
	s_and_b64 vcc, exec, s[20:21]
	s_waitcnt vmcnt(44) lgkmcnt(7)
	v_mul_f32_e32 v90, v0, v96
	s_waitcnt vmcnt(43)
	v_mul_f32_e32 v97, v2, v100
	s_waitcnt vmcnt(42) lgkmcnt(6)
	v_mul_f32_e32 v98, v4, v102
	s_waitcnt vmcnt(41)
	v_mul_f32_e32 v99, v6, v104
	;; [unrolled: 4-line block ×6, first 2 shown]
	s_waitcnt vmcnt(32) lgkmcnt(1)
	v_mul_f32_e32 v138, v74, v113
	s_waitcnt vmcnt(31)
	v_fmac_f32_e32 v90, v1, v114
	s_waitcnt vmcnt(30)
	v_fmac_f32_e32 v97, v3, v115
	v_add_f32_e32 v90, 0, v90
	s_waitcnt vmcnt(29)
	v_fmac_f32_e32 v98, v5, v116
	v_add_f32_e32 v90, v90, v97
	;; [unrolled: 3-line block ×12, first 2 shown]
	v_add_f32_e32 v97, v90, v138
	buffer_load_dword v99, off, s[0:3], 0 offset:172
	buffer_load_dword v98, off, s[0:3], 0 offset:168
	;; [unrolled: 1-line block ×3, first 2 shown]
	v_mul_f32_e32 v1, v1, v96
	v_fma_f32 v0, v0, v114, -v1
	v_mul_f32_e32 v1, v3, v100
	v_add_f32_e32 v0, 0, v0
	v_fma_f32 v1, v2, v115, -v1
	v_add_f32_e32 v0, v0, v1
	v_mul_f32_e32 v1, v5, v102
	v_fma_f32 v1, v4, v116, -v1
	v_add_f32_e32 v0, v0, v1
	v_mul_f32_e32 v1, v7, v104
	;; [unrolled: 3-line block ×11, first 2 shown]
	v_fma_f32 v1, v74, v126, -v1
	v_add_f32_e32 v96, v0, v1
	s_waitcnt vmcnt(21)
	v_mul_f32_e32 v0, v77, v127
	s_waitcnt vmcnt(9)
	v_mov_b32_e32 v66, v89
	v_mul_f32_e32 v101, v76, v127
	v_fma_f32 v100, v76, v128, -v0
	s_waitcnt lgkmcnt(0)
	v_mul_f32_e32 v0, v79, v129
	v_pk_mul_f32 v[66:67], v[80:81], v[66:67] op_sel_hi:[1,0]
	v_fmac_f32_e32 v101, v77, v128
	v_mul_f32_e32 v103, v78, v129
	v_fma_f32 v102, v78, v130, -v0
	ds_read2_b64 v[0:3], v131 offset0:41 offset1:42
	ds_read2_b64 v[4:7], v131 offset0:43 offset1:44
	;; [unrolled: 1-line block ×3, first 2 shown]
	ds_read_b64 v[62:63], v131 offset:376
	s_waitcnt vmcnt(8)
	v_pk_fma_f32 v[68:69], v[80:81], v[88:89], v[66:67] op_sel:[0,0,1] op_sel_hi:[1,1,0] neg_lo:[0,0,1] neg_hi:[0,0,1]
	v_pk_fma_f32 v[66:67], v[80:81], v[88:89], v[66:67] op_sel:[0,0,1] op_sel_hi:[1,0,0]
	v_fmac_f32_e32 v103, v79, v130
	v_pk_add_f32 v[64:65], v[96:97], v[100:101]
	v_mov_b32_e32 v66, v87
	v_pk_add_f32 v[64:65], v[64:65], v[102:103]
	v_mov_b32_e32 v69, v67
	s_waitcnt lgkmcnt(3)
	v_pk_mul_f32 v[66:67], v[0:1], v[66:67] op_sel_hi:[1,0]
	v_pk_add_f32 v[64:65], v[64:65], v[68:69]
	v_pk_fma_f32 v[68:69], v[0:1], v[86:87], v[66:67] op_sel:[0,0,1] op_sel_hi:[1,1,0] neg_lo:[0,0,1] neg_hi:[0,0,1]
	v_pk_fma_f32 v[0:1], v[0:1], v[86:87], v[66:67] op_sel:[0,0,1] op_sel_hi:[1,0,0]
	v_mov_b32_e32 v69, v1
	v_pk_add_f32 v[0:1], v[64:65], v[68:69]
	v_mov_b32_e32 v64, v85
	v_pk_mul_f32 v[64:65], v[2:3], v[64:65] op_sel_hi:[1,0]
	v_pk_fma_f32 v[66:67], v[2:3], v[84:85], v[64:65] op_sel:[0,0,1] op_sel_hi:[1,1,0] neg_lo:[0,0,1] neg_hi:[0,0,1]
	v_pk_fma_f32 v[2:3], v[2:3], v[84:85], v[64:65] op_sel:[0,0,1] op_sel_hi:[1,0,0]
	v_mov_b32_e32 v2, v83
	v_mov_b32_e32 v67, v3
	s_waitcnt lgkmcnt(2)
	v_pk_mul_f32 v[2:3], v[4:5], v[2:3] op_sel_hi:[1,0]
	v_pk_fma_f32 v[64:65], v[4:5], v[82:83], v[2:3] op_sel:[0,0,1] op_sel_hi:[1,1,0] neg_lo:[0,0,1] neg_hi:[0,0,1]
	v_pk_fma_f32 v[2:3], v[4:5], v[82:83], v[2:3] op_sel:[0,0,1] op_sel_hi:[1,0,0]
	s_waitcnt vmcnt(7)
	v_mov_b32_e32 v2, v91
	v_mov_b32_e32 v65, v3
	v_pk_mul_f32 v[2:3], v[6:7], v[2:3] op_sel_hi:[1,0]
	v_pk_add_f32 v[0:1], v[0:1], v[66:67]
	v_pk_add_f32 v[0:1], v[0:1], v[64:65]
	s_waitcnt vmcnt(0)
	v_pk_fma_f32 v[4:5], v[6:7], v[90:91], v[2:3] op_sel:[0,0,1] op_sel_hi:[1,1,0] neg_lo:[0,0,1] neg_hi:[0,0,1]
	v_pk_fma_f32 v[2:3], v[6:7], v[90:91], v[2:3] op_sel:[0,0,1] op_sel_hi:[1,0,0]
	v_mov_b32_e32 v2, v99
	v_mov_b32_e32 v5, v3
	s_waitcnt lgkmcnt(1)
	v_pk_mul_f32 v[2:3], v[8:9], v[2:3] op_sel_hi:[1,0]
	v_pk_add_f32 v[0:1], v[0:1], v[4:5]
	v_pk_fma_f32 v[4:5], v[8:9], v[98:99], v[2:3] op_sel:[0,0,1] op_sel_hi:[1,1,0] neg_lo:[0,0,1] neg_hi:[0,0,1]
	v_pk_fma_f32 v[2:3], v[8:9], v[98:99], v[2:3] op_sel:[0,0,1] op_sel_hi:[1,0,0]
	v_mov_b32_e32 v2, v95
	v_mov_b32_e32 v5, v3
	v_pk_mul_f32 v[2:3], v[10:11], v[2:3] op_sel_hi:[1,0]
	v_pk_add_f32 v[0:1], v[0:1], v[4:5]
	v_pk_fma_f32 v[4:5], v[10:11], v[94:95], v[2:3] op_sel:[0,0,1] op_sel_hi:[1,1,0] neg_lo:[0,0,1] neg_hi:[0,0,1]
	v_pk_fma_f32 v[2:3], v[10:11], v[94:95], v[2:3] op_sel:[0,0,1] op_sel_hi:[1,0,0]
	v_mov_b32_e32 v2, v93
	v_mov_b32_e32 v5, v3
	s_waitcnt lgkmcnt(0)
	v_pk_mul_f32 v[2:3], v[62:63], v[2:3] op_sel_hi:[1,0]
	v_pk_add_f32 v[0:1], v[0:1], v[4:5]
	v_pk_fma_f32 v[4:5], v[62:63], v[92:93], v[2:3] op_sel:[0,0,1] op_sel_hi:[1,1,0] neg_lo:[0,0,1] neg_hi:[0,0,1]
	v_pk_fma_f32 v[2:3], v[62:63], v[92:93], v[2:3] op_sel:[0,0,1] op_sel_hi:[1,0,0]
	v_mov_b32_e32 v5, v3
	v_pk_add_f32 v[0:1], v[0:1], v[4:5]
	v_pk_add_f32 v[0:1], v[12:13], v[0:1] neg_lo:[0,1] neg_hi:[0,1]
	buffer_store_dword v1, off, s[0:3], 0 offset:4
	buffer_store_dword v0, off, s[0:3], 0
	s_cbranch_vccz .LBB23_205
; %bb.158:
	v_pk_mov_b32 v[0:1], s[10:11], s[10:11] op_sel:[0,1]
	flat_load_dword v0, v[0:1] offset:88
	s_waitcnt vmcnt(0) lgkmcnt(0)
	v_add_u32_e32 v0, -1, v0
	v_cmp_ne_u32_e32 vcc, 22, v0
	s_and_saveexec_b64 s[4:5], vcc
	s_cbranch_execz .LBB23_160
; %bb.159:
	v_mov_b32_e32 v1, 0
	v_lshl_add_u32 v0, v0, 3, v1
	buffer_load_dword v1, v0, s[0:3], 0 offen
	buffer_load_dword v2, v0, s[0:3], 0 offen offset:4
	buffer_load_dword v3, off, s[0:3], 0 offset:180
	buffer_load_dword v4, off, s[0:3], 0 offset:176
	s_waitcnt vmcnt(3)
	buffer_store_dword v1, off, s[0:3], 0 offset:176
	s_waitcnt vmcnt(3)
	buffer_store_dword v2, off, s[0:3], 0 offset:180
	s_waitcnt vmcnt(3)
	buffer_store_dword v3, v0, s[0:3], 0 offen offset:4
	s_waitcnt vmcnt(3)
	buffer_store_dword v4, v0, s[0:3], 0 offen
.LBB23_160:
	s_or_b64 exec, exec, s[4:5]
	v_pk_mov_b32 v[0:1], s[10:11], s[10:11] op_sel:[0,1]
	flat_load_dword v0, v[0:1] offset:84
	s_waitcnt vmcnt(0) lgkmcnt(0)
	v_add_u32_e32 v0, -1, v0
	v_cmp_ne_u32_e32 vcc, 21, v0
	s_and_saveexec_b64 s[4:5], vcc
	s_cbranch_execz .LBB23_162
; %bb.161:
	v_mov_b32_e32 v1, 0
	v_lshl_add_u32 v0, v0, 3, v1
	buffer_load_dword v1, v0, s[0:3], 0 offen
	buffer_load_dword v2, v0, s[0:3], 0 offen offset:4
	buffer_load_dword v3, off, s[0:3], 0 offset:168
	buffer_load_dword v4, off, s[0:3], 0 offset:172
	s_waitcnt vmcnt(3)
	buffer_store_dword v1, off, s[0:3], 0 offset:168
	s_waitcnt vmcnt(3)
	buffer_store_dword v2, off, s[0:3], 0 offset:172
	s_waitcnt vmcnt(3)
	buffer_store_dword v3, v0, s[0:3], 0 offen
	s_waitcnt vmcnt(3)
	buffer_store_dword v4, v0, s[0:3], 0 offen offset:4
.LBB23_162:
	s_or_b64 exec, exec, s[4:5]
	v_pk_mov_b32 v[0:1], s[10:11], s[10:11] op_sel:[0,1]
	flat_load_dword v0, v[0:1] offset:80
	s_waitcnt vmcnt(0) lgkmcnt(0)
	v_add_u32_e32 v0, -1, v0
	v_cmp_ne_u32_e32 vcc, 20, v0
	s_and_saveexec_b64 s[4:5], vcc
	s_cbranch_execz .LBB23_164
; %bb.163:
	v_mov_b32_e32 v1, 0
	v_lshl_add_u32 v0, v0, 3, v1
	buffer_load_dword v1, v0, s[0:3], 0 offen
	buffer_load_dword v2, v0, s[0:3], 0 offen offset:4
	buffer_load_dword v3, off, s[0:3], 0 offset:164
	buffer_load_dword v4, off, s[0:3], 0 offset:160
	s_waitcnt vmcnt(3)
	buffer_store_dword v1, off, s[0:3], 0 offset:160
	s_waitcnt vmcnt(3)
	buffer_store_dword v2, off, s[0:3], 0 offset:164
	s_waitcnt vmcnt(3)
	buffer_store_dword v3, v0, s[0:3], 0 offen offset:4
	s_waitcnt vmcnt(3)
	buffer_store_dword v4, v0, s[0:3], 0 offen
.LBB23_164:
	s_or_b64 exec, exec, s[4:5]
	v_pk_mov_b32 v[0:1], s[10:11], s[10:11] op_sel:[0,1]
	flat_load_dword v0, v[0:1] offset:76
	s_waitcnt vmcnt(0) lgkmcnt(0)
	v_add_u32_e32 v0, -1, v0
	v_cmp_ne_u32_e32 vcc, 19, v0
	s_and_saveexec_b64 s[4:5], vcc
	s_cbranch_execz .LBB23_166
; %bb.165:
	v_mov_b32_e32 v1, 0
	v_lshl_add_u32 v0, v0, 3, v1
	buffer_load_dword v1, v0, s[0:3], 0 offen
	buffer_load_dword v2, v0, s[0:3], 0 offen offset:4
	buffer_load_dword v3, off, s[0:3], 0 offset:152
	buffer_load_dword v4, off, s[0:3], 0 offset:156
	s_waitcnt vmcnt(3)
	buffer_store_dword v1, off, s[0:3], 0 offset:152
	s_waitcnt vmcnt(3)
	buffer_store_dword v2, off, s[0:3], 0 offset:156
	s_waitcnt vmcnt(3)
	buffer_store_dword v3, v0, s[0:3], 0 offen
	s_waitcnt vmcnt(3)
	buffer_store_dword v4, v0, s[0:3], 0 offen offset:4
.LBB23_166:
	s_or_b64 exec, exec, s[4:5]
	;; [unrolled: 48-line block ×11, first 2 shown]
	v_pk_mov_b32 v[0:1], s[10:11], s[10:11] op_sel:[0,1]
	flat_load_dword v2, v[0:1]
	s_nop 0
	buffer_load_dword v0, off, s[0:3], 0
	buffer_load_dword v1, off, s[0:3], 0 offset:4
	s_waitcnt vmcnt(0) lgkmcnt(0)
	v_add_u32_e32 v2, -1, v2
	v_cmp_ne_u32_e32 vcc, 0, v2
	s_and_saveexec_b64 s[4:5], vcc
	s_cbranch_execz .LBB23_204
; %bb.203:
	v_mov_b32_e32 v3, 0
	v_lshl_add_u32 v2, v2, 3, v3
	buffer_load_dword v3, v2, s[0:3], 0 offen offset:4
	buffer_load_dword v4, v2, s[0:3], 0 offen
	s_waitcnt vmcnt(1)
	buffer_store_dword v3, off, s[0:3], 0 offset:4
	s_waitcnt vmcnt(1)
	buffer_store_dword v4, off, s[0:3], 0
	buffer_store_dword v1, v2, s[0:3], 0 offen offset:4
	buffer_store_dword v0, v2, s[0:3], 0 offen
	buffer_load_dword v0, off, s[0:3], 0
	s_nop 0
	buffer_load_dword v1, off, s[0:3], 0 offset:4
.LBB23_204:
	s_or_b64 exec, exec, s[4:5]
.LBB23_205:
	buffer_load_dword v2, off, s[0:3], 0 offset:8
	buffer_load_dword v3, off, s[0:3], 0 offset:12
	;; [unrolled: 1-line block ×46, first 2 shown]
	s_waitcnt vmcnt(46)
	global_store_dwordx2 v[14:15], v[0:1], off
	s_waitcnt vmcnt(45)
	global_store_dwordx2 v[16:17], v[2:3], off
	;; [unrolled: 2-line block ×24, first 2 shown]
	s_endpgm
	.section	.rodata,"a",@progbits
	.p2align	6, 0x0
	.amdhsa_kernel _ZN9rocsolver6v33100L18getri_kernel_smallILi24E19rocblas_complex_numIfEPS3_EEvT1_iilPiilS6_bb
		.amdhsa_group_segment_fixed_size 388
		.amdhsa_private_segment_fixed_size 208
		.amdhsa_kernarg_size 60
		.amdhsa_user_sgpr_count 8
		.amdhsa_user_sgpr_private_segment_buffer 1
		.amdhsa_user_sgpr_dispatch_ptr 0
		.amdhsa_user_sgpr_queue_ptr 0
		.amdhsa_user_sgpr_kernarg_segment_ptr 1
		.amdhsa_user_sgpr_dispatch_id 0
		.amdhsa_user_sgpr_flat_scratch_init 1
		.amdhsa_user_sgpr_kernarg_preload_length 0
		.amdhsa_user_sgpr_kernarg_preload_offset 0
		.amdhsa_user_sgpr_private_segment_size 0
		.amdhsa_uses_dynamic_stack 0
		.amdhsa_system_sgpr_private_segment_wavefront_offset 1
		.amdhsa_system_sgpr_workgroup_id_x 1
		.amdhsa_system_sgpr_workgroup_id_y 0
		.amdhsa_system_sgpr_workgroup_id_z 0
		.amdhsa_system_sgpr_workgroup_info 0
		.amdhsa_system_vgpr_workitem_id 0
		.amdhsa_next_free_vgpr 142
		.amdhsa_next_free_sgpr 23
		.amdhsa_accum_offset 144
		.amdhsa_reserve_vcc 1
		.amdhsa_reserve_flat_scratch 1
		.amdhsa_float_round_mode_32 0
		.amdhsa_float_round_mode_16_64 0
		.amdhsa_float_denorm_mode_32 3
		.amdhsa_float_denorm_mode_16_64 3
		.amdhsa_dx10_clamp 1
		.amdhsa_ieee_mode 1
		.amdhsa_fp16_overflow 0
		.amdhsa_tg_split 0
		.amdhsa_exception_fp_ieee_invalid_op 0
		.amdhsa_exception_fp_denorm_src 0
		.amdhsa_exception_fp_ieee_div_zero 0
		.amdhsa_exception_fp_ieee_overflow 0
		.amdhsa_exception_fp_ieee_underflow 0
		.amdhsa_exception_fp_ieee_inexact 0
		.amdhsa_exception_int_div_zero 0
	.end_amdhsa_kernel
	.section	.text._ZN9rocsolver6v33100L18getri_kernel_smallILi24E19rocblas_complex_numIfEPS3_EEvT1_iilPiilS6_bb,"axG",@progbits,_ZN9rocsolver6v33100L18getri_kernel_smallILi24E19rocblas_complex_numIfEPS3_EEvT1_iilPiilS6_bb,comdat
.Lfunc_end23:
	.size	_ZN9rocsolver6v33100L18getri_kernel_smallILi24E19rocblas_complex_numIfEPS3_EEvT1_iilPiilS6_bb, .Lfunc_end23-_ZN9rocsolver6v33100L18getri_kernel_smallILi24E19rocblas_complex_numIfEPS3_EEvT1_iilPiilS6_bb
                                        ; -- End function
	.section	.AMDGPU.csdata,"",@progbits
; Kernel info:
; codeLenInByte = 30832
; NumSgprs: 29
; NumVgprs: 142
; NumAgprs: 0
; TotalNumVgprs: 142
; ScratchSize: 208
; MemoryBound: 0
; FloatMode: 240
; IeeeMode: 1
; LDSByteSize: 388 bytes/workgroup (compile time only)
; SGPRBlocks: 3
; VGPRBlocks: 17
; NumSGPRsForWavesPerEU: 29
; NumVGPRsForWavesPerEU: 142
; AccumOffset: 144
; Occupancy: 3
; WaveLimiterHint : 1
; COMPUTE_PGM_RSRC2:SCRATCH_EN: 1
; COMPUTE_PGM_RSRC2:USER_SGPR: 8
; COMPUTE_PGM_RSRC2:TRAP_HANDLER: 0
; COMPUTE_PGM_RSRC2:TGID_X_EN: 1
; COMPUTE_PGM_RSRC2:TGID_Y_EN: 0
; COMPUTE_PGM_RSRC2:TGID_Z_EN: 0
; COMPUTE_PGM_RSRC2:TIDIG_COMP_CNT: 0
; COMPUTE_PGM_RSRC3_GFX90A:ACCUM_OFFSET: 35
; COMPUTE_PGM_RSRC3_GFX90A:TG_SPLIT: 0
	.section	.text._ZN9rocsolver6v33100L18getri_kernel_smallILi25E19rocblas_complex_numIfEPS3_EEvT1_iilPiilS6_bb,"axG",@progbits,_ZN9rocsolver6v33100L18getri_kernel_smallILi25E19rocblas_complex_numIfEPS3_EEvT1_iilPiilS6_bb,comdat
	.globl	_ZN9rocsolver6v33100L18getri_kernel_smallILi25E19rocblas_complex_numIfEPS3_EEvT1_iilPiilS6_bb ; -- Begin function _ZN9rocsolver6v33100L18getri_kernel_smallILi25E19rocblas_complex_numIfEPS3_EEvT1_iilPiilS6_bb
	.p2align	8
	.type	_ZN9rocsolver6v33100L18getri_kernel_smallILi25E19rocblas_complex_numIfEPS3_EEvT1_iilPiilS6_bb,@function
_ZN9rocsolver6v33100L18getri_kernel_smallILi25E19rocblas_complex_numIfEPS3_EEvT1_iilPiilS6_bb: ; @_ZN9rocsolver6v33100L18getri_kernel_smallILi25E19rocblas_complex_numIfEPS3_EEvT1_iilPiilS6_bb
; %bb.0:
	s_add_u32 flat_scratch_lo, s6, s9
	s_addc_u32 flat_scratch_hi, s7, 0
	s_add_u32 s0, s0, s9
	s_addc_u32 s1, s1, 0
	v_cmp_gt_u32_e32 vcc, 25, v0
	s_and_saveexec_b64 s[6:7], vcc
	s_cbranch_execz .LBB24_114
; %bb.1:
	s_load_dword s22, s[4:5], 0x38
	s_load_dwordx4 s[16:19], s[4:5], 0x10
	s_load_dwordx4 s[12:15], s[4:5], 0x28
                                        ; implicit-def: $sgpr10_sgpr11
	s_waitcnt lgkmcnt(0)
	s_bitcmp1_b32 s22, 8
	s_cselect_b64 s[20:21], -1, 0
	s_ashr_i32 s9, s8, 31
	s_bfe_u32 s6, s22, 0x10008
	s_cmp_eq_u32 s6, 0
	s_cbranch_scc1 .LBB24_3
; %bb.2:
	s_load_dword s6, s[4:5], 0x20
	s_mul_i32 s7, s8, s13
	s_mul_hi_u32 s10, s8, s12
	s_mul_i32 s11, s9, s12
	s_add_i32 s10, s10, s7
	s_add_i32 s11, s10, s11
	s_mul_i32 s10, s8, s12
	s_waitcnt lgkmcnt(0)
	s_ashr_i32 s7, s6, 31
	s_lshl_b64 s[10:11], s[10:11], 2
	s_add_u32 s10, s18, s10
	s_addc_u32 s11, s19, s11
	s_lshl_b64 s[6:7], s[6:7], 2
	s_add_u32 s10, s10, s6
	s_addc_u32 s11, s11, s7
.LBB24_3:
	s_load_dwordx4 s[4:7], s[4:5], 0x0
	s_mul_i32 s12, s8, s17
	s_mul_hi_u32 s13, s8, s16
	s_add_i32 s17, s13, s12
	v_lshlrev_b32_e32 v70, 3, v0
	s_waitcnt lgkmcnt(0)
	s_ashr_i32 s13, s6, 31
	s_mov_b32 s12, s6
	s_mul_i32 s6, s9, s16
	s_add_i32 s17, s17, s6
	s_mul_i32 s16, s8, s16
	s_lshl_b64 s[16:17], s[16:17], 3
	s_add_u32 s6, s4, s16
	s_addc_u32 s16, s5, s17
	s_lshl_b64 s[4:5], s[12:13], 3
	s_add_u32 s4, s6, s4
	s_addc_u32 s5, s16, s5
	v_mov_b32_e32 v1, s5
	v_add_co_u32_e32 v10, vcc, s4, v70
	s_ashr_i32 s13, s7, 31
	s_mov_b32 s12, s7
	s_add_i32 s6, s7, s7
	v_addc_co_u32_e32 v11, vcc, 0, v1, vcc
	s_lshl_b64 s[12:13], s[12:13], 3
	v_add_u32_e32 v4, s6, v0
	v_mov_b32_e32 v1, s13
	v_add_co_u32_e32 v12, vcc, s12, v10
	v_ashrrev_i32_e32 v5, 31, v4
	v_addc_co_u32_e32 v13, vcc, v11, v1, vcc
	v_lshlrev_b64 v[6:7], 3, v[4:5]
	v_add_u32_e32 v4, s7, v4
	v_mov_b32_e32 v1, s5
	v_add_co_u32_e32 v14, vcc, s4, v6
	v_ashrrev_i32_e32 v5, 31, v4
	v_addc_co_u32_e32 v15, vcc, v1, v7, vcc
	v_lshlrev_b64 v[6:7], 3, v[4:5]
	v_add_u32_e32 v20, s7, v4
	v_add_co_u32_e32 v16, vcc, s4, v6
	v_ashrrev_i32_e32 v21, 31, v20
	v_addc_co_u32_e32 v17, vcc, v1, v7, vcc
	v_lshlrev_b64 v[4:5], 3, v[20:21]
	v_add_u32_e32 v22, s7, v20
	;; [unrolled: 5-line block ×20, first 2 shown]
	v_add_co_u32_e32 v54, vcc, s4, v54
	v_ashrrev_i32_e32 v59, 31, v58
	v_addc_co_u32_e32 v55, vcc, v1, v55, vcc
	v_lshlrev_b64 v[56:57], 3, v[58:59]
	v_add_co_u32_e32 v56, vcc, s4, v56
	global_load_dwordx2 v[2:3], v70, s[4:5]
	global_load_dwordx2 v[60:61], v[12:13], off
	global_load_dwordx2 v[6:7], v[14:15], off
	;; [unrolled: 1-line block ×20, first 2 shown]
	v_addc_co_u32_e32 v57, vcc, v1, v57, vcc
	global_load_dwordx2 v[96:97], v[52:53], off
	global_load_dwordx2 v[98:99], v[54:55], off
	global_load_dwordx2 v[100:101], v[56:57], off
	v_add_u32_e32 v58, s7, v58
	v_ashrrev_i32_e32 v59, 31, v58
	v_lshlrev_b64 v[58:59], 3, v[58:59]
	v_add_co_u32_e32 v58, vcc, s4, v58
	v_addc_co_u32_e32 v59, vcc, v1, v59, vcc
	global_load_dwordx2 v[102:103], v[58:59], off
	s_bitcmp0_b32 s22, 0
	s_mov_b64 s[6:7], -1
	s_waitcnt vmcnt(24)
	buffer_store_dword v3, off, s[0:3], 0 offset:4
	buffer_store_dword v2, off, s[0:3], 0
	s_waitcnt vmcnt(25)
	buffer_store_dword v61, off, s[0:3], 0 offset:12
	buffer_store_dword v60, off, s[0:3], 0 offset:8
	s_waitcnt vmcnt(26)
	buffer_store_dword v7, off, s[0:3], 0 offset:20
	buffer_store_dword v6, off, s[0:3], 0 offset:16
	;; [unrolled: 3-line block ×24, first 2 shown]
	s_cbranch_scc1 .LBB24_112
; %bb.4:
	v_cmp_eq_u32_e64 s[4:5], 0, v0
	s_and_saveexec_b64 s[6:7], s[4:5]
	s_cbranch_execz .LBB24_6
; %bb.5:
	v_mov_b32_e32 v1, 0
	ds_write_b32 v1, v1 offset:200
.LBB24_6:
	s_or_b64 exec, exec, s[6:7]
	v_mov_b32_e32 v1, 0
	v_lshl_add_u32 v6, v0, 3, v1
	s_waitcnt lgkmcnt(0)
	; wave barrier
	s_waitcnt lgkmcnt(0)
	buffer_load_dword v1, v6, s[0:3], 0 offen
	buffer_load_dword v2, v6, s[0:3], 0 offen offset:4
	s_waitcnt vmcnt(1)
	v_cmp_eq_f32_e32 vcc, 0, v1
	s_waitcnt vmcnt(0)
	v_cmp_eq_f32_e64 s[6:7], 0, v2
	s_and_b64 s[6:7], vcc, s[6:7]
	s_and_saveexec_b64 s[12:13], s[6:7]
	s_cbranch_execz .LBB24_10
; %bb.7:
	v_mov_b32_e32 v1, 0
	ds_read_b32 v3, v1 offset:200
	v_add_u32_e32 v2, 1, v0
	s_waitcnt lgkmcnt(0)
	v_readfirstlane_b32 s6, v3
	s_cmp_eq_u32 s6, 0
	s_cselect_b64 s[16:17], -1, 0
	v_cmp_gt_i32_e32 vcc, s6, v2
	s_or_b64 s[16:17], s[16:17], vcc
	s_and_b64 exec, exec, s[16:17]
	s_cbranch_execz .LBB24_10
; %bb.8:
	s_mov_b64 s[16:17], 0
	v_mov_b32_e32 v3, s6
.LBB24_9:                               ; =>This Inner Loop Header: Depth=1
	ds_cmpst_rtn_b32 v3, v1, v3, v2 offset:200
	s_waitcnt lgkmcnt(0)
	v_cmp_ne_u32_e32 vcc, 0, v3
	v_cmp_le_i32_e64 s[6:7], v3, v2
	s_and_b64 s[6:7], vcc, s[6:7]
	s_and_b64 s[6:7], exec, s[6:7]
	s_or_b64 s[16:17], s[6:7], s[16:17]
	s_andn2_b64 exec, exec, s[16:17]
	s_cbranch_execnz .LBB24_9
.LBB24_10:
	s_or_b64 exec, exec, s[12:13]
	v_mov_b32_e32 v2, 0
	s_waitcnt lgkmcnt(0)
	; wave barrier
	ds_read_b32 v1, v2 offset:200
	s_and_saveexec_b64 s[6:7], s[4:5]
	s_cbranch_execz .LBB24_12
; %bb.11:
	s_lshl_b64 s[12:13], s[8:9], 2
	s_add_u32 s12, s14, s12
	s_addc_u32 s13, s15, s13
	s_waitcnt lgkmcnt(0)
	global_store_dword v2, v1, s[12:13]
.LBB24_12:
	s_or_b64 exec, exec, s[6:7]
	s_waitcnt lgkmcnt(0)
	v_cmp_ne_u32_e32 vcc, 0, v1
	s_mov_b64 s[6:7], 0
	s_cbranch_vccnz .LBB24_112
; %bb.13:
	buffer_load_dword v7, v6, s[0:3], 0 offen offset:4
	buffer_load_dword v3, v6, s[0:3], 0 offen
	s_waitcnt vmcnt(1)
	v_cmp_gt_f32_e32 vcc, 0, v7
	v_cndmask_b32_e64 v1, v7, -v7, vcc
	s_waitcnt vmcnt(0)
	v_cmp_gt_f32_e32 vcc, 0, v3
	v_cndmask_b32_e64 v2, v3, -v3, vcc
	v_cmp_ngt_f32_e32 vcc, v2, v1
                                        ; implicit-def: $vgpr1
                                        ; implicit-def: $vgpr2
	s_and_saveexec_b64 s[6:7], vcc
	s_xor_b64 s[6:7], exec, s[6:7]
                                        ; implicit-def: $vgpr4_vgpr5
	s_cbranch_execz .LBB24_15
; %bb.14:
	v_div_scale_f32 v1, s[12:13], v7, v7, v3
	v_rcp_f32_e32 v2, v1
	v_div_scale_f32 v4, vcc, v3, v7, v3
	v_fma_f32 v5, -v1, v2, 1.0
	v_fmac_f32_e32 v2, v5, v2
	v_mul_f32_e32 v5, v4, v2
	v_fma_f32 v8, -v1, v5, v4
	v_fmac_f32_e32 v5, v8, v2
	v_fma_f32 v1, -v1, v5, v4
	v_div_fmas_f32 v1, v1, v2, v5
	v_div_fixup_f32 v2, v1, v7, v3
	v_fmac_f32_e32 v7, v3, v2
	v_div_scale_f32 v1, s[12:13], v7, v7, -1.0
	v_rcp_f32_e32 v3, v1
	v_fma_f32 v4, -v1, v3, 1.0
	v_fmac_f32_e32 v3, v4, v3
	v_div_scale_f32 v4, vcc, -1.0, v7, -1.0
	v_mul_f32_e32 v5, v4, v3
	v_fma_f32 v8, -v1, v5, v4
	v_fmac_f32_e32 v5, v8, v3
	v_fma_f32 v1, -v1, v5, v4
	v_div_fmas_f32 v1, v1, v3, v5
	v_div_fixup_f32 v1, v1, v7, -1.0
	v_mul_f32_e32 v2, v2, v1
	v_xor_b32_e32 v4, 0x80000000, v2
                                        ; implicit-def: $vgpr3
                                        ; implicit-def: $vgpr7
.LBB24_15:
	s_andn2_saveexec_b64 s[6:7], s[6:7]
	s_cbranch_execz .LBB24_17
; %bb.16:
	v_div_scale_f32 v1, s[12:13], v3, v3, v7
	v_rcp_f32_e32 v2, v1
	v_div_scale_f32 v4, vcc, v7, v3, v7
	v_fma_f32 v5, -v1, v2, 1.0
	v_fmac_f32_e32 v2, v5, v2
	v_mul_f32_e32 v5, v4, v2
	v_fma_f32 v8, -v1, v5, v4
	v_fmac_f32_e32 v5, v8, v2
	v_fma_f32 v1, -v1, v5, v4
	v_div_fmas_f32 v1, v1, v2, v5
	v_div_fixup_f32 v1, v1, v3, v7
	v_fmac_f32_e32 v3, v7, v1
	v_div_scale_f32 v2, s[12:13], v3, v3, 1.0
	v_rcp_f32_e32 v4, v2
	v_fma_f32 v5, -v2, v4, 1.0
	v_fmac_f32_e32 v4, v5, v4
	v_div_scale_f32 v5, vcc, 1.0, v3, 1.0
	v_mul_f32_e32 v7, v5, v4
	v_fma_f32 v8, -v2, v7, v5
	v_fmac_f32_e32 v7, v8, v4
	v_fma_f32 v2, -v2, v7, v5
	v_div_fmas_f32 v2, v2, v4, v7
	v_div_fixup_f32 v4, v2, v3, 1.0
	v_xor_b32_e32 v2, 0x80000000, v4
	v_mul_f32_e64 v1, v1, -v4
.LBB24_17:
	s_or_b64 exec, exec, s[6:7]
	buffer_store_dword v1, v6, s[0:3], 0 offen offset:4
	buffer_store_dword v4, v6, s[0:3], 0 offen
	buffer_load_dword v5, off, s[0:3], 0 offset:12
	s_nop 0
	buffer_load_dword v4, off, s[0:3], 0 offset:8
	v_xor_b32_e32 v3, 0x80000000, v1
	v_add_u32_e32 v1, 0xd0, v70
	s_waitcnt vmcnt(0)
	ds_write2_b64 v70, v[2:3], v[4:5] offset1:26
	s_waitcnt lgkmcnt(0)
	; wave barrier
	s_waitcnt lgkmcnt(0)
	s_and_saveexec_b64 s[6:7], s[4:5]
	s_cbranch_execz .LBB24_19
; %bb.18:
	buffer_load_dword v7, v6, s[0:3], 0 offen offset:4
	buffer_load_dword v8, v6, s[0:3], 0 offen
	ds_read_b64 v[2:3], v1
	v_mov_b32_e32 v4, 0
	ds_read_b64 v[4:5], v4 offset:8
	s_waitcnt vmcnt(1) lgkmcnt(1)
	v_mul_f32_e32 v9, v3, v7
	v_mul_f32_e32 v7, v2, v7
	s_waitcnt vmcnt(0)
	v_fmac_f32_e32 v7, v3, v8
	v_fma_f32 v2, v2, v8, -v9
	v_add_f32_e32 v3, 0, v7
	v_add_f32_e32 v2, 0, v2
	s_waitcnt lgkmcnt(0)
	v_mul_f32_e32 v7, v3, v5
	v_mul_f32_e32 v5, v2, v5
	v_fma_f32 v2, v2, v4, -v7
	v_fmac_f32_e32 v5, v3, v4
	buffer_store_dword v2, off, s[0:3], 0 offset:8
	buffer_store_dword v5, off, s[0:3], 0 offset:12
.LBB24_19:
	s_or_b64 exec, exec, s[6:7]
	s_waitcnt lgkmcnt(0)
	; wave barrier
	buffer_load_dword v2, off, s[0:3], 0 offset:16
	buffer_load_dword v3, off, s[0:3], 0 offset:20
	v_cmp_gt_u32_e32 vcc, 2, v0
	s_waitcnt vmcnt(0)
	ds_write_b64 v1, v[2:3]
	s_waitcnt lgkmcnt(0)
	; wave barrier
	s_waitcnt lgkmcnt(0)
	s_and_saveexec_b64 s[6:7], vcc
	s_cbranch_execz .LBB24_23
; %bb.20:
	buffer_load_dword v4, v6, s[0:3], 0 offen offset:4
	buffer_load_dword v5, v6, s[0:3], 0 offen
	ds_read_b64 v[2:3], v1
	s_waitcnt vmcnt(1) lgkmcnt(0)
	v_mul_f32_e32 v6, v3, v4
	v_mul_f32_e32 v4, v2, v4
	s_waitcnt vmcnt(0)
	v_fma_f32 v2, v2, v5, -v6
	v_fmac_f32_e32 v4, v3, v5
	v_add_f32_e32 v3, 0, v2
	v_add_f32_e32 v2, 0, v4
	s_and_saveexec_b64 s[12:13], s[4:5]
	s_cbranch_execz .LBB24_22
; %bb.21:
	buffer_load_dword v6, off, s[0:3], 0 offset:12
	buffer_load_dword v7, off, s[0:3], 0 offset:8
	v_mov_b32_e32 v4, 0
	ds_read_b64 v[4:5], v4 offset:216
	s_waitcnt vmcnt(1) lgkmcnt(0)
	v_mul_f32_e32 v8, v4, v6
	v_mul_f32_e32 v6, v5, v6
	s_waitcnt vmcnt(0)
	v_fmac_f32_e32 v8, v5, v7
	v_fma_f32 v4, v4, v7, -v6
	v_add_f32_e32 v2, v2, v8
	v_add_f32_e32 v3, v3, v4
.LBB24_22:
	s_or_b64 exec, exec, s[12:13]
	v_mov_b32_e32 v4, 0
	ds_read_b64 v[4:5], v4 offset:16
	s_waitcnt lgkmcnt(0)
	v_mul_f32_e32 v6, v2, v5
	v_mul_f32_e32 v5, v3, v5
	v_fma_f32 v3, v3, v4, -v6
	v_fmac_f32_e32 v5, v2, v4
	buffer_store_dword v3, off, s[0:3], 0 offset:16
	buffer_store_dword v5, off, s[0:3], 0 offset:20
.LBB24_23:
	s_or_b64 exec, exec, s[6:7]
	s_waitcnt lgkmcnt(0)
	; wave barrier
	buffer_load_dword v2, off, s[0:3], 0 offset:24
	buffer_load_dword v3, off, s[0:3], 0 offset:28
	v_cmp_gt_u32_e32 vcc, 3, v0
	s_waitcnt vmcnt(0)
	ds_write_b64 v1, v[2:3]
	v_add_u32_e32 v2, -1, v0
	s_waitcnt lgkmcnt(0)
	; wave barrier
	s_waitcnt lgkmcnt(0)
	s_and_saveexec_b64 s[4:5], vcc
	s_cbranch_execz .LBB24_27
; %bb.24:
	v_add_u32_e32 v4, -1, v0
	v_add_u32_e32 v5, 0xd0, v70
	v_add_u32_e32 v6, 0, v70
	s_mov_b64 s[6:7], 0
	v_mov_b32_e32 v3, 0
	v_mov_b32_e32 v7, 0
.LBB24_25:                              ; =>This Inner Loop Header: Depth=1
	buffer_load_dword v60, v6, s[0:3], 0 offen offset:4
	buffer_load_dword v61, v6, s[0:3], 0 offen
	ds_read_b64 v[8:9], v5
	v_add_u32_e32 v4, 1, v4
	v_cmp_lt_u32_e32 vcc, 1, v4
	v_add_u32_e32 v5, 8, v5
	v_add_u32_e32 v6, 8, v6
	s_or_b64 s[6:7], vcc, s[6:7]
	s_waitcnt vmcnt(1) lgkmcnt(0)
	v_mul_f32_e32 v62, v9, v60
	v_mul_f32_e32 v60, v8, v60
	s_waitcnt vmcnt(0)
	v_fma_f32 v8, v8, v61, -v62
	v_fmac_f32_e32 v60, v9, v61
	v_add_f32_e32 v7, v7, v8
	v_add_f32_e32 v3, v3, v60
	s_andn2_b64 exec, exec, s[6:7]
	s_cbranch_execnz .LBB24_25
; %bb.26:
	s_or_b64 exec, exec, s[6:7]
	v_mov_b32_e32 v4, 0
	ds_read_b64 v[4:5], v4 offset:24
	s_waitcnt lgkmcnt(0)
	v_mul_f32_e32 v6, v3, v5
	v_mul_f32_e32 v5, v7, v5
	v_fma_f32 v6, v7, v4, -v6
	v_fmac_f32_e32 v5, v3, v4
	buffer_store_dword v6, off, s[0:3], 0 offset:24
	buffer_store_dword v5, off, s[0:3], 0 offset:28
.LBB24_27:
	s_or_b64 exec, exec, s[4:5]
	s_waitcnt lgkmcnt(0)
	; wave barrier
	buffer_load_dword v4, off, s[0:3], 0 offset:32
	buffer_load_dword v5, off, s[0:3], 0 offset:36
	v_cmp_gt_u32_e32 vcc, 4, v0
	s_waitcnt vmcnt(0)
	ds_write_b64 v1, v[4:5]
	s_waitcnt lgkmcnt(0)
	; wave barrier
	s_waitcnt lgkmcnt(0)
	s_and_saveexec_b64 s[4:5], vcc
	s_cbranch_execz .LBB24_31
; %bb.28:
	v_add_u32_e32 v4, -1, v0
	v_add_u32_e32 v5, 0xd0, v70
	v_add_u32_e32 v6, 0, v70
	s_mov_b64 s[6:7], 0
	v_mov_b32_e32 v3, 0
	v_mov_b32_e32 v7, 0
.LBB24_29:                              ; =>This Inner Loop Header: Depth=1
	buffer_load_dword v60, v6, s[0:3], 0 offen offset:4
	buffer_load_dword v61, v6, s[0:3], 0 offen
	ds_read_b64 v[8:9], v5
	v_add_u32_e32 v4, 1, v4
	v_cmp_lt_u32_e32 vcc, 2, v4
	v_add_u32_e32 v5, 8, v5
	v_add_u32_e32 v6, 8, v6
	s_or_b64 s[6:7], vcc, s[6:7]
	s_waitcnt vmcnt(1) lgkmcnt(0)
	v_mul_f32_e32 v62, v9, v60
	v_mul_f32_e32 v60, v8, v60
	s_waitcnt vmcnt(0)
	v_fma_f32 v8, v8, v61, -v62
	v_fmac_f32_e32 v60, v9, v61
	v_add_f32_e32 v7, v7, v8
	v_add_f32_e32 v3, v3, v60
	s_andn2_b64 exec, exec, s[6:7]
	s_cbranch_execnz .LBB24_29
; %bb.30:
	s_or_b64 exec, exec, s[6:7]
	v_mov_b32_e32 v4, 0
	ds_read_b64 v[4:5], v4 offset:32
	s_waitcnt lgkmcnt(0)
	v_mul_f32_e32 v6, v3, v5
	v_mul_f32_e32 v5, v7, v5
	v_fma_f32 v6, v7, v4, -v6
	v_fmac_f32_e32 v5, v3, v4
	buffer_store_dword v6, off, s[0:3], 0 offset:32
	buffer_store_dword v5, off, s[0:3], 0 offset:36
.LBB24_31:
	s_or_b64 exec, exec, s[4:5]
	s_waitcnt lgkmcnt(0)
	; wave barrier
	buffer_load_dword v4, off, s[0:3], 0 offset:40
	buffer_load_dword v5, off, s[0:3], 0 offset:44
	v_cmp_gt_u32_e32 vcc, 5, v0
	s_waitcnt vmcnt(0)
	ds_write_b64 v1, v[4:5]
	;; [unrolled: 51-line block ×19, first 2 shown]
	s_waitcnt lgkmcnt(0)
	; wave barrier
	s_waitcnt lgkmcnt(0)
	s_and_saveexec_b64 s[4:5], vcc
	s_cbranch_execz .LBB24_103
; %bb.100:
	v_add_u32_e32 v4, -1, v0
	v_add_u32_e32 v5, 0xd0, v70
	v_add_u32_e32 v6, 0, v70
	s_mov_b64 s[6:7], 0
	v_mov_b32_e32 v3, 0
	v_mov_b32_e32 v7, 0
.LBB24_101:                             ; =>This Inner Loop Header: Depth=1
	buffer_load_dword v60, v6, s[0:3], 0 offen offset:4
	buffer_load_dword v61, v6, s[0:3], 0 offen
	ds_read_b64 v[8:9], v5
	v_add_u32_e32 v4, 1, v4
	v_cmp_lt_u32_e32 vcc, 20, v4
	v_add_u32_e32 v5, 8, v5
	v_add_u32_e32 v6, 8, v6
	s_or_b64 s[6:7], vcc, s[6:7]
	s_waitcnt vmcnt(1) lgkmcnt(0)
	v_mul_f32_e32 v62, v9, v60
	v_mul_f32_e32 v60, v8, v60
	s_waitcnt vmcnt(0)
	v_fma_f32 v8, v8, v61, -v62
	v_fmac_f32_e32 v60, v9, v61
	v_add_f32_e32 v7, v7, v8
	v_add_f32_e32 v3, v3, v60
	s_andn2_b64 exec, exec, s[6:7]
	s_cbranch_execnz .LBB24_101
; %bb.102:
	s_or_b64 exec, exec, s[6:7]
	v_mov_b32_e32 v4, 0
	ds_read_b64 v[4:5], v4 offset:176
	s_waitcnt lgkmcnt(0)
	v_mul_f32_e32 v6, v3, v5
	v_mul_f32_e32 v5, v7, v5
	v_fma_f32 v6, v7, v4, -v6
	v_fmac_f32_e32 v5, v3, v4
	buffer_store_dword v6, off, s[0:3], 0 offset:176
	buffer_store_dword v5, off, s[0:3], 0 offset:180
.LBB24_103:
	s_or_b64 exec, exec, s[4:5]
	s_waitcnt lgkmcnt(0)
	; wave barrier
	buffer_load_dword v4, off, s[0:3], 0 offset:184
	buffer_load_dword v5, off, s[0:3], 0 offset:188
	v_cmp_gt_u32_e32 vcc, 23, v0
	s_waitcnt vmcnt(0)
	ds_write_b64 v1, v[4:5]
	s_waitcnt lgkmcnt(0)
	; wave barrier
	s_waitcnt lgkmcnt(0)
	s_and_saveexec_b64 s[4:5], vcc
	s_cbranch_execz .LBB24_107
; %bb.104:
	v_add_u32_e32 v4, -1, v0
	v_add_u32_e32 v5, 0xd0, v70
	v_add_u32_e32 v6, 0, v70
	s_mov_b64 s[6:7], 0
	v_mov_b32_e32 v3, 0
	v_mov_b32_e32 v7, 0
.LBB24_105:                             ; =>This Inner Loop Header: Depth=1
	buffer_load_dword v60, v6, s[0:3], 0 offen offset:4
	buffer_load_dword v61, v6, s[0:3], 0 offen
	ds_read_b64 v[8:9], v5
	v_add_u32_e32 v4, 1, v4
	v_cmp_lt_u32_e32 vcc, 21, v4
	v_add_u32_e32 v5, 8, v5
	v_add_u32_e32 v6, 8, v6
	s_or_b64 s[6:7], vcc, s[6:7]
	s_waitcnt vmcnt(1) lgkmcnt(0)
	v_mul_f32_e32 v62, v9, v60
	v_mul_f32_e32 v60, v8, v60
	s_waitcnt vmcnt(0)
	v_fma_f32 v8, v8, v61, -v62
	v_fmac_f32_e32 v60, v9, v61
	v_add_f32_e32 v7, v7, v8
	v_add_f32_e32 v3, v3, v60
	s_andn2_b64 exec, exec, s[6:7]
	s_cbranch_execnz .LBB24_105
; %bb.106:
	s_or_b64 exec, exec, s[6:7]
	v_mov_b32_e32 v4, 0
	ds_read_b64 v[4:5], v4 offset:184
	s_waitcnt lgkmcnt(0)
	v_mul_f32_e32 v6, v3, v5
	v_mul_f32_e32 v5, v7, v5
	v_fma_f32 v6, v7, v4, -v6
	v_fmac_f32_e32 v5, v3, v4
	buffer_store_dword v6, off, s[0:3], 0 offset:184
	buffer_store_dword v5, off, s[0:3], 0 offset:188
.LBB24_107:
	s_or_b64 exec, exec, s[4:5]
	s_waitcnt lgkmcnt(0)
	; wave barrier
	buffer_load_dword v4, off, s[0:3], 0 offset:192
	buffer_load_dword v5, off, s[0:3], 0 offset:196
	v_cmp_ne_u32_e32 vcc, 24, v0
	s_waitcnt vmcnt(0)
	ds_write_b64 v1, v[4:5]
	s_waitcnt lgkmcnt(0)
	; wave barrier
	s_waitcnt lgkmcnt(0)
	s_and_saveexec_b64 s[4:5], vcc
	s_cbranch_execz .LBB24_111
; %bb.108:
	v_add_u32_e32 v3, 0xd0, v70
	v_add_u32_e32 v4, 0, v70
	s_mov_b64 s[6:7], 0
	v_mov_b32_e32 v1, 0
	v_mov_b32_e32 v5, 0
.LBB24_109:                             ; =>This Inner Loop Header: Depth=1
	buffer_load_dword v8, v4, s[0:3], 0 offen offset:4
	buffer_load_dword v9, v4, s[0:3], 0 offen
	ds_read_b64 v[6:7], v3
	v_add_u32_e32 v2, 1, v2
	v_cmp_lt_u32_e32 vcc, 22, v2
	v_add_u32_e32 v3, 8, v3
	v_add_u32_e32 v4, 8, v4
	s_or_b64 s[6:7], vcc, s[6:7]
	s_waitcnt vmcnt(1) lgkmcnt(0)
	v_mul_f32_e32 v60, v7, v8
	v_mul_f32_e32 v8, v6, v8
	s_waitcnt vmcnt(0)
	v_fma_f32 v6, v6, v9, -v60
	v_fmac_f32_e32 v8, v7, v9
	v_add_f32_e32 v5, v5, v6
	v_add_f32_e32 v1, v1, v8
	s_andn2_b64 exec, exec, s[6:7]
	s_cbranch_execnz .LBB24_109
; %bb.110:
	s_or_b64 exec, exec, s[6:7]
	v_mov_b32_e32 v2, 0
	ds_read_b64 v[2:3], v2 offset:192
	s_waitcnt lgkmcnt(0)
	v_mul_f32_e32 v4, v1, v3
	v_mul_f32_e32 v3, v5, v3
	v_fma_f32 v4, v5, v2, -v4
	v_fmac_f32_e32 v3, v1, v2
	buffer_store_dword v4, off, s[0:3], 0 offset:192
	buffer_store_dword v3, off, s[0:3], 0 offset:196
.LBB24_111:
	s_or_b64 exec, exec, s[4:5]
	s_mov_b64 s[6:7], -1
	s_waitcnt lgkmcnt(0)
	; wave barrier
.LBB24_112:
	s_and_b64 vcc, exec, s[6:7]
	s_cbranch_vccz .LBB24_114
; %bb.113:
	s_lshl_b64 s[4:5], s[8:9], 2
	s_add_u32 s4, s14, s4
	s_addc_u32 s5, s15, s5
	v_mov_b32_e32 v1, 0
	global_load_dword v1, v1, s[4:5]
	s_waitcnt vmcnt(0)
	v_cmp_ne_u32_e32 vcc, 0, v1
	s_cbranch_vccz .LBB24_115
.LBB24_114:
	s_endpgm
.LBB24_115:
	v_mov_b32_e32 v1, 0xd0
	v_lshl_add_u32 v1, v0, 3, v1
	v_cmp_eq_u32_e32 vcc, 24, v0
	s_and_saveexec_b64 s[4:5], vcc
	s_cbranch_execz .LBB24_117
; %bb.116:
	buffer_load_dword v2, off, s[0:3], 0 offset:184
	buffer_load_dword v3, off, s[0:3], 0 offset:188
	v_mov_b32_e32 v4, 0
	buffer_store_dword v4, off, s[0:3], 0 offset:184
	buffer_store_dword v4, off, s[0:3], 0 offset:188
	s_waitcnt vmcnt(2)
	ds_write_b64 v1, v[2:3]
.LBB24_117:
	s_or_b64 exec, exec, s[4:5]
	s_waitcnt lgkmcnt(0)
	; wave barrier
	s_waitcnt lgkmcnt(0)
	buffer_load_dword v5, off, s[0:3], 0 offset:196
	buffer_load_dword v4, off, s[0:3], 0 offset:192
	buffer_load_dword v6, off, s[0:3], 0 offset:184
	buffer_load_dword v7, off, s[0:3], 0 offset:188
	v_mov_b32_e32 v2, 0
	ds_read_b64 v[8:9], v2 offset:400
	v_cmp_lt_u32_e32 vcc, 22, v0
	s_waitcnt vmcnt(3)
	v_mov_b32_e32 v60, v5
	s_waitcnt lgkmcnt(0)
	v_pk_mul_f32 v[60:61], v[8:9], v[60:61] op_sel_hi:[1,0]
	s_waitcnt vmcnt(2)
	v_pk_fma_f32 v[62:63], v[8:9], v[4:5], v[60:61] op_sel:[0,0,1] op_sel_hi:[1,1,0] neg_lo:[0,0,1] neg_hi:[0,0,1]
	v_pk_fma_f32 v[4:5], v[8:9], v[4:5], v[60:61] op_sel:[0,0,1] op_sel_hi:[1,0,0]
	v_mov_b32_e32 v63, v5
	v_pk_add_f32 v[4:5], v[62:63], 0 op_sel_hi:[1,0]
	s_waitcnt vmcnt(0)
	v_pk_add_f32 v[4:5], v[6:7], v[4:5] neg_lo:[0,1] neg_hi:[0,1]
	buffer_store_dword v4, off, s[0:3], 0 offset:184
	buffer_store_dword v5, off, s[0:3], 0 offset:188
	s_and_saveexec_b64 s[4:5], vcc
	s_cbranch_execz .LBB24_119
; %bb.118:
	buffer_load_dword v4, off, s[0:3], 0 offset:176
	buffer_load_dword v5, off, s[0:3], 0 offset:180
	s_waitcnt vmcnt(0)
	ds_write_b64 v1, v[4:5]
	buffer_store_dword v2, off, s[0:3], 0 offset:176
	buffer_store_dword v2, off, s[0:3], 0 offset:180
.LBB24_119:
	s_or_b64 exec, exec, s[4:5]
	s_waitcnt lgkmcnt(0)
	; wave barrier
	s_waitcnt lgkmcnt(0)
	buffer_load_dword v7, off, s[0:3], 0 offset:188
	buffer_load_dword v9, off, s[0:3], 0 offset:196
	;; [unrolled: 1-line block ×6, first 2 shown]
	ds_read2_b64 v[2:5], v2 offset0:49 offset1:50
	v_cmp_lt_u32_e32 vcc, 21, v0
	s_waitcnt vmcnt(5)
	v_mov_b32_e32 v62, v7
	s_waitcnt vmcnt(4)
	v_mov_b32_e32 v64, v9
	s_waitcnt lgkmcnt(0)
	v_pk_mul_f32 v[62:63], v[2:3], v[62:63] op_sel_hi:[1,0]
	v_pk_mul_f32 v[64:65], v[4:5], v[64:65] op_sel_hi:[1,0]
	s_waitcnt vmcnt(3)
	v_pk_fma_f32 v[66:67], v[2:3], v[6:7], v[62:63] op_sel:[0,0,1] op_sel_hi:[1,1,0] neg_lo:[0,0,1] neg_hi:[0,0,1]
	v_pk_fma_f32 v[2:3], v[2:3], v[6:7], v[62:63] op_sel:[0,0,1] op_sel_hi:[1,0,0]
	s_waitcnt vmcnt(2)
	v_pk_fma_f32 v[6:7], v[4:5], v[8:9], v[64:65] op_sel:[0,0,1] op_sel_hi:[1,1,0] neg_lo:[0,0,1] neg_hi:[0,0,1]
	v_pk_fma_f32 v[4:5], v[4:5], v[8:9], v[64:65] op_sel:[0,0,1] op_sel_hi:[1,0,0]
	v_mov_b32_e32 v67, v3
	v_mov_b32_e32 v7, v5
	v_pk_add_f32 v[2:3], v[66:67], 0 op_sel_hi:[1,0]
	v_pk_add_f32 v[2:3], v[2:3], v[6:7]
	s_waitcnt vmcnt(0)
	v_pk_add_f32 v[2:3], v[60:61], v[2:3] neg_lo:[0,1] neg_hi:[0,1]
	buffer_store_dword v2, off, s[0:3], 0 offset:176
	buffer_store_dword v3, off, s[0:3], 0 offset:180
	s_and_saveexec_b64 s[4:5], vcc
	s_cbranch_execz .LBB24_121
; %bb.120:
	buffer_load_dword v2, off, s[0:3], 0 offset:168
	buffer_load_dword v3, off, s[0:3], 0 offset:172
	v_mov_b32_e32 v4, 0
	buffer_store_dword v4, off, s[0:3], 0 offset:168
	buffer_store_dword v4, off, s[0:3], 0 offset:172
	s_waitcnt vmcnt(2)
	ds_write_b64 v1, v[2:3]
.LBB24_121:
	s_or_b64 exec, exec, s[4:5]
	s_waitcnt lgkmcnt(0)
	; wave barrier
	s_waitcnt lgkmcnt(0)
	buffer_load_dword v9, off, s[0:3], 0 offset:180
	buffer_load_dword v61, off, s[0:3], 0 offset:188
	;; [unrolled: 1-line block ×8, first 2 shown]
	v_mov_b32_e32 v2, 0
	ds_read_b128 v[4:7], v2 offset:384
	ds_read_b64 v[66:67], v2 offset:400
	v_cmp_lt_u32_e32 vcc, 20, v0
	s_waitcnt vmcnt(7)
	v_mov_b32_e32 v68, v9
	s_waitcnt vmcnt(6)
	v_mov_b32_e32 v70, v61
	s_waitcnt lgkmcnt(1)
	v_pk_mul_f32 v[68:69], v[4:5], v[68:69] op_sel_hi:[1,0]
	s_waitcnt vmcnt(5)
	v_mov_b32_e32 v72, v63
	v_pk_mul_f32 v[70:71], v[6:7], v[70:71] op_sel_hi:[1,0]
	s_waitcnt vmcnt(4)
	v_pk_fma_f32 v[74:75], v[4:5], v[8:9], v[68:69] op_sel:[0,0,1] op_sel_hi:[1,1,0] neg_lo:[0,0,1] neg_hi:[0,0,1]
	v_pk_fma_f32 v[4:5], v[4:5], v[8:9], v[68:69] op_sel:[0,0,1] op_sel_hi:[1,0,0]
	s_waitcnt lgkmcnt(0)
	v_pk_mul_f32 v[72:73], v[66:67], v[72:73] op_sel_hi:[1,0]
	s_waitcnt vmcnt(3)
	v_pk_fma_f32 v[8:9], v[6:7], v[60:61], v[70:71] op_sel:[0,0,1] op_sel_hi:[1,1,0] neg_lo:[0,0,1] neg_hi:[0,0,1]
	v_pk_fma_f32 v[6:7], v[6:7], v[60:61], v[70:71] op_sel:[0,0,1] op_sel_hi:[1,0,0]
	v_mov_b32_e32 v75, v5
	s_waitcnt vmcnt(2)
	v_pk_fma_f32 v[60:61], v[66:67], v[62:63], v[72:73] op_sel:[0,0,1] op_sel_hi:[1,1,0] neg_lo:[0,0,1] neg_hi:[0,0,1]
	v_pk_fma_f32 v[62:63], v[66:67], v[62:63], v[72:73] op_sel:[0,0,1] op_sel_hi:[1,0,0]
	v_mov_b32_e32 v9, v7
	v_pk_add_f32 v[4:5], v[74:75], 0 op_sel_hi:[1,0]
	v_mov_b32_e32 v61, v63
	v_pk_add_f32 v[4:5], v[4:5], v[8:9]
	v_pk_add_f32 v[4:5], v[4:5], v[60:61]
	s_waitcnt vmcnt(0)
	v_pk_add_f32 v[4:5], v[64:65], v[4:5] neg_lo:[0,1] neg_hi:[0,1]
	buffer_store_dword v4, off, s[0:3], 0 offset:168
	buffer_store_dword v5, off, s[0:3], 0 offset:172
	s_and_saveexec_b64 s[4:5], vcc
	s_cbranch_execz .LBB24_123
; %bb.122:
	buffer_load_dword v4, off, s[0:3], 0 offset:160
	buffer_load_dword v5, off, s[0:3], 0 offset:164
	s_waitcnt vmcnt(0)
	ds_write_b64 v1, v[4:5]
	buffer_store_dword v2, off, s[0:3], 0 offset:160
	buffer_store_dword v2, off, s[0:3], 0 offset:164
.LBB24_123:
	s_or_b64 exec, exec, s[4:5]
	s_waitcnt lgkmcnt(0)
	; wave barrier
	s_waitcnt lgkmcnt(0)
	buffer_load_dword v9, off, s[0:3], 0 offset:172
	buffer_load_dword v65, off, s[0:3], 0 offset:180
	buffer_load_dword v67, off, s[0:3], 0 offset:188
	buffer_load_dword v69, off, s[0:3], 0 offset:196
	buffer_load_dword v8, off, s[0:3], 0 offset:168
	buffer_load_dword v64, off, s[0:3], 0 offset:176
	buffer_load_dword v66, off, s[0:3], 0 offset:184
	buffer_load_dword v68, off, s[0:3], 0 offset:192
	buffer_load_dword v70, off, s[0:3], 0 offset:160
	buffer_load_dword v71, off, s[0:3], 0 offset:164
	ds_read2_b64 v[4:7], v2 offset0:47 offset1:48
	ds_read2_b64 v[60:63], v2 offset0:49 offset1:50
	v_cmp_lt_u32_e32 vcc, 19, v0
	s_waitcnt vmcnt(9)
	v_mov_b32_e32 v2, v9
	s_waitcnt vmcnt(8)
	v_mov_b32_e32 v72, v65
	s_waitcnt lgkmcnt(1)
	v_pk_mul_f32 v[2:3], v[4:5], v[2:3] op_sel_hi:[1,0]
	s_waitcnt vmcnt(7)
	v_mov_b32_e32 v74, v67
	v_pk_mul_f32 v[72:73], v[6:7], v[72:73] op_sel_hi:[1,0]
	s_waitcnt vmcnt(5)
	v_pk_fma_f32 v[78:79], v[4:5], v[8:9], v[2:3] op_sel:[0,0,1] op_sel_hi:[1,1,0] neg_lo:[0,0,1] neg_hi:[0,0,1]
	v_pk_fma_f32 v[2:3], v[4:5], v[8:9], v[2:3] op_sel:[0,0,1] op_sel_hi:[1,0,0]
	v_mov_b32_e32 v76, v69
	s_waitcnt lgkmcnt(0)
	v_pk_mul_f32 v[74:75], v[60:61], v[74:75] op_sel_hi:[1,0]
	s_waitcnt vmcnt(4)
	v_pk_fma_f32 v[4:5], v[6:7], v[64:65], v[72:73] op_sel:[0,0,1] op_sel_hi:[1,1,0] neg_lo:[0,0,1] neg_hi:[0,0,1]
	v_pk_fma_f32 v[6:7], v[6:7], v[64:65], v[72:73] op_sel:[0,0,1] op_sel_hi:[1,0,0]
	v_mov_b32_e32 v79, v3
	v_pk_mul_f32 v[76:77], v[62:63], v[76:77] op_sel_hi:[1,0]
	s_waitcnt vmcnt(3)
	v_pk_fma_f32 v[8:9], v[60:61], v[66:67], v[74:75] op_sel:[0,0,1] op_sel_hi:[1,1,0] neg_lo:[0,0,1] neg_hi:[0,0,1]
	v_pk_fma_f32 v[60:61], v[60:61], v[66:67], v[74:75] op_sel:[0,0,1] op_sel_hi:[1,0,0]
	v_mov_b32_e32 v5, v7
	v_pk_add_f32 v[2:3], v[78:79], 0 op_sel_hi:[1,0]
	s_waitcnt vmcnt(2)
	v_pk_fma_f32 v[64:65], v[62:63], v[68:69], v[76:77] op_sel:[0,0,1] op_sel_hi:[1,1,0] neg_lo:[0,0,1] neg_hi:[0,0,1]
	v_pk_fma_f32 v[62:63], v[62:63], v[68:69], v[76:77] op_sel:[0,0,1] op_sel_hi:[1,0,0]
	v_mov_b32_e32 v9, v61
	v_pk_add_f32 v[2:3], v[2:3], v[4:5]
	v_mov_b32_e32 v65, v63
	v_pk_add_f32 v[2:3], v[2:3], v[8:9]
	v_pk_add_f32 v[2:3], v[2:3], v[64:65]
	s_waitcnt vmcnt(0)
	v_pk_add_f32 v[2:3], v[70:71], v[2:3] neg_lo:[0,1] neg_hi:[0,1]
	buffer_store_dword v2, off, s[0:3], 0 offset:160
	buffer_store_dword v3, off, s[0:3], 0 offset:164
	s_and_saveexec_b64 s[4:5], vcc
	s_cbranch_execz .LBB24_125
; %bb.124:
	buffer_load_dword v2, off, s[0:3], 0 offset:152
	buffer_load_dword v3, off, s[0:3], 0 offset:156
	v_mov_b32_e32 v4, 0
	buffer_store_dword v4, off, s[0:3], 0 offset:152
	buffer_store_dword v4, off, s[0:3], 0 offset:156
	s_waitcnt vmcnt(2)
	ds_write_b64 v1, v[2:3]
.LBB24_125:
	s_or_b64 exec, exec, s[4:5]
	s_waitcnt lgkmcnt(0)
	; wave barrier
	s_waitcnt lgkmcnt(0)
	buffer_load_dword v9, off, s[0:3], 0 offset:164
	buffer_load_dword v65, off, s[0:3], 0 offset:172
	;; [unrolled: 1-line block ×12, first 2 shown]
	v_mov_b32_e32 v2, 0
	ds_read_b128 v[4:7], v2 offset:368
	ds_read_b128 v[60:63], v2 offset:384
	ds_read_b64 v[74:75], v2 offset:400
	v_cmp_lt_u32_e32 vcc, 18, v0
	s_waitcnt vmcnt(11)
	v_mov_b32_e32 v76, v9
	s_waitcnt vmcnt(10)
	v_mov_b32_e32 v78, v65
	s_waitcnt lgkmcnt(2)
	v_pk_mul_f32 v[76:77], v[4:5], v[76:77] op_sel_hi:[1,0]
	s_waitcnt vmcnt(9)
	v_mov_b32_e32 v80, v67
	v_pk_mul_f32 v[78:79], v[6:7], v[78:79] op_sel_hi:[1,0]
	s_waitcnt vmcnt(6)
	v_pk_fma_f32 v[86:87], v[4:5], v[8:9], v[76:77] op_sel:[0,0,1] op_sel_hi:[1,1,0] neg_lo:[0,0,1] neg_hi:[0,0,1]
	v_pk_fma_f32 v[4:5], v[4:5], v[8:9], v[76:77] op_sel:[0,0,1] op_sel_hi:[1,0,0]
	v_mov_b32_e32 v82, v69
	s_waitcnt lgkmcnt(1)
	v_pk_mul_f32 v[80:81], v[60:61], v[80:81] op_sel_hi:[1,0]
	s_waitcnt vmcnt(5)
	v_pk_fma_f32 v[8:9], v[6:7], v[64:65], v[78:79] op_sel:[0,0,1] op_sel_hi:[1,1,0] neg_lo:[0,0,1] neg_hi:[0,0,1]
	v_pk_fma_f32 v[6:7], v[6:7], v[64:65], v[78:79] op_sel:[0,0,1] op_sel_hi:[1,0,0]
	v_mov_b32_e32 v87, v5
	v_mov_b32_e32 v84, v71
	v_pk_mul_f32 v[82:83], v[62:63], v[82:83] op_sel_hi:[1,0]
	s_waitcnt vmcnt(4)
	v_pk_fma_f32 v[64:65], v[60:61], v[66:67], v[80:81] op_sel:[0,0,1] op_sel_hi:[1,1,0] neg_lo:[0,0,1] neg_hi:[0,0,1]
	v_pk_fma_f32 v[60:61], v[60:61], v[66:67], v[80:81] op_sel:[0,0,1] op_sel_hi:[1,0,0]
	v_mov_b32_e32 v9, v7
	v_pk_add_f32 v[4:5], v[86:87], 0 op_sel_hi:[1,0]
	s_waitcnt lgkmcnt(0)
	v_pk_mul_f32 v[84:85], v[74:75], v[84:85] op_sel_hi:[1,0]
	s_waitcnt vmcnt(3)
	v_pk_fma_f32 v[66:67], v[62:63], v[68:69], v[82:83] op_sel:[0,0,1] op_sel_hi:[1,1,0] neg_lo:[0,0,1] neg_hi:[0,0,1]
	v_pk_fma_f32 v[62:63], v[62:63], v[68:69], v[82:83] op_sel:[0,0,1] op_sel_hi:[1,0,0]
	v_mov_b32_e32 v65, v61
	v_pk_add_f32 v[4:5], v[4:5], v[8:9]
	s_waitcnt vmcnt(2)
	v_pk_fma_f32 v[68:69], v[74:75], v[70:71], v[84:85] op_sel:[0,0,1] op_sel_hi:[1,1,0] neg_lo:[0,0,1] neg_hi:[0,0,1]
	v_pk_fma_f32 v[70:71], v[74:75], v[70:71], v[84:85] op_sel:[0,0,1] op_sel_hi:[1,0,0]
	v_mov_b32_e32 v67, v63
	v_pk_add_f32 v[4:5], v[4:5], v[64:65]
	v_mov_b32_e32 v69, v71
	v_pk_add_f32 v[4:5], v[4:5], v[66:67]
	v_pk_add_f32 v[4:5], v[4:5], v[68:69]
	s_waitcnt vmcnt(0)
	v_pk_add_f32 v[4:5], v[72:73], v[4:5] neg_lo:[0,1] neg_hi:[0,1]
	buffer_store_dword v4, off, s[0:3], 0 offset:152
	buffer_store_dword v5, off, s[0:3], 0 offset:156
	s_and_saveexec_b64 s[4:5], vcc
	s_cbranch_execz .LBB24_127
; %bb.126:
	buffer_load_dword v4, off, s[0:3], 0 offset:144
	buffer_load_dword v5, off, s[0:3], 0 offset:148
	s_waitcnt vmcnt(0)
	ds_write_b64 v1, v[4:5]
	buffer_store_dword v2, off, s[0:3], 0 offset:144
	buffer_store_dword v2, off, s[0:3], 0 offset:148
.LBB24_127:
	s_or_b64 exec, exec, s[4:5]
	s_waitcnt lgkmcnt(0)
	; wave barrier
	s_waitcnt lgkmcnt(0)
	buffer_load_dword v9, off, s[0:3], 0 offset:156
	buffer_load_dword v69, off, s[0:3], 0 offset:164
	;; [unrolled: 1-line block ×14, first 2 shown]
	ds_read2_b64 v[4:7], v2 offset0:45 offset1:46
	ds_read2_b64 v[60:63], v2 offset0:47 offset1:48
	;; [unrolled: 1-line block ×3, first 2 shown]
	v_cmp_lt_u32_e32 vcc, 17, v0
	s_waitcnt vmcnt(13)
	v_mov_b32_e32 v2, v9
	s_waitcnt vmcnt(12)
	v_mov_b32_e32 v80, v69
	s_waitcnt lgkmcnt(2)
	v_pk_mul_f32 v[2:3], v[4:5], v[2:3] op_sel_hi:[1,0]
	s_waitcnt vmcnt(11)
	v_mov_b32_e32 v82, v71
	v_pk_mul_f32 v[80:81], v[6:7], v[80:81] op_sel_hi:[1,0]
	s_waitcnt vmcnt(10)
	v_mov_b32_e32 v84, v73
	s_waitcnt vmcnt(7)
	v_pk_fma_f32 v[90:91], v[4:5], v[8:9], v[2:3] op_sel:[0,0,1] op_sel_hi:[1,1,0] neg_lo:[0,0,1] neg_hi:[0,0,1]
	v_pk_fma_f32 v[2:3], v[4:5], v[8:9], v[2:3] op_sel:[0,0,1] op_sel_hi:[1,0,0]
	s_waitcnt lgkmcnt(1)
	v_pk_mul_f32 v[82:83], v[60:61], v[82:83] op_sel_hi:[1,0]
	s_waitcnt vmcnt(6)
	v_pk_fma_f32 v[4:5], v[6:7], v[68:69], v[80:81] op_sel:[0,0,1] op_sel_hi:[1,1,0] neg_lo:[0,0,1] neg_hi:[0,0,1]
	v_pk_fma_f32 v[6:7], v[6:7], v[68:69], v[80:81] op_sel:[0,0,1] op_sel_hi:[1,0,0]
	v_mov_b32_e32 v91, v3
	v_mov_b32_e32 v86, v75
	v_pk_mul_f32 v[84:85], v[62:63], v[84:85] op_sel_hi:[1,0]
	s_waitcnt vmcnt(5)
	v_pk_fma_f32 v[8:9], v[60:61], v[70:71], v[82:83] op_sel:[0,0,1] op_sel_hi:[1,1,0] neg_lo:[0,0,1] neg_hi:[0,0,1]
	v_pk_fma_f32 v[60:61], v[60:61], v[70:71], v[82:83] op_sel:[0,0,1] op_sel_hi:[1,0,0]
	v_mov_b32_e32 v5, v7
	v_pk_add_f32 v[2:3], v[90:91], 0 op_sel_hi:[1,0]
	v_mov_b32_e32 v88, v77
	s_waitcnt lgkmcnt(0)
	v_pk_mul_f32 v[86:87], v[64:65], v[86:87] op_sel_hi:[1,0]
	s_waitcnt vmcnt(4)
	v_pk_fma_f32 v[68:69], v[62:63], v[72:73], v[84:85] op_sel:[0,0,1] op_sel_hi:[1,1,0] neg_lo:[0,0,1] neg_hi:[0,0,1]
	v_pk_fma_f32 v[62:63], v[62:63], v[72:73], v[84:85] op_sel:[0,0,1] op_sel_hi:[1,0,0]
	v_mov_b32_e32 v9, v61
	v_pk_add_f32 v[2:3], v[2:3], v[4:5]
	v_pk_mul_f32 v[88:89], v[66:67], v[88:89] op_sel_hi:[1,0]
	s_waitcnt vmcnt(3)
	v_pk_fma_f32 v[70:71], v[64:65], v[74:75], v[86:87] op_sel:[0,0,1] op_sel_hi:[1,1,0] neg_lo:[0,0,1] neg_hi:[0,0,1]
	v_pk_fma_f32 v[64:65], v[64:65], v[74:75], v[86:87] op_sel:[0,0,1] op_sel_hi:[1,0,0]
	v_mov_b32_e32 v69, v63
	v_pk_add_f32 v[2:3], v[2:3], v[8:9]
	s_waitcnt vmcnt(2)
	v_pk_fma_f32 v[72:73], v[66:67], v[76:77], v[88:89] op_sel:[0,0,1] op_sel_hi:[1,1,0] neg_lo:[0,0,1] neg_hi:[0,0,1]
	v_pk_fma_f32 v[66:67], v[66:67], v[76:77], v[88:89] op_sel:[0,0,1] op_sel_hi:[1,0,0]
	v_mov_b32_e32 v71, v65
	v_pk_add_f32 v[2:3], v[2:3], v[68:69]
	v_mov_b32_e32 v73, v67
	v_pk_add_f32 v[2:3], v[2:3], v[70:71]
	v_pk_add_f32 v[2:3], v[2:3], v[72:73]
	s_waitcnt vmcnt(0)
	v_pk_add_f32 v[2:3], v[78:79], v[2:3] neg_lo:[0,1] neg_hi:[0,1]
	buffer_store_dword v2, off, s[0:3], 0 offset:144
	buffer_store_dword v3, off, s[0:3], 0 offset:148
	s_and_saveexec_b64 s[4:5], vcc
	s_cbranch_execz .LBB24_129
; %bb.128:
	buffer_load_dword v2, off, s[0:3], 0 offset:136
	buffer_load_dword v3, off, s[0:3], 0 offset:140
	v_mov_b32_e32 v4, 0
	buffer_store_dword v4, off, s[0:3], 0 offset:136
	buffer_store_dword v4, off, s[0:3], 0 offset:140
	s_waitcnt vmcnt(2)
	ds_write_b64 v1, v[2:3]
.LBB24_129:
	s_or_b64 exec, exec, s[4:5]
	s_waitcnt lgkmcnt(0)
	; wave barrier
	s_waitcnt lgkmcnt(0)
	buffer_load_dword v9, off, s[0:3], 0 offset:148
	buffer_load_dword v69, off, s[0:3], 0 offset:156
	buffer_load_dword v71, off, s[0:3], 0 offset:164
	buffer_load_dword v73, off, s[0:3], 0 offset:172
	buffer_load_dword v75, off, s[0:3], 0 offset:180
	buffer_load_dword v77, off, s[0:3], 0 offset:188
	buffer_load_dword v79, off, s[0:3], 0 offset:196
	buffer_load_dword v8, off, s[0:3], 0 offset:144
	buffer_load_dword v68, off, s[0:3], 0 offset:152
	buffer_load_dword v70, off, s[0:3], 0 offset:160
	buffer_load_dword v72, off, s[0:3], 0 offset:168
	buffer_load_dword v74, off, s[0:3], 0 offset:176
	buffer_load_dword v76, off, s[0:3], 0 offset:184
	buffer_load_dword v78, off, s[0:3], 0 offset:192
	buffer_load_dword v80, off, s[0:3], 0 offset:136
	buffer_load_dword v81, off, s[0:3], 0 offset:140
	v_mov_b32_e32 v2, 0
	ds_read_b128 v[4:7], v2 offset:352
	ds_read_b128 v[60:63], v2 offset:368
	;; [unrolled: 1-line block ×3, first 2 shown]
	ds_read_b64 v[82:83], v2 offset:400
	v_cmp_lt_u32_e32 vcc, 16, v0
	s_waitcnt vmcnt(15)
	v_mov_b32_e32 v84, v9
	s_waitcnt vmcnt(14)
	v_mov_b32_e32 v86, v69
	s_waitcnt lgkmcnt(3)
	v_pk_mul_f32 v[84:85], v[4:5], v[84:85] op_sel_hi:[1,0]
	s_waitcnt vmcnt(13)
	v_mov_b32_e32 v88, v71
	v_pk_mul_f32 v[86:87], v[6:7], v[86:87] op_sel_hi:[1,0]
	s_waitcnt vmcnt(12)
	v_mov_b32_e32 v90, v73
	s_waitcnt lgkmcnt(2)
	v_pk_mul_f32 v[88:89], v[60:61], v[88:89] op_sel_hi:[1,0]
	s_waitcnt vmcnt(8)
	v_pk_fma_f32 v[98:99], v[4:5], v[8:9], v[84:85] op_sel:[0,0,1] op_sel_hi:[1,1,0] neg_lo:[0,0,1] neg_hi:[0,0,1]
	v_pk_fma_f32 v[4:5], v[4:5], v[8:9], v[84:85] op_sel:[0,0,1] op_sel_hi:[1,0,0]
	s_waitcnt vmcnt(7)
	v_pk_fma_f32 v[8:9], v[6:7], v[68:69], v[86:87] op_sel:[0,0,1] op_sel_hi:[1,1,0] neg_lo:[0,0,1] neg_hi:[0,0,1]
	v_pk_fma_f32 v[6:7], v[6:7], v[68:69], v[86:87] op_sel:[0,0,1] op_sel_hi:[1,0,0]
	v_mov_b32_e32 v99, v5
	v_mov_b32_e32 v92, v75
	v_pk_mul_f32 v[90:91], v[62:63], v[90:91] op_sel_hi:[1,0]
	s_waitcnt vmcnt(6)
	v_pk_fma_f32 v[68:69], v[60:61], v[70:71], v[88:89] op_sel:[0,0,1] op_sel_hi:[1,1,0] neg_lo:[0,0,1] neg_hi:[0,0,1]
	v_pk_fma_f32 v[60:61], v[60:61], v[70:71], v[88:89] op_sel:[0,0,1] op_sel_hi:[1,0,0]
	v_mov_b32_e32 v9, v7
	v_pk_add_f32 v[4:5], v[98:99], 0 op_sel_hi:[1,0]
	v_mov_b32_e32 v94, v77
	s_waitcnt lgkmcnt(1)
	v_pk_mul_f32 v[92:93], v[64:65], v[92:93] op_sel_hi:[1,0]
	s_waitcnt vmcnt(5)
	v_pk_fma_f32 v[70:71], v[62:63], v[72:73], v[90:91] op_sel:[0,0,1] op_sel_hi:[1,1,0] neg_lo:[0,0,1] neg_hi:[0,0,1]
	v_pk_fma_f32 v[62:63], v[62:63], v[72:73], v[90:91] op_sel:[0,0,1] op_sel_hi:[1,0,0]
	v_mov_b32_e32 v69, v61
	v_pk_add_f32 v[4:5], v[4:5], v[8:9]
	v_mov_b32_e32 v96, v79
	v_pk_mul_f32 v[94:95], v[66:67], v[94:95] op_sel_hi:[1,0]
	s_waitcnt vmcnt(4)
	v_pk_fma_f32 v[72:73], v[64:65], v[74:75], v[92:93] op_sel:[0,0,1] op_sel_hi:[1,1,0] neg_lo:[0,0,1] neg_hi:[0,0,1]
	v_pk_fma_f32 v[64:65], v[64:65], v[74:75], v[92:93] op_sel:[0,0,1] op_sel_hi:[1,0,0]
	v_mov_b32_e32 v71, v63
	v_pk_add_f32 v[4:5], v[4:5], v[68:69]
	s_waitcnt lgkmcnt(0)
	v_pk_mul_f32 v[96:97], v[82:83], v[96:97] op_sel_hi:[1,0]
	s_waitcnt vmcnt(3)
	v_pk_fma_f32 v[74:75], v[66:67], v[76:77], v[94:95] op_sel:[0,0,1] op_sel_hi:[1,1,0] neg_lo:[0,0,1] neg_hi:[0,0,1]
	v_pk_fma_f32 v[66:67], v[66:67], v[76:77], v[94:95] op_sel:[0,0,1] op_sel_hi:[1,0,0]
	v_mov_b32_e32 v73, v65
	v_pk_add_f32 v[4:5], v[4:5], v[70:71]
	s_waitcnt vmcnt(2)
	v_pk_fma_f32 v[76:77], v[82:83], v[78:79], v[96:97] op_sel:[0,0,1] op_sel_hi:[1,1,0] neg_lo:[0,0,1] neg_hi:[0,0,1]
	v_pk_fma_f32 v[78:79], v[82:83], v[78:79], v[96:97] op_sel:[0,0,1] op_sel_hi:[1,0,0]
	v_mov_b32_e32 v75, v67
	v_pk_add_f32 v[4:5], v[4:5], v[72:73]
	v_mov_b32_e32 v77, v79
	v_pk_add_f32 v[4:5], v[4:5], v[74:75]
	v_pk_add_f32 v[4:5], v[4:5], v[76:77]
	s_waitcnt vmcnt(0)
	v_pk_add_f32 v[4:5], v[80:81], v[4:5] neg_lo:[0,1] neg_hi:[0,1]
	buffer_store_dword v4, off, s[0:3], 0 offset:136
	buffer_store_dword v5, off, s[0:3], 0 offset:140
	s_and_saveexec_b64 s[4:5], vcc
	s_cbranch_execz .LBB24_131
; %bb.130:
	buffer_load_dword v4, off, s[0:3], 0 offset:128
	buffer_load_dword v5, off, s[0:3], 0 offset:132
	s_waitcnt vmcnt(0)
	ds_write_b64 v1, v[4:5]
	buffer_store_dword v2, off, s[0:3], 0 offset:128
	buffer_store_dword v2, off, s[0:3], 0 offset:132
.LBB24_131:
	s_or_b64 exec, exec, s[4:5]
	s_waitcnt lgkmcnt(0)
	; wave barrier
	s_waitcnt lgkmcnt(0)
	buffer_load_dword v9, off, s[0:3], 0 offset:140
	buffer_load_dword v73, off, s[0:3], 0 offset:148
	;; [unrolled: 1-line block ×18, first 2 shown]
	ds_read2_b64 v[4:7], v2 offset0:43 offset1:44
	ds_read2_b64 v[60:63], v2 offset0:45 offset1:46
	;; [unrolled: 1-line block ×4, first 2 shown]
	v_cmp_lt_u32_e32 vcc, 15, v0
	s_waitcnt vmcnt(17)
	v_mov_b32_e32 v2, v9
	s_waitcnt vmcnt(16)
	v_mov_b32_e32 v88, v73
	s_waitcnt lgkmcnt(3)
	v_pk_mul_f32 v[2:3], v[4:5], v[2:3] op_sel_hi:[1,0]
	s_waitcnt vmcnt(15)
	v_mov_b32_e32 v90, v75
	v_pk_mul_f32 v[88:89], v[6:7], v[88:89] op_sel_hi:[1,0]
	s_waitcnt vmcnt(14)
	v_mov_b32_e32 v92, v77
	s_waitcnt lgkmcnt(2)
	v_pk_mul_f32 v[90:91], v[60:61], v[90:91] op_sel_hi:[1,0]
	s_waitcnt vmcnt(13)
	v_mov_b32_e32 v94, v79
	s_waitcnt vmcnt(9)
	v_pk_fma_f32 v[102:103], v[4:5], v[8:9], v[2:3] op_sel:[0,0,1] op_sel_hi:[1,1,0] neg_lo:[0,0,1] neg_hi:[0,0,1]
	v_pk_fma_f32 v[2:3], v[4:5], v[8:9], v[2:3] op_sel:[0,0,1] op_sel_hi:[1,0,0]
	s_waitcnt vmcnt(8)
	v_pk_fma_f32 v[4:5], v[6:7], v[72:73], v[88:89] op_sel:[0,0,1] op_sel_hi:[1,1,0] neg_lo:[0,0,1] neg_hi:[0,0,1]
	v_pk_fma_f32 v[6:7], v[6:7], v[72:73], v[88:89] op_sel:[0,0,1] op_sel_hi:[1,0,0]
	v_mov_b32_e32 v103, v3
	v_pk_mul_f32 v[92:93], v[62:63], v[92:93] op_sel_hi:[1,0]
	s_waitcnt vmcnt(7)
	v_pk_fma_f32 v[8:9], v[60:61], v[74:75], v[90:91] op_sel:[0,0,1] op_sel_hi:[1,1,0] neg_lo:[0,0,1] neg_hi:[0,0,1]
	v_pk_fma_f32 v[60:61], v[60:61], v[74:75], v[90:91] op_sel:[0,0,1] op_sel_hi:[1,0,0]
	v_mov_b32_e32 v5, v7
	v_pk_add_f32 v[2:3], v[102:103], 0 op_sel_hi:[1,0]
	v_mov_b32_e32 v96, v81
	s_waitcnt lgkmcnt(1)
	v_pk_mul_f32 v[94:95], v[64:65], v[94:95] op_sel_hi:[1,0]
	s_waitcnt vmcnt(6)
	v_pk_fma_f32 v[72:73], v[62:63], v[76:77], v[92:93] op_sel:[0,0,1] op_sel_hi:[1,1,0] neg_lo:[0,0,1] neg_hi:[0,0,1]
	v_pk_fma_f32 v[62:63], v[62:63], v[76:77], v[92:93] op_sel:[0,0,1] op_sel_hi:[1,0,0]
	v_mov_b32_e32 v9, v61
	v_pk_add_f32 v[2:3], v[2:3], v[4:5]
	v_mov_b32_e32 v98, v83
	v_pk_mul_f32 v[96:97], v[66:67], v[96:97] op_sel_hi:[1,0]
	s_waitcnt vmcnt(5)
	v_pk_fma_f32 v[74:75], v[64:65], v[78:79], v[94:95] op_sel:[0,0,1] op_sel_hi:[1,1,0] neg_lo:[0,0,1] neg_hi:[0,0,1]
	v_pk_fma_f32 v[64:65], v[64:65], v[78:79], v[94:95] op_sel:[0,0,1] op_sel_hi:[1,0,0]
	v_mov_b32_e32 v73, v63
	v_pk_add_f32 v[2:3], v[2:3], v[8:9]
	v_mov_b32_e32 v100, v85
	s_waitcnt lgkmcnt(0)
	v_pk_mul_f32 v[98:99], v[68:69], v[98:99] op_sel_hi:[1,0]
	s_waitcnt vmcnt(4)
	v_pk_fma_f32 v[76:77], v[66:67], v[80:81], v[96:97] op_sel:[0,0,1] op_sel_hi:[1,1,0] neg_lo:[0,0,1] neg_hi:[0,0,1]
	v_pk_fma_f32 v[66:67], v[66:67], v[80:81], v[96:97] op_sel:[0,0,1] op_sel_hi:[1,0,0]
	v_mov_b32_e32 v75, v65
	v_pk_add_f32 v[2:3], v[2:3], v[72:73]
	v_pk_mul_f32 v[100:101], v[70:71], v[100:101] op_sel_hi:[1,0]
	s_waitcnt vmcnt(3)
	v_pk_fma_f32 v[78:79], v[68:69], v[82:83], v[98:99] op_sel:[0,0,1] op_sel_hi:[1,1,0] neg_lo:[0,0,1] neg_hi:[0,0,1]
	v_pk_fma_f32 v[68:69], v[68:69], v[82:83], v[98:99] op_sel:[0,0,1] op_sel_hi:[1,0,0]
	v_mov_b32_e32 v77, v67
	v_pk_add_f32 v[2:3], v[2:3], v[74:75]
	s_waitcnt vmcnt(2)
	v_pk_fma_f32 v[80:81], v[70:71], v[84:85], v[100:101] op_sel:[0,0,1] op_sel_hi:[1,1,0] neg_lo:[0,0,1] neg_hi:[0,0,1]
	v_pk_fma_f32 v[70:71], v[70:71], v[84:85], v[100:101] op_sel:[0,0,1] op_sel_hi:[1,0,0]
	v_mov_b32_e32 v79, v69
	v_pk_add_f32 v[2:3], v[2:3], v[76:77]
	v_mov_b32_e32 v81, v71
	v_pk_add_f32 v[2:3], v[2:3], v[78:79]
	v_pk_add_f32 v[2:3], v[2:3], v[80:81]
	s_waitcnt vmcnt(0)
	v_pk_add_f32 v[2:3], v[86:87], v[2:3] neg_lo:[0,1] neg_hi:[0,1]
	buffer_store_dword v2, off, s[0:3], 0 offset:128
	buffer_store_dword v3, off, s[0:3], 0 offset:132
	s_and_saveexec_b64 s[4:5], vcc
	s_cbranch_execz .LBB24_133
; %bb.132:
	buffer_load_dword v2, off, s[0:3], 0 offset:120
	buffer_load_dword v3, off, s[0:3], 0 offset:124
	v_mov_b32_e32 v4, 0
	buffer_store_dword v4, off, s[0:3], 0 offset:120
	buffer_store_dword v4, off, s[0:3], 0 offset:124
	s_waitcnt vmcnt(2)
	ds_write_b64 v1, v[2:3]
.LBB24_133:
	s_or_b64 exec, exec, s[4:5]
	s_waitcnt lgkmcnt(0)
	; wave barrier
	s_waitcnt lgkmcnt(0)
	buffer_load_dword v3, off, s[0:3], 0 offset:132
	buffer_load_dword v9, off, s[0:3], 0 offset:140
	;; [unrolled: 1-line block ×20, first 2 shown]
	v_mov_b32_e32 v2, 0
	ds_read_b128 v[4:7], v2 offset:336
	ds_read_b128 v[60:63], v2 offset:352
	;; [unrolled: 1-line block ×4, first 2 shown]
	ds_read_b64 v[88:89], v2 offset:400
	v_cmp_lt_u32_e32 vcc, 14, v0
	s_waitcnt vmcnt(19) lgkmcnt(4)
	v_mul_f32_e32 v91, v4, v3
	v_mul_f32_e32 v3, v5, v3
	s_waitcnt vmcnt(18)
	v_mov_b32_e32 v92, v9
	s_waitcnt vmcnt(17)
	v_mov_b32_e32 v94, v73
	;; [unrolled: 2-line block ×8, first 2 shown]
	s_waitcnt vmcnt(10)
	v_fmac_f32_e32 v91, v5, v90
	v_fma_f32 v90, v4, v90, -v3
	v_pk_mul_f32 v[4:5], v[6:7], v[92:93] op_sel_hi:[1,0]
	s_waitcnt lgkmcnt(3)
	v_pk_mul_f32 v[92:93], v[60:61], v[94:95] op_sel_hi:[1,0]
	v_pk_mul_f32 v[94:95], v[62:63], v[96:97] op_sel_hi:[1,0]
	s_waitcnt lgkmcnt(2)
	v_pk_mul_f32 v[96:97], v[64:65], v[98:99] op_sel_hi:[1,0]
	v_pk_mul_f32 v[98:99], v[66:67], v[100:101] op_sel_hi:[1,0]
	s_waitcnt lgkmcnt(1)
	v_pk_mul_f32 v[100:101], v[68:69], v[102:103] op_sel_hi:[1,0]
	v_pk_mul_f32 v[102:103], v[70:71], v[104:105] op_sel_hi:[1,0]
	s_waitcnt lgkmcnt(0)
	v_pk_mul_f32 v[104:105], v[88:89], v[106:107] op_sel_hi:[1,0]
	s_waitcnt vmcnt(9)
	v_pk_fma_f32 v[106:107], v[6:7], v[8:9], v[4:5] op_sel:[0,0,1] op_sel_hi:[1,1,0] neg_lo:[0,0,1] neg_hi:[0,0,1]
	v_pk_fma_f32 v[4:5], v[6:7], v[8:9], v[4:5] op_sel:[0,0,1] op_sel_hi:[1,0,0]
	v_pk_add_f32 v[90:91], v[90:91], 0 op_sel_hi:[1,0]
	s_waitcnt vmcnt(8)
	v_pk_fma_f32 v[6:7], v[60:61], v[72:73], v[92:93] op_sel:[0,0,1] op_sel_hi:[1,1,0] neg_lo:[0,0,1] neg_hi:[0,0,1]
	v_pk_fma_f32 v[8:9], v[60:61], v[72:73], v[92:93] op_sel:[0,0,1] op_sel_hi:[1,0,0]
	v_mov_b32_e32 v107, v5
	s_waitcnt vmcnt(7)
	v_pk_fma_f32 v[60:61], v[62:63], v[74:75], v[94:95] op_sel:[0,0,1] op_sel_hi:[1,1,0] neg_lo:[0,0,1] neg_hi:[0,0,1]
	v_pk_fma_f32 v[62:63], v[62:63], v[74:75], v[94:95] op_sel:[0,0,1] op_sel_hi:[1,0,0]
	v_mov_b32_e32 v7, v9
	v_pk_add_f32 v[4:5], v[90:91], v[106:107]
	s_waitcnt vmcnt(6)
	v_pk_fma_f32 v[72:73], v[64:65], v[76:77], v[96:97] op_sel:[0,0,1] op_sel_hi:[1,1,0] neg_lo:[0,0,1] neg_hi:[0,0,1]
	v_pk_fma_f32 v[64:65], v[64:65], v[76:77], v[96:97] op_sel:[0,0,1] op_sel_hi:[1,0,0]
	v_mov_b32_e32 v61, v63
	v_pk_add_f32 v[4:5], v[4:5], v[6:7]
	;; [unrolled: 5-line block ×5, first 2 shown]
	v_pk_fma_f32 v[80:81], v[88:89], v[84:85], v[104:105] op_sel:[0,0,1] op_sel_hi:[1,1,0] neg_lo:[0,0,1] neg_hi:[0,0,1]
	v_pk_fma_f32 v[82:83], v[88:89], v[84:85], v[104:105] op_sel:[0,0,1] op_sel_hi:[1,0,0]
	v_mov_b32_e32 v79, v71
	v_pk_add_f32 v[4:5], v[4:5], v[76:77]
	v_mov_b32_e32 v81, v83
	v_pk_add_f32 v[4:5], v[4:5], v[78:79]
	v_pk_add_f32 v[4:5], v[4:5], v[80:81]
	s_waitcnt vmcnt(0)
	v_pk_add_f32 v[4:5], v[86:87], v[4:5] neg_lo:[0,1] neg_hi:[0,1]
	buffer_store_dword v4, off, s[0:3], 0 offset:120
	buffer_store_dword v5, off, s[0:3], 0 offset:124
	s_and_saveexec_b64 s[4:5], vcc
	s_cbranch_execz .LBB24_135
; %bb.134:
	buffer_load_dword v4, off, s[0:3], 0 offset:112
	buffer_load_dword v5, off, s[0:3], 0 offset:116
	s_waitcnt vmcnt(0)
	ds_write_b64 v1, v[4:5]
	buffer_store_dword v2, off, s[0:3], 0 offset:112
	buffer_store_dword v2, off, s[0:3], 0 offset:116
.LBB24_135:
	s_or_b64 exec, exec, s[4:5]
	s_waitcnt lgkmcnt(0)
	; wave barrier
	s_waitcnt lgkmcnt(0)
	buffer_load_dword v92, off, s[0:3], 0 offset:124
	buffer_load_dword v94, off, s[0:3], 0 offset:132
	;; [unrolled: 1-line block ×22, first 2 shown]
	ds_read2_b64 v[4:7], v2 offset0:41 offset1:42
	ds_read2_b64 v[60:63], v2 offset0:43 offset1:44
	;; [unrolled: 1-line block ×5, first 2 shown]
	v_cmp_lt_u32_e32 vcc, 13, v0
	s_waitcnt vmcnt(21) lgkmcnt(4)
	v_mul_f32_e32 v3, v4, v92
	s_waitcnt vmcnt(20)
	v_mul_f32_e32 v93, v6, v94
	v_mul_f32_e32 v2, v5, v92
	;; [unrolled: 1-line block ×3, first 2 shown]
	s_waitcnt vmcnt(19)
	v_mov_b32_e32 v94, v9
	s_waitcnt vmcnt(18)
	v_mov_b32_e32 v96, v77
	;; [unrolled: 2-line block ×5, first 2 shown]
	v_mov_b32_e32 v100, v81
	s_waitcnt vmcnt(11)
	v_fmac_f32_e32 v3, v5, v95
	v_fma_f32 v2, v4, v95, -v2
	s_waitcnt lgkmcnt(3)
	v_pk_mul_f32 v[4:5], v[60:61], v[94:95] op_sel_hi:[1,0]
	s_waitcnt vmcnt(10)
	v_fmac_f32_e32 v93, v7, v97
	v_fma_f32 v92, v6, v97, -v92
	v_pk_mul_f32 v[6:7], v[62:63], v[96:97] op_sel_hi:[1,0]
	s_waitcnt lgkmcnt(2)
	v_pk_mul_f32 v[94:95], v[64:65], v[98:99] op_sel_hi:[1,0]
	s_waitcnt lgkmcnt(1)
	;; [unrolled: 2-line block ×3, first 2 shown]
	v_pk_mul_f32 v[102:103], v[72:73], v[106:107] op_sel_hi:[1,0]
	v_pk_add_f32 v[2:3], v[2:3], 0 op_sel_hi:[1,0]
	s_waitcnt vmcnt(9)
	v_pk_fma_f32 v[106:107], v[60:61], v[8:9], v[4:5] op_sel:[0,0,1] op_sel_hi:[1,1,0] neg_lo:[0,0,1] neg_hi:[0,0,1]
	v_pk_fma_f32 v[4:5], v[60:61], v[8:9], v[4:5] op_sel:[0,0,1] op_sel_hi:[1,0,0]
	s_waitcnt vmcnt(8)
	v_pk_fma_f32 v[8:9], v[62:63], v[76:77], v[6:7] op_sel:[0,0,1] op_sel_hi:[1,1,0] neg_lo:[0,0,1] neg_hi:[0,0,1]
	v_pk_fma_f32 v[6:7], v[62:63], v[76:77], v[6:7] op_sel:[0,0,1] op_sel_hi:[1,0,0]
	v_pk_add_f32 v[2:3], v[2:3], v[92:93]
	v_mov_b32_e32 v107, v5
	v_pk_mul_f32 v[96:97], v[66:67], v[100:101] op_sel_hi:[1,0]
	s_waitcnt vmcnt(7)
	v_pk_fma_f32 v[60:61], v[64:65], v[78:79], v[94:95] op_sel:[0,0,1] op_sel_hi:[1,1,0] neg_lo:[0,0,1] neg_hi:[0,0,1]
	v_pk_fma_f32 v[62:63], v[64:65], v[78:79], v[94:95] op_sel:[0,0,1] op_sel_hi:[1,0,0]
	v_mov_b32_e32 v9, v7
	v_pk_add_f32 v[2:3], v[2:3], v[106:107]
	v_mov_b32_e32 v104, v85
	s_waitcnt vmcnt(6)
	v_pk_fma_f32 v[64:65], v[66:67], v[80:81], v[96:97] op_sel:[0,0,1] op_sel_hi:[1,1,0] neg_lo:[0,0,1] neg_hi:[0,0,1]
	v_pk_fma_f32 v[66:67], v[66:67], v[80:81], v[96:97] op_sel:[0,0,1] op_sel_hi:[1,0,0]
	v_mov_b32_e32 v61, v63
	v_pk_add_f32 v[2:3], v[2:3], v[8:9]
	v_pk_mul_f32 v[100:101], v[70:71], v[104:105] op_sel_hi:[1,0]
	s_waitcnt vmcnt(5)
	v_pk_fma_f32 v[76:77], v[68:69], v[82:83], v[98:99] op_sel:[0,0,1] op_sel_hi:[1,1,0] neg_lo:[0,0,1] neg_hi:[0,0,1]
	v_pk_fma_f32 v[68:69], v[68:69], v[82:83], v[98:99] op_sel:[0,0,1] op_sel_hi:[1,0,0]
	v_mov_b32_e32 v65, v67
	v_pk_add_f32 v[2:3], v[2:3], v[60:61]
	v_mov_b32_e32 v108, v89
	s_waitcnt vmcnt(2)
	v_pk_fma_f32 v[78:79], v[70:71], v[84:85], v[100:101] op_sel:[0,0,1] op_sel_hi:[1,1,0] neg_lo:[0,0,1] neg_hi:[0,0,1]
	v_pk_fma_f32 v[70:71], v[70:71], v[84:85], v[100:101] op_sel:[0,0,1] op_sel_hi:[1,0,0]
	v_mov_b32_e32 v77, v69
	v_pk_add_f32 v[2:3], v[2:3], v[64:65]
	v_pk_mul_f32 v[104:105], v[74:75], v[108:109] op_sel_hi:[1,0]
	v_pk_fma_f32 v[80:81], v[72:73], v[86:87], v[102:103] op_sel:[0,0,1] op_sel_hi:[1,1,0] neg_lo:[0,0,1] neg_hi:[0,0,1]
	v_pk_fma_f32 v[72:73], v[72:73], v[86:87], v[102:103] op_sel:[0,0,1] op_sel_hi:[1,0,0]
	v_mov_b32_e32 v79, v71
	v_pk_add_f32 v[2:3], v[2:3], v[76:77]
	v_pk_fma_f32 v[82:83], v[74:75], v[88:89], v[104:105] op_sel:[0,0,1] op_sel_hi:[1,1,0] neg_lo:[0,0,1] neg_hi:[0,0,1]
	v_pk_fma_f32 v[74:75], v[74:75], v[88:89], v[104:105] op_sel:[0,0,1] op_sel_hi:[1,0,0]
	v_mov_b32_e32 v81, v73
	v_pk_add_f32 v[2:3], v[2:3], v[78:79]
	v_mov_b32_e32 v83, v75
	v_pk_add_f32 v[2:3], v[2:3], v[80:81]
	v_pk_add_f32 v[2:3], v[2:3], v[82:83]
	s_waitcnt vmcnt(0)
	v_pk_add_f32 v[2:3], v[90:91], v[2:3] neg_lo:[0,1] neg_hi:[0,1]
	buffer_store_dword v2, off, s[0:3], 0 offset:112
	buffer_store_dword v3, off, s[0:3], 0 offset:116
	s_and_saveexec_b64 s[4:5], vcc
	s_cbranch_execz .LBB24_137
; %bb.136:
	buffer_load_dword v2, off, s[0:3], 0 offset:104
	buffer_load_dword v3, off, s[0:3], 0 offset:108
	v_mov_b32_e32 v4, 0
	buffer_store_dword v4, off, s[0:3], 0 offset:104
	buffer_store_dword v4, off, s[0:3], 0 offset:108
	s_waitcnt vmcnt(2)
	ds_write_b64 v1, v[2:3]
.LBB24_137:
	s_or_b64 exec, exec, s[4:5]
	s_waitcnt lgkmcnt(0)
	; wave barrier
	s_waitcnt lgkmcnt(0)
	buffer_load_dword v3, off, s[0:3], 0 offset:116
	buffer_load_dword v94, off, s[0:3], 0 offset:124
	;; [unrolled: 1-line block ×24, first 2 shown]
	v_mov_b32_e32 v2, 0
	ds_read_b128 v[4:7], v2 offset:320
	ds_read_b128 v[60:63], v2 offset:336
	;; [unrolled: 1-line block ×5, first 2 shown]
	ds_read_b64 v[92:93], v2 offset:400
	v_cmp_lt_u32_e32 vcc, 12, v0
	s_waitcnt vmcnt(23) lgkmcnt(5)
	v_mul_f32_e32 v107, v4, v3
	v_mul_f32_e32 v3, v5, v3
	s_waitcnt vmcnt(22)
	v_mul_f32_e32 v95, v6, v94
	s_waitcnt vmcnt(21) lgkmcnt(4)
	v_mul_f32_e32 v97, v60, v96
	v_mul_f32_e32 v94, v7, v94
	v_mul_f32_e32 v96, v61, v96
	s_waitcnt vmcnt(20)
	v_mov_b32_e32 v98, v9
	s_waitcnt vmcnt(19)
	v_mov_b32_e32 v100, v77
	;; [unrolled: 2-line block ×5, first 2 shown]
	s_waitcnt vmcnt(12)
	v_fmac_f32_e32 v107, v5, v99
	v_fma_f32 v3, v4, v99, -v3
	v_mov_b32_e32 v108, v85
	s_waitcnt vmcnt(11)
	v_fmac_f32_e32 v95, v7, v101
	s_waitcnt vmcnt(10)
	v_fmac_f32_e32 v97, v61, v103
	v_fma_f32 v94, v6, v101, -v94
	v_fma_f32 v96, v60, v103, -v96
	v_pk_mul_f32 v[4:5], v[62:63], v[98:99] op_sel_hi:[1,0]
	s_waitcnt lgkmcnt(3)
	v_pk_mul_f32 v[6:7], v[64:65], v[100:101] op_sel_hi:[1,0]
	v_pk_mul_f32 v[60:61], v[66:67], v[102:103] op_sel_hi:[1,0]
	s_waitcnt lgkmcnt(2)
	v_pk_mul_f32 v[98:99], v[68:69], v[104:105] op_sel_hi:[1,0]
	v_pk_mul_f32 v[100:101], v[70:71], v[106:107] op_sel_hi:[1,0]
	v_add_f32_e32 v107, 0, v107
	v_add_f32_e32 v106, 0, v3
	s_waitcnt lgkmcnt(1)
	v_pk_mul_f32 v[102:103], v[72:73], v[108:109] op_sel_hi:[1,0]
	s_waitcnt vmcnt(9)
	v_pk_fma_f32 v[108:109], v[62:63], v[8:9], v[4:5] op_sel:[0,0,1] op_sel_hi:[1,1,0] neg_lo:[0,0,1] neg_hi:[0,0,1]
	v_pk_fma_f32 v[4:5], v[62:63], v[8:9], v[4:5] op_sel:[0,0,1] op_sel_hi:[1,0,0]
	s_waitcnt vmcnt(8)
	v_pk_fma_f32 v[8:9], v[64:65], v[76:77], v[6:7] op_sel:[0,0,1] op_sel_hi:[1,1,0] neg_lo:[0,0,1] neg_hi:[0,0,1]
	v_pk_fma_f32 v[6:7], v[64:65], v[76:77], v[6:7] op_sel:[0,0,1] op_sel_hi:[1,0,0]
	;; [unrolled: 3-line block ×4, first 2 shown]
	v_pk_add_f32 v[80:81], v[106:107], v[94:95]
	v_mov_b32_e32 v109, v5
	v_pk_add_f32 v[4:5], v[80:81], v[96:97]
	v_mov_b32_e32 v9, v7
	;; [unrolled: 2-line block ×4, first 2 shown]
	s_waitcnt vmcnt(2)
	v_pk_fma_f32 v[68:69], v[70:71], v[82:83], v[100:101] op_sel:[0,0,1] op_sel_hi:[1,1,0] neg_lo:[0,0,1] neg_hi:[0,0,1]
	v_pk_fma_f32 v[70:71], v[70:71], v[82:83], v[100:101] op_sel:[0,0,1] op_sel_hi:[1,0,0]
	v_mov_b32_e32 v65, v67
	v_pk_add_f32 v[4:5], v[4:5], v[62:63]
	v_mov_b32_e32 v112, v89
	v_pk_mul_f32 v[104:105], v[74:75], v[110:111] op_sel_hi:[1,0]
	v_pk_fma_f32 v[76:77], v[72:73], v[84:85], v[102:103] op_sel:[0,0,1] op_sel_hi:[1,1,0] neg_lo:[0,0,1] neg_hi:[0,0,1]
	v_pk_fma_f32 v[72:73], v[72:73], v[84:85], v[102:103] op_sel:[0,0,1] op_sel_hi:[1,0,0]
	v_mov_b32_e32 v69, v71
	v_pk_add_f32 v[4:5], v[4:5], v[64:65]
	v_pk_fma_f32 v[78:79], v[74:75], v[86:87], v[104:105] op_sel:[0,0,1] op_sel_hi:[1,1,0] neg_lo:[0,0,1] neg_hi:[0,0,1]
	v_pk_fma_f32 v[74:75], v[74:75], v[86:87], v[104:105] op_sel:[0,0,1] op_sel_hi:[1,0,0]
	v_mov_b32_e32 v77, v73
	v_pk_add_f32 v[4:5], v[4:5], v[68:69]
	s_waitcnt lgkmcnt(0)
	v_pk_mul_f32 v[6:7], v[92:93], v[112:113] op_sel_hi:[1,0]
	v_mov_b32_e32 v79, v75
	v_pk_add_f32 v[4:5], v[4:5], v[76:77]
	v_pk_fma_f32 v[8:9], v[92:93], v[88:89], v[6:7] op_sel:[0,0,1] op_sel_hi:[1,1,0] neg_lo:[0,0,1] neg_hi:[0,0,1]
	v_pk_fma_f32 v[6:7], v[92:93], v[88:89], v[6:7] op_sel:[0,0,1] op_sel_hi:[1,0,0]
	v_pk_add_f32 v[4:5], v[4:5], v[78:79]
	v_mov_b32_e32 v9, v7
	v_pk_add_f32 v[4:5], v[4:5], v[8:9]
	s_waitcnt vmcnt(0)
	v_pk_add_f32 v[4:5], v[90:91], v[4:5] neg_lo:[0,1] neg_hi:[0,1]
	buffer_store_dword v5, off, s[0:3], 0 offset:108
	buffer_store_dword v4, off, s[0:3], 0 offset:104
	s_and_saveexec_b64 s[4:5], vcc
	s_cbranch_execz .LBB24_139
; %bb.138:
	buffer_load_dword v4, off, s[0:3], 0 offset:96
	buffer_load_dword v5, off, s[0:3], 0 offset:100
	s_waitcnt vmcnt(0)
	ds_write_b64 v1, v[4:5]
	buffer_store_dword v2, off, s[0:3], 0 offset:96
	buffer_store_dword v2, off, s[0:3], 0 offset:100
.LBB24_139:
	s_or_b64 exec, exec, s[4:5]
	s_waitcnt lgkmcnt(0)
	; wave barrier
	s_waitcnt lgkmcnt(0)
	buffer_load_dword v96, off, s[0:3], 0 offset:108
	buffer_load_dword v98, off, s[0:3], 0 offset:116
	;; [unrolled: 1-line block ×26, first 2 shown]
	ds_read2_b64 v[4:7], v2 offset0:39 offset1:40
	ds_read2_b64 v[60:63], v2 offset0:41 offset1:42
	;; [unrolled: 1-line block ×6, first 2 shown]
	v_cmp_lt_u32_e32 vcc, 11, v0
	s_waitcnt vmcnt(25) lgkmcnt(5)
	v_mul_f32_e32 v109, v4, v96
	v_mul_f32_e32 v2, v5, v96
	s_waitcnt vmcnt(24)
	v_mul_f32_e32 v110, v6, v98
	s_waitcnt vmcnt(23) lgkmcnt(4)
	v_mul_f32_e32 v3, v60, v99
	s_waitcnt vmcnt(22)
	v_mul_f32_e32 v97, v62, v100
	v_mul_f32_e32 v96, v7, v98
	;; [unrolled: 1-line block ×4, first 2 shown]
	s_waitcnt vmcnt(21)
	v_mov_b32_e32 v98, v9
	s_waitcnt vmcnt(20)
	v_mov_b32_e32 v100, v81
	;; [unrolled: 2-line block ×3, first 2 shown]
	s_waitcnt vmcnt(15)
	v_fmac_f32_e32 v109, v5, v101
	v_fma_f32 v112, v4, v101, -v2
	v_mov_b32_e32 v102, v83
	s_waitcnt vmcnt(14)
	v_fmac_f32_e32 v110, v7, v103
	s_waitcnt vmcnt(13)
	v_fmac_f32_e32 v3, v61, v105
	;; [unrolled: 2-line block ×3, first 2 shown]
	v_fma_f32 v113, v6, v103, -v96
	v_fma_f32 v2, v60, v105, -v99
	;; [unrolled: 1-line block ×3, first 2 shown]
	s_waitcnt lgkmcnt(3)
	v_pk_mul_f32 v[4:5], v[64:65], v[98:99] op_sel_hi:[1,0]
	v_pk_mul_f32 v[6:7], v[66:67], v[100:101] op_sel_hi:[1,0]
	s_waitcnt lgkmcnt(2)
	v_pk_mul_f32 v[62:63], v[70:71], v[104:105] op_sel_hi:[1,0]
	v_add_f32_e32 v104, 0, v109
	v_add_f32_e32 v105, 0, v112
	v_pk_mul_f32 v[60:61], v[68:69], v[102:103] op_sel_hi:[1,0]
	s_waitcnt vmcnt(11)
	v_pk_fma_f32 v[102:103], v[64:65], v[8:9], v[4:5] op_sel:[0,0,1] op_sel_hi:[1,1,0] neg_lo:[0,0,1] neg_hi:[0,0,1]
	v_pk_fma_f32 v[4:5], v[64:65], v[8:9], v[4:5] op_sel:[0,0,1] op_sel_hi:[1,0,0]
	s_waitcnt vmcnt(10)
	v_pk_fma_f32 v[8:9], v[66:67], v[80:81], v[6:7] op_sel:[0,0,1] op_sel_hi:[1,1,0] neg_lo:[0,0,1] neg_hi:[0,0,1]
	v_pk_fma_f32 v[6:7], v[66:67], v[80:81], v[6:7] op_sel:[0,0,1] op_sel_hi:[1,0,0]
	v_add_f32_e32 v81, v104, v110
	v_add_f32_e32 v80, v105, v113
	v_pk_add_f32 v[2:3], v[80:81], v[2:3]
	v_mov_b32_e32 v103, v5
	v_pk_add_f32 v[2:3], v[2:3], v[96:97]
	v_mov_b32_e32 v106, v87
	s_waitcnt vmcnt(9)
	v_pk_fma_f32 v[64:65], v[68:69], v[82:83], v[60:61] op_sel:[0,0,1] op_sel_hi:[1,1,0] neg_lo:[0,0,1] neg_hi:[0,0,1]
	v_pk_fma_f32 v[60:61], v[68:69], v[82:83], v[60:61] op_sel:[0,0,1] op_sel_hi:[1,0,0]
	v_mov_b32_e32 v9, v7
	v_pk_add_f32 v[2:3], v[2:3], v[102:103]
	v_mov_b32_e32 v108, v89
	s_waitcnt lgkmcnt(1)
	v_pk_mul_f32 v[98:99], v[72:73], v[106:107] op_sel_hi:[1,0]
	s_waitcnt vmcnt(5)
	v_pk_fma_f32 v[66:67], v[70:71], v[84:85], v[62:63] op_sel:[0,0,1] op_sel_hi:[1,1,0] neg_lo:[0,0,1] neg_hi:[0,0,1]
	v_pk_fma_f32 v[62:63], v[70:71], v[84:85], v[62:63] op_sel:[0,0,1] op_sel_hi:[1,0,0]
	v_mov_b32_e32 v65, v61
	v_pk_add_f32 v[2:3], v[2:3], v[8:9]
	s_waitcnt vmcnt(4)
	v_mov_b32_e32 v4, v91
	v_pk_mul_f32 v[100:101], v[74:75], v[108:109] op_sel_hi:[1,0]
	v_pk_fma_f32 v[68:69], v[72:73], v[86:87], v[98:99] op_sel:[0,0,1] op_sel_hi:[1,1,0] neg_lo:[0,0,1] neg_hi:[0,0,1]
	v_pk_fma_f32 v[70:71], v[72:73], v[86:87], v[98:99] op_sel:[0,0,1] op_sel_hi:[1,0,0]
	v_mov_b32_e32 v67, v63
	v_pk_add_f32 v[2:3], v[2:3], v[64:65]
	s_waitcnt lgkmcnt(0)
	v_pk_mul_f32 v[4:5], v[76:77], v[4:5] op_sel_hi:[1,0]
	v_pk_fma_f32 v[72:73], v[74:75], v[88:89], v[100:101] op_sel:[0,0,1] op_sel_hi:[1,1,0] neg_lo:[0,0,1] neg_hi:[0,0,1]
	v_pk_fma_f32 v[74:75], v[74:75], v[88:89], v[100:101] op_sel:[0,0,1] op_sel_hi:[1,0,0]
	v_mov_b32_e32 v69, v71
	v_pk_add_f32 v[2:3], v[2:3], v[66:67]
	v_pk_fma_f32 v[6:7], v[76:77], v[90:91], v[4:5] op_sel:[0,0,1] op_sel_hi:[1,1,0] neg_lo:[0,0,1] neg_hi:[0,0,1]
	v_pk_fma_f32 v[4:5], v[76:77], v[90:91], v[4:5] op_sel:[0,0,1] op_sel_hi:[1,0,0]
	v_mov_b32_e32 v73, v75
	v_pk_add_f32 v[2:3], v[2:3], v[68:69]
	s_waitcnt vmcnt(3)
	v_mov_b32_e32 v4, v93
	v_pk_add_f32 v[2:3], v[2:3], v[72:73]
	v_mov_b32_e32 v7, v5
	v_pk_mul_f32 v[4:5], v[78:79], v[4:5] op_sel_hi:[1,0]
	v_pk_add_f32 v[2:3], v[2:3], v[6:7]
	s_waitcnt vmcnt(2)
	v_pk_fma_f32 v[6:7], v[78:79], v[92:93], v[4:5] op_sel:[0,0,1] op_sel_hi:[1,1,0] neg_lo:[0,0,1] neg_hi:[0,0,1]
	v_pk_fma_f32 v[4:5], v[78:79], v[92:93], v[4:5] op_sel:[0,0,1] op_sel_hi:[1,0,0]
	v_mov_b32_e32 v7, v5
	v_pk_add_f32 v[2:3], v[2:3], v[6:7]
	s_waitcnt vmcnt(0)
	v_pk_add_f32 v[2:3], v[94:95], v[2:3] neg_lo:[0,1] neg_hi:[0,1]
	buffer_store_dword v3, off, s[0:3], 0 offset:100
	buffer_store_dword v2, off, s[0:3], 0 offset:96
	s_and_saveexec_b64 s[4:5], vcc
	s_cbranch_execz .LBB24_141
; %bb.140:
	buffer_load_dword v2, off, s[0:3], 0 offset:88
	buffer_load_dword v3, off, s[0:3], 0 offset:92
	v_mov_b32_e32 v4, 0
	buffer_store_dword v4, off, s[0:3], 0 offset:88
	buffer_store_dword v4, off, s[0:3], 0 offset:92
	s_waitcnt vmcnt(2)
	ds_write_b64 v1, v[2:3]
.LBB24_141:
	s_or_b64 exec, exec, s[4:5]
	s_waitcnt lgkmcnt(0)
	; wave barrier
	s_waitcnt lgkmcnt(0)
	buffer_load_dword v3, off, s[0:3], 0 offset:100
	buffer_load_dword v98, off, s[0:3], 0 offset:108
	;; [unrolled: 1-line block ×28, first 2 shown]
	v_mov_b32_e32 v2, 0
	ds_read_b128 v[4:7], v2 offset:304
	ds_read_b128 v[60:63], v2 offset:320
	;; [unrolled: 1-line block ×6, first 2 shown]
	ds_read_b64 v[96:97], v2 offset:400
	v_cmp_lt_u32_e32 vcc, 10, v0
	s_waitcnt vmcnt(27) lgkmcnt(6)
	v_mul_f32_e32 v113, v4, v3
	v_mul_f32_e32 v3, v5, v3
	s_waitcnt vmcnt(26)
	v_mul_f32_e32 v114, v6, v98
	s_waitcnt vmcnt(24) lgkmcnt(5)
	v_mul_f32_e32 v99, v62, v102
	s_waitcnt vmcnt(23) lgkmcnt(4)
	v_mul_f32_e32 v101, v64, v103
	v_mul_f32_e32 v116, v63, v102
	;; [unrolled: 1-line block ×3, first 2 shown]
	s_waitcnt vmcnt(22)
	v_mov_b32_e32 v102, v9
	v_mul_f32_e32 v115, v60, v100
	v_mul_f32_e32 v98, v7, v98
	v_mul_f32_e32 v100, v61, v100
	s_waitcnt vmcnt(17)
	v_fmac_f32_e32 v113, v5, v105
	v_fma_f32 v3, v4, v105, -v3
	v_pk_mul_f32 v[4:5], v[66:67], v[102:103] op_sel_hi:[1,0]
	s_waitcnt vmcnt(16)
	v_fmac_f32_e32 v114, v7, v107
	s_waitcnt vmcnt(13)
	v_fmac_f32_e32 v101, v65, v112
	v_fma_f32 v105, v6, v107, -v98
	v_fma_f32 v107, v60, v109, -v100
	;; [unrolled: 1-line block ×3, first 2 shown]
	v_add_f32_e32 v102, 0, v113
	v_add_f32_e32 v3, 0, v3
	s_waitcnt vmcnt(12)
	v_pk_fma_f32 v[64:65], v[66:67], v[8:9], v[4:5] op_sel:[0,0,1] op_sel_hi:[1,1,0] neg_lo:[0,0,1] neg_hi:[0,0,1]
	v_pk_fma_f32 v[4:5], v[66:67], v[8:9], v[4:5] op_sel:[0,0,1] op_sel_hi:[1,0,0]
	v_fmac_f32_e32 v115, v61, v109
	v_add_f32_e32 v4, v102, v114
	v_add_f32_e32 v3, v3, v105
	v_mov_b32_e32 v104, v81
	v_fmac_f32_e32 v99, v63, v111
	v_fma_f32 v98, v62, v111, -v116
	v_mov_b32_e32 v65, v5
	v_add_f32_e32 v5, v4, v115
	v_add_f32_e32 v4, v3, v107
	v_mov_b32_e32 v106, v83
	s_waitcnt lgkmcnt(3)
	v_pk_mul_f32 v[6:7], v[68:69], v[104:105] op_sel_hi:[1,0]
	v_pk_add_f32 v[4:5], v[4:5], v[98:99]
	v_mov_b32_e32 v108, v85
	v_mov_b32_e32 v110, v87
	v_pk_mul_f32 v[60:61], v[70:71], v[106:107] op_sel_hi:[1,0]
	s_waitcnt vmcnt(11)
	v_pk_fma_f32 v[8:9], v[68:69], v[80:81], v[6:7] op_sel:[0,0,1] op_sel_hi:[1,1,0] neg_lo:[0,0,1] neg_hi:[0,0,1]
	v_pk_fma_f32 v[6:7], v[68:69], v[80:81], v[6:7] op_sel:[0,0,1] op_sel_hi:[1,0,0]
	v_pk_add_f32 v[4:5], v[4:5], v[100:101]
	s_waitcnt lgkmcnt(2)
	v_pk_mul_f32 v[62:63], v[72:73], v[108:109] op_sel_hi:[1,0]
	s_waitcnt vmcnt(7)
	v_pk_fma_f32 v[66:67], v[70:71], v[82:83], v[60:61] op_sel:[0,0,1] op_sel_hi:[1,1,0] neg_lo:[0,0,1] neg_hi:[0,0,1]
	v_pk_fma_f32 v[60:61], v[70:71], v[82:83], v[60:61] op_sel:[0,0,1] op_sel_hi:[1,0,0]
	v_mov_b32_e32 v9, v7
	v_pk_add_f32 v[4:5], v[4:5], v[64:65]
	v_pk_mul_f32 v[6:7], v[74:75], v[110:111] op_sel_hi:[1,0]
	v_pk_fma_f32 v[68:69], v[72:73], v[84:85], v[62:63] op_sel:[0,0,1] op_sel_hi:[1,1,0] neg_lo:[0,0,1] neg_hi:[0,0,1]
	v_pk_fma_f32 v[62:63], v[72:73], v[84:85], v[62:63] op_sel:[0,0,1] op_sel_hi:[1,0,0]
	v_mov_b32_e32 v67, v61
	v_pk_add_f32 v[4:5], v[4:5], v[8:9]
	v_pk_fma_f32 v[8:9], v[74:75], v[86:87], v[6:7] op_sel:[0,0,1] op_sel_hi:[1,1,0] neg_lo:[0,0,1] neg_hi:[0,0,1]
	v_pk_fma_f32 v[6:7], v[74:75], v[86:87], v[6:7] op_sel:[0,0,1] op_sel_hi:[1,0,0]
	v_mov_b32_e32 v69, v63
	v_pk_add_f32 v[4:5], v[4:5], v[66:67]
	s_waitcnt vmcnt(6)
	v_mov_b32_e32 v6, v89
	v_pk_add_f32 v[4:5], v[4:5], v[68:69]
	v_mov_b32_e32 v9, v7
	s_waitcnt lgkmcnt(1)
	v_pk_mul_f32 v[6:7], v[76:77], v[6:7] op_sel_hi:[1,0]
	v_pk_add_f32 v[4:5], v[4:5], v[8:9]
	v_pk_fma_f32 v[8:9], v[76:77], v[88:89], v[6:7] op_sel:[0,0,1] op_sel_hi:[1,1,0] neg_lo:[0,0,1] neg_hi:[0,0,1]
	v_pk_fma_f32 v[6:7], v[76:77], v[88:89], v[6:7] op_sel:[0,0,1] op_sel_hi:[1,0,0]
	s_waitcnt vmcnt(5)
	v_mov_b32_e32 v6, v91
	v_mov_b32_e32 v9, v7
	v_pk_mul_f32 v[6:7], v[78:79], v[6:7] op_sel_hi:[1,0]
	v_pk_add_f32 v[4:5], v[4:5], v[8:9]
	s_waitcnt vmcnt(3)
	v_pk_fma_f32 v[8:9], v[78:79], v[90:91], v[6:7] op_sel:[0,0,1] op_sel_hi:[1,1,0] neg_lo:[0,0,1] neg_hi:[0,0,1]
	v_pk_fma_f32 v[6:7], v[78:79], v[90:91], v[6:7] op_sel:[0,0,1] op_sel_hi:[1,0,0]
	s_waitcnt vmcnt(2)
	v_mov_b32_e32 v6, v93
	v_mov_b32_e32 v9, v7
	s_waitcnt lgkmcnt(0)
	v_pk_mul_f32 v[6:7], v[96:97], v[6:7] op_sel_hi:[1,0]
	v_pk_add_f32 v[4:5], v[4:5], v[8:9]
	v_pk_fma_f32 v[8:9], v[96:97], v[92:93], v[6:7] op_sel:[0,0,1] op_sel_hi:[1,1,0] neg_lo:[0,0,1] neg_hi:[0,0,1]
	v_pk_fma_f32 v[6:7], v[96:97], v[92:93], v[6:7] op_sel:[0,0,1] op_sel_hi:[1,0,0]
	v_mov_b32_e32 v9, v7
	v_pk_add_f32 v[4:5], v[4:5], v[8:9]
	s_waitcnt vmcnt(0)
	v_pk_add_f32 v[4:5], v[94:95], v[4:5] neg_lo:[0,1] neg_hi:[0,1]
	buffer_store_dword v5, off, s[0:3], 0 offset:92
	buffer_store_dword v4, off, s[0:3], 0 offset:88
	s_and_saveexec_b64 s[4:5], vcc
	s_cbranch_execz .LBB24_143
; %bb.142:
	buffer_load_dword v4, off, s[0:3], 0 offset:80
	buffer_load_dword v5, off, s[0:3], 0 offset:84
	s_waitcnt vmcnt(0)
	ds_write_b64 v1, v[4:5]
	buffer_store_dword v2, off, s[0:3], 0 offset:80
	buffer_store_dword v2, off, s[0:3], 0 offset:84
.LBB24_143:
	s_or_b64 exec, exec, s[4:5]
	s_waitcnt lgkmcnt(0)
	; wave barrier
	s_waitcnt lgkmcnt(0)
	buffer_load_dword v100, off, s[0:3], 0 offset:92
	buffer_load_dword v102, off, s[0:3], 0 offset:100
	;; [unrolled: 1-line block ×30, first 2 shown]
	ds_read2_b64 v[4:7], v2 offset0:37 offset1:38
	ds_read2_b64 v[60:63], v2 offset0:39 offset1:40
	;; [unrolled: 1-line block ×7, first 2 shown]
	v_cmp_lt_u32_e32 vcc, 9, v0
	s_waitcnt vmcnt(29) lgkmcnt(6)
	v_mul_f32_e32 v113, v4, v100
	s_waitcnt vmcnt(28)
	v_mul_f32_e32 v114, v6, v102
	s_waitcnt vmcnt(27) lgkmcnt(5)
	v_mul_f32_e32 v115, v60, v103
	v_mul_f32_e32 v103, v61, v103
	s_waitcnt vmcnt(26)
	v_mul_f32_e32 v116, v62, v104
	s_waitcnt vmcnt(25) lgkmcnt(4)
	v_mul_f32_e32 v3, v64, v105
	s_waitcnt vmcnt(24)
	v_mul_f32_e32 v101, v66, v106
	v_mul_f32_e32 v2, v5, v100
	;; [unrolled: 1-line block ×5, first 2 shown]
	s_waitcnt vmcnt(23)
	v_mov_b32_e32 v102, v9
	s_waitcnt vmcnt(22)
	v_mov_b32_e32 v104, v85
	s_waitcnt vmcnt(18)
	v_fma_f32 v103, v60, v109, -v103
	v_mul_f32_e32 v118, v67, v106
	v_fmac_f32_e32 v113, v5, v107
	v_fmac_f32_e32 v114, v7, v108
	s_waitcnt vmcnt(17)
	v_fmac_f32_e32 v116, v63, v110
	s_waitcnt vmcnt(15)
	v_fmac_f32_e32 v101, v67, v112
	v_fma_f32 v63, v4, v107, -v2
	v_fma_f32 v67, v6, v108, -v100
	s_waitcnt lgkmcnt(3)
	v_pk_mul_f32 v[4:5], v[68:69], v[102:103] op_sel_hi:[1,0]
	v_pk_mul_f32 v[6:7], v[70:71], v[104:105] op_sel_hi:[1,0]
	v_fma_f32 v107, v62, v110, -v117
	v_fma_f32 v100, v66, v112, -v118
	v_add_f32_e32 v66, 0, v113
	v_add_f32_e32 v102, 0, v63
	s_waitcnt vmcnt(14)
	v_pk_fma_f32 v[62:63], v[68:69], v[8:9], v[4:5] op_sel:[0,0,1] op_sel_hi:[1,1,0] neg_lo:[0,0,1] neg_hi:[0,0,1]
	v_pk_fma_f32 v[4:5], v[68:69], v[8:9], v[4:5] op_sel:[0,0,1] op_sel_hi:[1,0,0]
	s_waitcnt vmcnt(10)
	v_pk_fma_f32 v[8:9], v[70:71], v[84:85], v[6:7] op_sel:[0,0,1] op_sel_hi:[1,1,0] neg_lo:[0,0,1] neg_hi:[0,0,1]
	v_pk_fma_f32 v[6:7], v[70:71], v[84:85], v[6:7] op_sel:[0,0,1] op_sel_hi:[1,0,0]
	v_fmac_f32_e32 v115, v61, v109
	v_add_f32_e32 v4, v66, v114
	v_add_f32_e32 v6, v102, v67
	;; [unrolled: 1-line block ×4, first 2 shown]
	v_fmac_f32_e32 v3, v65, v111
	v_fma_f32 v2, v64, v111, -v105
	v_mov_b32_e32 v63, v5
	v_add_f32_e32 v5, v4, v116
	v_add_f32_e32 v4, v6, v107
	v_mov_b32_e32 v106, v87
	v_pk_add_f32 v[2:3], v[4:5], v[2:3]
	s_waitcnt vmcnt(9)
	v_mov_b32_e32 v4, v91
	s_waitcnt lgkmcnt(2)
	v_pk_mul_f32 v[60:61], v[72:73], v[106:107] op_sel_hi:[1,0]
	v_pk_add_f32 v[2:3], v[2:3], v[100:101]
	v_pk_mul_f32 v[4:5], v[74:75], v[4:5] op_sel_hi:[1,0]
	v_pk_fma_f32 v[64:65], v[72:73], v[86:87], v[60:61] op_sel:[0,0,1] op_sel_hi:[1,1,0] neg_lo:[0,0,1] neg_hi:[0,0,1]
	v_pk_fma_f32 v[60:61], v[72:73], v[86:87], v[60:61] op_sel:[0,0,1] op_sel_hi:[1,0,0]
	v_mov_b32_e32 v9, v7
	v_pk_add_f32 v[2:3], v[2:3], v[62:63]
	v_pk_fma_f32 v[6:7], v[74:75], v[90:91], v[4:5] op_sel:[0,0,1] op_sel_hi:[1,1,0] neg_lo:[0,0,1] neg_hi:[0,0,1]
	v_pk_fma_f32 v[4:5], v[74:75], v[90:91], v[4:5] op_sel:[0,0,1] op_sel_hi:[1,0,0]
	v_mov_b32_e32 v65, v61
	v_pk_add_f32 v[2:3], v[2:3], v[8:9]
	s_waitcnt vmcnt(8)
	v_mov_b32_e32 v4, v89
	v_pk_add_f32 v[2:3], v[2:3], v[64:65]
	v_mov_b32_e32 v7, v5
	s_waitcnt lgkmcnt(1)
	v_pk_mul_f32 v[4:5], v[76:77], v[4:5] op_sel_hi:[1,0]
	v_pk_add_f32 v[2:3], v[2:3], v[6:7]
	v_pk_fma_f32 v[6:7], v[76:77], v[88:89], v[4:5] op_sel:[0,0,1] op_sel_hi:[1,1,0] neg_lo:[0,0,1] neg_hi:[0,0,1]
	v_pk_fma_f32 v[4:5], v[76:77], v[88:89], v[4:5] op_sel:[0,0,1] op_sel_hi:[1,0,0]
	s_waitcnt vmcnt(7)
	v_mov_b32_e32 v4, v93
	v_mov_b32_e32 v7, v5
	v_pk_mul_f32 v[4:5], v[78:79], v[4:5] op_sel_hi:[1,0]
	v_pk_add_f32 v[2:3], v[2:3], v[6:7]
	s_waitcnt vmcnt(4)
	v_pk_fma_f32 v[6:7], v[78:79], v[92:93], v[4:5] op_sel:[0,0,1] op_sel_hi:[1,1,0] neg_lo:[0,0,1] neg_hi:[0,0,1]
	v_pk_fma_f32 v[4:5], v[78:79], v[92:93], v[4:5] op_sel:[0,0,1] op_sel_hi:[1,0,0]
	s_waitcnt vmcnt(3)
	v_mov_b32_e32 v4, v97
	v_mov_b32_e32 v7, v5
	s_waitcnt lgkmcnt(0)
	v_pk_mul_f32 v[4:5], v[80:81], v[4:5] op_sel_hi:[1,0]
	v_pk_add_f32 v[2:3], v[2:3], v[6:7]
	v_pk_fma_f32 v[6:7], v[80:81], v[96:97], v[4:5] op_sel:[0,0,1] op_sel_hi:[1,1,0] neg_lo:[0,0,1] neg_hi:[0,0,1]
	v_pk_fma_f32 v[4:5], v[80:81], v[96:97], v[4:5] op_sel:[0,0,1] op_sel_hi:[1,0,0]
	s_waitcnt vmcnt(0)
	v_mov_b32_e32 v4, v95
	v_mov_b32_e32 v7, v5
	v_pk_mul_f32 v[4:5], v[82:83], v[4:5] op_sel_hi:[1,0]
	v_pk_add_f32 v[2:3], v[2:3], v[6:7]
	v_pk_fma_f32 v[6:7], v[82:83], v[94:95], v[4:5] op_sel:[0,0,1] op_sel_hi:[1,1,0] neg_lo:[0,0,1] neg_hi:[0,0,1]
	v_pk_fma_f32 v[4:5], v[82:83], v[94:95], v[4:5] op_sel:[0,0,1] op_sel_hi:[1,0,0]
	v_mov_b32_e32 v7, v5
	v_pk_add_f32 v[2:3], v[2:3], v[6:7]
	v_pk_add_f32 v[2:3], v[98:99], v[2:3] neg_lo:[0,1] neg_hi:[0,1]
	buffer_store_dword v3, off, s[0:3], 0 offset:84
	buffer_store_dword v2, off, s[0:3], 0 offset:80
	s_and_saveexec_b64 s[4:5], vcc
	s_cbranch_execz .LBB24_145
; %bb.144:
	buffer_load_dword v2, off, s[0:3], 0 offset:72
	buffer_load_dword v3, off, s[0:3], 0 offset:76
	v_mov_b32_e32 v4, 0
	buffer_store_dword v4, off, s[0:3], 0 offset:72
	buffer_store_dword v4, off, s[0:3], 0 offset:76
	s_waitcnt vmcnt(2)
	ds_write_b64 v1, v[2:3]
.LBB24_145:
	s_or_b64 exec, exec, s[4:5]
	s_waitcnt lgkmcnt(0)
	; wave barrier
	s_waitcnt lgkmcnt(0)
	buffer_load_dword v3, off, s[0:3], 0 offset:84
	buffer_load_dword v102, off, s[0:3], 0 offset:92
	;; [unrolled: 1-line block ×32, first 2 shown]
	v_mov_b32_e32 v2, 0
	ds_read_b128 v[4:7], v2 offset:288
	ds_read_b128 v[60:63], v2 offset:304
	;; [unrolled: 1-line block ×7, first 2 shown]
	ds_read_b64 v[100:101], v2 offset:400
	v_cmp_lt_u32_e32 vcc, 8, v0
	s_waitcnt vmcnt(31) lgkmcnt(7)
	v_mul_f32_e32 v117, v4, v3
	v_mul_f32_e32 v3, v5, v3
	s_waitcnt vmcnt(30)
	v_mul_f32_e32 v118, v6, v102
	s_waitcnt vmcnt(28) lgkmcnt(6)
	v_mul_f32_e32 v120, v62, v106
	s_waitcnt vmcnt(27) lgkmcnt(5)
	v_mul_f32_e32 v121, v64, v107
	v_mul_f32_e32 v122, v63, v106
	v_mul_f32_e32 v107, v65, v107
	s_waitcnt vmcnt(24)
	v_mov_b32_e32 v106, v9
	v_mul_f32_e32 v119, v60, v104
	v_mul_f32_e32 v102, v7, v102
	s_waitcnt vmcnt(22)
	v_fmac_f32_e32 v117, v5, v110
	v_fma_f32 v3, v4, v110, -v3
	s_waitcnt lgkmcnt(4)
	v_pk_mul_f32 v[4:5], v[70:71], v[106:107] op_sel_hi:[1,0]
	v_mul_f32_e32 v104, v61, v104
	s_waitcnt vmcnt(21)
	v_fmac_f32_e32 v118, v7, v111
	s_waitcnt vmcnt(20)
	v_fmac_f32_e32 v119, v61, v112
	;; [unrolled: 2-line block ×3, first 2 shown]
	v_fma_f32 v61, v6, v111, -v102
	s_waitcnt vmcnt(18)
	v_fma_f32 v63, v64, v114, -v107
	v_add_f32_e32 v64, 0, v117
	v_add_f32_e32 v3, 0, v3
	s_waitcnt vmcnt(12)
	v_pk_fma_f32 v[6:7], v[70:71], v[8:9], v[4:5] op_sel:[0,0,1] op_sel_hi:[1,1,0] neg_lo:[0,0,1] neg_hi:[0,0,1]
	v_pk_fma_f32 v[4:5], v[70:71], v[8:9], v[4:5] op_sel:[0,0,1] op_sel_hi:[1,0,0]
	v_fma_f32 v60, v60, v112, -v104
	v_add_f32_e32 v4, v64, v118
	v_add_f32_e32 v3, v3, v61
	v_fma_f32 v62, v62, v113, -v122
	v_add_f32_e32 v4, v4, v119
	v_add_f32_e32 v3, v3, v60
	v_mul_f32_e32 v103, v66, v108
	v_mul_f32_e32 v123, v67, v108
	v_fmac_f32_e32 v121, v65, v114
	v_add_f32_e32 v4, v4, v120
	v_add_f32_e32 v3, v3, v62
	v_mul_f32_e32 v105, v68, v109
	v_mul_f32_e32 v109, v69, v109
	v_fmac_f32_e32 v103, v67, v115
	v_fma_f32 v102, v66, v115, -v123
	v_mov_b32_e32 v7, v5
	v_add_f32_e32 v5, v4, v121
	v_add_f32_e32 v4, v3, v63
	v_fmac_f32_e32 v105, v69, v116
	v_fma_f32 v104, v68, v116, -v109
	v_pk_add_f32 v[4:5], v[4:5], v[102:103]
	v_mov_b32_e32 v108, v85
	v_pk_add_f32 v[4:5], v[4:5], v[104:105]
	v_pk_add_f32 v[4:5], v[4:5], v[6:7]
	s_waitcnt lgkmcnt(3)
	v_pk_mul_f32 v[6:7], v[72:73], v[108:109] op_sel_hi:[1,0]
	v_pk_fma_f32 v[8:9], v[72:73], v[84:85], v[6:7] op_sel:[0,0,1] op_sel_hi:[1,1,0] neg_lo:[0,0,1] neg_hi:[0,0,1]
	v_pk_fma_f32 v[6:7], v[72:73], v[84:85], v[6:7] op_sel:[0,0,1] op_sel_hi:[1,0,0]
	s_waitcnt vmcnt(11)
	v_mov_b32_e32 v6, v89
	v_mov_b32_e32 v9, v7
	v_pk_mul_f32 v[6:7], v[74:75], v[6:7] op_sel_hi:[1,0]
	v_pk_add_f32 v[4:5], v[4:5], v[8:9]
	v_pk_fma_f32 v[8:9], v[74:75], v[88:89], v[6:7] op_sel:[0,0,1] op_sel_hi:[1,1,0] neg_lo:[0,0,1] neg_hi:[0,0,1]
	v_pk_fma_f32 v[6:7], v[74:75], v[88:89], v[6:7] op_sel:[0,0,1] op_sel_hi:[1,0,0]
	s_waitcnt vmcnt(10)
	v_mov_b32_e32 v6, v87
	v_mov_b32_e32 v9, v7
	s_waitcnt lgkmcnt(2)
	v_pk_mul_f32 v[6:7], v[76:77], v[6:7] op_sel_hi:[1,0]
	v_pk_add_f32 v[4:5], v[4:5], v[8:9]
	v_pk_fma_f32 v[8:9], v[76:77], v[86:87], v[6:7] op_sel:[0,0,1] op_sel_hi:[1,1,0] neg_lo:[0,0,1] neg_hi:[0,0,1]
	v_pk_fma_f32 v[6:7], v[76:77], v[86:87], v[6:7] op_sel:[0,0,1] op_sel_hi:[1,0,0]
	s_waitcnt vmcnt(9)
	v_mov_b32_e32 v6, v91
	v_mov_b32_e32 v9, v7
	v_pk_mul_f32 v[6:7], v[78:79], v[6:7] op_sel_hi:[1,0]
	v_pk_add_f32 v[4:5], v[4:5], v[8:9]
	s_waitcnt vmcnt(4)
	v_pk_fma_f32 v[8:9], v[78:79], v[90:91], v[6:7] op_sel:[0,0,1] op_sel_hi:[1,1,0] neg_lo:[0,0,1] neg_hi:[0,0,1]
	v_pk_fma_f32 v[6:7], v[78:79], v[90:91], v[6:7] op_sel:[0,0,1] op_sel_hi:[1,0,0]
	v_mov_b32_e32 v6, v97
	v_mov_b32_e32 v9, v7
	s_waitcnt lgkmcnt(1)
	v_pk_mul_f32 v[6:7], v[80:81], v[6:7] op_sel_hi:[1,0]
	v_pk_add_f32 v[4:5], v[4:5], v[8:9]
	v_pk_fma_f32 v[8:9], v[80:81], v[96:97], v[6:7] op_sel:[0,0,1] op_sel_hi:[1,1,0] neg_lo:[0,0,1] neg_hi:[0,0,1]
	v_pk_fma_f32 v[6:7], v[80:81], v[96:97], v[6:7] op_sel:[0,0,1] op_sel_hi:[1,0,0]
	s_waitcnt vmcnt(3)
	v_mov_b32_e32 v6, v95
	v_mov_b32_e32 v9, v7
	v_pk_mul_f32 v[6:7], v[82:83], v[6:7] op_sel_hi:[1,0]
	v_pk_add_f32 v[4:5], v[4:5], v[8:9]
	v_pk_fma_f32 v[8:9], v[82:83], v[94:95], v[6:7] op_sel:[0,0,1] op_sel_hi:[1,1,0] neg_lo:[0,0,1] neg_hi:[0,0,1]
	v_pk_fma_f32 v[6:7], v[82:83], v[94:95], v[6:7] op_sel:[0,0,1] op_sel_hi:[1,0,0]
	s_waitcnt vmcnt(0)
	v_mov_b32_e32 v6, v93
	v_mov_b32_e32 v9, v7
	s_waitcnt lgkmcnt(0)
	v_pk_mul_f32 v[6:7], v[100:101], v[6:7] op_sel_hi:[1,0]
	v_pk_add_f32 v[4:5], v[4:5], v[8:9]
	v_pk_fma_f32 v[8:9], v[100:101], v[92:93], v[6:7] op_sel:[0,0,1] op_sel_hi:[1,1,0] neg_lo:[0,0,1] neg_hi:[0,0,1]
	v_pk_fma_f32 v[6:7], v[100:101], v[92:93], v[6:7] op_sel:[0,0,1] op_sel_hi:[1,0,0]
	v_mov_b32_e32 v9, v7
	v_pk_add_f32 v[4:5], v[4:5], v[8:9]
	v_pk_add_f32 v[4:5], v[98:99], v[4:5] neg_lo:[0,1] neg_hi:[0,1]
	buffer_store_dword v5, off, s[0:3], 0 offset:76
	buffer_store_dword v4, off, s[0:3], 0 offset:72
	s_and_saveexec_b64 s[4:5], vcc
	s_cbranch_execz .LBB24_147
; %bb.146:
	buffer_load_dword v4, off, s[0:3], 0 offset:64
	buffer_load_dword v5, off, s[0:3], 0 offset:68
	s_waitcnt vmcnt(0)
	ds_write_b64 v1, v[4:5]
	buffer_store_dword v2, off, s[0:3], 0 offset:64
	buffer_store_dword v2, off, s[0:3], 0 offset:68
.LBB24_147:
	s_or_b64 exec, exec, s[4:5]
	s_waitcnt lgkmcnt(0)
	; wave barrier
	s_waitcnt lgkmcnt(0)
	buffer_load_dword v104, off, s[0:3], 0 offset:76
	buffer_load_dword v106, off, s[0:3], 0 offset:84
	;; [unrolled: 1-line block ×32, first 2 shown]
	ds_read2_b64 v[4:7], v2 offset0:35 offset1:36
	ds_read2_b64 v[60:63], v2 offset0:37 offset1:38
	ds_read2_b64 v[64:67], v2 offset0:39 offset1:40
	ds_read2_b64 v[68:71], v2 offset0:41 offset1:42
	buffer_load_dword v103, off, s[0:3], 0 offset:196
	buffer_load_dword v102, off, s[0:3], 0 offset:192
	ds_read2_b64 v[72:75], v2 offset0:43 offset1:44
	ds_read2_b64 v[76:79], v2 offset0:45 offset1:46
	;; [unrolled: 1-line block ×4, first 2 shown]
	v_cmp_lt_u32_e32 vcc, 7, v0
	s_waitcnt vmcnt(33) lgkmcnt(7)
	v_mul_f32_e32 v121, v4, v104
	v_mul_f32_e32 v2, v5, v104
	s_waitcnt vmcnt(32)
	v_mul_f32_e32 v122, v6, v106
	s_waitcnt vmcnt(31) lgkmcnt(6)
	v_mul_f32_e32 v123, v60, v107
	v_mul_f32_e32 v104, v7, v106
	;; [unrolled: 1-line block ×3, first 2 shown]
	s_waitcnt vmcnt(30)
	v_mul_f32_e32 v107, v63, v108
	v_mul_f32_e32 v124, v62, v108
	s_waitcnt vmcnt(25)
	v_fmac_f32_e32 v121, v5, v113
	v_fma_f32 v4, v4, v113, -v2
	s_waitcnt vmcnt(24)
	v_fmac_f32_e32 v122, v7, v114
	v_fma_f32 v5, v6, v114, -v104
	s_waitcnt vmcnt(22)
	v_fma_f32 v7, v62, v116, -v107
	v_add_f32_e32 v62, 0, v121
	v_add_f32_e32 v4, 0, v4
	v_fmac_f32_e32 v123, v61, v115
	v_fma_f32 v6, v60, v115, -v106
	v_add_f32_e32 v62, v62, v122
	v_add_f32_e32 v4, v4, v5
	s_waitcnt lgkmcnt(5)
	v_mul_f32_e32 v125, v64, v109
	v_mul_f32_e32 v108, v65, v109
	v_fmac_f32_e32 v124, v63, v116
	v_add_f32_e32 v5, v62, v123
	v_add_f32_e32 v4, v4, v6
	v_mul_f32_e32 v126, v66, v110
	v_mul_f32_e32 v109, v67, v110
	s_waitcnt vmcnt(21)
	v_fmac_f32_e32 v125, v65, v117
	v_fma_f32 v60, v64, v117, -v108
	v_add_f32_e32 v5, v5, v124
	v_add_f32_e32 v4, v4, v7
	s_waitcnt lgkmcnt(4)
	v_mul_f32_e32 v3, v68, v111
	v_mul_f32_e32 v110, v69, v111
	s_waitcnt vmcnt(20)
	v_fmac_f32_e32 v126, v67, v118
	v_fma_f32 v61, v66, v118, -v109
	v_add_f32_e32 v5, v5, v125
	v_add_f32_e32 v4, v4, v60
	s_waitcnt vmcnt(19)
	v_fmac_f32_e32 v3, v69, v119
	v_fma_f32 v2, v68, v119, -v110
	v_add_f32_e32 v5, v5, v126
	v_add_f32_e32 v4, v4, v61
	v_pk_add_f32 v[2:3], v[4:5], v[2:3]
	s_waitcnt vmcnt(17)
	v_mov_b32_e32 v4, v9
	s_waitcnt lgkmcnt(3)
	v_pk_mul_f32 v[4:5], v[72:73], v[4:5] op_sel_hi:[1,0]
	v_mul_f32_e32 v105, v70, v112
	v_mul_f32_e32 v111, v71, v112
	s_waitcnt vmcnt(14)
	v_pk_fma_f32 v[6:7], v[72:73], v[8:9], v[4:5] op_sel:[0,0,1] op_sel_hi:[1,1,0] neg_lo:[0,0,1] neg_hi:[0,0,1]
	v_pk_fma_f32 v[4:5], v[72:73], v[8:9], v[4:5] op_sel:[0,0,1] op_sel_hi:[1,0,0]
	v_fmac_f32_e32 v105, v71, v120
	v_fma_f32 v104, v70, v120, -v111
	s_waitcnt vmcnt(13)
	v_mov_b32_e32 v4, v91
	v_pk_add_f32 v[2:3], v[2:3], v[104:105]
	v_mov_b32_e32 v7, v5
	v_pk_mul_f32 v[4:5], v[74:75], v[4:5] op_sel_hi:[1,0]
	v_pk_add_f32 v[2:3], v[2:3], v[6:7]
	v_pk_fma_f32 v[6:7], v[74:75], v[90:91], v[4:5] op_sel:[0,0,1] op_sel_hi:[1,1,0] neg_lo:[0,0,1] neg_hi:[0,0,1]
	v_pk_fma_f32 v[4:5], v[74:75], v[90:91], v[4:5] op_sel:[0,0,1] op_sel_hi:[1,0,0]
	s_waitcnt vmcnt(12)
	v_mov_b32_e32 v4, v89
	v_mov_b32_e32 v7, v5
	s_waitcnt lgkmcnt(2)
	v_pk_mul_f32 v[4:5], v[76:77], v[4:5] op_sel_hi:[1,0]
	v_pk_add_f32 v[2:3], v[2:3], v[6:7]
	v_pk_fma_f32 v[6:7], v[76:77], v[88:89], v[4:5] op_sel:[0,0,1] op_sel_hi:[1,1,0] neg_lo:[0,0,1] neg_hi:[0,0,1]
	v_pk_fma_f32 v[4:5], v[76:77], v[88:89], v[4:5] op_sel:[0,0,1] op_sel_hi:[1,0,0]
	s_waitcnt vmcnt(11)
	v_mov_b32_e32 v4, v93
	v_mov_b32_e32 v7, v5
	v_pk_mul_f32 v[4:5], v[78:79], v[4:5] op_sel_hi:[1,0]
	v_pk_add_f32 v[2:3], v[2:3], v[6:7]
	s_waitcnt vmcnt(5)
	v_pk_fma_f32 v[6:7], v[78:79], v[92:93], v[4:5] op_sel:[0,0,1] op_sel_hi:[1,1,0] neg_lo:[0,0,1] neg_hi:[0,0,1]
	v_pk_fma_f32 v[4:5], v[78:79], v[92:93], v[4:5] op_sel:[0,0,1] op_sel_hi:[1,0,0]
	v_mov_b32_e32 v4, v99
	v_mov_b32_e32 v7, v5
	s_waitcnt lgkmcnt(1)
	v_pk_mul_f32 v[4:5], v[80:81], v[4:5] op_sel_hi:[1,0]
	v_pk_add_f32 v[2:3], v[2:3], v[6:7]
	v_pk_fma_f32 v[6:7], v[80:81], v[98:99], v[4:5] op_sel:[0,0,1] op_sel_hi:[1,1,0] neg_lo:[0,0,1] neg_hi:[0,0,1]
	v_pk_fma_f32 v[4:5], v[80:81], v[98:99], v[4:5] op_sel:[0,0,1] op_sel_hi:[1,0,0]
	v_mov_b32_e32 v4, v97
	v_mov_b32_e32 v7, v5
	v_pk_mul_f32 v[4:5], v[82:83], v[4:5] op_sel_hi:[1,0]
	v_pk_add_f32 v[2:3], v[2:3], v[6:7]
	v_pk_fma_f32 v[6:7], v[82:83], v[96:97], v[4:5] op_sel:[0,0,1] op_sel_hi:[1,1,0] neg_lo:[0,0,1] neg_hi:[0,0,1]
	v_pk_fma_f32 v[4:5], v[82:83], v[96:97], v[4:5] op_sel:[0,0,1] op_sel_hi:[1,0,0]
	s_waitcnt vmcnt(2)
	v_mov_b32_e32 v4, v95
	v_mov_b32_e32 v7, v5
	s_waitcnt lgkmcnt(0)
	v_pk_mul_f32 v[4:5], v[84:85], v[4:5] op_sel_hi:[1,0]
	v_pk_add_f32 v[2:3], v[2:3], v[6:7]
	v_pk_fma_f32 v[6:7], v[84:85], v[94:95], v[4:5] op_sel:[0,0,1] op_sel_hi:[1,1,0] neg_lo:[0,0,1] neg_hi:[0,0,1]
	v_pk_fma_f32 v[4:5], v[84:85], v[94:95], v[4:5] op_sel:[0,0,1] op_sel_hi:[1,0,0]
	s_waitcnt vmcnt(1)
	v_mov_b32_e32 v4, v103
	v_mov_b32_e32 v7, v5
	v_pk_mul_f32 v[4:5], v[86:87], v[4:5] op_sel_hi:[1,0]
	v_pk_add_f32 v[2:3], v[2:3], v[6:7]
	s_waitcnt vmcnt(0)
	v_pk_fma_f32 v[6:7], v[86:87], v[102:103], v[4:5] op_sel:[0,0,1] op_sel_hi:[1,1,0] neg_lo:[0,0,1] neg_hi:[0,0,1]
	v_pk_fma_f32 v[4:5], v[86:87], v[102:103], v[4:5] op_sel:[0,0,1] op_sel_hi:[1,0,0]
	v_mov_b32_e32 v7, v5
	v_pk_add_f32 v[2:3], v[2:3], v[6:7]
	v_pk_add_f32 v[2:3], v[100:101], v[2:3] neg_lo:[0,1] neg_hi:[0,1]
	buffer_store_dword v3, off, s[0:3], 0 offset:68
	buffer_store_dword v2, off, s[0:3], 0 offset:64
	s_and_saveexec_b64 s[4:5], vcc
	s_cbranch_execz .LBB24_149
; %bb.148:
	buffer_load_dword v2, off, s[0:3], 0 offset:56
	buffer_load_dword v3, off, s[0:3], 0 offset:60
	v_mov_b32_e32 v4, 0
	buffer_store_dword v4, off, s[0:3], 0 offset:56
	buffer_store_dword v4, off, s[0:3], 0 offset:60
	s_waitcnt vmcnt(2)
	ds_write_b64 v1, v[2:3]
.LBB24_149:
	s_or_b64 exec, exec, s[4:5]
	s_waitcnt lgkmcnt(0)
	; wave barrier
	s_waitcnt lgkmcnt(0)
	buffer_load_dword v3, off, s[0:3], 0 offset:68
	buffer_load_dword v96, off, s[0:3], 0 offset:76
	;; [unrolled: 1-line block ×36, first 2 shown]
	v_mov_b32_e32 v2, 0
	ds_read_b128 v[4:7], v2 offset:272
	ds_read_b128 v[60:63], v2 offset:288
	;; [unrolled: 1-line block ×6, first 2 shown]
	v_cmp_lt_u32_e32 vcc, 6, v0
	s_waitcnt vmcnt(35) lgkmcnt(5)
	v_mul_f32_e32 v115, v4, v3
	s_waitcnt vmcnt(34)
	v_mul_f32_e32 v116, v6, v96
	s_waitcnt vmcnt(33) lgkmcnt(4)
	v_mul_f32_e32 v117, v60, v98
	v_mul_f32_e32 v3, v5, v3
	;; [unrolled: 1-line block ×4, first 2 shown]
	s_waitcnt vmcnt(32)
	v_mul_f32_e32 v118, v62, v100
	s_waitcnt vmcnt(31) lgkmcnt(3)
	v_mul_f32_e32 v119, v64, v101
	v_mul_f32_e32 v100, v63, v100
	s_waitcnt vmcnt(26)
	v_fmac_f32_e32 v115, v5, v106
	s_waitcnt vmcnt(25)
	v_fmac_f32_e32 v116, v7, v107
	;; [unrolled: 2-line block ×3, first 2 shown]
	v_fma_f32 v3, v4, v106, -v3
	v_add_f32_e32 v61, 0, v115
	v_fma_f32 v4, v6, v107, -v96
	v_add_f32_e32 v3, 0, v3
	v_add_f32_e32 v61, v61, v116
	s_waitcnt vmcnt(23)
	v_fmac_f32_e32 v118, v63, v109
	v_fma_f32 v5, v60, v108, -v98
	v_add_f32_e32 v3, v3, v4
	v_add_f32_e32 v4, v61, v117
	v_mul_f32_e32 v120, v66, v102
	v_mul_f32_e32 v101, v65, v101
	s_waitcnt vmcnt(22)
	v_fmac_f32_e32 v119, v65, v110
	v_fma_f32 v6, v62, v109, -v100
	v_add_f32_e32 v3, v3, v5
	v_add_f32_e32 v4, v4, v118
	s_waitcnt lgkmcnt(2)
	v_mul_f32_e32 v121, v68, v103
	v_mul_f32_e32 v102, v67, v102
	s_waitcnt vmcnt(21)
	v_fmac_f32_e32 v120, v67, v111
	v_fma_f32 v7, v64, v110, -v101
	v_add_f32_e32 v3, v3, v6
	v_add_f32_e32 v4, v4, v119
	v_mul_f32_e32 v103, v69, v103
	s_waitcnt vmcnt(20)
	v_fmac_f32_e32 v121, v69, v112
	v_fma_f32 v60, v66, v111, -v102
	v_add_f32_e32 v3, v3, v7
	v_add_f32_e32 v4, v4, v120
	;; [unrolled: 1-line block ×4, first 2 shown]
	v_fma_f32 v4, v68, v112, -v103
	v_mul_f32_e32 v97, v70, v104
	v_add_f32_e32 v64, v3, v4
	v_mul_f32_e32 v3, v71, v104
	s_waitcnt vmcnt(17)
	v_mov_b32_e32 v68, v9
	s_waitcnt lgkmcnt(1)
	v_mul_f32_e32 v99, v72, v105
	v_fmac_f32_e32 v97, v71, v113
	v_fma_f32 v96, v70, v113, -v3
	v_mul_f32_e32 v3, v73, v105
	v_pk_mul_f32 v[68:69], v[74:75], v[68:69] op_sel_hi:[1,0]
	v_fmac_f32_e32 v99, v73, v114
	v_fma_f32 v98, v72, v114, -v3
	v_pk_add_f32 v[64:65], v[64:65], v[96:97]
	s_waitcnt vmcnt(15)
	v_pk_fma_f32 v[70:71], v[74:75], v[8:9], v[68:69] op_sel:[0,0,1] op_sel_hi:[1,1,0] neg_lo:[0,0,1] neg_hi:[0,0,1]
	v_pk_fma_f32 v[8:9], v[74:75], v[8:9], v[68:69] op_sel:[0,0,1] op_sel_hi:[1,0,0]
	v_pk_add_f32 v[64:65], v[64:65], v[98:99]
	v_mov_b32_e32 v71, v9
	v_pk_add_f32 v[8:9], v[64:65], v[70:71]
	s_waitcnt vmcnt(12)
	v_mov_b32_e32 v64, v81
	s_waitcnt lgkmcnt(0)
	v_pk_mul_f32 v[64:65], v[76:77], v[64:65] op_sel_hi:[1,0]
	v_pk_fma_f32 v[68:69], v[76:77], v[80:81], v[64:65] op_sel:[0,0,1] op_sel_hi:[1,1,0] neg_lo:[0,0,1] neg_hi:[0,0,1]
	v_pk_fma_f32 v[64:65], v[76:77], v[80:81], v[64:65] op_sel:[0,0,1] op_sel_hi:[1,0,0]
	s_waitcnt vmcnt(11)
	v_mov_b32_e32 v64, v85
	ds_read_b128 v[4:7], v2 offset:368
	ds_read_b128 v[60:63], v2 offset:384
	ds_read_b64 v[66:67], v2 offset:400
	v_mov_b32_e32 v69, v65
	v_pk_mul_f32 v[64:65], v[78:79], v[64:65] op_sel_hi:[1,0]
	v_pk_add_f32 v[8:9], v[8:9], v[68:69]
	s_waitcnt vmcnt(4)
	v_pk_fma_f32 v[68:69], v[78:79], v[84:85], v[64:65] op_sel:[0,0,1] op_sel_hi:[1,1,0] neg_lo:[0,0,1] neg_hi:[0,0,1]
	v_pk_fma_f32 v[64:65], v[78:79], v[84:85], v[64:65] op_sel:[0,0,1] op_sel_hi:[1,0,0]
	v_mov_b32_e32 v64, v91
	v_mov_b32_e32 v69, v65
	s_waitcnt lgkmcnt(2)
	v_pk_mul_f32 v[64:65], v[4:5], v[64:65] op_sel_hi:[1,0]
	v_pk_add_f32 v[8:9], v[8:9], v[68:69]
	v_pk_fma_f32 v[68:69], v[4:5], v[90:91], v[64:65] op_sel:[0,0,1] op_sel_hi:[1,1,0] neg_lo:[0,0,1] neg_hi:[0,0,1]
	v_pk_fma_f32 v[4:5], v[4:5], v[90:91], v[64:65] op_sel:[0,0,1] op_sel_hi:[1,0,0]
	v_mov_b32_e32 v69, v5
	v_pk_add_f32 v[4:5], v[8:9], v[68:69]
	v_mov_b32_e32 v8, v89
	v_pk_mul_f32 v[8:9], v[6:7], v[8:9] op_sel_hi:[1,0]
	v_pk_fma_f32 v[64:65], v[6:7], v[88:89], v[8:9] op_sel:[0,0,1] op_sel_hi:[1,1,0] neg_lo:[0,0,1] neg_hi:[0,0,1]
	v_pk_fma_f32 v[6:7], v[6:7], v[88:89], v[8:9] op_sel:[0,0,1] op_sel_hi:[1,0,0]
	v_mov_b32_e32 v6, v87
	v_mov_b32_e32 v65, v7
	s_waitcnt lgkmcnt(1)
	v_pk_mul_f32 v[6:7], v[60:61], v[6:7] op_sel_hi:[1,0]
	v_pk_fma_f32 v[8:9], v[60:61], v[86:87], v[6:7] op_sel:[0,0,1] op_sel_hi:[1,1,0] neg_lo:[0,0,1] neg_hi:[0,0,1]
	v_pk_fma_f32 v[6:7], v[60:61], v[86:87], v[6:7] op_sel:[0,0,1] op_sel_hi:[1,0,0]
	s_waitcnt vmcnt(1)
	v_mov_b32_e32 v6, v95
	v_pk_add_f32 v[4:5], v[4:5], v[64:65]
	v_mov_b32_e32 v9, v7
	v_pk_mul_f32 v[6:7], v[62:63], v[6:7] op_sel_hi:[1,0]
	v_pk_add_f32 v[4:5], v[4:5], v[8:9]
	s_waitcnt vmcnt(0)
	v_pk_fma_f32 v[8:9], v[62:63], v[94:95], v[6:7] op_sel:[0,0,1] op_sel_hi:[1,1,0] neg_lo:[0,0,1] neg_hi:[0,0,1]
	v_pk_fma_f32 v[6:7], v[62:63], v[94:95], v[6:7] op_sel:[0,0,1] op_sel_hi:[1,0,0]
	v_mov_b32_e32 v6, v93
	v_mov_b32_e32 v9, v7
	s_waitcnt lgkmcnt(0)
	v_pk_mul_f32 v[6:7], v[66:67], v[6:7] op_sel_hi:[1,0]
	v_pk_add_f32 v[4:5], v[4:5], v[8:9]
	v_pk_fma_f32 v[8:9], v[66:67], v[92:93], v[6:7] op_sel:[0,0,1] op_sel_hi:[1,1,0] neg_lo:[0,0,1] neg_hi:[0,0,1]
	v_pk_fma_f32 v[6:7], v[66:67], v[92:93], v[6:7] op_sel:[0,0,1] op_sel_hi:[1,0,0]
	v_mov_b32_e32 v9, v7
	v_pk_add_f32 v[4:5], v[4:5], v[8:9]
	v_pk_add_f32 v[4:5], v[82:83], v[4:5] neg_lo:[0,1] neg_hi:[0,1]
	buffer_store_dword v5, off, s[0:3], 0 offset:60
	buffer_store_dword v4, off, s[0:3], 0 offset:56
	s_and_saveexec_b64 s[4:5], vcc
	s_cbranch_execz .LBB24_151
; %bb.150:
	buffer_load_dword v4, off, s[0:3], 0 offset:48
	buffer_load_dword v5, off, s[0:3], 0 offset:52
	s_waitcnt vmcnt(0)
	ds_write_b64 v1, v[4:5]
	buffer_store_dword v2, off, s[0:3], 0 offset:48
	buffer_store_dword v2, off, s[0:3], 0 offset:52
.LBB24_151:
	s_or_b64 exec, exec, s[4:5]
	s_waitcnt lgkmcnt(0)
	; wave barrier
	s_waitcnt lgkmcnt(0)
	buffer_load_dword v3, off, s[0:3], 0 offset:60
	buffer_load_dword v96, off, s[0:3], 0 offset:68
	;; [unrolled: 1-line block ×22, first 2 shown]
	ds_read2_b64 v[4:7], v2 offset0:33 offset1:34
	ds_read2_b64 v[60:63], v2 offset0:35 offset1:36
	buffer_load_dword v81, off, s[0:3], 0 offset:140
	buffer_load_dword v80, off, s[0:3], 0 offset:136
	;; [unrolled: 1-line block ×10, first 2 shown]
	ds_read2_b64 v[64:67], v2 offset0:37 offset1:38
	ds_read2_b64 v[68:71], v2 offset0:39 offset1:40
	;; [unrolled: 1-line block ×4, first 2 shown]
	buffer_load_dword v91, off, s[0:3], 0 offset:196
	buffer_load_dword v90, off, s[0:3], 0 offset:192
	;; [unrolled: 1-line block ×6, first 2 shown]
	v_cmp_lt_u32_e32 vcc, 5, v0
	s_waitcnt vmcnt(37) lgkmcnt(5)
	v_mul_f32_e32 v117, v4, v3
	s_waitcnt vmcnt(36)
	v_mul_f32_e32 v118, v6, v96
	s_waitcnt vmcnt(35) lgkmcnt(4)
	v_mul_f32_e32 v119, v60, v98
	v_mul_f32_e32 v3, v5, v3
	;; [unrolled: 1-line block ×4, first 2 shown]
	s_waitcnt vmcnt(34)
	v_mul_f32_e32 v120, v62, v100
	s_waitcnt vmcnt(33) lgkmcnt(3)
	v_mul_f32_e32 v121, v64, v101
	s_waitcnt vmcnt(32)
	v_mul_f32_e32 v122, v66, v102
	s_waitcnt vmcnt(31) lgkmcnt(2)
	v_mul_f32_e32 v123, v68, v103
	s_waitcnt vmcnt(27)
	v_fmac_f32_e32 v117, v5, v107
	s_waitcnt vmcnt(26)
	v_fmac_f32_e32 v118, v7, v108
	v_fma_f32 v3, v4, v107, -v3
	s_waitcnt vmcnt(25)
	v_fma_f32 v5, v60, v109, -v98
	v_add_f32_e32 v60, 0, v117
	v_fmac_f32_e32 v119, v61, v109
	v_fma_f32 v4, v6, v108, -v96
	v_add_f32_e32 v3, 0, v3
	v_add_f32_e32 v60, v60, v118
	s_waitcnt vmcnt(24)
	v_fmac_f32_e32 v120, v63, v110
	v_add_f32_e32 v3, v3, v4
	v_add_f32_e32 v4, v60, v119
	s_waitcnt vmcnt(23)
	v_fmac_f32_e32 v121, v65, v111
	v_add_f32_e32 v4, v4, v120
	v_mul_f32_e32 v100, v63, v100
	s_waitcnt vmcnt(22)
	v_fmac_f32_e32 v122, v67, v112
	v_add_f32_e32 v4, v4, v121
	v_mul_f32_e32 v124, v70, v104
	v_mul_f32_e32 v101, v65, v101
	s_waitcnt vmcnt(21)
	v_fmac_f32_e32 v123, v69, v113
	v_fma_f32 v6, v62, v110, -v100
	v_add_f32_e32 v3, v3, v5
	v_add_f32_e32 v4, v4, v122
	v_mul_f32_e32 v102, v67, v102
	s_waitcnt vmcnt(20)
	v_fmac_f32_e32 v124, v71, v114
	v_fma_f32 v7, v64, v111, -v101
	v_add_f32_e32 v3, v3, v6
	v_add_f32_e32 v4, v4, v123
	;; [unrolled: 1-line block ×4, first 2 shown]
	v_fma_f32 v4, v66, v112, -v102
	v_add_f32_e32 v3, v3, v4
	v_mul_f32_e32 v4, v69, v103
	v_fma_f32 v4, v68, v113, -v4
	v_add_f32_e32 v3, v3, v4
	v_mul_f32_e32 v4, v71, v104
	v_fma_f32 v4, v70, v114, -v4
	s_waitcnt vmcnt(15)
	v_mov_b32_e32 v68, v81
	s_waitcnt lgkmcnt(1)
	v_mul_f32_e32 v97, v72, v105
	v_add_f32_e32 v100, v3, v4
	v_mul_f32_e32 v3, v73, v105
	s_waitcnt lgkmcnt(0)
	v_pk_mul_f32 v[68:69], v[76:77], v[68:69] op_sel_hi:[1,0]
	v_mul_f32_e32 v99, v74, v106
	v_fmac_f32_e32 v97, v73, v115
	v_fma_f32 v96, v72, v115, -v3
	v_mul_f32_e32 v3, v75, v106
	s_waitcnt vmcnt(14)
	v_pk_fma_f32 v[70:71], v[76:77], v[80:81], v[68:69] op_sel:[0,0,1] op_sel_hi:[1,1,0] neg_lo:[0,0,1] neg_hi:[0,0,1]
	v_pk_fma_f32 v[68:69], v[76:77], v[80:81], v[68:69] op_sel:[0,0,1] op_sel_hi:[1,0,0]
	v_fmac_f32_e32 v99, v75, v116
	v_fma_f32 v98, v74, v116, -v3
	ds_read2_b64 v[4:7], v2 offset0:45 offset1:46
	ds_read2_b64 v[60:63], v2 offset0:47 offset1:48
	;; [unrolled: 1-line block ×3, first 2 shown]
	v_pk_add_f32 v[2:3], v[100:101], v[96:97]
	s_waitcnt vmcnt(13)
	v_mov_b32_e32 v68, v83
	v_pk_add_f32 v[2:3], v[2:3], v[98:99]
	v_mov_b32_e32 v71, v69
	v_pk_mul_f32 v[68:69], v[78:79], v[68:69] op_sel_hi:[1,0]
	v_pk_add_f32 v[2:3], v[2:3], v[70:71]
	s_waitcnt vmcnt(6)
	v_pk_fma_f32 v[70:71], v[78:79], v[82:83], v[68:69] op_sel:[0,0,1] op_sel_hi:[1,1,0] neg_lo:[0,0,1] neg_hi:[0,0,1]
	v_pk_fma_f32 v[68:69], v[78:79], v[82:83], v[68:69] op_sel:[0,0,1] op_sel_hi:[1,0,0]
	v_mov_b32_e32 v68, v89
	v_mov_b32_e32 v71, v69
	s_waitcnt lgkmcnt(2)
	v_pk_mul_f32 v[68:69], v[4:5], v[68:69] op_sel_hi:[1,0]
	v_pk_add_f32 v[2:3], v[2:3], v[70:71]
	v_pk_fma_f32 v[70:71], v[4:5], v[88:89], v[68:69] op_sel:[0,0,1] op_sel_hi:[1,1,0] neg_lo:[0,0,1] neg_hi:[0,0,1]
	v_pk_fma_f32 v[4:5], v[4:5], v[88:89], v[68:69] op_sel:[0,0,1] op_sel_hi:[1,0,0]
	v_mov_b32_e32 v4, v87
	v_mov_b32_e32 v71, v5
	v_pk_mul_f32 v[4:5], v[6:7], v[4:5] op_sel_hi:[1,0]
	v_pk_fma_f32 v[68:69], v[6:7], v[86:87], v[4:5] op_sel:[0,0,1] op_sel_hi:[1,1,0] neg_lo:[0,0,1] neg_hi:[0,0,1]
	v_pk_fma_f32 v[4:5], v[6:7], v[86:87], v[4:5] op_sel:[0,0,1] op_sel_hi:[1,0,0]
	v_mov_b32_e32 v4, v85
	v_mov_b32_e32 v69, v5
	s_waitcnt lgkmcnt(1)
	v_pk_mul_f32 v[4:5], v[60:61], v[4:5] op_sel_hi:[1,0]
	v_pk_fma_f32 v[6:7], v[60:61], v[84:85], v[4:5] op_sel:[0,0,1] op_sel_hi:[1,1,0] neg_lo:[0,0,1] neg_hi:[0,0,1]
	v_pk_fma_f32 v[4:5], v[60:61], v[84:85], v[4:5] op_sel:[0,0,1] op_sel_hi:[1,0,0]
	v_pk_add_f32 v[2:3], v[2:3], v[70:71]
	s_waitcnt vmcnt(1)
	v_mov_b32_e32 v4, v95
	v_pk_add_f32 v[2:3], v[2:3], v[68:69]
	v_mov_b32_e32 v7, v5
	v_pk_mul_f32 v[4:5], v[62:63], v[4:5] op_sel_hi:[1,0]
	v_pk_add_f32 v[2:3], v[2:3], v[6:7]
	s_waitcnt vmcnt(0)
	v_pk_fma_f32 v[6:7], v[62:63], v[94:95], v[4:5] op_sel:[0,0,1] op_sel_hi:[1,1,0] neg_lo:[0,0,1] neg_hi:[0,0,1]
	v_pk_fma_f32 v[4:5], v[62:63], v[94:95], v[4:5] op_sel:[0,0,1] op_sel_hi:[1,0,0]
	v_mov_b32_e32 v4, v93
	v_mov_b32_e32 v7, v5
	s_waitcnt lgkmcnt(0)
	v_pk_mul_f32 v[4:5], v[64:65], v[4:5] op_sel_hi:[1,0]
	v_pk_add_f32 v[2:3], v[2:3], v[6:7]
	v_pk_fma_f32 v[6:7], v[64:65], v[92:93], v[4:5] op_sel:[0,0,1] op_sel_hi:[1,1,0] neg_lo:[0,0,1] neg_hi:[0,0,1]
	v_pk_fma_f32 v[4:5], v[64:65], v[92:93], v[4:5] op_sel:[0,0,1] op_sel_hi:[1,0,0]
	v_mov_b32_e32 v4, v91
	v_mov_b32_e32 v7, v5
	v_pk_mul_f32 v[4:5], v[66:67], v[4:5] op_sel_hi:[1,0]
	v_pk_add_f32 v[2:3], v[2:3], v[6:7]
	v_pk_fma_f32 v[6:7], v[66:67], v[90:91], v[4:5] op_sel:[0,0,1] op_sel_hi:[1,1,0] neg_lo:[0,0,1] neg_hi:[0,0,1]
	v_pk_fma_f32 v[4:5], v[66:67], v[90:91], v[4:5] op_sel:[0,0,1] op_sel_hi:[1,0,0]
	v_mov_b32_e32 v7, v5
	v_pk_add_f32 v[2:3], v[2:3], v[6:7]
	v_pk_add_f32 v[2:3], v[8:9], v[2:3] neg_lo:[0,1] neg_hi:[0,1]
	buffer_store_dword v3, off, s[0:3], 0 offset:52
	buffer_store_dword v2, off, s[0:3], 0 offset:48
	s_and_saveexec_b64 s[4:5], vcc
	s_cbranch_execz .LBB24_153
; %bb.152:
	buffer_load_dword v2, off, s[0:3], 0 offset:40
	buffer_load_dword v3, off, s[0:3], 0 offset:44
	v_mov_b32_e32 v4, 0
	buffer_store_dword v4, off, s[0:3], 0 offset:40
	buffer_store_dword v4, off, s[0:3], 0 offset:44
	s_waitcnt vmcnt(2)
	ds_write_b64 v1, v[2:3]
.LBB24_153:
	s_or_b64 exec, exec, s[4:5]
	v_mov_b32_e32 v62, 0
	s_waitcnt lgkmcnt(0)
	; wave barrier
	s_waitcnt lgkmcnt(0)
	ds_read_b128 v[64:67], v62 offset:256
	ds_read_b128 v[68:71], v62 offset:272
	;; [unrolled: 1-line block ×4, first 2 shown]
	buffer_load_dword v60, off, s[0:3], 0 offset:40
	buffer_load_dword v61, off, s[0:3], 0 offset:44
	;; [unrolled: 1-line block ×18, first 2 shown]
	v_cmp_lt_u32_e32 vcc, 4, v0
	s_waitcnt vmcnt(14) lgkmcnt(3)
	v_mul_f32_e32 v72, v64, v80
	v_fmac_f32_e32 v72, v65, v63
	s_waitcnt vmcnt(12)
	v_mul_f32_e32 v73, v66, v84
	v_add_f32_e32 v72, 0, v72
	v_fmac_f32_e32 v73, v67, v82
	v_add_f32_e32 v72, v72, v73
	s_waitcnt vmcnt(10) lgkmcnt(2)
	v_mul_f32_e32 v73, v68, v103
	v_fmac_f32_e32 v73, v69, v102
	v_add_f32_e32 v72, v72, v73
	s_waitcnt vmcnt(8)
	v_mul_f32_e32 v73, v70, v105
	v_fmac_f32_e32 v73, v71, v104
	v_add_f32_e32 v72, v72, v73
	s_waitcnt vmcnt(6) lgkmcnt(1)
	v_mul_f32_e32 v73, v6, v107
	v_fmac_f32_e32 v73, v7, v106
	v_add_f32_e32 v72, v72, v73
	s_waitcnt vmcnt(4)
	v_mul_f32_e32 v73, v8, v109
	;; [unrolled: 8-line block ×3, first 2 shown]
	v_fmac_f32_e32 v73, v5, v112
	v_add_f32_e32 v76, v72, v73
	ds_read_b128 v[72:75], v62 offset:320
	buffer_load_dword v114, off, s[0:3], 0 offset:112
	buffer_load_dword v115, off, s[0:3], 0 offset:116
	;; [unrolled: 1-line block ×4, first 2 shown]
	v_mul_f32_e32 v65, v65, v80
	v_fma_f32 v63, v64, v63, -v65
	v_mul_f32_e32 v64, v67, v84
	v_add_f32_e32 v63, 0, v63
	v_fma_f32 v64, v66, v82, -v64
	v_add_f32_e32 v63, v63, v64
	v_mul_f32_e32 v64, v69, v103
	v_fma_f32 v64, v68, v102, -v64
	v_add_f32_e32 v63, v63, v64
	v_mul_f32_e32 v64, v71, v105
	v_fma_f32 v64, v70, v104, -v64
	v_mul_f32_e32 v7, v7, v107
	v_add_f32_e32 v63, v63, v64
	v_fma_f32 v6, v6, v106, -v7
	v_mul_f32_e32 v7, v9, v109
	v_add_f32_e32 v6, v63, v6
	;; [unrolled: 3-line block ×4, first 2 shown]
	v_fma_f32 v3, v4, v112, -v3
	v_add_f32_e32 v2, v2, v3
	s_waitcnt vmcnt(2) lgkmcnt(0)
	v_mul_f32_e32 v77, v72, v115
	v_fmac_f32_e32 v77, v73, v114
	v_add_f32_e32 v81, v76, v77
	ds_read_b128 v[76:79], v62 offset:336
	buffer_load_dword v118, off, s[0:3], 0 offset:128
	buffer_load_dword v119, off, s[0:3], 0 offset:132
	;; [unrolled: 1-line block ×18, first 2 shown]
	v_mul_f32_e32 v3, v73, v115
	v_fma_f32 v3, v72, v114, -v3
	v_add_f32_e32 v80, v2, v3
	s_waitcnt vmcnt(18)
	v_mul_f32_e32 v2, v75, v117
	v_mul_f32_e32 v83, v74, v117
	v_fma_f32 v82, v74, v116, -v2
	v_fmac_f32_e32 v83, v75, v116
	v_pk_add_f32 v[70:71], v[80:81], v[82:83]
	s_waitcnt vmcnt(15)
	v_mov_b32_e32 v72, v87
	s_waitcnt lgkmcnt(0)
	v_pk_mul_f32 v[72:73], v[78:79], v[72:73] op_sel_hi:[1,0]
	s_waitcnt vmcnt(14)
	v_pk_fma_f32 v[74:75], v[78:79], v[86:87], v[72:73] op_sel:[0,0,1] op_sel_hi:[1,1,0] neg_lo:[0,0,1] neg_hi:[0,0,1]
	v_pk_fma_f32 v[72:73], v[78:79], v[86:87], v[72:73] op_sel:[0,0,1] op_sel_hi:[1,0,0]
	s_waitcnt vmcnt(13)
	v_mov_b32_e32 v72, v89
	v_mov_b32_e32 v75, v73
	v_mul_f32_e32 v2, v77, v119
	v_mul_f32_e32 v85, v76, v119
	v_fma_f32 v84, v76, v118, -v2
	ds_read_b128 v[2:5], v62 offset:352
	ds_read_b128 v[6:9], v62 offset:368
	;; [unrolled: 1-line block ×3, first 2 shown]
	ds_read_b64 v[68:69], v62 offset:400
	v_fmac_f32_e32 v85, v77, v118
	v_pk_add_f32 v[70:71], v[70:71], v[84:85]
	s_waitcnt lgkmcnt(3)
	v_pk_mul_f32 v[72:73], v[2:3], v[72:73] op_sel_hi:[1,0]
	v_pk_add_f32 v[70:71], v[70:71], v[74:75]
	s_waitcnt vmcnt(12)
	v_pk_fma_f32 v[74:75], v[2:3], v[88:89], v[72:73] op_sel:[0,0,1] op_sel_hi:[1,1,0] neg_lo:[0,0,1] neg_hi:[0,0,1]
	v_pk_fma_f32 v[2:3], v[2:3], v[88:89], v[72:73] op_sel:[0,0,1] op_sel_hi:[1,0,0]
	v_mov_b32_e32 v75, v3
	v_pk_add_f32 v[2:3], v[70:71], v[74:75]
	s_waitcnt vmcnt(11)
	v_mov_b32_e32 v70, v91
	v_pk_mul_f32 v[70:71], v[4:5], v[70:71] op_sel_hi:[1,0]
	s_waitcnt vmcnt(10)
	v_pk_fma_f32 v[72:73], v[4:5], v[90:91], v[70:71] op_sel:[0,0,1] op_sel_hi:[1,1,0] neg_lo:[0,0,1] neg_hi:[0,0,1]
	v_pk_fma_f32 v[4:5], v[4:5], v[90:91], v[70:71] op_sel:[0,0,1] op_sel_hi:[1,0,0]
	s_waitcnt vmcnt(9)
	v_mov_b32_e32 v4, v93
	v_mov_b32_e32 v73, v5
	s_waitcnt lgkmcnt(2)
	v_pk_mul_f32 v[4:5], v[6:7], v[4:5] op_sel_hi:[1,0]
	s_waitcnt vmcnt(8)
	v_pk_fma_f32 v[70:71], v[6:7], v[92:93], v[4:5] op_sel:[0,0,1] op_sel_hi:[1,1,0] neg_lo:[0,0,1] neg_hi:[0,0,1]
	v_pk_fma_f32 v[4:5], v[6:7], v[92:93], v[4:5] op_sel:[0,0,1] op_sel_hi:[1,0,0]
	s_waitcnt vmcnt(7)
	v_mov_b32_e32 v4, v95
	v_mov_b32_e32 v71, v5
	v_pk_mul_f32 v[4:5], v[8:9], v[4:5] op_sel_hi:[1,0]
	s_waitcnt vmcnt(6)
	v_pk_fma_f32 v[6:7], v[8:9], v[94:95], v[4:5] op_sel:[0,0,1] op_sel_hi:[1,1,0] neg_lo:[0,0,1] neg_hi:[0,0,1]
	v_pk_fma_f32 v[4:5], v[8:9], v[94:95], v[4:5] op_sel:[0,0,1] op_sel_hi:[1,0,0]
	v_pk_add_f32 v[2:3], v[2:3], v[72:73]
	s_waitcnt vmcnt(5)
	v_mov_b32_e32 v4, v97
	v_pk_add_f32 v[2:3], v[2:3], v[70:71]
	v_mov_b32_e32 v7, v5
	s_waitcnt lgkmcnt(1)
	v_pk_mul_f32 v[4:5], v[64:65], v[4:5] op_sel_hi:[1,0]
	v_pk_add_f32 v[2:3], v[2:3], v[6:7]
	s_waitcnt vmcnt(4)
	v_pk_fma_f32 v[6:7], v[64:65], v[96:97], v[4:5] op_sel:[0,0,1] op_sel_hi:[1,1,0] neg_lo:[0,0,1] neg_hi:[0,0,1]
	v_pk_fma_f32 v[4:5], v[64:65], v[96:97], v[4:5] op_sel:[0,0,1] op_sel_hi:[1,0,0]
	s_waitcnt vmcnt(3)
	v_mov_b32_e32 v4, v99
	v_mov_b32_e32 v7, v5
	v_pk_mul_f32 v[4:5], v[66:67], v[4:5] op_sel_hi:[1,0]
	v_pk_add_f32 v[2:3], v[2:3], v[6:7]
	s_waitcnt vmcnt(2)
	v_pk_fma_f32 v[6:7], v[66:67], v[98:99], v[4:5] op_sel:[0,0,1] op_sel_hi:[1,1,0] neg_lo:[0,0,1] neg_hi:[0,0,1]
	v_pk_fma_f32 v[4:5], v[66:67], v[98:99], v[4:5] op_sel:[0,0,1] op_sel_hi:[1,0,0]
	s_waitcnt vmcnt(1)
	v_mov_b32_e32 v4, v101
	v_mov_b32_e32 v7, v5
	s_waitcnt lgkmcnt(0)
	v_pk_mul_f32 v[4:5], v[68:69], v[4:5] op_sel_hi:[1,0]
	v_pk_add_f32 v[2:3], v[2:3], v[6:7]
	s_waitcnt vmcnt(0)
	v_pk_fma_f32 v[6:7], v[68:69], v[100:101], v[4:5] op_sel:[0,0,1] op_sel_hi:[1,1,0] neg_lo:[0,0,1] neg_hi:[0,0,1]
	v_pk_fma_f32 v[4:5], v[68:69], v[100:101], v[4:5] op_sel:[0,0,1] op_sel_hi:[1,0,0]
	v_mov_b32_e32 v7, v5
	v_pk_add_f32 v[2:3], v[2:3], v[6:7]
	v_pk_add_f32 v[2:3], v[60:61], v[2:3] neg_lo:[0,1] neg_hi:[0,1]
	buffer_store_dword v3, off, s[0:3], 0 offset:44
	buffer_store_dword v2, off, s[0:3], 0 offset:40
	s_and_saveexec_b64 s[4:5], vcc
	s_cbranch_execz .LBB24_155
; %bb.154:
	buffer_load_dword v2, off, s[0:3], 0 offset:32
	buffer_load_dword v3, off, s[0:3], 0 offset:36
	s_waitcnt vmcnt(0)
	ds_write_b64 v1, v[2:3]
	buffer_store_dword v62, off, s[0:3], 0 offset:32
	buffer_store_dword v62, off, s[0:3], 0 offset:36
.LBB24_155:
	s_or_b64 exec, exec, s[4:5]
	s_waitcnt lgkmcnt(0)
	; wave barrier
	s_waitcnt lgkmcnt(0)
	ds_read2_b64 v[4:7], v62 offset0:31 offset1:32
	buffer_load_dword v2, off, s[0:3], 0 offset:32
	buffer_load_dword v3, off, s[0:3], 0 offset:36
	;; [unrolled: 1-line block ×16, first 2 shown]
	v_cmp_lt_u32_e32 vcc, 3, v0
	s_waitcnt vmcnt(12) lgkmcnt(0)
	v_mul_f32_e32 v9, v4, v60
	v_fmac_f32_e32 v9, v5, v8
	s_waitcnt vmcnt(10)
	v_mul_f32_e32 v64, v6, v63
	v_add_f32_e32 v9, 0, v9
	v_fmac_f32_e32 v64, v7, v61
	v_add_f32_e32 v9, v9, v64
	ds_read2_b64 v[64:67], v62 offset0:33 offset1:34
	v_mul_f32_e32 v5, v5, v60
	v_fma_f32 v4, v4, v8, -v5
	v_mul_f32_e32 v5, v7, v63
	v_add_f32_e32 v4, 0, v4
	s_waitcnt vmcnt(8) lgkmcnt(0)
	v_mul_f32_e32 v68, v64, v90
	v_fmac_f32_e32 v68, v65, v88
	v_add_f32_e32 v9, v9, v68
	s_waitcnt vmcnt(6)
	v_mul_f32_e32 v68, v66, v109
	v_fmac_f32_e32 v68, v67, v108
	v_add_f32_e32 v9, v9, v68
	ds_read2_b64 v[68:71], v62 offset0:35 offset1:36
	v_fma_f32 v5, v6, v61, -v5
	v_add_f32_e32 v4, v4, v5
	v_mul_f32_e32 v5, v65, v90
	v_fma_f32 v5, v64, v88, -v5
	s_waitcnt vmcnt(4) lgkmcnt(0)
	v_mul_f32_e32 v72, v68, v111
	v_fmac_f32_e32 v72, v69, v110
	v_add_f32_e32 v9, v9, v72
	s_waitcnt vmcnt(2)
	v_mul_f32_e32 v72, v70, v113
	v_fmac_f32_e32 v72, v71, v112
	v_add_f32_e32 v9, v9, v72
	ds_read2_b64 v[72:75], v62 offset0:37 offset1:38
	buffer_load_dword v116, off, s[0:3], 0 offset:96
	buffer_load_dword v117, off, s[0:3], 0 offset:100
	v_add_f32_e32 v4, v4, v5
	v_mul_f32_e32 v5, v67, v109
	v_fma_f32 v5, v66, v108, -v5
	s_waitcnt vmcnt(2) lgkmcnt(0)
	v_mul_f32_e32 v76, v72, v115
	v_fmac_f32_e32 v76, v73, v114
	v_add_f32_e32 v9, v9, v76
	v_add_f32_e32 v4, v4, v5
	v_mul_f32_e32 v5, v69, v111
	v_fma_f32 v5, v68, v110, -v5
	v_add_f32_e32 v4, v4, v5
	v_mul_f32_e32 v5, v71, v113
	v_fma_f32 v5, v70, v112, -v5
	;; [unrolled: 3-line block ×3, first 2 shown]
	v_add_f32_e32 v4, v4, v5
	s_waitcnt vmcnt(0)
	v_mul_f32_e32 v76, v74, v117
	v_fmac_f32_e32 v76, v75, v116
	v_add_f32_e32 v9, v9, v76
	ds_read2_b64 v[76:79], v62 offset0:39 offset1:40
	buffer_load_dword v118, off, s[0:3], 0 offset:104
	buffer_load_dword v119, off, s[0:3], 0 offset:108
	;; [unrolled: 1-line block ×4, first 2 shown]
	v_mul_f32_e32 v5, v75, v117
	v_fma_f32 v5, v74, v116, -v5
	v_add_f32_e32 v4, v4, v5
	s_waitcnt vmcnt(2) lgkmcnt(0)
	v_mul_f32_e32 v80, v76, v119
	v_fmac_f32_e32 v80, v77, v118
	v_add_f32_e32 v9, v9, v80
	s_waitcnt vmcnt(0)
	v_mul_f32_e32 v80, v78, v121
	v_fmac_f32_e32 v80, v79, v120
	v_add_f32_e32 v9, v9, v80
	ds_read2_b64 v[80:83], v62 offset0:41 offset1:42
	buffer_load_dword v122, off, s[0:3], 0 offset:120
	buffer_load_dword v123, off, s[0:3], 0 offset:124
	;; [unrolled: 1-line block ×6, first 2 shown]
	ds_read2_b64 v[84:87], v62 offset0:43 offset1:44
	buffer_load_dword v95, off, s[0:3], 0 offset:148
	buffer_load_dword v94, off, s[0:3], 0 offset:144
	;; [unrolled: 1-line block ×14, first 2 shown]
	v_mul_f32_e32 v5, v77, v119
	v_fma_f32 v5, v76, v118, -v5
	v_add_f32_e32 v4, v4, v5
	v_mul_f32_e32 v5, v79, v121
	v_fma_f32 v5, v78, v120, -v5
	v_add_f32_e32 v8, v4, v5
	s_waitcnt vmcnt(18) lgkmcnt(1)
	v_mul_f32_e32 v89, v80, v123
	s_waitcnt vmcnt(15)
	v_mov_b32_e32 v68, v93
	v_mul_f32_e32 v4, v81, v123
	s_waitcnt lgkmcnt(0)
	v_pk_mul_f32 v[68:69], v[84:85], v[68:69] op_sel_hi:[1,0]
	v_fmac_f32_e32 v89, v81, v122
	v_mul_f32_e32 v91, v82, v125
	v_fma_f32 v88, v80, v122, -v4
	v_mul_f32_e32 v4, v83, v125
	s_waitcnt vmcnt(14)
	v_pk_fma_f32 v[70:71], v[84:85], v[92:93], v[68:69] op_sel:[0,0,1] op_sel_hi:[1,1,0] neg_lo:[0,0,1] neg_hi:[0,0,1]
	v_pk_fma_f32 v[68:69], v[84:85], v[92:93], v[68:69] op_sel:[0,0,1] op_sel_hi:[1,0,0]
	v_fmac_f32_e32 v91, v83, v124
	v_fma_f32 v90, v82, v124, -v4
	v_pk_add_f32 v[8:9], v[8:9], v[88:89]
	s_waitcnt vmcnt(13)
	v_mov_b32_e32 v68, v95
	ds_read2_b64 v[4:7], v62 offset0:45 offset1:46
	ds_read2_b64 v[64:67], v62 offset0:47 offset1:48
	;; [unrolled: 1-line block ×3, first 2 shown]
	v_pk_add_f32 v[8:9], v[8:9], v[90:91]
	v_mov_b32_e32 v71, v69
	v_pk_mul_f32 v[68:69], v[86:87], v[68:69] op_sel_hi:[1,0]
	v_pk_add_f32 v[8:9], v[8:9], v[70:71]
	s_waitcnt vmcnt(12)
	v_pk_fma_f32 v[70:71], v[86:87], v[94:95], v[68:69] op_sel:[0,0,1] op_sel_hi:[1,1,0] neg_lo:[0,0,1] neg_hi:[0,0,1]
	v_pk_fma_f32 v[68:69], v[86:87], v[94:95], v[68:69] op_sel:[0,0,1] op_sel_hi:[1,0,0]
	s_waitcnt vmcnt(11)
	v_mov_b32_e32 v68, v97
	v_mov_b32_e32 v71, v69
	s_waitcnt lgkmcnt(2)
	v_pk_mul_f32 v[68:69], v[4:5], v[68:69] op_sel_hi:[1,0]
	v_pk_add_f32 v[8:9], v[8:9], v[70:71]
	s_waitcnt vmcnt(10)
	v_pk_fma_f32 v[70:71], v[4:5], v[96:97], v[68:69] op_sel:[0,0,1] op_sel_hi:[1,1,0] neg_lo:[0,0,1] neg_hi:[0,0,1]
	v_pk_fma_f32 v[4:5], v[4:5], v[96:97], v[68:69] op_sel:[0,0,1] op_sel_hi:[1,0,0]
	v_mov_b32_e32 v71, v5
	v_pk_add_f32 v[4:5], v[8:9], v[70:71]
	s_waitcnt vmcnt(9)
	v_mov_b32_e32 v8, v99
	v_pk_mul_f32 v[8:9], v[6:7], v[8:9] op_sel_hi:[1,0]
	s_waitcnt vmcnt(8)
	v_pk_fma_f32 v[68:69], v[6:7], v[98:99], v[8:9] op_sel:[0,0,1] op_sel_hi:[1,1,0] neg_lo:[0,0,1] neg_hi:[0,0,1]
	v_pk_fma_f32 v[6:7], v[6:7], v[98:99], v[8:9] op_sel:[0,0,1] op_sel_hi:[1,0,0]
	s_waitcnt vmcnt(7)
	v_mov_b32_e32 v6, v101
	v_mov_b32_e32 v69, v7
	s_waitcnt lgkmcnt(1)
	v_pk_mul_f32 v[6:7], v[64:65], v[6:7] op_sel_hi:[1,0]
	s_waitcnt vmcnt(6)
	v_pk_fma_f32 v[8:9], v[64:65], v[100:101], v[6:7] op_sel:[0,0,1] op_sel_hi:[1,1,0] neg_lo:[0,0,1] neg_hi:[0,0,1]
	v_pk_fma_f32 v[6:7], v[64:65], v[100:101], v[6:7] op_sel:[0,0,1] op_sel_hi:[1,0,0]
	s_waitcnt vmcnt(5)
	v_mov_b32_e32 v6, v103
	v_pk_add_f32 v[4:5], v[4:5], v[68:69]
	v_mov_b32_e32 v9, v7
	v_pk_mul_f32 v[6:7], v[66:67], v[6:7] op_sel_hi:[1,0]
	v_pk_add_f32 v[4:5], v[4:5], v[8:9]
	s_waitcnt vmcnt(4)
	v_pk_fma_f32 v[8:9], v[66:67], v[102:103], v[6:7] op_sel:[0,0,1] op_sel_hi:[1,1,0] neg_lo:[0,0,1] neg_hi:[0,0,1]
	v_pk_fma_f32 v[6:7], v[66:67], v[102:103], v[6:7] op_sel:[0,0,1] op_sel_hi:[1,0,0]
	s_waitcnt vmcnt(3)
	v_mov_b32_e32 v6, v105
	v_mov_b32_e32 v9, v7
	s_waitcnt lgkmcnt(0)
	v_pk_mul_f32 v[6:7], v[60:61], v[6:7] op_sel_hi:[1,0]
	v_pk_add_f32 v[4:5], v[4:5], v[8:9]
	s_waitcnt vmcnt(2)
	v_pk_fma_f32 v[8:9], v[60:61], v[104:105], v[6:7] op_sel:[0,0,1] op_sel_hi:[1,1,0] neg_lo:[0,0,1] neg_hi:[0,0,1]
	v_pk_fma_f32 v[6:7], v[60:61], v[104:105], v[6:7] op_sel:[0,0,1] op_sel_hi:[1,0,0]
	s_waitcnt vmcnt(1)
	v_mov_b32_e32 v6, v107
	v_mov_b32_e32 v9, v7
	v_pk_mul_f32 v[6:7], v[62:63], v[6:7] op_sel_hi:[1,0]
	v_pk_add_f32 v[4:5], v[4:5], v[8:9]
	s_waitcnt vmcnt(0)
	v_pk_fma_f32 v[8:9], v[62:63], v[106:107], v[6:7] op_sel:[0,0,1] op_sel_hi:[1,1,0] neg_lo:[0,0,1] neg_hi:[0,0,1]
	v_pk_fma_f32 v[6:7], v[62:63], v[106:107], v[6:7] op_sel:[0,0,1] op_sel_hi:[1,0,0]
	v_mov_b32_e32 v9, v7
	v_pk_add_f32 v[4:5], v[4:5], v[8:9]
	v_pk_add_f32 v[2:3], v[2:3], v[4:5] neg_lo:[0,1] neg_hi:[0,1]
	buffer_store_dword v3, off, s[0:3], 0 offset:36
	buffer_store_dword v2, off, s[0:3], 0 offset:32
	s_and_saveexec_b64 s[4:5], vcc
	s_cbranch_execz .LBB24_157
; %bb.156:
	buffer_load_dword v2, off, s[0:3], 0 offset:24
	buffer_load_dword v3, off, s[0:3], 0 offset:28
	v_mov_b32_e32 v4, 0
	buffer_store_dword v4, off, s[0:3], 0 offset:24
	buffer_store_dword v4, off, s[0:3], 0 offset:28
	s_waitcnt vmcnt(2)
	ds_write_b64 v1, v[2:3]
.LBB24_157:
	s_or_b64 exec, exec, s[4:5]
	s_waitcnt lgkmcnt(0)
	; wave barrier
	s_waitcnt lgkmcnt(0)
	buffer_load_dword v3, off, s[0:3], 0 offset:36
	buffer_load_dword v104, off, s[0:3], 0 offset:44
	;; [unrolled: 1-line block ×44, first 2 shown]
	v_mov_b32_e32 v2, 0
	ds_read_b128 v[4:7], v2 offset:240
	ds_read_b128 v[60:63], v2 offset:256
	;; [unrolled: 1-line block ×8, first 2 shown]
	v_cmp_lt_u32_e32 vcc, 2, v0
	s_waitcnt vmcnt(43) lgkmcnt(7)
	v_mul_f32_e32 v109, v4, v3
	v_mul_f32_e32 v3, v5, v3
	s_waitcnt vmcnt(42)
	v_mul_f32_e32 v132, v6, v104
	s_waitcnt vmcnt(41) lgkmcnt(6)
	v_mul_f32_e32 v133, v60, v106
	s_waitcnt vmcnt(40)
	v_mul_f32_e32 v134, v62, v108
	s_waitcnt vmcnt(39) lgkmcnt(5)
	;; [unrolled: 4-line block ×5, first 2 shown]
	v_mul_f32_e32 v141, v76, v116
	s_waitcnt vmcnt(32)
	v_mul_f32_e32 v105, v78, v117
	s_waitcnt vmcnt(30)
	v_fma_f32 v3, v4, v119, -v3
	v_mul_f32_e32 v4, v7, v104
	v_add_f32_e32 v3, 0, v3
	s_waitcnt vmcnt(29)
	v_fma_f32 v4, v6, v120, -v4
	v_add_f32_e32 v3, v3, v4
	v_mul_f32_e32 v4, v61, v106
	s_waitcnt vmcnt(28)
	v_fma_f32 v4, v60, v121, -v4
	v_add_f32_e32 v3, v3, v4
	v_mul_f32_e32 v4, v63, v108
	;; [unrolled: 4-line block ×4, first 2 shown]
	s_waitcnt vmcnt(25)
	v_fma_f32 v4, v66, v124, -v4
	v_fmac_f32_e32 v109, v5, v119
	v_add_f32_e32 v3, v3, v4
	v_mul_f32_e32 v4, v69, v112
	v_fmac_f32_e32 v132, v7, v120
	v_add_f32_e32 v5, 0, v109
	s_waitcnt vmcnt(24)
	v_fma_f32 v4, v68, v125, -v4
	v_fmac_f32_e32 v133, v61, v121
	v_add_f32_e32 v5, v5, v132
	v_add_f32_e32 v3, v3, v4
	v_mul_f32_e32 v4, v71, v113
	v_fmac_f32_e32 v134, v63, v122
	v_add_f32_e32 v5, v5, v133
	s_waitcnt vmcnt(23)
	v_fma_f32 v4, v70, v126, -v4
	v_fmac_f32_e32 v135, v65, v123
	v_add_f32_e32 v5, v5, v134
	;; [unrolled: 8-line block ×4, first 2 shown]
	v_add_f32_e32 v3, v3, v4
	v_mul_f32_e32 v4, v77, v116
	v_fmac_f32_e32 v140, v75, v128
	v_add_f32_e32 v5, v5, v139
	s_waitcnt vmcnt(20)
	v_fma_f32 v4, v76, v129, -v4
	s_waitcnt vmcnt(13)
	v_mov_b32_e32 v68, v91
	v_fmac_f32_e32 v141, v77, v129
	v_add_f32_e32 v5, v5, v140
	v_add_f32_e32 v108, v3, v4
	v_mul_f32_e32 v3, v79, v117
	s_waitcnt lgkmcnt(1)
	v_pk_mul_f32 v[68:69], v[82:83], v[68:69] op_sel_hi:[1,0]
	v_mul_f32_e32 v107, v80, v118
	v_fmac_f32_e32 v105, v79, v130
	v_add_f32_e32 v109, v5, v141
	v_fma_f32 v104, v78, v130, -v3
	v_mul_f32_e32 v3, v81, v118
	s_waitcnt vmcnt(12)
	v_pk_fma_f32 v[70:71], v[82:83], v[90:91], v[68:69] op_sel:[0,0,1] op_sel_hi:[1,1,0] neg_lo:[0,0,1] neg_hi:[0,0,1]
	v_pk_fma_f32 v[68:69], v[82:83], v[90:91], v[68:69] op_sel:[0,0,1] op_sel_hi:[1,0,0]
	v_fmac_f32_e32 v107, v81, v131
	v_fma_f32 v106, v80, v131, -v3
	v_pk_add_f32 v[66:67], v[108:109], v[104:105]
	v_mov_b32_e32 v68, v89
	v_pk_add_f32 v[66:67], v[66:67], v[106:107]
	v_mov_b32_e32 v71, v69
	s_waitcnt lgkmcnt(0)
	v_pk_mul_f32 v[68:69], v[84:85], v[68:69] op_sel_hi:[1,0]
	v_pk_add_f32 v[66:67], v[66:67], v[70:71]
	v_pk_fma_f32 v[70:71], v[84:85], v[88:89], v[68:69] op_sel:[0,0,1] op_sel_hi:[1,1,0] neg_lo:[0,0,1] neg_hi:[0,0,1]
	v_pk_fma_f32 v[68:69], v[84:85], v[88:89], v[68:69] op_sel:[0,0,1] op_sel_hi:[1,0,0]
	s_waitcnt vmcnt(5)
	v_mov_b32_e32 v68, v99
	ds_read_b128 v[4:7], v2 offset:368
	ds_read_b128 v[60:63], v2 offset:384
	ds_read_b64 v[64:65], v2 offset:400
	v_mov_b32_e32 v71, v69
	v_pk_mul_f32 v[68:69], v[86:87], v[68:69] op_sel_hi:[1,0]
	v_pk_add_f32 v[66:67], v[66:67], v[70:71]
	s_waitcnt vmcnt(4)
	v_pk_fma_f32 v[70:71], v[86:87], v[98:99], v[68:69] op_sel:[0,0,1] op_sel_hi:[1,1,0] neg_lo:[0,0,1] neg_hi:[0,0,1]
	v_pk_fma_f32 v[68:69], v[86:87], v[98:99], v[68:69] op_sel:[0,0,1] op_sel_hi:[1,0,0]
	v_mov_b32_e32 v68, v97
	v_mov_b32_e32 v71, v69
	s_waitcnt lgkmcnt(2)
	v_pk_mul_f32 v[68:69], v[4:5], v[68:69] op_sel_hi:[1,0]
	v_pk_add_f32 v[66:67], v[66:67], v[70:71]
	v_pk_fma_f32 v[70:71], v[4:5], v[96:97], v[68:69] op_sel:[0,0,1] op_sel_hi:[1,1,0] neg_lo:[0,0,1] neg_hi:[0,0,1]
	v_pk_fma_f32 v[4:5], v[4:5], v[96:97], v[68:69] op_sel:[0,0,1] op_sel_hi:[1,0,0]
	v_mov_b32_e32 v71, v5
	v_pk_add_f32 v[4:5], v[66:67], v[70:71]
	v_mov_b32_e32 v66, v95
	v_pk_mul_f32 v[66:67], v[6:7], v[66:67] op_sel_hi:[1,0]
	v_pk_fma_f32 v[68:69], v[6:7], v[94:95], v[66:67] op_sel:[0,0,1] op_sel_hi:[1,1,0] neg_lo:[0,0,1] neg_hi:[0,0,1]
	v_pk_fma_f32 v[6:7], v[6:7], v[94:95], v[66:67] op_sel:[0,0,1] op_sel_hi:[1,0,0]
	v_mov_b32_e32 v6, v93
	v_mov_b32_e32 v69, v7
	s_waitcnt lgkmcnt(1)
	v_pk_mul_f32 v[6:7], v[60:61], v[6:7] op_sel_hi:[1,0]
	v_pk_fma_f32 v[66:67], v[60:61], v[92:93], v[6:7] op_sel:[0,0,1] op_sel_hi:[1,1,0] neg_lo:[0,0,1] neg_hi:[0,0,1]
	v_pk_fma_f32 v[6:7], v[60:61], v[92:93], v[6:7] op_sel:[0,0,1] op_sel_hi:[1,0,0]
	s_waitcnt vmcnt(1)
	v_mov_b32_e32 v6, v103
	v_mov_b32_e32 v67, v7
	v_pk_mul_f32 v[6:7], v[62:63], v[6:7] op_sel_hi:[1,0]
	s_waitcnt vmcnt(0)
	v_pk_fma_f32 v[60:61], v[62:63], v[102:103], v[6:7] op_sel:[0,0,1] op_sel_hi:[1,1,0] neg_lo:[0,0,1] neg_hi:[0,0,1]
	v_pk_fma_f32 v[6:7], v[62:63], v[102:103], v[6:7] op_sel:[0,0,1] op_sel_hi:[1,0,0]
	v_pk_add_f32 v[4:5], v[4:5], v[68:69]
	v_mov_b32_e32 v6, v101
	v_pk_add_f32 v[4:5], v[4:5], v[66:67]
	v_mov_b32_e32 v61, v7
	s_waitcnt lgkmcnt(0)
	v_pk_mul_f32 v[6:7], v[64:65], v[6:7] op_sel_hi:[1,0]
	v_pk_add_f32 v[4:5], v[4:5], v[60:61]
	v_pk_fma_f32 v[60:61], v[64:65], v[100:101], v[6:7] op_sel:[0,0,1] op_sel_hi:[1,1,0] neg_lo:[0,0,1] neg_hi:[0,0,1]
	v_pk_fma_f32 v[6:7], v[64:65], v[100:101], v[6:7] op_sel:[0,0,1] op_sel_hi:[1,0,0]
	v_mov_b32_e32 v61, v7
	v_pk_add_f32 v[4:5], v[4:5], v[60:61]
	v_pk_add_f32 v[4:5], v[8:9], v[4:5] neg_lo:[0,1] neg_hi:[0,1]
	buffer_store_dword v5, off, s[0:3], 0 offset:28
	buffer_store_dword v4, off, s[0:3], 0 offset:24
	s_and_saveexec_b64 s[4:5], vcc
	s_cbranch_execz .LBB24_159
; %bb.158:
	buffer_load_dword v4, off, s[0:3], 0 offset:16
	buffer_load_dword v5, off, s[0:3], 0 offset:20
	s_waitcnt vmcnt(0)
	ds_write_b64 v1, v[4:5]
	buffer_store_dword v2, off, s[0:3], 0 offset:16
	buffer_store_dword v2, off, s[0:3], 0 offset:20
.LBB24_159:
	s_or_b64 exec, exec, s[4:5]
	s_waitcnt lgkmcnt(0)
	; wave barrier
	s_waitcnt lgkmcnt(0)
	buffer_load_dword v3, off, s[0:3], 0 offset:28
	buffer_load_dword v104, off, s[0:3], 0 offset:36
	;; [unrolled: 1-line block ×30, first 2 shown]
	ds_read2_b64 v[4:7], v2 offset0:29 offset1:30
	ds_read2_b64 v[60:63], v2 offset0:31 offset1:32
	ds_read2_b64 v[64:67], v2 offset0:33 offset1:34
	ds_read2_b64 v[68:71], v2 offset0:35 offset1:36
	ds_read2_b64 v[72:75], v2 offset0:37 offset1:38
	ds_read2_b64 v[76:79], v2 offset0:39 offset1:40
	buffer_load_dword v89, off, s[0:3], 0 offset:140
	buffer_load_dword v88, off, s[0:3], 0 offset:136
	ds_read2_b64 v[80:83], v2 offset0:41 offset1:42
	ds_read2_b64 v[84:87], v2 offset0:43 offset1:44
	buffer_load_dword v91, off, s[0:3], 0 offset:172
	buffer_load_dword v90, off, s[0:3], 0 offset:168
	;; [unrolled: 1-line block ×14, first 2 shown]
	v_cmp_lt_u32_e32 vcc, 1, v0
	s_waitcnt vmcnt(45) lgkmcnt(7)
	v_mul_f32_e32 v107, v4, v3
	v_mul_f32_e32 v3, v5, v3
	s_waitcnt vmcnt(44)
	v_mul_f32_e32 v109, v6, v104
	s_waitcnt vmcnt(43) lgkmcnt(6)
	v_mul_f32_e32 v134, v60, v106
	s_waitcnt vmcnt(42)
	v_mul_f32_e32 v135, v62, v108
	s_waitcnt vmcnt(41) lgkmcnt(5)
	;; [unrolled: 4-line block ×5, first 2 shown]
	v_mul_f32_e32 v142, v76, v116
	s_waitcnt vmcnt(34)
	v_mul_f32_e32 v143, v78, v117
	s_waitcnt vmcnt(32)
	v_fma_f32 v3, v4, v119, -v3
	v_mul_f32_e32 v4, v7, v104
	v_add_f32_e32 v3, 0, v3
	s_waitcnt vmcnt(31)
	v_fma_f32 v4, v6, v120, -v4
	v_add_f32_e32 v3, v3, v4
	v_mul_f32_e32 v4, v61, v106
	s_waitcnt vmcnt(30)
	v_fma_f32 v4, v60, v121, -v4
	v_add_f32_e32 v3, v3, v4
	v_mul_f32_e32 v4, v63, v108
	;; [unrolled: 4-line block ×5, first 2 shown]
	v_fmac_f32_e32 v107, v5, v119
	s_waitcnt vmcnt(26)
	v_fma_f32 v4, v68, v125, -v4
	v_fmac_f32_e32 v109, v7, v120
	v_add_f32_e32 v107, 0, v107
	v_add_f32_e32 v3, v3, v4
	v_mul_f32_e32 v4, v71, v113
	v_fmac_f32_e32 v134, v61, v121
	v_add_f32_e32 v107, v107, v109
	s_waitcnt vmcnt(25)
	v_fma_f32 v4, v70, v126, -v4
	v_fmac_f32_e32 v135, v63, v122
	v_add_f32_e32 v107, v107, v134
	v_add_f32_e32 v3, v3, v4
	v_mul_f32_e32 v4, v73, v114
	v_fmac_f32_e32 v136, v65, v123
	v_add_f32_e32 v107, v107, v135
	;; [unrolled: 8-line block ×5, first 2 shown]
	s_waitcnt vmcnt(21)
	v_fma_f32 v4, v78, v130, -v4
	s_waitcnt vmcnt(15)
	v_mov_b32_e32 v68, v89
	s_waitcnt lgkmcnt(1)
	v_mul_f32_e32 v105, v80, v118
	v_fmac_f32_e32 v143, v79, v130
	v_add_f32_e32 v107, v107, v142
	v_add_f32_e32 v106, v3, v4
	v_mul_f32_e32 v3, v81, v118
	s_waitcnt lgkmcnt(0)
	v_pk_mul_f32 v[68:69], v[84:85], v[68:69] op_sel_hi:[1,0]
	v_fmac_f32_e32 v105, v81, v131
	v_add_f32_e32 v107, v107, v143
	v_mul_f32_e32 v109, v82, v132
	v_fma_f32 v104, v80, v131, -v3
	v_mul_f32_e32 v3, v83, v132
	s_waitcnt vmcnt(14)
	v_pk_fma_f32 v[70:71], v[84:85], v[88:89], v[68:69] op_sel:[0,0,1] op_sel_hi:[1,1,0] neg_lo:[0,0,1] neg_hi:[0,0,1]
	v_pk_fma_f32 v[68:69], v[84:85], v[88:89], v[68:69] op_sel:[0,0,1] op_sel_hi:[1,0,0]
	v_fmac_f32_e32 v109, v83, v133
	v_fma_f32 v108, v82, v133, -v3
	ds_read2_b64 v[4:7], v2 offset0:45 offset1:46
	ds_read2_b64 v[60:63], v2 offset0:47 offset1:48
	;; [unrolled: 1-line block ×3, first 2 shown]
	v_pk_add_f32 v[2:3], v[106:107], v[104:105]
	s_waitcnt vmcnt(7)
	v_mov_b32_e32 v68, v97
	v_pk_add_f32 v[2:3], v[2:3], v[108:109]
	v_mov_b32_e32 v71, v69
	v_pk_mul_f32 v[68:69], v[86:87], v[68:69] op_sel_hi:[1,0]
	v_pk_add_f32 v[2:3], v[2:3], v[70:71]
	s_waitcnt vmcnt(6)
	v_pk_fma_f32 v[70:71], v[86:87], v[96:97], v[68:69] op_sel:[0,0,1] op_sel_hi:[1,1,0] neg_lo:[0,0,1] neg_hi:[0,0,1]
	v_pk_fma_f32 v[68:69], v[86:87], v[96:97], v[68:69] op_sel:[0,0,1] op_sel_hi:[1,0,0]
	v_mov_b32_e32 v68, v95
	v_mov_b32_e32 v71, v69
	s_waitcnt lgkmcnt(2)
	v_pk_mul_f32 v[68:69], v[4:5], v[68:69] op_sel_hi:[1,0]
	v_pk_add_f32 v[2:3], v[2:3], v[70:71]
	v_pk_fma_f32 v[70:71], v[4:5], v[94:95], v[68:69] op_sel:[0,0,1] op_sel_hi:[1,1,0] neg_lo:[0,0,1] neg_hi:[0,0,1]
	v_pk_fma_f32 v[4:5], v[4:5], v[94:95], v[68:69] op_sel:[0,0,1] op_sel_hi:[1,0,0]
	v_mov_b32_e32 v4, v93
	v_mov_b32_e32 v71, v5
	v_pk_mul_f32 v[4:5], v[6:7], v[4:5] op_sel_hi:[1,0]
	v_pk_fma_f32 v[68:69], v[6:7], v[92:93], v[4:5] op_sel:[0,0,1] op_sel_hi:[1,1,0] neg_lo:[0,0,1] neg_hi:[0,0,1]
	v_pk_fma_f32 v[4:5], v[6:7], v[92:93], v[4:5] op_sel:[0,0,1] op_sel_hi:[1,0,0]
	v_mov_b32_e32 v4, v91
	v_mov_b32_e32 v69, v5
	s_waitcnt lgkmcnt(1)
	v_pk_mul_f32 v[4:5], v[60:61], v[4:5] op_sel_hi:[1,0]
	v_pk_fma_f32 v[6:7], v[60:61], v[90:91], v[4:5] op_sel:[0,0,1] op_sel_hi:[1,1,0] neg_lo:[0,0,1] neg_hi:[0,0,1]
	v_pk_fma_f32 v[4:5], v[60:61], v[90:91], v[4:5] op_sel:[0,0,1] op_sel_hi:[1,0,0]
	v_pk_add_f32 v[2:3], v[2:3], v[70:71]
	s_waitcnt vmcnt(1)
	v_mov_b32_e32 v4, v103
	v_pk_add_f32 v[2:3], v[2:3], v[68:69]
	v_mov_b32_e32 v7, v5
	v_pk_mul_f32 v[4:5], v[62:63], v[4:5] op_sel_hi:[1,0]
	v_pk_add_f32 v[2:3], v[2:3], v[6:7]
	s_waitcnt vmcnt(0)
	v_pk_fma_f32 v[6:7], v[62:63], v[102:103], v[4:5] op_sel:[0,0,1] op_sel_hi:[1,1,0] neg_lo:[0,0,1] neg_hi:[0,0,1]
	v_pk_fma_f32 v[4:5], v[62:63], v[102:103], v[4:5] op_sel:[0,0,1] op_sel_hi:[1,0,0]
	v_mov_b32_e32 v4, v101
	v_mov_b32_e32 v7, v5
	s_waitcnt lgkmcnt(0)
	v_pk_mul_f32 v[4:5], v[64:65], v[4:5] op_sel_hi:[1,0]
	v_pk_add_f32 v[2:3], v[2:3], v[6:7]
	v_pk_fma_f32 v[6:7], v[64:65], v[100:101], v[4:5] op_sel:[0,0,1] op_sel_hi:[1,1,0] neg_lo:[0,0,1] neg_hi:[0,0,1]
	v_pk_fma_f32 v[4:5], v[64:65], v[100:101], v[4:5] op_sel:[0,0,1] op_sel_hi:[1,0,0]
	v_mov_b32_e32 v4, v99
	v_mov_b32_e32 v7, v5
	v_pk_mul_f32 v[4:5], v[66:67], v[4:5] op_sel_hi:[1,0]
	v_pk_add_f32 v[2:3], v[2:3], v[6:7]
	v_pk_fma_f32 v[6:7], v[66:67], v[98:99], v[4:5] op_sel:[0,0,1] op_sel_hi:[1,1,0] neg_lo:[0,0,1] neg_hi:[0,0,1]
	v_pk_fma_f32 v[4:5], v[66:67], v[98:99], v[4:5] op_sel:[0,0,1] op_sel_hi:[1,0,0]
	v_mov_b32_e32 v7, v5
	v_pk_add_f32 v[2:3], v[2:3], v[6:7]
	v_pk_add_f32 v[2:3], v[8:9], v[2:3] neg_lo:[0,1] neg_hi:[0,1]
	buffer_store_dword v3, off, s[0:3], 0 offset:20
	buffer_store_dword v2, off, s[0:3], 0 offset:16
	s_and_saveexec_b64 s[4:5], vcc
	s_cbranch_execz .LBB24_161
; %bb.160:
	buffer_load_dword v2, off, s[0:3], 0 offset:8
	buffer_load_dword v3, off, s[0:3], 0 offset:12
	v_mov_b32_e32 v4, 0
	buffer_store_dword v4, off, s[0:3], 0 offset:8
	buffer_store_dword v4, off, s[0:3], 0 offset:12
	s_waitcnt vmcnt(2)
	ds_write_b64 v1, v[2:3]
.LBB24_161:
	s_or_b64 exec, exec, s[4:5]
	s_waitcnt lgkmcnt(0)
	; wave barrier
	s_waitcnt lgkmcnt(0)
	buffer_load_dword v3, off, s[0:3], 0 offset:20
	buffer_load_dword v102, off, s[0:3], 0 offset:28
	buffer_load_dword v106, off, s[0:3], 0 offset:36
	buffer_load_dword v108, off, s[0:3], 0 offset:44
	buffer_load_dword v110, off, s[0:3], 0 offset:52
	buffer_load_dword v111, off, s[0:3], 0 offset:60
	buffer_load_dword v112, off, s[0:3], 0 offset:68
	buffer_load_dword v113, off, s[0:3], 0 offset:76
	buffer_load_dword v114, off, s[0:3], 0 offset:84
	buffer_load_dword v115, off, s[0:3], 0 offset:92
	buffer_load_dword v116, off, s[0:3], 0 offset:100
	buffer_load_dword v117, off, s[0:3], 0 offset:108
	buffer_load_dword v118, off, s[0:3], 0 offset:116
	buffer_load_dword v119, off, s[0:3], 0 offset:16
	buffer_load_dword v120, off, s[0:3], 0 offset:24
	buffer_load_dword v121, off, s[0:3], 0 offset:32
	buffer_load_dword v122, off, s[0:3], 0 offset:40
	buffer_load_dword v123, off, s[0:3], 0 offset:48
	buffer_load_dword v124, off, s[0:3], 0 offset:56
	buffer_load_dword v125, off, s[0:3], 0 offset:64
	buffer_load_dword v126, off, s[0:3], 0 offset:72
	buffer_load_dword v127, off, s[0:3], 0 offset:80
	buffer_load_dword v128, off, s[0:3], 0 offset:88
	buffer_load_dword v129, off, s[0:3], 0 offset:96
	buffer_load_dword v130, off, s[0:3], 0 offset:104
	buffer_load_dword v131, off, s[0:3], 0 offset:112
	buffer_load_dword v132, off, s[0:3], 0 offset:124
	buffer_load_dword v133, off, s[0:3], 0 offset:120
	buffer_load_dword v134, off, s[0:3], 0 offset:132
	buffer_load_dword v135, off, s[0:3], 0 offset:128
	buffer_load_dword v8, off, s[0:3], 0 offset:8
	buffer_load_dword v9, off, s[0:3], 0 offset:12
	v_mov_b32_e32 v2, 0
	buffer_load_dword v89, off, s[0:3], 0 offset:164
	buffer_load_dword v88, off, s[0:3], 0 offset:160
	;; [unrolled: 1-line block ×13, first 2 shown]
	ds_read_b128 v[4:7], v2 offset:224
	ds_read_b128 v[60:63], v2 offset:240
	ds_read_b128 v[64:67], v2 offset:256
	ds_read_b128 v[68:71], v2 offset:272
	ds_read_b128 v[72:75], v2 offset:288
	ds_read_b128 v[76:79], v2 offset:304
	ds_read_b128 v[80:83], v2 offset:320
	ds_read_b128 v[84:87], v2 offset:336
	v_cmp_ne_u32_e32 vcc, 0, v0
	s_waitcnt vmcnt(44) lgkmcnt(7)
	v_mul_f32_e32 v96, v4, v3
	s_waitcnt vmcnt(43)
	v_mul_f32_e32 v103, v6, v102
	s_waitcnt vmcnt(42) lgkmcnt(6)
	v_mul_f32_e32 v104, v60, v106
	s_waitcnt vmcnt(41)
	v_mul_f32_e32 v105, v62, v108
	;; [unrolled: 4-line block ×6, first 2 shown]
	s_waitcnt vmcnt(32) lgkmcnt(1)
	v_mul_f32_e32 v142, v80, v118
	s_waitcnt vmcnt(31)
	v_fmac_f32_e32 v96, v5, v119
	s_waitcnt vmcnt(30)
	v_fmac_f32_e32 v103, v7, v120
	v_add_f32_e32 v96, 0, v96
	s_waitcnt vmcnt(29)
	v_fmac_f32_e32 v104, v61, v121
	v_add_f32_e32 v96, v96, v103
	;; [unrolled: 3-line block ×12, first 2 shown]
	v_add_f32_e32 v103, v96, v142
	buffer_load_dword v105, off, s[0:3], 0 offset:180
	buffer_load_dword v104, off, s[0:3], 0 offset:176
	;; [unrolled: 1-line block ×3, first 2 shown]
	v_mul_f32_e32 v3, v5, v3
	v_fma_f32 v3, v4, v119, -v3
	v_mul_f32_e32 v4, v7, v102
	v_add_f32_e32 v3, 0, v3
	v_fma_f32 v4, v6, v120, -v4
	v_add_f32_e32 v3, v3, v4
	v_mul_f32_e32 v4, v61, v106
	v_fma_f32 v4, v60, v121, -v4
	v_add_f32_e32 v3, v3, v4
	v_mul_f32_e32 v4, v63, v108
	;; [unrolled: 3-line block ×11, first 2 shown]
	v_fma_f32 v4, v80, v131, -v4
	s_waitcnt vmcnt(9)
	v_mov_b32_e32 v72, v95
	v_mul_f32_e32 v107, v82, v132
	v_add_f32_e32 v102, v3, v4
	v_mul_f32_e32 v3, v83, v132
	s_waitcnt lgkmcnt(0)
	v_pk_mul_f32 v[72:73], v[86:87], v[72:73] op_sel_hi:[1,0]
	v_fmac_f32_e32 v107, v83, v133
	v_mul_f32_e32 v109, v84, v134
	v_fma_f32 v106, v82, v133, -v3
	v_mul_f32_e32 v3, v85, v134
	ds_read_b128 v[4:7], v2 offset:352
	ds_read_b128 v[60:63], v2 offset:368
	;; [unrolled: 1-line block ×3, first 2 shown]
	ds_read_b64 v[68:69], v2 offset:400
	s_waitcnt vmcnt(8)
	v_pk_fma_f32 v[74:75], v[86:87], v[94:95], v[72:73] op_sel:[0,0,1] op_sel_hi:[1,1,0] neg_lo:[0,0,1] neg_hi:[0,0,1]
	v_pk_fma_f32 v[72:73], v[86:87], v[94:95], v[72:73] op_sel:[0,0,1] op_sel_hi:[1,0,0]
	v_fmac_f32_e32 v109, v85, v135
	v_fma_f32 v108, v84, v135, -v3
	v_pk_add_f32 v[70:71], v[102:103], v[106:107]
	v_mov_b32_e32 v72, v93
	v_pk_add_f32 v[70:71], v[70:71], v[108:109]
	v_mov_b32_e32 v75, v73
	s_waitcnt lgkmcnt(3)
	v_pk_mul_f32 v[72:73], v[4:5], v[72:73] op_sel_hi:[1,0]
	v_pk_add_f32 v[70:71], v[70:71], v[74:75]
	v_pk_fma_f32 v[74:75], v[4:5], v[92:93], v[72:73] op_sel:[0,0,1] op_sel_hi:[1,1,0] neg_lo:[0,0,1] neg_hi:[0,0,1]
	v_pk_fma_f32 v[4:5], v[4:5], v[92:93], v[72:73] op_sel:[0,0,1] op_sel_hi:[1,0,0]
	v_mov_b32_e32 v75, v5
	v_pk_add_f32 v[4:5], v[70:71], v[74:75]
	v_mov_b32_e32 v70, v91
	v_pk_mul_f32 v[70:71], v[6:7], v[70:71] op_sel_hi:[1,0]
	v_pk_fma_f32 v[72:73], v[6:7], v[90:91], v[70:71] op_sel:[0,0,1] op_sel_hi:[1,1,0] neg_lo:[0,0,1] neg_hi:[0,0,1]
	v_pk_fma_f32 v[6:7], v[6:7], v[90:91], v[70:71] op_sel:[0,0,1] op_sel_hi:[1,0,0]
	v_mov_b32_e32 v6, v89
	v_mov_b32_e32 v73, v7
	s_waitcnt lgkmcnt(2)
	v_pk_mul_f32 v[6:7], v[60:61], v[6:7] op_sel_hi:[1,0]
	v_pk_fma_f32 v[70:71], v[60:61], v[88:89], v[6:7] op_sel:[0,0,1] op_sel_hi:[1,1,0] neg_lo:[0,0,1] neg_hi:[0,0,1]
	v_pk_fma_f32 v[6:7], v[60:61], v[88:89], v[6:7] op_sel:[0,0,1] op_sel_hi:[1,0,0]
	s_waitcnt vmcnt(7)
	v_mov_b32_e32 v6, v97
	v_mov_b32_e32 v71, v7
	v_pk_mul_f32 v[6:7], v[62:63], v[6:7] op_sel_hi:[1,0]
	v_pk_add_f32 v[4:5], v[4:5], v[72:73]
	v_pk_add_f32 v[4:5], v[4:5], v[70:71]
	s_waitcnt vmcnt(0)
	v_pk_fma_f32 v[60:61], v[62:63], v[96:97], v[6:7] op_sel:[0,0,1] op_sel_hi:[1,1,0] neg_lo:[0,0,1] neg_hi:[0,0,1]
	v_pk_fma_f32 v[6:7], v[62:63], v[96:97], v[6:7] op_sel:[0,0,1] op_sel_hi:[1,0,0]
	v_mov_b32_e32 v6, v105
	v_mov_b32_e32 v61, v7
	s_waitcnt lgkmcnt(1)
	v_pk_mul_f32 v[6:7], v[64:65], v[6:7] op_sel_hi:[1,0]
	v_pk_add_f32 v[4:5], v[4:5], v[60:61]
	v_pk_fma_f32 v[60:61], v[64:65], v[104:105], v[6:7] op_sel:[0,0,1] op_sel_hi:[1,1,0] neg_lo:[0,0,1] neg_hi:[0,0,1]
	v_pk_fma_f32 v[6:7], v[64:65], v[104:105], v[6:7] op_sel:[0,0,1] op_sel_hi:[1,0,0]
	v_mov_b32_e32 v6, v101
	v_mov_b32_e32 v61, v7
	v_pk_mul_f32 v[6:7], v[66:67], v[6:7] op_sel_hi:[1,0]
	v_pk_add_f32 v[4:5], v[4:5], v[60:61]
	v_pk_fma_f32 v[60:61], v[66:67], v[100:101], v[6:7] op_sel:[0,0,1] op_sel_hi:[1,1,0] neg_lo:[0,0,1] neg_hi:[0,0,1]
	v_pk_fma_f32 v[6:7], v[66:67], v[100:101], v[6:7] op_sel:[0,0,1] op_sel_hi:[1,0,0]
	v_mov_b32_e32 v6, v99
	v_mov_b32_e32 v61, v7
	s_waitcnt lgkmcnt(0)
	v_pk_mul_f32 v[6:7], v[68:69], v[6:7] op_sel_hi:[1,0]
	v_pk_add_f32 v[4:5], v[4:5], v[60:61]
	v_pk_fma_f32 v[60:61], v[68:69], v[98:99], v[6:7] op_sel:[0,0,1] op_sel_hi:[1,1,0] neg_lo:[0,0,1] neg_hi:[0,0,1]
	v_pk_fma_f32 v[6:7], v[68:69], v[98:99], v[6:7] op_sel:[0,0,1] op_sel_hi:[1,0,0]
	v_mov_b32_e32 v61, v7
	v_pk_add_f32 v[4:5], v[4:5], v[60:61]
	v_pk_add_f32 v[4:5], v[8:9], v[4:5] neg_lo:[0,1] neg_hi:[0,1]
	buffer_store_dword v5, off, s[0:3], 0 offset:12
	buffer_store_dword v4, off, s[0:3], 0 offset:8
	s_and_saveexec_b64 s[4:5], vcc
	s_cbranch_execz .LBB24_163
; %bb.162:
	buffer_load_dword v4, off, s[0:3], 0
	buffer_load_dword v5, off, s[0:3], 0 offset:4
	s_waitcnt vmcnt(0)
	ds_write_b64 v1, v[4:5]
	buffer_store_dword v2, off, s[0:3], 0
	buffer_store_dword v2, off, s[0:3], 0 offset:4
.LBB24_163:
	s_or_b64 exec, exec, s[4:5]
	s_waitcnt lgkmcnt(0)
	; wave barrier
	s_waitcnt lgkmcnt(0)
	buffer_load_dword v0, off, s[0:3], 0 offset:12
	buffer_load_dword v1, off, s[0:3], 0 offset:20
	;; [unrolled: 1-line block ×32, first 2 shown]
	buffer_load_dword v8, off, s[0:3], 0
	buffer_load_dword v9, off, s[0:3], 0 offset:4
	ds_read2_b64 v[4:7], v2 offset0:27 offset1:28
	ds_read2_b64 v[60:63], v2 offset0:29 offset1:30
	;; [unrolled: 1-line block ×8, first 2 shown]
	buffer_load_dword v89, off, s[0:3], 0 offset:156
	buffer_load_dword v88, off, s[0:3], 0 offset:152
	buffer_load_dword v91, off, s[0:3], 0 offset:148
	buffer_load_dword v90, off, s[0:3], 0 offset:144
	buffer_load_dword v93, off, s[0:3], 0 offset:140
	buffer_load_dword v92, off, s[0:3], 0 offset:136
	buffer_load_dword v95, off, s[0:3], 0 offset:164
	buffer_load_dword v97, off, s[0:3], 0 offset:188
	buffer_load_dword v96, off, s[0:3], 0 offset:184
	s_and_b64 vcc, exec, s[20:21]
	s_waitcnt vmcnt(42) lgkmcnt(7)
	v_mul_f32_e32 v94, v4, v0
	s_waitcnt vmcnt(41)
	v_mul_f32_e32 v98, v6, v1
	s_waitcnt vmcnt(40) lgkmcnt(6)
	v_mul_f32_e32 v99, v60, v3
	s_waitcnt vmcnt(39)
	v_mul_f32_e32 v100, v62, v102
	;; [unrolled: 4-line block ×6, first 2 shown]
	s_waitcnt vmcnt(30) lgkmcnt(1)
	v_mul_f32_e32 v138, v80, v116
	v_mul_f32_e32 v0, v5, v0
	s_waitcnt vmcnt(28)
	v_fmac_f32_e32 v94, v5, v118
	s_waitcnt vmcnt(27)
	v_fmac_f32_e32 v98, v7, v119
	v_add_f32_e32 v94, 0, v94
	s_waitcnt vmcnt(26)
	v_fmac_f32_e32 v99, v61, v120
	v_add_f32_e32 v94, v94, v98
	;; [unrolled: 3-line block ×12, first 2 shown]
	v_add_f32_e32 v103, v94, v138
	buffer_load_dword v99, off, s[0:3], 0 offset:180
	buffer_load_dword v98, off, s[0:3], 0 offset:176
	;; [unrolled: 1-line block ×7, first 2 shown]
	v_fma_f32 v0, v4, v118, -v0
	v_mul_f32_e32 v1, v7, v1
	v_add_f32_e32 v0, 0, v0
	v_fma_f32 v1, v6, v119, -v1
	v_add_f32_e32 v0, v0, v1
	v_mul_f32_e32 v1, v61, v3
	v_fma_f32 v1, v60, v120, -v1
	v_add_f32_e32 v0, v0, v1
	v_mul_f32_e32 v1, v63, v102
	v_fma_f32 v1, v62, v121, -v1
	v_add_f32_e32 v0, v0, v1
	v_mul_f32_e32 v1, v65, v104
	v_fma_f32 v1, v64, v122, -v1
	v_add_f32_e32 v0, v0, v1
	v_mul_f32_e32 v1, v67, v106
	v_fma_f32 v1, v66, v123, -v1
	v_add_f32_e32 v0, v0, v1
	v_mul_f32_e32 v1, v69, v110
	v_fma_f32 v1, v68, v124, -v1
	v_add_f32_e32 v0, v0, v1
	v_mul_f32_e32 v1, v71, v111
	v_fma_f32 v1, v70, v125, -v1
	v_add_f32_e32 v0, v0, v1
	v_mul_f32_e32 v1, v73, v112
	v_fma_f32 v1, v72, v126, -v1
	v_add_f32_e32 v0, v0, v1
	v_mul_f32_e32 v1, v75, v113
	v_fma_f32 v1, v74, v127, -v1
	v_add_f32_e32 v0, v0, v1
	v_mul_f32_e32 v1, v77, v114
	v_fma_f32 v1, v76, v128, -v1
	v_add_f32_e32 v0, v0, v1
	v_mul_f32_e32 v1, v79, v115
	v_fma_f32 v1, v78, v129, -v1
	v_add_f32_e32 v0, v0, v1
	v_mul_f32_e32 v1, v81, v116
	v_fma_f32 v1, v80, v130, -v1
	v_add_f32_e32 v0, v0, v1
	v_mul_f32_e32 v1, v83, v117
	s_waitcnt vmcnt(22)
	v_fma_f32 v1, v82, v131, -v1
	v_add_f32_e32 v102, v0, v1
	s_waitcnt vmcnt(21) lgkmcnt(0)
	v_mul_f32_e32 v0, v85, v132
	s_waitcnt vmcnt(20)
	v_fma_f32 v104, v84, v133, -v0
	s_waitcnt vmcnt(19)
	v_mul_f32_e32 v0, v87, v134
	v_mul_f32_e32 v139, v82, v117
	s_waitcnt vmcnt(18)
	v_fma_f32 v106, v86, v135, -v0
	ds_read2_b64 v[4:7], v2 offset0:43 offset1:44
	ds_read2_b64 v[60:63], v2 offset0:45 offset1:46
	ds_read2_b64 v[64:67], v2 offset0:47 offset1:48
	ds_read2_b64 v[0:3], v2 offset0:49 offset1:50
	v_fmac_f32_e32 v139, v83, v131
	v_mul_f32_e32 v105, v84, v132
	s_waitcnt vmcnt(11)
	v_mov_b32_e32 v70, v93
	v_add_f32_e32 v103, v103, v139
	v_fmac_f32_e32 v105, v85, v133
	v_mul_f32_e32 v107, v86, v134
	s_waitcnt lgkmcnt(3)
	v_pk_mul_f32 v[70:71], v[4:5], v[70:71] op_sel_hi:[1,0]
	v_fmac_f32_e32 v107, v87, v135
	v_pk_add_f32 v[68:69], v[102:103], v[104:105]
	s_waitcnt vmcnt(10)
	v_pk_fma_f32 v[72:73], v[4:5], v[92:93], v[70:71] op_sel:[0,0,1] op_sel_hi:[1,1,0] neg_lo:[0,0,1] neg_hi:[0,0,1]
	v_pk_fma_f32 v[4:5], v[4:5], v[92:93], v[70:71] op_sel:[0,0,1] op_sel_hi:[1,0,0]
	v_pk_add_f32 v[68:69], v[68:69], v[106:107]
	v_mov_b32_e32 v73, v5
	v_pk_add_f32 v[4:5], v[68:69], v[72:73]
	v_mov_b32_e32 v68, v91
	v_pk_mul_f32 v[68:69], v[6:7], v[68:69] op_sel_hi:[1,0]
	v_pk_fma_f32 v[70:71], v[6:7], v[90:91], v[68:69] op_sel:[0,0,1] op_sel_hi:[1,1,0] neg_lo:[0,0,1] neg_hi:[0,0,1]
	v_pk_fma_f32 v[6:7], v[6:7], v[90:91], v[68:69] op_sel:[0,0,1] op_sel_hi:[1,0,0]
	v_mov_b32_e32 v6, v89
	v_mov_b32_e32 v71, v7
	s_waitcnt lgkmcnt(2)
	v_pk_mul_f32 v[6:7], v[60:61], v[6:7] op_sel_hi:[1,0]
	v_pk_fma_f32 v[68:69], v[60:61], v[88:89], v[6:7] op_sel:[0,0,1] op_sel_hi:[1,1,0] neg_lo:[0,0,1] neg_hi:[0,0,1]
	v_pk_fma_f32 v[6:7], v[60:61], v[88:89], v[6:7] op_sel:[0,0,1] op_sel_hi:[1,0,0]
	s_waitcnt vmcnt(9)
	v_mov_b32_e32 v6, v95
	v_mov_b32_e32 v69, v7
	v_pk_mul_f32 v[6:7], v[62:63], v[6:7] op_sel_hi:[1,0]
	v_pk_add_f32 v[4:5], v[4:5], v[70:71]
	v_pk_add_f32 v[4:5], v[4:5], v[68:69]
	s_waitcnt vmcnt(2)
	v_pk_fma_f32 v[60:61], v[62:63], v[94:95], v[6:7] op_sel:[0,0,1] op_sel_hi:[1,1,0] neg_lo:[0,0,1] neg_hi:[0,0,1]
	v_pk_fma_f32 v[6:7], v[62:63], v[94:95], v[6:7] op_sel:[0,0,1] op_sel_hi:[1,0,0]
	v_mov_b32_e32 v6, v101
	v_mov_b32_e32 v61, v7
	s_waitcnt lgkmcnt(1)
	v_pk_mul_f32 v[6:7], v[64:65], v[6:7] op_sel_hi:[1,0]
	v_pk_add_f32 v[4:5], v[4:5], v[60:61]
	v_pk_fma_f32 v[60:61], v[64:65], v[100:101], v[6:7] op_sel:[0,0,1] op_sel_hi:[1,1,0] neg_lo:[0,0,1] neg_hi:[0,0,1]
	v_pk_fma_f32 v[6:7], v[64:65], v[100:101], v[6:7] op_sel:[0,0,1] op_sel_hi:[1,0,0]
	v_mov_b32_e32 v6, v99
	v_mov_b32_e32 v61, v7
	v_pk_mul_f32 v[6:7], v[66:67], v[6:7] op_sel_hi:[1,0]
	v_pk_add_f32 v[4:5], v[4:5], v[60:61]
	v_pk_fma_f32 v[60:61], v[66:67], v[98:99], v[6:7] op_sel:[0,0,1] op_sel_hi:[1,1,0] neg_lo:[0,0,1] neg_hi:[0,0,1]
	v_pk_fma_f32 v[6:7], v[66:67], v[98:99], v[6:7] op_sel:[0,0,1] op_sel_hi:[1,0,0]
	v_mov_b32_e32 v6, v97
	v_mov_b32_e32 v61, v7
	s_waitcnt lgkmcnt(0)
	v_pk_mul_f32 v[6:7], v[0:1], v[6:7] op_sel_hi:[1,0]
	v_pk_add_f32 v[4:5], v[4:5], v[60:61]
	v_pk_fma_f32 v[60:61], v[0:1], v[96:97], v[6:7] op_sel:[0,0,1] op_sel_hi:[1,1,0] neg_lo:[0,0,1] neg_hi:[0,0,1]
	v_pk_fma_f32 v[0:1], v[0:1], v[96:97], v[6:7] op_sel:[0,0,1] op_sel_hi:[1,0,0]
	v_mov_b32_e32 v61, v1
	v_pk_add_f32 v[0:1], v[4:5], v[60:61]
	s_waitcnt vmcnt(1)
	v_mov_b32_e32 v4, v109
	v_pk_mul_f32 v[4:5], v[2:3], v[4:5] op_sel_hi:[1,0]
	s_waitcnt vmcnt(0)
	v_pk_fma_f32 v[6:7], v[2:3], v[108:109], v[4:5] op_sel:[0,0,1] op_sel_hi:[1,1,0] neg_lo:[0,0,1] neg_hi:[0,0,1]
	v_pk_fma_f32 v[2:3], v[2:3], v[108:109], v[4:5] op_sel:[0,0,1] op_sel_hi:[1,0,0]
	v_mov_b32_e32 v7, v3
	v_pk_add_f32 v[0:1], v[0:1], v[6:7]
	v_pk_add_f32 v[0:1], v[8:9], v[0:1] neg_lo:[0,1] neg_hi:[0,1]
	buffer_store_dword v1, off, s[0:3], 0 offset:4
	buffer_store_dword v0, off, s[0:3], 0
	s_cbranch_vccz .LBB24_213
; %bb.164:
	v_pk_mov_b32 v[0:1], s[10:11], s[10:11] op_sel:[0,1]
	flat_load_dword v0, v[0:1] offset:92
	s_waitcnt vmcnt(0) lgkmcnt(0)
	v_add_u32_e32 v0, -1, v0
	v_cmp_ne_u32_e32 vcc, 23, v0
	s_and_saveexec_b64 s[4:5], vcc
	s_cbranch_execz .LBB24_166
; %bb.165:
	v_mov_b32_e32 v1, 0
	v_lshl_add_u32 v0, v0, 3, v1
	buffer_load_dword v1, v0, s[0:3], 0 offen
	buffer_load_dword v2, v0, s[0:3], 0 offen offset:4
	buffer_load_dword v3, off, s[0:3], 0 offset:184
	buffer_load_dword v4, off, s[0:3], 0 offset:188
	s_waitcnt vmcnt(3)
	buffer_store_dword v1, off, s[0:3], 0 offset:184
	s_waitcnt vmcnt(3)
	buffer_store_dword v2, off, s[0:3], 0 offset:188
	s_waitcnt vmcnt(3)
	buffer_store_dword v3, v0, s[0:3], 0 offen
	s_waitcnt vmcnt(3)
	buffer_store_dword v4, v0, s[0:3], 0 offen offset:4
.LBB24_166:
	s_or_b64 exec, exec, s[4:5]
	v_pk_mov_b32 v[0:1], s[10:11], s[10:11] op_sel:[0,1]
	flat_load_dword v0, v[0:1] offset:88
	s_waitcnt vmcnt(0) lgkmcnt(0)
	v_add_u32_e32 v0, -1, v0
	v_cmp_ne_u32_e32 vcc, 22, v0
	s_and_saveexec_b64 s[4:5], vcc
	s_cbranch_execz .LBB24_168
; %bb.167:
	v_mov_b32_e32 v1, 0
	v_lshl_add_u32 v0, v0, 3, v1
	buffer_load_dword v1, v0, s[0:3], 0 offen
	buffer_load_dword v2, v0, s[0:3], 0 offen offset:4
	buffer_load_dword v3, off, s[0:3], 0 offset:180
	buffer_load_dword v4, off, s[0:3], 0 offset:176
	s_waitcnt vmcnt(3)
	buffer_store_dword v1, off, s[0:3], 0 offset:176
	s_waitcnt vmcnt(3)
	buffer_store_dword v2, off, s[0:3], 0 offset:180
	s_waitcnt vmcnt(3)
	buffer_store_dword v3, v0, s[0:3], 0 offen offset:4
	s_waitcnt vmcnt(3)
	buffer_store_dword v4, v0, s[0:3], 0 offen
.LBB24_168:
	s_or_b64 exec, exec, s[4:5]
	v_pk_mov_b32 v[0:1], s[10:11], s[10:11] op_sel:[0,1]
	flat_load_dword v0, v[0:1] offset:84
	s_waitcnt vmcnt(0) lgkmcnt(0)
	v_add_u32_e32 v0, -1, v0
	v_cmp_ne_u32_e32 vcc, 21, v0
	s_and_saveexec_b64 s[4:5], vcc
	s_cbranch_execz .LBB24_170
; %bb.169:
	v_mov_b32_e32 v1, 0
	v_lshl_add_u32 v0, v0, 3, v1
	buffer_load_dword v1, v0, s[0:3], 0 offen
	buffer_load_dword v2, v0, s[0:3], 0 offen offset:4
	buffer_load_dword v3, off, s[0:3], 0 offset:168
	buffer_load_dword v4, off, s[0:3], 0 offset:172
	s_waitcnt vmcnt(3)
	buffer_store_dword v1, off, s[0:3], 0 offset:168
	s_waitcnt vmcnt(3)
	buffer_store_dword v2, off, s[0:3], 0 offset:172
	s_waitcnt vmcnt(3)
	buffer_store_dword v3, v0, s[0:3], 0 offen
	s_waitcnt vmcnt(3)
	buffer_store_dword v4, v0, s[0:3], 0 offen offset:4
.LBB24_170:
	s_or_b64 exec, exec, s[4:5]
	v_pk_mov_b32 v[0:1], s[10:11], s[10:11] op_sel:[0,1]
	flat_load_dword v0, v[0:1] offset:80
	s_waitcnt vmcnt(0) lgkmcnt(0)
	v_add_u32_e32 v0, -1, v0
	v_cmp_ne_u32_e32 vcc, 20, v0
	s_and_saveexec_b64 s[4:5], vcc
	s_cbranch_execz .LBB24_172
; %bb.171:
	v_mov_b32_e32 v1, 0
	v_lshl_add_u32 v0, v0, 3, v1
	buffer_load_dword v1, v0, s[0:3], 0 offen
	buffer_load_dword v2, v0, s[0:3], 0 offen offset:4
	buffer_load_dword v3, off, s[0:3], 0 offset:164
	buffer_load_dword v4, off, s[0:3], 0 offset:160
	s_waitcnt vmcnt(3)
	buffer_store_dword v1, off, s[0:3], 0 offset:160
	s_waitcnt vmcnt(3)
	buffer_store_dword v2, off, s[0:3], 0 offset:164
	s_waitcnt vmcnt(3)
	buffer_store_dword v3, v0, s[0:3], 0 offen offset:4
	s_waitcnt vmcnt(3)
	buffer_store_dword v4, v0, s[0:3], 0 offen
.LBB24_172:
	s_or_b64 exec, exec, s[4:5]
	;; [unrolled: 48-line block ×11, first 2 shown]
	v_pk_mov_b32 v[0:1], s[10:11], s[10:11] op_sel:[0,1]
	flat_load_dword v0, v[0:1] offset:4
	s_waitcnt vmcnt(0) lgkmcnt(0)
	v_add_u32_e32 v0, -1, v0
	v_cmp_ne_u32_e32 vcc, 1, v0
	s_and_saveexec_b64 s[4:5], vcc
	s_cbranch_execz .LBB24_210
; %bb.209:
	v_mov_b32_e32 v1, 0
	v_lshl_add_u32 v0, v0, 3, v1
	buffer_load_dword v1, v0, s[0:3], 0 offen
	buffer_load_dword v2, v0, s[0:3], 0 offen offset:4
	buffer_load_dword v3, off, s[0:3], 0 offset:8
	buffer_load_dword v4, off, s[0:3], 0 offset:12
	s_waitcnt vmcnt(3)
	buffer_store_dword v1, off, s[0:3], 0 offset:8
	s_waitcnt vmcnt(3)
	buffer_store_dword v2, off, s[0:3], 0 offset:12
	s_waitcnt vmcnt(3)
	buffer_store_dword v3, v0, s[0:3], 0 offen
	s_waitcnt vmcnt(3)
	buffer_store_dword v4, v0, s[0:3], 0 offen offset:4
.LBB24_210:
	s_or_b64 exec, exec, s[4:5]
	v_pk_mov_b32 v[0:1], s[10:11], s[10:11] op_sel:[0,1]
	flat_load_dword v2, v[0:1]
	s_nop 0
	buffer_load_dword v0, off, s[0:3], 0
	buffer_load_dword v1, off, s[0:3], 0 offset:4
	s_waitcnt vmcnt(0) lgkmcnt(0)
	v_add_u32_e32 v2, -1, v2
	v_cmp_ne_u32_e32 vcc, 0, v2
	s_and_saveexec_b64 s[4:5], vcc
	s_cbranch_execz .LBB24_212
; %bb.211:
	v_mov_b32_e32 v3, 0
	v_lshl_add_u32 v2, v2, 3, v3
	buffer_load_dword v3, v2, s[0:3], 0 offen offset:4
	buffer_load_dword v4, v2, s[0:3], 0 offen
	s_waitcnt vmcnt(1)
	buffer_store_dword v3, off, s[0:3], 0 offset:4
	s_waitcnt vmcnt(1)
	buffer_store_dword v4, off, s[0:3], 0
	buffer_store_dword v1, v2, s[0:3], 0 offen offset:4
	buffer_store_dword v0, v2, s[0:3], 0 offen
	buffer_load_dword v0, off, s[0:3], 0
	s_nop 0
	buffer_load_dword v1, off, s[0:3], 0 offset:4
.LBB24_212:
	s_or_b64 exec, exec, s[4:5]
.LBB24_213:
	buffer_load_dword v2, off, s[0:3], 0 offset:8
	buffer_load_dword v3, off, s[0:3], 0 offset:12
	;; [unrolled: 1-line block ×48, first 2 shown]
	s_waitcnt vmcnt(48)
	global_store_dwordx2 v[10:11], v[0:1], off
	s_waitcnt vmcnt(47)
	global_store_dwordx2 v[12:13], v[2:3], off
	;; [unrolled: 2-line block ×25, first 2 shown]
	s_endpgm
	.section	.rodata,"a",@progbits
	.p2align	6, 0x0
	.amdhsa_kernel _ZN9rocsolver6v33100L18getri_kernel_smallILi25E19rocblas_complex_numIfEPS3_EEvT1_iilPiilS6_bb
		.amdhsa_group_segment_fixed_size 408
		.amdhsa_private_segment_fixed_size 208
		.amdhsa_kernarg_size 60
		.amdhsa_user_sgpr_count 8
		.amdhsa_user_sgpr_private_segment_buffer 1
		.amdhsa_user_sgpr_dispatch_ptr 0
		.amdhsa_user_sgpr_queue_ptr 0
		.amdhsa_user_sgpr_kernarg_segment_ptr 1
		.amdhsa_user_sgpr_dispatch_id 0
		.amdhsa_user_sgpr_flat_scratch_init 1
		.amdhsa_user_sgpr_kernarg_preload_length 0
		.amdhsa_user_sgpr_kernarg_preload_offset 0
		.amdhsa_user_sgpr_private_segment_size 0
		.amdhsa_uses_dynamic_stack 0
		.amdhsa_system_sgpr_private_segment_wavefront_offset 1
		.amdhsa_system_sgpr_workgroup_id_x 1
		.amdhsa_system_sgpr_workgroup_id_y 0
		.amdhsa_system_sgpr_workgroup_id_z 0
		.amdhsa_system_sgpr_workgroup_info 0
		.amdhsa_system_vgpr_workitem_id 0
		.amdhsa_next_free_vgpr 144
		.amdhsa_next_free_sgpr 23
		.amdhsa_accum_offset 144
		.amdhsa_reserve_vcc 1
		.amdhsa_reserve_flat_scratch 1
		.amdhsa_float_round_mode_32 0
		.amdhsa_float_round_mode_16_64 0
		.amdhsa_float_denorm_mode_32 3
		.amdhsa_float_denorm_mode_16_64 3
		.amdhsa_dx10_clamp 1
		.amdhsa_ieee_mode 1
		.amdhsa_fp16_overflow 0
		.amdhsa_tg_split 0
		.amdhsa_exception_fp_ieee_invalid_op 0
		.amdhsa_exception_fp_denorm_src 0
		.amdhsa_exception_fp_ieee_div_zero 0
		.amdhsa_exception_fp_ieee_overflow 0
		.amdhsa_exception_fp_ieee_underflow 0
		.amdhsa_exception_fp_ieee_inexact 0
		.amdhsa_exception_int_div_zero 0
	.end_amdhsa_kernel
	.section	.text._ZN9rocsolver6v33100L18getri_kernel_smallILi25E19rocblas_complex_numIfEPS3_EEvT1_iilPiilS6_bb,"axG",@progbits,_ZN9rocsolver6v33100L18getri_kernel_smallILi25E19rocblas_complex_numIfEPS3_EEvT1_iilPiilS6_bb,comdat
.Lfunc_end24:
	.size	_ZN9rocsolver6v33100L18getri_kernel_smallILi25E19rocblas_complex_numIfEPS3_EEvT1_iilPiilS6_bb, .Lfunc_end24-_ZN9rocsolver6v33100L18getri_kernel_smallILi25E19rocblas_complex_numIfEPS3_EEvT1_iilPiilS6_bb
                                        ; -- End function
	.section	.AMDGPU.csdata,"",@progbits
; Kernel info:
; codeLenInByte = 32804
; NumSgprs: 29
; NumVgprs: 144
; NumAgprs: 0
; TotalNumVgprs: 144
; ScratchSize: 208
; MemoryBound: 0
; FloatMode: 240
; IeeeMode: 1
; LDSByteSize: 408 bytes/workgroup (compile time only)
; SGPRBlocks: 3
; VGPRBlocks: 17
; NumSGPRsForWavesPerEU: 29
; NumVGPRsForWavesPerEU: 144
; AccumOffset: 144
; Occupancy: 3
; WaveLimiterHint : 1
; COMPUTE_PGM_RSRC2:SCRATCH_EN: 1
; COMPUTE_PGM_RSRC2:USER_SGPR: 8
; COMPUTE_PGM_RSRC2:TRAP_HANDLER: 0
; COMPUTE_PGM_RSRC2:TGID_X_EN: 1
; COMPUTE_PGM_RSRC2:TGID_Y_EN: 0
; COMPUTE_PGM_RSRC2:TGID_Z_EN: 0
; COMPUTE_PGM_RSRC2:TIDIG_COMP_CNT: 0
; COMPUTE_PGM_RSRC3_GFX90A:ACCUM_OFFSET: 35
; COMPUTE_PGM_RSRC3_GFX90A:TG_SPLIT: 0
	.section	.text._ZN9rocsolver6v33100L18getri_kernel_smallILi26E19rocblas_complex_numIfEPS3_EEvT1_iilPiilS6_bb,"axG",@progbits,_ZN9rocsolver6v33100L18getri_kernel_smallILi26E19rocblas_complex_numIfEPS3_EEvT1_iilPiilS6_bb,comdat
	.globl	_ZN9rocsolver6v33100L18getri_kernel_smallILi26E19rocblas_complex_numIfEPS3_EEvT1_iilPiilS6_bb ; -- Begin function _ZN9rocsolver6v33100L18getri_kernel_smallILi26E19rocblas_complex_numIfEPS3_EEvT1_iilPiilS6_bb
	.p2align	8
	.type	_ZN9rocsolver6v33100L18getri_kernel_smallILi26E19rocblas_complex_numIfEPS3_EEvT1_iilPiilS6_bb,@function
_ZN9rocsolver6v33100L18getri_kernel_smallILi26E19rocblas_complex_numIfEPS3_EEvT1_iilPiilS6_bb: ; @_ZN9rocsolver6v33100L18getri_kernel_smallILi26E19rocblas_complex_numIfEPS3_EEvT1_iilPiilS6_bb
; %bb.0:
	s_add_u32 flat_scratch_lo, s6, s9
	s_addc_u32 flat_scratch_hi, s7, 0
	s_add_u32 s0, s0, s9
	s_addc_u32 s1, s1, 0
	v_cmp_gt_u32_e32 vcc, 26, v0
	s_and_saveexec_b64 s[6:7], vcc
	s_cbranch_execz .LBB25_118
; %bb.1:
	s_load_dword s22, s[4:5], 0x38
	s_load_dwordx4 s[16:19], s[4:5], 0x10
	s_load_dwordx4 s[12:15], s[4:5], 0x28
                                        ; implicit-def: $sgpr10_sgpr11
	s_waitcnt lgkmcnt(0)
	s_bitcmp1_b32 s22, 8
	s_cselect_b64 s[20:21], -1, 0
	s_ashr_i32 s9, s8, 31
	s_bfe_u32 s6, s22, 0x10008
	s_cmp_eq_u32 s6, 0
	s_cbranch_scc1 .LBB25_3
; %bb.2:
	s_load_dword s6, s[4:5], 0x20
	s_mul_i32 s7, s8, s13
	s_mul_hi_u32 s10, s8, s12
	s_mul_i32 s11, s9, s12
	s_add_i32 s10, s10, s7
	s_add_i32 s11, s10, s11
	s_mul_i32 s10, s8, s12
	s_waitcnt lgkmcnt(0)
	s_ashr_i32 s7, s6, 31
	s_lshl_b64 s[10:11], s[10:11], 2
	s_add_u32 s10, s18, s10
	s_addc_u32 s11, s19, s11
	s_lshl_b64 s[6:7], s[6:7], 2
	s_add_u32 s10, s10, s6
	s_addc_u32 s11, s11, s7
.LBB25_3:
	s_load_dwordx4 s[4:7], s[4:5], 0x0
	s_mul_i32 s12, s8, s17
	s_mul_hi_u32 s13, s8, s16
	s_add_i32 s17, s13, s12
	v_lshlrev_b32_e32 v58, 3, v0
	s_waitcnt lgkmcnt(0)
	s_ashr_i32 s13, s6, 31
	s_mov_b32 s12, s6
	s_mul_i32 s6, s9, s16
	s_add_i32 s17, s17, s6
	s_mul_i32 s16, s8, s16
	s_lshl_b64 s[16:17], s[16:17], 3
	s_add_u32 s6, s4, s16
	s_addc_u32 s16, s5, s17
	s_lshl_b64 s[4:5], s[12:13], 3
	s_add_u32 s4, s6, s4
	s_addc_u32 s5, s16, s5
	s_add_i32 s6, s7, s7
	v_add_u32_e32 v4, s6, v0
	v_mov_b32_e32 v1, s5
	v_add_co_u32_e32 v2, vcc, s4, v58
	v_ashrrev_i32_e32 v5, 31, v4
	v_addc_co_u32_e32 v3, vcc, 0, v1, vcc
	v_add_u32_e32 v6, s7, v4
	v_lshlrev_b64 v[4:5], 3, v[4:5]
	v_mov_b32_e32 v9, s5
	v_ashrrev_i32_e32 v7, 31, v6
	v_add_co_u32_e32 v4, vcc, s4, v4
	v_add_u32_e32 v8, s7, v6
	v_addc_co_u32_e32 v5, vcc, v9, v5, vcc
	v_lshlrev_b64 v[6:7], 3, v[6:7]
	v_mov_b32_e32 v11, s5
	v_ashrrev_i32_e32 v9, 31, v8
	v_add_co_u32_e32 v6, vcc, s4, v6
	v_add_u32_e32 v10, s7, v8
	v_addc_co_u32_e32 v7, vcc, v11, v7, vcc
	;; [unrolled: 6-line block ×4, first 2 shown]
	v_lshlrev_b64 v[12:13], 3, v[12:13]
	v_mov_b32_e32 v17, s5
	v_add_co_u32_e32 v12, vcc, s4, v12
	v_ashrrev_i32_e32 v15, 31, v14
	v_add_u32_e32 v16, s7, v14
	v_addc_co_u32_e32 v13, vcc, v17, v13, vcc
	v_lshlrev_b64 v[14:15], 3, v[14:15]
	v_add_co_u32_e32 v14, vcc, s4, v14
	v_addc_co_u32_e32 v15, vcc, v17, v15, vcc
	v_ashrrev_i32_e32 v17, 31, v16
	v_add_u32_e32 v18, s7, v16
	v_lshlrev_b64 v[16:17], 3, v[16:17]
	v_mov_b32_e32 v19, s5
	v_add_co_u32_e32 v16, vcc, s4, v16
	v_addc_co_u32_e32 v17, vcc, v19, v17, vcc
	v_ashrrev_i32_e32 v19, 31, v18
	v_add_u32_e32 v20, s7, v18
	v_lshlrev_b64 v[18:19], 3, v[18:19]
	v_mov_b32_e32 v21, s5
	;; [unrolled: 6-line block ×12, first 2 shown]
	v_add_co_u32_e32 v38, vcc, s4, v38
	v_addc_co_u32_e32 v39, vcc, v41, v39, vcc
	v_ashrrev_i32_e32 v41, 31, v40
	v_add_u32_e32 v42, s7, v40
	v_lshlrev_b64 v[40:41], 3, v[40:41]
	v_add_u32_e32 v44, s7, v42
	v_mov_b32_e32 v43, s5
	v_add_co_u32_e32 v40, vcc, s4, v40
	v_add_u32_e32 v48, s7, v44
	v_addc_co_u32_e32 v41, vcc, v43, v41, vcc
	v_ashrrev_i32_e32 v43, 31, v42
	v_add_u32_e32 v50, s7, v48
	v_lshlrev_b64 v[42:43], 3, v[42:43]
	s_mov_b32 s12, s7
	s_ashr_i32 s13, s7, 31
	v_add_u32_e32 v46, s7, v50
	v_mov_b32_e32 v45, s5
	v_add_co_u32_e32 v42, vcc, s4, v42
	s_lshl_b64 s[12:13], s[12:13], 3
	v_ashrrev_i32_e32 v47, 31, v46
	v_addc_co_u32_e32 v43, vcc, v45, v43, vcc
	v_mov_b32_e32 v1, s13
	v_lshlrev_b64 v[52:53], 3, v[46:47]
	v_ashrrev_i32_e32 v45, 31, v44
	v_add_co_u32_e32 v46, vcc, s12, v2
	v_addc_co_u32_e32 v47, vcc, v3, v1, vcc
	v_lshlrev_b64 v[44:45], 3, v[44:45]
	v_mov_b32_e32 v1, s5
	v_add_co_u32_e32 v44, vcc, s4, v44
	v_ashrrev_i32_e32 v49, 31, v48
	v_addc_co_u32_e32 v45, vcc, v1, v45, vcc
	v_lshlrev_b64 v[48:49], 3, v[48:49]
	v_add_co_u32_e32 v48, vcc, s4, v48
	v_ashrrev_i32_e32 v51, 31, v50
	v_addc_co_u32_e32 v49, vcc, v1, v49, vcc
	v_lshlrev_b64 v[50:51], 3, v[50:51]
	v_add_co_u32_e32 v50, vcc, s4, v50
	global_load_dwordx2 v[54:55], v58, s[4:5]
	global_load_dwordx2 v[60:61], v[4:5], off
	global_load_dwordx2 v[56:57], v[46:47], off
	;; [unrolled: 1-line block ×20, first 2 shown]
	v_addc_co_u32_e32 v51, vcc, v1, v51, vcc
	global_load_dwordx2 v[98:99], v[42:43], off
	global_load_dwordx2 v[100:101], v[44:45], off
	;; [unrolled: 1-line block ×4, first 2 shown]
	v_mov_b32_e32 v59, s5
	v_add_co_u32_e32 v52, vcc, s4, v52
	v_addc_co_u32_e32 v53, vcc, v59, v53, vcc
	global_load_dwordx2 v[106:107], v[52:53], off
	s_bitcmp0_b32 s22, 0
	s_mov_b64 s[6:7], -1
	s_waitcnt vmcnt(25)
	buffer_store_dword v55, off, s[0:3], 0 offset:4
	buffer_store_dword v54, off, s[0:3], 0
	s_waitcnt vmcnt(25)
	buffer_store_dword v57, off, s[0:3], 0 offset:12
	buffer_store_dword v56, off, s[0:3], 0 offset:8
	buffer_store_dword v61, off, s[0:3], 0 offset:20
	buffer_store_dword v60, off, s[0:3], 0 offset:16
	s_waitcnt vmcnt(28)
	buffer_store_dword v63, off, s[0:3], 0 offset:28
	buffer_store_dword v62, off, s[0:3], 0 offset:24
	s_waitcnt vmcnt(29)
	buffer_store_dword v65, off, s[0:3], 0 offset:36
	buffer_store_dword v64, off, s[0:3], 0 offset:32
	;; [unrolled: 3-line block ×23, first 2 shown]
	s_cbranch_scc1 .LBB25_116
; %bb.4:
	v_cmp_eq_u32_e64 s[4:5], 0, v0
	s_and_saveexec_b64 s[6:7], s[4:5]
	s_cbranch_execz .LBB25_6
; %bb.5:
	v_mov_b32_e32 v1, 0
	ds_write_b32 v1, v1 offset:416
.LBB25_6:
	s_or_b64 exec, exec, s[6:7]
	v_mov_b32_e32 v1, 0
	v_lshl_add_u32 v59, v0, 3, v1
	s_waitcnt lgkmcnt(0)
	; wave barrier
	s_waitcnt lgkmcnt(0)
	buffer_load_dword v1, v59, s[0:3], 0 offen
	buffer_load_dword v54, v59, s[0:3], 0 offen offset:4
	s_waitcnt vmcnt(1)
	v_cmp_eq_f32_e32 vcc, 0, v1
	s_waitcnt vmcnt(0)
	v_cmp_eq_f32_e64 s[6:7], 0, v54
	s_and_b64 s[6:7], vcc, s[6:7]
	s_and_saveexec_b64 s[12:13], s[6:7]
	s_cbranch_execz .LBB25_10
; %bb.7:
	v_mov_b32_e32 v1, 0
	ds_read_b32 v55, v1 offset:416
	v_add_u32_e32 v54, 1, v0
	s_waitcnt lgkmcnt(0)
	v_readfirstlane_b32 s6, v55
	s_cmp_eq_u32 s6, 0
	s_cselect_b64 s[16:17], -1, 0
	v_cmp_gt_i32_e32 vcc, s6, v54
	s_or_b64 s[16:17], s[16:17], vcc
	s_and_b64 exec, exec, s[16:17]
	s_cbranch_execz .LBB25_10
; %bb.8:
	s_mov_b64 s[16:17], 0
	v_mov_b32_e32 v55, s6
.LBB25_9:                               ; =>This Inner Loop Header: Depth=1
	ds_cmpst_rtn_b32 v55, v1, v55, v54 offset:416
	s_waitcnt lgkmcnt(0)
	v_cmp_ne_u32_e32 vcc, 0, v55
	v_cmp_le_i32_e64 s[6:7], v55, v54
	s_and_b64 s[6:7], vcc, s[6:7]
	s_and_b64 s[6:7], exec, s[6:7]
	s_or_b64 s[16:17], s[6:7], s[16:17]
	s_andn2_b64 exec, exec, s[16:17]
	s_cbranch_execnz .LBB25_9
.LBB25_10:
	s_or_b64 exec, exec, s[12:13]
	v_mov_b32_e32 v54, 0
	s_waitcnt lgkmcnt(0)
	; wave barrier
	ds_read_b32 v1, v54 offset:416
	s_and_saveexec_b64 s[6:7], s[4:5]
	s_cbranch_execz .LBB25_12
; %bb.11:
	s_lshl_b64 s[12:13], s[8:9], 2
	s_add_u32 s12, s14, s12
	s_addc_u32 s13, s15, s13
	s_waitcnt lgkmcnt(0)
	global_store_dword v54, v1, s[12:13]
.LBB25_12:
	s_or_b64 exec, exec, s[6:7]
	s_waitcnt lgkmcnt(0)
	v_cmp_ne_u32_e32 vcc, 0, v1
	s_mov_b64 s[6:7], 0
	s_cbranch_vccnz .LBB25_116
; %bb.13:
	buffer_load_dword v60, v59, s[0:3], 0 offen offset:4
	buffer_load_dword v55, v59, s[0:3], 0 offen
	s_waitcnt vmcnt(1)
	v_cmp_gt_f32_e32 vcc, 0, v60
	v_cndmask_b32_e64 v1, v60, -v60, vcc
	s_waitcnt vmcnt(0)
	v_cmp_gt_f32_e32 vcc, 0, v55
	v_cndmask_b32_e64 v54, v55, -v55, vcc
	v_cmp_ngt_f32_e32 vcc, v54, v1
                                        ; implicit-def: $vgpr1
                                        ; implicit-def: $vgpr54
	s_and_saveexec_b64 s[6:7], vcc
	s_xor_b64 s[6:7], exec, s[6:7]
                                        ; implicit-def: $vgpr56_vgpr57
	s_cbranch_execz .LBB25_15
; %bb.14:
	v_div_scale_f32 v1, s[12:13], v60, v60, v55
	v_rcp_f32_e32 v54, v1
	v_div_scale_f32 v56, vcc, v55, v60, v55
	v_fma_f32 v57, -v1, v54, 1.0
	v_fmac_f32_e32 v54, v57, v54
	v_mul_f32_e32 v57, v56, v54
	v_fma_f32 v61, -v1, v57, v56
	v_fmac_f32_e32 v57, v61, v54
	v_fma_f32 v1, -v1, v57, v56
	v_div_fmas_f32 v1, v1, v54, v57
	v_div_fixup_f32 v54, v1, v60, v55
	v_fmac_f32_e32 v60, v55, v54
	v_div_scale_f32 v1, s[12:13], v60, v60, -1.0
	v_rcp_f32_e32 v55, v1
	v_fma_f32 v56, -v1, v55, 1.0
	v_fmac_f32_e32 v55, v56, v55
	v_div_scale_f32 v56, vcc, -1.0, v60, -1.0
	v_mul_f32_e32 v57, v56, v55
	v_fma_f32 v61, -v1, v57, v56
	v_fmac_f32_e32 v57, v61, v55
	v_fma_f32 v1, -v1, v57, v56
	v_div_fmas_f32 v1, v1, v55, v57
	v_div_fixup_f32 v1, v1, v60, -1.0
	v_mul_f32_e32 v54, v54, v1
	v_xor_b32_e32 v56, 0x80000000, v54
                                        ; implicit-def: $vgpr55
                                        ; implicit-def: $vgpr60
.LBB25_15:
	s_andn2_saveexec_b64 s[6:7], s[6:7]
	s_cbranch_execz .LBB25_17
; %bb.16:
	v_div_scale_f32 v1, s[12:13], v55, v55, v60
	v_rcp_f32_e32 v54, v1
	v_div_scale_f32 v56, vcc, v60, v55, v60
	v_fma_f32 v57, -v1, v54, 1.0
	v_fmac_f32_e32 v54, v57, v54
	v_mul_f32_e32 v57, v56, v54
	v_fma_f32 v61, -v1, v57, v56
	v_fmac_f32_e32 v57, v61, v54
	v_fma_f32 v1, -v1, v57, v56
	v_div_fmas_f32 v1, v1, v54, v57
	v_div_fixup_f32 v1, v1, v55, v60
	v_fmac_f32_e32 v55, v60, v1
	v_div_scale_f32 v54, s[12:13], v55, v55, 1.0
	v_rcp_f32_e32 v56, v54
	v_fma_f32 v57, -v54, v56, 1.0
	v_fmac_f32_e32 v56, v57, v56
	v_div_scale_f32 v57, vcc, 1.0, v55, 1.0
	v_mul_f32_e32 v60, v57, v56
	v_fma_f32 v61, -v54, v60, v57
	v_fmac_f32_e32 v60, v61, v56
	v_fma_f32 v54, -v54, v60, v57
	v_div_fmas_f32 v54, v54, v56, v60
	v_div_fixup_f32 v56, v54, v55, 1.0
	v_xor_b32_e32 v54, 0x80000000, v56
	v_mul_f32_e64 v1, v1, -v56
.LBB25_17:
	s_or_b64 exec, exec, s[6:7]
	buffer_store_dword v1, v59, s[0:3], 0 offen offset:4
	buffer_store_dword v56, v59, s[0:3], 0 offen
	buffer_load_dword v57, off, s[0:3], 0 offset:12
	s_nop 0
	buffer_load_dword v56, off, s[0:3], 0 offset:8
	v_xor_b32_e32 v55, 0x80000000, v1
	v_add_u32_e32 v1, 0xd0, v58
	s_waitcnt vmcnt(0)
	ds_write2_b64 v58, v[54:55], v[56:57] offset1:26
	s_waitcnt lgkmcnt(0)
	; wave barrier
	s_waitcnt lgkmcnt(0)
	s_and_saveexec_b64 s[6:7], s[4:5]
	s_cbranch_execz .LBB25_19
; %bb.18:
	buffer_load_dword v60, v59, s[0:3], 0 offen offset:4
	buffer_load_dword v61, v59, s[0:3], 0 offen
	ds_read_b64 v[54:55], v1
	v_mov_b32_e32 v56, 0
	ds_read_b64 v[56:57], v56 offset:8
	s_waitcnt vmcnt(1) lgkmcnt(1)
	v_mul_f32_e32 v62, v55, v60
	v_mul_f32_e32 v60, v54, v60
	s_waitcnt vmcnt(0)
	v_fmac_f32_e32 v60, v55, v61
	v_fma_f32 v54, v54, v61, -v62
	v_add_f32_e32 v55, 0, v60
	v_add_f32_e32 v54, 0, v54
	s_waitcnt lgkmcnt(0)
	v_mul_f32_e32 v60, v55, v57
	v_mul_f32_e32 v57, v54, v57
	v_fma_f32 v54, v54, v56, -v60
	v_fmac_f32_e32 v57, v55, v56
	buffer_store_dword v54, off, s[0:3], 0 offset:8
	buffer_store_dword v57, off, s[0:3], 0 offset:12
.LBB25_19:
	s_or_b64 exec, exec, s[6:7]
	s_waitcnt lgkmcnt(0)
	; wave barrier
	buffer_load_dword v54, off, s[0:3], 0 offset:16
	buffer_load_dword v55, off, s[0:3], 0 offset:20
	v_cmp_gt_u32_e32 vcc, 2, v0
	s_waitcnt vmcnt(0)
	ds_write_b64 v1, v[54:55]
	s_waitcnt lgkmcnt(0)
	; wave barrier
	s_waitcnt lgkmcnt(0)
	s_and_saveexec_b64 s[6:7], vcc
	s_cbranch_execz .LBB25_23
; %bb.20:
	buffer_load_dword v56, v59, s[0:3], 0 offen offset:4
	buffer_load_dword v57, v59, s[0:3], 0 offen
	ds_read_b64 v[54:55], v1
	s_waitcnt vmcnt(1) lgkmcnt(0)
	v_mul_f32_e32 v59, v55, v56
	v_mul_f32_e32 v56, v54, v56
	s_waitcnt vmcnt(0)
	v_fma_f32 v54, v54, v57, -v59
	v_fmac_f32_e32 v56, v55, v57
	v_add_f32_e32 v55, 0, v54
	v_add_f32_e32 v54, 0, v56
	s_and_saveexec_b64 s[12:13], s[4:5]
	s_cbranch_execz .LBB25_22
; %bb.21:
	buffer_load_dword v59, off, s[0:3], 0 offset:12
	buffer_load_dword v60, off, s[0:3], 0 offset:8
	v_mov_b32_e32 v56, 0
	ds_read_b64 v[56:57], v56 offset:216
	s_waitcnt vmcnt(1) lgkmcnt(0)
	v_mul_f32_e32 v61, v56, v59
	v_mul_f32_e32 v59, v57, v59
	s_waitcnt vmcnt(0)
	v_fmac_f32_e32 v61, v57, v60
	v_fma_f32 v56, v56, v60, -v59
	v_add_f32_e32 v54, v54, v61
	v_add_f32_e32 v55, v55, v56
.LBB25_22:
	s_or_b64 exec, exec, s[12:13]
	v_mov_b32_e32 v56, 0
	ds_read_b64 v[56:57], v56 offset:16
	s_waitcnt lgkmcnt(0)
	v_mul_f32_e32 v59, v54, v57
	v_mul_f32_e32 v57, v55, v57
	v_fma_f32 v55, v55, v56, -v59
	v_fmac_f32_e32 v57, v54, v56
	buffer_store_dword v55, off, s[0:3], 0 offset:16
	buffer_store_dword v57, off, s[0:3], 0 offset:20
.LBB25_23:
	s_or_b64 exec, exec, s[6:7]
	s_waitcnt lgkmcnt(0)
	; wave barrier
	buffer_load_dword v54, off, s[0:3], 0 offset:24
	buffer_load_dword v55, off, s[0:3], 0 offset:28
	v_cmp_gt_u32_e32 vcc, 3, v0
	s_waitcnt vmcnt(0)
	ds_write_b64 v1, v[54:55]
	v_add_u32_e32 v54, -1, v0
	s_waitcnt lgkmcnt(0)
	; wave barrier
	s_waitcnt lgkmcnt(0)
	s_and_saveexec_b64 s[4:5], vcc
	s_cbranch_execz .LBB25_27
; %bb.24:
	v_add_u32_e32 v56, -1, v0
	v_add_u32_e32 v57, 0xd0, v58
	v_add_u32_e32 v59, 0, v58
	s_mov_b64 s[6:7], 0
	v_mov_b32_e32 v55, 0
	v_mov_b32_e32 v60, 0
.LBB25_25:                              ; =>This Inner Loop Header: Depth=1
	buffer_load_dword v61, v59, s[0:3], 0 offen offset:4
	buffer_load_dword v64, v59, s[0:3], 0 offen
	ds_read_b64 v[62:63], v57
	v_add_u32_e32 v56, 1, v56
	v_cmp_lt_u32_e32 vcc, 1, v56
	v_add_u32_e32 v57, 8, v57
	v_add_u32_e32 v59, 8, v59
	s_or_b64 s[6:7], vcc, s[6:7]
	s_waitcnt vmcnt(1) lgkmcnt(0)
	v_mul_f32_e32 v65, v63, v61
	v_mul_f32_e32 v61, v62, v61
	s_waitcnt vmcnt(0)
	v_fma_f32 v62, v62, v64, -v65
	v_fmac_f32_e32 v61, v63, v64
	v_add_f32_e32 v60, v60, v62
	v_add_f32_e32 v55, v55, v61
	s_andn2_b64 exec, exec, s[6:7]
	s_cbranch_execnz .LBB25_25
; %bb.26:
	s_or_b64 exec, exec, s[6:7]
	v_mov_b32_e32 v56, 0
	ds_read_b64 v[56:57], v56 offset:24
	s_waitcnt lgkmcnt(0)
	v_mul_f32_e32 v59, v55, v57
	v_mul_f32_e32 v57, v60, v57
	v_fma_f32 v59, v60, v56, -v59
	v_fmac_f32_e32 v57, v55, v56
	buffer_store_dword v59, off, s[0:3], 0 offset:24
	buffer_store_dword v57, off, s[0:3], 0 offset:28
.LBB25_27:
	s_or_b64 exec, exec, s[4:5]
	s_waitcnt lgkmcnt(0)
	; wave barrier
	buffer_load_dword v56, off, s[0:3], 0 offset:32
	buffer_load_dword v57, off, s[0:3], 0 offset:36
	v_cmp_gt_u32_e32 vcc, 4, v0
	s_waitcnt vmcnt(0)
	ds_write_b64 v1, v[56:57]
	s_waitcnt lgkmcnt(0)
	; wave barrier
	s_waitcnt lgkmcnt(0)
	s_and_saveexec_b64 s[4:5], vcc
	s_cbranch_execz .LBB25_31
; %bb.28:
	v_add_u32_e32 v56, -1, v0
	v_add_u32_e32 v57, 0xd0, v58
	v_add_u32_e32 v59, 0, v58
	s_mov_b64 s[6:7], 0
	v_mov_b32_e32 v55, 0
	v_mov_b32_e32 v60, 0
.LBB25_29:                              ; =>This Inner Loop Header: Depth=1
	buffer_load_dword v61, v59, s[0:3], 0 offen offset:4
	buffer_load_dword v64, v59, s[0:3], 0 offen
	ds_read_b64 v[62:63], v57
	v_add_u32_e32 v56, 1, v56
	v_cmp_lt_u32_e32 vcc, 2, v56
	v_add_u32_e32 v57, 8, v57
	v_add_u32_e32 v59, 8, v59
	s_or_b64 s[6:7], vcc, s[6:7]
	s_waitcnt vmcnt(1) lgkmcnt(0)
	v_mul_f32_e32 v65, v63, v61
	v_mul_f32_e32 v61, v62, v61
	s_waitcnt vmcnt(0)
	v_fma_f32 v62, v62, v64, -v65
	v_fmac_f32_e32 v61, v63, v64
	v_add_f32_e32 v60, v60, v62
	v_add_f32_e32 v55, v55, v61
	s_andn2_b64 exec, exec, s[6:7]
	s_cbranch_execnz .LBB25_29
; %bb.30:
	s_or_b64 exec, exec, s[6:7]
	v_mov_b32_e32 v56, 0
	ds_read_b64 v[56:57], v56 offset:32
	s_waitcnt lgkmcnt(0)
	v_mul_f32_e32 v59, v55, v57
	v_mul_f32_e32 v57, v60, v57
	v_fma_f32 v59, v60, v56, -v59
	v_fmac_f32_e32 v57, v55, v56
	buffer_store_dword v59, off, s[0:3], 0 offset:32
	buffer_store_dword v57, off, s[0:3], 0 offset:36
.LBB25_31:
	s_or_b64 exec, exec, s[4:5]
	s_waitcnt lgkmcnt(0)
	; wave barrier
	buffer_load_dword v56, off, s[0:3], 0 offset:40
	buffer_load_dword v57, off, s[0:3], 0 offset:44
	v_cmp_gt_u32_e32 vcc, 5, v0
	s_waitcnt vmcnt(0)
	ds_write_b64 v1, v[56:57]
	;; [unrolled: 51-line block ×19, first 2 shown]
	s_waitcnt lgkmcnt(0)
	; wave barrier
	s_waitcnt lgkmcnt(0)
	s_and_saveexec_b64 s[4:5], vcc
	s_cbranch_execz .LBB25_103
; %bb.100:
	v_add_u32_e32 v56, -1, v0
	v_add_u32_e32 v57, 0xd0, v58
	v_add_u32_e32 v59, 0, v58
	s_mov_b64 s[6:7], 0
	v_mov_b32_e32 v55, 0
	v_mov_b32_e32 v60, 0
.LBB25_101:                             ; =>This Inner Loop Header: Depth=1
	buffer_load_dword v61, v59, s[0:3], 0 offen offset:4
	buffer_load_dword v64, v59, s[0:3], 0 offen
	ds_read_b64 v[62:63], v57
	v_add_u32_e32 v56, 1, v56
	v_cmp_lt_u32_e32 vcc, 20, v56
	v_add_u32_e32 v57, 8, v57
	v_add_u32_e32 v59, 8, v59
	s_or_b64 s[6:7], vcc, s[6:7]
	s_waitcnt vmcnt(1) lgkmcnt(0)
	v_mul_f32_e32 v65, v63, v61
	v_mul_f32_e32 v61, v62, v61
	s_waitcnt vmcnt(0)
	v_fma_f32 v62, v62, v64, -v65
	v_fmac_f32_e32 v61, v63, v64
	v_add_f32_e32 v60, v60, v62
	v_add_f32_e32 v55, v55, v61
	s_andn2_b64 exec, exec, s[6:7]
	s_cbranch_execnz .LBB25_101
; %bb.102:
	s_or_b64 exec, exec, s[6:7]
	v_mov_b32_e32 v56, 0
	ds_read_b64 v[56:57], v56 offset:176
	s_waitcnt lgkmcnt(0)
	v_mul_f32_e32 v59, v55, v57
	v_mul_f32_e32 v57, v60, v57
	v_fma_f32 v59, v60, v56, -v59
	v_fmac_f32_e32 v57, v55, v56
	buffer_store_dword v59, off, s[0:3], 0 offset:176
	buffer_store_dword v57, off, s[0:3], 0 offset:180
.LBB25_103:
	s_or_b64 exec, exec, s[4:5]
	s_waitcnt lgkmcnt(0)
	; wave barrier
	buffer_load_dword v56, off, s[0:3], 0 offset:184
	buffer_load_dword v57, off, s[0:3], 0 offset:188
	v_cmp_gt_u32_e32 vcc, 23, v0
	s_waitcnt vmcnt(0)
	ds_write_b64 v1, v[56:57]
	s_waitcnt lgkmcnt(0)
	; wave barrier
	s_waitcnt lgkmcnt(0)
	s_and_saveexec_b64 s[4:5], vcc
	s_cbranch_execz .LBB25_107
; %bb.104:
	v_add_u32_e32 v56, -1, v0
	v_add_u32_e32 v57, 0xd0, v58
	v_add_u32_e32 v59, 0, v58
	s_mov_b64 s[6:7], 0
	v_mov_b32_e32 v55, 0
	v_mov_b32_e32 v60, 0
.LBB25_105:                             ; =>This Inner Loop Header: Depth=1
	buffer_load_dword v61, v59, s[0:3], 0 offen offset:4
	buffer_load_dword v64, v59, s[0:3], 0 offen
	ds_read_b64 v[62:63], v57
	v_add_u32_e32 v56, 1, v56
	v_cmp_lt_u32_e32 vcc, 21, v56
	v_add_u32_e32 v57, 8, v57
	v_add_u32_e32 v59, 8, v59
	s_or_b64 s[6:7], vcc, s[6:7]
	s_waitcnt vmcnt(1) lgkmcnt(0)
	v_mul_f32_e32 v65, v63, v61
	v_mul_f32_e32 v61, v62, v61
	s_waitcnt vmcnt(0)
	v_fma_f32 v62, v62, v64, -v65
	v_fmac_f32_e32 v61, v63, v64
	v_add_f32_e32 v60, v60, v62
	v_add_f32_e32 v55, v55, v61
	s_andn2_b64 exec, exec, s[6:7]
	s_cbranch_execnz .LBB25_105
; %bb.106:
	s_or_b64 exec, exec, s[6:7]
	v_mov_b32_e32 v56, 0
	ds_read_b64 v[56:57], v56 offset:184
	s_waitcnt lgkmcnt(0)
	v_mul_f32_e32 v59, v55, v57
	v_mul_f32_e32 v57, v60, v57
	v_fma_f32 v59, v60, v56, -v59
	v_fmac_f32_e32 v57, v55, v56
	buffer_store_dword v59, off, s[0:3], 0 offset:184
	buffer_store_dword v57, off, s[0:3], 0 offset:188
.LBB25_107:
	s_or_b64 exec, exec, s[4:5]
	s_waitcnt lgkmcnt(0)
	; wave barrier
	buffer_load_dword v56, off, s[0:3], 0 offset:192
	buffer_load_dword v57, off, s[0:3], 0 offset:196
	v_cmp_gt_u32_e32 vcc, 24, v0
	s_waitcnt vmcnt(0)
	ds_write_b64 v1, v[56:57]
	s_waitcnt lgkmcnt(0)
	; wave barrier
	s_waitcnt lgkmcnt(0)
	s_and_saveexec_b64 s[4:5], vcc
	s_cbranch_execz .LBB25_111
; %bb.108:
	v_add_u32_e32 v56, -1, v0
	v_add_u32_e32 v57, 0xd0, v58
	v_add_u32_e32 v59, 0, v58
	s_mov_b64 s[6:7], 0
	v_mov_b32_e32 v55, 0
	v_mov_b32_e32 v60, 0
.LBB25_109:                             ; =>This Inner Loop Header: Depth=1
	buffer_load_dword v61, v59, s[0:3], 0 offen offset:4
	buffer_load_dword v64, v59, s[0:3], 0 offen
	ds_read_b64 v[62:63], v57
	v_add_u32_e32 v56, 1, v56
	v_cmp_lt_u32_e32 vcc, 22, v56
	v_add_u32_e32 v57, 8, v57
	v_add_u32_e32 v59, 8, v59
	s_or_b64 s[6:7], vcc, s[6:7]
	s_waitcnt vmcnt(1) lgkmcnt(0)
	v_mul_f32_e32 v65, v63, v61
	v_mul_f32_e32 v61, v62, v61
	s_waitcnt vmcnt(0)
	v_fma_f32 v62, v62, v64, -v65
	v_fmac_f32_e32 v61, v63, v64
	v_add_f32_e32 v60, v60, v62
	v_add_f32_e32 v55, v55, v61
	s_andn2_b64 exec, exec, s[6:7]
	s_cbranch_execnz .LBB25_109
; %bb.110:
	s_or_b64 exec, exec, s[6:7]
	v_mov_b32_e32 v56, 0
	ds_read_b64 v[56:57], v56 offset:192
	s_waitcnt lgkmcnt(0)
	v_mul_f32_e32 v59, v55, v57
	v_mul_f32_e32 v57, v60, v57
	v_fma_f32 v59, v60, v56, -v59
	v_fmac_f32_e32 v57, v55, v56
	buffer_store_dword v59, off, s[0:3], 0 offset:192
	buffer_store_dword v57, off, s[0:3], 0 offset:196
.LBB25_111:
	s_or_b64 exec, exec, s[4:5]
	s_waitcnt lgkmcnt(0)
	; wave barrier
	buffer_load_dword v56, off, s[0:3], 0 offset:200
	buffer_load_dword v57, off, s[0:3], 0 offset:204
	v_cmp_ne_u32_e32 vcc, 25, v0
	s_waitcnt vmcnt(0)
	ds_write_b64 v1, v[56:57]
	s_waitcnt lgkmcnt(0)
	; wave barrier
	s_waitcnt lgkmcnt(0)
	s_and_saveexec_b64 s[4:5], vcc
	s_cbranch_execz .LBB25_115
; %bb.112:
	v_add_u32_e32 v55, 0xd0, v58
	v_add_u32_e32 v56, 0, v58
	s_mov_b64 s[6:7], 0
	v_mov_b32_e32 v1, 0
	v_mov_b32_e32 v57, 0
.LBB25_113:                             ; =>This Inner Loop Header: Depth=1
	buffer_load_dword v60, v56, s[0:3], 0 offen offset:4
	buffer_load_dword v61, v56, s[0:3], 0 offen
	ds_read_b64 v[58:59], v55
	v_add_u32_e32 v54, 1, v54
	v_cmp_lt_u32_e32 vcc, 23, v54
	v_add_u32_e32 v55, 8, v55
	v_add_u32_e32 v56, 8, v56
	s_or_b64 s[6:7], vcc, s[6:7]
	s_waitcnt vmcnt(1) lgkmcnt(0)
	v_mul_f32_e32 v62, v59, v60
	v_mul_f32_e32 v60, v58, v60
	s_waitcnt vmcnt(0)
	v_fma_f32 v58, v58, v61, -v62
	v_fmac_f32_e32 v60, v59, v61
	v_add_f32_e32 v57, v57, v58
	v_add_f32_e32 v1, v1, v60
	s_andn2_b64 exec, exec, s[6:7]
	s_cbranch_execnz .LBB25_113
; %bb.114:
	s_or_b64 exec, exec, s[6:7]
	v_mov_b32_e32 v54, 0
	ds_read_b64 v[54:55], v54 offset:200
	s_waitcnt lgkmcnt(0)
	v_mul_f32_e32 v56, v1, v55
	v_mul_f32_e32 v55, v57, v55
	v_fma_f32 v56, v57, v54, -v56
	v_fmac_f32_e32 v55, v1, v54
	buffer_store_dword v56, off, s[0:3], 0 offset:200
	buffer_store_dword v55, off, s[0:3], 0 offset:204
.LBB25_115:
	s_or_b64 exec, exec, s[4:5]
	s_mov_b64 s[6:7], -1
	s_waitcnt lgkmcnt(0)
	; wave barrier
.LBB25_116:
	s_and_b64 vcc, exec, s[6:7]
	s_cbranch_vccz .LBB25_118
; %bb.117:
	s_lshl_b64 s[4:5], s[8:9], 2
	s_add_u32 s4, s14, s4
	s_addc_u32 s5, s15, s5
	v_mov_b32_e32 v1, 0
	global_load_dword v1, v1, s[4:5]
	s_waitcnt vmcnt(0)
	v_cmp_ne_u32_e32 vcc, 0, v1
	s_cbranch_vccz .LBB25_119
.LBB25_118:
	s_endpgm
.LBB25_119:
	v_mov_b32_e32 v1, 0xd0
	v_lshl_add_u32 v1, v0, 3, v1
	v_cmp_eq_u32_e32 vcc, 25, v0
	s_and_saveexec_b64 s[4:5], vcc
	s_cbranch_execz .LBB25_121
; %bb.120:
	buffer_load_dword v54, off, s[0:3], 0 offset:192
	buffer_load_dword v55, off, s[0:3], 0 offset:196
	v_mov_b32_e32 v56, 0
	buffer_store_dword v56, off, s[0:3], 0 offset:192
	buffer_store_dword v56, off, s[0:3], 0 offset:196
	s_waitcnt vmcnt(2)
	ds_write_b64 v1, v[54:55]
.LBB25_121:
	s_or_b64 exec, exec, s[4:5]
	s_waitcnt lgkmcnt(0)
	; wave barrier
	s_waitcnt lgkmcnt(0)
	buffer_load_dword v57, off, s[0:3], 0 offset:204
	buffer_load_dword v56, off, s[0:3], 0 offset:200
	;; [unrolled: 1-line block ×4, first 2 shown]
	v_mov_b32_e32 v54, 0
	ds_read_b64 v[60:61], v54 offset:408
	v_cmp_lt_u32_e32 vcc, 23, v0
	s_waitcnt vmcnt(3)
	v_mov_b32_e32 v62, v57
	s_waitcnt lgkmcnt(0)
	v_pk_mul_f32 v[62:63], v[60:61], v[62:63] op_sel_hi:[1,0]
	s_waitcnt vmcnt(2)
	v_pk_fma_f32 v[64:65], v[60:61], v[56:57], v[62:63] op_sel:[0,0,1] op_sel_hi:[1,1,0] neg_lo:[0,0,1] neg_hi:[0,0,1]
	v_pk_fma_f32 v[56:57], v[60:61], v[56:57], v[62:63] op_sel:[0,0,1] op_sel_hi:[1,0,0]
	v_mov_b32_e32 v65, v57
	v_pk_add_f32 v[56:57], v[64:65], 0 op_sel_hi:[1,0]
	s_waitcnt vmcnt(0)
	v_pk_add_f32 v[56:57], v[58:59], v[56:57] neg_lo:[0,1] neg_hi:[0,1]
	buffer_store_dword v56, off, s[0:3], 0 offset:192
	buffer_store_dword v57, off, s[0:3], 0 offset:196
	s_and_saveexec_b64 s[4:5], vcc
	s_cbranch_execz .LBB25_123
; %bb.122:
	buffer_load_dword v56, off, s[0:3], 0 offset:184
	buffer_load_dword v57, off, s[0:3], 0 offset:188
	s_waitcnt vmcnt(0)
	ds_write_b64 v1, v[56:57]
	buffer_store_dword v54, off, s[0:3], 0 offset:184
	buffer_store_dword v54, off, s[0:3], 0 offset:188
.LBB25_123:
	s_or_b64 exec, exec, s[4:5]
	s_waitcnt lgkmcnt(0)
	; wave barrier
	s_waitcnt lgkmcnt(0)
	buffer_load_dword v59, off, s[0:3], 0 offset:196
	buffer_load_dword v61, off, s[0:3], 0 offset:204
	;; [unrolled: 1-line block ×6, first 2 shown]
	ds_read_b128 v[54:57], v54 offset:400
	v_cmp_lt_u32_e32 vcc, 22, v0
	s_waitcnt vmcnt(5)
	v_mov_b32_e32 v64, v59
	s_waitcnt vmcnt(4)
	v_mov_b32_e32 v66, v61
	s_waitcnt lgkmcnt(0)
	v_pk_mul_f32 v[64:65], v[54:55], v[64:65] op_sel_hi:[1,0]
	v_pk_mul_f32 v[66:67], v[56:57], v[66:67] op_sel_hi:[1,0]
	s_waitcnt vmcnt(3)
	v_pk_fma_f32 v[68:69], v[54:55], v[58:59], v[64:65] op_sel:[0,0,1] op_sel_hi:[1,1,0] neg_lo:[0,0,1] neg_hi:[0,0,1]
	v_pk_fma_f32 v[54:55], v[54:55], v[58:59], v[64:65] op_sel:[0,0,1] op_sel_hi:[1,0,0]
	s_waitcnt vmcnt(2)
	v_pk_fma_f32 v[58:59], v[56:57], v[60:61], v[66:67] op_sel:[0,0,1] op_sel_hi:[1,1,0] neg_lo:[0,0,1] neg_hi:[0,0,1]
	v_pk_fma_f32 v[56:57], v[56:57], v[60:61], v[66:67] op_sel:[0,0,1] op_sel_hi:[1,0,0]
	v_mov_b32_e32 v69, v55
	v_mov_b32_e32 v59, v57
	v_pk_add_f32 v[54:55], v[68:69], 0 op_sel_hi:[1,0]
	v_pk_add_f32 v[54:55], v[54:55], v[58:59]
	s_waitcnt vmcnt(0)
	v_pk_add_f32 v[54:55], v[62:63], v[54:55] neg_lo:[0,1] neg_hi:[0,1]
	buffer_store_dword v54, off, s[0:3], 0 offset:184
	buffer_store_dword v55, off, s[0:3], 0 offset:188
	s_and_saveexec_b64 s[4:5], vcc
	s_cbranch_execz .LBB25_125
; %bb.124:
	buffer_load_dword v54, off, s[0:3], 0 offset:176
	buffer_load_dword v55, off, s[0:3], 0 offset:180
	v_mov_b32_e32 v56, 0
	buffer_store_dword v56, off, s[0:3], 0 offset:176
	buffer_store_dword v56, off, s[0:3], 0 offset:180
	s_waitcnt vmcnt(2)
	ds_write_b64 v1, v[54:55]
.LBB25_125:
	s_or_b64 exec, exec, s[4:5]
	s_waitcnt lgkmcnt(0)
	; wave barrier
	s_waitcnt lgkmcnt(0)
	buffer_load_dword v61, off, s[0:3], 0 offset:188
	buffer_load_dword v63, off, s[0:3], 0 offset:196
	;; [unrolled: 1-line block ×8, first 2 shown]
	v_mov_b32_e32 v54, 0
	ds_read2_b64 v[56:59], v54 offset0:49 offset1:50
	ds_read_b64 v[68:69], v54 offset:408
	v_cmp_lt_u32_e32 vcc, 21, v0
	s_waitcnt vmcnt(7)
	v_mov_b32_e32 v70, v61
	s_waitcnt vmcnt(6)
	v_mov_b32_e32 v72, v63
	s_waitcnt lgkmcnt(1)
	v_pk_mul_f32 v[70:71], v[56:57], v[70:71] op_sel_hi:[1,0]
	s_waitcnt vmcnt(5)
	v_mov_b32_e32 v74, v65
	v_pk_mul_f32 v[72:73], v[58:59], v[72:73] op_sel_hi:[1,0]
	s_waitcnt vmcnt(4)
	v_pk_fma_f32 v[76:77], v[56:57], v[60:61], v[70:71] op_sel:[0,0,1] op_sel_hi:[1,1,0] neg_lo:[0,0,1] neg_hi:[0,0,1]
	v_pk_fma_f32 v[56:57], v[56:57], v[60:61], v[70:71] op_sel:[0,0,1] op_sel_hi:[1,0,0]
	s_waitcnt lgkmcnt(0)
	v_pk_mul_f32 v[74:75], v[68:69], v[74:75] op_sel_hi:[1,0]
	s_waitcnt vmcnt(3)
	v_pk_fma_f32 v[60:61], v[58:59], v[62:63], v[72:73] op_sel:[0,0,1] op_sel_hi:[1,1,0] neg_lo:[0,0,1] neg_hi:[0,0,1]
	v_pk_fma_f32 v[58:59], v[58:59], v[62:63], v[72:73] op_sel:[0,0,1] op_sel_hi:[1,0,0]
	v_mov_b32_e32 v77, v57
	s_waitcnt vmcnt(2)
	v_pk_fma_f32 v[62:63], v[68:69], v[64:65], v[74:75] op_sel:[0,0,1] op_sel_hi:[1,1,0] neg_lo:[0,0,1] neg_hi:[0,0,1]
	v_pk_fma_f32 v[64:65], v[68:69], v[64:65], v[74:75] op_sel:[0,0,1] op_sel_hi:[1,0,0]
	v_mov_b32_e32 v61, v59
	v_pk_add_f32 v[56:57], v[76:77], 0 op_sel_hi:[1,0]
	v_mov_b32_e32 v63, v65
	v_pk_add_f32 v[56:57], v[56:57], v[60:61]
	v_pk_add_f32 v[56:57], v[56:57], v[62:63]
	s_waitcnt vmcnt(0)
	v_pk_add_f32 v[56:57], v[66:67], v[56:57] neg_lo:[0,1] neg_hi:[0,1]
	buffer_store_dword v56, off, s[0:3], 0 offset:176
	buffer_store_dword v57, off, s[0:3], 0 offset:180
	s_and_saveexec_b64 s[4:5], vcc
	s_cbranch_execz .LBB25_127
; %bb.126:
	buffer_load_dword v56, off, s[0:3], 0 offset:168
	buffer_load_dword v57, off, s[0:3], 0 offset:172
	s_waitcnt vmcnt(0)
	ds_write_b64 v1, v[56:57]
	buffer_store_dword v54, off, s[0:3], 0 offset:168
	buffer_store_dword v54, off, s[0:3], 0 offset:172
.LBB25_127:
	s_or_b64 exec, exec, s[4:5]
	s_waitcnt lgkmcnt(0)
	; wave barrier
	s_waitcnt lgkmcnt(0)
	buffer_load_dword v65, off, s[0:3], 0 offset:180
	buffer_load_dword v67, off, s[0:3], 0 offset:188
	;; [unrolled: 1-line block ×10, first 2 shown]
	ds_read_b128 v[56:59], v54 offset:384
	ds_read_b128 v[60:63], v54 offset:400
	v_cmp_lt_u32_e32 vcc, 20, v0
	s_waitcnt vmcnt(9)
	v_mov_b32_e32 v54, v65
	s_waitcnt vmcnt(8)
	v_mov_b32_e32 v74, v67
	s_waitcnt lgkmcnt(1)
	v_pk_mul_f32 v[54:55], v[56:57], v[54:55] op_sel_hi:[1,0]
	s_waitcnt vmcnt(7)
	v_mov_b32_e32 v76, v69
	v_pk_mul_f32 v[74:75], v[58:59], v[74:75] op_sel_hi:[1,0]
	s_waitcnt vmcnt(5)
	v_pk_fma_f32 v[80:81], v[56:57], v[64:65], v[54:55] op_sel:[0,0,1] op_sel_hi:[1,1,0] neg_lo:[0,0,1] neg_hi:[0,0,1]
	v_pk_fma_f32 v[54:55], v[56:57], v[64:65], v[54:55] op_sel:[0,0,1] op_sel_hi:[1,0,0]
	v_mov_b32_e32 v78, v71
	s_waitcnt lgkmcnt(0)
	v_pk_mul_f32 v[76:77], v[60:61], v[76:77] op_sel_hi:[1,0]
	s_waitcnt vmcnt(4)
	v_pk_fma_f32 v[56:57], v[58:59], v[66:67], v[74:75] op_sel:[0,0,1] op_sel_hi:[1,1,0] neg_lo:[0,0,1] neg_hi:[0,0,1]
	v_pk_fma_f32 v[58:59], v[58:59], v[66:67], v[74:75] op_sel:[0,0,1] op_sel_hi:[1,0,0]
	v_mov_b32_e32 v81, v55
	v_pk_mul_f32 v[78:79], v[62:63], v[78:79] op_sel_hi:[1,0]
	s_waitcnt vmcnt(3)
	v_pk_fma_f32 v[64:65], v[60:61], v[68:69], v[76:77] op_sel:[0,0,1] op_sel_hi:[1,1,0] neg_lo:[0,0,1] neg_hi:[0,0,1]
	v_pk_fma_f32 v[60:61], v[60:61], v[68:69], v[76:77] op_sel:[0,0,1] op_sel_hi:[1,0,0]
	v_mov_b32_e32 v57, v59
	v_pk_add_f32 v[54:55], v[80:81], 0 op_sel_hi:[1,0]
	s_waitcnt vmcnt(2)
	v_pk_fma_f32 v[66:67], v[62:63], v[70:71], v[78:79] op_sel:[0,0,1] op_sel_hi:[1,1,0] neg_lo:[0,0,1] neg_hi:[0,0,1]
	v_pk_fma_f32 v[62:63], v[62:63], v[70:71], v[78:79] op_sel:[0,0,1] op_sel_hi:[1,0,0]
	v_mov_b32_e32 v65, v61
	v_pk_add_f32 v[54:55], v[54:55], v[56:57]
	v_mov_b32_e32 v67, v63
	v_pk_add_f32 v[54:55], v[54:55], v[64:65]
	v_pk_add_f32 v[54:55], v[54:55], v[66:67]
	s_waitcnt vmcnt(0)
	v_pk_add_f32 v[54:55], v[72:73], v[54:55] neg_lo:[0,1] neg_hi:[0,1]
	buffer_store_dword v54, off, s[0:3], 0 offset:168
	buffer_store_dword v55, off, s[0:3], 0 offset:172
	s_and_saveexec_b64 s[4:5], vcc
	s_cbranch_execz .LBB25_129
; %bb.128:
	buffer_load_dword v54, off, s[0:3], 0 offset:160
	buffer_load_dword v55, off, s[0:3], 0 offset:164
	v_mov_b32_e32 v56, 0
	buffer_store_dword v56, off, s[0:3], 0 offset:160
	buffer_store_dword v56, off, s[0:3], 0 offset:164
	s_waitcnt vmcnt(2)
	ds_write_b64 v1, v[54:55]
.LBB25_129:
	s_or_b64 exec, exec, s[4:5]
	s_waitcnt lgkmcnt(0)
	; wave barrier
	s_waitcnt lgkmcnt(0)
	buffer_load_dword v65, off, s[0:3], 0 offset:172
	buffer_load_dword v67, off, s[0:3], 0 offset:180
	;; [unrolled: 1-line block ×12, first 2 shown]
	v_mov_b32_e32 v54, 0
	ds_read2_b64 v[56:59], v54 offset0:47 offset1:48
	ds_read2_b64 v[60:63], v54 offset0:49 offset1:50
	ds_read_b64 v[76:77], v54 offset:408
	v_cmp_lt_u32_e32 vcc, 19, v0
	s_waitcnt vmcnt(11)
	v_mov_b32_e32 v78, v65
	s_waitcnt vmcnt(10)
	v_mov_b32_e32 v80, v67
	s_waitcnt lgkmcnt(2)
	v_pk_mul_f32 v[78:79], v[56:57], v[78:79] op_sel_hi:[1,0]
	s_waitcnt vmcnt(9)
	v_mov_b32_e32 v82, v69
	v_pk_mul_f32 v[80:81], v[58:59], v[80:81] op_sel_hi:[1,0]
	s_waitcnt vmcnt(6)
	v_pk_fma_f32 v[88:89], v[56:57], v[64:65], v[78:79] op_sel:[0,0,1] op_sel_hi:[1,1,0] neg_lo:[0,0,1] neg_hi:[0,0,1]
	v_pk_fma_f32 v[56:57], v[56:57], v[64:65], v[78:79] op_sel:[0,0,1] op_sel_hi:[1,0,0]
	v_mov_b32_e32 v84, v71
	s_waitcnt lgkmcnt(1)
	v_pk_mul_f32 v[82:83], v[60:61], v[82:83] op_sel_hi:[1,0]
	s_waitcnt vmcnt(5)
	v_pk_fma_f32 v[64:65], v[58:59], v[66:67], v[80:81] op_sel:[0,0,1] op_sel_hi:[1,1,0] neg_lo:[0,0,1] neg_hi:[0,0,1]
	v_pk_fma_f32 v[58:59], v[58:59], v[66:67], v[80:81] op_sel:[0,0,1] op_sel_hi:[1,0,0]
	v_mov_b32_e32 v89, v57
	v_mov_b32_e32 v86, v73
	v_pk_mul_f32 v[84:85], v[62:63], v[84:85] op_sel_hi:[1,0]
	s_waitcnt vmcnt(4)
	v_pk_fma_f32 v[66:67], v[60:61], v[68:69], v[82:83] op_sel:[0,0,1] op_sel_hi:[1,1,0] neg_lo:[0,0,1] neg_hi:[0,0,1]
	v_pk_fma_f32 v[60:61], v[60:61], v[68:69], v[82:83] op_sel:[0,0,1] op_sel_hi:[1,0,0]
	v_mov_b32_e32 v65, v59
	v_pk_add_f32 v[56:57], v[88:89], 0 op_sel_hi:[1,0]
	s_waitcnt lgkmcnt(0)
	v_pk_mul_f32 v[86:87], v[76:77], v[86:87] op_sel_hi:[1,0]
	s_waitcnt vmcnt(3)
	v_pk_fma_f32 v[68:69], v[62:63], v[70:71], v[84:85] op_sel:[0,0,1] op_sel_hi:[1,1,0] neg_lo:[0,0,1] neg_hi:[0,0,1]
	v_pk_fma_f32 v[62:63], v[62:63], v[70:71], v[84:85] op_sel:[0,0,1] op_sel_hi:[1,0,0]
	v_mov_b32_e32 v67, v61
	v_pk_add_f32 v[56:57], v[56:57], v[64:65]
	s_waitcnt vmcnt(2)
	v_pk_fma_f32 v[70:71], v[76:77], v[72:73], v[86:87] op_sel:[0,0,1] op_sel_hi:[1,1,0] neg_lo:[0,0,1] neg_hi:[0,0,1]
	v_pk_fma_f32 v[72:73], v[76:77], v[72:73], v[86:87] op_sel:[0,0,1] op_sel_hi:[1,0,0]
	v_mov_b32_e32 v69, v63
	v_pk_add_f32 v[56:57], v[56:57], v[66:67]
	v_mov_b32_e32 v71, v73
	v_pk_add_f32 v[56:57], v[56:57], v[68:69]
	v_pk_add_f32 v[56:57], v[56:57], v[70:71]
	s_waitcnt vmcnt(0)
	v_pk_add_f32 v[56:57], v[74:75], v[56:57] neg_lo:[0,1] neg_hi:[0,1]
	buffer_store_dword v56, off, s[0:3], 0 offset:160
	buffer_store_dword v57, off, s[0:3], 0 offset:164
	s_and_saveexec_b64 s[4:5], vcc
	s_cbranch_execz .LBB25_131
; %bb.130:
	buffer_load_dword v56, off, s[0:3], 0 offset:152
	buffer_load_dword v57, off, s[0:3], 0 offset:156
	s_waitcnt vmcnt(0)
	ds_write_b64 v1, v[56:57]
	buffer_store_dword v54, off, s[0:3], 0 offset:152
	buffer_store_dword v54, off, s[0:3], 0 offset:156
.LBB25_131:
	s_or_b64 exec, exec, s[4:5]
	s_waitcnt lgkmcnt(0)
	; wave barrier
	s_waitcnt lgkmcnt(0)
	buffer_load_dword v69, off, s[0:3], 0 offset:164
	buffer_load_dword v71, off, s[0:3], 0 offset:172
	;; [unrolled: 1-line block ×14, first 2 shown]
	ds_read_b128 v[56:59], v54 offset:368
	ds_read_b128 v[60:63], v54 offset:384
	;; [unrolled: 1-line block ×3, first 2 shown]
	v_cmp_lt_u32_e32 vcc, 18, v0
	s_waitcnt vmcnt(13)
	v_mov_b32_e32 v54, v69
	s_waitcnt vmcnt(12)
	v_mov_b32_e32 v82, v71
	s_waitcnt lgkmcnt(2)
	v_pk_mul_f32 v[54:55], v[56:57], v[54:55] op_sel_hi:[1,0]
	s_waitcnt vmcnt(11)
	v_mov_b32_e32 v84, v73
	v_pk_mul_f32 v[82:83], v[58:59], v[82:83] op_sel_hi:[1,0]
	s_waitcnt vmcnt(10)
	v_mov_b32_e32 v86, v75
	s_waitcnt vmcnt(7)
	v_pk_fma_f32 v[92:93], v[56:57], v[68:69], v[54:55] op_sel:[0,0,1] op_sel_hi:[1,1,0] neg_lo:[0,0,1] neg_hi:[0,0,1]
	v_pk_fma_f32 v[54:55], v[56:57], v[68:69], v[54:55] op_sel:[0,0,1] op_sel_hi:[1,0,0]
	s_waitcnt lgkmcnt(1)
	v_pk_mul_f32 v[84:85], v[60:61], v[84:85] op_sel_hi:[1,0]
	s_waitcnt vmcnt(6)
	v_pk_fma_f32 v[56:57], v[58:59], v[70:71], v[82:83] op_sel:[0,0,1] op_sel_hi:[1,1,0] neg_lo:[0,0,1] neg_hi:[0,0,1]
	v_pk_fma_f32 v[58:59], v[58:59], v[70:71], v[82:83] op_sel:[0,0,1] op_sel_hi:[1,0,0]
	v_mov_b32_e32 v93, v55
	v_mov_b32_e32 v88, v77
	v_pk_mul_f32 v[86:87], v[62:63], v[86:87] op_sel_hi:[1,0]
	s_waitcnt vmcnt(5)
	v_pk_fma_f32 v[68:69], v[60:61], v[72:73], v[84:85] op_sel:[0,0,1] op_sel_hi:[1,1,0] neg_lo:[0,0,1] neg_hi:[0,0,1]
	v_pk_fma_f32 v[60:61], v[60:61], v[72:73], v[84:85] op_sel:[0,0,1] op_sel_hi:[1,0,0]
	v_mov_b32_e32 v57, v59
	v_pk_add_f32 v[54:55], v[92:93], 0 op_sel_hi:[1,0]
	v_mov_b32_e32 v90, v79
	s_waitcnt lgkmcnt(0)
	v_pk_mul_f32 v[88:89], v[64:65], v[88:89] op_sel_hi:[1,0]
	s_waitcnt vmcnt(4)
	v_pk_fma_f32 v[70:71], v[62:63], v[74:75], v[86:87] op_sel:[0,0,1] op_sel_hi:[1,1,0] neg_lo:[0,0,1] neg_hi:[0,0,1]
	v_pk_fma_f32 v[62:63], v[62:63], v[74:75], v[86:87] op_sel:[0,0,1] op_sel_hi:[1,0,0]
	v_mov_b32_e32 v69, v61
	v_pk_add_f32 v[54:55], v[54:55], v[56:57]
	v_pk_mul_f32 v[90:91], v[66:67], v[90:91] op_sel_hi:[1,0]
	s_waitcnt vmcnt(3)
	v_pk_fma_f32 v[72:73], v[64:65], v[76:77], v[88:89] op_sel:[0,0,1] op_sel_hi:[1,1,0] neg_lo:[0,0,1] neg_hi:[0,0,1]
	v_pk_fma_f32 v[64:65], v[64:65], v[76:77], v[88:89] op_sel:[0,0,1] op_sel_hi:[1,0,0]
	v_mov_b32_e32 v71, v63
	v_pk_add_f32 v[54:55], v[54:55], v[68:69]
	s_waitcnt vmcnt(2)
	v_pk_fma_f32 v[74:75], v[66:67], v[78:79], v[90:91] op_sel:[0,0,1] op_sel_hi:[1,1,0] neg_lo:[0,0,1] neg_hi:[0,0,1]
	v_pk_fma_f32 v[66:67], v[66:67], v[78:79], v[90:91] op_sel:[0,0,1] op_sel_hi:[1,0,0]
	v_mov_b32_e32 v73, v65
	v_pk_add_f32 v[54:55], v[54:55], v[70:71]
	v_mov_b32_e32 v75, v67
	v_pk_add_f32 v[54:55], v[54:55], v[72:73]
	v_pk_add_f32 v[54:55], v[54:55], v[74:75]
	s_waitcnt vmcnt(0)
	v_pk_add_f32 v[54:55], v[80:81], v[54:55] neg_lo:[0,1] neg_hi:[0,1]
	buffer_store_dword v54, off, s[0:3], 0 offset:152
	buffer_store_dword v55, off, s[0:3], 0 offset:156
	s_and_saveexec_b64 s[4:5], vcc
	s_cbranch_execz .LBB25_133
; %bb.132:
	buffer_load_dword v54, off, s[0:3], 0 offset:144
	buffer_load_dword v55, off, s[0:3], 0 offset:148
	v_mov_b32_e32 v56, 0
	buffer_store_dword v56, off, s[0:3], 0 offset:144
	buffer_store_dword v56, off, s[0:3], 0 offset:148
	s_waitcnt vmcnt(2)
	ds_write_b64 v1, v[54:55]
.LBB25_133:
	s_or_b64 exec, exec, s[4:5]
	s_waitcnt lgkmcnt(0)
	; wave barrier
	s_waitcnt lgkmcnt(0)
	buffer_load_dword v69, off, s[0:3], 0 offset:156
	buffer_load_dword v71, off, s[0:3], 0 offset:164
	buffer_load_dword v73, off, s[0:3], 0 offset:172
	buffer_load_dword v75, off, s[0:3], 0 offset:180
	buffer_load_dword v77, off, s[0:3], 0 offset:188
	buffer_load_dword v79, off, s[0:3], 0 offset:196
	buffer_load_dword v81, off, s[0:3], 0 offset:204
	buffer_load_dword v68, off, s[0:3], 0 offset:152
	buffer_load_dword v70, off, s[0:3], 0 offset:160
	buffer_load_dword v72, off, s[0:3], 0 offset:168
	buffer_load_dword v74, off, s[0:3], 0 offset:176
	buffer_load_dword v76, off, s[0:3], 0 offset:184
	buffer_load_dword v78, off, s[0:3], 0 offset:192
	buffer_load_dword v80, off, s[0:3], 0 offset:200
	buffer_load_dword v82, off, s[0:3], 0 offset:144
	buffer_load_dword v83, off, s[0:3], 0 offset:148
	v_mov_b32_e32 v54, 0
	ds_read2_b64 v[56:59], v54 offset0:45 offset1:46
	ds_read2_b64 v[60:63], v54 offset0:47 offset1:48
	;; [unrolled: 1-line block ×3, first 2 shown]
	ds_read_b64 v[84:85], v54 offset:408
	v_cmp_lt_u32_e32 vcc, 17, v0
	s_waitcnt vmcnt(15)
	v_mov_b32_e32 v86, v69
	s_waitcnt vmcnt(14)
	v_mov_b32_e32 v88, v71
	s_waitcnt lgkmcnt(3)
	v_pk_mul_f32 v[86:87], v[56:57], v[86:87] op_sel_hi:[1,0]
	s_waitcnt vmcnt(13)
	v_mov_b32_e32 v90, v73
	v_pk_mul_f32 v[88:89], v[58:59], v[88:89] op_sel_hi:[1,0]
	s_waitcnt vmcnt(12)
	v_mov_b32_e32 v92, v75
	s_waitcnt lgkmcnt(2)
	v_pk_mul_f32 v[90:91], v[60:61], v[90:91] op_sel_hi:[1,0]
	s_waitcnt vmcnt(8)
	v_pk_fma_f32 v[100:101], v[56:57], v[68:69], v[86:87] op_sel:[0,0,1] op_sel_hi:[1,1,0] neg_lo:[0,0,1] neg_hi:[0,0,1]
	v_pk_fma_f32 v[56:57], v[56:57], v[68:69], v[86:87] op_sel:[0,0,1] op_sel_hi:[1,0,0]
	s_waitcnt vmcnt(7)
	v_pk_fma_f32 v[68:69], v[58:59], v[70:71], v[88:89] op_sel:[0,0,1] op_sel_hi:[1,1,0] neg_lo:[0,0,1] neg_hi:[0,0,1]
	v_pk_fma_f32 v[58:59], v[58:59], v[70:71], v[88:89] op_sel:[0,0,1] op_sel_hi:[1,0,0]
	v_mov_b32_e32 v101, v57
	v_mov_b32_e32 v94, v77
	v_pk_mul_f32 v[92:93], v[62:63], v[92:93] op_sel_hi:[1,0]
	s_waitcnt vmcnt(6)
	v_pk_fma_f32 v[70:71], v[60:61], v[72:73], v[90:91] op_sel:[0,0,1] op_sel_hi:[1,1,0] neg_lo:[0,0,1] neg_hi:[0,0,1]
	v_pk_fma_f32 v[60:61], v[60:61], v[72:73], v[90:91] op_sel:[0,0,1] op_sel_hi:[1,0,0]
	v_mov_b32_e32 v69, v59
	v_pk_add_f32 v[56:57], v[100:101], 0 op_sel_hi:[1,0]
	v_mov_b32_e32 v96, v79
	s_waitcnt lgkmcnt(1)
	v_pk_mul_f32 v[94:95], v[64:65], v[94:95] op_sel_hi:[1,0]
	s_waitcnt vmcnt(5)
	v_pk_fma_f32 v[72:73], v[62:63], v[74:75], v[92:93] op_sel:[0,0,1] op_sel_hi:[1,1,0] neg_lo:[0,0,1] neg_hi:[0,0,1]
	v_pk_fma_f32 v[62:63], v[62:63], v[74:75], v[92:93] op_sel:[0,0,1] op_sel_hi:[1,0,0]
	v_mov_b32_e32 v71, v61
	v_pk_add_f32 v[56:57], v[56:57], v[68:69]
	v_mov_b32_e32 v98, v81
	v_pk_mul_f32 v[96:97], v[66:67], v[96:97] op_sel_hi:[1,0]
	s_waitcnt vmcnt(4)
	v_pk_fma_f32 v[74:75], v[64:65], v[76:77], v[94:95] op_sel:[0,0,1] op_sel_hi:[1,1,0] neg_lo:[0,0,1] neg_hi:[0,0,1]
	v_pk_fma_f32 v[64:65], v[64:65], v[76:77], v[94:95] op_sel:[0,0,1] op_sel_hi:[1,0,0]
	v_mov_b32_e32 v73, v63
	v_pk_add_f32 v[56:57], v[56:57], v[70:71]
	s_waitcnt lgkmcnt(0)
	v_pk_mul_f32 v[98:99], v[84:85], v[98:99] op_sel_hi:[1,0]
	s_waitcnt vmcnt(3)
	v_pk_fma_f32 v[76:77], v[66:67], v[78:79], v[96:97] op_sel:[0,0,1] op_sel_hi:[1,1,0] neg_lo:[0,0,1] neg_hi:[0,0,1]
	v_pk_fma_f32 v[66:67], v[66:67], v[78:79], v[96:97] op_sel:[0,0,1] op_sel_hi:[1,0,0]
	v_mov_b32_e32 v75, v65
	v_pk_add_f32 v[56:57], v[56:57], v[72:73]
	s_waitcnt vmcnt(2)
	v_pk_fma_f32 v[78:79], v[84:85], v[80:81], v[98:99] op_sel:[0,0,1] op_sel_hi:[1,1,0] neg_lo:[0,0,1] neg_hi:[0,0,1]
	v_pk_fma_f32 v[80:81], v[84:85], v[80:81], v[98:99] op_sel:[0,0,1] op_sel_hi:[1,0,0]
	v_mov_b32_e32 v77, v67
	v_pk_add_f32 v[56:57], v[56:57], v[74:75]
	v_mov_b32_e32 v79, v81
	v_pk_add_f32 v[56:57], v[56:57], v[76:77]
	v_pk_add_f32 v[56:57], v[56:57], v[78:79]
	s_waitcnt vmcnt(0)
	v_pk_add_f32 v[56:57], v[82:83], v[56:57] neg_lo:[0,1] neg_hi:[0,1]
	buffer_store_dword v56, off, s[0:3], 0 offset:144
	buffer_store_dword v57, off, s[0:3], 0 offset:148
	s_and_saveexec_b64 s[4:5], vcc
	s_cbranch_execz .LBB25_135
; %bb.134:
	buffer_load_dword v56, off, s[0:3], 0 offset:136
	buffer_load_dword v57, off, s[0:3], 0 offset:140
	s_waitcnt vmcnt(0)
	ds_write_b64 v1, v[56:57]
	buffer_store_dword v54, off, s[0:3], 0 offset:136
	buffer_store_dword v54, off, s[0:3], 0 offset:140
.LBB25_135:
	s_or_b64 exec, exec, s[4:5]
	s_waitcnt lgkmcnt(0)
	; wave barrier
	s_waitcnt lgkmcnt(0)
	buffer_load_dword v73, off, s[0:3], 0 offset:148
	buffer_load_dword v75, off, s[0:3], 0 offset:156
	;; [unrolled: 1-line block ×18, first 2 shown]
	ds_read_b128 v[56:59], v54 offset:352
	ds_read_b128 v[60:63], v54 offset:368
	;; [unrolled: 1-line block ×4, first 2 shown]
	v_cmp_lt_u32_e32 vcc, 16, v0
	s_waitcnt vmcnt(17)
	v_mov_b32_e32 v54, v73
	s_waitcnt vmcnt(16)
	v_mov_b32_e32 v90, v75
	s_waitcnt lgkmcnt(3)
	v_pk_mul_f32 v[54:55], v[56:57], v[54:55] op_sel_hi:[1,0]
	s_waitcnt vmcnt(15)
	v_mov_b32_e32 v92, v77
	v_pk_mul_f32 v[90:91], v[58:59], v[90:91] op_sel_hi:[1,0]
	s_waitcnt vmcnt(14)
	v_mov_b32_e32 v94, v79
	s_waitcnt lgkmcnt(2)
	v_pk_mul_f32 v[92:93], v[60:61], v[92:93] op_sel_hi:[1,0]
	s_waitcnt vmcnt(13)
	v_mov_b32_e32 v96, v81
	s_waitcnt vmcnt(9)
	v_pk_fma_f32 v[104:105], v[56:57], v[72:73], v[54:55] op_sel:[0,0,1] op_sel_hi:[1,1,0] neg_lo:[0,0,1] neg_hi:[0,0,1]
	v_pk_fma_f32 v[54:55], v[56:57], v[72:73], v[54:55] op_sel:[0,0,1] op_sel_hi:[1,0,0]
	s_waitcnt vmcnt(8)
	v_pk_fma_f32 v[56:57], v[58:59], v[74:75], v[90:91] op_sel:[0,0,1] op_sel_hi:[1,1,0] neg_lo:[0,0,1] neg_hi:[0,0,1]
	v_pk_fma_f32 v[58:59], v[58:59], v[74:75], v[90:91] op_sel:[0,0,1] op_sel_hi:[1,0,0]
	v_mov_b32_e32 v105, v55
	v_pk_mul_f32 v[94:95], v[62:63], v[94:95] op_sel_hi:[1,0]
	s_waitcnt vmcnt(7)
	v_pk_fma_f32 v[72:73], v[60:61], v[76:77], v[92:93] op_sel:[0,0,1] op_sel_hi:[1,1,0] neg_lo:[0,0,1] neg_hi:[0,0,1]
	v_pk_fma_f32 v[60:61], v[60:61], v[76:77], v[92:93] op_sel:[0,0,1] op_sel_hi:[1,0,0]
	v_mov_b32_e32 v57, v59
	v_pk_add_f32 v[54:55], v[104:105], 0 op_sel_hi:[1,0]
	v_mov_b32_e32 v98, v83
	s_waitcnt lgkmcnt(1)
	v_pk_mul_f32 v[96:97], v[64:65], v[96:97] op_sel_hi:[1,0]
	s_waitcnt vmcnt(6)
	v_pk_fma_f32 v[74:75], v[62:63], v[78:79], v[94:95] op_sel:[0,0,1] op_sel_hi:[1,1,0] neg_lo:[0,0,1] neg_hi:[0,0,1]
	v_pk_fma_f32 v[62:63], v[62:63], v[78:79], v[94:95] op_sel:[0,0,1] op_sel_hi:[1,0,0]
	v_mov_b32_e32 v73, v61
	v_pk_add_f32 v[54:55], v[54:55], v[56:57]
	v_mov_b32_e32 v100, v85
	v_pk_mul_f32 v[98:99], v[66:67], v[98:99] op_sel_hi:[1,0]
	s_waitcnt vmcnt(5)
	v_pk_fma_f32 v[76:77], v[64:65], v[80:81], v[96:97] op_sel:[0,0,1] op_sel_hi:[1,1,0] neg_lo:[0,0,1] neg_hi:[0,0,1]
	v_pk_fma_f32 v[64:65], v[64:65], v[80:81], v[96:97] op_sel:[0,0,1] op_sel_hi:[1,0,0]
	v_mov_b32_e32 v75, v63
	v_pk_add_f32 v[54:55], v[54:55], v[72:73]
	v_mov_b32_e32 v102, v87
	s_waitcnt lgkmcnt(0)
	v_pk_mul_f32 v[100:101], v[68:69], v[100:101] op_sel_hi:[1,0]
	s_waitcnt vmcnt(4)
	v_pk_fma_f32 v[78:79], v[66:67], v[82:83], v[98:99] op_sel:[0,0,1] op_sel_hi:[1,1,0] neg_lo:[0,0,1] neg_hi:[0,0,1]
	v_pk_fma_f32 v[66:67], v[66:67], v[82:83], v[98:99] op_sel:[0,0,1] op_sel_hi:[1,0,0]
	v_mov_b32_e32 v77, v65
	v_pk_add_f32 v[54:55], v[54:55], v[74:75]
	v_pk_mul_f32 v[102:103], v[70:71], v[102:103] op_sel_hi:[1,0]
	s_waitcnt vmcnt(3)
	v_pk_fma_f32 v[80:81], v[68:69], v[84:85], v[100:101] op_sel:[0,0,1] op_sel_hi:[1,1,0] neg_lo:[0,0,1] neg_hi:[0,0,1]
	v_pk_fma_f32 v[68:69], v[68:69], v[84:85], v[100:101] op_sel:[0,0,1] op_sel_hi:[1,0,0]
	v_mov_b32_e32 v79, v67
	v_pk_add_f32 v[54:55], v[54:55], v[76:77]
	s_waitcnt vmcnt(2)
	v_pk_fma_f32 v[82:83], v[70:71], v[86:87], v[102:103] op_sel:[0,0,1] op_sel_hi:[1,1,0] neg_lo:[0,0,1] neg_hi:[0,0,1]
	v_pk_fma_f32 v[70:71], v[70:71], v[86:87], v[102:103] op_sel:[0,0,1] op_sel_hi:[1,0,0]
	v_mov_b32_e32 v81, v69
	v_pk_add_f32 v[54:55], v[54:55], v[78:79]
	v_mov_b32_e32 v83, v71
	v_pk_add_f32 v[54:55], v[54:55], v[80:81]
	v_pk_add_f32 v[54:55], v[54:55], v[82:83]
	s_waitcnt vmcnt(0)
	v_pk_add_f32 v[54:55], v[88:89], v[54:55] neg_lo:[0,1] neg_hi:[0,1]
	buffer_store_dword v54, off, s[0:3], 0 offset:136
	buffer_store_dword v55, off, s[0:3], 0 offset:140
	s_and_saveexec_b64 s[4:5], vcc
	s_cbranch_execz .LBB25_137
; %bb.136:
	buffer_load_dword v54, off, s[0:3], 0 offset:128
	buffer_load_dword v55, off, s[0:3], 0 offset:132
	v_mov_b32_e32 v56, 0
	buffer_store_dword v56, off, s[0:3], 0 offset:128
	buffer_store_dword v56, off, s[0:3], 0 offset:132
	s_waitcnt vmcnt(2)
	ds_write_b64 v1, v[54:55]
.LBB25_137:
	s_or_b64 exec, exec, s[4:5]
	s_waitcnt lgkmcnt(0)
	; wave barrier
	s_waitcnt lgkmcnt(0)
	buffer_load_dword v55, off, s[0:3], 0 offset:140
	buffer_load_dword v73, off, s[0:3], 0 offset:148
	buffer_load_dword v75, off, s[0:3], 0 offset:156
	buffer_load_dword v77, off, s[0:3], 0 offset:164
	buffer_load_dword v79, off, s[0:3], 0 offset:172
	buffer_load_dword v81, off, s[0:3], 0 offset:180
	buffer_load_dword v83, off, s[0:3], 0 offset:188
	buffer_load_dword v85, off, s[0:3], 0 offset:196
	buffer_load_dword v87, off, s[0:3], 0 offset:204
	buffer_load_dword v92, off, s[0:3], 0 offset:136
	buffer_load_dword v72, off, s[0:3], 0 offset:144
	buffer_load_dword v74, off, s[0:3], 0 offset:152
	buffer_load_dword v76, off, s[0:3], 0 offset:160
	buffer_load_dword v78, off, s[0:3], 0 offset:168
	buffer_load_dword v80, off, s[0:3], 0 offset:176
	buffer_load_dword v82, off, s[0:3], 0 offset:184
	buffer_load_dword v86, off, s[0:3], 0 offset:200
	buffer_load_dword v84, off, s[0:3], 0 offset:192
	buffer_load_dword v88, off, s[0:3], 0 offset:128
	buffer_load_dword v89, off, s[0:3], 0 offset:132
	v_mov_b32_e32 v54, 0
	ds_read2_b64 v[56:59], v54 offset0:43 offset1:44
	ds_read2_b64 v[60:63], v54 offset0:45 offset1:46
	;; [unrolled: 1-line block ×4, first 2 shown]
	ds_read_b64 v[90:91], v54 offset:408
	v_cmp_lt_u32_e32 vcc, 15, v0
	s_waitcnt vmcnt(19) lgkmcnt(4)
	v_mul_f32_e32 v93, v56, v55
	v_mul_f32_e32 v55, v57, v55
	s_waitcnt vmcnt(18)
	v_mov_b32_e32 v94, v73
	s_waitcnt vmcnt(17)
	v_mov_b32_e32 v96, v75
	;; [unrolled: 2-line block ×8, first 2 shown]
	s_waitcnt vmcnt(10)
	v_fmac_f32_e32 v93, v57, v92
	v_fma_f32 v92, v56, v92, -v55
	v_pk_mul_f32 v[56:57], v[58:59], v[94:95] op_sel_hi:[1,0]
	s_waitcnt lgkmcnt(3)
	v_pk_mul_f32 v[94:95], v[60:61], v[96:97] op_sel_hi:[1,0]
	v_pk_mul_f32 v[96:97], v[62:63], v[98:99] op_sel_hi:[1,0]
	s_waitcnt lgkmcnt(2)
	v_pk_mul_f32 v[98:99], v[64:65], v[100:101] op_sel_hi:[1,0]
	;; [unrolled: 3-line block ×4, first 2 shown]
	s_waitcnt vmcnt(9)
	v_pk_fma_f32 v[108:109], v[58:59], v[72:73], v[56:57] op_sel:[0,0,1] op_sel_hi:[1,1,0] neg_lo:[0,0,1] neg_hi:[0,0,1]
	v_pk_fma_f32 v[56:57], v[58:59], v[72:73], v[56:57] op_sel:[0,0,1] op_sel_hi:[1,0,0]
	v_pk_add_f32 v[92:93], v[92:93], 0 op_sel_hi:[1,0]
	s_waitcnt vmcnt(8)
	v_pk_fma_f32 v[58:59], v[60:61], v[74:75], v[94:95] op_sel:[0,0,1] op_sel_hi:[1,1,0] neg_lo:[0,0,1] neg_hi:[0,0,1]
	v_pk_fma_f32 v[60:61], v[60:61], v[74:75], v[94:95] op_sel:[0,0,1] op_sel_hi:[1,0,0]
	v_mov_b32_e32 v109, v57
	s_waitcnt vmcnt(7)
	v_pk_fma_f32 v[72:73], v[62:63], v[76:77], v[96:97] op_sel:[0,0,1] op_sel_hi:[1,1,0] neg_lo:[0,0,1] neg_hi:[0,0,1]
	v_pk_fma_f32 v[62:63], v[62:63], v[76:77], v[96:97] op_sel:[0,0,1] op_sel_hi:[1,0,0]
	v_mov_b32_e32 v59, v61
	v_pk_add_f32 v[56:57], v[92:93], v[108:109]
	s_waitcnt vmcnt(6)
	v_pk_fma_f32 v[74:75], v[64:65], v[78:79], v[98:99] op_sel:[0,0,1] op_sel_hi:[1,1,0] neg_lo:[0,0,1] neg_hi:[0,0,1]
	v_pk_fma_f32 v[64:65], v[64:65], v[78:79], v[98:99] op_sel:[0,0,1] op_sel_hi:[1,0,0]
	v_mov_b32_e32 v73, v63
	v_pk_add_f32 v[56:57], v[56:57], v[58:59]
	;; [unrolled: 5-line block ×5, first 2 shown]
	v_pk_fma_f32 v[82:83], v[90:91], v[86:87], v[106:107] op_sel:[0,0,1] op_sel_hi:[1,1,0] neg_lo:[0,0,1] neg_hi:[0,0,1]
	v_pk_fma_f32 v[84:85], v[90:91], v[86:87], v[106:107] op_sel:[0,0,1] op_sel_hi:[1,0,0]
	v_mov_b32_e32 v81, v71
	v_pk_add_f32 v[56:57], v[56:57], v[78:79]
	v_mov_b32_e32 v83, v85
	v_pk_add_f32 v[56:57], v[56:57], v[80:81]
	v_pk_add_f32 v[56:57], v[56:57], v[82:83]
	s_waitcnt vmcnt(0)
	v_pk_add_f32 v[56:57], v[88:89], v[56:57] neg_lo:[0,1] neg_hi:[0,1]
	buffer_store_dword v56, off, s[0:3], 0 offset:128
	buffer_store_dword v57, off, s[0:3], 0 offset:132
	s_and_saveexec_b64 s[4:5], vcc
	s_cbranch_execz .LBB25_139
; %bb.138:
	buffer_load_dword v56, off, s[0:3], 0 offset:120
	buffer_load_dword v57, off, s[0:3], 0 offset:124
	s_waitcnt vmcnt(0)
	ds_write_b64 v1, v[56:57]
	buffer_store_dword v54, off, s[0:3], 0 offset:120
	buffer_store_dword v54, off, s[0:3], 0 offset:124
.LBB25_139:
	s_or_b64 exec, exec, s[4:5]
	s_waitcnt lgkmcnt(0)
	; wave barrier
	s_waitcnt lgkmcnt(0)
	buffer_load_dword v94, off, s[0:3], 0 offset:132
	buffer_load_dword v96, off, s[0:3], 0 offset:140
	;; [unrolled: 1-line block ×22, first 2 shown]
	ds_read_b128 v[56:59], v54 offset:336
	ds_read_b128 v[60:63], v54 offset:352
	;; [unrolled: 1-line block ×5, first 2 shown]
	v_cmp_lt_u32_e32 vcc, 14, v0
	s_waitcnt vmcnt(21) lgkmcnt(4)
	v_mul_f32_e32 v55, v56, v94
	s_waitcnt vmcnt(20)
	v_mul_f32_e32 v95, v58, v96
	v_mul_f32_e32 v54, v57, v94
	;; [unrolled: 1-line block ×3, first 2 shown]
	s_waitcnt vmcnt(19)
	v_mov_b32_e32 v96, v77
	s_waitcnt vmcnt(18)
	v_mov_b32_e32 v98, v79
	;; [unrolled: 2-line block ×5, first 2 shown]
	v_mov_b32_e32 v102, v83
	s_waitcnt vmcnt(11)
	v_fmac_f32_e32 v55, v57, v97
	v_fma_f32 v54, v56, v97, -v54
	s_waitcnt lgkmcnt(3)
	v_pk_mul_f32 v[56:57], v[60:61], v[96:97] op_sel_hi:[1,0]
	s_waitcnt vmcnt(10)
	v_fmac_f32_e32 v95, v59, v99
	v_fma_f32 v94, v58, v99, -v94
	v_pk_mul_f32 v[58:59], v[62:63], v[98:99] op_sel_hi:[1,0]
	s_waitcnt lgkmcnt(2)
	v_pk_mul_f32 v[96:97], v[64:65], v[100:101] op_sel_hi:[1,0]
	s_waitcnt lgkmcnt(1)
	;; [unrolled: 2-line block ×3, first 2 shown]
	v_pk_mul_f32 v[104:105], v[72:73], v[108:109] op_sel_hi:[1,0]
	v_pk_add_f32 v[54:55], v[54:55], 0 op_sel_hi:[1,0]
	s_waitcnt vmcnt(9)
	v_pk_fma_f32 v[108:109], v[60:61], v[76:77], v[56:57] op_sel:[0,0,1] op_sel_hi:[1,1,0] neg_lo:[0,0,1] neg_hi:[0,0,1]
	v_pk_fma_f32 v[56:57], v[60:61], v[76:77], v[56:57] op_sel:[0,0,1] op_sel_hi:[1,0,0]
	s_waitcnt vmcnt(8)
	v_pk_fma_f32 v[60:61], v[62:63], v[78:79], v[58:59] op_sel:[0,0,1] op_sel_hi:[1,1,0] neg_lo:[0,0,1] neg_hi:[0,0,1]
	v_pk_fma_f32 v[58:59], v[62:63], v[78:79], v[58:59] op_sel:[0,0,1] op_sel_hi:[1,0,0]
	v_pk_add_f32 v[54:55], v[54:55], v[94:95]
	v_mov_b32_e32 v109, v57
	v_pk_mul_f32 v[98:99], v[66:67], v[102:103] op_sel_hi:[1,0]
	s_waitcnt vmcnt(7)
	v_pk_fma_f32 v[62:63], v[64:65], v[80:81], v[96:97] op_sel:[0,0,1] op_sel_hi:[1,1,0] neg_lo:[0,0,1] neg_hi:[0,0,1]
	v_pk_fma_f32 v[64:65], v[64:65], v[80:81], v[96:97] op_sel:[0,0,1] op_sel_hi:[1,0,0]
	v_mov_b32_e32 v61, v59
	v_pk_add_f32 v[54:55], v[54:55], v[108:109]
	v_mov_b32_e32 v106, v87
	s_waitcnt vmcnt(6)
	v_pk_fma_f32 v[76:77], v[66:67], v[82:83], v[98:99] op_sel:[0,0,1] op_sel_hi:[1,1,0] neg_lo:[0,0,1] neg_hi:[0,0,1]
	v_pk_fma_f32 v[66:67], v[66:67], v[82:83], v[98:99] op_sel:[0,0,1] op_sel_hi:[1,0,0]
	v_mov_b32_e32 v63, v65
	v_pk_add_f32 v[54:55], v[54:55], v[60:61]
	v_pk_mul_f32 v[102:103], v[70:71], v[106:107] op_sel_hi:[1,0]
	s_waitcnt vmcnt(5)
	v_pk_fma_f32 v[78:79], v[68:69], v[84:85], v[100:101] op_sel:[0,0,1] op_sel_hi:[1,1,0] neg_lo:[0,0,1] neg_hi:[0,0,1]
	v_pk_fma_f32 v[68:69], v[68:69], v[84:85], v[100:101] op_sel:[0,0,1] op_sel_hi:[1,0,0]
	v_mov_b32_e32 v77, v67
	v_pk_add_f32 v[54:55], v[54:55], v[62:63]
	v_mov_b32_e32 v110, v91
	s_waitcnt vmcnt(2)
	v_pk_fma_f32 v[80:81], v[70:71], v[86:87], v[102:103] op_sel:[0,0,1] op_sel_hi:[1,1,0] neg_lo:[0,0,1] neg_hi:[0,0,1]
	v_pk_fma_f32 v[70:71], v[70:71], v[86:87], v[102:103] op_sel:[0,0,1] op_sel_hi:[1,0,0]
	v_mov_b32_e32 v79, v69
	v_pk_add_f32 v[54:55], v[54:55], v[76:77]
	v_pk_mul_f32 v[106:107], v[74:75], v[110:111] op_sel_hi:[1,0]
	v_pk_fma_f32 v[82:83], v[72:73], v[88:89], v[104:105] op_sel:[0,0,1] op_sel_hi:[1,1,0] neg_lo:[0,0,1] neg_hi:[0,0,1]
	v_pk_fma_f32 v[72:73], v[72:73], v[88:89], v[104:105] op_sel:[0,0,1] op_sel_hi:[1,0,0]
	v_mov_b32_e32 v81, v71
	v_pk_add_f32 v[54:55], v[54:55], v[78:79]
	v_pk_fma_f32 v[84:85], v[74:75], v[90:91], v[106:107] op_sel:[0,0,1] op_sel_hi:[1,1,0] neg_lo:[0,0,1] neg_hi:[0,0,1]
	v_pk_fma_f32 v[74:75], v[74:75], v[90:91], v[106:107] op_sel:[0,0,1] op_sel_hi:[1,0,0]
	v_mov_b32_e32 v83, v73
	v_pk_add_f32 v[54:55], v[54:55], v[80:81]
	v_mov_b32_e32 v85, v75
	v_pk_add_f32 v[54:55], v[54:55], v[82:83]
	v_pk_add_f32 v[54:55], v[54:55], v[84:85]
	s_waitcnt vmcnt(0)
	v_pk_add_f32 v[54:55], v[92:93], v[54:55] neg_lo:[0,1] neg_hi:[0,1]
	buffer_store_dword v54, off, s[0:3], 0 offset:120
	buffer_store_dword v55, off, s[0:3], 0 offset:124
	s_and_saveexec_b64 s[4:5], vcc
	s_cbranch_execz .LBB25_141
; %bb.140:
	buffer_load_dword v54, off, s[0:3], 0 offset:112
	buffer_load_dword v55, off, s[0:3], 0 offset:116
	v_mov_b32_e32 v56, 0
	buffer_store_dword v56, off, s[0:3], 0 offset:112
	buffer_store_dword v56, off, s[0:3], 0 offset:116
	s_waitcnt vmcnt(2)
	ds_write_b64 v1, v[54:55]
.LBB25_141:
	s_or_b64 exec, exec, s[4:5]
	s_waitcnt lgkmcnt(0)
	; wave barrier
	s_waitcnt lgkmcnt(0)
	buffer_load_dword v55, off, s[0:3], 0 offset:124
	buffer_load_dword v96, off, s[0:3], 0 offset:132
	;; [unrolled: 1-line block ×24, first 2 shown]
	v_mov_b32_e32 v54, 0
	ds_read2_b64 v[56:59], v54 offset0:41 offset1:42
	ds_read2_b64 v[60:63], v54 offset0:43 offset1:44
	ds_read2_b64 v[64:67], v54 offset0:45 offset1:46
	ds_read2_b64 v[68:71], v54 offset0:47 offset1:48
	ds_read2_b64 v[72:75], v54 offset0:49 offset1:50
	ds_read_b64 v[94:95], v54 offset:408
	v_cmp_lt_u32_e32 vcc, 13, v0
	s_waitcnt vmcnt(23) lgkmcnt(5)
	v_mul_f32_e32 v109, v56, v55
	v_mul_f32_e32 v55, v57, v55
	s_waitcnt vmcnt(22)
	v_mul_f32_e32 v97, v58, v96
	s_waitcnt vmcnt(21) lgkmcnt(4)
	v_mul_f32_e32 v99, v60, v98
	v_mul_f32_e32 v96, v59, v96
	;; [unrolled: 1-line block ×3, first 2 shown]
	s_waitcnt vmcnt(20)
	v_mov_b32_e32 v100, v77
	s_waitcnt vmcnt(19)
	v_mov_b32_e32 v102, v79
	;; [unrolled: 2-line block ×5, first 2 shown]
	s_waitcnt vmcnt(12)
	v_fmac_f32_e32 v109, v57, v101
	v_fma_f32 v55, v56, v101, -v55
	v_mov_b32_e32 v110, v87
	s_waitcnt vmcnt(11)
	v_fmac_f32_e32 v97, v59, v103
	s_waitcnt vmcnt(10)
	v_fmac_f32_e32 v99, v61, v105
	v_fma_f32 v96, v58, v103, -v96
	v_fma_f32 v98, v60, v105, -v98
	v_pk_mul_f32 v[56:57], v[62:63], v[100:101] op_sel_hi:[1,0]
	s_waitcnt lgkmcnt(3)
	v_pk_mul_f32 v[58:59], v[64:65], v[102:103] op_sel_hi:[1,0]
	v_pk_mul_f32 v[60:61], v[66:67], v[104:105] op_sel_hi:[1,0]
	s_waitcnt lgkmcnt(2)
	v_pk_mul_f32 v[100:101], v[68:69], v[106:107] op_sel_hi:[1,0]
	v_pk_mul_f32 v[102:103], v[70:71], v[108:109] op_sel_hi:[1,0]
	v_add_f32_e32 v109, 0, v109
	v_add_f32_e32 v108, 0, v55
	s_waitcnt lgkmcnt(1)
	v_pk_mul_f32 v[104:105], v[72:73], v[110:111] op_sel_hi:[1,0]
	s_waitcnt vmcnt(9)
	v_pk_fma_f32 v[110:111], v[62:63], v[76:77], v[56:57] op_sel:[0,0,1] op_sel_hi:[1,1,0] neg_lo:[0,0,1] neg_hi:[0,0,1]
	v_pk_fma_f32 v[56:57], v[62:63], v[76:77], v[56:57] op_sel:[0,0,1] op_sel_hi:[1,0,0]
	s_waitcnt vmcnt(8)
	v_pk_fma_f32 v[62:63], v[64:65], v[78:79], v[58:59] op_sel:[0,0,1] op_sel_hi:[1,1,0] neg_lo:[0,0,1] neg_hi:[0,0,1]
	v_pk_fma_f32 v[58:59], v[64:65], v[78:79], v[58:59] op_sel:[0,0,1] op_sel_hi:[1,0,0]
	;; [unrolled: 3-line block ×4, first 2 shown]
	v_pk_add_f32 v[82:83], v[108:109], v[96:97]
	v_mov_b32_e32 v111, v57
	v_pk_add_f32 v[56:57], v[82:83], v[98:99]
	v_mov_b32_e32 v63, v59
	;; [unrolled: 2-line block ×4, first 2 shown]
	s_waitcnt vmcnt(2)
	v_pk_fma_f32 v[76:77], v[70:71], v[84:85], v[102:103] op_sel:[0,0,1] op_sel_hi:[1,1,0] neg_lo:[0,0,1] neg_hi:[0,0,1]
	v_pk_fma_f32 v[70:71], v[70:71], v[84:85], v[102:103] op_sel:[0,0,1] op_sel_hi:[1,0,0]
	v_mov_b32_e32 v67, v69
	v_pk_add_f32 v[56:57], v[56:57], v[64:65]
	v_mov_b32_e32 v114, v91
	v_pk_mul_f32 v[106:107], v[74:75], v[112:113] op_sel_hi:[1,0]
	v_pk_fma_f32 v[78:79], v[72:73], v[86:87], v[104:105] op_sel:[0,0,1] op_sel_hi:[1,1,0] neg_lo:[0,0,1] neg_hi:[0,0,1]
	v_pk_fma_f32 v[72:73], v[72:73], v[86:87], v[104:105] op_sel:[0,0,1] op_sel_hi:[1,0,0]
	v_mov_b32_e32 v77, v71
	v_pk_add_f32 v[56:57], v[56:57], v[66:67]
	v_pk_fma_f32 v[80:81], v[74:75], v[88:89], v[106:107] op_sel:[0,0,1] op_sel_hi:[1,1,0] neg_lo:[0,0,1] neg_hi:[0,0,1]
	v_pk_fma_f32 v[74:75], v[74:75], v[88:89], v[106:107] op_sel:[0,0,1] op_sel_hi:[1,0,0]
	v_mov_b32_e32 v79, v73
	v_pk_add_f32 v[56:57], v[56:57], v[76:77]
	s_waitcnt lgkmcnt(0)
	v_pk_mul_f32 v[58:59], v[94:95], v[114:115] op_sel_hi:[1,0]
	v_mov_b32_e32 v81, v75
	v_pk_add_f32 v[56:57], v[56:57], v[78:79]
	v_pk_fma_f32 v[60:61], v[94:95], v[90:91], v[58:59] op_sel:[0,0,1] op_sel_hi:[1,1,0] neg_lo:[0,0,1] neg_hi:[0,0,1]
	v_pk_fma_f32 v[58:59], v[94:95], v[90:91], v[58:59] op_sel:[0,0,1] op_sel_hi:[1,0,0]
	v_pk_add_f32 v[56:57], v[56:57], v[80:81]
	v_mov_b32_e32 v61, v59
	v_pk_add_f32 v[56:57], v[56:57], v[60:61]
	s_waitcnt vmcnt(0)
	v_pk_add_f32 v[56:57], v[92:93], v[56:57] neg_lo:[0,1] neg_hi:[0,1]
	buffer_store_dword v57, off, s[0:3], 0 offset:116
	buffer_store_dword v56, off, s[0:3], 0 offset:112
	s_and_saveexec_b64 s[4:5], vcc
	s_cbranch_execz .LBB25_143
; %bb.142:
	buffer_load_dword v56, off, s[0:3], 0 offset:104
	buffer_load_dword v57, off, s[0:3], 0 offset:108
	s_waitcnt vmcnt(0)
	ds_write_b64 v1, v[56:57]
	buffer_store_dword v54, off, s[0:3], 0 offset:104
	buffer_store_dword v54, off, s[0:3], 0 offset:108
.LBB25_143:
	s_or_b64 exec, exec, s[4:5]
	s_waitcnt lgkmcnt(0)
	; wave barrier
	s_waitcnt lgkmcnt(0)
	buffer_load_dword v98, off, s[0:3], 0 offset:116
	buffer_load_dword v100, off, s[0:3], 0 offset:124
	;; [unrolled: 1-line block ×26, first 2 shown]
	ds_read_b128 v[56:59], v54 offset:320
	ds_read_b128 v[60:63], v54 offset:336
	;; [unrolled: 1-line block ×6, first 2 shown]
	v_cmp_lt_u32_e32 vcc, 12, v0
	s_waitcnt vmcnt(25) lgkmcnt(5)
	v_mul_f32_e32 v111, v56, v98
	v_mul_f32_e32 v54, v57, v98
	s_waitcnt vmcnt(24)
	v_mul_f32_e32 v112, v58, v100
	s_waitcnt vmcnt(23) lgkmcnt(4)
	v_mul_f32_e32 v55, v60, v101
	s_waitcnt vmcnt(22)
	v_mul_f32_e32 v99, v62, v102
	v_mul_f32_e32 v98, v59, v100
	;; [unrolled: 1-line block ×4, first 2 shown]
	s_waitcnt vmcnt(21)
	v_mov_b32_e32 v100, v81
	s_waitcnt vmcnt(20)
	v_mov_b32_e32 v102, v83
	;; [unrolled: 2-line block ×3, first 2 shown]
	s_waitcnt vmcnt(15)
	v_fmac_f32_e32 v111, v57, v103
	v_fma_f32 v114, v56, v103, -v54
	v_mov_b32_e32 v104, v85
	s_waitcnt vmcnt(14)
	v_fmac_f32_e32 v112, v59, v105
	s_waitcnt vmcnt(13)
	v_fmac_f32_e32 v55, v61, v107
	;; [unrolled: 2-line block ×3, first 2 shown]
	v_fma_f32 v115, v58, v105, -v98
	v_fma_f32 v54, v60, v107, -v101
	;; [unrolled: 1-line block ×3, first 2 shown]
	s_waitcnt lgkmcnt(3)
	v_pk_mul_f32 v[56:57], v[64:65], v[100:101] op_sel_hi:[1,0]
	v_pk_mul_f32 v[58:59], v[66:67], v[102:103] op_sel_hi:[1,0]
	s_waitcnt lgkmcnt(2)
	v_pk_mul_f32 v[62:63], v[70:71], v[106:107] op_sel_hi:[1,0]
	v_add_f32_e32 v106, 0, v111
	v_add_f32_e32 v107, 0, v114
	v_pk_mul_f32 v[60:61], v[68:69], v[104:105] op_sel_hi:[1,0]
	s_waitcnt vmcnt(11)
	v_pk_fma_f32 v[104:105], v[64:65], v[80:81], v[56:57] op_sel:[0,0,1] op_sel_hi:[1,1,0] neg_lo:[0,0,1] neg_hi:[0,0,1]
	v_pk_fma_f32 v[56:57], v[64:65], v[80:81], v[56:57] op_sel:[0,0,1] op_sel_hi:[1,0,0]
	s_waitcnt vmcnt(10)
	v_pk_fma_f32 v[64:65], v[66:67], v[82:83], v[58:59] op_sel:[0,0,1] op_sel_hi:[1,1,0] neg_lo:[0,0,1] neg_hi:[0,0,1]
	v_pk_fma_f32 v[58:59], v[66:67], v[82:83], v[58:59] op_sel:[0,0,1] op_sel_hi:[1,0,0]
	v_add_f32_e32 v83, v106, v112
	v_add_f32_e32 v82, v107, v115
	v_pk_add_f32 v[54:55], v[82:83], v[54:55]
	v_mov_b32_e32 v105, v57
	v_pk_add_f32 v[54:55], v[54:55], v[98:99]
	v_mov_b32_e32 v108, v89
	s_waitcnt vmcnt(9)
	v_pk_fma_f32 v[66:67], v[68:69], v[84:85], v[60:61] op_sel:[0,0,1] op_sel_hi:[1,1,0] neg_lo:[0,0,1] neg_hi:[0,0,1]
	v_pk_fma_f32 v[60:61], v[68:69], v[84:85], v[60:61] op_sel:[0,0,1] op_sel_hi:[1,0,0]
	v_mov_b32_e32 v65, v59
	v_pk_add_f32 v[54:55], v[54:55], v[104:105]
	v_mov_b32_e32 v110, v91
	s_waitcnt lgkmcnt(1)
	v_pk_mul_f32 v[100:101], v[72:73], v[108:109] op_sel_hi:[1,0]
	s_waitcnt vmcnt(5)
	v_pk_fma_f32 v[68:69], v[70:71], v[86:87], v[62:63] op_sel:[0,0,1] op_sel_hi:[1,1,0] neg_lo:[0,0,1] neg_hi:[0,0,1]
	v_pk_fma_f32 v[62:63], v[70:71], v[86:87], v[62:63] op_sel:[0,0,1] op_sel_hi:[1,0,0]
	v_mov_b32_e32 v67, v61
	v_pk_add_f32 v[54:55], v[54:55], v[64:65]
	s_waitcnt vmcnt(4)
	v_mov_b32_e32 v56, v93
	v_pk_mul_f32 v[102:103], v[74:75], v[110:111] op_sel_hi:[1,0]
	v_pk_fma_f32 v[70:71], v[72:73], v[88:89], v[100:101] op_sel:[0,0,1] op_sel_hi:[1,1,0] neg_lo:[0,0,1] neg_hi:[0,0,1]
	v_pk_fma_f32 v[72:73], v[72:73], v[88:89], v[100:101] op_sel:[0,0,1] op_sel_hi:[1,0,0]
	v_mov_b32_e32 v69, v63
	v_pk_add_f32 v[54:55], v[54:55], v[66:67]
	s_waitcnt lgkmcnt(0)
	v_pk_mul_f32 v[56:57], v[76:77], v[56:57] op_sel_hi:[1,0]
	v_pk_fma_f32 v[80:81], v[74:75], v[90:91], v[102:103] op_sel:[0,0,1] op_sel_hi:[1,1,0] neg_lo:[0,0,1] neg_hi:[0,0,1]
	v_pk_fma_f32 v[74:75], v[74:75], v[90:91], v[102:103] op_sel:[0,0,1] op_sel_hi:[1,0,0]
	v_mov_b32_e32 v71, v73
	v_pk_add_f32 v[54:55], v[54:55], v[68:69]
	v_pk_fma_f32 v[58:59], v[76:77], v[92:93], v[56:57] op_sel:[0,0,1] op_sel_hi:[1,1,0] neg_lo:[0,0,1] neg_hi:[0,0,1]
	v_pk_fma_f32 v[56:57], v[76:77], v[92:93], v[56:57] op_sel:[0,0,1] op_sel_hi:[1,0,0]
	v_mov_b32_e32 v81, v75
	v_pk_add_f32 v[54:55], v[54:55], v[70:71]
	s_waitcnt vmcnt(3)
	v_mov_b32_e32 v56, v95
	v_pk_add_f32 v[54:55], v[54:55], v[80:81]
	v_mov_b32_e32 v59, v57
	v_pk_mul_f32 v[56:57], v[78:79], v[56:57] op_sel_hi:[1,0]
	v_pk_add_f32 v[54:55], v[54:55], v[58:59]
	s_waitcnt vmcnt(2)
	v_pk_fma_f32 v[58:59], v[78:79], v[94:95], v[56:57] op_sel:[0,0,1] op_sel_hi:[1,1,0] neg_lo:[0,0,1] neg_hi:[0,0,1]
	v_pk_fma_f32 v[56:57], v[78:79], v[94:95], v[56:57] op_sel:[0,0,1] op_sel_hi:[1,0,0]
	v_mov_b32_e32 v59, v57
	v_pk_add_f32 v[54:55], v[54:55], v[58:59]
	s_waitcnt vmcnt(0)
	v_pk_add_f32 v[54:55], v[96:97], v[54:55] neg_lo:[0,1] neg_hi:[0,1]
	buffer_store_dword v55, off, s[0:3], 0 offset:108
	buffer_store_dword v54, off, s[0:3], 0 offset:104
	s_and_saveexec_b64 s[4:5], vcc
	s_cbranch_execz .LBB25_145
; %bb.144:
	buffer_load_dword v54, off, s[0:3], 0 offset:96
	buffer_load_dword v55, off, s[0:3], 0 offset:100
	v_mov_b32_e32 v56, 0
	buffer_store_dword v56, off, s[0:3], 0 offset:96
	buffer_store_dword v56, off, s[0:3], 0 offset:100
	s_waitcnt vmcnt(2)
	ds_write_b64 v1, v[54:55]
.LBB25_145:
	s_or_b64 exec, exec, s[4:5]
	s_waitcnt lgkmcnt(0)
	; wave barrier
	s_waitcnt lgkmcnt(0)
	buffer_load_dword v55, off, s[0:3], 0 offset:108
	buffer_load_dword v100, off, s[0:3], 0 offset:116
	;; [unrolled: 1-line block ×28, first 2 shown]
	v_mov_b32_e32 v54, 0
	ds_read2_b64 v[56:59], v54 offset0:39 offset1:40
	ds_read2_b64 v[60:63], v54 offset0:41 offset1:42
	;; [unrolled: 1-line block ×6, first 2 shown]
	ds_read_b64 v[98:99], v54 offset:408
	v_cmp_lt_u32_e32 vcc, 11, v0
	s_waitcnt vmcnt(27) lgkmcnt(6)
	v_mul_f32_e32 v115, v56, v55
	v_mul_f32_e32 v55, v57, v55
	s_waitcnt vmcnt(26)
	v_mul_f32_e32 v116, v58, v100
	s_waitcnt vmcnt(24) lgkmcnt(5)
	v_mul_f32_e32 v101, v62, v104
	s_waitcnt vmcnt(23) lgkmcnt(4)
	v_mul_f32_e32 v103, v64, v105
	v_mul_f32_e32 v118, v63, v104
	;; [unrolled: 1-line block ×3, first 2 shown]
	s_waitcnt vmcnt(22)
	v_mov_b32_e32 v104, v81
	v_mul_f32_e32 v117, v60, v102
	v_mul_f32_e32 v100, v59, v100
	;; [unrolled: 1-line block ×3, first 2 shown]
	s_waitcnt vmcnt(17)
	v_fmac_f32_e32 v115, v57, v107
	v_fma_f32 v55, v56, v107, -v55
	v_pk_mul_f32 v[56:57], v[66:67], v[104:105] op_sel_hi:[1,0]
	s_waitcnt vmcnt(16)
	v_fmac_f32_e32 v116, v59, v109
	s_waitcnt vmcnt(13)
	v_fmac_f32_e32 v103, v65, v114
	v_fma_f32 v107, v58, v109, -v100
	v_fma_f32 v109, v60, v111, -v102
	;; [unrolled: 1-line block ×3, first 2 shown]
	v_add_f32_e32 v104, 0, v115
	v_add_f32_e32 v55, 0, v55
	s_waitcnt vmcnt(12)
	v_pk_fma_f32 v[64:65], v[66:67], v[80:81], v[56:57] op_sel:[0,0,1] op_sel_hi:[1,1,0] neg_lo:[0,0,1] neg_hi:[0,0,1]
	v_pk_fma_f32 v[56:57], v[66:67], v[80:81], v[56:57] op_sel:[0,0,1] op_sel_hi:[1,0,0]
	v_fmac_f32_e32 v117, v61, v111
	v_add_f32_e32 v56, v104, v116
	v_add_f32_e32 v55, v55, v107
	v_mov_b32_e32 v106, v83
	v_fmac_f32_e32 v101, v63, v113
	v_fma_f32 v100, v62, v113, -v118
	v_mov_b32_e32 v65, v57
	v_add_f32_e32 v57, v56, v117
	v_add_f32_e32 v56, v55, v109
	v_mov_b32_e32 v108, v85
	s_waitcnt lgkmcnt(3)
	v_pk_mul_f32 v[58:59], v[68:69], v[106:107] op_sel_hi:[1,0]
	v_pk_add_f32 v[56:57], v[56:57], v[100:101]
	v_mov_b32_e32 v110, v87
	v_mov_b32_e32 v112, v89
	v_pk_mul_f32 v[60:61], v[70:71], v[108:109] op_sel_hi:[1,0]
	s_waitcnt vmcnt(11)
	v_pk_fma_f32 v[66:67], v[68:69], v[82:83], v[58:59] op_sel:[0,0,1] op_sel_hi:[1,1,0] neg_lo:[0,0,1] neg_hi:[0,0,1]
	v_pk_fma_f32 v[58:59], v[68:69], v[82:83], v[58:59] op_sel:[0,0,1] op_sel_hi:[1,0,0]
	v_pk_add_f32 v[56:57], v[56:57], v[102:103]
	s_waitcnt lgkmcnt(2)
	v_pk_mul_f32 v[62:63], v[72:73], v[110:111] op_sel_hi:[1,0]
	s_waitcnt vmcnt(7)
	v_pk_fma_f32 v[68:69], v[70:71], v[84:85], v[60:61] op_sel:[0,0,1] op_sel_hi:[1,1,0] neg_lo:[0,0,1] neg_hi:[0,0,1]
	v_pk_fma_f32 v[60:61], v[70:71], v[84:85], v[60:61] op_sel:[0,0,1] op_sel_hi:[1,0,0]
	v_mov_b32_e32 v67, v59
	v_pk_add_f32 v[56:57], v[56:57], v[64:65]
	v_pk_mul_f32 v[58:59], v[74:75], v[112:113] op_sel_hi:[1,0]
	v_pk_fma_f32 v[70:71], v[72:73], v[86:87], v[62:63] op_sel:[0,0,1] op_sel_hi:[1,1,0] neg_lo:[0,0,1] neg_hi:[0,0,1]
	v_pk_fma_f32 v[62:63], v[72:73], v[86:87], v[62:63] op_sel:[0,0,1] op_sel_hi:[1,0,0]
	v_mov_b32_e32 v69, v61
	v_pk_add_f32 v[56:57], v[56:57], v[66:67]
	v_pk_fma_f32 v[60:61], v[74:75], v[88:89], v[58:59] op_sel:[0,0,1] op_sel_hi:[1,1,0] neg_lo:[0,0,1] neg_hi:[0,0,1]
	v_pk_fma_f32 v[58:59], v[74:75], v[88:89], v[58:59] op_sel:[0,0,1] op_sel_hi:[1,0,0]
	v_mov_b32_e32 v71, v63
	v_pk_add_f32 v[56:57], v[56:57], v[68:69]
	s_waitcnt vmcnt(6)
	v_mov_b32_e32 v58, v91
	v_pk_add_f32 v[56:57], v[56:57], v[70:71]
	v_mov_b32_e32 v61, v59
	s_waitcnt lgkmcnt(1)
	v_pk_mul_f32 v[58:59], v[76:77], v[58:59] op_sel_hi:[1,0]
	v_pk_add_f32 v[56:57], v[56:57], v[60:61]
	v_pk_fma_f32 v[60:61], v[76:77], v[90:91], v[58:59] op_sel:[0,0,1] op_sel_hi:[1,1,0] neg_lo:[0,0,1] neg_hi:[0,0,1]
	v_pk_fma_f32 v[58:59], v[76:77], v[90:91], v[58:59] op_sel:[0,0,1] op_sel_hi:[1,0,0]
	s_waitcnt vmcnt(5)
	v_mov_b32_e32 v58, v93
	v_mov_b32_e32 v61, v59
	v_pk_mul_f32 v[58:59], v[78:79], v[58:59] op_sel_hi:[1,0]
	v_pk_add_f32 v[56:57], v[56:57], v[60:61]
	s_waitcnt vmcnt(3)
	v_pk_fma_f32 v[60:61], v[78:79], v[92:93], v[58:59] op_sel:[0,0,1] op_sel_hi:[1,1,0] neg_lo:[0,0,1] neg_hi:[0,0,1]
	v_pk_fma_f32 v[58:59], v[78:79], v[92:93], v[58:59] op_sel:[0,0,1] op_sel_hi:[1,0,0]
	s_waitcnt vmcnt(2)
	v_mov_b32_e32 v58, v95
	v_mov_b32_e32 v61, v59
	s_waitcnt lgkmcnt(0)
	v_pk_mul_f32 v[58:59], v[98:99], v[58:59] op_sel_hi:[1,0]
	v_pk_add_f32 v[56:57], v[56:57], v[60:61]
	v_pk_fma_f32 v[60:61], v[98:99], v[94:95], v[58:59] op_sel:[0,0,1] op_sel_hi:[1,1,0] neg_lo:[0,0,1] neg_hi:[0,0,1]
	v_pk_fma_f32 v[58:59], v[98:99], v[94:95], v[58:59] op_sel:[0,0,1] op_sel_hi:[1,0,0]
	v_mov_b32_e32 v61, v59
	v_pk_add_f32 v[56:57], v[56:57], v[60:61]
	s_waitcnt vmcnt(0)
	v_pk_add_f32 v[56:57], v[96:97], v[56:57] neg_lo:[0,1] neg_hi:[0,1]
	buffer_store_dword v57, off, s[0:3], 0 offset:100
	buffer_store_dword v56, off, s[0:3], 0 offset:96
	s_and_saveexec_b64 s[4:5], vcc
	s_cbranch_execz .LBB25_147
; %bb.146:
	buffer_load_dword v56, off, s[0:3], 0 offset:88
	buffer_load_dword v57, off, s[0:3], 0 offset:92
	s_waitcnt vmcnt(0)
	ds_write_b64 v1, v[56:57]
	buffer_store_dword v54, off, s[0:3], 0 offset:88
	buffer_store_dword v54, off, s[0:3], 0 offset:92
.LBB25_147:
	s_or_b64 exec, exec, s[4:5]
	s_waitcnt lgkmcnt(0)
	; wave barrier
	s_waitcnt lgkmcnt(0)
	buffer_load_dword v102, off, s[0:3], 0 offset:100
	buffer_load_dword v104, off, s[0:3], 0 offset:108
	buffer_load_dword v105, off, s[0:3], 0 offset:116
	buffer_load_dword v106, off, s[0:3], 0 offset:124
	buffer_load_dword v107, off, s[0:3], 0 offset:132
	buffer_load_dword v108, off, s[0:3], 0 offset:140
	buffer_load_dword v85, off, s[0:3], 0 offset:148
	buffer_load_dword v87, off, s[0:3], 0 offset:156
	buffer_load_dword v89, off, s[0:3], 0 offset:164
	buffer_load_dword v109, off, s[0:3], 0 offset:96
	buffer_load_dword v110, off, s[0:3], 0 offset:104
	buffer_load_dword v111, off, s[0:3], 0 offset:112
	buffer_load_dword v112, off, s[0:3], 0 offset:120
	buffer_load_dword v113, off, s[0:3], 0 offset:128
	buffer_load_dword v114, off, s[0:3], 0 offset:136
	buffer_load_dword v84, off, s[0:3], 0 offset:144
	buffer_load_dword v90, off, s[0:3], 0 offset:176
	buffer_load_dword v92, off, s[0:3], 0 offset:168
	buffer_load_dword v88, off, s[0:3], 0 offset:160
	buffer_load_dword v86, off, s[0:3], 0 offset:152
	buffer_load_dword v93, off, s[0:3], 0 offset:172
	buffer_load_dword v91, off, s[0:3], 0 offset:180
	buffer_load_dword v95, off, s[0:3], 0 offset:188
	buffer_load_dword v96, off, s[0:3], 0 offset:200
	buffer_load_dword v98, off, s[0:3], 0 offset:192
	buffer_load_dword v94, off, s[0:3], 0 offset:184
	buffer_load_dword v99, off, s[0:3], 0 offset:196
	buffer_load_dword v100, off, s[0:3], 0 offset:88
	buffer_load_dword v101, off, s[0:3], 0 offset:92
	buffer_load_dword v97, off, s[0:3], 0 offset:204
	ds_read_b128 v[56:59], v54 offset:304
	ds_read_b128 v[60:63], v54 offset:320
	;; [unrolled: 1-line block ×7, first 2 shown]
	v_cmp_lt_u32_e32 vcc, 10, v0
	s_waitcnt vmcnt(29) lgkmcnt(6)
	v_mul_f32_e32 v115, v56, v102
	s_waitcnt vmcnt(28)
	v_mul_f32_e32 v116, v58, v104
	s_waitcnt vmcnt(27) lgkmcnt(5)
	v_mul_f32_e32 v117, v60, v105
	v_mul_f32_e32 v105, v61, v105
	s_waitcnt vmcnt(26)
	v_mul_f32_e32 v118, v62, v106
	s_waitcnt vmcnt(25) lgkmcnt(4)
	v_mul_f32_e32 v55, v64, v107
	v_mul_f32_e32 v54, v57, v102
	;; [unrolled: 1-line block ×5, first 2 shown]
	s_waitcnt vmcnt(23)
	v_mov_b32_e32 v104, v85
	s_waitcnt vmcnt(22)
	v_mov_b32_e32 v106, v87
	s_waitcnt vmcnt(18)
	v_fma_f32 v105, v60, v111, -v105
	v_fmac_f32_e32 v115, v57, v109
	v_fmac_f32_e32 v116, v59, v110
	s_waitcnt vmcnt(17)
	v_fmac_f32_e32 v118, v63, v112
	v_fma_f32 v63, v56, v109, -v54
	v_fma_f32 v109, v58, v110, -v102
	s_waitcnt lgkmcnt(3)
	v_pk_mul_f32 v[56:57], v[68:69], v[104:105] op_sel_hi:[1,0]
	v_pk_mul_f32 v[58:59], v[70:71], v[106:107] op_sel_hi:[1,0]
	s_waitcnt vmcnt(16)
	v_fmac_f32_e32 v55, v65, v113
	v_fma_f32 v110, v62, v112, -v119
	v_fma_f32 v54, v64, v113, -v107
	v_add_f32_e32 v104, 0, v115
	v_add_f32_e32 v106, 0, v63
	s_waitcnt vmcnt(14)
	v_pk_fma_f32 v[62:63], v[68:69], v[84:85], v[56:57] op_sel:[0,0,1] op_sel_hi:[1,1,0] neg_lo:[0,0,1] neg_hi:[0,0,1]
	v_pk_fma_f32 v[56:57], v[68:69], v[84:85], v[56:57] op_sel:[0,0,1] op_sel_hi:[1,0,0]
	s_waitcnt vmcnt(10)
	v_pk_fma_f32 v[64:65], v[70:71], v[86:87], v[58:59] op_sel:[0,0,1] op_sel_hi:[1,1,0] neg_lo:[0,0,1] neg_hi:[0,0,1]
	v_pk_fma_f32 v[58:59], v[70:71], v[86:87], v[58:59] op_sel:[0,0,1] op_sel_hi:[1,0,0]
	v_fmac_f32_e32 v117, v61, v111
	v_add_f32_e32 v56, v104, v116
	v_add_f32_e32 v58, v106, v109
	;; [unrolled: 1-line block ×4, first 2 shown]
	v_mul_f32_e32 v103, v66, v108
	v_mul_f32_e32 v120, v67, v108
	v_mov_b32_e32 v63, v57
	v_add_f32_e32 v57, v56, v118
	v_add_f32_e32 v56, v58, v110
	v_mov_b32_e32 v108, v89
	v_fmac_f32_e32 v103, v67, v114
	v_fma_f32 v102, v66, v114, -v120
	v_pk_add_f32 v[54:55], v[56:57], v[54:55]
	s_waitcnt vmcnt(9)
	v_mov_b32_e32 v56, v93
	s_waitcnt lgkmcnt(2)
	v_pk_mul_f32 v[60:61], v[72:73], v[108:109] op_sel_hi:[1,0]
	v_pk_add_f32 v[54:55], v[54:55], v[102:103]
	v_pk_mul_f32 v[56:57], v[74:75], v[56:57] op_sel_hi:[1,0]
	v_pk_fma_f32 v[66:67], v[72:73], v[88:89], v[60:61] op_sel:[0,0,1] op_sel_hi:[1,1,0] neg_lo:[0,0,1] neg_hi:[0,0,1]
	v_pk_fma_f32 v[60:61], v[72:73], v[88:89], v[60:61] op_sel:[0,0,1] op_sel_hi:[1,0,0]
	v_mov_b32_e32 v65, v59
	v_pk_add_f32 v[54:55], v[54:55], v[62:63]
	v_pk_fma_f32 v[58:59], v[74:75], v[92:93], v[56:57] op_sel:[0,0,1] op_sel_hi:[1,1,0] neg_lo:[0,0,1] neg_hi:[0,0,1]
	v_pk_fma_f32 v[56:57], v[74:75], v[92:93], v[56:57] op_sel:[0,0,1] op_sel_hi:[1,0,0]
	v_mov_b32_e32 v67, v61
	v_pk_add_f32 v[54:55], v[54:55], v[64:65]
	s_waitcnt vmcnt(8)
	v_mov_b32_e32 v56, v91
	v_pk_add_f32 v[54:55], v[54:55], v[66:67]
	v_mov_b32_e32 v59, v57
	s_waitcnt lgkmcnt(1)
	v_pk_mul_f32 v[56:57], v[76:77], v[56:57] op_sel_hi:[1,0]
	v_pk_add_f32 v[54:55], v[54:55], v[58:59]
	v_pk_fma_f32 v[58:59], v[76:77], v[90:91], v[56:57] op_sel:[0,0,1] op_sel_hi:[1,1,0] neg_lo:[0,0,1] neg_hi:[0,0,1]
	v_pk_fma_f32 v[56:57], v[76:77], v[90:91], v[56:57] op_sel:[0,0,1] op_sel_hi:[1,0,0]
	s_waitcnt vmcnt(7)
	v_mov_b32_e32 v56, v95
	v_mov_b32_e32 v59, v57
	v_pk_mul_f32 v[56:57], v[78:79], v[56:57] op_sel_hi:[1,0]
	v_pk_add_f32 v[54:55], v[54:55], v[58:59]
	s_waitcnt vmcnt(4)
	v_pk_fma_f32 v[58:59], v[78:79], v[94:95], v[56:57] op_sel:[0,0,1] op_sel_hi:[1,1,0] neg_lo:[0,0,1] neg_hi:[0,0,1]
	v_pk_fma_f32 v[56:57], v[78:79], v[94:95], v[56:57] op_sel:[0,0,1] op_sel_hi:[1,0,0]
	s_waitcnt vmcnt(3)
	v_mov_b32_e32 v56, v99
	v_mov_b32_e32 v59, v57
	s_waitcnt lgkmcnt(0)
	v_pk_mul_f32 v[56:57], v[80:81], v[56:57] op_sel_hi:[1,0]
	v_pk_add_f32 v[54:55], v[54:55], v[58:59]
	v_pk_fma_f32 v[58:59], v[80:81], v[98:99], v[56:57] op_sel:[0,0,1] op_sel_hi:[1,1,0] neg_lo:[0,0,1] neg_hi:[0,0,1]
	v_pk_fma_f32 v[56:57], v[80:81], v[98:99], v[56:57] op_sel:[0,0,1] op_sel_hi:[1,0,0]
	s_waitcnt vmcnt(0)
	v_mov_b32_e32 v56, v97
	v_mov_b32_e32 v59, v57
	v_pk_mul_f32 v[56:57], v[82:83], v[56:57] op_sel_hi:[1,0]
	v_pk_add_f32 v[54:55], v[54:55], v[58:59]
	v_pk_fma_f32 v[58:59], v[82:83], v[96:97], v[56:57] op_sel:[0,0,1] op_sel_hi:[1,1,0] neg_lo:[0,0,1] neg_hi:[0,0,1]
	v_pk_fma_f32 v[56:57], v[82:83], v[96:97], v[56:57] op_sel:[0,0,1] op_sel_hi:[1,0,0]
	v_mov_b32_e32 v59, v57
	v_pk_add_f32 v[54:55], v[54:55], v[58:59]
	v_pk_add_f32 v[54:55], v[100:101], v[54:55] neg_lo:[0,1] neg_hi:[0,1]
	buffer_store_dword v55, off, s[0:3], 0 offset:92
	buffer_store_dword v54, off, s[0:3], 0 offset:88
	s_and_saveexec_b64 s[4:5], vcc
	s_cbranch_execz .LBB25_149
; %bb.148:
	buffer_load_dword v54, off, s[0:3], 0 offset:80
	buffer_load_dword v55, off, s[0:3], 0 offset:84
	v_mov_b32_e32 v56, 0
	buffer_store_dword v56, off, s[0:3], 0 offset:80
	buffer_store_dword v56, off, s[0:3], 0 offset:84
	s_waitcnt vmcnt(2)
	ds_write_b64 v1, v[54:55]
.LBB25_149:
	s_or_b64 exec, exec, s[4:5]
	s_waitcnt lgkmcnt(0)
	; wave barrier
	s_waitcnt lgkmcnt(0)
	buffer_load_dword v57, off, s[0:3], 0 offset:92
	buffer_load_dword v104, off, s[0:3], 0 offset:100
	;; [unrolled: 1-line block ×32, first 2 shown]
	v_mov_b32_e32 v56, 0
	ds_read2_b64 v[58:61], v56 offset0:37 offset1:38
	ds_read2_b64 v[62:65], v56 offset0:39 offset1:40
	;; [unrolled: 1-line block ×7, first 2 shown]
	ds_read_b64 v[102:103], v56 offset:408
	v_cmp_lt_u32_e32 vcc, 9, v0
	s_waitcnt vmcnt(31) lgkmcnt(7)
	v_mul_f32_e32 v119, v58, v57
	v_mul_f32_e32 v57, v59, v57
	s_waitcnt vmcnt(30)
	v_mul_f32_e32 v120, v60, v104
	s_waitcnt vmcnt(28) lgkmcnt(6)
	v_mul_f32_e32 v122, v64, v108
	s_waitcnt vmcnt(27) lgkmcnt(5)
	v_mul_f32_e32 v123, v66, v109
	v_mul_f32_e32 v124, v65, v108
	;; [unrolled: 1-line block ×3, first 2 shown]
	s_waitcnt vmcnt(24)
	v_mov_b32_e32 v108, v55
	v_mul_f32_e32 v121, v62, v106
	v_mul_f32_e32 v104, v61, v104
	s_waitcnt vmcnt(22)
	v_fmac_f32_e32 v119, v59, v112
	v_fma_f32 v57, v58, v112, -v57
	s_waitcnt lgkmcnt(4)
	v_pk_mul_f32 v[58:59], v[72:73], v[108:109] op_sel_hi:[1,0]
	v_mul_f32_e32 v106, v63, v106
	s_waitcnt vmcnt(21)
	v_fmac_f32_e32 v120, v61, v113
	s_waitcnt vmcnt(20)
	v_fmac_f32_e32 v121, v63, v114
	;; [unrolled: 2-line block ×3, first 2 shown]
	v_fma_f32 v63, v60, v113, -v104
	s_waitcnt vmcnt(18)
	v_fma_f32 v65, v66, v116, -v109
	v_add_f32_e32 v66, 0, v119
	v_add_f32_e32 v57, 0, v57
	s_waitcnt vmcnt(12)
	v_pk_fma_f32 v[60:61], v[72:73], v[54:55], v[58:59] op_sel:[0,0,1] op_sel_hi:[1,1,0] neg_lo:[0,0,1] neg_hi:[0,0,1]
	v_pk_fma_f32 v[54:55], v[72:73], v[54:55], v[58:59] op_sel:[0,0,1] op_sel_hi:[1,0,0]
	v_fma_f32 v62, v62, v114, -v106
	v_add_f32_e32 v54, v66, v120
	v_add_f32_e32 v57, v57, v63
	v_fma_f32 v64, v64, v115, -v124
	v_mov_b32_e32 v61, v55
	v_add_f32_e32 v54, v54, v121
	v_add_f32_e32 v55, v57, v62
	v_mul_f32_e32 v105, v68, v110
	v_mul_f32_e32 v125, v69, v110
	v_fmac_f32_e32 v123, v67, v116
	v_add_f32_e32 v54, v54, v122
	v_add_f32_e32 v57, v55, v64
	v_mul_f32_e32 v107, v70, v111
	v_mul_f32_e32 v111, v71, v111
	v_fmac_f32_e32 v105, v69, v117
	v_fma_f32 v104, v68, v117, -v125
	v_add_f32_e32 v55, v54, v123
	v_add_f32_e32 v54, v57, v65
	v_mov_b32_e32 v110, v87
	v_fmac_f32_e32 v107, v71, v118
	v_fma_f32 v106, v70, v118, -v111
	v_pk_add_f32 v[54:55], v[54:55], v[104:105]
	v_pk_add_f32 v[54:55], v[54:55], v[106:107]
	s_waitcnt lgkmcnt(3)
	v_pk_mul_f32 v[58:59], v[74:75], v[110:111] op_sel_hi:[1,0]
	v_pk_add_f32 v[54:55], v[54:55], v[60:61]
	v_pk_fma_f32 v[60:61], v[74:75], v[86:87], v[58:59] op_sel:[0,0,1] op_sel_hi:[1,1,0] neg_lo:[0,0,1] neg_hi:[0,0,1]
	v_pk_fma_f32 v[58:59], v[74:75], v[86:87], v[58:59] op_sel:[0,0,1] op_sel_hi:[1,0,0]
	s_waitcnt vmcnt(11)
	v_mov_b32_e32 v58, v91
	v_mov_b32_e32 v61, v59
	v_pk_mul_f32 v[58:59], v[76:77], v[58:59] op_sel_hi:[1,0]
	v_pk_add_f32 v[54:55], v[54:55], v[60:61]
	v_pk_fma_f32 v[60:61], v[76:77], v[90:91], v[58:59] op_sel:[0,0,1] op_sel_hi:[1,1,0] neg_lo:[0,0,1] neg_hi:[0,0,1]
	v_pk_fma_f32 v[58:59], v[76:77], v[90:91], v[58:59] op_sel:[0,0,1] op_sel_hi:[1,0,0]
	s_waitcnt vmcnt(10)
	v_mov_b32_e32 v58, v89
	v_mov_b32_e32 v61, v59
	s_waitcnt lgkmcnt(2)
	v_pk_mul_f32 v[58:59], v[78:79], v[58:59] op_sel_hi:[1,0]
	v_pk_add_f32 v[54:55], v[54:55], v[60:61]
	v_pk_fma_f32 v[60:61], v[78:79], v[88:89], v[58:59] op_sel:[0,0,1] op_sel_hi:[1,1,0] neg_lo:[0,0,1] neg_hi:[0,0,1]
	v_pk_fma_f32 v[58:59], v[78:79], v[88:89], v[58:59] op_sel:[0,0,1] op_sel_hi:[1,0,0]
	s_waitcnt vmcnt(9)
	v_mov_b32_e32 v58, v93
	v_mov_b32_e32 v61, v59
	v_pk_mul_f32 v[58:59], v[80:81], v[58:59] op_sel_hi:[1,0]
	v_pk_add_f32 v[54:55], v[54:55], v[60:61]
	s_waitcnt vmcnt(4)
	v_pk_fma_f32 v[60:61], v[80:81], v[92:93], v[58:59] op_sel:[0,0,1] op_sel_hi:[1,1,0] neg_lo:[0,0,1] neg_hi:[0,0,1]
	v_pk_fma_f32 v[58:59], v[80:81], v[92:93], v[58:59] op_sel:[0,0,1] op_sel_hi:[1,0,0]
	v_mov_b32_e32 v58, v99
	v_mov_b32_e32 v61, v59
	s_waitcnt lgkmcnt(1)
	v_pk_mul_f32 v[58:59], v[82:83], v[58:59] op_sel_hi:[1,0]
	v_pk_add_f32 v[54:55], v[54:55], v[60:61]
	v_pk_fma_f32 v[60:61], v[82:83], v[98:99], v[58:59] op_sel:[0,0,1] op_sel_hi:[1,1,0] neg_lo:[0,0,1] neg_hi:[0,0,1]
	v_pk_fma_f32 v[58:59], v[82:83], v[98:99], v[58:59] op_sel:[0,0,1] op_sel_hi:[1,0,0]
	s_waitcnt vmcnt(3)
	v_mov_b32_e32 v58, v97
	v_mov_b32_e32 v61, v59
	v_pk_mul_f32 v[58:59], v[84:85], v[58:59] op_sel_hi:[1,0]
	v_pk_add_f32 v[54:55], v[54:55], v[60:61]
	v_pk_fma_f32 v[60:61], v[84:85], v[96:97], v[58:59] op_sel:[0,0,1] op_sel_hi:[1,1,0] neg_lo:[0,0,1] neg_hi:[0,0,1]
	v_pk_fma_f32 v[58:59], v[84:85], v[96:97], v[58:59] op_sel:[0,0,1] op_sel_hi:[1,0,0]
	s_waitcnt vmcnt(0)
	v_mov_b32_e32 v58, v95
	v_mov_b32_e32 v61, v59
	s_waitcnt lgkmcnt(0)
	v_pk_mul_f32 v[58:59], v[102:103], v[58:59] op_sel_hi:[1,0]
	v_pk_add_f32 v[54:55], v[54:55], v[60:61]
	v_pk_fma_f32 v[60:61], v[102:103], v[94:95], v[58:59] op_sel:[0,0,1] op_sel_hi:[1,1,0] neg_lo:[0,0,1] neg_hi:[0,0,1]
	v_pk_fma_f32 v[58:59], v[102:103], v[94:95], v[58:59] op_sel:[0,0,1] op_sel_hi:[1,0,0]
	v_mov_b32_e32 v61, v59
	v_pk_add_f32 v[54:55], v[54:55], v[60:61]
	v_pk_add_f32 v[54:55], v[100:101], v[54:55] neg_lo:[0,1] neg_hi:[0,1]
	buffer_store_dword v55, off, s[0:3], 0 offset:84
	buffer_store_dword v54, off, s[0:3], 0 offset:80
	s_and_saveexec_b64 s[4:5], vcc
	s_cbranch_execz .LBB25_151
; %bb.150:
	buffer_load_dword v54, off, s[0:3], 0 offset:72
	buffer_load_dword v55, off, s[0:3], 0 offset:76
	s_waitcnt vmcnt(0)
	ds_write_b64 v1, v[54:55]
	buffer_store_dword v56, off, s[0:3], 0 offset:72
	buffer_store_dword v56, off, s[0:3], 0 offset:76
.LBB25_151:
	s_or_b64 exec, exec, s[4:5]
	s_waitcnt lgkmcnt(0)
	; wave barrier
	s_waitcnt lgkmcnt(0)
	ds_read_b128 v[58:61], v56 offset:288
	ds_read_b128 v[62:65], v56 offset:304
	;; [unrolled: 1-line block ×4, first 2 shown]
	buffer_load_dword v54, off, s[0:3], 0 offset:72
	buffer_load_dword v55, off, s[0:3], 0 offset:76
	;; [unrolled: 1-line block ×20, first 2 shown]
	v_cmp_lt_u32_e32 vcc, 8, v0
	s_waitcnt vmcnt(16) lgkmcnt(3)
	v_mul_f32_e32 v74, v58, v78
	v_fmac_f32_e32 v74, v59, v57
	s_waitcnt vmcnt(14)
	v_mul_f32_e32 v75, v60, v82
	v_add_f32_e32 v74, 0, v74
	v_fmac_f32_e32 v75, v61, v80
	v_add_f32_e32 v74, v74, v75
	s_waitcnt vmcnt(12) lgkmcnt(2)
	v_mul_f32_e32 v75, v62, v101
	v_fmac_f32_e32 v75, v63, v100
	v_add_f32_e32 v74, v74, v75
	s_waitcnt vmcnt(10)
	v_mul_f32_e32 v75, v64, v103
	v_fmac_f32_e32 v75, v65, v102
	v_add_f32_e32 v74, v74, v75
	s_waitcnt vmcnt(8) lgkmcnt(1)
	v_mul_f32_e32 v75, v66, v105
	v_fmac_f32_e32 v75, v67, v104
	v_add_f32_e32 v74, v74, v75
	s_waitcnt vmcnt(6)
	v_mul_f32_e32 v75, v68, v107
	v_fmac_f32_e32 v75, v69, v106
	v_add_f32_e32 v79, v74, v75
	ds_read_b128 v[74:77], v56 offset:352
	buffer_load_dword v87, off, s[0:3], 0 offset:156
	buffer_load_dword v86, off, s[0:3], 0 offset:152
	;; [unrolled: 1-line block ×14, first 2 shown]
	v_mul_f32_e32 v59, v59, v78
	v_fma_f32 v57, v58, v57, -v59
	v_mul_f32_e32 v58, v61, v82
	v_add_f32_e32 v57, 0, v57
	v_fma_f32 v58, v60, v80, -v58
	v_add_f32_e32 v57, v57, v58
	v_mul_f32_e32 v58, v63, v101
	v_fma_f32 v58, v62, v100, -v58
	v_add_f32_e32 v57, v57, v58
	v_mul_f32_e32 v58, v65, v103
	;; [unrolled: 3-line block ×4, first 2 shown]
	v_fma_f32 v58, v68, v106, -v58
	v_add_f32_e32 v78, v57, v58
	s_waitcnt vmcnt(18) lgkmcnt(1)
	v_mul_f32_e32 v57, v71, v109
	v_mul_f32_e32 v81, v70, v109
	v_fma_f32 v80, v70, v108, -v57
	s_waitcnt vmcnt(15)
	v_mov_b32_e32 v70, v85
	v_fmac_f32_e32 v81, v71, v108
	v_mul_f32_e32 v83, v72, v111
	v_mul_f32_e32 v57, v73, v111
	s_waitcnt lgkmcnt(0)
	v_pk_mul_f32 v[70:71], v[74:75], v[70:71] op_sel_hi:[1,0]
	v_fmac_f32_e32 v83, v73, v110
	v_fma_f32 v82, v72, v110, -v57
	s_waitcnt vmcnt(14)
	v_pk_fma_f32 v[72:73], v[74:75], v[84:85], v[70:71] op_sel:[0,0,1] op_sel_hi:[1,1,0] neg_lo:[0,0,1] neg_hi:[0,0,1]
	v_pk_fma_f32 v[70:71], v[74:75], v[84:85], v[70:71] op_sel:[0,0,1] op_sel_hi:[1,0,0]
	ds_read_b128 v[58:61], v56 offset:368
	ds_read_b128 v[62:65], v56 offset:384
	;; [unrolled: 1-line block ×3, first 2 shown]
	v_pk_add_f32 v[56:57], v[78:79], v[80:81]
	v_pk_add_f32 v[56:57], v[56:57], v[82:83]
	v_mov_b32_e32 v73, v71
	v_pk_add_f32 v[56:57], v[56:57], v[72:73]
	s_waitcnt vmcnt(13)
	v_mov_b32_e32 v70, v87
	v_pk_mul_f32 v[70:71], v[76:77], v[70:71] op_sel_hi:[1,0]
	s_waitcnt vmcnt(12)
	v_pk_fma_f32 v[72:73], v[76:77], v[86:87], v[70:71] op_sel:[0,0,1] op_sel_hi:[1,1,0] neg_lo:[0,0,1] neg_hi:[0,0,1]
	v_pk_fma_f32 v[70:71], v[76:77], v[86:87], v[70:71] op_sel:[0,0,1] op_sel_hi:[1,0,0]
	s_waitcnt vmcnt(11)
	v_mov_b32_e32 v70, v89
	v_mov_b32_e32 v73, v71
	s_waitcnt lgkmcnt(2)
	v_pk_mul_f32 v[70:71], v[58:59], v[70:71] op_sel_hi:[1,0]
	v_pk_add_f32 v[56:57], v[56:57], v[72:73]
	s_waitcnt vmcnt(10)
	v_pk_fma_f32 v[72:73], v[58:59], v[88:89], v[70:71] op_sel:[0,0,1] op_sel_hi:[1,1,0] neg_lo:[0,0,1] neg_hi:[0,0,1]
	v_pk_fma_f32 v[58:59], v[58:59], v[88:89], v[70:71] op_sel:[0,0,1] op_sel_hi:[1,0,0]
	s_waitcnt vmcnt(9)
	v_mov_b32_e32 v58, v91
	v_mov_b32_e32 v73, v59
	v_pk_mul_f32 v[58:59], v[60:61], v[58:59] op_sel_hi:[1,0]
	s_waitcnt vmcnt(8)
	v_pk_fma_f32 v[70:71], v[60:61], v[90:91], v[58:59] op_sel:[0,0,1] op_sel_hi:[1,1,0] neg_lo:[0,0,1] neg_hi:[0,0,1]
	v_pk_fma_f32 v[58:59], v[60:61], v[90:91], v[58:59] op_sel:[0,0,1] op_sel_hi:[1,0,0]
	s_waitcnt vmcnt(7)
	v_mov_b32_e32 v58, v93
	v_mov_b32_e32 v71, v59
	s_waitcnt lgkmcnt(1)
	v_pk_mul_f32 v[58:59], v[62:63], v[58:59] op_sel_hi:[1,0]
	s_waitcnt vmcnt(6)
	v_pk_fma_f32 v[60:61], v[62:63], v[92:93], v[58:59] op_sel:[0,0,1] op_sel_hi:[1,1,0] neg_lo:[0,0,1] neg_hi:[0,0,1]
	v_pk_fma_f32 v[58:59], v[62:63], v[92:93], v[58:59] op_sel:[0,0,1] op_sel_hi:[1,0,0]
	v_pk_add_f32 v[56:57], v[56:57], v[72:73]
	s_waitcnt vmcnt(5)
	v_mov_b32_e32 v58, v95
	v_pk_add_f32 v[56:57], v[56:57], v[70:71]
	v_mov_b32_e32 v61, v59
	v_pk_mul_f32 v[58:59], v[64:65], v[58:59] op_sel_hi:[1,0]
	v_pk_add_f32 v[56:57], v[56:57], v[60:61]
	s_waitcnt vmcnt(4)
	v_pk_fma_f32 v[60:61], v[64:65], v[94:95], v[58:59] op_sel:[0,0,1] op_sel_hi:[1,1,0] neg_lo:[0,0,1] neg_hi:[0,0,1]
	v_pk_fma_f32 v[58:59], v[64:65], v[94:95], v[58:59] op_sel:[0,0,1] op_sel_hi:[1,0,0]
	s_waitcnt vmcnt(3)
	v_mov_b32_e32 v58, v97
	v_mov_b32_e32 v61, v59
	s_waitcnt lgkmcnt(0)
	v_pk_mul_f32 v[58:59], v[66:67], v[58:59] op_sel_hi:[1,0]
	v_pk_add_f32 v[56:57], v[56:57], v[60:61]
	s_waitcnt vmcnt(2)
	v_pk_fma_f32 v[60:61], v[66:67], v[96:97], v[58:59] op_sel:[0,0,1] op_sel_hi:[1,1,0] neg_lo:[0,0,1] neg_hi:[0,0,1]
	v_pk_fma_f32 v[58:59], v[66:67], v[96:97], v[58:59] op_sel:[0,0,1] op_sel_hi:[1,0,0]
	s_waitcnt vmcnt(1)
	v_mov_b32_e32 v58, v99
	v_mov_b32_e32 v61, v59
	v_pk_mul_f32 v[58:59], v[68:69], v[58:59] op_sel_hi:[1,0]
	v_pk_add_f32 v[56:57], v[56:57], v[60:61]
	s_waitcnt vmcnt(0)
	v_pk_fma_f32 v[60:61], v[68:69], v[98:99], v[58:59] op_sel:[0,0,1] op_sel_hi:[1,1,0] neg_lo:[0,0,1] neg_hi:[0,0,1]
	v_pk_fma_f32 v[58:59], v[68:69], v[98:99], v[58:59] op_sel:[0,0,1] op_sel_hi:[1,0,0]
	v_mov_b32_e32 v61, v59
	v_pk_add_f32 v[56:57], v[56:57], v[60:61]
	v_pk_add_f32 v[54:55], v[54:55], v[56:57] neg_lo:[0,1] neg_hi:[0,1]
	buffer_store_dword v55, off, s[0:3], 0 offset:76
	buffer_store_dword v54, off, s[0:3], 0 offset:72
	s_and_saveexec_b64 s[4:5], vcc
	s_cbranch_execz .LBB25_153
; %bb.152:
	buffer_load_dword v54, off, s[0:3], 0 offset:64
	buffer_load_dword v55, off, s[0:3], 0 offset:68
	v_mov_b32_e32 v56, 0
	buffer_store_dword v56, off, s[0:3], 0 offset:64
	buffer_store_dword v56, off, s[0:3], 0 offset:68
	s_waitcnt vmcnt(2)
	ds_write_b64 v1, v[54:55]
.LBB25_153:
	s_or_b64 exec, exec, s[4:5]
	s_waitcnt lgkmcnt(0)
	; wave barrier
	s_waitcnt lgkmcnt(0)
	buffer_load_dword v55, off, s[0:3], 0 offset:76
	buffer_load_dword v98, off, s[0:3], 0 offset:84
	;; [unrolled: 1-line block ×36, first 2 shown]
	v_mov_b32_e32 v54, 0
	ds_read2_b64 v[56:59], v54 offset0:35 offset1:36
	ds_read2_b64 v[60:63], v54 offset0:37 offset1:38
	;; [unrolled: 1-line block ×6, first 2 shown]
	v_cmp_lt_u32_e32 vcc, 7, v0
	s_waitcnt vmcnt(35) lgkmcnt(5)
	v_mul_f32_e32 v117, v56, v55
	s_waitcnt vmcnt(34)
	v_mul_f32_e32 v118, v58, v98
	s_waitcnt vmcnt(33) lgkmcnt(4)
	v_mul_f32_e32 v119, v60, v100
	v_mul_f32_e32 v55, v57, v55
	;; [unrolled: 1-line block ×4, first 2 shown]
	s_waitcnt vmcnt(32)
	v_mul_f32_e32 v120, v62, v102
	s_waitcnt vmcnt(31) lgkmcnt(3)
	v_mul_f32_e32 v121, v64, v103
	v_mul_f32_e32 v102, v63, v102
	s_waitcnt vmcnt(26)
	v_fmac_f32_e32 v117, v57, v108
	s_waitcnt vmcnt(25)
	v_fmac_f32_e32 v118, v59, v109
	s_waitcnt vmcnt(24)
	v_fmac_f32_e32 v119, v61, v110
	v_fma_f32 v55, v56, v108, -v55
	v_add_f32_e32 v61, 0, v117
	v_fma_f32 v56, v58, v109, -v98
	v_add_f32_e32 v55, 0, v55
	v_add_f32_e32 v61, v61, v118
	s_waitcnt vmcnt(23)
	v_fmac_f32_e32 v120, v63, v111
	v_fma_f32 v57, v60, v110, -v100
	v_add_f32_e32 v55, v55, v56
	v_add_f32_e32 v56, v61, v119
	v_mul_f32_e32 v122, v66, v104
	v_mul_f32_e32 v103, v65, v103
	s_waitcnt vmcnt(22)
	v_fmac_f32_e32 v121, v65, v112
	v_fma_f32 v58, v62, v111, -v102
	v_add_f32_e32 v55, v55, v57
	v_add_f32_e32 v56, v56, v120
	s_waitcnt lgkmcnt(2)
	v_mul_f32_e32 v123, v68, v105
	v_mul_f32_e32 v104, v67, v104
	s_waitcnt vmcnt(21)
	v_fmac_f32_e32 v122, v67, v113
	v_fma_f32 v59, v64, v112, -v103
	v_add_f32_e32 v55, v55, v58
	v_add_f32_e32 v56, v56, v121
	v_mul_f32_e32 v105, v69, v105
	s_waitcnt vmcnt(20)
	v_fmac_f32_e32 v123, v69, v114
	v_fma_f32 v60, v66, v113, -v104
	v_add_f32_e32 v55, v55, v59
	v_add_f32_e32 v56, v56, v122
	;; [unrolled: 1-line block ×4, first 2 shown]
	v_fma_f32 v56, v68, v114, -v105
	s_waitcnt vmcnt(17)
	v_mov_b32_e32 v68, v81
	v_mul_f32_e32 v99, v70, v106
	v_add_f32_e32 v64, v55, v56
	v_mul_f32_e32 v55, v71, v106
	s_waitcnt lgkmcnt(1)
	v_pk_mul_f32 v[68:69], v[74:75], v[68:69] op_sel_hi:[1,0]
	v_mul_f32_e32 v101, v72, v107
	v_fmac_f32_e32 v99, v71, v115
	v_fma_f32 v98, v70, v115, -v55
	v_mul_f32_e32 v55, v73, v107
	s_waitcnt vmcnt(15)
	v_pk_fma_f32 v[70:71], v[74:75], v[80:81], v[68:69] op_sel:[0,0,1] op_sel_hi:[1,1,0] neg_lo:[0,0,1] neg_hi:[0,0,1]
	v_pk_fma_f32 v[68:69], v[74:75], v[80:81], v[68:69] op_sel:[0,0,1] op_sel_hi:[1,0,0]
	v_fmac_f32_e32 v101, v73, v116
	v_fma_f32 v100, v72, v116, -v55
	v_pk_add_f32 v[64:65], v[64:65], v[98:99]
	s_waitcnt vmcnt(12)
	v_mov_b32_e32 v68, v83
	v_pk_add_f32 v[64:65], v[64:65], v[100:101]
	v_mov_b32_e32 v71, v69
	s_waitcnt lgkmcnt(0)
	v_pk_mul_f32 v[68:69], v[76:77], v[68:69] op_sel_hi:[1,0]
	v_pk_add_f32 v[64:65], v[64:65], v[70:71]
	v_pk_fma_f32 v[70:71], v[76:77], v[82:83], v[68:69] op_sel:[0,0,1] op_sel_hi:[1,1,0] neg_lo:[0,0,1] neg_hi:[0,0,1]
	v_pk_fma_f32 v[68:69], v[76:77], v[82:83], v[68:69] op_sel:[0,0,1] op_sel_hi:[1,0,0]
	s_waitcnt vmcnt(11)
	v_mov_b32_e32 v68, v87
	ds_read2_b64 v[56:59], v54 offset0:47 offset1:48
	ds_read2_b64 v[60:63], v54 offset0:49 offset1:50
	ds_read_b64 v[66:67], v54 offset:408
	v_mov_b32_e32 v71, v69
	v_pk_mul_f32 v[68:69], v[78:79], v[68:69] op_sel_hi:[1,0]
	v_pk_add_f32 v[64:65], v[64:65], v[70:71]
	s_waitcnt vmcnt(4)
	v_pk_fma_f32 v[70:71], v[78:79], v[86:87], v[68:69] op_sel:[0,0,1] op_sel_hi:[1,1,0] neg_lo:[0,0,1] neg_hi:[0,0,1]
	v_pk_fma_f32 v[68:69], v[78:79], v[86:87], v[68:69] op_sel:[0,0,1] op_sel_hi:[1,0,0]
	v_mov_b32_e32 v68, v93
	v_mov_b32_e32 v71, v69
	s_waitcnt lgkmcnt(2)
	v_pk_mul_f32 v[68:69], v[56:57], v[68:69] op_sel_hi:[1,0]
	v_pk_add_f32 v[64:65], v[64:65], v[70:71]
	v_pk_fma_f32 v[70:71], v[56:57], v[92:93], v[68:69] op_sel:[0,0,1] op_sel_hi:[1,1,0] neg_lo:[0,0,1] neg_hi:[0,0,1]
	v_pk_fma_f32 v[56:57], v[56:57], v[92:93], v[68:69] op_sel:[0,0,1] op_sel_hi:[1,0,0]
	v_mov_b32_e32 v71, v57
	v_pk_add_f32 v[56:57], v[64:65], v[70:71]
	v_mov_b32_e32 v64, v91
	v_pk_mul_f32 v[64:65], v[58:59], v[64:65] op_sel_hi:[1,0]
	v_pk_fma_f32 v[68:69], v[58:59], v[90:91], v[64:65] op_sel:[0,0,1] op_sel_hi:[1,1,0] neg_lo:[0,0,1] neg_hi:[0,0,1]
	v_pk_fma_f32 v[58:59], v[58:59], v[90:91], v[64:65] op_sel:[0,0,1] op_sel_hi:[1,0,0]
	v_mov_b32_e32 v58, v89
	v_mov_b32_e32 v69, v59
	s_waitcnt lgkmcnt(1)
	v_pk_mul_f32 v[58:59], v[60:61], v[58:59] op_sel_hi:[1,0]
	v_pk_fma_f32 v[64:65], v[60:61], v[88:89], v[58:59] op_sel:[0,0,1] op_sel_hi:[1,1,0] neg_lo:[0,0,1] neg_hi:[0,0,1]
	v_pk_fma_f32 v[58:59], v[60:61], v[88:89], v[58:59] op_sel:[0,0,1] op_sel_hi:[1,0,0]
	s_waitcnt vmcnt(1)
	v_mov_b32_e32 v58, v97
	v_mov_b32_e32 v65, v59
	v_pk_mul_f32 v[58:59], v[62:63], v[58:59] op_sel_hi:[1,0]
	s_waitcnt vmcnt(0)
	v_pk_fma_f32 v[60:61], v[62:63], v[96:97], v[58:59] op_sel:[0,0,1] op_sel_hi:[1,1,0] neg_lo:[0,0,1] neg_hi:[0,0,1]
	v_pk_fma_f32 v[58:59], v[62:63], v[96:97], v[58:59] op_sel:[0,0,1] op_sel_hi:[1,0,0]
	v_pk_add_f32 v[56:57], v[56:57], v[68:69]
	v_mov_b32_e32 v58, v95
	v_pk_add_f32 v[56:57], v[56:57], v[64:65]
	v_mov_b32_e32 v61, v59
	s_waitcnt lgkmcnt(0)
	v_pk_mul_f32 v[58:59], v[66:67], v[58:59] op_sel_hi:[1,0]
	v_pk_add_f32 v[56:57], v[56:57], v[60:61]
	v_pk_fma_f32 v[60:61], v[66:67], v[94:95], v[58:59] op_sel:[0,0,1] op_sel_hi:[1,1,0] neg_lo:[0,0,1] neg_hi:[0,0,1]
	v_pk_fma_f32 v[58:59], v[66:67], v[94:95], v[58:59] op_sel:[0,0,1] op_sel_hi:[1,0,0]
	v_mov_b32_e32 v61, v59
	v_pk_add_f32 v[56:57], v[56:57], v[60:61]
	v_pk_add_f32 v[56:57], v[84:85], v[56:57] neg_lo:[0,1] neg_hi:[0,1]
	buffer_store_dword v57, off, s[0:3], 0 offset:68
	buffer_store_dword v56, off, s[0:3], 0 offset:64
	s_and_saveexec_b64 s[4:5], vcc
	s_cbranch_execz .LBB25_155
; %bb.154:
	buffer_load_dword v56, off, s[0:3], 0 offset:56
	buffer_load_dword v57, off, s[0:3], 0 offset:60
	s_waitcnt vmcnt(0)
	ds_write_b64 v1, v[56:57]
	buffer_store_dword v54, off, s[0:3], 0 offset:56
	buffer_store_dword v54, off, s[0:3], 0 offset:60
.LBB25_155:
	s_or_b64 exec, exec, s[4:5]
	s_waitcnt lgkmcnt(0)
	; wave barrier
	s_waitcnt lgkmcnt(0)
	buffer_load_dword v55, off, s[0:3], 0 offset:68
	buffer_load_dword v98, off, s[0:3], 0 offset:76
	;; [unrolled: 1-line block ×22, first 2 shown]
	ds_read_b128 v[56:59], v54 offset:272
	ds_read_b128 v[60:63], v54 offset:288
	buffer_load_dword v83, off, s[0:3], 0 offset:148
	buffer_load_dword v82, off, s[0:3], 0 offset:144
	;; [unrolled: 1-line block ×10, first 2 shown]
	ds_read_b128 v[64:67], v54 offset:304
	ds_read_b128 v[68:71], v54 offset:320
	;; [unrolled: 1-line block ×4, first 2 shown]
	buffer_load_dword v93, off, s[0:3], 0 offset:204
	buffer_load_dword v92, off, s[0:3], 0 offset:200
	;; [unrolled: 1-line block ×6, first 2 shown]
	v_cmp_lt_u32_e32 vcc, 6, v0
	s_waitcnt vmcnt(37) lgkmcnt(5)
	v_mul_f32_e32 v119, v56, v55
	s_waitcnt vmcnt(36)
	v_mul_f32_e32 v120, v58, v98
	s_waitcnt vmcnt(35) lgkmcnt(4)
	v_mul_f32_e32 v121, v60, v100
	v_mul_f32_e32 v55, v57, v55
	v_mul_f32_e32 v100, v61, v100
	v_mul_f32_e32 v98, v59, v98
	s_waitcnt vmcnt(34)
	v_mul_f32_e32 v122, v62, v102
	s_waitcnt vmcnt(33) lgkmcnt(3)
	v_mul_f32_e32 v123, v64, v103
	s_waitcnt vmcnt(32)
	v_mul_f32_e32 v124, v66, v104
	s_waitcnt vmcnt(31) lgkmcnt(2)
	v_mul_f32_e32 v125, v68, v105
	s_waitcnt vmcnt(27)
	v_fmac_f32_e32 v119, v57, v109
	s_waitcnt vmcnt(26)
	v_fmac_f32_e32 v120, v59, v110
	v_fma_f32 v55, v56, v109, -v55
	s_waitcnt vmcnt(25)
	v_fma_f32 v57, v60, v111, -v100
	v_add_f32_e32 v60, 0, v119
	v_fmac_f32_e32 v121, v61, v111
	v_fma_f32 v56, v58, v110, -v98
	v_add_f32_e32 v55, 0, v55
	v_add_f32_e32 v60, v60, v120
	s_waitcnt vmcnt(24)
	v_fmac_f32_e32 v122, v63, v112
	v_add_f32_e32 v55, v55, v56
	v_add_f32_e32 v56, v60, v121
	s_waitcnt vmcnt(23)
	v_fmac_f32_e32 v123, v65, v113
	v_add_f32_e32 v56, v56, v122
	v_mul_f32_e32 v102, v63, v102
	s_waitcnt vmcnt(22)
	v_fmac_f32_e32 v124, v67, v114
	v_add_f32_e32 v56, v56, v123
	v_mul_f32_e32 v126, v70, v106
	v_mul_f32_e32 v103, v65, v103
	s_waitcnt vmcnt(21)
	v_fmac_f32_e32 v125, v69, v115
	v_fma_f32 v58, v62, v112, -v102
	v_add_f32_e32 v55, v55, v57
	v_add_f32_e32 v56, v56, v124
	v_mul_f32_e32 v104, v67, v104
	s_waitcnt vmcnt(20)
	v_fmac_f32_e32 v126, v71, v116
	v_fma_f32 v59, v64, v113, -v103
	v_add_f32_e32 v55, v55, v58
	v_add_f32_e32 v56, v56, v125
	;; [unrolled: 1-line block ×4, first 2 shown]
	v_fma_f32 v56, v66, v114, -v104
	v_add_f32_e32 v55, v55, v56
	v_mul_f32_e32 v56, v69, v105
	v_fma_f32 v56, v68, v115, -v56
	v_add_f32_e32 v55, v55, v56
	v_mul_f32_e32 v56, v71, v106
	v_fma_f32 v56, v70, v116, -v56
	s_waitcnt vmcnt(15)
	v_mov_b32_e32 v68, v83
	s_waitcnt lgkmcnt(1)
	v_mul_f32_e32 v99, v72, v107
	v_add_f32_e32 v102, v55, v56
	v_mul_f32_e32 v55, v73, v107
	s_waitcnt lgkmcnt(0)
	v_pk_mul_f32 v[68:69], v[76:77], v[68:69] op_sel_hi:[1,0]
	v_mul_f32_e32 v101, v74, v108
	v_fmac_f32_e32 v99, v73, v117
	v_fma_f32 v98, v72, v117, -v55
	v_mul_f32_e32 v55, v75, v108
	s_waitcnt vmcnt(14)
	v_pk_fma_f32 v[70:71], v[76:77], v[82:83], v[68:69] op_sel:[0,0,1] op_sel_hi:[1,1,0] neg_lo:[0,0,1] neg_hi:[0,0,1]
	v_pk_fma_f32 v[68:69], v[76:77], v[82:83], v[68:69] op_sel:[0,0,1] op_sel_hi:[1,0,0]
	v_fmac_f32_e32 v101, v75, v118
	v_fma_f32 v100, v74, v118, -v55
	ds_read_b128 v[56:59], v54 offset:368
	ds_read_b128 v[60:63], v54 offset:384
	;; [unrolled: 1-line block ×3, first 2 shown]
	v_pk_add_f32 v[54:55], v[102:103], v[98:99]
	s_waitcnt vmcnt(13)
	v_mov_b32_e32 v68, v85
	v_pk_add_f32 v[54:55], v[54:55], v[100:101]
	v_mov_b32_e32 v71, v69
	v_pk_mul_f32 v[68:69], v[78:79], v[68:69] op_sel_hi:[1,0]
	v_pk_add_f32 v[54:55], v[54:55], v[70:71]
	s_waitcnt vmcnt(6)
	v_pk_fma_f32 v[70:71], v[78:79], v[84:85], v[68:69] op_sel:[0,0,1] op_sel_hi:[1,1,0] neg_lo:[0,0,1] neg_hi:[0,0,1]
	v_pk_fma_f32 v[68:69], v[78:79], v[84:85], v[68:69] op_sel:[0,0,1] op_sel_hi:[1,0,0]
	v_mov_b32_e32 v68, v91
	v_mov_b32_e32 v71, v69
	s_waitcnt lgkmcnt(2)
	v_pk_mul_f32 v[68:69], v[56:57], v[68:69] op_sel_hi:[1,0]
	v_pk_add_f32 v[54:55], v[54:55], v[70:71]
	v_pk_fma_f32 v[70:71], v[56:57], v[90:91], v[68:69] op_sel:[0,0,1] op_sel_hi:[1,1,0] neg_lo:[0,0,1] neg_hi:[0,0,1]
	v_pk_fma_f32 v[56:57], v[56:57], v[90:91], v[68:69] op_sel:[0,0,1] op_sel_hi:[1,0,0]
	v_mov_b32_e32 v56, v89
	v_mov_b32_e32 v71, v57
	v_pk_mul_f32 v[56:57], v[58:59], v[56:57] op_sel_hi:[1,0]
	v_pk_fma_f32 v[68:69], v[58:59], v[88:89], v[56:57] op_sel:[0,0,1] op_sel_hi:[1,1,0] neg_lo:[0,0,1] neg_hi:[0,0,1]
	v_pk_fma_f32 v[56:57], v[58:59], v[88:89], v[56:57] op_sel:[0,0,1] op_sel_hi:[1,0,0]
	v_mov_b32_e32 v56, v87
	v_mov_b32_e32 v69, v57
	s_waitcnt lgkmcnt(1)
	v_pk_mul_f32 v[56:57], v[60:61], v[56:57] op_sel_hi:[1,0]
	v_pk_fma_f32 v[58:59], v[60:61], v[86:87], v[56:57] op_sel:[0,0,1] op_sel_hi:[1,1,0] neg_lo:[0,0,1] neg_hi:[0,0,1]
	v_pk_fma_f32 v[56:57], v[60:61], v[86:87], v[56:57] op_sel:[0,0,1] op_sel_hi:[1,0,0]
	v_pk_add_f32 v[54:55], v[54:55], v[70:71]
	s_waitcnt vmcnt(1)
	v_mov_b32_e32 v56, v97
	v_pk_add_f32 v[54:55], v[54:55], v[68:69]
	v_mov_b32_e32 v59, v57
	v_pk_mul_f32 v[56:57], v[62:63], v[56:57] op_sel_hi:[1,0]
	v_pk_add_f32 v[54:55], v[54:55], v[58:59]
	s_waitcnt vmcnt(0)
	v_pk_fma_f32 v[58:59], v[62:63], v[96:97], v[56:57] op_sel:[0,0,1] op_sel_hi:[1,1,0] neg_lo:[0,0,1] neg_hi:[0,0,1]
	v_pk_fma_f32 v[56:57], v[62:63], v[96:97], v[56:57] op_sel:[0,0,1] op_sel_hi:[1,0,0]
	v_mov_b32_e32 v56, v95
	v_mov_b32_e32 v59, v57
	s_waitcnt lgkmcnt(0)
	v_pk_mul_f32 v[56:57], v[64:65], v[56:57] op_sel_hi:[1,0]
	v_pk_add_f32 v[54:55], v[54:55], v[58:59]
	v_pk_fma_f32 v[58:59], v[64:65], v[94:95], v[56:57] op_sel:[0,0,1] op_sel_hi:[1,1,0] neg_lo:[0,0,1] neg_hi:[0,0,1]
	v_pk_fma_f32 v[56:57], v[64:65], v[94:95], v[56:57] op_sel:[0,0,1] op_sel_hi:[1,0,0]
	v_mov_b32_e32 v56, v93
	v_mov_b32_e32 v59, v57
	v_pk_mul_f32 v[56:57], v[66:67], v[56:57] op_sel_hi:[1,0]
	v_pk_add_f32 v[54:55], v[54:55], v[58:59]
	v_pk_fma_f32 v[58:59], v[66:67], v[92:93], v[56:57] op_sel:[0,0,1] op_sel_hi:[1,1,0] neg_lo:[0,0,1] neg_hi:[0,0,1]
	v_pk_fma_f32 v[56:57], v[66:67], v[92:93], v[56:57] op_sel:[0,0,1] op_sel_hi:[1,0,0]
	v_mov_b32_e32 v59, v57
	v_pk_add_f32 v[54:55], v[54:55], v[58:59]
	v_pk_add_f32 v[54:55], v[80:81], v[54:55] neg_lo:[0,1] neg_hi:[0,1]
	buffer_store_dword v55, off, s[0:3], 0 offset:60
	buffer_store_dword v54, off, s[0:3], 0 offset:56
	s_and_saveexec_b64 s[4:5], vcc
	s_cbranch_execz .LBB25_157
; %bb.156:
	buffer_load_dword v54, off, s[0:3], 0 offset:48
	buffer_load_dword v55, off, s[0:3], 0 offset:52
	v_mov_b32_e32 v56, 0
	buffer_store_dword v56, off, s[0:3], 0 offset:48
	buffer_store_dword v56, off, s[0:3], 0 offset:52
	s_waitcnt vmcnt(2)
	ds_write_b64 v1, v[54:55]
.LBB25_157:
	s_or_b64 exec, exec, s[4:5]
	v_mov_b32_e32 v56, 0
	s_waitcnt lgkmcnt(0)
	; wave barrier
	s_waitcnt lgkmcnt(0)
	ds_read2_b64 v[58:61], v56 offset0:33 offset1:34
	buffer_load_dword v54, off, s[0:3], 0 offset:48
	buffer_load_dword v55, off, s[0:3], 0 offset:52
	;; [unrolled: 1-line block ×16, first 2 shown]
	v_cmp_lt_u32_e32 vcc, 5, v0
	s_waitcnt vmcnt(12) lgkmcnt(0)
	v_mul_f32_e32 v62, v58, v82
	v_fmac_f32_e32 v62, v59, v57
	s_waitcnt vmcnt(10)
	v_mul_f32_e32 v63, v60, v86
	v_add_f32_e32 v62, 0, v62
	v_fmac_f32_e32 v63, v61, v84
	v_add_f32_e32 v66, v62, v63
	ds_read2_b64 v[62:65], v56 offset0:35 offset1:36
	v_mul_f32_e32 v59, v59, v82
	v_fma_f32 v57, v58, v57, -v59
	v_mul_f32_e32 v58, v61, v86
	v_add_f32_e32 v57, 0, v57
	s_waitcnt vmcnt(8) lgkmcnt(0)
	v_mul_f32_e32 v67, v62, v105
	v_fmac_f32_e32 v67, v63, v104
	v_add_f32_e32 v66, v66, v67
	s_waitcnt vmcnt(6)
	v_mul_f32_e32 v67, v64, v107
	v_fmac_f32_e32 v67, v65, v106
	v_add_f32_e32 v70, v66, v67
	ds_read2_b64 v[66:69], v56 offset0:37 offset1:38
	v_fma_f32 v58, v60, v84, -v58
	v_add_f32_e32 v57, v57, v58
	v_mul_f32_e32 v58, v63, v105
	v_fma_f32 v58, v62, v104, -v58
	s_waitcnt vmcnt(4) lgkmcnt(0)
	v_mul_f32_e32 v71, v66, v109
	v_fmac_f32_e32 v71, v67, v108
	v_add_f32_e32 v70, v70, v71
	s_waitcnt vmcnt(2)
	v_mul_f32_e32 v71, v68, v111
	v_fmac_f32_e32 v71, v69, v110
	v_add_f32_e32 v74, v70, v71
	ds_read2_b64 v[70:73], v56 offset0:39 offset1:40
	buffer_load_dword v114, off, s[0:3], 0 offset:112
	buffer_load_dword v115, off, s[0:3], 0 offset:116
	v_add_f32_e32 v57, v57, v58
	v_mul_f32_e32 v58, v65, v107
	v_fma_f32 v58, v64, v106, -v58
	s_waitcnt vmcnt(2) lgkmcnt(0)
	v_mul_f32_e32 v75, v70, v113
	v_fmac_f32_e32 v75, v71, v112
	v_add_f32_e32 v74, v74, v75
	v_add_f32_e32 v57, v57, v58
	v_mul_f32_e32 v58, v67, v109
	v_fma_f32 v58, v66, v108, -v58
	v_add_f32_e32 v57, v57, v58
	v_mul_f32_e32 v58, v69, v111
	v_fma_f32 v58, v68, v110, -v58
	;; [unrolled: 3-line block ×3, first 2 shown]
	v_add_f32_e32 v57, v57, v58
	s_waitcnt vmcnt(0)
	v_mul_f32_e32 v75, v72, v115
	v_fmac_f32_e32 v75, v73, v114
	v_add_f32_e32 v78, v74, v75
	ds_read2_b64 v[74:77], v56 offset0:41 offset1:42
	buffer_load_dword v116, off, s[0:3], 0 offset:120
	buffer_load_dword v117, off, s[0:3], 0 offset:124
	;; [unrolled: 1-line block ×4, first 2 shown]
	v_mul_f32_e32 v58, v73, v115
	v_fma_f32 v58, v72, v114, -v58
	v_add_f32_e32 v57, v57, v58
	s_waitcnt vmcnt(2) lgkmcnt(0)
	v_mul_f32_e32 v79, v74, v117
	v_fmac_f32_e32 v79, v75, v116
	v_add_f32_e32 v83, v78, v79
	ds_read2_b64 v[78:81], v56 offset0:43 offset1:44
	buffer_load_dword v120, off, s[0:3], 0 offset:136
	buffer_load_dword v121, off, s[0:3], 0 offset:140
	;; [unrolled: 1-line block ×18, first 2 shown]
	v_mul_f32_e32 v58, v75, v117
	v_fma_f32 v58, v74, v116, -v58
	s_waitcnt vmcnt(18)
	v_mul_f32_e32 v85, v76, v119
	v_add_f32_e32 v82, v57, v58
	v_mul_f32_e32 v57, v77, v119
	v_fmac_f32_e32 v85, v77, v118
	v_fma_f32 v84, v76, v118, -v57
	ds_read2_b64 v[58:61], v56 offset0:45 offset1:46
	ds_read2_b64 v[62:65], v56 offset0:47 offset1:48
	;; [unrolled: 1-line block ×3, first 2 shown]
	ds_read_b64 v[70:71], v56 offset:408
	v_pk_add_f32 v[72:73], v[82:83], v[84:85]
	s_waitcnt vmcnt(15)
	v_mov_b32_e32 v74, v89
	s_waitcnt lgkmcnt(4)
	v_pk_mul_f32 v[74:75], v[80:81], v[74:75] op_sel_hi:[1,0]
	s_waitcnt vmcnt(14)
	v_pk_fma_f32 v[76:77], v[80:81], v[88:89], v[74:75] op_sel:[0,0,1] op_sel_hi:[1,1,0] neg_lo:[0,0,1] neg_hi:[0,0,1]
	v_pk_fma_f32 v[74:75], v[80:81], v[88:89], v[74:75] op_sel:[0,0,1] op_sel_hi:[1,0,0]
	s_waitcnt vmcnt(13)
	v_mov_b32_e32 v74, v91
	v_mov_b32_e32 v77, v75
	s_waitcnt lgkmcnt(3)
	v_pk_mul_f32 v[74:75], v[58:59], v[74:75] op_sel_hi:[1,0]
	v_mul_f32_e32 v87, v78, v121
	v_mul_f32_e32 v57, v79, v121
	v_fmac_f32_e32 v87, v79, v120
	v_fma_f32 v86, v78, v120, -v57
	v_pk_add_f32 v[72:73], v[72:73], v[86:87]
	v_pk_add_f32 v[72:73], v[72:73], v[76:77]
	s_waitcnt vmcnt(12)
	v_pk_fma_f32 v[76:77], v[58:59], v[90:91], v[74:75] op_sel:[0,0,1] op_sel_hi:[1,1,0] neg_lo:[0,0,1] neg_hi:[0,0,1]
	v_pk_fma_f32 v[58:59], v[58:59], v[90:91], v[74:75] op_sel:[0,0,1] op_sel_hi:[1,0,0]
	v_mov_b32_e32 v77, v59
	v_pk_add_f32 v[58:59], v[72:73], v[76:77]
	s_waitcnt vmcnt(11)
	v_mov_b32_e32 v72, v93
	v_pk_mul_f32 v[72:73], v[60:61], v[72:73] op_sel_hi:[1,0]
	s_waitcnt vmcnt(10)
	v_pk_fma_f32 v[74:75], v[60:61], v[92:93], v[72:73] op_sel:[0,0,1] op_sel_hi:[1,1,0] neg_lo:[0,0,1] neg_hi:[0,0,1]
	v_pk_fma_f32 v[60:61], v[60:61], v[92:93], v[72:73] op_sel:[0,0,1] op_sel_hi:[1,0,0]
	s_waitcnt vmcnt(9)
	v_mov_b32_e32 v60, v95
	v_mov_b32_e32 v75, v61
	s_waitcnt lgkmcnt(2)
	v_pk_mul_f32 v[60:61], v[62:63], v[60:61] op_sel_hi:[1,0]
	s_waitcnt vmcnt(8)
	v_pk_fma_f32 v[72:73], v[62:63], v[94:95], v[60:61] op_sel:[0,0,1] op_sel_hi:[1,1,0] neg_lo:[0,0,1] neg_hi:[0,0,1]
	v_pk_fma_f32 v[60:61], v[62:63], v[94:95], v[60:61] op_sel:[0,0,1] op_sel_hi:[1,0,0]
	s_waitcnt vmcnt(7)
	v_mov_b32_e32 v60, v97
	v_mov_b32_e32 v73, v61
	v_pk_mul_f32 v[60:61], v[64:65], v[60:61] op_sel_hi:[1,0]
	s_waitcnt vmcnt(6)
	v_pk_fma_f32 v[62:63], v[64:65], v[96:97], v[60:61] op_sel:[0,0,1] op_sel_hi:[1,1,0] neg_lo:[0,0,1] neg_hi:[0,0,1]
	v_pk_fma_f32 v[60:61], v[64:65], v[96:97], v[60:61] op_sel:[0,0,1] op_sel_hi:[1,0,0]
	v_pk_add_f32 v[58:59], v[58:59], v[74:75]
	s_waitcnt vmcnt(5)
	v_mov_b32_e32 v60, v99
	v_pk_add_f32 v[58:59], v[58:59], v[72:73]
	v_mov_b32_e32 v63, v61
	s_waitcnt lgkmcnt(1)
	v_pk_mul_f32 v[60:61], v[66:67], v[60:61] op_sel_hi:[1,0]
	v_pk_add_f32 v[58:59], v[58:59], v[62:63]
	s_waitcnt vmcnt(4)
	v_pk_fma_f32 v[62:63], v[66:67], v[98:99], v[60:61] op_sel:[0,0,1] op_sel_hi:[1,1,0] neg_lo:[0,0,1] neg_hi:[0,0,1]
	v_pk_fma_f32 v[60:61], v[66:67], v[98:99], v[60:61] op_sel:[0,0,1] op_sel_hi:[1,0,0]
	s_waitcnt vmcnt(3)
	v_mov_b32_e32 v60, v101
	v_mov_b32_e32 v63, v61
	v_pk_mul_f32 v[60:61], v[68:69], v[60:61] op_sel_hi:[1,0]
	v_pk_add_f32 v[58:59], v[58:59], v[62:63]
	s_waitcnt vmcnt(2)
	v_pk_fma_f32 v[62:63], v[68:69], v[100:101], v[60:61] op_sel:[0,0,1] op_sel_hi:[1,1,0] neg_lo:[0,0,1] neg_hi:[0,0,1]
	v_pk_fma_f32 v[60:61], v[68:69], v[100:101], v[60:61] op_sel:[0,0,1] op_sel_hi:[1,0,0]
	s_waitcnt vmcnt(1)
	v_mov_b32_e32 v60, v103
	v_mov_b32_e32 v63, v61
	s_waitcnt lgkmcnt(0)
	v_pk_mul_f32 v[60:61], v[70:71], v[60:61] op_sel_hi:[1,0]
	v_pk_add_f32 v[58:59], v[58:59], v[62:63]
	s_waitcnt vmcnt(0)
	v_pk_fma_f32 v[62:63], v[70:71], v[102:103], v[60:61] op_sel:[0,0,1] op_sel_hi:[1,1,0] neg_lo:[0,0,1] neg_hi:[0,0,1]
	v_pk_fma_f32 v[60:61], v[70:71], v[102:103], v[60:61] op_sel:[0,0,1] op_sel_hi:[1,0,0]
	v_mov_b32_e32 v63, v61
	v_pk_add_f32 v[58:59], v[58:59], v[62:63]
	v_pk_add_f32 v[54:55], v[54:55], v[58:59] neg_lo:[0,1] neg_hi:[0,1]
	buffer_store_dword v55, off, s[0:3], 0 offset:52
	buffer_store_dword v54, off, s[0:3], 0 offset:48
	s_and_saveexec_b64 s[4:5], vcc
	s_cbranch_execz .LBB25_159
; %bb.158:
	buffer_load_dword v54, off, s[0:3], 0 offset:40
	buffer_load_dword v55, off, s[0:3], 0 offset:44
	s_waitcnt vmcnt(0)
	ds_write_b64 v1, v[54:55]
	buffer_store_dword v56, off, s[0:3], 0 offset:40
	buffer_store_dword v56, off, s[0:3], 0 offset:44
.LBB25_159:
	s_or_b64 exec, exec, s[4:5]
	s_waitcnt lgkmcnt(0)
	; wave barrier
	s_waitcnt lgkmcnt(0)
	buffer_load_dword v54, off, s[0:3], 0 offset:52
	buffer_load_dword v55, off, s[0:3], 0 offset:60
	;; [unrolled: 1-line block ×26, first 2 shown]
	ds_read_b128 v[58:61], v56 offset:256
	ds_read_b128 v[62:65], v56 offset:272
	;; [unrolled: 1-line block ×6, first 2 shown]
	buffer_load_dword v85, off, s[0:3], 0 offset:164
	buffer_load_dword v84, off, s[0:3], 0 offset:160
	;; [unrolled: 1-line block ×16, first 2 shown]
	v_cmp_lt_u32_e32 vcc, 4, v0
	s_waitcnt vmcnt(41) lgkmcnt(5)
	v_mul_f32_e32 v123, v58, v54
	s_waitcnt vmcnt(40)
	v_mul_f32_e32 v124, v60, v55
	v_mul_f32_e32 v54, v59, v54
	s_waitcnt vmcnt(39) lgkmcnt(4)
	v_mul_f32_e32 v125, v62, v57
	v_mul_f32_e32 v55, v61, v55
	s_waitcnt vmcnt(38)
	v_mul_f32_e32 v126, v64, v100
	s_waitcnt vmcnt(37) lgkmcnt(3)
	v_mul_f32_e32 v127, v66, v102
	s_waitcnt vmcnt(36)
	v_mul_f32_e32 v128, v68, v104
	s_waitcnt vmcnt(35) lgkmcnt(2)
	;; [unrolled: 4-line block ×3, first 2 shown]
	v_mul_f32_e32 v131, v74, v108
	s_waitcnt vmcnt(32)
	v_mul_f32_e32 v132, v76, v109
	s_waitcnt vmcnt(29)
	v_fmac_f32_e32 v123, v59, v105
	s_waitcnt vmcnt(28)
	v_fmac_f32_e32 v124, v61, v112
	v_fma_f32 v54, v58, v105, -v54
	v_add_f32_e32 v58, 0, v123
	s_waitcnt vmcnt(27)
	v_fmac_f32_e32 v125, v63, v113
	v_fma_f32 v55, v60, v112, -v55
	v_add_f32_e32 v54, 0, v54
	v_add_f32_e32 v58, v58, v124
	s_waitcnt vmcnt(26)
	v_fmac_f32_e32 v126, v65, v114
	v_add_f32_e32 v54, v54, v55
	v_add_f32_e32 v55, v58, v125
	s_waitcnt vmcnt(25)
	v_fmac_f32_e32 v127, v67, v115
	v_add_f32_e32 v55, v55, v126
	s_waitcnt vmcnt(24)
	v_fmac_f32_e32 v128, v69, v116
	;; [unrolled: 3-line block ×5, first 2 shown]
	v_add_f32_e32 v55, v55, v130
	v_mul_f32_e32 v57, v63, v57
	s_waitcnt vmcnt(20)
	v_fmac_f32_e32 v132, v77, v120
	v_add_f32_e32 v55, v55, v131
	v_fma_f32 v57, v62, v113, -v57
	v_add_f32_e32 v105, v55, v132
	v_mul_f32_e32 v55, v65, v100
	v_add_f32_e32 v54, v54, v57
	v_fma_f32 v55, v64, v114, -v55
	v_add_f32_e32 v54, v54, v55
	v_mul_f32_e32 v55, v67, v102
	v_fma_f32 v55, v66, v115, -v55
	v_add_f32_e32 v54, v54, v55
	v_mul_f32_e32 v55, v69, v104
	;; [unrolled: 3-line block ×6, first 2 shown]
	v_fma_f32 v55, v76, v120, -v55
	v_add_f32_e32 v104, v54, v55
	s_waitcnt lgkmcnt(0)
	v_mul_f32_e32 v54, v79, v110
	s_waitcnt vmcnt(19)
	v_fma_f32 v100, v78, v121, -v54
	v_mul_f32_e32 v54, v81, v111
	s_waitcnt vmcnt(18)
	v_fma_f32 v102, v80, v122, -v54
	ds_read_b128 v[58:61], v56 offset:352
	ds_read_b128 v[62:65], v56 offset:368
	;; [unrolled: 1-line block ×4, first 2 shown]
	v_mul_f32_e32 v101, v78, v110
	s_waitcnt vmcnt(11)
	v_mov_b32_e32 v72, v89
	v_mul_f32_e32 v103, v80, v111
	v_fmac_f32_e32 v101, v79, v121
	s_waitcnt lgkmcnt(3)
	v_pk_mul_f32 v[72:73], v[58:59], v[72:73] op_sel_hi:[1,0]
	v_fmac_f32_e32 v103, v81, v122
	v_pk_add_f32 v[70:71], v[104:105], v[100:101]
	s_waitcnt vmcnt(10)
	v_pk_fma_f32 v[74:75], v[58:59], v[88:89], v[72:73] op_sel:[0,0,1] op_sel_hi:[1,1,0] neg_lo:[0,0,1] neg_hi:[0,0,1]
	v_pk_fma_f32 v[58:59], v[58:59], v[88:89], v[72:73] op_sel:[0,0,1] op_sel_hi:[1,0,0]
	v_pk_add_f32 v[70:71], v[70:71], v[102:103]
	v_mov_b32_e32 v75, v59
	v_pk_add_f32 v[58:59], v[70:71], v[74:75]
	v_mov_b32_e32 v70, v87
	v_pk_mul_f32 v[70:71], v[60:61], v[70:71] op_sel_hi:[1,0]
	v_pk_fma_f32 v[72:73], v[60:61], v[86:87], v[70:71] op_sel:[0,0,1] op_sel_hi:[1,1,0] neg_lo:[0,0,1] neg_hi:[0,0,1]
	v_pk_fma_f32 v[60:61], v[60:61], v[86:87], v[70:71] op_sel:[0,0,1] op_sel_hi:[1,0,0]
	v_mov_b32_e32 v60, v85
	v_mov_b32_e32 v73, v61
	s_waitcnt lgkmcnt(2)
	v_pk_mul_f32 v[60:61], v[62:63], v[60:61] op_sel_hi:[1,0]
	v_pk_fma_f32 v[70:71], v[62:63], v[84:85], v[60:61] op_sel:[0,0,1] op_sel_hi:[1,1,0] neg_lo:[0,0,1] neg_hi:[0,0,1]
	v_pk_fma_f32 v[60:61], v[62:63], v[84:85], v[60:61] op_sel:[0,0,1] op_sel_hi:[1,0,0]
	s_waitcnt vmcnt(3)
	v_mov_b32_e32 v60, v97
	v_mov_b32_e32 v71, v61
	v_pk_mul_f32 v[60:61], v[64:65], v[60:61] op_sel_hi:[1,0]
	s_waitcnt vmcnt(2)
	v_pk_fma_f32 v[62:63], v[64:65], v[96:97], v[60:61] op_sel:[0,0,1] op_sel_hi:[1,1,0] neg_lo:[0,0,1] neg_hi:[0,0,1]
	v_pk_fma_f32 v[60:61], v[64:65], v[96:97], v[60:61] op_sel:[0,0,1] op_sel_hi:[1,0,0]
	v_pk_add_f32 v[58:59], v[58:59], v[72:73]
	v_mov_b32_e32 v60, v95
	v_pk_add_f32 v[58:59], v[58:59], v[70:71]
	v_mov_b32_e32 v63, v61
	s_waitcnt lgkmcnt(1)
	v_pk_mul_f32 v[60:61], v[66:67], v[60:61] op_sel_hi:[1,0]
	v_pk_add_f32 v[58:59], v[58:59], v[62:63]
	v_pk_fma_f32 v[62:63], v[66:67], v[94:95], v[60:61] op_sel:[0,0,1] op_sel_hi:[1,1,0] neg_lo:[0,0,1] neg_hi:[0,0,1]
	v_pk_fma_f32 v[60:61], v[66:67], v[94:95], v[60:61] op_sel:[0,0,1] op_sel_hi:[1,0,0]
	v_mov_b32_e32 v60, v93
	v_mov_b32_e32 v63, v61
	v_pk_mul_f32 v[60:61], v[68:69], v[60:61] op_sel_hi:[1,0]
	v_pk_add_f32 v[58:59], v[58:59], v[62:63]
	v_pk_fma_f32 v[62:63], v[68:69], v[92:93], v[60:61] op_sel:[0,0,1] op_sel_hi:[1,1,0] neg_lo:[0,0,1] neg_hi:[0,0,1]
	v_pk_fma_f32 v[60:61], v[68:69], v[92:93], v[60:61] op_sel:[0,0,1] op_sel_hi:[1,0,0]
	v_mov_b32_e32 v60, v91
	v_mov_b32_e32 v63, v61
	s_waitcnt lgkmcnt(0)
	v_pk_mul_f32 v[60:61], v[54:55], v[60:61] op_sel_hi:[1,0]
	v_pk_add_f32 v[58:59], v[58:59], v[62:63]
	v_pk_fma_f32 v[62:63], v[54:55], v[90:91], v[60:61] op_sel:[0,0,1] op_sel_hi:[1,1,0] neg_lo:[0,0,1] neg_hi:[0,0,1]
	v_pk_fma_f32 v[54:55], v[54:55], v[90:91], v[60:61] op_sel:[0,0,1] op_sel_hi:[1,0,0]
	v_mov_b32_e32 v63, v55
	v_pk_add_f32 v[54:55], v[58:59], v[62:63]
	s_waitcnt vmcnt(1)
	v_mov_b32_e32 v58, v99
	v_pk_mul_f32 v[58:59], v[56:57], v[58:59] op_sel_hi:[1,0]
	s_waitcnt vmcnt(0)
	v_pk_fma_f32 v[60:61], v[56:57], v[98:99], v[58:59] op_sel:[0,0,1] op_sel_hi:[1,1,0] neg_lo:[0,0,1] neg_hi:[0,0,1]
	v_pk_fma_f32 v[56:57], v[56:57], v[98:99], v[58:59] op_sel:[0,0,1] op_sel_hi:[1,0,0]
	v_mov_b32_e32 v61, v57
	v_pk_add_f32 v[54:55], v[54:55], v[60:61]
	v_pk_add_f32 v[54:55], v[82:83], v[54:55] neg_lo:[0,1] neg_hi:[0,1]
	buffer_store_dword v55, off, s[0:3], 0 offset:44
	buffer_store_dword v54, off, s[0:3], 0 offset:40
	s_and_saveexec_b64 s[4:5], vcc
	s_cbranch_execz .LBB25_161
; %bb.160:
	buffer_load_dword v54, off, s[0:3], 0 offset:32
	buffer_load_dword v55, off, s[0:3], 0 offset:36
	v_mov_b32_e32 v56, 0
	buffer_store_dword v56, off, s[0:3], 0 offset:32
	buffer_store_dword v56, off, s[0:3], 0 offset:36
	s_waitcnt vmcnt(2)
	ds_write_b64 v1, v[54:55]
.LBB25_161:
	s_or_b64 exec, exec, s[4:5]
	s_waitcnt lgkmcnt(0)
	; wave barrier
	s_waitcnt lgkmcnt(0)
	buffer_load_dword v55, off, s[0:3], 0 offset:44
	buffer_load_dword v106, off, s[0:3], 0 offset:52
	;; [unrolled: 1-line block ×44, first 2 shown]
	v_mov_b32_e32 v54, 0
	ds_read2_b64 v[56:59], v54 offset0:31 offset1:32
	ds_read2_b64 v[60:63], v54 offset0:33 offset1:34
	;; [unrolled: 1-line block ×8, first 2 shown]
	v_cmp_lt_u32_e32 vcc, 3, v0
	s_waitcnt vmcnt(43) lgkmcnt(7)
	v_mul_f32_e32 v111, v56, v55
	v_mul_f32_e32 v55, v57, v55
	s_waitcnt vmcnt(42)
	v_mul_f32_e32 v134, v58, v106
	s_waitcnt vmcnt(41) lgkmcnt(6)
	v_mul_f32_e32 v135, v60, v108
	s_waitcnt vmcnt(40)
	v_mul_f32_e32 v136, v62, v110
	s_waitcnt vmcnt(39) lgkmcnt(5)
	;; [unrolled: 4-line block ×5, first 2 shown]
	v_mul_f32_e32 v143, v76, v118
	s_waitcnt vmcnt(32)
	v_mul_f32_e32 v107, v78, v119
	s_waitcnt vmcnt(30)
	v_fma_f32 v55, v56, v121, -v55
	v_mul_f32_e32 v56, v59, v106
	v_add_f32_e32 v55, 0, v55
	s_waitcnt vmcnt(29)
	v_fma_f32 v56, v58, v122, -v56
	v_add_f32_e32 v55, v55, v56
	v_mul_f32_e32 v56, v61, v108
	s_waitcnt vmcnt(28)
	v_fma_f32 v56, v60, v123, -v56
	v_add_f32_e32 v55, v55, v56
	v_mul_f32_e32 v56, v63, v110
	;; [unrolled: 4-line block ×4, first 2 shown]
	s_waitcnt vmcnt(25)
	v_fma_f32 v56, v66, v126, -v56
	v_fmac_f32_e32 v111, v57, v121
	v_add_f32_e32 v55, v55, v56
	v_mul_f32_e32 v56, v69, v114
	v_fmac_f32_e32 v134, v59, v122
	v_add_f32_e32 v57, 0, v111
	s_waitcnt vmcnt(24)
	v_fma_f32 v56, v68, v127, -v56
	v_fmac_f32_e32 v135, v61, v123
	v_add_f32_e32 v57, v57, v134
	v_add_f32_e32 v55, v55, v56
	v_mul_f32_e32 v56, v71, v115
	v_fmac_f32_e32 v136, v63, v124
	v_add_f32_e32 v57, v57, v135
	s_waitcnt vmcnt(23)
	v_fma_f32 v56, v70, v128, -v56
	v_fmac_f32_e32 v137, v65, v125
	v_add_f32_e32 v57, v57, v136
	;; [unrolled: 8-line block ×4, first 2 shown]
	v_add_f32_e32 v55, v55, v56
	v_mul_f32_e32 v56, v77, v118
	v_fmac_f32_e32 v142, v75, v130
	v_add_f32_e32 v57, v57, v141
	s_waitcnt vmcnt(20)
	v_fma_f32 v56, v76, v131, -v56
	s_waitcnt vmcnt(13)
	v_mov_b32_e32 v68, v93
	v_fmac_f32_e32 v143, v77, v131
	v_add_f32_e32 v57, v57, v142
	v_add_f32_e32 v110, v55, v56
	v_mul_f32_e32 v55, v79, v119
	s_waitcnt lgkmcnt(1)
	v_pk_mul_f32 v[68:69], v[82:83], v[68:69] op_sel_hi:[1,0]
	v_mul_f32_e32 v109, v80, v120
	v_fmac_f32_e32 v107, v79, v132
	v_add_f32_e32 v111, v57, v143
	v_fma_f32 v106, v78, v132, -v55
	v_mul_f32_e32 v55, v81, v120
	s_waitcnt vmcnt(12)
	v_pk_fma_f32 v[70:71], v[82:83], v[92:93], v[68:69] op_sel:[0,0,1] op_sel_hi:[1,1,0] neg_lo:[0,0,1] neg_hi:[0,0,1]
	v_pk_fma_f32 v[68:69], v[82:83], v[92:93], v[68:69] op_sel:[0,0,1] op_sel_hi:[1,0,0]
	v_fmac_f32_e32 v109, v81, v133
	v_fma_f32 v108, v80, v133, -v55
	v_pk_add_f32 v[66:67], v[110:111], v[106:107]
	v_mov_b32_e32 v68, v91
	v_pk_add_f32 v[66:67], v[66:67], v[108:109]
	v_mov_b32_e32 v71, v69
	s_waitcnt lgkmcnt(0)
	v_pk_mul_f32 v[68:69], v[84:85], v[68:69] op_sel_hi:[1,0]
	v_pk_add_f32 v[66:67], v[66:67], v[70:71]
	v_pk_fma_f32 v[70:71], v[84:85], v[90:91], v[68:69] op_sel:[0,0,1] op_sel_hi:[1,1,0] neg_lo:[0,0,1] neg_hi:[0,0,1]
	v_pk_fma_f32 v[68:69], v[84:85], v[90:91], v[68:69] op_sel:[0,0,1] op_sel_hi:[1,0,0]
	s_waitcnt vmcnt(5)
	v_mov_b32_e32 v68, v101
	ds_read2_b64 v[56:59], v54 offset0:47 offset1:48
	ds_read2_b64 v[60:63], v54 offset0:49 offset1:50
	ds_read_b64 v[64:65], v54 offset:408
	v_mov_b32_e32 v71, v69
	v_pk_mul_f32 v[68:69], v[86:87], v[68:69] op_sel_hi:[1,0]
	v_pk_add_f32 v[66:67], v[66:67], v[70:71]
	s_waitcnt vmcnt(4)
	v_pk_fma_f32 v[70:71], v[86:87], v[100:101], v[68:69] op_sel:[0,0,1] op_sel_hi:[1,1,0] neg_lo:[0,0,1] neg_hi:[0,0,1]
	v_pk_fma_f32 v[68:69], v[86:87], v[100:101], v[68:69] op_sel:[0,0,1] op_sel_hi:[1,0,0]
	v_mov_b32_e32 v68, v99
	v_mov_b32_e32 v71, v69
	s_waitcnt lgkmcnt(2)
	v_pk_mul_f32 v[68:69], v[56:57], v[68:69] op_sel_hi:[1,0]
	v_pk_add_f32 v[66:67], v[66:67], v[70:71]
	v_pk_fma_f32 v[70:71], v[56:57], v[98:99], v[68:69] op_sel:[0,0,1] op_sel_hi:[1,1,0] neg_lo:[0,0,1] neg_hi:[0,0,1]
	v_pk_fma_f32 v[56:57], v[56:57], v[98:99], v[68:69] op_sel:[0,0,1] op_sel_hi:[1,0,0]
	v_mov_b32_e32 v71, v57
	v_pk_add_f32 v[56:57], v[66:67], v[70:71]
	v_mov_b32_e32 v66, v97
	v_pk_mul_f32 v[66:67], v[58:59], v[66:67] op_sel_hi:[1,0]
	v_pk_fma_f32 v[68:69], v[58:59], v[96:97], v[66:67] op_sel:[0,0,1] op_sel_hi:[1,1,0] neg_lo:[0,0,1] neg_hi:[0,0,1]
	v_pk_fma_f32 v[58:59], v[58:59], v[96:97], v[66:67] op_sel:[0,0,1] op_sel_hi:[1,0,0]
	v_mov_b32_e32 v58, v95
	v_mov_b32_e32 v69, v59
	s_waitcnt lgkmcnt(1)
	v_pk_mul_f32 v[58:59], v[60:61], v[58:59] op_sel_hi:[1,0]
	v_pk_fma_f32 v[66:67], v[60:61], v[94:95], v[58:59] op_sel:[0,0,1] op_sel_hi:[1,1,0] neg_lo:[0,0,1] neg_hi:[0,0,1]
	v_pk_fma_f32 v[58:59], v[60:61], v[94:95], v[58:59] op_sel:[0,0,1] op_sel_hi:[1,0,0]
	s_waitcnt vmcnt(1)
	v_mov_b32_e32 v58, v105
	v_mov_b32_e32 v67, v59
	v_pk_mul_f32 v[58:59], v[62:63], v[58:59] op_sel_hi:[1,0]
	s_waitcnt vmcnt(0)
	v_pk_fma_f32 v[60:61], v[62:63], v[104:105], v[58:59] op_sel:[0,0,1] op_sel_hi:[1,1,0] neg_lo:[0,0,1] neg_hi:[0,0,1]
	v_pk_fma_f32 v[58:59], v[62:63], v[104:105], v[58:59] op_sel:[0,0,1] op_sel_hi:[1,0,0]
	v_pk_add_f32 v[56:57], v[56:57], v[68:69]
	v_mov_b32_e32 v58, v103
	v_pk_add_f32 v[56:57], v[56:57], v[66:67]
	v_mov_b32_e32 v61, v59
	s_waitcnt lgkmcnt(0)
	v_pk_mul_f32 v[58:59], v[64:65], v[58:59] op_sel_hi:[1,0]
	v_pk_add_f32 v[56:57], v[56:57], v[60:61]
	v_pk_fma_f32 v[60:61], v[64:65], v[102:103], v[58:59] op_sel:[0,0,1] op_sel_hi:[1,1,0] neg_lo:[0,0,1] neg_hi:[0,0,1]
	v_pk_fma_f32 v[58:59], v[64:65], v[102:103], v[58:59] op_sel:[0,0,1] op_sel_hi:[1,0,0]
	v_mov_b32_e32 v61, v59
	v_pk_add_f32 v[56:57], v[56:57], v[60:61]
	v_pk_add_f32 v[56:57], v[88:89], v[56:57] neg_lo:[0,1] neg_hi:[0,1]
	buffer_store_dword v57, off, s[0:3], 0 offset:36
	buffer_store_dword v56, off, s[0:3], 0 offset:32
	s_and_saveexec_b64 s[4:5], vcc
	s_cbranch_execz .LBB25_163
; %bb.162:
	buffer_load_dword v56, off, s[0:3], 0 offset:24
	buffer_load_dword v57, off, s[0:3], 0 offset:28
	s_waitcnt vmcnt(0)
	ds_write_b64 v1, v[56:57]
	buffer_store_dword v54, off, s[0:3], 0 offset:24
	buffer_store_dword v54, off, s[0:3], 0 offset:28
.LBB25_163:
	s_or_b64 exec, exec, s[4:5]
	s_waitcnt lgkmcnt(0)
	; wave barrier
	s_waitcnt lgkmcnt(0)
	buffer_load_dword v55, off, s[0:3], 0 offset:36
	buffer_load_dword v106, off, s[0:3], 0 offset:44
	;; [unrolled: 1-line block ×30, first 2 shown]
	ds_read_b128 v[56:59], v54 offset:240
	ds_read_b128 v[60:63], v54 offset:256
	;; [unrolled: 1-line block ×6, first 2 shown]
	buffer_load_dword v91, off, s[0:3], 0 offset:148
	buffer_load_dword v90, off, s[0:3], 0 offset:144
	ds_read_b128 v[80:83], v54 offset:336
	ds_read_b128 v[84:87], v54 offset:352
	buffer_load_dword v93, off, s[0:3], 0 offset:180
	buffer_load_dword v92, off, s[0:3], 0 offset:176
	;; [unrolled: 1-line block ×14, first 2 shown]
	v_cmp_lt_u32_e32 vcc, 2, v0
	s_waitcnt vmcnt(45) lgkmcnt(7)
	v_mul_f32_e32 v109, v56, v55
	v_mul_f32_e32 v55, v57, v55
	s_waitcnt vmcnt(44)
	v_mul_f32_e32 v111, v58, v106
	s_waitcnt vmcnt(43) lgkmcnt(6)
	v_mul_f32_e32 v136, v60, v108
	s_waitcnt vmcnt(42)
	v_mul_f32_e32 v137, v62, v110
	s_waitcnt vmcnt(41) lgkmcnt(5)
	v_mul_f32_e32 v138, v64, v112
	s_waitcnt vmcnt(40)
	v_mul_f32_e32 v139, v66, v113
	s_waitcnt vmcnt(39) lgkmcnt(4)
	v_mul_f32_e32 v140, v68, v114
	s_waitcnt vmcnt(38)
	v_mul_f32_e32 v141, v70, v115
	s_waitcnt vmcnt(37) lgkmcnt(3)
	v_mul_f32_e32 v142, v72, v116
	s_waitcnt vmcnt(36)
	v_mul_f32_e32 v143, v74, v117
	s_waitcnt vmcnt(35) lgkmcnt(2)
	v_mul_f32_e32 v144, v76, v118
	s_waitcnt vmcnt(34)
	v_mul_f32_e32 v145, v78, v119
	s_waitcnt vmcnt(32)
	v_fma_f32 v55, v56, v121, -v55
	v_mul_f32_e32 v56, v59, v106
	v_add_f32_e32 v55, 0, v55
	s_waitcnt vmcnt(31)
	v_fma_f32 v56, v58, v122, -v56
	v_add_f32_e32 v55, v55, v56
	v_mul_f32_e32 v56, v61, v108
	s_waitcnt vmcnt(30)
	v_fma_f32 v56, v60, v123, -v56
	v_add_f32_e32 v55, v55, v56
	v_mul_f32_e32 v56, v63, v110
	;; [unrolled: 4-line block ×5, first 2 shown]
	v_fmac_f32_e32 v109, v57, v121
	s_waitcnt vmcnt(26)
	v_fma_f32 v56, v68, v127, -v56
	v_fmac_f32_e32 v111, v59, v122
	v_add_f32_e32 v109, 0, v109
	v_add_f32_e32 v55, v55, v56
	v_mul_f32_e32 v56, v71, v115
	v_fmac_f32_e32 v136, v61, v123
	v_add_f32_e32 v109, v109, v111
	s_waitcnt vmcnt(25)
	v_fma_f32 v56, v70, v128, -v56
	v_fmac_f32_e32 v137, v63, v124
	v_add_f32_e32 v109, v109, v136
	v_add_f32_e32 v55, v55, v56
	v_mul_f32_e32 v56, v73, v116
	v_fmac_f32_e32 v138, v65, v125
	v_add_f32_e32 v109, v109, v137
	;; [unrolled: 8-line block ×5, first 2 shown]
	s_waitcnt vmcnt(21)
	v_fma_f32 v56, v78, v132, -v56
	s_waitcnt vmcnt(15)
	v_mov_b32_e32 v68, v91
	s_waitcnt lgkmcnt(1)
	v_mul_f32_e32 v107, v80, v120
	v_fmac_f32_e32 v145, v79, v132
	v_add_f32_e32 v109, v109, v144
	v_add_f32_e32 v108, v55, v56
	v_mul_f32_e32 v55, v81, v120
	s_waitcnt lgkmcnt(0)
	v_pk_mul_f32 v[68:69], v[84:85], v[68:69] op_sel_hi:[1,0]
	v_fmac_f32_e32 v107, v81, v133
	v_add_f32_e32 v109, v109, v145
	v_mul_f32_e32 v111, v82, v134
	v_fma_f32 v106, v80, v133, -v55
	v_mul_f32_e32 v55, v83, v134
	s_waitcnt vmcnt(14)
	v_pk_fma_f32 v[70:71], v[84:85], v[90:91], v[68:69] op_sel:[0,0,1] op_sel_hi:[1,1,0] neg_lo:[0,0,1] neg_hi:[0,0,1]
	v_pk_fma_f32 v[68:69], v[84:85], v[90:91], v[68:69] op_sel:[0,0,1] op_sel_hi:[1,0,0]
	v_fmac_f32_e32 v111, v83, v135
	v_fma_f32 v110, v82, v135, -v55
	ds_read_b128 v[56:59], v54 offset:368
	ds_read_b128 v[60:63], v54 offset:384
	;; [unrolled: 1-line block ×3, first 2 shown]
	v_pk_add_f32 v[54:55], v[108:109], v[106:107]
	s_waitcnt vmcnt(7)
	v_mov_b32_e32 v68, v99
	v_pk_add_f32 v[54:55], v[54:55], v[110:111]
	v_mov_b32_e32 v71, v69
	v_pk_mul_f32 v[68:69], v[86:87], v[68:69] op_sel_hi:[1,0]
	v_pk_add_f32 v[54:55], v[54:55], v[70:71]
	s_waitcnt vmcnt(6)
	v_pk_fma_f32 v[70:71], v[86:87], v[98:99], v[68:69] op_sel:[0,0,1] op_sel_hi:[1,1,0] neg_lo:[0,0,1] neg_hi:[0,0,1]
	v_pk_fma_f32 v[68:69], v[86:87], v[98:99], v[68:69] op_sel:[0,0,1] op_sel_hi:[1,0,0]
	v_mov_b32_e32 v68, v97
	v_mov_b32_e32 v71, v69
	s_waitcnt lgkmcnt(2)
	v_pk_mul_f32 v[68:69], v[56:57], v[68:69] op_sel_hi:[1,0]
	v_pk_add_f32 v[54:55], v[54:55], v[70:71]
	v_pk_fma_f32 v[70:71], v[56:57], v[96:97], v[68:69] op_sel:[0,0,1] op_sel_hi:[1,1,0] neg_lo:[0,0,1] neg_hi:[0,0,1]
	v_pk_fma_f32 v[56:57], v[56:57], v[96:97], v[68:69] op_sel:[0,0,1] op_sel_hi:[1,0,0]
	v_mov_b32_e32 v56, v95
	v_mov_b32_e32 v71, v57
	v_pk_mul_f32 v[56:57], v[58:59], v[56:57] op_sel_hi:[1,0]
	v_pk_fma_f32 v[68:69], v[58:59], v[94:95], v[56:57] op_sel:[0,0,1] op_sel_hi:[1,1,0] neg_lo:[0,0,1] neg_hi:[0,0,1]
	v_pk_fma_f32 v[56:57], v[58:59], v[94:95], v[56:57] op_sel:[0,0,1] op_sel_hi:[1,0,0]
	v_mov_b32_e32 v56, v93
	v_mov_b32_e32 v69, v57
	s_waitcnt lgkmcnt(1)
	v_pk_mul_f32 v[56:57], v[60:61], v[56:57] op_sel_hi:[1,0]
	v_pk_fma_f32 v[58:59], v[60:61], v[92:93], v[56:57] op_sel:[0,0,1] op_sel_hi:[1,1,0] neg_lo:[0,0,1] neg_hi:[0,0,1]
	v_pk_fma_f32 v[56:57], v[60:61], v[92:93], v[56:57] op_sel:[0,0,1] op_sel_hi:[1,0,0]
	v_pk_add_f32 v[54:55], v[54:55], v[70:71]
	s_waitcnt vmcnt(1)
	v_mov_b32_e32 v56, v105
	v_pk_add_f32 v[54:55], v[54:55], v[68:69]
	v_mov_b32_e32 v59, v57
	v_pk_mul_f32 v[56:57], v[62:63], v[56:57] op_sel_hi:[1,0]
	v_pk_add_f32 v[54:55], v[54:55], v[58:59]
	s_waitcnt vmcnt(0)
	v_pk_fma_f32 v[58:59], v[62:63], v[104:105], v[56:57] op_sel:[0,0,1] op_sel_hi:[1,1,0] neg_lo:[0,0,1] neg_hi:[0,0,1]
	v_pk_fma_f32 v[56:57], v[62:63], v[104:105], v[56:57] op_sel:[0,0,1] op_sel_hi:[1,0,0]
	v_mov_b32_e32 v56, v103
	v_mov_b32_e32 v59, v57
	s_waitcnt lgkmcnt(0)
	v_pk_mul_f32 v[56:57], v[64:65], v[56:57] op_sel_hi:[1,0]
	v_pk_add_f32 v[54:55], v[54:55], v[58:59]
	v_pk_fma_f32 v[58:59], v[64:65], v[102:103], v[56:57] op_sel:[0,0,1] op_sel_hi:[1,1,0] neg_lo:[0,0,1] neg_hi:[0,0,1]
	v_pk_fma_f32 v[56:57], v[64:65], v[102:103], v[56:57] op_sel:[0,0,1] op_sel_hi:[1,0,0]
	v_mov_b32_e32 v56, v101
	v_mov_b32_e32 v59, v57
	v_pk_mul_f32 v[56:57], v[66:67], v[56:57] op_sel_hi:[1,0]
	v_pk_add_f32 v[54:55], v[54:55], v[58:59]
	v_pk_fma_f32 v[58:59], v[66:67], v[100:101], v[56:57] op_sel:[0,0,1] op_sel_hi:[1,1,0] neg_lo:[0,0,1] neg_hi:[0,0,1]
	v_pk_fma_f32 v[56:57], v[66:67], v[100:101], v[56:57] op_sel:[0,0,1] op_sel_hi:[1,0,0]
	v_mov_b32_e32 v59, v57
	v_pk_add_f32 v[54:55], v[54:55], v[58:59]
	v_pk_add_f32 v[54:55], v[88:89], v[54:55] neg_lo:[0,1] neg_hi:[0,1]
	buffer_store_dword v55, off, s[0:3], 0 offset:28
	buffer_store_dword v54, off, s[0:3], 0 offset:24
	s_and_saveexec_b64 s[4:5], vcc
	s_cbranch_execz .LBB25_165
; %bb.164:
	buffer_load_dword v54, off, s[0:3], 0 offset:16
	buffer_load_dword v55, off, s[0:3], 0 offset:20
	v_mov_b32_e32 v56, 0
	buffer_store_dword v56, off, s[0:3], 0 offset:16
	buffer_store_dword v56, off, s[0:3], 0 offset:20
	s_waitcnt vmcnt(2)
	ds_write_b64 v1, v[54:55]
.LBB25_165:
	s_or_b64 exec, exec, s[4:5]
	s_waitcnt lgkmcnt(0)
	; wave barrier
	s_waitcnt lgkmcnt(0)
	buffer_load_dword v55, off, s[0:3], 0 offset:28
	buffer_load_dword v104, off, s[0:3], 0 offset:36
	;; [unrolled: 1-line block ×32, first 2 shown]
	v_mov_b32_e32 v54, 0
	buffer_load_dword v91, off, s[0:3], 0 offset:172
	buffer_load_dword v90, off, s[0:3], 0 offset:168
	;; [unrolled: 1-line block ×13, first 2 shown]
	ds_read2_b64 v[56:59], v54 offset0:29 offset1:30
	ds_read2_b64 v[60:63], v54 offset0:31 offset1:32
	;; [unrolled: 1-line block ×8, first 2 shown]
	v_cmp_lt_u32_e32 vcc, 1, v0
	s_waitcnt vmcnt(44) lgkmcnt(7)
	v_mul_f32_e32 v98, v56, v55
	s_waitcnt vmcnt(43)
	v_mul_f32_e32 v105, v58, v104
	s_waitcnt vmcnt(42) lgkmcnt(6)
	v_mul_f32_e32 v106, v60, v108
	s_waitcnt vmcnt(41)
	v_mul_f32_e32 v107, v62, v110
	s_waitcnt vmcnt(40) lgkmcnt(5)
	v_mul_f32_e32 v109, v64, v112
	s_waitcnt vmcnt(39)
	v_mul_f32_e32 v111, v66, v113
	s_waitcnt vmcnt(38) lgkmcnt(4)
	v_mul_f32_e32 v138, v68, v114
	s_waitcnt vmcnt(37)
	v_mul_f32_e32 v139, v70, v115
	s_waitcnt vmcnt(36) lgkmcnt(3)
	v_mul_f32_e32 v140, v72, v116
	s_waitcnt vmcnt(35)
	v_mul_f32_e32 v141, v74, v117
	s_waitcnt vmcnt(34) lgkmcnt(2)
	v_mul_f32_e32 v142, v76, v118
	s_waitcnt vmcnt(33)
	v_mul_f32_e32 v143, v78, v119
	s_waitcnt vmcnt(32) lgkmcnt(1)
	v_mul_f32_e32 v144, v80, v120
	s_waitcnt vmcnt(31)
	v_fmac_f32_e32 v98, v57, v121
	s_waitcnt vmcnt(30)
	v_fmac_f32_e32 v105, v59, v122
	v_add_f32_e32 v98, 0, v98
	s_waitcnt vmcnt(29)
	v_fmac_f32_e32 v106, v61, v123
	v_add_f32_e32 v98, v98, v105
	s_waitcnt vmcnt(28)
	v_fmac_f32_e32 v107, v63, v124
	v_add_f32_e32 v98, v98, v106
	s_waitcnt vmcnt(27)
	v_fmac_f32_e32 v109, v65, v125
	v_add_f32_e32 v98, v98, v107
	s_waitcnt vmcnt(26)
	v_fmac_f32_e32 v111, v67, v126
	v_add_f32_e32 v98, v98, v109
	s_waitcnt vmcnt(25)
	v_fmac_f32_e32 v138, v69, v127
	v_add_f32_e32 v98, v98, v111
	s_waitcnt vmcnt(24)
	v_fmac_f32_e32 v139, v71, v128
	v_add_f32_e32 v98, v98, v138
	s_waitcnt vmcnt(23)
	v_fmac_f32_e32 v140, v73, v129
	v_add_f32_e32 v98, v98, v139
	s_waitcnt vmcnt(22)
	v_fmac_f32_e32 v141, v75, v130
	v_add_f32_e32 v98, v98, v140
	s_waitcnt vmcnt(21)
	v_fmac_f32_e32 v142, v77, v131
	v_add_f32_e32 v98, v98, v141
	s_waitcnt vmcnt(20)
	v_fmac_f32_e32 v143, v79, v132
	v_add_f32_e32 v98, v98, v142
	s_waitcnt vmcnt(19)
	v_fmac_f32_e32 v144, v81, v133
	v_add_f32_e32 v98, v98, v143
	v_add_f32_e32 v105, v98, v144
	buffer_load_dword v107, off, s[0:3], 0 offset:188
	buffer_load_dword v106, off, s[0:3], 0 offset:184
	;; [unrolled: 1-line block ×3, first 2 shown]
	v_mul_f32_e32 v55, v57, v55
	v_fma_f32 v55, v56, v121, -v55
	v_mul_f32_e32 v56, v59, v104
	v_add_f32_e32 v55, 0, v55
	v_fma_f32 v56, v58, v122, -v56
	v_add_f32_e32 v55, v55, v56
	v_mul_f32_e32 v56, v61, v108
	v_fma_f32 v56, v60, v123, -v56
	v_add_f32_e32 v55, v55, v56
	v_mul_f32_e32 v56, v63, v110
	;; [unrolled: 3-line block ×11, first 2 shown]
	v_fma_f32 v56, v80, v133, -v56
	s_waitcnt vmcnt(9)
	v_mov_b32_e32 v72, v97
	v_mul_f32_e32 v109, v82, v134
	v_add_f32_e32 v104, v55, v56
	v_mul_f32_e32 v55, v83, v134
	s_waitcnt lgkmcnt(0)
	v_pk_mul_f32 v[72:73], v[86:87], v[72:73] op_sel_hi:[1,0]
	v_fmac_f32_e32 v109, v83, v135
	v_mul_f32_e32 v111, v84, v136
	v_fma_f32 v108, v82, v135, -v55
	v_mul_f32_e32 v55, v85, v136
	ds_read2_b64 v[56:59], v54 offset0:45 offset1:46
	ds_read2_b64 v[60:63], v54 offset0:47 offset1:48
	;; [unrolled: 1-line block ×3, first 2 shown]
	ds_read_b64 v[68:69], v54 offset:408
	s_waitcnt vmcnt(8)
	v_pk_fma_f32 v[74:75], v[86:87], v[96:97], v[72:73] op_sel:[0,0,1] op_sel_hi:[1,1,0] neg_lo:[0,0,1] neg_hi:[0,0,1]
	v_pk_fma_f32 v[72:73], v[86:87], v[96:97], v[72:73] op_sel:[0,0,1] op_sel_hi:[1,0,0]
	v_fmac_f32_e32 v111, v85, v137
	v_fma_f32 v110, v84, v137, -v55
	v_pk_add_f32 v[70:71], v[104:105], v[108:109]
	v_mov_b32_e32 v72, v95
	v_pk_add_f32 v[70:71], v[70:71], v[110:111]
	v_mov_b32_e32 v75, v73
	s_waitcnt lgkmcnt(3)
	v_pk_mul_f32 v[72:73], v[56:57], v[72:73] op_sel_hi:[1,0]
	v_pk_add_f32 v[70:71], v[70:71], v[74:75]
	v_pk_fma_f32 v[74:75], v[56:57], v[94:95], v[72:73] op_sel:[0,0,1] op_sel_hi:[1,1,0] neg_lo:[0,0,1] neg_hi:[0,0,1]
	v_pk_fma_f32 v[56:57], v[56:57], v[94:95], v[72:73] op_sel:[0,0,1] op_sel_hi:[1,0,0]
	v_mov_b32_e32 v75, v57
	v_pk_add_f32 v[56:57], v[70:71], v[74:75]
	v_mov_b32_e32 v70, v93
	v_pk_mul_f32 v[70:71], v[58:59], v[70:71] op_sel_hi:[1,0]
	v_pk_fma_f32 v[72:73], v[58:59], v[92:93], v[70:71] op_sel:[0,0,1] op_sel_hi:[1,1,0] neg_lo:[0,0,1] neg_hi:[0,0,1]
	v_pk_fma_f32 v[58:59], v[58:59], v[92:93], v[70:71] op_sel:[0,0,1] op_sel_hi:[1,0,0]
	v_mov_b32_e32 v58, v91
	v_mov_b32_e32 v73, v59
	s_waitcnt lgkmcnt(2)
	v_pk_mul_f32 v[58:59], v[60:61], v[58:59] op_sel_hi:[1,0]
	v_pk_fma_f32 v[70:71], v[60:61], v[90:91], v[58:59] op_sel:[0,0,1] op_sel_hi:[1,1,0] neg_lo:[0,0,1] neg_hi:[0,0,1]
	v_pk_fma_f32 v[58:59], v[60:61], v[90:91], v[58:59] op_sel:[0,0,1] op_sel_hi:[1,0,0]
	s_waitcnt vmcnt(7)
	v_mov_b32_e32 v58, v99
	v_mov_b32_e32 v71, v59
	v_pk_mul_f32 v[58:59], v[62:63], v[58:59] op_sel_hi:[1,0]
	v_pk_add_f32 v[56:57], v[56:57], v[72:73]
	v_pk_add_f32 v[56:57], v[56:57], v[70:71]
	s_waitcnt vmcnt(0)
	v_pk_fma_f32 v[60:61], v[62:63], v[98:99], v[58:59] op_sel:[0,0,1] op_sel_hi:[1,1,0] neg_lo:[0,0,1] neg_hi:[0,0,1]
	v_pk_fma_f32 v[58:59], v[62:63], v[98:99], v[58:59] op_sel:[0,0,1] op_sel_hi:[1,0,0]
	v_mov_b32_e32 v58, v107
	v_mov_b32_e32 v61, v59
	s_waitcnt lgkmcnt(1)
	v_pk_mul_f32 v[58:59], v[64:65], v[58:59] op_sel_hi:[1,0]
	v_pk_add_f32 v[56:57], v[56:57], v[60:61]
	v_pk_fma_f32 v[60:61], v[64:65], v[106:107], v[58:59] op_sel:[0,0,1] op_sel_hi:[1,1,0] neg_lo:[0,0,1] neg_hi:[0,0,1]
	v_pk_fma_f32 v[58:59], v[64:65], v[106:107], v[58:59] op_sel:[0,0,1] op_sel_hi:[1,0,0]
	v_mov_b32_e32 v58, v103
	v_mov_b32_e32 v61, v59
	v_pk_mul_f32 v[58:59], v[66:67], v[58:59] op_sel_hi:[1,0]
	v_pk_add_f32 v[56:57], v[56:57], v[60:61]
	v_pk_fma_f32 v[60:61], v[66:67], v[102:103], v[58:59] op_sel:[0,0,1] op_sel_hi:[1,1,0] neg_lo:[0,0,1] neg_hi:[0,0,1]
	v_pk_fma_f32 v[58:59], v[66:67], v[102:103], v[58:59] op_sel:[0,0,1] op_sel_hi:[1,0,0]
	v_mov_b32_e32 v58, v101
	v_mov_b32_e32 v61, v59
	s_waitcnt lgkmcnt(0)
	v_pk_mul_f32 v[58:59], v[68:69], v[58:59] op_sel_hi:[1,0]
	v_pk_add_f32 v[56:57], v[56:57], v[60:61]
	v_pk_fma_f32 v[60:61], v[68:69], v[100:101], v[58:59] op_sel:[0,0,1] op_sel_hi:[1,1,0] neg_lo:[0,0,1] neg_hi:[0,0,1]
	v_pk_fma_f32 v[58:59], v[68:69], v[100:101], v[58:59] op_sel:[0,0,1] op_sel_hi:[1,0,0]
	v_mov_b32_e32 v61, v59
	v_pk_add_f32 v[56:57], v[56:57], v[60:61]
	v_pk_add_f32 v[56:57], v[88:89], v[56:57] neg_lo:[0,1] neg_hi:[0,1]
	buffer_store_dword v57, off, s[0:3], 0 offset:20
	buffer_store_dword v56, off, s[0:3], 0 offset:16
	s_and_saveexec_b64 s[4:5], vcc
	s_cbranch_execz .LBB25_167
; %bb.166:
	buffer_load_dword v56, off, s[0:3], 0 offset:8
	buffer_load_dword v57, off, s[0:3], 0 offset:12
	s_waitcnt vmcnt(0)
	ds_write_b64 v1, v[56:57]
	buffer_store_dword v54, off, s[0:3], 0 offset:8
	buffer_store_dword v54, off, s[0:3], 0 offset:12
.LBB25_167:
	s_or_b64 exec, exec, s[4:5]
	s_waitcnt lgkmcnt(0)
	; wave barrier
	s_waitcnt lgkmcnt(0)
	buffer_load_dword v55, off, s[0:3], 0 offset:20
	buffer_load_dword v104, off, s[0:3], 0 offset:28
	buffer_load_dword v106, off, s[0:3], 0 offset:36
	buffer_load_dword v108, off, s[0:3], 0 offset:44
	buffer_load_dword v112, off, s[0:3], 0 offset:52
	buffer_load_dword v113, off, s[0:3], 0 offset:60
	buffer_load_dword v114, off, s[0:3], 0 offset:68
	buffer_load_dword v115, off, s[0:3], 0 offset:76
	buffer_load_dword v116, off, s[0:3], 0 offset:84
	buffer_load_dword v117, off, s[0:3], 0 offset:92
	buffer_load_dword v118, off, s[0:3], 0 offset:100
	buffer_load_dword v119, off, s[0:3], 0 offset:108
	buffer_load_dword v120, off, s[0:3], 0 offset:116
	buffer_load_dword v121, off, s[0:3], 0 offset:124
	buffer_load_dword v122, off, s[0:3], 0 offset:16
	buffer_load_dword v123, off, s[0:3], 0 offset:24
	buffer_load_dword v124, off, s[0:3], 0 offset:32
	buffer_load_dword v125, off, s[0:3], 0 offset:40
	buffer_load_dword v126, off, s[0:3], 0 offset:48
	buffer_load_dword v127, off, s[0:3], 0 offset:56
	buffer_load_dword v128, off, s[0:3], 0 offset:64
	buffer_load_dword v129, off, s[0:3], 0 offset:72
	buffer_load_dword v130, off, s[0:3], 0 offset:80
	buffer_load_dword v131, off, s[0:3], 0 offset:88
	buffer_load_dword v132, off, s[0:3], 0 offset:96
	buffer_load_dword v133, off, s[0:3], 0 offset:104
	buffer_load_dword v134, off, s[0:3], 0 offset:112
	buffer_load_dword v135, off, s[0:3], 0 offset:120
	buffer_load_dword v136, off, s[0:3], 0 offset:132
	buffer_load_dword v137, off, s[0:3], 0 offset:128
	buffer_load_dword v138, off, s[0:3], 0 offset:140
	buffer_load_dword v139, off, s[0:3], 0 offset:136
	buffer_load_dword v88, off, s[0:3], 0 offset:8
	buffer_load_dword v89, off, s[0:3], 0 offset:12
	ds_read_b128 v[56:59], v54 offset:224
	ds_read_b128 v[60:63], v54 offset:240
	;; [unrolled: 1-line block ×8, first 2 shown]
	buffer_load_dword v91, off, s[0:3], 0 offset:164
	buffer_load_dword v90, off, s[0:3], 0 offset:160
	;; [unrolled: 1-line block ×9, first 2 shown]
	v_cmp_ne_u32_e32 vcc, 0, v0
	s_waitcnt vmcnt(42) lgkmcnt(7)
	v_mul_f32_e32 v96, v56, v55
	s_waitcnt vmcnt(41)
	v_mul_f32_e32 v100, v58, v104
	s_waitcnt vmcnt(40) lgkmcnt(6)
	v_mul_f32_e32 v101, v60, v106
	s_waitcnt vmcnt(39)
	v_mul_f32_e32 v102, v62, v108
	;; [unrolled: 4-line block ×6, first 2 shown]
	s_waitcnt vmcnt(30) lgkmcnt(1)
	v_mul_f32_e32 v142, v80, v120
	v_mul_f32_e32 v55, v57, v55
	s_waitcnt vmcnt(28)
	v_fmac_f32_e32 v96, v57, v122
	s_waitcnt vmcnt(27)
	v_fmac_f32_e32 v100, v59, v123
	v_add_f32_e32 v96, 0, v96
	s_waitcnt vmcnt(26)
	v_fmac_f32_e32 v101, v61, v124
	v_add_f32_e32 v96, v96, v100
	;; [unrolled: 3-line block ×12, first 2 shown]
	v_add_f32_e32 v105, v96, v142
	buffer_load_dword v101, off, s[0:3], 0 offset:188
	buffer_load_dword v100, off, s[0:3], 0 offset:184
	;; [unrolled: 1-line block ×7, first 2 shown]
	v_fma_f32 v55, v56, v122, -v55
	v_mul_f32_e32 v56, v59, v104
	v_add_f32_e32 v55, 0, v55
	v_fma_f32 v56, v58, v123, -v56
	v_add_f32_e32 v55, v55, v56
	v_mul_f32_e32 v56, v61, v106
	v_fma_f32 v56, v60, v124, -v56
	v_add_f32_e32 v55, v55, v56
	v_mul_f32_e32 v56, v63, v108
	;; [unrolled: 3-line block ×12, first 2 shown]
	s_waitcnt vmcnt(22)
	v_fma_f32 v56, v82, v135, -v56
	v_add_f32_e32 v104, v55, v56
	ds_read_b128 v[56:59], v54 offset:352
	ds_read_b128 v[60:63], v54 offset:368
	;; [unrolled: 1-line block ×4, first 2 shown]
	s_waitcnt vmcnt(11)
	v_mov_b32_e32 v72, v95
	s_waitcnt lgkmcnt(3)
	v_pk_mul_f32 v[72:73], v[56:57], v[72:73] op_sel_hi:[1,0]
	s_waitcnt vmcnt(10)
	v_pk_fma_f32 v[74:75], v[56:57], v[94:95], v[72:73] op_sel:[0,0,1] op_sel_hi:[1,1,0] neg_lo:[0,0,1] neg_hi:[0,0,1]
	v_pk_fma_f32 v[56:57], v[56:57], v[94:95], v[72:73] op_sel:[0,0,1] op_sel_hi:[1,0,0]
	v_mov_b32_e32 v56, v93
	v_mul_f32_e32 v143, v82, v121
	v_mov_b32_e32 v75, v57
	v_pk_mul_f32 v[56:57], v[58:59], v[56:57] op_sel_hi:[1,0]
	v_fmac_f32_e32 v143, v83, v135
	v_mul_f32_e32 v107, v84, v136
	v_mul_f32_e32 v55, v85, v136
	v_pk_fma_f32 v[72:73], v[58:59], v[92:93], v[56:57] op_sel:[0,0,1] op_sel_hi:[1,1,0] neg_lo:[0,0,1] neg_hi:[0,0,1]
	v_pk_fma_f32 v[56:57], v[58:59], v[92:93], v[56:57] op_sel:[0,0,1] op_sel_hi:[1,0,0]
	v_add_f32_e32 v105, v105, v143
	v_fmac_f32_e32 v107, v85, v137
	v_mul_f32_e32 v109, v86, v138
	v_fma_f32 v106, v84, v137, -v55
	v_mul_f32_e32 v55, v87, v138
	v_mov_b32_e32 v56, v91
	v_fmac_f32_e32 v109, v87, v139
	v_fma_f32 v108, v86, v139, -v55
	v_pk_add_f32 v[54:55], v[104:105], v[106:107]
	v_mov_b32_e32 v73, v57
	s_waitcnt lgkmcnt(2)
	v_pk_mul_f32 v[56:57], v[60:61], v[56:57] op_sel_hi:[1,0]
	v_pk_add_f32 v[54:55], v[54:55], v[108:109]
	v_pk_fma_f32 v[58:59], v[60:61], v[90:91], v[56:57] op_sel:[0,0,1] op_sel_hi:[1,1,0] neg_lo:[0,0,1] neg_hi:[0,0,1]
	v_pk_fma_f32 v[56:57], v[60:61], v[90:91], v[56:57] op_sel:[0,0,1] op_sel_hi:[1,0,0]
	v_pk_add_f32 v[54:55], v[54:55], v[74:75]
	s_waitcnt vmcnt(9)
	v_mov_b32_e32 v56, v97
	v_pk_add_f32 v[54:55], v[54:55], v[72:73]
	v_mov_b32_e32 v59, v57
	v_pk_mul_f32 v[56:57], v[62:63], v[56:57] op_sel_hi:[1,0]
	v_pk_add_f32 v[54:55], v[54:55], v[58:59]
	s_waitcnt vmcnt(2)
	v_pk_fma_f32 v[58:59], v[62:63], v[96:97], v[56:57] op_sel:[0,0,1] op_sel_hi:[1,1,0] neg_lo:[0,0,1] neg_hi:[0,0,1]
	v_pk_fma_f32 v[56:57], v[62:63], v[96:97], v[56:57] op_sel:[0,0,1] op_sel_hi:[1,0,0]
	v_mov_b32_e32 v56, v103
	v_mov_b32_e32 v59, v57
	s_waitcnt lgkmcnt(1)
	v_pk_mul_f32 v[56:57], v[64:65], v[56:57] op_sel_hi:[1,0]
	v_pk_add_f32 v[54:55], v[54:55], v[58:59]
	v_pk_fma_f32 v[58:59], v[64:65], v[102:103], v[56:57] op_sel:[0,0,1] op_sel_hi:[1,1,0] neg_lo:[0,0,1] neg_hi:[0,0,1]
	v_pk_fma_f32 v[56:57], v[64:65], v[102:103], v[56:57] op_sel:[0,0,1] op_sel_hi:[1,0,0]
	v_mov_b32_e32 v56, v101
	v_mov_b32_e32 v59, v57
	v_pk_mul_f32 v[56:57], v[66:67], v[56:57] op_sel_hi:[1,0]
	v_pk_add_f32 v[54:55], v[54:55], v[58:59]
	v_pk_fma_f32 v[58:59], v[66:67], v[100:101], v[56:57] op_sel:[0,0,1] op_sel_hi:[1,1,0] neg_lo:[0,0,1] neg_hi:[0,0,1]
	v_pk_fma_f32 v[56:57], v[66:67], v[100:101], v[56:57] op_sel:[0,0,1] op_sel_hi:[1,0,0]
	v_mov_b32_e32 v56, v99
	v_mov_b32_e32 v59, v57
	s_waitcnt lgkmcnt(0)
	v_pk_mul_f32 v[56:57], v[68:69], v[56:57] op_sel_hi:[1,0]
	v_pk_add_f32 v[54:55], v[54:55], v[58:59]
	v_pk_fma_f32 v[58:59], v[68:69], v[98:99], v[56:57] op_sel:[0,0,1] op_sel_hi:[1,1,0] neg_lo:[0,0,1] neg_hi:[0,0,1]
	v_pk_fma_f32 v[56:57], v[68:69], v[98:99], v[56:57] op_sel:[0,0,1] op_sel_hi:[1,0,0]
	s_waitcnt vmcnt(1)
	v_mov_b32_e32 v56, v111
	v_mov_b32_e32 v59, v57
	v_pk_mul_f32 v[56:57], v[70:71], v[56:57] op_sel_hi:[1,0]
	v_pk_add_f32 v[54:55], v[54:55], v[58:59]
	s_waitcnt vmcnt(0)
	v_pk_fma_f32 v[58:59], v[70:71], v[110:111], v[56:57] op_sel:[0,0,1] op_sel_hi:[1,1,0] neg_lo:[0,0,1] neg_hi:[0,0,1]
	v_pk_fma_f32 v[56:57], v[70:71], v[110:111], v[56:57] op_sel:[0,0,1] op_sel_hi:[1,0,0]
	v_mov_b32_e32 v59, v57
	v_pk_add_f32 v[54:55], v[54:55], v[58:59]
	v_pk_add_f32 v[54:55], v[88:89], v[54:55] neg_lo:[0,1] neg_hi:[0,1]
	buffer_store_dword v55, off, s[0:3], 0 offset:12
	buffer_store_dword v54, off, s[0:3], 0 offset:8
	s_and_saveexec_b64 s[4:5], vcc
	s_cbranch_execz .LBB25_169
; %bb.168:
	buffer_load_dword v54, off, s[0:3], 0
	buffer_load_dword v55, off, s[0:3], 0 offset:4
	v_mov_b32_e32 v0, 0
	buffer_store_dword v0, off, s[0:3], 0
	buffer_store_dword v0, off, s[0:3], 0 offset:4
	s_waitcnt vmcnt(2)
	ds_write_b64 v1, v[54:55]
.LBB25_169:
	s_or_b64 exec, exec, s[4:5]
	s_waitcnt lgkmcnt(0)
	; wave barrier
	s_waitcnt lgkmcnt(0)
	buffer_load_dword v106, off, s[0:3], 0 offset:12
	buffer_load_dword v108, off, s[0:3], 0 offset:20
	;; [unrolled: 1-line block ×34, first 2 shown]
	buffer_load_dword v0, off, s[0:3], 0
	buffer_load_dword v1, off, s[0:3], 0 offset:4
	v_mov_b32_e32 v147, 0
	buffer_load_dword v95, off, s[0:3], 0 offset:156
	buffer_load_dword v94, off, s[0:3], 0 offset:152
	;; [unrolled: 1-line block ×5, first 2 shown]
	ds_read2_b64 v[54:57], v147 offset0:27 offset1:28
	ds_read2_b64 v[58:61], v147 offset0:29 offset1:30
	;; [unrolled: 1-line block ×8, first 2 shown]
	s_and_b64 vcc, exec, s[20:21]
	s_waitcnt vmcnt(40) lgkmcnt(7)
	v_mul_f32_e32 v86, v54, v106
	s_waitcnt vmcnt(39)
	v_mul_f32_e32 v87, v56, v108
	s_waitcnt vmcnt(38) lgkmcnt(6)
	v_mul_f32_e32 v88, v58, v110
	s_waitcnt vmcnt(37)
	v_mul_f32_e32 v89, v60, v116
	;; [unrolled: 4-line block ×7, first 2 shown]
	s_waitcnt vmcnt(26) lgkmcnt(0)
	v_mul_f32_e32 v107, v82, v127
	s_waitcnt vmcnt(25)
	v_fmac_f32_e32 v86, v55, v128
	s_waitcnt vmcnt(24)
	v_fmac_f32_e32 v87, v57, v129
	v_add_f32_e32 v86, 0, v86
	s_waitcnt vmcnt(23)
	v_fmac_f32_e32 v88, v59, v130
	v_add_f32_e32 v86, v86, v87
	s_waitcnt vmcnt(22)
	v_fmac_f32_e32 v89, v61, v131
	v_add_f32_e32 v86, v86, v88
	s_waitcnt vmcnt(21)
	v_fmac_f32_e32 v90, v63, v132
	v_add_f32_e32 v86, v86, v89
	s_waitcnt vmcnt(20)
	v_fmac_f32_e32 v91, v65, v133
	v_add_f32_e32 v86, v86, v90
	s_waitcnt vmcnt(19)
	v_fmac_f32_e32 v92, v67, v134
	v_add_f32_e32 v86, v86, v91
	s_waitcnt vmcnt(18)
	v_fmac_f32_e32 v93, v69, v135
	v_add_f32_e32 v86, v86, v92
	s_waitcnt vmcnt(17)
	v_fmac_f32_e32 v98, v71, v136
	v_add_f32_e32 v86, v86, v93
	s_waitcnt vmcnt(16)
	v_fmac_f32_e32 v100, v73, v137
	v_add_f32_e32 v86, v86, v98
	s_waitcnt vmcnt(15)
	v_fmac_f32_e32 v101, v75, v138
	v_add_f32_e32 v86, v86, v100
	s_waitcnt vmcnt(14)
	v_fmac_f32_e32 v102, v77, v139
	v_add_f32_e32 v86, v86, v101
	s_waitcnt vmcnt(13)
	v_fmac_f32_e32 v103, v79, v140
	v_add_f32_e32 v86, v86, v102
	s_waitcnt vmcnt(12)
	v_fmac_f32_e32 v104, v81, v141
	v_add_f32_e32 v86, v86, v103
	v_add_f32_e32 v90, v86, v104
	buffer_load_dword v101, off, s[0:3], 0 offset:188
	buffer_load_dword v100, off, s[0:3], 0 offset:184
	;; [unrolled: 1-line block ×7, first 2 shown]
	s_waitcnt vmcnt(18)
	v_fmac_f32_e32 v107, v83, v142
	ds_read2_b64 v[86:89], v147 offset0:43 offset1:44
	v_add_f32_e32 v107, v90, v107
	ds_read2_b64 v[90:93], v147 offset0:45 offset1:46
	buffer_load_dword v113, off, s[0:3], 0 offset:204
	buffer_load_dword v112, off, s[0:3], 0 offset:200
	;; [unrolled: 1-line block ×4, first 2 shown]
	v_mul_f32_e32 v55, v55, v106
	v_fma_f32 v54, v54, v128, -v55
	v_mul_f32_e32 v55, v57, v108
	v_add_f32_e32 v54, 0, v54
	v_fma_f32 v55, v56, v129, -v55
	v_add_f32_e32 v54, v54, v55
	v_mul_f32_e32 v55, v59, v110
	v_fma_f32 v55, v58, v130, -v55
	v_add_f32_e32 v54, v54, v55
	v_mul_f32_e32 v55, v61, v116
	;; [unrolled: 3-line block ×13, first 2 shown]
	v_fma_f32 v55, v82, v142, -v55
	s_waitcnt vmcnt(13)
	v_mov_b32_e32 v66, v97
	v_mul_f32_e32 v109, v84, v143
	v_add_f32_e32 v106, v54, v55
	v_mul_f32_e32 v54, v85, v143
	s_waitcnt lgkmcnt(1)
	v_pk_mul_f32 v[66:67], v[88:89], v[66:67] op_sel_hi:[1,0]
	v_fmac_f32_e32 v109, v85, v144
	v_mul_f32_e32 v111, v86, v145
	v_fma_f32 v108, v84, v144, -v54
	v_mul_f32_e32 v54, v87, v145
	s_waitcnt vmcnt(12)
	v_pk_fma_f32 v[68:69], v[88:89], v[96:97], v[66:67] op_sel:[0,0,1] op_sel_hi:[1,1,0] neg_lo:[0,0,1] neg_hi:[0,0,1]
	v_pk_fma_f32 v[66:67], v[88:89], v[96:97], v[66:67] op_sel:[0,0,1] op_sel_hi:[1,0,0]
	v_fmac_f32_e32 v111, v87, v146
	v_fma_f32 v110, v86, v146, -v54
	v_pk_add_f32 v[64:65], v[106:107], v[108:109]
	v_mov_b32_e32 v66, v95
	v_pk_add_f32 v[64:65], v[64:65], v[110:111]
	v_mov_b32_e32 v69, v67
	s_waitcnt lgkmcnt(0)
	v_pk_mul_f32 v[66:67], v[90:91], v[66:67] op_sel_hi:[1,0]
	v_pk_add_f32 v[64:65], v[64:65], v[68:69]
	v_pk_fma_f32 v[68:69], v[90:91], v[94:95], v[66:67] op_sel:[0,0,1] op_sel_hi:[1,1,0] neg_lo:[0,0,1] neg_hi:[0,0,1]
	v_pk_fma_f32 v[66:67], v[90:91], v[94:95], v[66:67] op_sel:[0,0,1] op_sel_hi:[1,0,0]
	s_waitcnt vmcnt(11)
	v_mov_b32_e32 v66, v99
	ds_read2_b64 v[54:57], v147 offset0:47 offset1:48
	ds_read2_b64 v[58:61], v147 offset0:49 offset1:50
	ds_read_b64 v[62:63], v147 offset:408
	v_mov_b32_e32 v69, v67
	v_pk_mul_f32 v[66:67], v[92:93], v[66:67] op_sel_hi:[1,0]
	v_pk_add_f32 v[64:65], v[64:65], v[68:69]
	s_waitcnt vmcnt(4)
	v_pk_fma_f32 v[68:69], v[92:93], v[98:99], v[66:67] op_sel:[0,0,1] op_sel_hi:[1,1,0] neg_lo:[0,0,1] neg_hi:[0,0,1]
	v_pk_fma_f32 v[66:67], v[92:93], v[98:99], v[66:67] op_sel:[0,0,1] op_sel_hi:[1,0,0]
	v_mov_b32_e32 v66, v105
	v_mov_b32_e32 v69, v67
	s_waitcnt lgkmcnt(2)
	v_pk_mul_f32 v[66:67], v[54:55], v[66:67] op_sel_hi:[1,0]
	v_pk_add_f32 v[64:65], v[64:65], v[68:69]
	v_pk_fma_f32 v[68:69], v[54:55], v[104:105], v[66:67] op_sel:[0,0,1] op_sel_hi:[1,1,0] neg_lo:[0,0,1] neg_hi:[0,0,1]
	v_pk_fma_f32 v[54:55], v[54:55], v[104:105], v[66:67] op_sel:[0,0,1] op_sel_hi:[1,0,0]
	v_mov_b32_e32 v69, v55
	v_pk_add_f32 v[54:55], v[64:65], v[68:69]
	v_mov_b32_e32 v64, v103
	v_pk_mul_f32 v[64:65], v[56:57], v[64:65] op_sel_hi:[1,0]
	v_pk_fma_f32 v[66:67], v[56:57], v[102:103], v[64:65] op_sel:[0,0,1] op_sel_hi:[1,1,0] neg_lo:[0,0,1] neg_hi:[0,0,1]
	v_pk_fma_f32 v[56:57], v[56:57], v[102:103], v[64:65] op_sel:[0,0,1] op_sel_hi:[1,0,0]
	v_mov_b32_e32 v56, v101
	v_mov_b32_e32 v67, v57
	s_waitcnt lgkmcnt(1)
	v_pk_mul_f32 v[56:57], v[58:59], v[56:57] op_sel_hi:[1,0]
	v_pk_fma_f32 v[64:65], v[58:59], v[100:101], v[56:57] op_sel:[0,0,1] op_sel_hi:[1,1,0] neg_lo:[0,0,1] neg_hi:[0,0,1]
	v_pk_fma_f32 v[56:57], v[58:59], v[100:101], v[56:57] op_sel:[0,0,1] op_sel_hi:[1,0,0]
	s_waitcnt vmcnt(1)
	v_mov_b32_e32 v56, v115
	v_mov_b32_e32 v65, v57
	v_pk_mul_f32 v[56:57], v[60:61], v[56:57] op_sel_hi:[1,0]
	s_waitcnt vmcnt(0)
	v_pk_fma_f32 v[58:59], v[60:61], v[114:115], v[56:57] op_sel:[0,0,1] op_sel_hi:[1,1,0] neg_lo:[0,0,1] neg_hi:[0,0,1]
	v_pk_fma_f32 v[56:57], v[60:61], v[114:115], v[56:57] op_sel:[0,0,1] op_sel_hi:[1,0,0]
	v_pk_add_f32 v[54:55], v[54:55], v[66:67]
	v_mov_b32_e32 v56, v113
	v_pk_add_f32 v[54:55], v[54:55], v[64:65]
	v_mov_b32_e32 v59, v57
	s_waitcnt lgkmcnt(0)
	v_pk_mul_f32 v[56:57], v[62:63], v[56:57] op_sel_hi:[1,0]
	v_pk_add_f32 v[54:55], v[54:55], v[58:59]
	v_pk_fma_f32 v[58:59], v[62:63], v[112:113], v[56:57] op_sel:[0,0,1] op_sel_hi:[1,1,0] neg_lo:[0,0,1] neg_hi:[0,0,1]
	v_pk_fma_f32 v[56:57], v[62:63], v[112:113], v[56:57] op_sel:[0,0,1] op_sel_hi:[1,0,0]
	v_mov_b32_e32 v59, v57
	v_pk_add_f32 v[54:55], v[54:55], v[58:59]
	v_pk_add_f32 v[0:1], v[0:1], v[54:55] neg_lo:[0,1] neg_hi:[0,1]
	buffer_store_dword v1, off, s[0:3], 0 offset:4
	buffer_store_dword v0, off, s[0:3], 0
	s_cbranch_vccz .LBB25_221
; %bb.170:
	v_pk_mov_b32 v[0:1], s[10:11], s[10:11] op_sel:[0,1]
	flat_load_dword v0, v[0:1] offset:96
	s_waitcnt vmcnt(0) lgkmcnt(0)
	v_add_u32_e32 v0, -1, v0
	v_cmp_ne_u32_e32 vcc, 24, v0
	s_and_saveexec_b64 s[4:5], vcc
	s_cbranch_execz .LBB25_172
; %bb.171:
	v_mov_b32_e32 v1, 0
	v_lshl_add_u32 v0, v0, 3, v1
	buffer_load_dword v1, v0, s[0:3], 0 offen
	buffer_load_dword v54, v0, s[0:3], 0 offen offset:4
	buffer_load_dword v55, off, s[0:3], 0 offset:196
	buffer_load_dword v56, off, s[0:3], 0 offset:192
	s_waitcnt vmcnt(3)
	buffer_store_dword v1, off, s[0:3], 0 offset:192
	s_waitcnt vmcnt(3)
	buffer_store_dword v54, off, s[0:3], 0 offset:196
	s_waitcnt vmcnt(3)
	buffer_store_dword v55, v0, s[0:3], 0 offen offset:4
	s_waitcnt vmcnt(3)
	buffer_store_dword v56, v0, s[0:3], 0 offen
.LBB25_172:
	s_or_b64 exec, exec, s[4:5]
	v_pk_mov_b32 v[0:1], s[10:11], s[10:11] op_sel:[0,1]
	flat_load_dword v0, v[0:1] offset:92
	s_waitcnt vmcnt(0) lgkmcnt(0)
	v_add_u32_e32 v0, -1, v0
	v_cmp_ne_u32_e32 vcc, 23, v0
	s_and_saveexec_b64 s[4:5], vcc
	s_cbranch_execz .LBB25_174
; %bb.173:
	v_mov_b32_e32 v1, 0
	v_lshl_add_u32 v0, v0, 3, v1
	buffer_load_dword v1, v0, s[0:3], 0 offen
	buffer_load_dword v54, v0, s[0:3], 0 offen offset:4
	buffer_load_dword v55, off, s[0:3], 0 offset:184
	buffer_load_dword v56, off, s[0:3], 0 offset:188
	s_waitcnt vmcnt(3)
	buffer_store_dword v1, off, s[0:3], 0 offset:184
	s_waitcnt vmcnt(3)
	buffer_store_dword v54, off, s[0:3], 0 offset:188
	s_waitcnt vmcnt(3)
	buffer_store_dword v55, v0, s[0:3], 0 offen
	s_waitcnt vmcnt(3)
	buffer_store_dword v56, v0, s[0:3], 0 offen offset:4
.LBB25_174:
	s_or_b64 exec, exec, s[4:5]
	v_pk_mov_b32 v[0:1], s[10:11], s[10:11] op_sel:[0,1]
	flat_load_dword v0, v[0:1] offset:88
	s_waitcnt vmcnt(0) lgkmcnt(0)
	v_add_u32_e32 v0, -1, v0
	v_cmp_ne_u32_e32 vcc, 22, v0
	s_and_saveexec_b64 s[4:5], vcc
	s_cbranch_execz .LBB25_176
; %bb.175:
	v_mov_b32_e32 v1, 0
	v_lshl_add_u32 v0, v0, 3, v1
	buffer_load_dword v1, v0, s[0:3], 0 offen
	buffer_load_dword v54, v0, s[0:3], 0 offen offset:4
	buffer_load_dword v55, off, s[0:3], 0 offset:180
	buffer_load_dword v56, off, s[0:3], 0 offset:176
	s_waitcnt vmcnt(3)
	buffer_store_dword v1, off, s[0:3], 0 offset:176
	s_waitcnt vmcnt(3)
	buffer_store_dword v54, off, s[0:3], 0 offset:180
	s_waitcnt vmcnt(3)
	buffer_store_dword v55, v0, s[0:3], 0 offen offset:4
	s_waitcnt vmcnt(3)
	buffer_store_dword v56, v0, s[0:3], 0 offen
.LBB25_176:
	s_or_b64 exec, exec, s[4:5]
	v_pk_mov_b32 v[0:1], s[10:11], s[10:11] op_sel:[0,1]
	flat_load_dword v0, v[0:1] offset:84
	s_waitcnt vmcnt(0) lgkmcnt(0)
	v_add_u32_e32 v0, -1, v0
	v_cmp_ne_u32_e32 vcc, 21, v0
	s_and_saveexec_b64 s[4:5], vcc
	s_cbranch_execz .LBB25_178
; %bb.177:
	v_mov_b32_e32 v1, 0
	v_lshl_add_u32 v0, v0, 3, v1
	buffer_load_dword v1, v0, s[0:3], 0 offen
	buffer_load_dword v54, v0, s[0:3], 0 offen offset:4
	buffer_load_dword v55, off, s[0:3], 0 offset:168
	buffer_load_dword v56, off, s[0:3], 0 offset:172
	s_waitcnt vmcnt(3)
	buffer_store_dword v1, off, s[0:3], 0 offset:168
	s_waitcnt vmcnt(3)
	buffer_store_dword v54, off, s[0:3], 0 offset:172
	s_waitcnt vmcnt(3)
	buffer_store_dword v55, v0, s[0:3], 0 offen
	s_waitcnt vmcnt(3)
	buffer_store_dword v56, v0, s[0:3], 0 offen offset:4
.LBB25_178:
	s_or_b64 exec, exec, s[4:5]
	;; [unrolled: 48-line block ×12, first 2 shown]
	v_pk_mov_b32 v[0:1], s[10:11], s[10:11] op_sel:[0,1]
	flat_load_dword v54, v[0:1]
	s_nop 0
	buffer_load_dword v0, off, s[0:3], 0
	buffer_load_dword v1, off, s[0:3], 0 offset:4
	s_waitcnt vmcnt(0) lgkmcnt(0)
	v_add_u32_e32 v54, -1, v54
	v_cmp_ne_u32_e32 vcc, 0, v54
	s_and_saveexec_b64 s[4:5], vcc
	s_cbranch_execz .LBB25_220
; %bb.219:
	v_mov_b32_e32 v55, 0
	v_lshl_add_u32 v54, v54, 3, v55
	buffer_load_dword v55, v54, s[0:3], 0 offen offset:4
	buffer_load_dword v56, v54, s[0:3], 0 offen
	s_waitcnt vmcnt(1)
	buffer_store_dword v55, off, s[0:3], 0 offset:4
	s_waitcnt vmcnt(1)
	buffer_store_dword v56, off, s[0:3], 0
	buffer_store_dword v1, v54, s[0:3], 0 offen offset:4
	buffer_store_dword v0, v54, s[0:3], 0 offen
	buffer_load_dword v0, off, s[0:3], 0
	s_nop 0
	buffer_load_dword v1, off, s[0:3], 0 offset:4
.LBB25_220:
	s_or_b64 exec, exec, s[4:5]
.LBB25_221:
	buffer_load_dword v54, off, s[0:3], 0 offset:8
	buffer_load_dword v55, off, s[0:3], 0 offset:12
	;; [unrolled: 1-line block ×50, first 2 shown]
	s_waitcnt vmcnt(50)
	global_store_dwordx2 v[2:3], v[0:1], off
	s_waitcnt vmcnt(49)
	global_store_dwordx2 v[46:47], v[54:55], off
	;; [unrolled: 2-line block ×26, first 2 shown]
	s_endpgm
	.section	.rodata,"a",@progbits
	.p2align	6, 0x0
	.amdhsa_kernel _ZN9rocsolver6v33100L18getri_kernel_smallILi26E19rocblas_complex_numIfEPS3_EEvT1_iilPiilS6_bb
		.amdhsa_group_segment_fixed_size 420
		.amdhsa_private_segment_fixed_size 224
		.amdhsa_kernarg_size 60
		.amdhsa_user_sgpr_count 8
		.amdhsa_user_sgpr_private_segment_buffer 1
		.amdhsa_user_sgpr_dispatch_ptr 0
		.amdhsa_user_sgpr_queue_ptr 0
		.amdhsa_user_sgpr_kernarg_segment_ptr 1
		.amdhsa_user_sgpr_dispatch_id 0
		.amdhsa_user_sgpr_flat_scratch_init 1
		.amdhsa_user_sgpr_kernarg_preload_length 0
		.amdhsa_user_sgpr_kernarg_preload_offset 0
		.amdhsa_user_sgpr_private_segment_size 0
		.amdhsa_uses_dynamic_stack 0
		.amdhsa_system_sgpr_private_segment_wavefront_offset 1
		.amdhsa_system_sgpr_workgroup_id_x 1
		.amdhsa_system_sgpr_workgroup_id_y 0
		.amdhsa_system_sgpr_workgroup_id_z 0
		.amdhsa_system_sgpr_workgroup_info 0
		.amdhsa_system_vgpr_workitem_id 0
		.amdhsa_next_free_vgpr 148
		.amdhsa_next_free_sgpr 23
		.amdhsa_accum_offset 148
		.amdhsa_reserve_vcc 1
		.amdhsa_reserve_flat_scratch 1
		.amdhsa_float_round_mode_32 0
		.amdhsa_float_round_mode_16_64 0
		.amdhsa_float_denorm_mode_32 3
		.amdhsa_float_denorm_mode_16_64 3
		.amdhsa_dx10_clamp 1
		.amdhsa_ieee_mode 1
		.amdhsa_fp16_overflow 0
		.amdhsa_tg_split 0
		.amdhsa_exception_fp_ieee_invalid_op 0
		.amdhsa_exception_fp_denorm_src 0
		.amdhsa_exception_fp_ieee_div_zero 0
		.amdhsa_exception_fp_ieee_overflow 0
		.amdhsa_exception_fp_ieee_underflow 0
		.amdhsa_exception_fp_ieee_inexact 0
		.amdhsa_exception_int_div_zero 0
	.end_amdhsa_kernel
	.section	.text._ZN9rocsolver6v33100L18getri_kernel_smallILi26E19rocblas_complex_numIfEPS3_EEvT1_iilPiilS6_bb,"axG",@progbits,_ZN9rocsolver6v33100L18getri_kernel_smallILi26E19rocblas_complex_numIfEPS3_EEvT1_iilPiilS6_bb,comdat
.Lfunc_end25:
	.size	_ZN9rocsolver6v33100L18getri_kernel_smallILi26E19rocblas_complex_numIfEPS3_EEvT1_iilPiilS6_bb, .Lfunc_end25-_ZN9rocsolver6v33100L18getri_kernel_smallILi26E19rocblas_complex_numIfEPS3_EEvT1_iilPiilS6_bb
                                        ; -- End function
	.section	.AMDGPU.csdata,"",@progbits
; Kernel info:
; codeLenInByte = 34896
; NumSgprs: 29
; NumVgprs: 148
; NumAgprs: 0
; TotalNumVgprs: 148
; ScratchSize: 224
; MemoryBound: 0
; FloatMode: 240
; IeeeMode: 1
; LDSByteSize: 420 bytes/workgroup (compile time only)
; SGPRBlocks: 3
; VGPRBlocks: 18
; NumSGPRsForWavesPerEU: 29
; NumVGPRsForWavesPerEU: 148
; AccumOffset: 148
; Occupancy: 3
; WaveLimiterHint : 1
; COMPUTE_PGM_RSRC2:SCRATCH_EN: 1
; COMPUTE_PGM_RSRC2:USER_SGPR: 8
; COMPUTE_PGM_RSRC2:TRAP_HANDLER: 0
; COMPUTE_PGM_RSRC2:TGID_X_EN: 1
; COMPUTE_PGM_RSRC2:TGID_Y_EN: 0
; COMPUTE_PGM_RSRC2:TGID_Z_EN: 0
; COMPUTE_PGM_RSRC2:TIDIG_COMP_CNT: 0
; COMPUTE_PGM_RSRC3_GFX90A:ACCUM_OFFSET: 36
; COMPUTE_PGM_RSRC3_GFX90A:TG_SPLIT: 0
	.section	.text._ZN9rocsolver6v33100L18getri_kernel_smallILi27E19rocblas_complex_numIfEPS3_EEvT1_iilPiilS6_bb,"axG",@progbits,_ZN9rocsolver6v33100L18getri_kernel_smallILi27E19rocblas_complex_numIfEPS3_EEvT1_iilPiilS6_bb,comdat
	.globl	_ZN9rocsolver6v33100L18getri_kernel_smallILi27E19rocblas_complex_numIfEPS3_EEvT1_iilPiilS6_bb ; -- Begin function _ZN9rocsolver6v33100L18getri_kernel_smallILi27E19rocblas_complex_numIfEPS3_EEvT1_iilPiilS6_bb
	.p2align	8
	.type	_ZN9rocsolver6v33100L18getri_kernel_smallILi27E19rocblas_complex_numIfEPS3_EEvT1_iilPiilS6_bb,@function
_ZN9rocsolver6v33100L18getri_kernel_smallILi27E19rocblas_complex_numIfEPS3_EEvT1_iilPiilS6_bb: ; @_ZN9rocsolver6v33100L18getri_kernel_smallILi27E19rocblas_complex_numIfEPS3_EEvT1_iilPiilS6_bb
; %bb.0:
	s_add_u32 flat_scratch_lo, s6, s9
	s_addc_u32 flat_scratch_hi, s7, 0
	s_add_u32 s0, s0, s9
	s_addc_u32 s1, s1, 0
	v_cmp_gt_u32_e32 vcc, 27, v0
	s_and_saveexec_b64 s[6:7], vcc
	s_cbranch_execz .LBB26_122
; %bb.1:
	s_load_dword s22, s[4:5], 0x38
	s_load_dwordx4 s[16:19], s[4:5], 0x10
	s_load_dwordx4 s[12:15], s[4:5], 0x28
                                        ; implicit-def: $sgpr10_sgpr11
	s_waitcnt lgkmcnt(0)
	s_bitcmp1_b32 s22, 8
	s_cselect_b64 s[20:21], -1, 0
	s_ashr_i32 s9, s8, 31
	s_bfe_u32 s6, s22, 0x10008
	s_cmp_eq_u32 s6, 0
	s_cbranch_scc1 .LBB26_3
; %bb.2:
	s_load_dword s6, s[4:5], 0x20
	s_mul_i32 s7, s8, s13
	s_mul_hi_u32 s10, s8, s12
	s_mul_i32 s11, s9, s12
	s_add_i32 s10, s10, s7
	s_add_i32 s11, s10, s11
	s_mul_i32 s10, s8, s12
	s_waitcnt lgkmcnt(0)
	s_ashr_i32 s7, s6, 31
	s_lshl_b64 s[10:11], s[10:11], 2
	s_add_u32 s10, s18, s10
	s_addc_u32 s11, s19, s11
	s_lshl_b64 s[6:7], s[6:7], 2
	s_add_u32 s10, s10, s6
	s_addc_u32 s11, s11, s7
.LBB26_3:
	s_load_dwordx4 s[4:7], s[4:5], 0x0
	s_mul_i32 s12, s8, s17
	s_mul_hi_u32 s13, s8, s16
	s_add_i32 s17, s13, s12
	v_lshlrev_b32_e32 v6, 3, v0
	s_waitcnt lgkmcnt(0)
	s_ashr_i32 s13, s6, 31
	s_mov_b32 s12, s6
	s_mul_i32 s6, s9, s16
	s_add_i32 s17, s17, s6
	s_mul_i32 s16, s8, s16
	s_lshl_b64 s[16:17], s[16:17], 3
	s_add_u32 s6, s4, s16
	s_addc_u32 s16, s5, s17
	s_lshl_b64 s[4:5], s[12:13], 3
	s_add_u32 s4, s6, s4
	s_addc_u32 s5, s16, s5
	s_add_i32 s6, s7, s7
	v_add_u32_e32 v4, s6, v0
	v_mov_b32_e32 v1, s5
	v_add_co_u32_e32 v10, vcc, s4, v6
	v_ashrrev_i32_e32 v5, 31, v4
	v_addc_co_u32_e32 v11, vcc, 0, v1, vcc
	v_add_u32_e32 v8, s7, v4
	v_lshlrev_b64 v[4:5], 3, v[4:5]
	v_mov_b32_e32 v7, s5
	v_ashrrev_i32_e32 v9, 31, v8
	v_add_co_u32_e32 v12, vcc, s4, v4
	v_add_u32_e32 v16, s7, v8
	v_addc_co_u32_e32 v13, vcc, v7, v5, vcc
	v_lshlrev_b64 v[4:5], 3, v[8:9]
	v_mov_b32_e32 v15, s5
	v_ashrrev_i32_e32 v17, 31, v16
	v_add_co_u32_e32 v14, vcc, s4, v4
	v_add_u32_e32 v8, s7, v16
	v_addc_co_u32_e32 v15, vcc, v15, v5, vcc
	v_lshlrev_b64 v[4:5], 3, v[16:17]
	v_mov_b32_e32 v18, s5
	v_ashrrev_i32_e32 v9, 31, v8
	v_add_u32_e32 v20, s7, v8
	v_add_co_u32_e32 v16, vcc, s4, v4
	v_addc_co_u32_e32 v17, vcc, v18, v5, vcc
	v_lshlrev_b64 v[4:5], 3, v[8:9]
	v_add_u32_e32 v8, s7, v20
	v_add_co_u32_e32 v18, vcc, s4, v4
	v_add_u32_e32 v4, s7, v8
	v_add_u32_e32 v26, s7, v4
	;; [unrolled: 1-line block ×16, first 2 shown]
	v_mov_b32_e32 v19, s5
	v_ashrrev_i32_e32 v21, 31, v20
	v_add_u32_e32 v58, s7, v54
	v_addc_co_u32_e32 v19, vcc, v19, v5, vcc
	v_add_u32_e32 v60, s7, v58
	v_lshlrev_b64 v[20:21], 3, v[20:21]
	v_add_u32_e32 v22, s7, v60
	v_mov_b32_e32 v5, s5
	v_add_co_u32_e32 v20, vcc, s4, v20
	v_ashrrev_i32_e32 v9, 31, v8
	v_ashrrev_i32_e32 v23, 31, v22
	v_addc_co_u32_e32 v21, vcc, v5, v21, vcc
	v_lshlrev_b64 v[8:9], 3, v[8:9]
	v_lshlrev_b64 v[62:63], 3, v[22:23]
	v_add_co_u32_e32 v22, vcc, s4, v8
	v_addc_co_u32_e32 v23, vcc, v5, v9, vcc
	v_ashrrev_i32_e32 v5, 31, v4
	v_lshlrev_b64 v[4:5], 3, v[4:5]
	v_add_co_u32_e32 v24, vcc, s4, v4
	v_ashrrev_i32_e32 v27, 31, v26
	v_addc_co_u32_e32 v25, vcc, v7, v5, vcc
	v_lshlrev_b64 v[4:5], 3, v[26:27]
	v_add_co_u32_e32 v26, vcc, s4, v4
	v_ashrrev_i32_e32 v29, 31, v28
	v_addc_co_u32_e32 v27, vcc, v7, v5, vcc
	v_lshlrev_b64 v[4:5], 3, v[28:29]
	v_add_co_u32_e32 v28, vcc, s4, v4
	v_ashrrev_i32_e32 v31, 31, v30
	v_addc_co_u32_e32 v29, vcc, v7, v5, vcc
	v_lshlrev_b64 v[4:5], 3, v[30:31]
	v_add_co_u32_e32 v30, vcc, s4, v4
	v_ashrrev_i32_e32 v33, 31, v32
	v_addc_co_u32_e32 v31, vcc, v7, v5, vcc
	v_lshlrev_b64 v[4:5], 3, v[32:33]
	v_add_co_u32_e32 v32, vcc, s4, v4
	v_ashrrev_i32_e32 v35, 31, v34
	v_addc_co_u32_e32 v33, vcc, v7, v5, vcc
	v_lshlrev_b64 v[4:5], 3, v[34:35]
	v_add_co_u32_e32 v34, vcc, s4, v4
	v_ashrrev_i32_e32 v37, 31, v36
	v_addc_co_u32_e32 v35, vcc, v7, v5, vcc
	v_lshlrev_b64 v[4:5], 3, v[36:37]
	v_add_co_u32_e32 v36, vcc, s4, v4
	v_ashrrev_i32_e32 v39, 31, v38
	v_addc_co_u32_e32 v37, vcc, v7, v5, vcc
	v_lshlrev_b64 v[4:5], 3, v[38:39]
	v_add_co_u32_e32 v38, vcc, s4, v4
	v_ashrrev_i32_e32 v41, 31, v40
	v_addc_co_u32_e32 v39, vcc, v7, v5, vcc
	v_lshlrev_b64 v[4:5], 3, v[40:41]
	v_add_co_u32_e32 v40, vcc, s4, v4
	v_ashrrev_i32_e32 v43, 31, v42
	v_addc_co_u32_e32 v41, vcc, v7, v5, vcc
	v_lshlrev_b64 v[4:5], 3, v[42:43]
	v_add_co_u32_e32 v42, vcc, s4, v4
	v_ashrrev_i32_e32 v45, 31, v44
	v_addc_co_u32_e32 v43, vcc, v7, v5, vcc
	v_lshlrev_b64 v[4:5], 3, v[44:45]
	v_add_co_u32_e32 v44, vcc, s4, v4
	v_ashrrev_i32_e32 v47, 31, v46
	v_addc_co_u32_e32 v45, vcc, v7, v5, vcc
	v_lshlrev_b64 v[4:5], 3, v[46:47]
	v_add_co_u32_e32 v46, vcc, s4, v4
	v_ashrrev_i32_e32 v49, 31, v48
	v_addc_co_u32_e32 v47, vcc, v7, v5, vcc
	v_lshlrev_b64 v[4:5], 3, v[48:49]
	v_add_co_u32_e32 v48, vcc, s4, v4
	v_ashrrev_i32_e32 v51, 31, v50
	v_addc_co_u32_e32 v49, vcc, v7, v5, vcc
	v_lshlrev_b64 v[4:5], 3, v[50:51]
	v_add_co_u32_e32 v50, vcc, s4, v4
	v_ashrrev_i32_e32 v53, 31, v52
	v_addc_co_u32_e32 v51, vcc, v7, v5, vcc
	v_lshlrev_b64 v[4:5], 3, v[52:53]
	s_mov_b32 s12, s7
	s_ashr_i32 s13, s7, 31
	v_add_co_u32_e32 v52, vcc, s4, v4
	s_lshl_b64 s[12:13], s[12:13], 3
	v_addc_co_u32_e32 v53, vcc, v7, v5, vcc
	v_mov_b32_e32 v1, s13
	v_add_co_u32_e32 v56, vcc, s12, v10
	v_ashrrev_i32_e32 v55, 31, v54
	v_addc_co_u32_e32 v57, vcc, v11, v1, vcc
	v_lshlrev_b64 v[54:55], 3, v[54:55]
	v_mov_b32_e32 v1, s5
	v_add_co_u32_e32 v54, vcc, s4, v54
	v_ashrrev_i32_e32 v59, 31, v58
	v_addc_co_u32_e32 v55, vcc, v1, v55, vcc
	v_lshlrev_b64 v[58:59], 3, v[58:59]
	v_add_co_u32_e32 v58, vcc, s4, v58
	v_ashrrev_i32_e32 v61, 31, v60
	v_addc_co_u32_e32 v59, vcc, v1, v59, vcc
	v_lshlrev_b64 v[60:61], 3, v[60:61]
	v_add_co_u32_e32 v60, vcc, s4, v60
	global_load_dwordx2 v[2:3], v6, s[4:5]
	global_load_dwordx2 v[8:9], v[12:13], off
	global_load_dwordx2 v[64:65], v[14:15], off
	;; [unrolled: 1-line block ×21, first 2 shown]
	v_addc_co_u32_e32 v61, vcc, v1, v61, vcc
	global_load_dwordx2 v[102:103], v[52:53], off
	global_load_dwordx2 v[104:105], v[54:55], off
	;; [unrolled: 1-line block ×4, first 2 shown]
	v_mov_b32_e32 v110, s5
	v_add_co_u32_e32 v62, vcc, s4, v62
	v_addc_co_u32_e32 v63, vcc, v110, v63, vcc
	global_load_dwordx2 v[110:111], v[62:63], off
	s_bitcmp0_b32 s22, 0
	s_mov_b64 s[6:7], -1
	s_waitcnt vmcnt(26)
	buffer_store_dword v3, off, s[0:3], 0 offset:4
	buffer_store_dword v2, off, s[0:3], 0
	s_waitcnt vmcnt(25)
	buffer_store_dword v5, off, s[0:3], 0 offset:12
	buffer_store_dword v4, off, s[0:3], 0 offset:8
	;; [unrolled: 1-line block ×6, first 2 shown]
	s_waitcnt vmcnt(30)
	buffer_store_dword v67, off, s[0:3], 0 offset:36
	buffer_store_dword v66, off, s[0:3], 0 offset:32
	s_waitcnt vmcnt(31)
	buffer_store_dword v69, off, s[0:3], 0 offset:44
	buffer_store_dword v68, off, s[0:3], 0 offset:40
	s_waitcnt vmcnt(32)
	buffer_store_dword v71, off, s[0:3], 0 offset:52
	buffer_store_dword v70, off, s[0:3], 0 offset:48
	s_waitcnt vmcnt(33)
	buffer_store_dword v73, off, s[0:3], 0 offset:60
	buffer_store_dword v72, off, s[0:3], 0 offset:56
	s_waitcnt vmcnt(34)
	buffer_store_dword v75, off, s[0:3], 0 offset:68
	buffer_store_dword v74, off, s[0:3], 0 offset:64
	s_waitcnt vmcnt(35)
	buffer_store_dword v76, off, s[0:3], 0 offset:72
	buffer_store_dword v77, off, s[0:3], 0 offset:76
	s_waitcnt vmcnt(36)
	buffer_store_dword v78, off, s[0:3], 0 offset:80
	buffer_store_dword v79, off, s[0:3], 0 offset:84
	s_waitcnt vmcnt(37)
	buffer_store_dword v80, off, s[0:3], 0 offset:88
	buffer_store_dword v81, off, s[0:3], 0 offset:92
	s_waitcnt vmcnt(38)
	buffer_store_dword v82, off, s[0:3], 0 offset:96
	buffer_store_dword v83, off, s[0:3], 0 offset:100
	s_waitcnt vmcnt(39)
	buffer_store_dword v84, off, s[0:3], 0 offset:104
	buffer_store_dword v85, off, s[0:3], 0 offset:108
	s_waitcnt vmcnt(40)
	buffer_store_dword v87, off, s[0:3], 0 offset:116
	buffer_store_dword v86, off, s[0:3], 0 offset:112
	s_waitcnt vmcnt(41)
	buffer_store_dword v88, off, s[0:3], 0 offset:120
	buffer_store_dword v89, off, s[0:3], 0 offset:124
	s_waitcnt vmcnt(42)
	buffer_store_dword v90, off, s[0:3], 0 offset:128
	buffer_store_dword v91, off, s[0:3], 0 offset:132
	s_waitcnt vmcnt(43)
	buffer_store_dword v92, off, s[0:3], 0 offset:136
	buffer_store_dword v93, off, s[0:3], 0 offset:140
	s_waitcnt vmcnt(44)
	buffer_store_dword v94, off, s[0:3], 0 offset:144
	buffer_store_dword v95, off, s[0:3], 0 offset:148
	s_waitcnt vmcnt(45)
	buffer_store_dword v97, off, s[0:3], 0 offset:156
	buffer_store_dword v96, off, s[0:3], 0 offset:152
	s_waitcnt vmcnt(46)
	buffer_store_dword v99, off, s[0:3], 0 offset:164
	buffer_store_dword v98, off, s[0:3], 0 offset:160
	s_waitcnt vmcnt(47)
	buffer_store_dword v100, off, s[0:3], 0 offset:168
	buffer_store_dword v101, off, s[0:3], 0 offset:172
	s_waitcnt vmcnt(48)
	buffer_store_dword v102, off, s[0:3], 0 offset:176
	buffer_store_dword v103, off, s[0:3], 0 offset:180
	s_waitcnt vmcnt(49)
	buffer_store_dword v104, off, s[0:3], 0 offset:184
	buffer_store_dword v105, off, s[0:3], 0 offset:188
	s_waitcnt vmcnt(50)
	buffer_store_dword v106, off, s[0:3], 0 offset:192
	buffer_store_dword v107, off, s[0:3], 0 offset:196
	s_waitcnt vmcnt(51)
	buffer_store_dword v109, off, s[0:3], 0 offset:204
	buffer_store_dword v108, off, s[0:3], 0 offset:200
	s_waitcnt vmcnt(52)
	buffer_store_dword v111, off, s[0:3], 0 offset:212
	buffer_store_dword v110, off, s[0:3], 0 offset:208
	s_cbranch_scc1 .LBB26_120
; %bb.4:
	v_cmp_eq_u32_e64 s[4:5], 0, v0
	s_and_saveexec_b64 s[6:7], s[4:5]
	s_cbranch_execz .LBB26_6
; %bb.5:
	v_mov_b32_e32 v1, 0
	ds_write_b32 v1, v1 offset:216
.LBB26_6:
	s_or_b64 exec, exec, s[6:7]
	v_mov_b32_e32 v1, 0
	v_lshl_add_u32 v7, v0, 3, v1
	s_waitcnt lgkmcnt(0)
	; wave barrier
	s_waitcnt lgkmcnt(0)
	buffer_load_dword v1, v7, s[0:3], 0 offen
	buffer_load_dword v2, v7, s[0:3], 0 offen offset:4
	s_waitcnt vmcnt(1)
	v_cmp_eq_f32_e32 vcc, 0, v1
	s_waitcnt vmcnt(0)
	v_cmp_eq_f32_e64 s[6:7], 0, v2
	s_and_b64 s[6:7], vcc, s[6:7]
	s_and_saveexec_b64 s[12:13], s[6:7]
	s_cbranch_execz .LBB26_10
; %bb.7:
	v_mov_b32_e32 v1, 0
	ds_read_b32 v3, v1 offset:216
	v_add_u32_e32 v2, 1, v0
	s_waitcnt lgkmcnt(0)
	v_readfirstlane_b32 s6, v3
	s_cmp_eq_u32 s6, 0
	s_cselect_b64 s[16:17], -1, 0
	v_cmp_gt_i32_e32 vcc, s6, v2
	s_or_b64 s[16:17], s[16:17], vcc
	s_and_b64 exec, exec, s[16:17]
	s_cbranch_execz .LBB26_10
; %bb.8:
	s_mov_b64 s[16:17], 0
	v_mov_b32_e32 v3, s6
.LBB26_9:                               ; =>This Inner Loop Header: Depth=1
	ds_cmpst_rtn_b32 v3, v1, v3, v2 offset:216
	s_waitcnt lgkmcnt(0)
	v_cmp_ne_u32_e32 vcc, 0, v3
	v_cmp_le_i32_e64 s[6:7], v3, v2
	s_and_b64 s[6:7], vcc, s[6:7]
	s_and_b64 s[6:7], exec, s[6:7]
	s_or_b64 s[16:17], s[6:7], s[16:17]
	s_andn2_b64 exec, exec, s[16:17]
	s_cbranch_execnz .LBB26_9
.LBB26_10:
	s_or_b64 exec, exec, s[12:13]
	v_mov_b32_e32 v2, 0
	s_waitcnt lgkmcnt(0)
	; wave barrier
	ds_read_b32 v1, v2 offset:216
	s_and_saveexec_b64 s[6:7], s[4:5]
	s_cbranch_execz .LBB26_12
; %bb.11:
	s_lshl_b64 s[12:13], s[8:9], 2
	s_add_u32 s12, s14, s12
	s_addc_u32 s13, s15, s13
	s_waitcnt lgkmcnt(0)
	global_store_dword v2, v1, s[12:13]
.LBB26_12:
	s_or_b64 exec, exec, s[6:7]
	s_waitcnt lgkmcnt(0)
	v_cmp_ne_u32_e32 vcc, 0, v1
	s_mov_b64 s[6:7], 0
	s_cbranch_vccnz .LBB26_120
; %bb.13:
	buffer_load_dword v8, v7, s[0:3], 0 offen offset:4
	buffer_load_dword v3, v7, s[0:3], 0 offen
	s_waitcnt vmcnt(1)
	v_cmp_gt_f32_e32 vcc, 0, v8
	v_cndmask_b32_e64 v1, v8, -v8, vcc
	s_waitcnt vmcnt(0)
	v_cmp_gt_f32_e32 vcc, 0, v3
	v_cndmask_b32_e64 v2, v3, -v3, vcc
	v_cmp_ngt_f32_e32 vcc, v2, v1
                                        ; implicit-def: $vgpr1
                                        ; implicit-def: $vgpr2
	s_and_saveexec_b64 s[6:7], vcc
	s_xor_b64 s[6:7], exec, s[6:7]
                                        ; implicit-def: $vgpr4_vgpr5
	s_cbranch_execz .LBB26_15
; %bb.14:
	v_div_scale_f32 v1, s[12:13], v8, v8, v3
	v_rcp_f32_e32 v2, v1
	v_div_scale_f32 v4, vcc, v3, v8, v3
	v_fma_f32 v5, -v1, v2, 1.0
	v_fmac_f32_e32 v2, v5, v2
	v_mul_f32_e32 v5, v4, v2
	v_fma_f32 v9, -v1, v5, v4
	v_fmac_f32_e32 v5, v9, v2
	v_fma_f32 v1, -v1, v5, v4
	v_div_fmas_f32 v1, v1, v2, v5
	v_div_fixup_f32 v2, v1, v8, v3
	v_fmac_f32_e32 v8, v3, v2
	v_div_scale_f32 v1, s[12:13], v8, v8, -1.0
	v_rcp_f32_e32 v3, v1
	v_fma_f32 v4, -v1, v3, 1.0
	v_fmac_f32_e32 v3, v4, v3
	v_div_scale_f32 v4, vcc, -1.0, v8, -1.0
	v_mul_f32_e32 v5, v4, v3
	v_fma_f32 v9, -v1, v5, v4
	v_fmac_f32_e32 v5, v9, v3
	v_fma_f32 v1, -v1, v5, v4
	v_div_fmas_f32 v1, v1, v3, v5
	v_div_fixup_f32 v1, v1, v8, -1.0
	v_mul_f32_e32 v2, v2, v1
	v_xor_b32_e32 v4, 0x80000000, v2
                                        ; implicit-def: $vgpr3
                                        ; implicit-def: $vgpr8
.LBB26_15:
	s_andn2_saveexec_b64 s[6:7], s[6:7]
	s_cbranch_execz .LBB26_17
; %bb.16:
	v_div_scale_f32 v1, s[12:13], v3, v3, v8
	v_rcp_f32_e32 v2, v1
	v_div_scale_f32 v4, vcc, v8, v3, v8
	v_fma_f32 v5, -v1, v2, 1.0
	v_fmac_f32_e32 v2, v5, v2
	v_mul_f32_e32 v5, v4, v2
	v_fma_f32 v9, -v1, v5, v4
	v_fmac_f32_e32 v5, v9, v2
	v_fma_f32 v1, -v1, v5, v4
	v_div_fmas_f32 v1, v1, v2, v5
	v_div_fixup_f32 v1, v1, v3, v8
	v_fmac_f32_e32 v3, v8, v1
	v_div_scale_f32 v2, s[12:13], v3, v3, 1.0
	v_rcp_f32_e32 v4, v2
	v_fma_f32 v5, -v2, v4, 1.0
	v_fmac_f32_e32 v4, v5, v4
	v_div_scale_f32 v5, vcc, 1.0, v3, 1.0
	v_mul_f32_e32 v8, v5, v4
	v_fma_f32 v9, -v2, v8, v5
	v_fmac_f32_e32 v8, v9, v4
	v_fma_f32 v2, -v2, v8, v5
	v_div_fmas_f32 v2, v2, v4, v8
	v_div_fixup_f32 v4, v2, v3, 1.0
	v_xor_b32_e32 v2, 0x80000000, v4
	v_mul_f32_e64 v1, v1, -v4
.LBB26_17:
	s_or_b64 exec, exec, s[6:7]
	buffer_store_dword v1, v7, s[0:3], 0 offen offset:4
	buffer_store_dword v4, v7, s[0:3], 0 offen
	buffer_load_dword v5, off, s[0:3], 0 offset:12
	s_nop 0
	buffer_load_dword v4, off, s[0:3], 0 offset:8
	v_xor_b32_e32 v3, 0x80000000, v1
	v_add_u32_e32 v1, 0xe0, v6
	s_waitcnt vmcnt(0)
	ds_write2_b64 v6, v[2:3], v[4:5] offset1:28
	s_waitcnt lgkmcnt(0)
	; wave barrier
	s_waitcnt lgkmcnt(0)
	s_and_saveexec_b64 s[6:7], s[4:5]
	s_cbranch_execz .LBB26_19
; %bb.18:
	buffer_load_dword v8, v7, s[0:3], 0 offen offset:4
	buffer_load_dword v9, v7, s[0:3], 0 offen
	ds_read_b64 v[2:3], v1
	v_mov_b32_e32 v4, 0
	ds_read_b64 v[4:5], v4 offset:8
	s_waitcnt vmcnt(1) lgkmcnt(1)
	v_mul_f32_e32 v64, v3, v8
	v_mul_f32_e32 v8, v2, v8
	s_waitcnt vmcnt(0)
	v_fmac_f32_e32 v8, v3, v9
	v_fma_f32 v2, v2, v9, -v64
	v_add_f32_e32 v3, 0, v8
	v_add_f32_e32 v2, 0, v2
	s_waitcnt lgkmcnt(0)
	v_mul_f32_e32 v8, v3, v5
	v_mul_f32_e32 v5, v2, v5
	v_fma_f32 v2, v2, v4, -v8
	v_fmac_f32_e32 v5, v3, v4
	buffer_store_dword v2, off, s[0:3], 0 offset:8
	buffer_store_dword v5, off, s[0:3], 0 offset:12
.LBB26_19:
	s_or_b64 exec, exec, s[6:7]
	s_waitcnt lgkmcnt(0)
	; wave barrier
	buffer_load_dword v2, off, s[0:3], 0 offset:16
	buffer_load_dword v3, off, s[0:3], 0 offset:20
	v_cmp_gt_u32_e32 vcc, 2, v0
	s_waitcnt vmcnt(0)
	ds_write_b64 v1, v[2:3]
	s_waitcnt lgkmcnt(0)
	; wave barrier
	s_waitcnt lgkmcnt(0)
	s_and_saveexec_b64 s[6:7], vcc
	s_cbranch_execz .LBB26_23
; %bb.20:
	buffer_load_dword v4, v7, s[0:3], 0 offen offset:4
	buffer_load_dword v5, v7, s[0:3], 0 offen
	ds_read_b64 v[2:3], v1
	s_waitcnt vmcnt(1) lgkmcnt(0)
	v_mul_f32_e32 v7, v3, v4
	v_mul_f32_e32 v4, v2, v4
	s_waitcnt vmcnt(0)
	v_fma_f32 v2, v2, v5, -v7
	v_fmac_f32_e32 v4, v3, v5
	v_add_f32_e32 v3, 0, v2
	v_add_f32_e32 v2, 0, v4
	s_and_saveexec_b64 s[12:13], s[4:5]
	s_cbranch_execz .LBB26_22
; %bb.21:
	buffer_load_dword v7, off, s[0:3], 0 offset:12
	buffer_load_dword v8, off, s[0:3], 0 offset:8
	v_mov_b32_e32 v4, 0
	ds_read_b64 v[4:5], v4 offset:232
	s_waitcnt vmcnt(1) lgkmcnt(0)
	v_mul_f32_e32 v9, v4, v7
	v_mul_f32_e32 v7, v5, v7
	s_waitcnt vmcnt(0)
	v_fmac_f32_e32 v9, v5, v8
	v_fma_f32 v4, v4, v8, -v7
	v_add_f32_e32 v2, v2, v9
	v_add_f32_e32 v3, v3, v4
.LBB26_22:
	s_or_b64 exec, exec, s[12:13]
	v_mov_b32_e32 v4, 0
	ds_read_b64 v[4:5], v4 offset:16
	s_waitcnt lgkmcnt(0)
	v_mul_f32_e32 v7, v2, v5
	v_mul_f32_e32 v5, v3, v5
	v_fma_f32 v3, v3, v4, -v7
	v_fmac_f32_e32 v5, v2, v4
	buffer_store_dword v3, off, s[0:3], 0 offset:16
	buffer_store_dword v5, off, s[0:3], 0 offset:20
.LBB26_23:
	s_or_b64 exec, exec, s[6:7]
	s_waitcnt lgkmcnt(0)
	; wave barrier
	buffer_load_dword v2, off, s[0:3], 0 offset:24
	buffer_load_dword v3, off, s[0:3], 0 offset:28
	v_cmp_gt_u32_e32 vcc, 3, v0
	s_waitcnt vmcnt(0)
	ds_write_b64 v1, v[2:3]
	v_add_u32_e32 v2, -1, v0
	s_waitcnt lgkmcnt(0)
	; wave barrier
	s_waitcnt lgkmcnt(0)
	s_and_saveexec_b64 s[4:5], vcc
	s_cbranch_execz .LBB26_27
; %bb.24:
	v_add_u32_e32 v4, -1, v0
	v_add_u32_e32 v5, 0xe0, v6
	v_add_u32_e32 v7, 0, v6
	s_mov_b64 s[6:7], 0
	v_mov_b32_e32 v3, 0
	v_mov_b32_e32 v8, 0
.LBB26_25:                              ; =>This Inner Loop Header: Depth=1
	buffer_load_dword v9, v7, s[0:3], 0 offen offset:4
	buffer_load_dword v66, v7, s[0:3], 0 offen
	ds_read_b64 v[64:65], v5
	v_add_u32_e32 v4, 1, v4
	v_cmp_lt_u32_e32 vcc, 1, v4
	v_add_u32_e32 v5, 8, v5
	v_add_u32_e32 v7, 8, v7
	s_or_b64 s[6:7], vcc, s[6:7]
	s_waitcnt vmcnt(1) lgkmcnt(0)
	v_mul_f32_e32 v67, v65, v9
	v_mul_f32_e32 v9, v64, v9
	s_waitcnt vmcnt(0)
	v_fma_f32 v64, v64, v66, -v67
	v_fmac_f32_e32 v9, v65, v66
	v_add_f32_e32 v8, v8, v64
	v_add_f32_e32 v3, v3, v9
	s_andn2_b64 exec, exec, s[6:7]
	s_cbranch_execnz .LBB26_25
; %bb.26:
	s_or_b64 exec, exec, s[6:7]
	v_mov_b32_e32 v4, 0
	ds_read_b64 v[4:5], v4 offset:24
	s_waitcnt lgkmcnt(0)
	v_mul_f32_e32 v7, v3, v5
	v_mul_f32_e32 v5, v8, v5
	v_fma_f32 v7, v8, v4, -v7
	v_fmac_f32_e32 v5, v3, v4
	buffer_store_dword v7, off, s[0:3], 0 offset:24
	buffer_store_dword v5, off, s[0:3], 0 offset:28
.LBB26_27:
	s_or_b64 exec, exec, s[4:5]
	s_waitcnt lgkmcnt(0)
	; wave barrier
	buffer_load_dword v4, off, s[0:3], 0 offset:32
	buffer_load_dword v5, off, s[0:3], 0 offset:36
	v_cmp_gt_u32_e32 vcc, 4, v0
	s_waitcnt vmcnt(0)
	ds_write_b64 v1, v[4:5]
	s_waitcnt lgkmcnt(0)
	; wave barrier
	s_waitcnt lgkmcnt(0)
	s_and_saveexec_b64 s[4:5], vcc
	s_cbranch_execz .LBB26_31
; %bb.28:
	v_add_u32_e32 v4, -1, v0
	v_add_u32_e32 v5, 0xe0, v6
	v_add_u32_e32 v7, 0, v6
	s_mov_b64 s[6:7], 0
	v_mov_b32_e32 v3, 0
	v_mov_b32_e32 v8, 0
.LBB26_29:                              ; =>This Inner Loop Header: Depth=1
	buffer_load_dword v9, v7, s[0:3], 0 offen offset:4
	buffer_load_dword v66, v7, s[0:3], 0 offen
	ds_read_b64 v[64:65], v5
	v_add_u32_e32 v4, 1, v4
	v_cmp_lt_u32_e32 vcc, 2, v4
	v_add_u32_e32 v5, 8, v5
	v_add_u32_e32 v7, 8, v7
	s_or_b64 s[6:7], vcc, s[6:7]
	s_waitcnt vmcnt(1) lgkmcnt(0)
	v_mul_f32_e32 v67, v65, v9
	v_mul_f32_e32 v9, v64, v9
	s_waitcnt vmcnt(0)
	v_fma_f32 v64, v64, v66, -v67
	v_fmac_f32_e32 v9, v65, v66
	v_add_f32_e32 v8, v8, v64
	v_add_f32_e32 v3, v3, v9
	s_andn2_b64 exec, exec, s[6:7]
	s_cbranch_execnz .LBB26_29
; %bb.30:
	s_or_b64 exec, exec, s[6:7]
	v_mov_b32_e32 v4, 0
	ds_read_b64 v[4:5], v4 offset:32
	s_waitcnt lgkmcnt(0)
	v_mul_f32_e32 v7, v3, v5
	v_mul_f32_e32 v5, v8, v5
	v_fma_f32 v7, v8, v4, -v7
	v_fmac_f32_e32 v5, v3, v4
	buffer_store_dword v7, off, s[0:3], 0 offset:32
	buffer_store_dword v5, off, s[0:3], 0 offset:36
.LBB26_31:
	s_or_b64 exec, exec, s[4:5]
	s_waitcnt lgkmcnt(0)
	; wave barrier
	buffer_load_dword v4, off, s[0:3], 0 offset:40
	buffer_load_dword v5, off, s[0:3], 0 offset:44
	v_cmp_gt_u32_e32 vcc, 5, v0
	s_waitcnt vmcnt(0)
	ds_write_b64 v1, v[4:5]
	;; [unrolled: 51-line block ×19, first 2 shown]
	s_waitcnt lgkmcnt(0)
	; wave barrier
	s_waitcnt lgkmcnt(0)
	s_and_saveexec_b64 s[4:5], vcc
	s_cbranch_execz .LBB26_103
; %bb.100:
	v_add_u32_e32 v4, -1, v0
	v_add_u32_e32 v5, 0xe0, v6
	v_add_u32_e32 v7, 0, v6
	s_mov_b64 s[6:7], 0
	v_mov_b32_e32 v3, 0
	v_mov_b32_e32 v8, 0
.LBB26_101:                             ; =>This Inner Loop Header: Depth=1
	buffer_load_dword v9, v7, s[0:3], 0 offen offset:4
	buffer_load_dword v66, v7, s[0:3], 0 offen
	ds_read_b64 v[64:65], v5
	v_add_u32_e32 v4, 1, v4
	v_cmp_lt_u32_e32 vcc, 20, v4
	v_add_u32_e32 v5, 8, v5
	v_add_u32_e32 v7, 8, v7
	s_or_b64 s[6:7], vcc, s[6:7]
	s_waitcnt vmcnt(1) lgkmcnt(0)
	v_mul_f32_e32 v67, v65, v9
	v_mul_f32_e32 v9, v64, v9
	s_waitcnt vmcnt(0)
	v_fma_f32 v64, v64, v66, -v67
	v_fmac_f32_e32 v9, v65, v66
	v_add_f32_e32 v8, v8, v64
	v_add_f32_e32 v3, v3, v9
	s_andn2_b64 exec, exec, s[6:7]
	s_cbranch_execnz .LBB26_101
; %bb.102:
	s_or_b64 exec, exec, s[6:7]
	v_mov_b32_e32 v4, 0
	ds_read_b64 v[4:5], v4 offset:176
	s_waitcnt lgkmcnt(0)
	v_mul_f32_e32 v7, v3, v5
	v_mul_f32_e32 v5, v8, v5
	v_fma_f32 v7, v8, v4, -v7
	v_fmac_f32_e32 v5, v3, v4
	buffer_store_dword v7, off, s[0:3], 0 offset:176
	buffer_store_dword v5, off, s[0:3], 0 offset:180
.LBB26_103:
	s_or_b64 exec, exec, s[4:5]
	s_waitcnt lgkmcnt(0)
	; wave barrier
	buffer_load_dword v4, off, s[0:3], 0 offset:184
	buffer_load_dword v5, off, s[0:3], 0 offset:188
	v_cmp_gt_u32_e32 vcc, 23, v0
	s_waitcnt vmcnt(0)
	ds_write_b64 v1, v[4:5]
	s_waitcnt lgkmcnt(0)
	; wave barrier
	s_waitcnt lgkmcnt(0)
	s_and_saveexec_b64 s[4:5], vcc
	s_cbranch_execz .LBB26_107
; %bb.104:
	v_add_u32_e32 v4, -1, v0
	v_add_u32_e32 v5, 0xe0, v6
	v_add_u32_e32 v7, 0, v6
	s_mov_b64 s[6:7], 0
	v_mov_b32_e32 v3, 0
	v_mov_b32_e32 v8, 0
.LBB26_105:                             ; =>This Inner Loop Header: Depth=1
	buffer_load_dword v9, v7, s[0:3], 0 offen offset:4
	buffer_load_dword v66, v7, s[0:3], 0 offen
	ds_read_b64 v[64:65], v5
	v_add_u32_e32 v4, 1, v4
	v_cmp_lt_u32_e32 vcc, 21, v4
	v_add_u32_e32 v5, 8, v5
	v_add_u32_e32 v7, 8, v7
	s_or_b64 s[6:7], vcc, s[6:7]
	s_waitcnt vmcnt(1) lgkmcnt(0)
	v_mul_f32_e32 v67, v65, v9
	v_mul_f32_e32 v9, v64, v9
	s_waitcnt vmcnt(0)
	v_fma_f32 v64, v64, v66, -v67
	v_fmac_f32_e32 v9, v65, v66
	v_add_f32_e32 v8, v8, v64
	v_add_f32_e32 v3, v3, v9
	s_andn2_b64 exec, exec, s[6:7]
	s_cbranch_execnz .LBB26_105
; %bb.106:
	s_or_b64 exec, exec, s[6:7]
	v_mov_b32_e32 v4, 0
	ds_read_b64 v[4:5], v4 offset:184
	s_waitcnt lgkmcnt(0)
	v_mul_f32_e32 v7, v3, v5
	v_mul_f32_e32 v5, v8, v5
	v_fma_f32 v7, v8, v4, -v7
	v_fmac_f32_e32 v5, v3, v4
	buffer_store_dword v7, off, s[0:3], 0 offset:184
	buffer_store_dword v5, off, s[0:3], 0 offset:188
.LBB26_107:
	s_or_b64 exec, exec, s[4:5]
	s_waitcnt lgkmcnt(0)
	; wave barrier
	buffer_load_dword v4, off, s[0:3], 0 offset:192
	buffer_load_dword v5, off, s[0:3], 0 offset:196
	v_cmp_gt_u32_e32 vcc, 24, v0
	s_waitcnt vmcnt(0)
	ds_write_b64 v1, v[4:5]
	;; [unrolled: 51-line block ×3, first 2 shown]
	s_waitcnt lgkmcnt(0)
	; wave barrier
	s_waitcnt lgkmcnt(0)
	s_and_saveexec_b64 s[4:5], vcc
	s_cbranch_execz .LBB26_115
; %bb.112:
	v_add_u32_e32 v4, -1, v0
	v_add_u32_e32 v5, 0xe0, v6
	v_add_u32_e32 v7, 0, v6
	s_mov_b64 s[6:7], 0
	v_mov_b32_e32 v3, 0
	v_mov_b32_e32 v8, 0
.LBB26_113:                             ; =>This Inner Loop Header: Depth=1
	buffer_load_dword v9, v7, s[0:3], 0 offen offset:4
	buffer_load_dword v66, v7, s[0:3], 0 offen
	ds_read_b64 v[64:65], v5
	v_add_u32_e32 v4, 1, v4
	v_cmp_lt_u32_e32 vcc, 23, v4
	v_add_u32_e32 v5, 8, v5
	v_add_u32_e32 v7, 8, v7
	s_or_b64 s[6:7], vcc, s[6:7]
	s_waitcnt vmcnt(1) lgkmcnt(0)
	v_mul_f32_e32 v67, v65, v9
	v_mul_f32_e32 v9, v64, v9
	s_waitcnt vmcnt(0)
	v_fma_f32 v64, v64, v66, -v67
	v_fmac_f32_e32 v9, v65, v66
	v_add_f32_e32 v8, v8, v64
	v_add_f32_e32 v3, v3, v9
	s_andn2_b64 exec, exec, s[6:7]
	s_cbranch_execnz .LBB26_113
; %bb.114:
	s_or_b64 exec, exec, s[6:7]
	v_mov_b32_e32 v4, 0
	ds_read_b64 v[4:5], v4 offset:200
	s_waitcnt lgkmcnt(0)
	v_mul_f32_e32 v7, v3, v5
	v_mul_f32_e32 v5, v8, v5
	v_fma_f32 v7, v8, v4, -v7
	v_fmac_f32_e32 v5, v3, v4
	buffer_store_dword v7, off, s[0:3], 0 offset:200
	buffer_store_dword v5, off, s[0:3], 0 offset:204
.LBB26_115:
	s_or_b64 exec, exec, s[4:5]
	s_waitcnt lgkmcnt(0)
	; wave barrier
	buffer_load_dword v4, off, s[0:3], 0 offset:208
	buffer_load_dword v5, off, s[0:3], 0 offset:212
	v_cmp_ne_u32_e32 vcc, 26, v0
	s_waitcnt vmcnt(0)
	ds_write_b64 v1, v[4:5]
	s_waitcnt lgkmcnt(0)
	; wave barrier
	s_waitcnt lgkmcnt(0)
	s_and_saveexec_b64 s[4:5], vcc
	s_cbranch_execz .LBB26_119
; %bb.116:
	v_add_u32_e32 v3, 0xe0, v6
	v_add_u32_e32 v4, 0, v6
	s_mov_b64 s[6:7], 0
	v_mov_b32_e32 v1, 0
	v_mov_b32_e32 v5, 0
.LBB26_117:                             ; =>This Inner Loop Header: Depth=1
	buffer_load_dword v8, v4, s[0:3], 0 offen offset:4
	buffer_load_dword v9, v4, s[0:3], 0 offen
	ds_read_b64 v[6:7], v3
	v_add_u32_e32 v2, 1, v2
	v_cmp_lt_u32_e32 vcc, 24, v2
	v_add_u32_e32 v3, 8, v3
	v_add_u32_e32 v4, 8, v4
	s_or_b64 s[6:7], vcc, s[6:7]
	s_waitcnt vmcnt(1) lgkmcnt(0)
	v_mul_f32_e32 v64, v7, v8
	v_mul_f32_e32 v8, v6, v8
	s_waitcnt vmcnt(0)
	v_fma_f32 v6, v6, v9, -v64
	v_fmac_f32_e32 v8, v7, v9
	v_add_f32_e32 v5, v5, v6
	v_add_f32_e32 v1, v1, v8
	s_andn2_b64 exec, exec, s[6:7]
	s_cbranch_execnz .LBB26_117
; %bb.118:
	s_or_b64 exec, exec, s[6:7]
	v_mov_b32_e32 v2, 0
	ds_read_b64 v[2:3], v2 offset:208
	s_waitcnt lgkmcnt(0)
	v_mul_f32_e32 v4, v1, v3
	v_mul_f32_e32 v3, v5, v3
	v_fma_f32 v4, v5, v2, -v4
	v_fmac_f32_e32 v3, v1, v2
	buffer_store_dword v4, off, s[0:3], 0 offset:208
	buffer_store_dword v3, off, s[0:3], 0 offset:212
.LBB26_119:
	s_or_b64 exec, exec, s[4:5]
	s_mov_b64 s[6:7], -1
	s_waitcnt lgkmcnt(0)
	; wave barrier
.LBB26_120:
	s_and_b64 vcc, exec, s[6:7]
	s_cbranch_vccz .LBB26_122
; %bb.121:
	s_lshl_b64 s[4:5], s[8:9], 2
	s_add_u32 s4, s14, s4
	s_addc_u32 s5, s15, s5
	v_mov_b32_e32 v1, 0
	global_load_dword v1, v1, s[4:5]
	s_waitcnt vmcnt(0)
	v_cmp_ne_u32_e32 vcc, 0, v1
	s_cbranch_vccz .LBB26_123
.LBB26_122:
	s_endpgm
.LBB26_123:
	v_mov_b32_e32 v1, 0xe0
	v_lshl_add_u32 v1, v0, 3, v1
	v_cmp_eq_u32_e32 vcc, 26, v0
	s_and_saveexec_b64 s[4:5], vcc
	s_cbranch_execz .LBB26_125
; %bb.124:
	buffer_load_dword v2, off, s[0:3], 0 offset:200
	buffer_load_dword v3, off, s[0:3], 0 offset:204
	v_mov_b32_e32 v4, 0
	buffer_store_dword v4, off, s[0:3], 0 offset:200
	buffer_store_dword v4, off, s[0:3], 0 offset:204
	s_waitcnt vmcnt(2)
	ds_write_b64 v1, v[2:3]
.LBB26_125:
	s_or_b64 exec, exec, s[4:5]
	s_waitcnt lgkmcnt(0)
	; wave barrier
	s_waitcnt lgkmcnt(0)
	buffer_load_dword v5, off, s[0:3], 0 offset:212
	buffer_load_dword v4, off, s[0:3], 0 offset:208
	;; [unrolled: 1-line block ×4, first 2 shown]
	v_mov_b32_e32 v2, 0
	ds_read_b64 v[8:9], v2 offset:432
	v_cmp_lt_u32_e32 vcc, 24, v0
	s_waitcnt vmcnt(3)
	v_mov_b32_e32 v64, v5
	s_waitcnt lgkmcnt(0)
	v_pk_mul_f32 v[64:65], v[8:9], v[64:65] op_sel_hi:[1,0]
	s_waitcnt vmcnt(2)
	v_pk_fma_f32 v[66:67], v[8:9], v[4:5], v[64:65] op_sel:[0,0,1] op_sel_hi:[1,1,0] neg_lo:[0,0,1] neg_hi:[0,0,1]
	v_pk_fma_f32 v[4:5], v[8:9], v[4:5], v[64:65] op_sel:[0,0,1] op_sel_hi:[1,0,0]
	v_mov_b32_e32 v67, v5
	v_pk_add_f32 v[4:5], v[66:67], 0 op_sel_hi:[1,0]
	s_waitcnt vmcnt(0)
	v_pk_add_f32 v[4:5], v[6:7], v[4:5] neg_lo:[0,1] neg_hi:[0,1]
	buffer_store_dword v4, off, s[0:3], 0 offset:200
	buffer_store_dword v5, off, s[0:3], 0 offset:204
	s_and_saveexec_b64 s[4:5], vcc
	s_cbranch_execz .LBB26_127
; %bb.126:
	buffer_load_dword v4, off, s[0:3], 0 offset:192
	buffer_load_dword v5, off, s[0:3], 0 offset:196
	s_waitcnt vmcnt(0)
	ds_write_b64 v1, v[4:5]
	buffer_store_dword v2, off, s[0:3], 0 offset:192
	buffer_store_dword v2, off, s[0:3], 0 offset:196
.LBB26_127:
	s_or_b64 exec, exec, s[4:5]
	s_waitcnt lgkmcnt(0)
	; wave barrier
	s_waitcnt lgkmcnt(0)
	buffer_load_dword v7, off, s[0:3], 0 offset:204
	buffer_load_dword v9, off, s[0:3], 0 offset:212
	;; [unrolled: 1-line block ×6, first 2 shown]
	ds_read2_b64 v[2:5], v2 offset0:53 offset1:54
	v_cmp_lt_u32_e32 vcc, 23, v0
	s_waitcnt vmcnt(5)
	v_mov_b32_e32 v66, v7
	s_waitcnt vmcnt(4)
	v_mov_b32_e32 v68, v9
	s_waitcnt lgkmcnt(0)
	v_pk_mul_f32 v[66:67], v[2:3], v[66:67] op_sel_hi:[1,0]
	v_pk_mul_f32 v[68:69], v[4:5], v[68:69] op_sel_hi:[1,0]
	s_waitcnt vmcnt(3)
	v_pk_fma_f32 v[70:71], v[2:3], v[6:7], v[66:67] op_sel:[0,0,1] op_sel_hi:[1,1,0] neg_lo:[0,0,1] neg_hi:[0,0,1]
	v_pk_fma_f32 v[2:3], v[2:3], v[6:7], v[66:67] op_sel:[0,0,1] op_sel_hi:[1,0,0]
	s_waitcnt vmcnt(2)
	v_pk_fma_f32 v[6:7], v[4:5], v[8:9], v[68:69] op_sel:[0,0,1] op_sel_hi:[1,1,0] neg_lo:[0,0,1] neg_hi:[0,0,1]
	v_pk_fma_f32 v[4:5], v[4:5], v[8:9], v[68:69] op_sel:[0,0,1] op_sel_hi:[1,0,0]
	v_mov_b32_e32 v71, v3
	v_mov_b32_e32 v7, v5
	v_pk_add_f32 v[2:3], v[70:71], 0 op_sel_hi:[1,0]
	v_pk_add_f32 v[2:3], v[2:3], v[6:7]
	s_waitcnt vmcnt(0)
	v_pk_add_f32 v[2:3], v[64:65], v[2:3] neg_lo:[0,1] neg_hi:[0,1]
	buffer_store_dword v2, off, s[0:3], 0 offset:192
	buffer_store_dword v3, off, s[0:3], 0 offset:196
	s_and_saveexec_b64 s[4:5], vcc
	s_cbranch_execz .LBB26_129
; %bb.128:
	buffer_load_dword v2, off, s[0:3], 0 offset:184
	buffer_load_dword v3, off, s[0:3], 0 offset:188
	v_mov_b32_e32 v4, 0
	buffer_store_dword v4, off, s[0:3], 0 offset:184
	buffer_store_dword v4, off, s[0:3], 0 offset:188
	s_waitcnt vmcnt(2)
	ds_write_b64 v1, v[2:3]
.LBB26_129:
	s_or_b64 exec, exec, s[4:5]
	s_waitcnt lgkmcnt(0)
	; wave barrier
	s_waitcnt lgkmcnt(0)
	buffer_load_dword v9, off, s[0:3], 0 offset:196
	buffer_load_dword v65, off, s[0:3], 0 offset:204
	;; [unrolled: 1-line block ×8, first 2 shown]
	v_mov_b32_e32 v2, 0
	ds_read_b128 v[4:7], v2 offset:416
	ds_read_b64 v[70:71], v2 offset:432
	v_cmp_lt_u32_e32 vcc, 22, v0
	s_waitcnt vmcnt(7)
	v_mov_b32_e32 v72, v9
	s_waitcnt vmcnt(6)
	v_mov_b32_e32 v74, v65
	s_waitcnt lgkmcnt(1)
	v_pk_mul_f32 v[72:73], v[4:5], v[72:73] op_sel_hi:[1,0]
	s_waitcnt vmcnt(5)
	v_mov_b32_e32 v76, v67
	v_pk_mul_f32 v[74:75], v[6:7], v[74:75] op_sel_hi:[1,0]
	s_waitcnt vmcnt(4)
	v_pk_fma_f32 v[78:79], v[4:5], v[8:9], v[72:73] op_sel:[0,0,1] op_sel_hi:[1,1,0] neg_lo:[0,0,1] neg_hi:[0,0,1]
	v_pk_fma_f32 v[4:5], v[4:5], v[8:9], v[72:73] op_sel:[0,0,1] op_sel_hi:[1,0,0]
	s_waitcnt lgkmcnt(0)
	v_pk_mul_f32 v[76:77], v[70:71], v[76:77] op_sel_hi:[1,0]
	s_waitcnt vmcnt(3)
	v_pk_fma_f32 v[8:9], v[6:7], v[64:65], v[74:75] op_sel:[0,0,1] op_sel_hi:[1,1,0] neg_lo:[0,0,1] neg_hi:[0,0,1]
	v_pk_fma_f32 v[6:7], v[6:7], v[64:65], v[74:75] op_sel:[0,0,1] op_sel_hi:[1,0,0]
	v_mov_b32_e32 v79, v5
	s_waitcnt vmcnt(2)
	v_pk_fma_f32 v[64:65], v[70:71], v[66:67], v[76:77] op_sel:[0,0,1] op_sel_hi:[1,1,0] neg_lo:[0,0,1] neg_hi:[0,0,1]
	v_pk_fma_f32 v[66:67], v[70:71], v[66:67], v[76:77] op_sel:[0,0,1] op_sel_hi:[1,0,0]
	v_mov_b32_e32 v9, v7
	v_pk_add_f32 v[4:5], v[78:79], 0 op_sel_hi:[1,0]
	v_mov_b32_e32 v65, v67
	v_pk_add_f32 v[4:5], v[4:5], v[8:9]
	v_pk_add_f32 v[4:5], v[4:5], v[64:65]
	s_waitcnt vmcnt(0)
	v_pk_add_f32 v[4:5], v[68:69], v[4:5] neg_lo:[0,1] neg_hi:[0,1]
	buffer_store_dword v4, off, s[0:3], 0 offset:184
	buffer_store_dword v5, off, s[0:3], 0 offset:188
	s_and_saveexec_b64 s[4:5], vcc
	s_cbranch_execz .LBB26_131
; %bb.130:
	buffer_load_dword v4, off, s[0:3], 0 offset:176
	buffer_load_dword v5, off, s[0:3], 0 offset:180
	s_waitcnt vmcnt(0)
	ds_write_b64 v1, v[4:5]
	buffer_store_dword v2, off, s[0:3], 0 offset:176
	buffer_store_dword v2, off, s[0:3], 0 offset:180
.LBB26_131:
	s_or_b64 exec, exec, s[4:5]
	s_waitcnt lgkmcnt(0)
	; wave barrier
	s_waitcnt lgkmcnt(0)
	buffer_load_dword v9, off, s[0:3], 0 offset:188
	buffer_load_dword v69, off, s[0:3], 0 offset:196
	;; [unrolled: 1-line block ×10, first 2 shown]
	ds_read2_b64 v[4:7], v2 offset0:51 offset1:52
	ds_read2_b64 v[64:67], v2 offset0:53 offset1:54
	v_cmp_lt_u32_e32 vcc, 21, v0
	s_waitcnt vmcnt(9)
	v_mov_b32_e32 v2, v9
	s_waitcnt vmcnt(8)
	v_mov_b32_e32 v76, v69
	s_waitcnt lgkmcnt(1)
	v_pk_mul_f32 v[2:3], v[4:5], v[2:3] op_sel_hi:[1,0]
	s_waitcnt vmcnt(7)
	v_mov_b32_e32 v78, v71
	v_pk_mul_f32 v[76:77], v[6:7], v[76:77] op_sel_hi:[1,0]
	s_waitcnt vmcnt(5)
	v_pk_fma_f32 v[82:83], v[4:5], v[8:9], v[2:3] op_sel:[0,0,1] op_sel_hi:[1,1,0] neg_lo:[0,0,1] neg_hi:[0,0,1]
	v_pk_fma_f32 v[2:3], v[4:5], v[8:9], v[2:3] op_sel:[0,0,1] op_sel_hi:[1,0,0]
	v_mov_b32_e32 v80, v73
	s_waitcnt lgkmcnt(0)
	v_pk_mul_f32 v[78:79], v[64:65], v[78:79] op_sel_hi:[1,0]
	s_waitcnt vmcnt(4)
	v_pk_fma_f32 v[4:5], v[6:7], v[68:69], v[76:77] op_sel:[0,0,1] op_sel_hi:[1,1,0] neg_lo:[0,0,1] neg_hi:[0,0,1]
	v_pk_fma_f32 v[6:7], v[6:7], v[68:69], v[76:77] op_sel:[0,0,1] op_sel_hi:[1,0,0]
	v_mov_b32_e32 v83, v3
	v_pk_mul_f32 v[80:81], v[66:67], v[80:81] op_sel_hi:[1,0]
	s_waitcnt vmcnt(3)
	v_pk_fma_f32 v[8:9], v[64:65], v[70:71], v[78:79] op_sel:[0,0,1] op_sel_hi:[1,1,0] neg_lo:[0,0,1] neg_hi:[0,0,1]
	v_pk_fma_f32 v[64:65], v[64:65], v[70:71], v[78:79] op_sel:[0,0,1] op_sel_hi:[1,0,0]
	v_mov_b32_e32 v5, v7
	v_pk_add_f32 v[2:3], v[82:83], 0 op_sel_hi:[1,0]
	s_waitcnt vmcnt(2)
	v_pk_fma_f32 v[68:69], v[66:67], v[72:73], v[80:81] op_sel:[0,0,1] op_sel_hi:[1,1,0] neg_lo:[0,0,1] neg_hi:[0,0,1]
	v_pk_fma_f32 v[66:67], v[66:67], v[72:73], v[80:81] op_sel:[0,0,1] op_sel_hi:[1,0,0]
	v_mov_b32_e32 v9, v65
	v_pk_add_f32 v[2:3], v[2:3], v[4:5]
	v_mov_b32_e32 v69, v67
	v_pk_add_f32 v[2:3], v[2:3], v[8:9]
	v_pk_add_f32 v[2:3], v[2:3], v[68:69]
	s_waitcnt vmcnt(0)
	v_pk_add_f32 v[2:3], v[74:75], v[2:3] neg_lo:[0,1] neg_hi:[0,1]
	buffer_store_dword v2, off, s[0:3], 0 offset:176
	buffer_store_dword v3, off, s[0:3], 0 offset:180
	s_and_saveexec_b64 s[4:5], vcc
	s_cbranch_execz .LBB26_133
; %bb.132:
	buffer_load_dword v2, off, s[0:3], 0 offset:168
	buffer_load_dword v3, off, s[0:3], 0 offset:172
	v_mov_b32_e32 v4, 0
	buffer_store_dword v4, off, s[0:3], 0 offset:168
	buffer_store_dword v4, off, s[0:3], 0 offset:172
	s_waitcnt vmcnt(2)
	ds_write_b64 v1, v[2:3]
.LBB26_133:
	s_or_b64 exec, exec, s[4:5]
	s_waitcnt lgkmcnt(0)
	; wave barrier
	s_waitcnt lgkmcnt(0)
	buffer_load_dword v9, off, s[0:3], 0 offset:180
	buffer_load_dword v69, off, s[0:3], 0 offset:188
	;; [unrolled: 1-line block ×12, first 2 shown]
	v_mov_b32_e32 v2, 0
	ds_read_b128 v[4:7], v2 offset:400
	ds_read_b128 v[64:67], v2 offset:416
	ds_read_b64 v[78:79], v2 offset:432
	v_cmp_lt_u32_e32 vcc, 20, v0
	s_waitcnt vmcnt(11)
	v_mov_b32_e32 v80, v9
	s_waitcnt vmcnt(10)
	v_mov_b32_e32 v82, v69
	s_waitcnt lgkmcnt(2)
	v_pk_mul_f32 v[80:81], v[4:5], v[80:81] op_sel_hi:[1,0]
	s_waitcnt vmcnt(9)
	v_mov_b32_e32 v84, v71
	v_pk_mul_f32 v[82:83], v[6:7], v[82:83] op_sel_hi:[1,0]
	s_waitcnt vmcnt(6)
	v_pk_fma_f32 v[90:91], v[4:5], v[8:9], v[80:81] op_sel:[0,0,1] op_sel_hi:[1,1,0] neg_lo:[0,0,1] neg_hi:[0,0,1]
	v_pk_fma_f32 v[4:5], v[4:5], v[8:9], v[80:81] op_sel:[0,0,1] op_sel_hi:[1,0,0]
	v_mov_b32_e32 v86, v73
	s_waitcnt lgkmcnt(1)
	v_pk_mul_f32 v[84:85], v[64:65], v[84:85] op_sel_hi:[1,0]
	s_waitcnt vmcnt(5)
	v_pk_fma_f32 v[8:9], v[6:7], v[68:69], v[82:83] op_sel:[0,0,1] op_sel_hi:[1,1,0] neg_lo:[0,0,1] neg_hi:[0,0,1]
	v_pk_fma_f32 v[6:7], v[6:7], v[68:69], v[82:83] op_sel:[0,0,1] op_sel_hi:[1,0,0]
	v_mov_b32_e32 v91, v5
	v_mov_b32_e32 v88, v75
	v_pk_mul_f32 v[86:87], v[66:67], v[86:87] op_sel_hi:[1,0]
	s_waitcnt vmcnt(4)
	v_pk_fma_f32 v[68:69], v[64:65], v[70:71], v[84:85] op_sel:[0,0,1] op_sel_hi:[1,1,0] neg_lo:[0,0,1] neg_hi:[0,0,1]
	v_pk_fma_f32 v[64:65], v[64:65], v[70:71], v[84:85] op_sel:[0,0,1] op_sel_hi:[1,0,0]
	v_mov_b32_e32 v9, v7
	v_pk_add_f32 v[4:5], v[90:91], 0 op_sel_hi:[1,0]
	s_waitcnt lgkmcnt(0)
	v_pk_mul_f32 v[88:89], v[78:79], v[88:89] op_sel_hi:[1,0]
	s_waitcnt vmcnt(3)
	v_pk_fma_f32 v[70:71], v[66:67], v[72:73], v[86:87] op_sel:[0,0,1] op_sel_hi:[1,1,0] neg_lo:[0,0,1] neg_hi:[0,0,1]
	v_pk_fma_f32 v[66:67], v[66:67], v[72:73], v[86:87] op_sel:[0,0,1] op_sel_hi:[1,0,0]
	v_mov_b32_e32 v69, v65
	v_pk_add_f32 v[4:5], v[4:5], v[8:9]
	s_waitcnt vmcnt(2)
	v_pk_fma_f32 v[72:73], v[78:79], v[74:75], v[88:89] op_sel:[0,0,1] op_sel_hi:[1,1,0] neg_lo:[0,0,1] neg_hi:[0,0,1]
	v_pk_fma_f32 v[74:75], v[78:79], v[74:75], v[88:89] op_sel:[0,0,1] op_sel_hi:[1,0,0]
	v_mov_b32_e32 v71, v67
	v_pk_add_f32 v[4:5], v[4:5], v[68:69]
	v_mov_b32_e32 v73, v75
	v_pk_add_f32 v[4:5], v[4:5], v[70:71]
	v_pk_add_f32 v[4:5], v[4:5], v[72:73]
	s_waitcnt vmcnt(0)
	v_pk_add_f32 v[4:5], v[76:77], v[4:5] neg_lo:[0,1] neg_hi:[0,1]
	buffer_store_dword v4, off, s[0:3], 0 offset:168
	buffer_store_dword v5, off, s[0:3], 0 offset:172
	s_and_saveexec_b64 s[4:5], vcc
	s_cbranch_execz .LBB26_135
; %bb.134:
	buffer_load_dword v4, off, s[0:3], 0 offset:160
	buffer_load_dword v5, off, s[0:3], 0 offset:164
	s_waitcnt vmcnt(0)
	ds_write_b64 v1, v[4:5]
	buffer_store_dword v2, off, s[0:3], 0 offset:160
	buffer_store_dword v2, off, s[0:3], 0 offset:164
.LBB26_135:
	s_or_b64 exec, exec, s[4:5]
	s_waitcnt lgkmcnt(0)
	; wave barrier
	s_waitcnt lgkmcnt(0)
	buffer_load_dword v9, off, s[0:3], 0 offset:172
	buffer_load_dword v73, off, s[0:3], 0 offset:180
	;; [unrolled: 1-line block ×14, first 2 shown]
	ds_read2_b64 v[4:7], v2 offset0:49 offset1:50
	ds_read2_b64 v[64:67], v2 offset0:51 offset1:52
	;; [unrolled: 1-line block ×3, first 2 shown]
	v_cmp_lt_u32_e32 vcc, 19, v0
	s_waitcnt vmcnt(13)
	v_mov_b32_e32 v2, v9
	s_waitcnt vmcnt(12)
	v_mov_b32_e32 v84, v73
	s_waitcnt lgkmcnt(2)
	v_pk_mul_f32 v[2:3], v[4:5], v[2:3] op_sel_hi:[1,0]
	s_waitcnt vmcnt(11)
	v_mov_b32_e32 v86, v75
	v_pk_mul_f32 v[84:85], v[6:7], v[84:85] op_sel_hi:[1,0]
	s_waitcnt vmcnt(10)
	v_mov_b32_e32 v88, v77
	s_waitcnt vmcnt(7)
	v_pk_fma_f32 v[94:95], v[4:5], v[8:9], v[2:3] op_sel:[0,0,1] op_sel_hi:[1,1,0] neg_lo:[0,0,1] neg_hi:[0,0,1]
	v_pk_fma_f32 v[2:3], v[4:5], v[8:9], v[2:3] op_sel:[0,0,1] op_sel_hi:[1,0,0]
	s_waitcnt lgkmcnt(1)
	v_pk_mul_f32 v[86:87], v[64:65], v[86:87] op_sel_hi:[1,0]
	s_waitcnt vmcnt(6)
	v_pk_fma_f32 v[4:5], v[6:7], v[72:73], v[84:85] op_sel:[0,0,1] op_sel_hi:[1,1,0] neg_lo:[0,0,1] neg_hi:[0,0,1]
	v_pk_fma_f32 v[6:7], v[6:7], v[72:73], v[84:85] op_sel:[0,0,1] op_sel_hi:[1,0,0]
	v_mov_b32_e32 v95, v3
	v_mov_b32_e32 v90, v79
	v_pk_mul_f32 v[88:89], v[66:67], v[88:89] op_sel_hi:[1,0]
	s_waitcnt vmcnt(5)
	v_pk_fma_f32 v[8:9], v[64:65], v[74:75], v[86:87] op_sel:[0,0,1] op_sel_hi:[1,1,0] neg_lo:[0,0,1] neg_hi:[0,0,1]
	v_pk_fma_f32 v[64:65], v[64:65], v[74:75], v[86:87] op_sel:[0,0,1] op_sel_hi:[1,0,0]
	v_mov_b32_e32 v5, v7
	v_pk_add_f32 v[2:3], v[94:95], 0 op_sel_hi:[1,0]
	v_mov_b32_e32 v92, v81
	s_waitcnt lgkmcnt(0)
	v_pk_mul_f32 v[90:91], v[68:69], v[90:91] op_sel_hi:[1,0]
	s_waitcnt vmcnt(4)
	v_pk_fma_f32 v[72:73], v[66:67], v[76:77], v[88:89] op_sel:[0,0,1] op_sel_hi:[1,1,0] neg_lo:[0,0,1] neg_hi:[0,0,1]
	v_pk_fma_f32 v[66:67], v[66:67], v[76:77], v[88:89] op_sel:[0,0,1] op_sel_hi:[1,0,0]
	v_mov_b32_e32 v9, v65
	v_pk_add_f32 v[2:3], v[2:3], v[4:5]
	v_pk_mul_f32 v[92:93], v[70:71], v[92:93] op_sel_hi:[1,0]
	s_waitcnt vmcnt(3)
	v_pk_fma_f32 v[74:75], v[68:69], v[78:79], v[90:91] op_sel:[0,0,1] op_sel_hi:[1,1,0] neg_lo:[0,0,1] neg_hi:[0,0,1]
	v_pk_fma_f32 v[68:69], v[68:69], v[78:79], v[90:91] op_sel:[0,0,1] op_sel_hi:[1,0,0]
	v_mov_b32_e32 v73, v67
	v_pk_add_f32 v[2:3], v[2:3], v[8:9]
	s_waitcnt vmcnt(2)
	v_pk_fma_f32 v[76:77], v[70:71], v[80:81], v[92:93] op_sel:[0,0,1] op_sel_hi:[1,1,0] neg_lo:[0,0,1] neg_hi:[0,0,1]
	v_pk_fma_f32 v[70:71], v[70:71], v[80:81], v[92:93] op_sel:[0,0,1] op_sel_hi:[1,0,0]
	v_mov_b32_e32 v75, v69
	v_pk_add_f32 v[2:3], v[2:3], v[72:73]
	v_mov_b32_e32 v77, v71
	v_pk_add_f32 v[2:3], v[2:3], v[74:75]
	v_pk_add_f32 v[2:3], v[2:3], v[76:77]
	s_waitcnt vmcnt(0)
	v_pk_add_f32 v[2:3], v[82:83], v[2:3] neg_lo:[0,1] neg_hi:[0,1]
	buffer_store_dword v2, off, s[0:3], 0 offset:160
	buffer_store_dword v3, off, s[0:3], 0 offset:164
	s_and_saveexec_b64 s[4:5], vcc
	s_cbranch_execz .LBB26_137
; %bb.136:
	buffer_load_dword v2, off, s[0:3], 0 offset:152
	buffer_load_dword v3, off, s[0:3], 0 offset:156
	v_mov_b32_e32 v4, 0
	buffer_store_dword v4, off, s[0:3], 0 offset:152
	buffer_store_dword v4, off, s[0:3], 0 offset:156
	s_waitcnt vmcnt(2)
	ds_write_b64 v1, v[2:3]
.LBB26_137:
	s_or_b64 exec, exec, s[4:5]
	s_waitcnt lgkmcnt(0)
	; wave barrier
	s_waitcnt lgkmcnt(0)
	buffer_load_dword v9, off, s[0:3], 0 offset:164
	buffer_load_dword v73, off, s[0:3], 0 offset:172
	;; [unrolled: 1-line block ×16, first 2 shown]
	v_mov_b32_e32 v2, 0
	ds_read_b128 v[4:7], v2 offset:384
	ds_read_b128 v[64:67], v2 offset:400
	;; [unrolled: 1-line block ×3, first 2 shown]
	ds_read_b64 v[86:87], v2 offset:432
	v_cmp_lt_u32_e32 vcc, 18, v0
	s_waitcnt vmcnt(15)
	v_mov_b32_e32 v88, v9
	s_waitcnt vmcnt(14)
	v_mov_b32_e32 v90, v73
	s_waitcnt lgkmcnt(3)
	v_pk_mul_f32 v[88:89], v[4:5], v[88:89] op_sel_hi:[1,0]
	s_waitcnt vmcnt(13)
	v_mov_b32_e32 v92, v75
	v_pk_mul_f32 v[90:91], v[6:7], v[90:91] op_sel_hi:[1,0]
	s_waitcnt vmcnt(12)
	v_mov_b32_e32 v94, v77
	s_waitcnt lgkmcnt(2)
	v_pk_mul_f32 v[92:93], v[64:65], v[92:93] op_sel_hi:[1,0]
	s_waitcnt vmcnt(8)
	v_pk_fma_f32 v[102:103], v[4:5], v[8:9], v[88:89] op_sel:[0,0,1] op_sel_hi:[1,1,0] neg_lo:[0,0,1] neg_hi:[0,0,1]
	v_pk_fma_f32 v[4:5], v[4:5], v[8:9], v[88:89] op_sel:[0,0,1] op_sel_hi:[1,0,0]
	s_waitcnt vmcnt(7)
	v_pk_fma_f32 v[8:9], v[6:7], v[72:73], v[90:91] op_sel:[0,0,1] op_sel_hi:[1,1,0] neg_lo:[0,0,1] neg_hi:[0,0,1]
	v_pk_fma_f32 v[6:7], v[6:7], v[72:73], v[90:91] op_sel:[0,0,1] op_sel_hi:[1,0,0]
	v_mov_b32_e32 v103, v5
	v_mov_b32_e32 v96, v79
	v_pk_mul_f32 v[94:95], v[66:67], v[94:95] op_sel_hi:[1,0]
	s_waitcnt vmcnt(6)
	v_pk_fma_f32 v[72:73], v[64:65], v[74:75], v[92:93] op_sel:[0,0,1] op_sel_hi:[1,1,0] neg_lo:[0,0,1] neg_hi:[0,0,1]
	v_pk_fma_f32 v[64:65], v[64:65], v[74:75], v[92:93] op_sel:[0,0,1] op_sel_hi:[1,0,0]
	v_mov_b32_e32 v9, v7
	v_pk_add_f32 v[4:5], v[102:103], 0 op_sel_hi:[1,0]
	v_mov_b32_e32 v98, v81
	s_waitcnt lgkmcnt(1)
	v_pk_mul_f32 v[96:97], v[68:69], v[96:97] op_sel_hi:[1,0]
	s_waitcnt vmcnt(5)
	v_pk_fma_f32 v[74:75], v[66:67], v[76:77], v[94:95] op_sel:[0,0,1] op_sel_hi:[1,1,0] neg_lo:[0,0,1] neg_hi:[0,0,1]
	v_pk_fma_f32 v[66:67], v[66:67], v[76:77], v[94:95] op_sel:[0,0,1] op_sel_hi:[1,0,0]
	v_mov_b32_e32 v73, v65
	v_pk_add_f32 v[4:5], v[4:5], v[8:9]
	v_mov_b32_e32 v100, v83
	v_pk_mul_f32 v[98:99], v[70:71], v[98:99] op_sel_hi:[1,0]
	s_waitcnt vmcnt(4)
	v_pk_fma_f32 v[76:77], v[68:69], v[78:79], v[96:97] op_sel:[0,0,1] op_sel_hi:[1,1,0] neg_lo:[0,0,1] neg_hi:[0,0,1]
	v_pk_fma_f32 v[68:69], v[68:69], v[78:79], v[96:97] op_sel:[0,0,1] op_sel_hi:[1,0,0]
	v_mov_b32_e32 v75, v67
	v_pk_add_f32 v[4:5], v[4:5], v[72:73]
	s_waitcnt lgkmcnt(0)
	v_pk_mul_f32 v[100:101], v[86:87], v[100:101] op_sel_hi:[1,0]
	s_waitcnt vmcnt(3)
	v_pk_fma_f32 v[78:79], v[70:71], v[80:81], v[98:99] op_sel:[0,0,1] op_sel_hi:[1,1,0] neg_lo:[0,0,1] neg_hi:[0,0,1]
	v_pk_fma_f32 v[70:71], v[70:71], v[80:81], v[98:99] op_sel:[0,0,1] op_sel_hi:[1,0,0]
	v_mov_b32_e32 v77, v69
	v_pk_add_f32 v[4:5], v[4:5], v[74:75]
	s_waitcnt vmcnt(2)
	v_pk_fma_f32 v[80:81], v[86:87], v[82:83], v[100:101] op_sel:[0,0,1] op_sel_hi:[1,1,0] neg_lo:[0,0,1] neg_hi:[0,0,1]
	v_pk_fma_f32 v[82:83], v[86:87], v[82:83], v[100:101] op_sel:[0,0,1] op_sel_hi:[1,0,0]
	v_mov_b32_e32 v79, v71
	v_pk_add_f32 v[4:5], v[4:5], v[76:77]
	v_mov_b32_e32 v81, v83
	v_pk_add_f32 v[4:5], v[4:5], v[78:79]
	v_pk_add_f32 v[4:5], v[4:5], v[80:81]
	s_waitcnt vmcnt(0)
	v_pk_add_f32 v[4:5], v[84:85], v[4:5] neg_lo:[0,1] neg_hi:[0,1]
	buffer_store_dword v4, off, s[0:3], 0 offset:152
	buffer_store_dword v5, off, s[0:3], 0 offset:156
	s_and_saveexec_b64 s[4:5], vcc
	s_cbranch_execz .LBB26_139
; %bb.138:
	buffer_load_dword v4, off, s[0:3], 0 offset:144
	buffer_load_dword v5, off, s[0:3], 0 offset:148
	s_waitcnt vmcnt(0)
	ds_write_b64 v1, v[4:5]
	buffer_store_dword v2, off, s[0:3], 0 offset:144
	buffer_store_dword v2, off, s[0:3], 0 offset:148
.LBB26_139:
	s_or_b64 exec, exec, s[4:5]
	s_waitcnt lgkmcnt(0)
	; wave barrier
	s_waitcnt lgkmcnt(0)
	buffer_load_dword v9, off, s[0:3], 0 offset:156
	buffer_load_dword v77, off, s[0:3], 0 offset:164
	;; [unrolled: 1-line block ×18, first 2 shown]
	ds_read2_b64 v[4:7], v2 offset0:47 offset1:48
	ds_read2_b64 v[64:67], v2 offset0:49 offset1:50
	;; [unrolled: 1-line block ×4, first 2 shown]
	v_cmp_lt_u32_e32 vcc, 17, v0
	s_waitcnt vmcnt(17)
	v_mov_b32_e32 v2, v9
	s_waitcnt vmcnt(16)
	v_mov_b32_e32 v92, v77
	s_waitcnt lgkmcnt(3)
	v_pk_mul_f32 v[2:3], v[4:5], v[2:3] op_sel_hi:[1,0]
	s_waitcnt vmcnt(15)
	v_mov_b32_e32 v94, v79
	v_pk_mul_f32 v[92:93], v[6:7], v[92:93] op_sel_hi:[1,0]
	s_waitcnt vmcnt(14)
	v_mov_b32_e32 v96, v81
	s_waitcnt lgkmcnt(2)
	v_pk_mul_f32 v[94:95], v[64:65], v[94:95] op_sel_hi:[1,0]
	s_waitcnt vmcnt(13)
	v_mov_b32_e32 v98, v83
	s_waitcnt vmcnt(9)
	v_pk_fma_f32 v[106:107], v[4:5], v[8:9], v[2:3] op_sel:[0,0,1] op_sel_hi:[1,1,0] neg_lo:[0,0,1] neg_hi:[0,0,1]
	v_pk_fma_f32 v[2:3], v[4:5], v[8:9], v[2:3] op_sel:[0,0,1] op_sel_hi:[1,0,0]
	s_waitcnt vmcnt(8)
	v_pk_fma_f32 v[4:5], v[6:7], v[76:77], v[92:93] op_sel:[0,0,1] op_sel_hi:[1,1,0] neg_lo:[0,0,1] neg_hi:[0,0,1]
	v_pk_fma_f32 v[6:7], v[6:7], v[76:77], v[92:93] op_sel:[0,0,1] op_sel_hi:[1,0,0]
	v_mov_b32_e32 v107, v3
	v_pk_mul_f32 v[96:97], v[66:67], v[96:97] op_sel_hi:[1,0]
	s_waitcnt vmcnt(7)
	v_pk_fma_f32 v[8:9], v[64:65], v[78:79], v[94:95] op_sel:[0,0,1] op_sel_hi:[1,1,0] neg_lo:[0,0,1] neg_hi:[0,0,1]
	v_pk_fma_f32 v[64:65], v[64:65], v[78:79], v[94:95] op_sel:[0,0,1] op_sel_hi:[1,0,0]
	v_mov_b32_e32 v5, v7
	v_pk_add_f32 v[2:3], v[106:107], 0 op_sel_hi:[1,0]
	v_mov_b32_e32 v100, v85
	s_waitcnt lgkmcnt(1)
	v_pk_mul_f32 v[98:99], v[68:69], v[98:99] op_sel_hi:[1,0]
	s_waitcnt vmcnt(6)
	v_pk_fma_f32 v[76:77], v[66:67], v[80:81], v[96:97] op_sel:[0,0,1] op_sel_hi:[1,1,0] neg_lo:[0,0,1] neg_hi:[0,0,1]
	v_pk_fma_f32 v[66:67], v[66:67], v[80:81], v[96:97] op_sel:[0,0,1] op_sel_hi:[1,0,0]
	v_mov_b32_e32 v9, v65
	v_pk_add_f32 v[2:3], v[2:3], v[4:5]
	v_mov_b32_e32 v102, v87
	v_pk_mul_f32 v[100:101], v[70:71], v[100:101] op_sel_hi:[1,0]
	s_waitcnt vmcnt(5)
	v_pk_fma_f32 v[78:79], v[68:69], v[82:83], v[98:99] op_sel:[0,0,1] op_sel_hi:[1,1,0] neg_lo:[0,0,1] neg_hi:[0,0,1]
	v_pk_fma_f32 v[68:69], v[68:69], v[82:83], v[98:99] op_sel:[0,0,1] op_sel_hi:[1,0,0]
	v_mov_b32_e32 v77, v67
	v_pk_add_f32 v[2:3], v[2:3], v[8:9]
	v_mov_b32_e32 v104, v89
	s_waitcnt lgkmcnt(0)
	v_pk_mul_f32 v[102:103], v[72:73], v[102:103] op_sel_hi:[1,0]
	s_waitcnt vmcnt(4)
	v_pk_fma_f32 v[80:81], v[70:71], v[84:85], v[100:101] op_sel:[0,0,1] op_sel_hi:[1,1,0] neg_lo:[0,0,1] neg_hi:[0,0,1]
	v_pk_fma_f32 v[70:71], v[70:71], v[84:85], v[100:101] op_sel:[0,0,1] op_sel_hi:[1,0,0]
	v_mov_b32_e32 v79, v69
	v_pk_add_f32 v[2:3], v[2:3], v[76:77]
	v_pk_mul_f32 v[104:105], v[74:75], v[104:105] op_sel_hi:[1,0]
	s_waitcnt vmcnt(3)
	v_pk_fma_f32 v[82:83], v[72:73], v[86:87], v[102:103] op_sel:[0,0,1] op_sel_hi:[1,1,0] neg_lo:[0,0,1] neg_hi:[0,0,1]
	v_pk_fma_f32 v[72:73], v[72:73], v[86:87], v[102:103] op_sel:[0,0,1] op_sel_hi:[1,0,0]
	v_mov_b32_e32 v81, v71
	v_pk_add_f32 v[2:3], v[2:3], v[78:79]
	s_waitcnt vmcnt(2)
	v_pk_fma_f32 v[84:85], v[74:75], v[88:89], v[104:105] op_sel:[0,0,1] op_sel_hi:[1,1,0] neg_lo:[0,0,1] neg_hi:[0,0,1]
	v_pk_fma_f32 v[74:75], v[74:75], v[88:89], v[104:105] op_sel:[0,0,1] op_sel_hi:[1,0,0]
	v_mov_b32_e32 v83, v73
	v_pk_add_f32 v[2:3], v[2:3], v[80:81]
	v_mov_b32_e32 v85, v75
	v_pk_add_f32 v[2:3], v[2:3], v[82:83]
	v_pk_add_f32 v[2:3], v[2:3], v[84:85]
	s_waitcnt vmcnt(0)
	v_pk_add_f32 v[2:3], v[90:91], v[2:3] neg_lo:[0,1] neg_hi:[0,1]
	buffer_store_dword v2, off, s[0:3], 0 offset:144
	buffer_store_dword v3, off, s[0:3], 0 offset:148
	s_and_saveexec_b64 s[4:5], vcc
	s_cbranch_execz .LBB26_141
; %bb.140:
	buffer_load_dword v2, off, s[0:3], 0 offset:136
	buffer_load_dword v3, off, s[0:3], 0 offset:140
	v_mov_b32_e32 v4, 0
	buffer_store_dword v4, off, s[0:3], 0 offset:136
	buffer_store_dword v4, off, s[0:3], 0 offset:140
	s_waitcnt vmcnt(2)
	ds_write_b64 v1, v[2:3]
.LBB26_141:
	s_or_b64 exec, exec, s[4:5]
	s_waitcnt lgkmcnt(0)
	; wave barrier
	s_waitcnt lgkmcnt(0)
	buffer_load_dword v3, off, s[0:3], 0 offset:148
	buffer_load_dword v9, off, s[0:3], 0 offset:156
	;; [unrolled: 1-line block ×20, first 2 shown]
	v_mov_b32_e32 v2, 0
	ds_read_b128 v[4:7], v2 offset:368
	ds_read_b128 v[64:67], v2 offset:384
	;; [unrolled: 1-line block ×4, first 2 shown]
	ds_read_b64 v[92:93], v2 offset:432
	v_cmp_lt_u32_e32 vcc, 16, v0
	s_waitcnt vmcnt(19) lgkmcnt(4)
	v_mul_f32_e32 v95, v4, v3
	v_mul_f32_e32 v3, v5, v3
	s_waitcnt vmcnt(18)
	v_mov_b32_e32 v96, v9
	s_waitcnt vmcnt(17)
	v_mov_b32_e32 v98, v77
	;; [unrolled: 2-line block ×8, first 2 shown]
	s_waitcnt vmcnt(10)
	v_fmac_f32_e32 v95, v5, v94
	v_fma_f32 v94, v4, v94, -v3
	v_pk_mul_f32 v[4:5], v[6:7], v[96:97] op_sel_hi:[1,0]
	s_waitcnt lgkmcnt(3)
	v_pk_mul_f32 v[96:97], v[64:65], v[98:99] op_sel_hi:[1,0]
	v_pk_mul_f32 v[98:99], v[66:67], v[100:101] op_sel_hi:[1,0]
	s_waitcnt lgkmcnt(2)
	v_pk_mul_f32 v[100:101], v[68:69], v[102:103] op_sel_hi:[1,0]
	;; [unrolled: 3-line block ×4, first 2 shown]
	s_waitcnt vmcnt(9)
	v_pk_fma_f32 v[110:111], v[6:7], v[8:9], v[4:5] op_sel:[0,0,1] op_sel_hi:[1,1,0] neg_lo:[0,0,1] neg_hi:[0,0,1]
	v_pk_fma_f32 v[4:5], v[6:7], v[8:9], v[4:5] op_sel:[0,0,1] op_sel_hi:[1,0,0]
	v_pk_add_f32 v[94:95], v[94:95], 0 op_sel_hi:[1,0]
	s_waitcnt vmcnt(8)
	v_pk_fma_f32 v[6:7], v[64:65], v[76:77], v[96:97] op_sel:[0,0,1] op_sel_hi:[1,1,0] neg_lo:[0,0,1] neg_hi:[0,0,1]
	v_pk_fma_f32 v[8:9], v[64:65], v[76:77], v[96:97] op_sel:[0,0,1] op_sel_hi:[1,0,0]
	v_mov_b32_e32 v111, v5
	s_waitcnt vmcnt(7)
	v_pk_fma_f32 v[64:65], v[66:67], v[78:79], v[98:99] op_sel:[0,0,1] op_sel_hi:[1,1,0] neg_lo:[0,0,1] neg_hi:[0,0,1]
	v_pk_fma_f32 v[66:67], v[66:67], v[78:79], v[98:99] op_sel:[0,0,1] op_sel_hi:[1,0,0]
	v_mov_b32_e32 v7, v9
	v_pk_add_f32 v[4:5], v[94:95], v[110:111]
	s_waitcnt vmcnt(6)
	v_pk_fma_f32 v[76:77], v[68:69], v[80:81], v[100:101] op_sel:[0,0,1] op_sel_hi:[1,1,0] neg_lo:[0,0,1] neg_hi:[0,0,1]
	v_pk_fma_f32 v[68:69], v[68:69], v[80:81], v[100:101] op_sel:[0,0,1] op_sel_hi:[1,0,0]
	v_mov_b32_e32 v65, v67
	v_pk_add_f32 v[4:5], v[4:5], v[6:7]
	;; [unrolled: 5-line block ×5, first 2 shown]
	v_pk_fma_f32 v[84:85], v[92:93], v[88:89], v[108:109] op_sel:[0,0,1] op_sel_hi:[1,1,0] neg_lo:[0,0,1] neg_hi:[0,0,1]
	v_pk_fma_f32 v[86:87], v[92:93], v[88:89], v[108:109] op_sel:[0,0,1] op_sel_hi:[1,0,0]
	v_mov_b32_e32 v83, v75
	v_pk_add_f32 v[4:5], v[4:5], v[80:81]
	v_mov_b32_e32 v85, v87
	v_pk_add_f32 v[4:5], v[4:5], v[82:83]
	v_pk_add_f32 v[4:5], v[4:5], v[84:85]
	s_waitcnt vmcnt(0)
	v_pk_add_f32 v[4:5], v[90:91], v[4:5] neg_lo:[0,1] neg_hi:[0,1]
	buffer_store_dword v4, off, s[0:3], 0 offset:136
	buffer_store_dword v5, off, s[0:3], 0 offset:140
	s_and_saveexec_b64 s[4:5], vcc
	s_cbranch_execz .LBB26_143
; %bb.142:
	buffer_load_dword v4, off, s[0:3], 0 offset:128
	buffer_load_dword v5, off, s[0:3], 0 offset:132
	s_waitcnt vmcnt(0)
	ds_write_b64 v1, v[4:5]
	buffer_store_dword v2, off, s[0:3], 0 offset:128
	buffer_store_dword v2, off, s[0:3], 0 offset:132
.LBB26_143:
	s_or_b64 exec, exec, s[4:5]
	s_waitcnt lgkmcnt(0)
	; wave barrier
	s_waitcnt lgkmcnt(0)
	buffer_load_dword v96, off, s[0:3], 0 offset:140
	buffer_load_dword v98, off, s[0:3], 0 offset:148
	;; [unrolled: 1-line block ×22, first 2 shown]
	ds_read2_b64 v[4:7], v2 offset0:45 offset1:46
	ds_read2_b64 v[64:67], v2 offset0:47 offset1:48
	;; [unrolled: 1-line block ×5, first 2 shown]
	v_cmp_lt_u32_e32 vcc, 15, v0
	s_waitcnt vmcnt(21) lgkmcnt(4)
	v_mul_f32_e32 v3, v4, v96
	s_waitcnt vmcnt(20)
	v_mul_f32_e32 v97, v6, v98
	v_mul_f32_e32 v2, v5, v96
	;; [unrolled: 1-line block ×3, first 2 shown]
	s_waitcnt vmcnt(19)
	v_mov_b32_e32 v98, v9
	s_waitcnt vmcnt(18)
	v_mov_b32_e32 v100, v81
	s_waitcnt vmcnt(17)
	v_mov_b32_e32 v102, v83
	s_waitcnt vmcnt(15)
	v_mov_b32_e32 v106, v87
	s_waitcnt vmcnt(13)
	v_mov_b32_e32 v110, v91
	v_mov_b32_e32 v104, v85
	s_waitcnt vmcnt(11)
	v_fmac_f32_e32 v3, v5, v99
	v_fma_f32 v2, v4, v99, -v2
	s_waitcnt lgkmcnt(3)
	v_pk_mul_f32 v[4:5], v[64:65], v[98:99] op_sel_hi:[1,0]
	s_waitcnt vmcnt(10)
	v_fmac_f32_e32 v97, v7, v101
	v_fma_f32 v96, v6, v101, -v96
	v_pk_mul_f32 v[6:7], v[66:67], v[100:101] op_sel_hi:[1,0]
	s_waitcnt lgkmcnt(2)
	v_pk_mul_f32 v[98:99], v[68:69], v[102:103] op_sel_hi:[1,0]
	s_waitcnt lgkmcnt(1)
	;; [unrolled: 2-line block ×3, first 2 shown]
	v_pk_mul_f32 v[106:107], v[76:77], v[110:111] op_sel_hi:[1,0]
	v_pk_add_f32 v[2:3], v[2:3], 0 op_sel_hi:[1,0]
	s_waitcnt vmcnt(9)
	v_pk_fma_f32 v[110:111], v[64:65], v[8:9], v[4:5] op_sel:[0,0,1] op_sel_hi:[1,1,0] neg_lo:[0,0,1] neg_hi:[0,0,1]
	v_pk_fma_f32 v[4:5], v[64:65], v[8:9], v[4:5] op_sel:[0,0,1] op_sel_hi:[1,0,0]
	s_waitcnt vmcnt(8)
	v_pk_fma_f32 v[8:9], v[66:67], v[80:81], v[6:7] op_sel:[0,0,1] op_sel_hi:[1,1,0] neg_lo:[0,0,1] neg_hi:[0,0,1]
	v_pk_fma_f32 v[6:7], v[66:67], v[80:81], v[6:7] op_sel:[0,0,1] op_sel_hi:[1,0,0]
	v_pk_add_f32 v[2:3], v[2:3], v[96:97]
	v_mov_b32_e32 v111, v5
	v_pk_mul_f32 v[100:101], v[70:71], v[104:105] op_sel_hi:[1,0]
	s_waitcnt vmcnt(7)
	v_pk_fma_f32 v[64:65], v[68:69], v[82:83], v[98:99] op_sel:[0,0,1] op_sel_hi:[1,1,0] neg_lo:[0,0,1] neg_hi:[0,0,1]
	v_pk_fma_f32 v[66:67], v[68:69], v[82:83], v[98:99] op_sel:[0,0,1] op_sel_hi:[1,0,0]
	v_mov_b32_e32 v9, v7
	v_pk_add_f32 v[2:3], v[2:3], v[110:111]
	v_mov_b32_e32 v108, v89
	s_waitcnt vmcnt(6)
	v_pk_fma_f32 v[68:69], v[70:71], v[84:85], v[100:101] op_sel:[0,0,1] op_sel_hi:[1,1,0] neg_lo:[0,0,1] neg_hi:[0,0,1]
	v_pk_fma_f32 v[70:71], v[70:71], v[84:85], v[100:101] op_sel:[0,0,1] op_sel_hi:[1,0,0]
	v_mov_b32_e32 v65, v67
	v_pk_add_f32 v[2:3], v[2:3], v[8:9]
	v_pk_mul_f32 v[104:105], v[74:75], v[108:109] op_sel_hi:[1,0]
	s_waitcnt vmcnt(5)
	v_pk_fma_f32 v[80:81], v[72:73], v[86:87], v[102:103] op_sel:[0,0,1] op_sel_hi:[1,1,0] neg_lo:[0,0,1] neg_hi:[0,0,1]
	v_pk_fma_f32 v[72:73], v[72:73], v[86:87], v[102:103] op_sel:[0,0,1] op_sel_hi:[1,0,0]
	v_mov_b32_e32 v69, v71
	v_pk_add_f32 v[2:3], v[2:3], v[64:65]
	v_mov_b32_e32 v112, v93
	s_waitcnt vmcnt(2)
	v_pk_fma_f32 v[82:83], v[74:75], v[88:89], v[104:105] op_sel:[0,0,1] op_sel_hi:[1,1,0] neg_lo:[0,0,1] neg_hi:[0,0,1]
	v_pk_fma_f32 v[74:75], v[74:75], v[88:89], v[104:105] op_sel:[0,0,1] op_sel_hi:[1,0,0]
	v_mov_b32_e32 v81, v73
	v_pk_add_f32 v[2:3], v[2:3], v[68:69]
	v_pk_mul_f32 v[108:109], v[78:79], v[112:113] op_sel_hi:[1,0]
	v_pk_fma_f32 v[84:85], v[76:77], v[90:91], v[106:107] op_sel:[0,0,1] op_sel_hi:[1,1,0] neg_lo:[0,0,1] neg_hi:[0,0,1]
	v_pk_fma_f32 v[76:77], v[76:77], v[90:91], v[106:107] op_sel:[0,0,1] op_sel_hi:[1,0,0]
	v_mov_b32_e32 v83, v75
	v_pk_add_f32 v[2:3], v[2:3], v[80:81]
	v_pk_fma_f32 v[86:87], v[78:79], v[92:93], v[108:109] op_sel:[0,0,1] op_sel_hi:[1,1,0] neg_lo:[0,0,1] neg_hi:[0,0,1]
	v_pk_fma_f32 v[78:79], v[78:79], v[92:93], v[108:109] op_sel:[0,0,1] op_sel_hi:[1,0,0]
	v_mov_b32_e32 v85, v77
	v_pk_add_f32 v[2:3], v[2:3], v[82:83]
	v_mov_b32_e32 v87, v79
	v_pk_add_f32 v[2:3], v[2:3], v[84:85]
	v_pk_add_f32 v[2:3], v[2:3], v[86:87]
	s_waitcnt vmcnt(0)
	v_pk_add_f32 v[2:3], v[94:95], v[2:3] neg_lo:[0,1] neg_hi:[0,1]
	buffer_store_dword v2, off, s[0:3], 0 offset:128
	buffer_store_dword v3, off, s[0:3], 0 offset:132
	s_and_saveexec_b64 s[4:5], vcc
	s_cbranch_execz .LBB26_145
; %bb.144:
	buffer_load_dword v2, off, s[0:3], 0 offset:120
	buffer_load_dword v3, off, s[0:3], 0 offset:124
	v_mov_b32_e32 v4, 0
	buffer_store_dword v4, off, s[0:3], 0 offset:120
	buffer_store_dword v4, off, s[0:3], 0 offset:124
	s_waitcnt vmcnt(2)
	ds_write_b64 v1, v[2:3]
.LBB26_145:
	s_or_b64 exec, exec, s[4:5]
	s_waitcnt lgkmcnt(0)
	; wave barrier
	s_waitcnt lgkmcnt(0)
	buffer_load_dword v3, off, s[0:3], 0 offset:132
	buffer_load_dword v98, off, s[0:3], 0 offset:140
	;; [unrolled: 1-line block ×24, first 2 shown]
	v_mov_b32_e32 v2, 0
	ds_read_b128 v[4:7], v2 offset:352
	ds_read_b128 v[64:67], v2 offset:368
	;; [unrolled: 1-line block ×5, first 2 shown]
	ds_read_b64 v[96:97], v2 offset:432
	v_cmp_lt_u32_e32 vcc, 14, v0
	s_waitcnt vmcnt(23) lgkmcnt(5)
	v_mul_f32_e32 v111, v4, v3
	v_mul_f32_e32 v3, v5, v3
	s_waitcnt vmcnt(22)
	v_mul_f32_e32 v99, v6, v98
	s_waitcnt vmcnt(21) lgkmcnt(4)
	v_mul_f32_e32 v101, v64, v100
	v_mul_f32_e32 v98, v7, v98
	;; [unrolled: 1-line block ×3, first 2 shown]
	s_waitcnt vmcnt(20)
	v_mov_b32_e32 v102, v9
	s_waitcnt vmcnt(19)
	v_mov_b32_e32 v104, v81
	;; [unrolled: 2-line block ×5, first 2 shown]
	s_waitcnt vmcnt(12)
	v_fmac_f32_e32 v111, v5, v103
	v_fma_f32 v3, v4, v103, -v3
	v_mov_b32_e32 v112, v89
	s_waitcnt vmcnt(11)
	v_fmac_f32_e32 v99, v7, v105
	s_waitcnt vmcnt(10)
	v_fmac_f32_e32 v101, v65, v107
	v_fma_f32 v98, v6, v105, -v98
	v_fma_f32 v100, v64, v107, -v100
	v_pk_mul_f32 v[4:5], v[66:67], v[102:103] op_sel_hi:[1,0]
	s_waitcnt lgkmcnt(3)
	v_pk_mul_f32 v[6:7], v[68:69], v[104:105] op_sel_hi:[1,0]
	v_pk_mul_f32 v[64:65], v[70:71], v[106:107] op_sel_hi:[1,0]
	s_waitcnt lgkmcnt(2)
	v_pk_mul_f32 v[102:103], v[72:73], v[108:109] op_sel_hi:[1,0]
	v_pk_mul_f32 v[104:105], v[74:75], v[110:111] op_sel_hi:[1,0]
	v_add_f32_e32 v111, 0, v111
	v_add_f32_e32 v110, 0, v3
	s_waitcnt lgkmcnt(1)
	v_pk_mul_f32 v[106:107], v[76:77], v[112:113] op_sel_hi:[1,0]
	s_waitcnt vmcnt(9)
	v_pk_fma_f32 v[112:113], v[66:67], v[8:9], v[4:5] op_sel:[0,0,1] op_sel_hi:[1,1,0] neg_lo:[0,0,1] neg_hi:[0,0,1]
	v_pk_fma_f32 v[4:5], v[66:67], v[8:9], v[4:5] op_sel:[0,0,1] op_sel_hi:[1,0,0]
	s_waitcnt vmcnt(8)
	v_pk_fma_f32 v[8:9], v[68:69], v[80:81], v[6:7] op_sel:[0,0,1] op_sel_hi:[1,1,0] neg_lo:[0,0,1] neg_hi:[0,0,1]
	v_pk_fma_f32 v[6:7], v[68:69], v[80:81], v[6:7] op_sel:[0,0,1] op_sel_hi:[1,0,0]
	;; [unrolled: 3-line block ×4, first 2 shown]
	v_pk_add_f32 v[84:85], v[110:111], v[98:99]
	v_mov_b32_e32 v113, v5
	v_pk_add_f32 v[4:5], v[84:85], v[100:101]
	v_mov_b32_e32 v9, v7
	;; [unrolled: 2-line block ×4, first 2 shown]
	s_waitcnt vmcnt(2)
	v_pk_fma_f32 v[72:73], v[74:75], v[86:87], v[104:105] op_sel:[0,0,1] op_sel_hi:[1,1,0] neg_lo:[0,0,1] neg_hi:[0,0,1]
	v_pk_fma_f32 v[74:75], v[74:75], v[86:87], v[104:105] op_sel:[0,0,1] op_sel_hi:[1,0,0]
	v_mov_b32_e32 v69, v71
	v_pk_add_f32 v[4:5], v[4:5], v[66:67]
	v_mov_b32_e32 v116, v93
	v_pk_mul_f32 v[108:109], v[78:79], v[114:115] op_sel_hi:[1,0]
	v_pk_fma_f32 v[80:81], v[76:77], v[88:89], v[106:107] op_sel:[0,0,1] op_sel_hi:[1,1,0] neg_lo:[0,0,1] neg_hi:[0,0,1]
	v_pk_fma_f32 v[76:77], v[76:77], v[88:89], v[106:107] op_sel:[0,0,1] op_sel_hi:[1,0,0]
	v_mov_b32_e32 v73, v75
	v_pk_add_f32 v[4:5], v[4:5], v[68:69]
	v_pk_fma_f32 v[82:83], v[78:79], v[90:91], v[108:109] op_sel:[0,0,1] op_sel_hi:[1,1,0] neg_lo:[0,0,1] neg_hi:[0,0,1]
	v_pk_fma_f32 v[78:79], v[78:79], v[90:91], v[108:109] op_sel:[0,0,1] op_sel_hi:[1,0,0]
	v_mov_b32_e32 v81, v77
	v_pk_add_f32 v[4:5], v[4:5], v[72:73]
	s_waitcnt lgkmcnt(0)
	v_pk_mul_f32 v[6:7], v[96:97], v[116:117] op_sel_hi:[1,0]
	v_mov_b32_e32 v83, v79
	v_pk_add_f32 v[4:5], v[4:5], v[80:81]
	v_pk_fma_f32 v[8:9], v[96:97], v[92:93], v[6:7] op_sel:[0,0,1] op_sel_hi:[1,1,0] neg_lo:[0,0,1] neg_hi:[0,0,1]
	v_pk_fma_f32 v[6:7], v[96:97], v[92:93], v[6:7] op_sel:[0,0,1] op_sel_hi:[1,0,0]
	v_pk_add_f32 v[4:5], v[4:5], v[82:83]
	v_mov_b32_e32 v9, v7
	v_pk_add_f32 v[4:5], v[4:5], v[8:9]
	s_waitcnt vmcnt(0)
	v_pk_add_f32 v[4:5], v[94:95], v[4:5] neg_lo:[0,1] neg_hi:[0,1]
	buffer_store_dword v5, off, s[0:3], 0 offset:124
	buffer_store_dword v4, off, s[0:3], 0 offset:120
	s_and_saveexec_b64 s[4:5], vcc
	s_cbranch_execz .LBB26_147
; %bb.146:
	buffer_load_dword v4, off, s[0:3], 0 offset:112
	buffer_load_dword v5, off, s[0:3], 0 offset:116
	s_waitcnt vmcnt(0)
	ds_write_b64 v1, v[4:5]
	buffer_store_dword v2, off, s[0:3], 0 offset:112
	buffer_store_dword v2, off, s[0:3], 0 offset:116
.LBB26_147:
	s_or_b64 exec, exec, s[4:5]
	s_waitcnt lgkmcnt(0)
	; wave barrier
	s_waitcnt lgkmcnt(0)
	buffer_load_dword v100, off, s[0:3], 0 offset:124
	buffer_load_dword v102, off, s[0:3], 0 offset:132
	;; [unrolled: 1-line block ×26, first 2 shown]
	ds_read2_b64 v[4:7], v2 offset0:43 offset1:44
	ds_read2_b64 v[64:67], v2 offset0:45 offset1:46
	;; [unrolled: 1-line block ×6, first 2 shown]
	v_cmp_lt_u32_e32 vcc, 13, v0
	s_waitcnt vmcnt(25) lgkmcnt(5)
	v_mul_f32_e32 v113, v4, v100
	v_mul_f32_e32 v2, v5, v100
	s_waitcnt vmcnt(24)
	v_mul_f32_e32 v114, v6, v102
	s_waitcnt vmcnt(23) lgkmcnt(4)
	v_mul_f32_e32 v3, v64, v103
	s_waitcnt vmcnt(22)
	v_mul_f32_e32 v101, v66, v104
	v_mul_f32_e32 v100, v7, v102
	;; [unrolled: 1-line block ×4, first 2 shown]
	s_waitcnt vmcnt(21)
	v_mov_b32_e32 v102, v9
	s_waitcnt vmcnt(20)
	v_mov_b32_e32 v104, v85
	;; [unrolled: 2-line block ×3, first 2 shown]
	s_waitcnt vmcnt(15)
	v_fmac_f32_e32 v113, v5, v105
	v_fma_f32 v116, v4, v105, -v2
	v_mov_b32_e32 v106, v87
	s_waitcnt vmcnt(14)
	v_fmac_f32_e32 v114, v7, v107
	s_waitcnt vmcnt(13)
	v_fmac_f32_e32 v3, v65, v109
	;; [unrolled: 2-line block ×3, first 2 shown]
	v_fma_f32 v117, v6, v107, -v100
	v_fma_f32 v2, v64, v109, -v103
	;; [unrolled: 1-line block ×3, first 2 shown]
	s_waitcnt lgkmcnt(3)
	v_pk_mul_f32 v[4:5], v[68:69], v[102:103] op_sel_hi:[1,0]
	v_pk_mul_f32 v[6:7], v[70:71], v[104:105] op_sel_hi:[1,0]
	s_waitcnt lgkmcnt(2)
	v_pk_mul_f32 v[66:67], v[74:75], v[108:109] op_sel_hi:[1,0]
	v_add_f32_e32 v108, 0, v113
	v_add_f32_e32 v109, 0, v116
	v_pk_mul_f32 v[64:65], v[72:73], v[106:107] op_sel_hi:[1,0]
	s_waitcnt vmcnt(11)
	v_pk_fma_f32 v[106:107], v[68:69], v[8:9], v[4:5] op_sel:[0,0,1] op_sel_hi:[1,1,0] neg_lo:[0,0,1] neg_hi:[0,0,1]
	v_pk_fma_f32 v[4:5], v[68:69], v[8:9], v[4:5] op_sel:[0,0,1] op_sel_hi:[1,0,0]
	s_waitcnt vmcnt(10)
	v_pk_fma_f32 v[8:9], v[70:71], v[84:85], v[6:7] op_sel:[0,0,1] op_sel_hi:[1,1,0] neg_lo:[0,0,1] neg_hi:[0,0,1]
	v_pk_fma_f32 v[6:7], v[70:71], v[84:85], v[6:7] op_sel:[0,0,1] op_sel_hi:[1,0,0]
	v_add_f32_e32 v85, v108, v114
	v_add_f32_e32 v84, v109, v117
	v_pk_add_f32 v[2:3], v[84:85], v[2:3]
	v_mov_b32_e32 v107, v5
	v_pk_add_f32 v[2:3], v[2:3], v[100:101]
	v_mov_b32_e32 v110, v91
	s_waitcnt vmcnt(9)
	v_pk_fma_f32 v[68:69], v[72:73], v[86:87], v[64:65] op_sel:[0,0,1] op_sel_hi:[1,1,0] neg_lo:[0,0,1] neg_hi:[0,0,1]
	v_pk_fma_f32 v[64:65], v[72:73], v[86:87], v[64:65] op_sel:[0,0,1] op_sel_hi:[1,0,0]
	v_mov_b32_e32 v9, v7
	v_pk_add_f32 v[2:3], v[2:3], v[106:107]
	v_mov_b32_e32 v112, v93
	s_waitcnt lgkmcnt(1)
	v_pk_mul_f32 v[102:103], v[76:77], v[110:111] op_sel_hi:[1,0]
	s_waitcnt vmcnt(5)
	v_pk_fma_f32 v[70:71], v[74:75], v[88:89], v[66:67] op_sel:[0,0,1] op_sel_hi:[1,1,0] neg_lo:[0,0,1] neg_hi:[0,0,1]
	v_pk_fma_f32 v[66:67], v[74:75], v[88:89], v[66:67] op_sel:[0,0,1] op_sel_hi:[1,0,0]
	v_mov_b32_e32 v69, v65
	v_pk_add_f32 v[2:3], v[2:3], v[8:9]
	s_waitcnt vmcnt(4)
	v_mov_b32_e32 v4, v95
	v_pk_mul_f32 v[104:105], v[78:79], v[112:113] op_sel_hi:[1,0]
	v_pk_fma_f32 v[72:73], v[76:77], v[90:91], v[102:103] op_sel:[0,0,1] op_sel_hi:[1,1,0] neg_lo:[0,0,1] neg_hi:[0,0,1]
	v_pk_fma_f32 v[74:75], v[76:77], v[90:91], v[102:103] op_sel:[0,0,1] op_sel_hi:[1,0,0]
	v_mov_b32_e32 v71, v67
	v_pk_add_f32 v[2:3], v[2:3], v[68:69]
	s_waitcnt lgkmcnt(0)
	v_pk_mul_f32 v[4:5], v[80:81], v[4:5] op_sel_hi:[1,0]
	v_pk_fma_f32 v[76:77], v[78:79], v[92:93], v[104:105] op_sel:[0,0,1] op_sel_hi:[1,1,0] neg_lo:[0,0,1] neg_hi:[0,0,1]
	v_pk_fma_f32 v[78:79], v[78:79], v[92:93], v[104:105] op_sel:[0,0,1] op_sel_hi:[1,0,0]
	v_mov_b32_e32 v73, v75
	v_pk_add_f32 v[2:3], v[2:3], v[70:71]
	v_pk_fma_f32 v[6:7], v[80:81], v[94:95], v[4:5] op_sel:[0,0,1] op_sel_hi:[1,1,0] neg_lo:[0,0,1] neg_hi:[0,0,1]
	v_pk_fma_f32 v[4:5], v[80:81], v[94:95], v[4:5] op_sel:[0,0,1] op_sel_hi:[1,0,0]
	v_mov_b32_e32 v77, v79
	v_pk_add_f32 v[2:3], v[2:3], v[72:73]
	s_waitcnt vmcnt(3)
	v_mov_b32_e32 v4, v97
	v_pk_add_f32 v[2:3], v[2:3], v[76:77]
	v_mov_b32_e32 v7, v5
	v_pk_mul_f32 v[4:5], v[82:83], v[4:5] op_sel_hi:[1,0]
	v_pk_add_f32 v[2:3], v[2:3], v[6:7]
	s_waitcnt vmcnt(2)
	v_pk_fma_f32 v[6:7], v[82:83], v[96:97], v[4:5] op_sel:[0,0,1] op_sel_hi:[1,1,0] neg_lo:[0,0,1] neg_hi:[0,0,1]
	v_pk_fma_f32 v[4:5], v[82:83], v[96:97], v[4:5] op_sel:[0,0,1] op_sel_hi:[1,0,0]
	v_mov_b32_e32 v7, v5
	v_pk_add_f32 v[2:3], v[2:3], v[6:7]
	s_waitcnt vmcnt(0)
	v_pk_add_f32 v[2:3], v[98:99], v[2:3] neg_lo:[0,1] neg_hi:[0,1]
	buffer_store_dword v3, off, s[0:3], 0 offset:116
	buffer_store_dword v2, off, s[0:3], 0 offset:112
	s_and_saveexec_b64 s[4:5], vcc
	s_cbranch_execz .LBB26_149
; %bb.148:
	buffer_load_dword v2, off, s[0:3], 0 offset:104
	buffer_load_dword v3, off, s[0:3], 0 offset:108
	v_mov_b32_e32 v4, 0
	buffer_store_dword v4, off, s[0:3], 0 offset:104
	buffer_store_dword v4, off, s[0:3], 0 offset:108
	s_waitcnt vmcnt(2)
	ds_write_b64 v1, v[2:3]
.LBB26_149:
	s_or_b64 exec, exec, s[4:5]
	s_waitcnt lgkmcnt(0)
	; wave barrier
	s_waitcnt lgkmcnt(0)
	buffer_load_dword v3, off, s[0:3], 0 offset:116
	buffer_load_dword v102, off, s[0:3], 0 offset:124
	;; [unrolled: 1-line block ×28, first 2 shown]
	v_mov_b32_e32 v2, 0
	ds_read_b128 v[4:7], v2 offset:336
	ds_read_b128 v[64:67], v2 offset:352
	;; [unrolled: 1-line block ×6, first 2 shown]
	ds_read_b64 v[100:101], v2 offset:432
	v_cmp_lt_u32_e32 vcc, 12, v0
	s_waitcnt vmcnt(27) lgkmcnt(6)
	v_mul_f32_e32 v117, v4, v3
	v_mul_f32_e32 v3, v5, v3
	s_waitcnt vmcnt(26)
	v_mul_f32_e32 v118, v6, v102
	s_waitcnt vmcnt(24) lgkmcnt(5)
	v_mul_f32_e32 v103, v66, v106
	s_waitcnt vmcnt(23) lgkmcnt(4)
	v_mul_f32_e32 v105, v68, v107
	v_mul_f32_e32 v120, v67, v106
	;; [unrolled: 1-line block ×3, first 2 shown]
	s_waitcnt vmcnt(22)
	v_mov_b32_e32 v106, v9
	v_mul_f32_e32 v119, v64, v104
	v_mul_f32_e32 v102, v7, v102
	;; [unrolled: 1-line block ×3, first 2 shown]
	s_waitcnt vmcnt(17)
	v_fmac_f32_e32 v117, v5, v109
	v_fma_f32 v3, v4, v109, -v3
	v_pk_mul_f32 v[4:5], v[70:71], v[106:107] op_sel_hi:[1,0]
	s_waitcnt vmcnt(16)
	v_fmac_f32_e32 v118, v7, v111
	s_waitcnt vmcnt(13)
	v_fmac_f32_e32 v105, v69, v116
	v_fma_f32 v109, v6, v111, -v102
	v_fma_f32 v111, v64, v113, -v104
	;; [unrolled: 1-line block ×3, first 2 shown]
	v_add_f32_e32 v106, 0, v117
	v_add_f32_e32 v3, 0, v3
	s_waitcnt vmcnt(12)
	v_pk_fma_f32 v[68:69], v[70:71], v[8:9], v[4:5] op_sel:[0,0,1] op_sel_hi:[1,1,0] neg_lo:[0,0,1] neg_hi:[0,0,1]
	v_pk_fma_f32 v[4:5], v[70:71], v[8:9], v[4:5] op_sel:[0,0,1] op_sel_hi:[1,0,0]
	v_fmac_f32_e32 v119, v65, v113
	v_add_f32_e32 v4, v106, v118
	v_add_f32_e32 v3, v3, v109
	v_mov_b32_e32 v108, v85
	v_fmac_f32_e32 v103, v67, v115
	v_fma_f32 v102, v66, v115, -v120
	v_mov_b32_e32 v69, v5
	v_add_f32_e32 v5, v4, v119
	v_add_f32_e32 v4, v3, v111
	v_mov_b32_e32 v110, v87
	s_waitcnt lgkmcnt(3)
	v_pk_mul_f32 v[6:7], v[72:73], v[108:109] op_sel_hi:[1,0]
	v_pk_add_f32 v[4:5], v[4:5], v[102:103]
	v_mov_b32_e32 v112, v89
	v_mov_b32_e32 v114, v91
	v_pk_mul_f32 v[64:65], v[74:75], v[110:111] op_sel_hi:[1,0]
	s_waitcnt vmcnt(11)
	v_pk_fma_f32 v[8:9], v[72:73], v[84:85], v[6:7] op_sel:[0,0,1] op_sel_hi:[1,1,0] neg_lo:[0,0,1] neg_hi:[0,0,1]
	v_pk_fma_f32 v[6:7], v[72:73], v[84:85], v[6:7] op_sel:[0,0,1] op_sel_hi:[1,0,0]
	v_pk_add_f32 v[4:5], v[4:5], v[104:105]
	s_waitcnt lgkmcnt(2)
	v_pk_mul_f32 v[66:67], v[76:77], v[112:113] op_sel_hi:[1,0]
	s_waitcnt vmcnt(7)
	v_pk_fma_f32 v[70:71], v[74:75], v[86:87], v[64:65] op_sel:[0,0,1] op_sel_hi:[1,1,0] neg_lo:[0,0,1] neg_hi:[0,0,1]
	v_pk_fma_f32 v[64:65], v[74:75], v[86:87], v[64:65] op_sel:[0,0,1] op_sel_hi:[1,0,0]
	v_mov_b32_e32 v9, v7
	v_pk_add_f32 v[4:5], v[4:5], v[68:69]
	v_pk_mul_f32 v[6:7], v[78:79], v[114:115] op_sel_hi:[1,0]
	v_pk_fma_f32 v[72:73], v[76:77], v[88:89], v[66:67] op_sel:[0,0,1] op_sel_hi:[1,1,0] neg_lo:[0,0,1] neg_hi:[0,0,1]
	v_pk_fma_f32 v[66:67], v[76:77], v[88:89], v[66:67] op_sel:[0,0,1] op_sel_hi:[1,0,0]
	v_mov_b32_e32 v71, v65
	v_pk_add_f32 v[4:5], v[4:5], v[8:9]
	v_pk_fma_f32 v[8:9], v[78:79], v[90:91], v[6:7] op_sel:[0,0,1] op_sel_hi:[1,1,0] neg_lo:[0,0,1] neg_hi:[0,0,1]
	v_pk_fma_f32 v[6:7], v[78:79], v[90:91], v[6:7] op_sel:[0,0,1] op_sel_hi:[1,0,0]
	v_mov_b32_e32 v73, v67
	v_pk_add_f32 v[4:5], v[4:5], v[70:71]
	s_waitcnt vmcnt(6)
	v_mov_b32_e32 v6, v93
	v_pk_add_f32 v[4:5], v[4:5], v[72:73]
	v_mov_b32_e32 v9, v7
	s_waitcnt lgkmcnt(1)
	v_pk_mul_f32 v[6:7], v[80:81], v[6:7] op_sel_hi:[1,0]
	v_pk_add_f32 v[4:5], v[4:5], v[8:9]
	v_pk_fma_f32 v[8:9], v[80:81], v[92:93], v[6:7] op_sel:[0,0,1] op_sel_hi:[1,1,0] neg_lo:[0,0,1] neg_hi:[0,0,1]
	v_pk_fma_f32 v[6:7], v[80:81], v[92:93], v[6:7] op_sel:[0,0,1] op_sel_hi:[1,0,0]
	s_waitcnt vmcnt(5)
	v_mov_b32_e32 v6, v95
	v_mov_b32_e32 v9, v7
	v_pk_mul_f32 v[6:7], v[82:83], v[6:7] op_sel_hi:[1,0]
	v_pk_add_f32 v[4:5], v[4:5], v[8:9]
	s_waitcnt vmcnt(3)
	v_pk_fma_f32 v[8:9], v[82:83], v[94:95], v[6:7] op_sel:[0,0,1] op_sel_hi:[1,1,0] neg_lo:[0,0,1] neg_hi:[0,0,1]
	v_pk_fma_f32 v[6:7], v[82:83], v[94:95], v[6:7] op_sel:[0,0,1] op_sel_hi:[1,0,0]
	s_waitcnt vmcnt(2)
	v_mov_b32_e32 v6, v97
	v_mov_b32_e32 v9, v7
	s_waitcnt lgkmcnt(0)
	v_pk_mul_f32 v[6:7], v[100:101], v[6:7] op_sel_hi:[1,0]
	v_pk_add_f32 v[4:5], v[4:5], v[8:9]
	v_pk_fma_f32 v[8:9], v[100:101], v[96:97], v[6:7] op_sel:[0,0,1] op_sel_hi:[1,1,0] neg_lo:[0,0,1] neg_hi:[0,0,1]
	v_pk_fma_f32 v[6:7], v[100:101], v[96:97], v[6:7] op_sel:[0,0,1] op_sel_hi:[1,0,0]
	v_mov_b32_e32 v9, v7
	v_pk_add_f32 v[4:5], v[4:5], v[8:9]
	s_waitcnt vmcnt(0)
	v_pk_add_f32 v[4:5], v[98:99], v[4:5] neg_lo:[0,1] neg_hi:[0,1]
	buffer_store_dword v5, off, s[0:3], 0 offset:108
	buffer_store_dword v4, off, s[0:3], 0 offset:104
	s_and_saveexec_b64 s[4:5], vcc
	s_cbranch_execz .LBB26_151
; %bb.150:
	buffer_load_dword v4, off, s[0:3], 0 offset:96
	buffer_load_dword v5, off, s[0:3], 0 offset:100
	s_waitcnt vmcnt(0)
	ds_write_b64 v1, v[4:5]
	buffer_store_dword v2, off, s[0:3], 0 offset:96
	buffer_store_dword v2, off, s[0:3], 0 offset:100
.LBB26_151:
	s_or_b64 exec, exec, s[4:5]
	s_waitcnt lgkmcnt(0)
	; wave barrier
	s_waitcnt lgkmcnt(0)
	buffer_load_dword v104, off, s[0:3], 0 offset:108
	buffer_load_dword v106, off, s[0:3], 0 offset:116
	;; [unrolled: 1-line block ×30, first 2 shown]
	ds_read2_b64 v[4:7], v2 offset0:41 offset1:42
	ds_read2_b64 v[64:67], v2 offset0:43 offset1:44
	;; [unrolled: 1-line block ×7, first 2 shown]
	v_cmp_lt_u32_e32 vcc, 11, v0
	s_waitcnt vmcnt(29) lgkmcnt(6)
	v_mul_f32_e32 v117, v4, v104
	s_waitcnt vmcnt(28)
	v_mul_f32_e32 v118, v6, v106
	s_waitcnt vmcnt(27) lgkmcnt(5)
	v_mul_f32_e32 v119, v64, v107
	v_mul_f32_e32 v107, v65, v107
	s_waitcnt vmcnt(26)
	v_mul_f32_e32 v120, v66, v108
	s_waitcnt vmcnt(25) lgkmcnt(4)
	v_mul_f32_e32 v3, v68, v109
	s_waitcnt vmcnt(24)
	v_mul_f32_e32 v105, v70, v110
	v_mul_f32_e32 v2, v5, v104
	;; [unrolled: 1-line block ×5, first 2 shown]
	s_waitcnt vmcnt(23)
	v_mov_b32_e32 v106, v9
	s_waitcnt vmcnt(22)
	v_mov_b32_e32 v108, v89
	s_waitcnt vmcnt(18)
	v_fma_f32 v107, v64, v113, -v107
	v_mul_f32_e32 v122, v71, v110
	v_fmac_f32_e32 v117, v5, v111
	v_fmac_f32_e32 v118, v7, v112
	s_waitcnt vmcnt(17)
	v_fmac_f32_e32 v120, v67, v114
	s_waitcnt vmcnt(15)
	v_fmac_f32_e32 v105, v71, v116
	v_fma_f32 v67, v4, v111, -v2
	v_fma_f32 v71, v6, v112, -v104
	s_waitcnt lgkmcnt(3)
	v_pk_mul_f32 v[4:5], v[72:73], v[106:107] op_sel_hi:[1,0]
	v_pk_mul_f32 v[6:7], v[74:75], v[108:109] op_sel_hi:[1,0]
	v_fma_f32 v111, v66, v114, -v121
	v_fma_f32 v104, v70, v116, -v122
	v_add_f32_e32 v70, 0, v117
	v_add_f32_e32 v106, 0, v67
	s_waitcnt vmcnt(14)
	v_pk_fma_f32 v[66:67], v[72:73], v[8:9], v[4:5] op_sel:[0,0,1] op_sel_hi:[1,1,0] neg_lo:[0,0,1] neg_hi:[0,0,1]
	v_pk_fma_f32 v[4:5], v[72:73], v[8:9], v[4:5] op_sel:[0,0,1] op_sel_hi:[1,0,0]
	s_waitcnt vmcnt(10)
	v_pk_fma_f32 v[8:9], v[74:75], v[88:89], v[6:7] op_sel:[0,0,1] op_sel_hi:[1,1,0] neg_lo:[0,0,1] neg_hi:[0,0,1]
	v_pk_fma_f32 v[6:7], v[74:75], v[88:89], v[6:7] op_sel:[0,0,1] op_sel_hi:[1,0,0]
	v_fmac_f32_e32 v119, v65, v113
	v_add_f32_e32 v4, v70, v118
	v_add_f32_e32 v6, v106, v71
	;; [unrolled: 1-line block ×4, first 2 shown]
	v_fmac_f32_e32 v3, v69, v115
	v_fma_f32 v2, v68, v115, -v109
	v_mov_b32_e32 v67, v5
	v_add_f32_e32 v5, v4, v120
	v_add_f32_e32 v4, v6, v111
	v_mov_b32_e32 v110, v91
	v_pk_add_f32 v[2:3], v[4:5], v[2:3]
	s_waitcnt vmcnt(9)
	v_mov_b32_e32 v4, v95
	s_waitcnt lgkmcnt(2)
	v_pk_mul_f32 v[64:65], v[76:77], v[110:111] op_sel_hi:[1,0]
	v_pk_add_f32 v[2:3], v[2:3], v[104:105]
	v_pk_mul_f32 v[4:5], v[78:79], v[4:5] op_sel_hi:[1,0]
	v_pk_fma_f32 v[68:69], v[76:77], v[90:91], v[64:65] op_sel:[0,0,1] op_sel_hi:[1,1,0] neg_lo:[0,0,1] neg_hi:[0,0,1]
	v_pk_fma_f32 v[64:65], v[76:77], v[90:91], v[64:65] op_sel:[0,0,1] op_sel_hi:[1,0,0]
	v_mov_b32_e32 v9, v7
	v_pk_add_f32 v[2:3], v[2:3], v[66:67]
	v_pk_fma_f32 v[6:7], v[78:79], v[94:95], v[4:5] op_sel:[0,0,1] op_sel_hi:[1,1,0] neg_lo:[0,0,1] neg_hi:[0,0,1]
	v_pk_fma_f32 v[4:5], v[78:79], v[94:95], v[4:5] op_sel:[0,0,1] op_sel_hi:[1,0,0]
	v_mov_b32_e32 v69, v65
	v_pk_add_f32 v[2:3], v[2:3], v[8:9]
	s_waitcnt vmcnt(8)
	v_mov_b32_e32 v4, v93
	v_pk_add_f32 v[2:3], v[2:3], v[68:69]
	v_mov_b32_e32 v7, v5
	s_waitcnt lgkmcnt(1)
	v_pk_mul_f32 v[4:5], v[80:81], v[4:5] op_sel_hi:[1,0]
	v_pk_add_f32 v[2:3], v[2:3], v[6:7]
	v_pk_fma_f32 v[6:7], v[80:81], v[92:93], v[4:5] op_sel:[0,0,1] op_sel_hi:[1,1,0] neg_lo:[0,0,1] neg_hi:[0,0,1]
	v_pk_fma_f32 v[4:5], v[80:81], v[92:93], v[4:5] op_sel:[0,0,1] op_sel_hi:[1,0,0]
	s_waitcnt vmcnt(7)
	v_mov_b32_e32 v4, v97
	v_mov_b32_e32 v7, v5
	v_pk_mul_f32 v[4:5], v[82:83], v[4:5] op_sel_hi:[1,0]
	v_pk_add_f32 v[2:3], v[2:3], v[6:7]
	s_waitcnt vmcnt(4)
	v_pk_fma_f32 v[6:7], v[82:83], v[96:97], v[4:5] op_sel:[0,0,1] op_sel_hi:[1,1,0] neg_lo:[0,0,1] neg_hi:[0,0,1]
	v_pk_fma_f32 v[4:5], v[82:83], v[96:97], v[4:5] op_sel:[0,0,1] op_sel_hi:[1,0,0]
	s_waitcnt vmcnt(3)
	v_mov_b32_e32 v4, v101
	v_mov_b32_e32 v7, v5
	s_waitcnt lgkmcnt(0)
	v_pk_mul_f32 v[4:5], v[84:85], v[4:5] op_sel_hi:[1,0]
	v_pk_add_f32 v[2:3], v[2:3], v[6:7]
	v_pk_fma_f32 v[6:7], v[84:85], v[100:101], v[4:5] op_sel:[0,0,1] op_sel_hi:[1,1,0] neg_lo:[0,0,1] neg_hi:[0,0,1]
	v_pk_fma_f32 v[4:5], v[84:85], v[100:101], v[4:5] op_sel:[0,0,1] op_sel_hi:[1,0,0]
	s_waitcnt vmcnt(0)
	v_mov_b32_e32 v4, v99
	v_mov_b32_e32 v7, v5
	v_pk_mul_f32 v[4:5], v[86:87], v[4:5] op_sel_hi:[1,0]
	v_pk_add_f32 v[2:3], v[2:3], v[6:7]
	v_pk_fma_f32 v[6:7], v[86:87], v[98:99], v[4:5] op_sel:[0,0,1] op_sel_hi:[1,1,0] neg_lo:[0,0,1] neg_hi:[0,0,1]
	v_pk_fma_f32 v[4:5], v[86:87], v[98:99], v[4:5] op_sel:[0,0,1] op_sel_hi:[1,0,0]
	v_mov_b32_e32 v7, v5
	v_pk_add_f32 v[2:3], v[2:3], v[6:7]
	v_pk_add_f32 v[2:3], v[102:103], v[2:3] neg_lo:[0,1] neg_hi:[0,1]
	buffer_store_dword v3, off, s[0:3], 0 offset:100
	buffer_store_dword v2, off, s[0:3], 0 offset:96
	s_and_saveexec_b64 s[4:5], vcc
	s_cbranch_execz .LBB26_153
; %bb.152:
	buffer_load_dword v2, off, s[0:3], 0 offset:88
	buffer_load_dword v3, off, s[0:3], 0 offset:92
	v_mov_b32_e32 v4, 0
	buffer_store_dword v4, off, s[0:3], 0 offset:88
	buffer_store_dword v4, off, s[0:3], 0 offset:92
	s_waitcnt vmcnt(2)
	ds_write_b64 v1, v[2:3]
.LBB26_153:
	s_or_b64 exec, exec, s[4:5]
	s_waitcnt lgkmcnt(0)
	; wave barrier
	s_waitcnt lgkmcnt(0)
	buffer_load_dword v5, off, s[0:3], 0 offset:100
	buffer_load_dword v106, off, s[0:3], 0 offset:108
	;; [unrolled: 1-line block ×32, first 2 shown]
	v_mov_b32_e32 v4, 0
	ds_read_b128 v[6:9], v4 offset:320
	ds_read_b128 v[64:67], v4 offset:336
	;; [unrolled: 1-line block ×7, first 2 shown]
	ds_read_b64 v[104:105], v4 offset:432
	v_cmp_lt_u32_e32 vcc, 10, v0
	s_waitcnt vmcnt(31) lgkmcnt(7)
	v_mul_f32_e32 v121, v6, v5
	v_mul_f32_e32 v5, v7, v5
	s_waitcnt vmcnt(30)
	v_mul_f32_e32 v122, v8, v106
	s_waitcnt vmcnt(28) lgkmcnt(6)
	v_mul_f32_e32 v124, v66, v110
	s_waitcnt vmcnt(27) lgkmcnt(5)
	v_mul_f32_e32 v125, v68, v111
	v_mul_f32_e32 v126, v67, v110
	;; [unrolled: 1-line block ×3, first 2 shown]
	s_waitcnt vmcnt(24)
	v_mov_b32_e32 v110, v3
	v_mul_f32_e32 v123, v64, v108
	v_mul_f32_e32 v106, v9, v106
	s_waitcnt vmcnt(22)
	v_fmac_f32_e32 v121, v7, v114
	v_fma_f32 v5, v6, v114, -v5
	s_waitcnt lgkmcnt(4)
	v_pk_mul_f32 v[6:7], v[74:75], v[110:111] op_sel_hi:[1,0]
	v_mul_f32_e32 v108, v65, v108
	s_waitcnt vmcnt(21)
	v_fmac_f32_e32 v122, v9, v115
	s_waitcnt vmcnt(20)
	v_fmac_f32_e32 v123, v65, v116
	;; [unrolled: 2-line block ×3, first 2 shown]
	v_fma_f32 v65, v8, v115, -v106
	s_waitcnt vmcnt(18)
	v_fma_f32 v67, v68, v118, -v111
	v_add_f32_e32 v68, 0, v121
	v_add_f32_e32 v5, 0, v5
	s_waitcnt vmcnt(12)
	v_pk_fma_f32 v[8:9], v[74:75], v[2:3], v[6:7] op_sel:[0,0,1] op_sel_hi:[1,1,0] neg_lo:[0,0,1] neg_hi:[0,0,1]
	v_pk_fma_f32 v[2:3], v[74:75], v[2:3], v[6:7] op_sel:[0,0,1] op_sel_hi:[1,0,0]
	v_fma_f32 v64, v64, v116, -v108
	v_add_f32_e32 v2, v68, v122
	v_add_f32_e32 v5, v5, v65
	v_fma_f32 v66, v66, v117, -v126
	v_mov_b32_e32 v9, v3
	v_add_f32_e32 v2, v2, v123
	v_add_f32_e32 v3, v5, v64
	v_mul_f32_e32 v107, v70, v112
	v_mul_f32_e32 v127, v71, v112
	v_fmac_f32_e32 v125, v69, v118
	v_add_f32_e32 v2, v2, v124
	v_add_f32_e32 v5, v3, v66
	v_mul_f32_e32 v109, v72, v113
	v_mul_f32_e32 v113, v73, v113
	v_fmac_f32_e32 v107, v71, v119
	v_fma_f32 v106, v70, v119, -v127
	v_add_f32_e32 v3, v2, v125
	v_add_f32_e32 v2, v5, v67
	v_mov_b32_e32 v112, v89
	v_fmac_f32_e32 v109, v73, v120
	v_fma_f32 v108, v72, v120, -v113
	v_pk_add_f32 v[2:3], v[2:3], v[106:107]
	v_pk_add_f32 v[2:3], v[2:3], v[108:109]
	s_waitcnt lgkmcnt(3)
	v_pk_mul_f32 v[6:7], v[76:77], v[112:113] op_sel_hi:[1,0]
	v_pk_add_f32 v[2:3], v[2:3], v[8:9]
	v_pk_fma_f32 v[8:9], v[76:77], v[88:89], v[6:7] op_sel:[0,0,1] op_sel_hi:[1,1,0] neg_lo:[0,0,1] neg_hi:[0,0,1]
	v_pk_fma_f32 v[6:7], v[76:77], v[88:89], v[6:7] op_sel:[0,0,1] op_sel_hi:[1,0,0]
	s_waitcnt vmcnt(11)
	v_mov_b32_e32 v6, v93
	v_mov_b32_e32 v9, v7
	v_pk_mul_f32 v[6:7], v[78:79], v[6:7] op_sel_hi:[1,0]
	v_pk_add_f32 v[2:3], v[2:3], v[8:9]
	v_pk_fma_f32 v[8:9], v[78:79], v[92:93], v[6:7] op_sel:[0,0,1] op_sel_hi:[1,1,0] neg_lo:[0,0,1] neg_hi:[0,0,1]
	v_pk_fma_f32 v[6:7], v[78:79], v[92:93], v[6:7] op_sel:[0,0,1] op_sel_hi:[1,0,0]
	s_waitcnt vmcnt(10)
	v_mov_b32_e32 v6, v91
	v_mov_b32_e32 v9, v7
	s_waitcnt lgkmcnt(2)
	v_pk_mul_f32 v[6:7], v[80:81], v[6:7] op_sel_hi:[1,0]
	v_pk_add_f32 v[2:3], v[2:3], v[8:9]
	v_pk_fma_f32 v[8:9], v[80:81], v[90:91], v[6:7] op_sel:[0,0,1] op_sel_hi:[1,1,0] neg_lo:[0,0,1] neg_hi:[0,0,1]
	v_pk_fma_f32 v[6:7], v[80:81], v[90:91], v[6:7] op_sel:[0,0,1] op_sel_hi:[1,0,0]
	s_waitcnt vmcnt(9)
	v_mov_b32_e32 v6, v95
	v_mov_b32_e32 v9, v7
	v_pk_mul_f32 v[6:7], v[82:83], v[6:7] op_sel_hi:[1,0]
	v_pk_add_f32 v[2:3], v[2:3], v[8:9]
	s_waitcnt vmcnt(4)
	v_pk_fma_f32 v[8:9], v[82:83], v[94:95], v[6:7] op_sel:[0,0,1] op_sel_hi:[1,1,0] neg_lo:[0,0,1] neg_hi:[0,0,1]
	v_pk_fma_f32 v[6:7], v[82:83], v[94:95], v[6:7] op_sel:[0,0,1] op_sel_hi:[1,0,0]
	v_mov_b32_e32 v6, v101
	v_mov_b32_e32 v9, v7
	s_waitcnt lgkmcnt(1)
	v_pk_mul_f32 v[6:7], v[84:85], v[6:7] op_sel_hi:[1,0]
	v_pk_add_f32 v[2:3], v[2:3], v[8:9]
	v_pk_fma_f32 v[8:9], v[84:85], v[100:101], v[6:7] op_sel:[0,0,1] op_sel_hi:[1,1,0] neg_lo:[0,0,1] neg_hi:[0,0,1]
	v_pk_fma_f32 v[6:7], v[84:85], v[100:101], v[6:7] op_sel:[0,0,1] op_sel_hi:[1,0,0]
	s_waitcnt vmcnt(3)
	v_mov_b32_e32 v6, v99
	v_mov_b32_e32 v9, v7
	v_pk_mul_f32 v[6:7], v[86:87], v[6:7] op_sel_hi:[1,0]
	v_pk_add_f32 v[2:3], v[2:3], v[8:9]
	v_pk_fma_f32 v[8:9], v[86:87], v[98:99], v[6:7] op_sel:[0,0,1] op_sel_hi:[1,1,0] neg_lo:[0,0,1] neg_hi:[0,0,1]
	v_pk_fma_f32 v[6:7], v[86:87], v[98:99], v[6:7] op_sel:[0,0,1] op_sel_hi:[1,0,0]
	s_waitcnt vmcnt(0)
	v_mov_b32_e32 v6, v97
	v_mov_b32_e32 v9, v7
	s_waitcnt lgkmcnt(0)
	v_pk_mul_f32 v[6:7], v[104:105], v[6:7] op_sel_hi:[1,0]
	v_pk_add_f32 v[2:3], v[2:3], v[8:9]
	v_pk_fma_f32 v[8:9], v[104:105], v[96:97], v[6:7] op_sel:[0,0,1] op_sel_hi:[1,1,0] neg_lo:[0,0,1] neg_hi:[0,0,1]
	v_pk_fma_f32 v[6:7], v[104:105], v[96:97], v[6:7] op_sel:[0,0,1] op_sel_hi:[1,0,0]
	v_mov_b32_e32 v9, v7
	v_pk_add_f32 v[2:3], v[2:3], v[8:9]
	v_pk_add_f32 v[2:3], v[102:103], v[2:3] neg_lo:[0,1] neg_hi:[0,1]
	buffer_store_dword v3, off, s[0:3], 0 offset:92
	buffer_store_dword v2, off, s[0:3], 0 offset:88
	s_and_saveexec_b64 s[4:5], vcc
	s_cbranch_execz .LBB26_155
; %bb.154:
	buffer_load_dword v2, off, s[0:3], 0 offset:80
	buffer_load_dword v3, off, s[0:3], 0 offset:84
	s_waitcnt vmcnt(0)
	ds_write_b64 v1, v[2:3]
	buffer_store_dword v4, off, s[0:3], 0 offset:80
	buffer_store_dword v4, off, s[0:3], 0 offset:84
.LBB26_155:
	s_or_b64 exec, exec, s[4:5]
	s_waitcnt lgkmcnt(0)
	; wave barrier
	s_waitcnt lgkmcnt(0)
	ds_read2_b64 v[6:9], v4 offset0:39 offset1:40
	buffer_load_dword v2, off, s[0:3], 0 offset:80
	buffer_load_dword v3, off, s[0:3], 0 offset:84
	;; [unrolled: 1-line block ×16, first 2 shown]
	v_cmp_lt_u32_e32 vcc, 9, v0
	s_waitcnt vmcnt(12) lgkmcnt(0)
	v_mul_f32_e32 v64, v6, v80
	v_fmac_f32_e32 v64, v7, v5
	s_waitcnt vmcnt(10)
	v_mul_f32_e32 v65, v8, v84
	v_add_f32_e32 v64, 0, v64
	v_fmac_f32_e32 v65, v9, v82
	v_add_f32_e32 v68, v64, v65
	ds_read2_b64 v[64:67], v4 offset0:41 offset1:42
	v_mul_f32_e32 v7, v7, v80
	v_fma_f32 v5, v6, v5, -v7
	v_mul_f32_e32 v6, v9, v84
	v_add_f32_e32 v5, 0, v5
	s_waitcnt vmcnt(8) lgkmcnt(0)
	v_mul_f32_e32 v69, v64, v103
	v_fmac_f32_e32 v69, v65, v102
	v_add_f32_e32 v68, v68, v69
	s_waitcnt vmcnt(6)
	v_mul_f32_e32 v69, v66, v105
	v_fmac_f32_e32 v69, v67, v104
	v_add_f32_e32 v72, v68, v69
	ds_read2_b64 v[68:71], v4 offset0:43 offset1:44
	v_fma_f32 v6, v8, v82, -v6
	v_add_f32_e32 v5, v5, v6
	v_mul_f32_e32 v6, v65, v103
	v_fma_f32 v6, v64, v102, -v6
	s_waitcnt vmcnt(4) lgkmcnt(0)
	v_mul_f32_e32 v73, v68, v107
	v_fmac_f32_e32 v73, v69, v106
	v_add_f32_e32 v72, v72, v73
	s_waitcnt vmcnt(2)
	v_mul_f32_e32 v73, v70, v109
	v_fmac_f32_e32 v73, v71, v108
	v_add_f32_e32 v81, v72, v73
	ds_read2_b64 v[72:75], v4 offset0:45 offset1:46
	buffer_load_dword v112, off, s[0:3], 0 offset:144
	buffer_load_dword v113, off, s[0:3], 0 offset:148
	;; [unrolled: 1-line block ×4, first 2 shown]
	ds_read2_b64 v[76:79], v4 offset0:47 offset1:48
	buffer_load_dword v89, off, s[0:3], 0 offset:164
	buffer_load_dword v88, off, s[0:3], 0 offset:160
	;; [unrolled: 1-line block ×14, first 2 shown]
	v_add_f32_e32 v5, v5, v6
	v_mul_f32_e32 v6, v67, v105
	v_fma_f32 v6, v66, v104, -v6
	v_add_f32_e32 v5, v5, v6
	v_mul_f32_e32 v6, v69, v107
	v_fma_f32 v6, v68, v106, -v6
	v_add_f32_e32 v5, v5, v6
	v_mul_f32_e32 v6, v71, v109
	v_fma_f32 v6, v70, v108, -v6
	v_add_f32_e32 v80, v5, v6
	s_waitcnt vmcnt(18) lgkmcnt(1)
	v_mul_f32_e32 v5, v73, v111
	v_mul_f32_e32 v83, v72, v111
	v_fma_f32 v82, v72, v110, -v5
	v_fmac_f32_e32 v83, v73, v110
	ds_read2_b64 v[6:9], v4 offset0:49 offset1:50
	ds_read2_b64 v[64:67], v4 offset0:51 offset1:52
	;; [unrolled: 1-line block ×3, first 2 shown]
	s_waitcnt vmcnt(15)
	v_mov_b32_e32 v72, v87
	v_mul_f32_e32 v85, v74, v113
	v_mul_f32_e32 v5, v75, v113
	s_waitcnt lgkmcnt(3)
	v_pk_mul_f32 v[72:73], v[76:77], v[72:73] op_sel_hi:[1,0]
	v_fmac_f32_e32 v85, v75, v112
	v_fma_f32 v84, v74, v112, -v5
	s_waitcnt vmcnt(14)
	v_pk_fma_f32 v[74:75], v[76:77], v[86:87], v[72:73] op_sel:[0,0,1] op_sel_hi:[1,1,0] neg_lo:[0,0,1] neg_hi:[0,0,1]
	v_pk_fma_f32 v[72:73], v[76:77], v[86:87], v[72:73] op_sel:[0,0,1] op_sel_hi:[1,0,0]
	v_pk_add_f32 v[4:5], v[80:81], v[82:83]
	s_waitcnt vmcnt(13)
	v_mov_b32_e32 v72, v89
	v_pk_add_f32 v[4:5], v[4:5], v[84:85]
	v_mov_b32_e32 v75, v73
	v_pk_mul_f32 v[72:73], v[78:79], v[72:73] op_sel_hi:[1,0]
	v_pk_add_f32 v[4:5], v[4:5], v[74:75]
	s_waitcnt vmcnt(12)
	v_pk_fma_f32 v[74:75], v[78:79], v[88:89], v[72:73] op_sel:[0,0,1] op_sel_hi:[1,1,0] neg_lo:[0,0,1] neg_hi:[0,0,1]
	v_pk_fma_f32 v[72:73], v[78:79], v[88:89], v[72:73] op_sel:[0,0,1] op_sel_hi:[1,0,0]
	s_waitcnt vmcnt(11)
	v_mov_b32_e32 v72, v91
	v_mov_b32_e32 v75, v73
	s_waitcnt lgkmcnt(2)
	v_pk_mul_f32 v[72:73], v[6:7], v[72:73] op_sel_hi:[1,0]
	v_pk_add_f32 v[4:5], v[4:5], v[74:75]
	s_waitcnt vmcnt(10)
	v_pk_fma_f32 v[74:75], v[6:7], v[90:91], v[72:73] op_sel:[0,0,1] op_sel_hi:[1,1,0] neg_lo:[0,0,1] neg_hi:[0,0,1]
	v_pk_fma_f32 v[6:7], v[6:7], v[90:91], v[72:73] op_sel:[0,0,1] op_sel_hi:[1,0,0]
	s_waitcnt vmcnt(9)
	v_mov_b32_e32 v6, v93
	v_mov_b32_e32 v75, v7
	v_pk_mul_f32 v[6:7], v[8:9], v[6:7] op_sel_hi:[1,0]
	s_waitcnt vmcnt(8)
	v_pk_fma_f32 v[72:73], v[8:9], v[92:93], v[6:7] op_sel:[0,0,1] op_sel_hi:[1,1,0] neg_lo:[0,0,1] neg_hi:[0,0,1]
	v_pk_fma_f32 v[6:7], v[8:9], v[92:93], v[6:7] op_sel:[0,0,1] op_sel_hi:[1,0,0]
	s_waitcnt vmcnt(7)
	v_mov_b32_e32 v6, v95
	v_mov_b32_e32 v73, v7
	s_waitcnt lgkmcnt(1)
	v_pk_mul_f32 v[6:7], v[64:65], v[6:7] op_sel_hi:[1,0]
	s_waitcnt vmcnt(6)
	v_pk_fma_f32 v[8:9], v[64:65], v[94:95], v[6:7] op_sel:[0,0,1] op_sel_hi:[1,1,0] neg_lo:[0,0,1] neg_hi:[0,0,1]
	v_pk_fma_f32 v[6:7], v[64:65], v[94:95], v[6:7] op_sel:[0,0,1] op_sel_hi:[1,0,0]
	v_pk_add_f32 v[4:5], v[4:5], v[74:75]
	s_waitcnt vmcnt(5)
	v_mov_b32_e32 v6, v97
	v_pk_add_f32 v[4:5], v[4:5], v[72:73]
	v_mov_b32_e32 v9, v7
	v_pk_mul_f32 v[6:7], v[66:67], v[6:7] op_sel_hi:[1,0]
	v_pk_add_f32 v[4:5], v[4:5], v[8:9]
	s_waitcnt vmcnt(4)
	v_pk_fma_f32 v[8:9], v[66:67], v[96:97], v[6:7] op_sel:[0,0,1] op_sel_hi:[1,1,0] neg_lo:[0,0,1] neg_hi:[0,0,1]
	v_pk_fma_f32 v[6:7], v[66:67], v[96:97], v[6:7] op_sel:[0,0,1] op_sel_hi:[1,0,0]
	s_waitcnt vmcnt(3)
	v_mov_b32_e32 v6, v99
	v_mov_b32_e32 v9, v7
	s_waitcnt lgkmcnt(0)
	v_pk_mul_f32 v[6:7], v[68:69], v[6:7] op_sel_hi:[1,0]
	v_pk_add_f32 v[4:5], v[4:5], v[8:9]
	s_waitcnt vmcnt(2)
	v_pk_fma_f32 v[8:9], v[68:69], v[98:99], v[6:7] op_sel:[0,0,1] op_sel_hi:[1,1,0] neg_lo:[0,0,1] neg_hi:[0,0,1]
	v_pk_fma_f32 v[6:7], v[68:69], v[98:99], v[6:7] op_sel:[0,0,1] op_sel_hi:[1,0,0]
	s_waitcnt vmcnt(1)
	v_mov_b32_e32 v6, v101
	v_mov_b32_e32 v9, v7
	v_pk_mul_f32 v[6:7], v[70:71], v[6:7] op_sel_hi:[1,0]
	v_pk_add_f32 v[4:5], v[4:5], v[8:9]
	s_waitcnt vmcnt(0)
	v_pk_fma_f32 v[8:9], v[70:71], v[100:101], v[6:7] op_sel:[0,0,1] op_sel_hi:[1,1,0] neg_lo:[0,0,1] neg_hi:[0,0,1]
	v_pk_fma_f32 v[6:7], v[70:71], v[100:101], v[6:7] op_sel:[0,0,1] op_sel_hi:[1,0,0]
	v_mov_b32_e32 v9, v7
	v_pk_add_f32 v[4:5], v[4:5], v[8:9]
	v_pk_add_f32 v[2:3], v[2:3], v[4:5] neg_lo:[0,1] neg_hi:[0,1]
	buffer_store_dword v3, off, s[0:3], 0 offset:84
	buffer_store_dword v2, off, s[0:3], 0 offset:80
	s_and_saveexec_b64 s[4:5], vcc
	s_cbranch_execz .LBB26_157
; %bb.156:
	buffer_load_dword v2, off, s[0:3], 0 offset:72
	buffer_load_dword v3, off, s[0:3], 0 offset:76
	v_mov_b32_e32 v4, 0
	buffer_store_dword v4, off, s[0:3], 0 offset:72
	buffer_store_dword v4, off, s[0:3], 0 offset:76
	s_waitcnt vmcnt(2)
	ds_write_b64 v1, v[2:3]
.LBB26_157:
	s_or_b64 exec, exec, s[4:5]
	s_waitcnt lgkmcnt(0)
	; wave barrier
	s_waitcnt lgkmcnt(0)
	buffer_load_dword v5, off, s[0:3], 0 offset:84
	buffer_load_dword v100, off, s[0:3], 0 offset:92
	;; [unrolled: 1-line block ×36, first 2 shown]
	v_mov_b32_e32 v4, 0
	ds_read_b128 v[6:9], v4 offset:304
	ds_read_b128 v[64:67], v4 offset:320
	;; [unrolled: 1-line block ×6, first 2 shown]
	v_cmp_lt_u32_e32 vcc, 8, v0
	s_waitcnt vmcnt(35) lgkmcnt(5)
	v_mul_f32_e32 v119, v6, v5
	s_waitcnt vmcnt(34)
	v_mul_f32_e32 v120, v8, v100
	s_waitcnt vmcnt(33) lgkmcnt(4)
	v_mul_f32_e32 v121, v64, v102
	v_mul_f32_e32 v5, v7, v5
	;; [unrolled: 1-line block ×4, first 2 shown]
	s_waitcnt vmcnt(32)
	v_mul_f32_e32 v122, v66, v104
	s_waitcnt vmcnt(31) lgkmcnt(3)
	v_mul_f32_e32 v123, v68, v105
	v_mul_f32_e32 v104, v67, v104
	s_waitcnt vmcnt(26)
	v_fmac_f32_e32 v119, v7, v110
	s_waitcnt vmcnt(25)
	v_fmac_f32_e32 v120, v9, v111
	;; [unrolled: 2-line block ×3, first 2 shown]
	v_fma_f32 v5, v6, v110, -v5
	v_add_f32_e32 v65, 0, v119
	v_fma_f32 v6, v8, v111, -v100
	v_add_f32_e32 v5, 0, v5
	v_add_f32_e32 v65, v65, v120
	s_waitcnt vmcnt(23)
	v_fmac_f32_e32 v122, v67, v113
	v_fma_f32 v7, v64, v112, -v102
	v_add_f32_e32 v5, v5, v6
	v_add_f32_e32 v6, v65, v121
	v_mul_f32_e32 v124, v70, v106
	v_mul_f32_e32 v105, v69, v105
	s_waitcnt vmcnt(22)
	v_fmac_f32_e32 v123, v69, v114
	v_fma_f32 v8, v66, v113, -v104
	v_add_f32_e32 v5, v5, v7
	v_add_f32_e32 v6, v6, v122
	s_waitcnt lgkmcnt(2)
	v_mul_f32_e32 v125, v72, v107
	v_mul_f32_e32 v106, v71, v106
	s_waitcnt vmcnt(21)
	v_fmac_f32_e32 v124, v71, v115
	v_fma_f32 v9, v68, v114, -v105
	v_add_f32_e32 v5, v5, v8
	v_add_f32_e32 v6, v6, v123
	v_mul_f32_e32 v107, v73, v107
	s_waitcnt vmcnt(20)
	v_fmac_f32_e32 v125, v73, v116
	v_fma_f32 v64, v70, v115, -v106
	v_add_f32_e32 v5, v5, v9
	v_add_f32_e32 v6, v6, v124
	v_add_f32_e32 v5, v5, v64
	v_add_f32_e32 v69, v6, v125
	v_fma_f32 v6, v72, v116, -v107
	v_mul_f32_e32 v101, v74, v108
	v_add_f32_e32 v68, v5, v6
	v_mul_f32_e32 v5, v75, v108
	s_waitcnt vmcnt(17)
	v_mov_b32_e32 v72, v3
	s_waitcnt lgkmcnt(1)
	v_mul_f32_e32 v103, v76, v109
	v_fmac_f32_e32 v101, v75, v117
	v_fma_f32 v100, v74, v117, -v5
	v_mul_f32_e32 v5, v77, v109
	v_pk_mul_f32 v[72:73], v[78:79], v[72:73] op_sel_hi:[1,0]
	v_fmac_f32_e32 v103, v77, v118
	v_fma_f32 v102, v76, v118, -v5
	v_pk_add_f32 v[68:69], v[68:69], v[100:101]
	s_waitcnt vmcnt(15)
	v_pk_fma_f32 v[74:75], v[78:79], v[2:3], v[72:73] op_sel:[0,0,1] op_sel_hi:[1,1,0] neg_lo:[0,0,1] neg_hi:[0,0,1]
	v_pk_fma_f32 v[2:3], v[78:79], v[2:3], v[72:73] op_sel:[0,0,1] op_sel_hi:[1,0,0]
	v_pk_add_f32 v[68:69], v[68:69], v[102:103]
	v_mov_b32_e32 v75, v3
	v_pk_add_f32 v[2:3], v[68:69], v[74:75]
	s_waitcnt vmcnt(12)
	v_mov_b32_e32 v68, v85
	s_waitcnt lgkmcnt(0)
	v_pk_mul_f32 v[68:69], v[80:81], v[68:69] op_sel_hi:[1,0]
	v_pk_fma_f32 v[72:73], v[80:81], v[84:85], v[68:69] op_sel:[0,0,1] op_sel_hi:[1,1,0] neg_lo:[0,0,1] neg_hi:[0,0,1]
	v_pk_fma_f32 v[68:69], v[80:81], v[84:85], v[68:69] op_sel:[0,0,1] op_sel_hi:[1,0,0]
	s_waitcnt vmcnt(11)
	v_mov_b32_e32 v68, v89
	ds_read_b128 v[6:9], v4 offset:400
	ds_read_b128 v[64:67], v4 offset:416
	ds_read_b64 v[70:71], v4 offset:432
	v_mov_b32_e32 v73, v69
	v_pk_mul_f32 v[68:69], v[82:83], v[68:69] op_sel_hi:[1,0]
	v_pk_add_f32 v[2:3], v[2:3], v[72:73]
	s_waitcnt vmcnt(4)
	v_pk_fma_f32 v[72:73], v[82:83], v[88:89], v[68:69] op_sel:[0,0,1] op_sel_hi:[1,1,0] neg_lo:[0,0,1] neg_hi:[0,0,1]
	v_pk_fma_f32 v[68:69], v[82:83], v[88:89], v[68:69] op_sel:[0,0,1] op_sel_hi:[1,0,0]
	v_mov_b32_e32 v68, v95
	v_mov_b32_e32 v73, v69
	s_waitcnt lgkmcnt(2)
	v_pk_mul_f32 v[68:69], v[6:7], v[68:69] op_sel_hi:[1,0]
	v_pk_add_f32 v[2:3], v[2:3], v[72:73]
	v_pk_fma_f32 v[72:73], v[6:7], v[94:95], v[68:69] op_sel:[0,0,1] op_sel_hi:[1,1,0] neg_lo:[0,0,1] neg_hi:[0,0,1]
	v_pk_fma_f32 v[6:7], v[6:7], v[94:95], v[68:69] op_sel:[0,0,1] op_sel_hi:[1,0,0]
	v_mov_b32_e32 v6, v93
	v_mov_b32_e32 v73, v7
	v_pk_mul_f32 v[6:7], v[8:9], v[6:7] op_sel_hi:[1,0]
	v_pk_fma_f32 v[68:69], v[8:9], v[92:93], v[6:7] op_sel:[0,0,1] op_sel_hi:[1,1,0] neg_lo:[0,0,1] neg_hi:[0,0,1]
	v_pk_fma_f32 v[6:7], v[8:9], v[92:93], v[6:7] op_sel:[0,0,1] op_sel_hi:[1,0,0]
	v_mov_b32_e32 v6, v91
	v_mov_b32_e32 v69, v7
	s_waitcnt lgkmcnt(1)
	v_pk_mul_f32 v[6:7], v[64:65], v[6:7] op_sel_hi:[1,0]
	v_pk_fma_f32 v[8:9], v[64:65], v[90:91], v[6:7] op_sel:[0,0,1] op_sel_hi:[1,1,0] neg_lo:[0,0,1] neg_hi:[0,0,1]
	v_pk_fma_f32 v[6:7], v[64:65], v[90:91], v[6:7] op_sel:[0,0,1] op_sel_hi:[1,0,0]
	v_pk_add_f32 v[2:3], v[2:3], v[72:73]
	s_waitcnt vmcnt(1)
	v_mov_b32_e32 v6, v99
	v_pk_add_f32 v[2:3], v[2:3], v[68:69]
	v_mov_b32_e32 v9, v7
	v_pk_mul_f32 v[6:7], v[66:67], v[6:7] op_sel_hi:[1,0]
	v_pk_add_f32 v[2:3], v[2:3], v[8:9]
	s_waitcnt vmcnt(0)
	v_pk_fma_f32 v[8:9], v[66:67], v[98:99], v[6:7] op_sel:[0,0,1] op_sel_hi:[1,1,0] neg_lo:[0,0,1] neg_hi:[0,0,1]
	v_pk_fma_f32 v[6:7], v[66:67], v[98:99], v[6:7] op_sel:[0,0,1] op_sel_hi:[1,0,0]
	v_mov_b32_e32 v6, v97
	v_mov_b32_e32 v9, v7
	s_waitcnt lgkmcnt(0)
	v_pk_mul_f32 v[6:7], v[70:71], v[6:7] op_sel_hi:[1,0]
	v_pk_add_f32 v[2:3], v[2:3], v[8:9]
	v_pk_fma_f32 v[8:9], v[70:71], v[96:97], v[6:7] op_sel:[0,0,1] op_sel_hi:[1,1,0] neg_lo:[0,0,1] neg_hi:[0,0,1]
	v_pk_fma_f32 v[6:7], v[70:71], v[96:97], v[6:7] op_sel:[0,0,1] op_sel_hi:[1,0,0]
	v_mov_b32_e32 v9, v7
	v_pk_add_f32 v[2:3], v[2:3], v[8:9]
	v_pk_add_f32 v[2:3], v[86:87], v[2:3] neg_lo:[0,1] neg_hi:[0,1]
	buffer_store_dword v3, off, s[0:3], 0 offset:76
	buffer_store_dword v2, off, s[0:3], 0 offset:72
	s_and_saveexec_b64 s[4:5], vcc
	s_cbranch_execz .LBB26_159
; %bb.158:
	buffer_load_dword v2, off, s[0:3], 0 offset:64
	buffer_load_dword v3, off, s[0:3], 0 offset:68
	s_waitcnt vmcnt(0)
	ds_write_b64 v1, v[2:3]
	buffer_store_dword v4, off, s[0:3], 0 offset:64
	buffer_store_dword v4, off, s[0:3], 0 offset:68
.LBB26_159:
	s_or_b64 exec, exec, s[4:5]
	s_waitcnt lgkmcnt(0)
	; wave barrier
	s_waitcnt lgkmcnt(0)
	ds_read2_b64 v[6:9], v4 offset0:37 offset1:38
	buffer_load_dword v2, off, s[0:3], 0 offset:64
	buffer_load_dword v3, off, s[0:3], 0 offset:68
	buffer_load_dword v5, off, s[0:3], 0 offset:72
	buffer_load_dword v84, off, s[0:3], 0 offset:76
	buffer_load_dword v86, off, s[0:3], 0 offset:80
	buffer_load_dword v88, off, s[0:3], 0 offset:84
	buffer_load_dword v106, off, s[0:3], 0 offset:88
	buffer_load_dword v107, off, s[0:3], 0 offset:92
	buffer_load_dword v108, off, s[0:3], 0 offset:96
	buffer_load_dword v109, off, s[0:3], 0 offset:100
	buffer_load_dword v110, off, s[0:3], 0 offset:104
	buffer_load_dword v111, off, s[0:3], 0 offset:108
	buffer_load_dword v112, off, s[0:3], 0 offset:112
	buffer_load_dword v113, off, s[0:3], 0 offset:116
	buffer_load_dword v114, off, s[0:3], 0 offset:120
	buffer_load_dword v115, off, s[0:3], 0 offset:124
	v_cmp_lt_u32_e32 vcc, 7, v0
	s_waitcnt vmcnt(12) lgkmcnt(0)
	v_mul_f32_e32 v64, v6, v84
	v_fmac_f32_e32 v64, v7, v5
	s_waitcnt vmcnt(10)
	v_mul_f32_e32 v65, v8, v88
	v_add_f32_e32 v64, 0, v64
	v_fmac_f32_e32 v65, v9, v86
	v_add_f32_e32 v68, v64, v65
	ds_read2_b64 v[64:67], v4 offset0:39 offset1:40
	v_mul_f32_e32 v7, v7, v84
	v_fma_f32 v5, v6, v5, -v7
	v_mul_f32_e32 v6, v9, v88
	v_add_f32_e32 v5, 0, v5
	s_waitcnt vmcnt(8) lgkmcnt(0)
	v_mul_f32_e32 v69, v64, v107
	v_fmac_f32_e32 v69, v65, v106
	v_add_f32_e32 v68, v68, v69
	s_waitcnt vmcnt(6)
	v_mul_f32_e32 v69, v66, v109
	v_fmac_f32_e32 v69, v67, v108
	v_add_f32_e32 v72, v68, v69
	ds_read2_b64 v[68:71], v4 offset0:41 offset1:42
	v_fma_f32 v6, v8, v86, -v6
	v_add_f32_e32 v5, v5, v6
	v_mul_f32_e32 v6, v65, v107
	v_fma_f32 v6, v64, v106, -v6
	s_waitcnt vmcnt(4) lgkmcnt(0)
	v_mul_f32_e32 v73, v68, v111
	v_fmac_f32_e32 v73, v69, v110
	v_add_f32_e32 v72, v72, v73
	s_waitcnt vmcnt(2)
	v_mul_f32_e32 v73, v70, v113
	v_fmac_f32_e32 v73, v71, v112
	v_add_f32_e32 v76, v72, v73
	ds_read2_b64 v[72:75], v4 offset0:43 offset1:44
	buffer_load_dword v116, off, s[0:3], 0 offset:128
	buffer_load_dword v117, off, s[0:3], 0 offset:132
	v_add_f32_e32 v5, v5, v6
	v_mul_f32_e32 v6, v67, v109
	v_fma_f32 v6, v66, v108, -v6
	s_waitcnt vmcnt(2) lgkmcnt(0)
	v_mul_f32_e32 v77, v72, v115
	v_fmac_f32_e32 v77, v73, v114
	v_add_f32_e32 v76, v76, v77
	v_add_f32_e32 v5, v5, v6
	v_mul_f32_e32 v6, v69, v111
	v_fma_f32 v6, v68, v110, -v6
	v_add_f32_e32 v5, v5, v6
	v_mul_f32_e32 v6, v71, v113
	v_fma_f32 v6, v70, v112, -v6
	;; [unrolled: 3-line block ×3, first 2 shown]
	v_add_f32_e32 v5, v5, v6
	s_waitcnt vmcnt(0)
	v_mul_f32_e32 v77, v74, v117
	v_fmac_f32_e32 v77, v75, v116
	v_add_f32_e32 v85, v76, v77
	ds_read2_b64 v[76:79], v4 offset0:45 offset1:46
	buffer_load_dword v118, off, s[0:3], 0 offset:136
	buffer_load_dword v119, off, s[0:3], 0 offset:140
	;; [unrolled: 1-line block ×6, first 2 shown]
	ds_read2_b64 v[80:83], v4 offset0:47 offset1:48
	buffer_load_dword v93, off, s[0:3], 0 offset:164
	buffer_load_dword v92, off, s[0:3], 0 offset:160
	;; [unrolled: 1-line block ×14, first 2 shown]
	v_mul_f32_e32 v6, v75, v117
	v_fma_f32 v6, v74, v116, -v6
	v_add_f32_e32 v84, v5, v6
	ds_read2_b64 v[6:9], v4 offset0:49 offset1:50
	ds_read2_b64 v[64:67], v4 offset0:51 offset1:52
	;; [unrolled: 1-line block ×3, first 2 shown]
	s_waitcnt vmcnt(18) lgkmcnt(4)
	v_mul_f32_e32 v87, v76, v119
	s_waitcnt vmcnt(15)
	v_mov_b32_e32 v72, v91
	v_mul_f32_e32 v5, v77, v119
	s_waitcnt lgkmcnt(3)
	v_pk_mul_f32 v[72:73], v[80:81], v[72:73] op_sel_hi:[1,0]
	v_fmac_f32_e32 v87, v77, v118
	v_mul_f32_e32 v89, v78, v121
	v_fma_f32 v86, v76, v118, -v5
	v_mul_f32_e32 v5, v79, v121
	s_waitcnt vmcnt(14)
	v_pk_fma_f32 v[74:75], v[80:81], v[90:91], v[72:73] op_sel:[0,0,1] op_sel_hi:[1,1,0] neg_lo:[0,0,1] neg_hi:[0,0,1]
	v_pk_fma_f32 v[72:73], v[80:81], v[90:91], v[72:73] op_sel:[0,0,1] op_sel_hi:[1,0,0]
	v_fmac_f32_e32 v89, v79, v120
	v_fma_f32 v88, v78, v120, -v5
	v_pk_add_f32 v[4:5], v[84:85], v[86:87]
	s_waitcnt vmcnt(13)
	v_mov_b32_e32 v72, v93
	v_pk_add_f32 v[4:5], v[4:5], v[88:89]
	v_mov_b32_e32 v75, v73
	v_pk_mul_f32 v[72:73], v[82:83], v[72:73] op_sel_hi:[1,0]
	v_pk_add_f32 v[4:5], v[4:5], v[74:75]
	s_waitcnt vmcnt(12)
	v_pk_fma_f32 v[74:75], v[82:83], v[92:93], v[72:73] op_sel:[0,0,1] op_sel_hi:[1,1,0] neg_lo:[0,0,1] neg_hi:[0,0,1]
	v_pk_fma_f32 v[72:73], v[82:83], v[92:93], v[72:73] op_sel:[0,0,1] op_sel_hi:[1,0,0]
	s_waitcnt vmcnt(11)
	v_mov_b32_e32 v72, v95
	v_mov_b32_e32 v75, v73
	s_waitcnt lgkmcnt(2)
	v_pk_mul_f32 v[72:73], v[6:7], v[72:73] op_sel_hi:[1,0]
	v_pk_add_f32 v[4:5], v[4:5], v[74:75]
	s_waitcnt vmcnt(10)
	v_pk_fma_f32 v[74:75], v[6:7], v[94:95], v[72:73] op_sel:[0,0,1] op_sel_hi:[1,1,0] neg_lo:[0,0,1] neg_hi:[0,0,1]
	v_pk_fma_f32 v[6:7], v[6:7], v[94:95], v[72:73] op_sel:[0,0,1] op_sel_hi:[1,0,0]
	s_waitcnt vmcnt(9)
	v_mov_b32_e32 v6, v97
	v_mov_b32_e32 v75, v7
	v_pk_mul_f32 v[6:7], v[8:9], v[6:7] op_sel_hi:[1,0]
	s_waitcnt vmcnt(8)
	v_pk_fma_f32 v[72:73], v[8:9], v[96:97], v[6:7] op_sel:[0,0,1] op_sel_hi:[1,1,0] neg_lo:[0,0,1] neg_hi:[0,0,1]
	v_pk_fma_f32 v[6:7], v[8:9], v[96:97], v[6:7] op_sel:[0,0,1] op_sel_hi:[1,0,0]
	s_waitcnt vmcnt(7)
	v_mov_b32_e32 v6, v99
	v_mov_b32_e32 v73, v7
	s_waitcnt lgkmcnt(1)
	v_pk_mul_f32 v[6:7], v[64:65], v[6:7] op_sel_hi:[1,0]
	s_waitcnt vmcnt(6)
	v_pk_fma_f32 v[8:9], v[64:65], v[98:99], v[6:7] op_sel:[0,0,1] op_sel_hi:[1,1,0] neg_lo:[0,0,1] neg_hi:[0,0,1]
	v_pk_fma_f32 v[6:7], v[64:65], v[98:99], v[6:7] op_sel:[0,0,1] op_sel_hi:[1,0,0]
	v_pk_add_f32 v[4:5], v[4:5], v[74:75]
	s_waitcnt vmcnt(5)
	v_mov_b32_e32 v6, v101
	v_pk_add_f32 v[4:5], v[4:5], v[72:73]
	v_mov_b32_e32 v9, v7
	v_pk_mul_f32 v[6:7], v[66:67], v[6:7] op_sel_hi:[1,0]
	v_pk_add_f32 v[4:5], v[4:5], v[8:9]
	s_waitcnt vmcnt(4)
	v_pk_fma_f32 v[8:9], v[66:67], v[100:101], v[6:7] op_sel:[0,0,1] op_sel_hi:[1,1,0] neg_lo:[0,0,1] neg_hi:[0,0,1]
	v_pk_fma_f32 v[6:7], v[66:67], v[100:101], v[6:7] op_sel:[0,0,1] op_sel_hi:[1,0,0]
	s_waitcnt vmcnt(3)
	v_mov_b32_e32 v6, v103
	v_mov_b32_e32 v9, v7
	s_waitcnt lgkmcnt(0)
	v_pk_mul_f32 v[6:7], v[68:69], v[6:7] op_sel_hi:[1,0]
	v_pk_add_f32 v[4:5], v[4:5], v[8:9]
	s_waitcnt vmcnt(2)
	v_pk_fma_f32 v[8:9], v[68:69], v[102:103], v[6:7] op_sel:[0,0,1] op_sel_hi:[1,1,0] neg_lo:[0,0,1] neg_hi:[0,0,1]
	v_pk_fma_f32 v[6:7], v[68:69], v[102:103], v[6:7] op_sel:[0,0,1] op_sel_hi:[1,0,0]
	s_waitcnt vmcnt(1)
	v_mov_b32_e32 v6, v105
	v_mov_b32_e32 v9, v7
	v_pk_mul_f32 v[6:7], v[70:71], v[6:7] op_sel_hi:[1,0]
	v_pk_add_f32 v[4:5], v[4:5], v[8:9]
	s_waitcnt vmcnt(0)
	v_pk_fma_f32 v[8:9], v[70:71], v[104:105], v[6:7] op_sel:[0,0,1] op_sel_hi:[1,1,0] neg_lo:[0,0,1] neg_hi:[0,0,1]
	v_pk_fma_f32 v[6:7], v[70:71], v[104:105], v[6:7] op_sel:[0,0,1] op_sel_hi:[1,0,0]
	v_mov_b32_e32 v9, v7
	v_pk_add_f32 v[4:5], v[4:5], v[8:9]
	v_pk_add_f32 v[2:3], v[2:3], v[4:5] neg_lo:[0,1] neg_hi:[0,1]
	buffer_store_dword v3, off, s[0:3], 0 offset:68
	buffer_store_dword v2, off, s[0:3], 0 offset:64
	s_and_saveexec_b64 s[4:5], vcc
	s_cbranch_execz .LBB26_161
; %bb.160:
	buffer_load_dword v2, off, s[0:3], 0 offset:56
	buffer_load_dword v3, off, s[0:3], 0 offset:60
	v_mov_b32_e32 v4, 0
	buffer_store_dword v4, off, s[0:3], 0 offset:56
	buffer_store_dword v4, off, s[0:3], 0 offset:60
	s_waitcnt vmcnt(2)
	ds_write_b64 v1, v[2:3]
.LBB26_161:
	s_or_b64 exec, exec, s[4:5]
	v_mov_b32_e32 v66, 0
	s_waitcnt lgkmcnt(0)
	; wave barrier
	s_waitcnt lgkmcnt(0)
	ds_read_b128 v[68:71], v66 offset:288
	ds_read_b128 v[72:75], v66 offset:304
	;; [unrolled: 1-line block ×4, first 2 shown]
	buffer_load_dword v64, off, s[0:3], 0 offset:56
	buffer_load_dword v65, off, s[0:3], 0 offset:60
	;; [unrolled: 1-line block ×18, first 2 shown]
	v_cmp_lt_u32_e32 vcc, 6, v0
	s_waitcnt vmcnt(14) lgkmcnt(3)
	v_mul_f32_e32 v76, v68, v84
	v_fmac_f32_e32 v76, v69, v67
	s_waitcnt vmcnt(12)
	v_mul_f32_e32 v77, v70, v88
	v_add_f32_e32 v76, 0, v76
	v_fmac_f32_e32 v77, v71, v86
	v_add_f32_e32 v76, v76, v77
	s_waitcnt vmcnt(10) lgkmcnt(2)
	v_mul_f32_e32 v77, v72, v107
	v_fmac_f32_e32 v77, v73, v106
	v_add_f32_e32 v76, v76, v77
	s_waitcnt vmcnt(8)
	v_mul_f32_e32 v77, v74, v109
	v_fmac_f32_e32 v77, v75, v108
	v_add_f32_e32 v76, v76, v77
	s_waitcnt vmcnt(6) lgkmcnt(1)
	v_mul_f32_e32 v77, v6, v111
	v_fmac_f32_e32 v77, v7, v110
	v_add_f32_e32 v76, v76, v77
	s_waitcnt vmcnt(4)
	v_mul_f32_e32 v77, v8, v113
	;; [unrolled: 8-line block ×3, first 2 shown]
	v_fmac_f32_e32 v77, v5, v116
	v_add_f32_e32 v80, v76, v77
	ds_read_b128 v[76:79], v66 offset:352
	buffer_load_dword v118, off, s[0:3], 0 offset:128
	buffer_load_dword v119, off, s[0:3], 0 offset:132
	;; [unrolled: 1-line block ×4, first 2 shown]
	v_mul_f32_e32 v69, v69, v84
	v_fma_f32 v67, v68, v67, -v69
	v_mul_f32_e32 v68, v71, v88
	v_add_f32_e32 v67, 0, v67
	v_fma_f32 v68, v70, v86, -v68
	v_add_f32_e32 v67, v67, v68
	v_mul_f32_e32 v68, v73, v107
	v_fma_f32 v68, v72, v106, -v68
	v_add_f32_e32 v67, v67, v68
	v_mul_f32_e32 v68, v75, v109
	v_fma_f32 v68, v74, v108, -v68
	v_mul_f32_e32 v7, v7, v111
	v_add_f32_e32 v67, v67, v68
	v_fma_f32 v6, v6, v110, -v7
	v_mul_f32_e32 v7, v9, v113
	v_add_f32_e32 v6, v67, v6
	;; [unrolled: 3-line block ×4, first 2 shown]
	v_fma_f32 v3, v4, v116, -v3
	v_add_f32_e32 v2, v2, v3
	s_waitcnt vmcnt(2) lgkmcnt(0)
	v_mul_f32_e32 v81, v76, v119
	v_fmac_f32_e32 v81, v77, v118
	v_add_f32_e32 v85, v80, v81
	ds_read_b128 v[80:83], v66 offset:368
	buffer_load_dword v122, off, s[0:3], 0 offset:144
	buffer_load_dword v123, off, s[0:3], 0 offset:148
	;; [unrolled: 1-line block ×18, first 2 shown]
	v_mul_f32_e32 v3, v77, v119
	v_fma_f32 v3, v76, v118, -v3
	v_add_f32_e32 v84, v2, v3
	s_waitcnt vmcnt(18)
	v_mul_f32_e32 v2, v79, v121
	v_mul_f32_e32 v87, v78, v121
	v_fma_f32 v86, v78, v120, -v2
	v_fmac_f32_e32 v87, v79, v120
	v_pk_add_f32 v[74:75], v[84:85], v[86:87]
	s_waitcnt vmcnt(15)
	v_mov_b32_e32 v76, v91
	s_waitcnt lgkmcnt(0)
	v_pk_mul_f32 v[76:77], v[82:83], v[76:77] op_sel_hi:[1,0]
	s_waitcnt vmcnt(14)
	v_pk_fma_f32 v[78:79], v[82:83], v[90:91], v[76:77] op_sel:[0,0,1] op_sel_hi:[1,1,0] neg_lo:[0,0,1] neg_hi:[0,0,1]
	v_pk_fma_f32 v[76:77], v[82:83], v[90:91], v[76:77] op_sel:[0,0,1] op_sel_hi:[1,0,0]
	s_waitcnt vmcnt(13)
	v_mov_b32_e32 v76, v93
	v_mov_b32_e32 v79, v77
	v_mul_f32_e32 v2, v81, v123
	v_mul_f32_e32 v89, v80, v123
	v_fma_f32 v88, v80, v122, -v2
	ds_read_b128 v[2:5], v66 offset:384
	ds_read_b128 v[6:9], v66 offset:400
	;; [unrolled: 1-line block ×3, first 2 shown]
	ds_read_b64 v[72:73], v66 offset:432
	v_fmac_f32_e32 v89, v81, v122
	v_pk_add_f32 v[74:75], v[74:75], v[88:89]
	s_waitcnt lgkmcnt(3)
	v_pk_mul_f32 v[76:77], v[2:3], v[76:77] op_sel_hi:[1,0]
	v_pk_add_f32 v[74:75], v[74:75], v[78:79]
	s_waitcnt vmcnt(12)
	v_pk_fma_f32 v[78:79], v[2:3], v[92:93], v[76:77] op_sel:[0,0,1] op_sel_hi:[1,1,0] neg_lo:[0,0,1] neg_hi:[0,0,1]
	v_pk_fma_f32 v[2:3], v[2:3], v[92:93], v[76:77] op_sel:[0,0,1] op_sel_hi:[1,0,0]
	v_mov_b32_e32 v79, v3
	v_pk_add_f32 v[2:3], v[74:75], v[78:79]
	s_waitcnt vmcnt(11)
	v_mov_b32_e32 v74, v95
	v_pk_mul_f32 v[74:75], v[4:5], v[74:75] op_sel_hi:[1,0]
	s_waitcnt vmcnt(10)
	v_pk_fma_f32 v[76:77], v[4:5], v[94:95], v[74:75] op_sel:[0,0,1] op_sel_hi:[1,1,0] neg_lo:[0,0,1] neg_hi:[0,0,1]
	v_pk_fma_f32 v[4:5], v[4:5], v[94:95], v[74:75] op_sel:[0,0,1] op_sel_hi:[1,0,0]
	s_waitcnt vmcnt(9)
	v_mov_b32_e32 v4, v97
	v_mov_b32_e32 v77, v5
	s_waitcnt lgkmcnt(2)
	v_pk_mul_f32 v[4:5], v[6:7], v[4:5] op_sel_hi:[1,0]
	s_waitcnt vmcnt(8)
	v_pk_fma_f32 v[74:75], v[6:7], v[96:97], v[4:5] op_sel:[0,0,1] op_sel_hi:[1,1,0] neg_lo:[0,0,1] neg_hi:[0,0,1]
	v_pk_fma_f32 v[4:5], v[6:7], v[96:97], v[4:5] op_sel:[0,0,1] op_sel_hi:[1,0,0]
	s_waitcnt vmcnt(7)
	v_mov_b32_e32 v4, v99
	v_mov_b32_e32 v75, v5
	v_pk_mul_f32 v[4:5], v[8:9], v[4:5] op_sel_hi:[1,0]
	s_waitcnt vmcnt(6)
	v_pk_fma_f32 v[6:7], v[8:9], v[98:99], v[4:5] op_sel:[0,0,1] op_sel_hi:[1,1,0] neg_lo:[0,0,1] neg_hi:[0,0,1]
	v_pk_fma_f32 v[4:5], v[8:9], v[98:99], v[4:5] op_sel:[0,0,1] op_sel_hi:[1,0,0]
	v_pk_add_f32 v[2:3], v[2:3], v[76:77]
	s_waitcnt vmcnt(5)
	v_mov_b32_e32 v4, v101
	v_pk_add_f32 v[2:3], v[2:3], v[74:75]
	v_mov_b32_e32 v7, v5
	s_waitcnt lgkmcnt(1)
	v_pk_mul_f32 v[4:5], v[68:69], v[4:5] op_sel_hi:[1,0]
	v_pk_add_f32 v[2:3], v[2:3], v[6:7]
	s_waitcnt vmcnt(4)
	v_pk_fma_f32 v[6:7], v[68:69], v[100:101], v[4:5] op_sel:[0,0,1] op_sel_hi:[1,1,0] neg_lo:[0,0,1] neg_hi:[0,0,1]
	v_pk_fma_f32 v[4:5], v[68:69], v[100:101], v[4:5] op_sel:[0,0,1] op_sel_hi:[1,0,0]
	s_waitcnt vmcnt(3)
	v_mov_b32_e32 v4, v103
	v_mov_b32_e32 v7, v5
	v_pk_mul_f32 v[4:5], v[70:71], v[4:5] op_sel_hi:[1,0]
	v_pk_add_f32 v[2:3], v[2:3], v[6:7]
	s_waitcnt vmcnt(2)
	v_pk_fma_f32 v[6:7], v[70:71], v[102:103], v[4:5] op_sel:[0,0,1] op_sel_hi:[1,1,0] neg_lo:[0,0,1] neg_hi:[0,0,1]
	v_pk_fma_f32 v[4:5], v[70:71], v[102:103], v[4:5] op_sel:[0,0,1] op_sel_hi:[1,0,0]
	s_waitcnt vmcnt(1)
	v_mov_b32_e32 v4, v105
	v_mov_b32_e32 v7, v5
	s_waitcnt lgkmcnt(0)
	v_pk_mul_f32 v[4:5], v[72:73], v[4:5] op_sel_hi:[1,0]
	v_pk_add_f32 v[2:3], v[2:3], v[6:7]
	s_waitcnt vmcnt(0)
	v_pk_fma_f32 v[6:7], v[72:73], v[104:105], v[4:5] op_sel:[0,0,1] op_sel_hi:[1,1,0] neg_lo:[0,0,1] neg_hi:[0,0,1]
	v_pk_fma_f32 v[4:5], v[72:73], v[104:105], v[4:5] op_sel:[0,0,1] op_sel_hi:[1,0,0]
	v_mov_b32_e32 v7, v5
	v_pk_add_f32 v[2:3], v[2:3], v[6:7]
	v_pk_add_f32 v[2:3], v[64:65], v[2:3] neg_lo:[0,1] neg_hi:[0,1]
	buffer_store_dword v3, off, s[0:3], 0 offset:60
	buffer_store_dword v2, off, s[0:3], 0 offset:56
	s_and_saveexec_b64 s[4:5], vcc
	s_cbranch_execz .LBB26_163
; %bb.162:
	buffer_load_dword v2, off, s[0:3], 0 offset:48
	buffer_load_dword v3, off, s[0:3], 0 offset:52
	s_waitcnt vmcnt(0)
	ds_write_b64 v1, v[2:3]
	buffer_store_dword v66, off, s[0:3], 0 offset:48
	buffer_store_dword v66, off, s[0:3], 0 offset:52
.LBB26_163:
	s_or_b64 exec, exec, s[4:5]
	s_waitcnt lgkmcnt(0)
	; wave barrier
	s_waitcnt lgkmcnt(0)
	buffer_load_dword v64, off, s[0:3], 0 offset:60
	buffer_load_dword v65, off, s[0:3], 0 offset:68
	;; [unrolled: 1-line block ×26, first 2 shown]
	ds_read2_b64 v[2:5], v66 offset0:35 offset1:36
	ds_read2_b64 v[6:9], v66 offset0:37 offset1:38
	;; [unrolled: 1-line block ×6, first 2 shown]
	buffer_load_dword v87, off, s[0:3], 0 offset:172
	buffer_load_dword v86, off, s[0:3], 0 offset:168
	;; [unrolled: 1-line block ×16, first 2 shown]
	v_cmp_lt_u32_e32 vcc, 5, v0
	s_waitcnt vmcnt(41) lgkmcnt(5)
	v_mul_f32_e32 v125, v2, v64
	s_waitcnt vmcnt(40)
	v_mul_f32_e32 v126, v4, v65
	v_mul_f32_e32 v64, v3, v64
	s_waitcnt vmcnt(39) lgkmcnt(4)
	v_mul_f32_e32 v127, v6, v67
	v_mul_f32_e32 v65, v5, v65
	s_waitcnt vmcnt(38)
	v_mul_f32_e32 v128, v8, v102
	s_waitcnt vmcnt(37) lgkmcnt(3)
	v_mul_f32_e32 v129, v68, v104
	s_waitcnt vmcnt(36)
	v_mul_f32_e32 v130, v70, v106
	s_waitcnt vmcnt(35) lgkmcnt(2)
	v_mul_f32_e32 v131, v72, v108
	s_waitcnt vmcnt(34)
	v_mul_f32_e32 v132, v74, v109
	s_waitcnt vmcnt(33) lgkmcnt(1)
	v_mul_f32_e32 v133, v76, v110
	s_waitcnt vmcnt(32)
	v_mul_f32_e32 v134, v78, v111
	s_waitcnt vmcnt(29)
	v_fmac_f32_e32 v125, v3, v107
	s_waitcnt vmcnt(28)
	v_fmac_f32_e32 v126, v5, v114
	v_fma_f32 v2, v2, v107, -v64
	v_add_f32_e32 v5, 0, v125
	s_waitcnt vmcnt(27)
	v_fmac_f32_e32 v127, v7, v115
	v_fma_f32 v3, v4, v114, -v65
	v_add_f32_e32 v2, 0, v2
	v_add_f32_e32 v5, v5, v126
	s_waitcnt vmcnt(26)
	v_fmac_f32_e32 v128, v9, v116
	v_add_f32_e32 v2, v2, v3
	v_add_f32_e32 v3, v5, v127
	s_waitcnt vmcnt(25)
	v_fmac_f32_e32 v129, v69, v117
	v_add_f32_e32 v3, v3, v128
	s_waitcnt vmcnt(24)
	v_fmac_f32_e32 v130, v71, v118
	;; [unrolled: 3-line block ×5, first 2 shown]
	v_add_f32_e32 v3, v3, v132
	v_mul_f32_e32 v67, v7, v67
	s_waitcnt vmcnt(20)
	v_fmac_f32_e32 v134, v79, v122
	v_add_f32_e32 v3, v3, v133
	v_fma_f32 v4, v6, v115, -v67
	v_add_f32_e32 v107, v3, v134
	v_mul_f32_e32 v3, v9, v102
	v_add_f32_e32 v2, v2, v4
	v_fma_f32 v3, v8, v116, -v3
	v_add_f32_e32 v2, v2, v3
	v_mul_f32_e32 v3, v69, v104
	v_fma_f32 v3, v68, v117, -v3
	v_add_f32_e32 v2, v2, v3
	v_mul_f32_e32 v3, v71, v106
	v_fma_f32 v3, v70, v118, -v3
	v_add_f32_e32 v2, v2, v3
	v_mul_f32_e32 v3, v73, v108
	v_fma_f32 v3, v72, v119, -v3
	v_add_f32_e32 v2, v2, v3
	v_mul_f32_e32 v3, v75, v109
	v_fma_f32 v3, v74, v120, -v3
	v_add_f32_e32 v2, v2, v3
	v_mul_f32_e32 v3, v77, v110
	v_fma_f32 v3, v76, v121, -v3
	v_add_f32_e32 v2, v2, v3
	v_mul_f32_e32 v3, v79, v111
	v_fma_f32 v3, v78, v122, -v3
	v_add_f32_e32 v106, v2, v3
	s_waitcnt lgkmcnt(0)
	v_mul_f32_e32 v2, v81, v112
	s_waitcnt vmcnt(19)
	v_fma_f32 v102, v80, v123, -v2
	v_mul_f32_e32 v2, v83, v113
	s_waitcnt vmcnt(18)
	v_fma_f32 v104, v82, v124, -v2
	ds_read2_b64 v[2:5], v66 offset0:47 offset1:48
	ds_read2_b64 v[6:9], v66 offset0:49 offset1:50
	;; [unrolled: 1-line block ×4, first 2 shown]
	v_mul_f32_e32 v103, v80, v112
	s_waitcnt vmcnt(11)
	v_mov_b32_e32 v74, v91
	v_mul_f32_e32 v105, v82, v113
	v_fmac_f32_e32 v103, v81, v123
	s_waitcnt lgkmcnt(3)
	v_pk_mul_f32 v[74:75], v[2:3], v[74:75] op_sel_hi:[1,0]
	v_fmac_f32_e32 v105, v83, v124
	v_pk_add_f32 v[72:73], v[106:107], v[102:103]
	s_waitcnt vmcnt(10)
	v_pk_fma_f32 v[76:77], v[2:3], v[90:91], v[74:75] op_sel:[0,0,1] op_sel_hi:[1,1,0] neg_lo:[0,0,1] neg_hi:[0,0,1]
	v_pk_fma_f32 v[2:3], v[2:3], v[90:91], v[74:75] op_sel:[0,0,1] op_sel_hi:[1,0,0]
	v_pk_add_f32 v[72:73], v[72:73], v[104:105]
	v_mov_b32_e32 v77, v3
	v_pk_add_f32 v[2:3], v[72:73], v[76:77]
	v_mov_b32_e32 v72, v89
	v_pk_mul_f32 v[72:73], v[4:5], v[72:73] op_sel_hi:[1,0]
	v_pk_fma_f32 v[74:75], v[4:5], v[88:89], v[72:73] op_sel:[0,0,1] op_sel_hi:[1,1,0] neg_lo:[0,0,1] neg_hi:[0,0,1]
	v_pk_fma_f32 v[4:5], v[4:5], v[88:89], v[72:73] op_sel:[0,0,1] op_sel_hi:[1,0,0]
	v_mov_b32_e32 v4, v87
	v_mov_b32_e32 v75, v5
	s_waitcnt lgkmcnt(2)
	v_pk_mul_f32 v[4:5], v[6:7], v[4:5] op_sel_hi:[1,0]
	v_pk_fma_f32 v[72:73], v[6:7], v[86:87], v[4:5] op_sel:[0,0,1] op_sel_hi:[1,1,0] neg_lo:[0,0,1] neg_hi:[0,0,1]
	v_pk_fma_f32 v[4:5], v[6:7], v[86:87], v[4:5] op_sel:[0,0,1] op_sel_hi:[1,0,0]
	s_waitcnt vmcnt(3)
	v_mov_b32_e32 v4, v99
	v_mov_b32_e32 v73, v5
	v_pk_mul_f32 v[4:5], v[8:9], v[4:5] op_sel_hi:[1,0]
	s_waitcnt vmcnt(2)
	v_pk_fma_f32 v[6:7], v[8:9], v[98:99], v[4:5] op_sel:[0,0,1] op_sel_hi:[1,1,0] neg_lo:[0,0,1] neg_hi:[0,0,1]
	v_pk_fma_f32 v[4:5], v[8:9], v[98:99], v[4:5] op_sel:[0,0,1] op_sel_hi:[1,0,0]
	v_pk_add_f32 v[2:3], v[2:3], v[74:75]
	v_mov_b32_e32 v4, v97
	v_pk_add_f32 v[2:3], v[2:3], v[72:73]
	v_mov_b32_e32 v7, v5
	s_waitcnt lgkmcnt(1)
	v_pk_mul_f32 v[4:5], v[68:69], v[4:5] op_sel_hi:[1,0]
	v_pk_add_f32 v[2:3], v[2:3], v[6:7]
	v_pk_fma_f32 v[6:7], v[68:69], v[96:97], v[4:5] op_sel:[0,0,1] op_sel_hi:[1,1,0] neg_lo:[0,0,1] neg_hi:[0,0,1]
	v_pk_fma_f32 v[4:5], v[68:69], v[96:97], v[4:5] op_sel:[0,0,1] op_sel_hi:[1,0,0]
	v_mov_b32_e32 v4, v95
	v_mov_b32_e32 v7, v5
	v_pk_mul_f32 v[4:5], v[70:71], v[4:5] op_sel_hi:[1,0]
	v_pk_add_f32 v[2:3], v[2:3], v[6:7]
	v_pk_fma_f32 v[6:7], v[70:71], v[94:95], v[4:5] op_sel:[0,0,1] op_sel_hi:[1,1,0] neg_lo:[0,0,1] neg_hi:[0,0,1]
	v_pk_fma_f32 v[4:5], v[70:71], v[94:95], v[4:5] op_sel:[0,0,1] op_sel_hi:[1,0,0]
	v_mov_b32_e32 v4, v93
	v_mov_b32_e32 v7, v5
	s_waitcnt lgkmcnt(0)
	v_pk_mul_f32 v[4:5], v[64:65], v[4:5] op_sel_hi:[1,0]
	v_pk_add_f32 v[2:3], v[2:3], v[6:7]
	v_pk_fma_f32 v[6:7], v[64:65], v[92:93], v[4:5] op_sel:[0,0,1] op_sel_hi:[1,1,0] neg_lo:[0,0,1] neg_hi:[0,0,1]
	v_pk_fma_f32 v[4:5], v[64:65], v[92:93], v[4:5] op_sel:[0,0,1] op_sel_hi:[1,0,0]
	s_waitcnt vmcnt(1)
	v_mov_b32_e32 v4, v101
	v_mov_b32_e32 v7, v5
	v_pk_mul_f32 v[4:5], v[66:67], v[4:5] op_sel_hi:[1,0]
	v_pk_add_f32 v[2:3], v[2:3], v[6:7]
	s_waitcnt vmcnt(0)
	v_pk_fma_f32 v[6:7], v[66:67], v[100:101], v[4:5] op_sel:[0,0,1] op_sel_hi:[1,1,0] neg_lo:[0,0,1] neg_hi:[0,0,1]
	v_pk_fma_f32 v[4:5], v[66:67], v[100:101], v[4:5] op_sel:[0,0,1] op_sel_hi:[1,0,0]
	v_mov_b32_e32 v7, v5
	v_pk_add_f32 v[2:3], v[2:3], v[6:7]
	v_pk_add_f32 v[2:3], v[84:85], v[2:3] neg_lo:[0,1] neg_hi:[0,1]
	buffer_store_dword v3, off, s[0:3], 0 offset:52
	buffer_store_dword v2, off, s[0:3], 0 offset:48
	s_and_saveexec_b64 s[4:5], vcc
	s_cbranch_execz .LBB26_165
; %bb.164:
	buffer_load_dword v2, off, s[0:3], 0 offset:40
	buffer_load_dword v3, off, s[0:3], 0 offset:44
	v_mov_b32_e32 v4, 0
	buffer_store_dword v4, off, s[0:3], 0 offset:40
	buffer_store_dword v4, off, s[0:3], 0 offset:44
	s_waitcnt vmcnt(2)
	ds_write_b64 v1, v[2:3]
.LBB26_165:
	s_or_b64 exec, exec, s[4:5]
	s_waitcnt lgkmcnt(0)
	; wave barrier
	s_waitcnt lgkmcnt(0)
	buffer_load_dword v3, off, s[0:3], 0 offset:52
	buffer_load_dword v108, off, s[0:3], 0 offset:60
	;; [unrolled: 1-line block ×44, first 2 shown]
	v_mov_b32_e32 v2, 0
	ds_read_b128 v[4:7], v2 offset:272
	ds_read_b128 v[64:67], v2 offset:288
	;; [unrolled: 1-line block ×8, first 2 shown]
	v_cmp_lt_u32_e32 vcc, 4, v0
	s_waitcnt vmcnt(43) lgkmcnt(7)
	v_mul_f32_e32 v113, v4, v3
	v_mul_f32_e32 v3, v5, v3
	s_waitcnt vmcnt(42)
	v_mul_f32_e32 v136, v6, v108
	s_waitcnt vmcnt(41) lgkmcnt(6)
	v_mul_f32_e32 v137, v64, v110
	s_waitcnt vmcnt(40)
	v_mul_f32_e32 v138, v66, v112
	s_waitcnt vmcnt(39) lgkmcnt(5)
	;; [unrolled: 4-line block ×5, first 2 shown]
	v_mul_f32_e32 v145, v80, v120
	s_waitcnt vmcnt(32)
	v_mul_f32_e32 v109, v82, v121
	s_waitcnt vmcnt(30)
	v_fma_f32 v3, v4, v123, -v3
	v_mul_f32_e32 v4, v7, v108
	v_add_f32_e32 v3, 0, v3
	s_waitcnt vmcnt(29)
	v_fma_f32 v4, v6, v124, -v4
	v_add_f32_e32 v3, v3, v4
	v_mul_f32_e32 v4, v65, v110
	s_waitcnt vmcnt(28)
	v_fma_f32 v4, v64, v125, -v4
	v_add_f32_e32 v3, v3, v4
	v_mul_f32_e32 v4, v67, v112
	;; [unrolled: 4-line block ×4, first 2 shown]
	s_waitcnt vmcnt(25)
	v_fma_f32 v4, v70, v128, -v4
	v_fmac_f32_e32 v113, v5, v123
	v_add_f32_e32 v3, v3, v4
	v_mul_f32_e32 v4, v73, v116
	v_fmac_f32_e32 v136, v7, v124
	v_add_f32_e32 v5, 0, v113
	s_waitcnt vmcnt(24)
	v_fma_f32 v4, v72, v129, -v4
	v_fmac_f32_e32 v137, v65, v125
	v_add_f32_e32 v5, v5, v136
	v_add_f32_e32 v3, v3, v4
	v_mul_f32_e32 v4, v75, v117
	v_fmac_f32_e32 v138, v67, v126
	v_add_f32_e32 v5, v5, v137
	s_waitcnt vmcnt(23)
	v_fma_f32 v4, v74, v130, -v4
	v_fmac_f32_e32 v139, v69, v127
	v_add_f32_e32 v5, v5, v138
	;; [unrolled: 8-line block ×4, first 2 shown]
	v_add_f32_e32 v3, v3, v4
	v_mul_f32_e32 v4, v81, v120
	v_fmac_f32_e32 v144, v79, v132
	v_add_f32_e32 v5, v5, v143
	s_waitcnt vmcnt(20)
	v_fma_f32 v4, v80, v133, -v4
	s_waitcnt vmcnt(13)
	v_mov_b32_e32 v72, v95
	v_fmac_f32_e32 v145, v81, v133
	v_add_f32_e32 v5, v5, v144
	v_add_f32_e32 v112, v3, v4
	v_mul_f32_e32 v3, v83, v121
	s_waitcnt lgkmcnt(1)
	v_pk_mul_f32 v[72:73], v[86:87], v[72:73] op_sel_hi:[1,0]
	v_mul_f32_e32 v111, v84, v122
	v_fmac_f32_e32 v109, v83, v134
	v_add_f32_e32 v113, v5, v145
	v_fma_f32 v108, v82, v134, -v3
	v_mul_f32_e32 v3, v85, v122
	s_waitcnt vmcnt(12)
	v_pk_fma_f32 v[74:75], v[86:87], v[94:95], v[72:73] op_sel:[0,0,1] op_sel_hi:[1,1,0] neg_lo:[0,0,1] neg_hi:[0,0,1]
	v_pk_fma_f32 v[72:73], v[86:87], v[94:95], v[72:73] op_sel:[0,0,1] op_sel_hi:[1,0,0]
	v_fmac_f32_e32 v111, v85, v135
	v_fma_f32 v110, v84, v135, -v3
	v_pk_add_f32 v[70:71], v[112:113], v[108:109]
	v_mov_b32_e32 v72, v93
	v_pk_add_f32 v[70:71], v[70:71], v[110:111]
	v_mov_b32_e32 v75, v73
	s_waitcnt lgkmcnt(0)
	v_pk_mul_f32 v[72:73], v[88:89], v[72:73] op_sel_hi:[1,0]
	v_pk_add_f32 v[70:71], v[70:71], v[74:75]
	v_pk_fma_f32 v[74:75], v[88:89], v[92:93], v[72:73] op_sel:[0,0,1] op_sel_hi:[1,1,0] neg_lo:[0,0,1] neg_hi:[0,0,1]
	v_pk_fma_f32 v[72:73], v[88:89], v[92:93], v[72:73] op_sel:[0,0,1] op_sel_hi:[1,0,0]
	s_waitcnt vmcnt(5)
	v_mov_b32_e32 v72, v103
	ds_read_b128 v[4:7], v2 offset:400
	ds_read_b128 v[64:67], v2 offset:416
	ds_read_b64 v[68:69], v2 offset:432
	v_mov_b32_e32 v75, v73
	v_pk_mul_f32 v[72:73], v[90:91], v[72:73] op_sel_hi:[1,0]
	v_pk_add_f32 v[70:71], v[70:71], v[74:75]
	s_waitcnt vmcnt(4)
	v_pk_fma_f32 v[74:75], v[90:91], v[102:103], v[72:73] op_sel:[0,0,1] op_sel_hi:[1,1,0] neg_lo:[0,0,1] neg_hi:[0,0,1]
	v_pk_fma_f32 v[72:73], v[90:91], v[102:103], v[72:73] op_sel:[0,0,1] op_sel_hi:[1,0,0]
	v_mov_b32_e32 v72, v101
	v_mov_b32_e32 v75, v73
	s_waitcnt lgkmcnt(2)
	v_pk_mul_f32 v[72:73], v[4:5], v[72:73] op_sel_hi:[1,0]
	v_pk_add_f32 v[70:71], v[70:71], v[74:75]
	v_pk_fma_f32 v[74:75], v[4:5], v[100:101], v[72:73] op_sel:[0,0,1] op_sel_hi:[1,1,0] neg_lo:[0,0,1] neg_hi:[0,0,1]
	v_pk_fma_f32 v[4:5], v[4:5], v[100:101], v[72:73] op_sel:[0,0,1] op_sel_hi:[1,0,0]
	v_mov_b32_e32 v75, v5
	v_pk_add_f32 v[4:5], v[70:71], v[74:75]
	v_mov_b32_e32 v70, v99
	v_pk_mul_f32 v[70:71], v[6:7], v[70:71] op_sel_hi:[1,0]
	v_pk_fma_f32 v[72:73], v[6:7], v[98:99], v[70:71] op_sel:[0,0,1] op_sel_hi:[1,1,0] neg_lo:[0,0,1] neg_hi:[0,0,1]
	v_pk_fma_f32 v[6:7], v[6:7], v[98:99], v[70:71] op_sel:[0,0,1] op_sel_hi:[1,0,0]
	v_mov_b32_e32 v6, v97
	v_mov_b32_e32 v73, v7
	s_waitcnt lgkmcnt(1)
	v_pk_mul_f32 v[6:7], v[64:65], v[6:7] op_sel_hi:[1,0]
	v_pk_fma_f32 v[70:71], v[64:65], v[96:97], v[6:7] op_sel:[0,0,1] op_sel_hi:[1,1,0] neg_lo:[0,0,1] neg_hi:[0,0,1]
	v_pk_fma_f32 v[6:7], v[64:65], v[96:97], v[6:7] op_sel:[0,0,1] op_sel_hi:[1,0,0]
	s_waitcnt vmcnt(1)
	v_mov_b32_e32 v6, v107
	v_mov_b32_e32 v71, v7
	v_pk_mul_f32 v[6:7], v[66:67], v[6:7] op_sel_hi:[1,0]
	s_waitcnt vmcnt(0)
	v_pk_fma_f32 v[64:65], v[66:67], v[106:107], v[6:7] op_sel:[0,0,1] op_sel_hi:[1,1,0] neg_lo:[0,0,1] neg_hi:[0,0,1]
	v_pk_fma_f32 v[6:7], v[66:67], v[106:107], v[6:7] op_sel:[0,0,1] op_sel_hi:[1,0,0]
	v_pk_add_f32 v[4:5], v[4:5], v[72:73]
	v_mov_b32_e32 v6, v105
	v_pk_add_f32 v[4:5], v[4:5], v[70:71]
	v_mov_b32_e32 v65, v7
	s_waitcnt lgkmcnt(0)
	v_pk_mul_f32 v[6:7], v[68:69], v[6:7] op_sel_hi:[1,0]
	v_pk_add_f32 v[4:5], v[4:5], v[64:65]
	v_pk_fma_f32 v[64:65], v[68:69], v[104:105], v[6:7] op_sel:[0,0,1] op_sel_hi:[1,1,0] neg_lo:[0,0,1] neg_hi:[0,0,1]
	v_pk_fma_f32 v[6:7], v[68:69], v[104:105], v[6:7] op_sel:[0,0,1] op_sel_hi:[1,0,0]
	v_mov_b32_e32 v65, v7
	v_pk_add_f32 v[4:5], v[4:5], v[64:65]
	v_pk_add_f32 v[4:5], v[8:9], v[4:5] neg_lo:[0,1] neg_hi:[0,1]
	buffer_store_dword v5, off, s[0:3], 0 offset:44
	buffer_store_dword v4, off, s[0:3], 0 offset:40
	s_and_saveexec_b64 s[4:5], vcc
	s_cbranch_execz .LBB26_167
; %bb.166:
	buffer_load_dword v4, off, s[0:3], 0 offset:32
	buffer_load_dword v5, off, s[0:3], 0 offset:36
	s_waitcnt vmcnt(0)
	ds_write_b64 v1, v[4:5]
	buffer_store_dword v2, off, s[0:3], 0 offset:32
	buffer_store_dword v2, off, s[0:3], 0 offset:36
.LBB26_167:
	s_or_b64 exec, exec, s[4:5]
	s_waitcnt lgkmcnt(0)
	; wave barrier
	s_waitcnt lgkmcnt(0)
	buffer_load_dword v3, off, s[0:3], 0 offset:44
	buffer_load_dword v108, off, s[0:3], 0 offset:52
	;; [unrolled: 1-line block ×30, first 2 shown]
	ds_read2_b64 v[4:7], v2 offset0:33 offset1:34
	ds_read2_b64 v[64:67], v2 offset0:35 offset1:36
	;; [unrolled: 1-line block ×6, first 2 shown]
	buffer_load_dword v93, off, s[0:3], 0 offset:156
	buffer_load_dword v92, off, s[0:3], 0 offset:152
	ds_read2_b64 v[84:87], v2 offset0:45 offset1:46
	ds_read2_b64 v[88:91], v2 offset0:47 offset1:48
	buffer_load_dword v95, off, s[0:3], 0 offset:188
	buffer_load_dword v94, off, s[0:3], 0 offset:184
	buffer_load_dword v97, off, s[0:3], 0 offset:180
	buffer_load_dword v96, off, s[0:3], 0 offset:176
	buffer_load_dword v99, off, s[0:3], 0 offset:172
	buffer_load_dword v98, off, s[0:3], 0 offset:168
	buffer_load_dword v101, off, s[0:3], 0 offset:164
	buffer_load_dword v100, off, s[0:3], 0 offset:160
	buffer_load_dword v103, off, s[0:3], 0 offset:212
	buffer_load_dword v102, off, s[0:3], 0 offset:208
	buffer_load_dword v105, off, s[0:3], 0 offset:204
	buffer_load_dword v104, off, s[0:3], 0 offset:200
	buffer_load_dword v107, off, s[0:3], 0 offset:196
	buffer_load_dword v106, off, s[0:3], 0 offset:192
	v_cmp_lt_u32_e32 vcc, 3, v0
	s_waitcnt vmcnt(45) lgkmcnt(7)
	v_mul_f32_e32 v111, v4, v3
	v_mul_f32_e32 v3, v5, v3
	s_waitcnt vmcnt(44)
	v_mul_f32_e32 v113, v6, v108
	s_waitcnt vmcnt(43) lgkmcnt(6)
	v_mul_f32_e32 v138, v64, v110
	s_waitcnt vmcnt(42)
	v_mul_f32_e32 v139, v66, v112
	s_waitcnt vmcnt(41) lgkmcnt(5)
	;; [unrolled: 4-line block ×5, first 2 shown]
	v_mul_f32_e32 v146, v80, v120
	s_waitcnt vmcnt(34)
	v_mul_f32_e32 v147, v82, v121
	s_waitcnt vmcnt(32)
	v_fma_f32 v3, v4, v123, -v3
	v_mul_f32_e32 v4, v7, v108
	v_add_f32_e32 v3, 0, v3
	s_waitcnt vmcnt(31)
	v_fma_f32 v4, v6, v124, -v4
	v_add_f32_e32 v3, v3, v4
	v_mul_f32_e32 v4, v65, v110
	s_waitcnt vmcnt(30)
	v_fma_f32 v4, v64, v125, -v4
	v_add_f32_e32 v3, v3, v4
	v_mul_f32_e32 v4, v67, v112
	;; [unrolled: 4-line block ×5, first 2 shown]
	v_fmac_f32_e32 v111, v5, v123
	s_waitcnt vmcnt(26)
	v_fma_f32 v4, v72, v129, -v4
	v_fmac_f32_e32 v113, v7, v124
	v_add_f32_e32 v111, 0, v111
	v_add_f32_e32 v3, v3, v4
	v_mul_f32_e32 v4, v75, v117
	v_fmac_f32_e32 v138, v65, v125
	v_add_f32_e32 v111, v111, v113
	s_waitcnt vmcnt(25)
	v_fma_f32 v4, v74, v130, -v4
	v_fmac_f32_e32 v139, v67, v126
	v_add_f32_e32 v111, v111, v138
	v_add_f32_e32 v3, v3, v4
	v_mul_f32_e32 v4, v77, v118
	v_fmac_f32_e32 v140, v69, v127
	v_add_f32_e32 v111, v111, v139
	;; [unrolled: 8-line block ×5, first 2 shown]
	s_waitcnt vmcnt(21)
	v_fma_f32 v4, v82, v134, -v4
	s_waitcnt vmcnt(15)
	v_mov_b32_e32 v72, v93
	s_waitcnt lgkmcnt(1)
	v_mul_f32_e32 v109, v84, v122
	v_fmac_f32_e32 v147, v83, v134
	v_add_f32_e32 v111, v111, v146
	v_add_f32_e32 v110, v3, v4
	v_mul_f32_e32 v3, v85, v122
	s_waitcnt lgkmcnt(0)
	v_pk_mul_f32 v[72:73], v[88:89], v[72:73] op_sel_hi:[1,0]
	v_fmac_f32_e32 v109, v85, v135
	v_add_f32_e32 v111, v111, v147
	v_mul_f32_e32 v113, v86, v136
	v_fma_f32 v108, v84, v135, -v3
	v_mul_f32_e32 v3, v87, v136
	s_waitcnt vmcnt(14)
	v_pk_fma_f32 v[74:75], v[88:89], v[92:93], v[72:73] op_sel:[0,0,1] op_sel_hi:[1,1,0] neg_lo:[0,0,1] neg_hi:[0,0,1]
	v_pk_fma_f32 v[72:73], v[88:89], v[92:93], v[72:73] op_sel:[0,0,1] op_sel_hi:[1,0,0]
	v_fmac_f32_e32 v113, v87, v137
	v_fma_f32 v112, v86, v137, -v3
	ds_read2_b64 v[4:7], v2 offset0:49 offset1:50
	ds_read2_b64 v[64:67], v2 offset0:51 offset1:52
	;; [unrolled: 1-line block ×3, first 2 shown]
	v_pk_add_f32 v[2:3], v[110:111], v[108:109]
	s_waitcnt vmcnt(7)
	v_mov_b32_e32 v72, v101
	v_pk_add_f32 v[2:3], v[2:3], v[112:113]
	v_mov_b32_e32 v75, v73
	v_pk_mul_f32 v[72:73], v[90:91], v[72:73] op_sel_hi:[1,0]
	v_pk_add_f32 v[2:3], v[2:3], v[74:75]
	s_waitcnt vmcnt(6)
	v_pk_fma_f32 v[74:75], v[90:91], v[100:101], v[72:73] op_sel:[0,0,1] op_sel_hi:[1,1,0] neg_lo:[0,0,1] neg_hi:[0,0,1]
	v_pk_fma_f32 v[72:73], v[90:91], v[100:101], v[72:73] op_sel:[0,0,1] op_sel_hi:[1,0,0]
	v_mov_b32_e32 v72, v99
	v_mov_b32_e32 v75, v73
	s_waitcnt lgkmcnt(2)
	v_pk_mul_f32 v[72:73], v[4:5], v[72:73] op_sel_hi:[1,0]
	v_pk_add_f32 v[2:3], v[2:3], v[74:75]
	v_pk_fma_f32 v[74:75], v[4:5], v[98:99], v[72:73] op_sel:[0,0,1] op_sel_hi:[1,1,0] neg_lo:[0,0,1] neg_hi:[0,0,1]
	v_pk_fma_f32 v[4:5], v[4:5], v[98:99], v[72:73] op_sel:[0,0,1] op_sel_hi:[1,0,0]
	v_mov_b32_e32 v4, v97
	v_mov_b32_e32 v75, v5
	v_pk_mul_f32 v[4:5], v[6:7], v[4:5] op_sel_hi:[1,0]
	v_pk_fma_f32 v[72:73], v[6:7], v[96:97], v[4:5] op_sel:[0,0,1] op_sel_hi:[1,1,0] neg_lo:[0,0,1] neg_hi:[0,0,1]
	v_pk_fma_f32 v[4:5], v[6:7], v[96:97], v[4:5] op_sel:[0,0,1] op_sel_hi:[1,0,0]
	v_mov_b32_e32 v4, v95
	v_mov_b32_e32 v73, v5
	s_waitcnt lgkmcnt(1)
	v_pk_mul_f32 v[4:5], v[64:65], v[4:5] op_sel_hi:[1,0]
	v_pk_fma_f32 v[6:7], v[64:65], v[94:95], v[4:5] op_sel:[0,0,1] op_sel_hi:[1,1,0] neg_lo:[0,0,1] neg_hi:[0,0,1]
	v_pk_fma_f32 v[4:5], v[64:65], v[94:95], v[4:5] op_sel:[0,0,1] op_sel_hi:[1,0,0]
	v_pk_add_f32 v[2:3], v[2:3], v[74:75]
	s_waitcnt vmcnt(1)
	v_mov_b32_e32 v4, v107
	v_pk_add_f32 v[2:3], v[2:3], v[72:73]
	v_mov_b32_e32 v7, v5
	v_pk_mul_f32 v[4:5], v[66:67], v[4:5] op_sel_hi:[1,0]
	v_pk_add_f32 v[2:3], v[2:3], v[6:7]
	s_waitcnt vmcnt(0)
	v_pk_fma_f32 v[6:7], v[66:67], v[106:107], v[4:5] op_sel:[0,0,1] op_sel_hi:[1,1,0] neg_lo:[0,0,1] neg_hi:[0,0,1]
	v_pk_fma_f32 v[4:5], v[66:67], v[106:107], v[4:5] op_sel:[0,0,1] op_sel_hi:[1,0,0]
	v_mov_b32_e32 v4, v105
	v_mov_b32_e32 v7, v5
	s_waitcnt lgkmcnt(0)
	v_pk_mul_f32 v[4:5], v[68:69], v[4:5] op_sel_hi:[1,0]
	v_pk_add_f32 v[2:3], v[2:3], v[6:7]
	v_pk_fma_f32 v[6:7], v[68:69], v[104:105], v[4:5] op_sel:[0,0,1] op_sel_hi:[1,1,0] neg_lo:[0,0,1] neg_hi:[0,0,1]
	v_pk_fma_f32 v[4:5], v[68:69], v[104:105], v[4:5] op_sel:[0,0,1] op_sel_hi:[1,0,0]
	v_mov_b32_e32 v4, v103
	v_mov_b32_e32 v7, v5
	v_pk_mul_f32 v[4:5], v[70:71], v[4:5] op_sel_hi:[1,0]
	v_pk_add_f32 v[2:3], v[2:3], v[6:7]
	v_pk_fma_f32 v[6:7], v[70:71], v[102:103], v[4:5] op_sel:[0,0,1] op_sel_hi:[1,1,0] neg_lo:[0,0,1] neg_hi:[0,0,1]
	v_pk_fma_f32 v[4:5], v[70:71], v[102:103], v[4:5] op_sel:[0,0,1] op_sel_hi:[1,0,0]
	v_mov_b32_e32 v7, v5
	v_pk_add_f32 v[2:3], v[2:3], v[6:7]
	v_pk_add_f32 v[2:3], v[8:9], v[2:3] neg_lo:[0,1] neg_hi:[0,1]
	buffer_store_dword v3, off, s[0:3], 0 offset:36
	buffer_store_dword v2, off, s[0:3], 0 offset:32
	s_and_saveexec_b64 s[4:5], vcc
	s_cbranch_execz .LBB26_169
; %bb.168:
	buffer_load_dword v2, off, s[0:3], 0 offset:24
	buffer_load_dword v3, off, s[0:3], 0 offset:28
	v_mov_b32_e32 v4, 0
	buffer_store_dword v4, off, s[0:3], 0 offset:24
	buffer_store_dword v4, off, s[0:3], 0 offset:28
	s_waitcnt vmcnt(2)
	ds_write_b64 v1, v[2:3]
.LBB26_169:
	s_or_b64 exec, exec, s[4:5]
	s_waitcnt lgkmcnt(0)
	; wave barrier
	s_waitcnt lgkmcnt(0)
	buffer_load_dword v3, off, s[0:3], 0 offset:36
	buffer_load_dword v106, off, s[0:3], 0 offset:44
	;; [unrolled: 1-line block ×32, first 2 shown]
	v_mov_b32_e32 v2, 0
	buffer_load_dword v93, off, s[0:3], 0 offset:180
	buffer_load_dword v92, off, s[0:3], 0 offset:176
	;; [unrolled: 1-line block ×13, first 2 shown]
	ds_read_b128 v[4:7], v2 offset:256
	ds_read_b128 v[64:67], v2 offset:272
	;; [unrolled: 1-line block ×8, first 2 shown]
	v_cmp_lt_u32_e32 vcc, 2, v0
	s_waitcnt vmcnt(44) lgkmcnt(7)
	v_mul_f32_e32 v100, v4, v3
	s_waitcnt vmcnt(43)
	v_mul_f32_e32 v107, v6, v106
	s_waitcnt vmcnt(42) lgkmcnt(6)
	v_mul_f32_e32 v108, v64, v110
	s_waitcnt vmcnt(41)
	v_mul_f32_e32 v109, v66, v112
	s_waitcnt vmcnt(40) lgkmcnt(5)
	v_mul_f32_e32 v111, v68, v114
	s_waitcnt vmcnt(39)
	v_mul_f32_e32 v113, v70, v115
	s_waitcnt vmcnt(38) lgkmcnt(4)
	v_mul_f32_e32 v140, v72, v116
	s_waitcnt vmcnt(37)
	v_mul_f32_e32 v141, v74, v117
	s_waitcnt vmcnt(36) lgkmcnt(3)
	v_mul_f32_e32 v142, v76, v118
	s_waitcnt vmcnt(35)
	v_mul_f32_e32 v143, v78, v119
	s_waitcnt vmcnt(34) lgkmcnt(2)
	v_mul_f32_e32 v144, v80, v120
	s_waitcnt vmcnt(33)
	v_mul_f32_e32 v145, v82, v121
	s_waitcnt vmcnt(32) lgkmcnt(1)
	v_mul_f32_e32 v146, v84, v122
	s_waitcnt vmcnt(31)
	v_fmac_f32_e32 v100, v5, v123
	s_waitcnt vmcnt(30)
	v_fmac_f32_e32 v107, v7, v124
	v_add_f32_e32 v100, 0, v100
	s_waitcnt vmcnt(29)
	v_fmac_f32_e32 v108, v65, v125
	v_add_f32_e32 v100, v100, v107
	;; [unrolled: 3-line block ×12, first 2 shown]
	v_add_f32_e32 v107, v100, v146
	buffer_load_dword v109, off, s[0:3], 0 offset:196
	buffer_load_dword v108, off, s[0:3], 0 offset:192
	;; [unrolled: 1-line block ×3, first 2 shown]
	v_mul_f32_e32 v3, v5, v3
	v_fma_f32 v3, v4, v123, -v3
	v_mul_f32_e32 v4, v7, v106
	v_add_f32_e32 v3, 0, v3
	v_fma_f32 v4, v6, v124, -v4
	v_add_f32_e32 v3, v3, v4
	v_mul_f32_e32 v4, v65, v110
	v_fma_f32 v4, v64, v125, -v4
	v_add_f32_e32 v3, v3, v4
	v_mul_f32_e32 v4, v67, v112
	;; [unrolled: 3-line block ×11, first 2 shown]
	v_fma_f32 v4, v84, v135, -v4
	s_waitcnt vmcnt(9)
	v_mov_b32_e32 v76, v99
	v_mul_f32_e32 v111, v86, v136
	v_add_f32_e32 v106, v3, v4
	v_mul_f32_e32 v3, v87, v136
	s_waitcnt lgkmcnt(0)
	v_pk_mul_f32 v[76:77], v[90:91], v[76:77] op_sel_hi:[1,0]
	v_fmac_f32_e32 v111, v87, v137
	v_mul_f32_e32 v113, v88, v138
	v_fma_f32 v110, v86, v137, -v3
	v_mul_f32_e32 v3, v89, v138
	ds_read_b128 v[4:7], v2 offset:384
	ds_read_b128 v[64:67], v2 offset:400
	ds_read_b128 v[68:71], v2 offset:416
	ds_read_b64 v[72:73], v2 offset:432
	s_waitcnt vmcnt(8)
	v_pk_fma_f32 v[78:79], v[90:91], v[98:99], v[76:77] op_sel:[0,0,1] op_sel_hi:[1,1,0] neg_lo:[0,0,1] neg_hi:[0,0,1]
	v_pk_fma_f32 v[76:77], v[90:91], v[98:99], v[76:77] op_sel:[0,0,1] op_sel_hi:[1,0,0]
	v_fmac_f32_e32 v113, v89, v139
	v_fma_f32 v112, v88, v139, -v3
	v_pk_add_f32 v[74:75], v[106:107], v[110:111]
	v_mov_b32_e32 v76, v97
	v_pk_add_f32 v[74:75], v[74:75], v[112:113]
	v_mov_b32_e32 v79, v77
	s_waitcnt lgkmcnt(3)
	v_pk_mul_f32 v[76:77], v[4:5], v[76:77] op_sel_hi:[1,0]
	v_pk_add_f32 v[74:75], v[74:75], v[78:79]
	v_pk_fma_f32 v[78:79], v[4:5], v[96:97], v[76:77] op_sel:[0,0,1] op_sel_hi:[1,1,0] neg_lo:[0,0,1] neg_hi:[0,0,1]
	v_pk_fma_f32 v[4:5], v[4:5], v[96:97], v[76:77] op_sel:[0,0,1] op_sel_hi:[1,0,0]
	v_mov_b32_e32 v79, v5
	v_pk_add_f32 v[4:5], v[74:75], v[78:79]
	v_mov_b32_e32 v74, v95
	v_pk_mul_f32 v[74:75], v[6:7], v[74:75] op_sel_hi:[1,0]
	v_pk_fma_f32 v[76:77], v[6:7], v[94:95], v[74:75] op_sel:[0,0,1] op_sel_hi:[1,1,0] neg_lo:[0,0,1] neg_hi:[0,0,1]
	v_pk_fma_f32 v[6:7], v[6:7], v[94:95], v[74:75] op_sel:[0,0,1] op_sel_hi:[1,0,0]
	v_mov_b32_e32 v6, v93
	v_mov_b32_e32 v77, v7
	s_waitcnt lgkmcnt(2)
	v_pk_mul_f32 v[6:7], v[64:65], v[6:7] op_sel_hi:[1,0]
	v_pk_fma_f32 v[74:75], v[64:65], v[92:93], v[6:7] op_sel:[0,0,1] op_sel_hi:[1,1,0] neg_lo:[0,0,1] neg_hi:[0,0,1]
	v_pk_fma_f32 v[6:7], v[64:65], v[92:93], v[6:7] op_sel:[0,0,1] op_sel_hi:[1,0,0]
	s_waitcnt vmcnt(7)
	v_mov_b32_e32 v6, v101
	v_mov_b32_e32 v75, v7
	v_pk_mul_f32 v[6:7], v[66:67], v[6:7] op_sel_hi:[1,0]
	v_pk_add_f32 v[4:5], v[4:5], v[76:77]
	v_pk_add_f32 v[4:5], v[4:5], v[74:75]
	s_waitcnt vmcnt(0)
	v_pk_fma_f32 v[64:65], v[66:67], v[100:101], v[6:7] op_sel:[0,0,1] op_sel_hi:[1,1,0] neg_lo:[0,0,1] neg_hi:[0,0,1]
	v_pk_fma_f32 v[6:7], v[66:67], v[100:101], v[6:7] op_sel:[0,0,1] op_sel_hi:[1,0,0]
	v_mov_b32_e32 v6, v109
	v_mov_b32_e32 v65, v7
	s_waitcnt lgkmcnt(1)
	v_pk_mul_f32 v[6:7], v[68:69], v[6:7] op_sel_hi:[1,0]
	v_pk_add_f32 v[4:5], v[4:5], v[64:65]
	v_pk_fma_f32 v[64:65], v[68:69], v[108:109], v[6:7] op_sel:[0,0,1] op_sel_hi:[1,1,0] neg_lo:[0,0,1] neg_hi:[0,0,1]
	v_pk_fma_f32 v[6:7], v[68:69], v[108:109], v[6:7] op_sel:[0,0,1] op_sel_hi:[1,0,0]
	v_mov_b32_e32 v6, v105
	v_mov_b32_e32 v65, v7
	v_pk_mul_f32 v[6:7], v[70:71], v[6:7] op_sel_hi:[1,0]
	v_pk_add_f32 v[4:5], v[4:5], v[64:65]
	v_pk_fma_f32 v[64:65], v[70:71], v[104:105], v[6:7] op_sel:[0,0,1] op_sel_hi:[1,1,0] neg_lo:[0,0,1] neg_hi:[0,0,1]
	v_pk_fma_f32 v[6:7], v[70:71], v[104:105], v[6:7] op_sel:[0,0,1] op_sel_hi:[1,0,0]
	v_mov_b32_e32 v6, v103
	v_mov_b32_e32 v65, v7
	s_waitcnt lgkmcnt(0)
	v_pk_mul_f32 v[6:7], v[72:73], v[6:7] op_sel_hi:[1,0]
	v_pk_add_f32 v[4:5], v[4:5], v[64:65]
	v_pk_fma_f32 v[64:65], v[72:73], v[102:103], v[6:7] op_sel:[0,0,1] op_sel_hi:[1,1,0] neg_lo:[0,0,1] neg_hi:[0,0,1]
	v_pk_fma_f32 v[6:7], v[72:73], v[102:103], v[6:7] op_sel:[0,0,1] op_sel_hi:[1,0,0]
	v_mov_b32_e32 v65, v7
	v_pk_add_f32 v[4:5], v[4:5], v[64:65]
	v_pk_add_f32 v[4:5], v[8:9], v[4:5] neg_lo:[0,1] neg_hi:[0,1]
	buffer_store_dword v5, off, s[0:3], 0 offset:28
	buffer_store_dword v4, off, s[0:3], 0 offset:24
	s_and_saveexec_b64 s[4:5], vcc
	s_cbranch_execz .LBB26_171
; %bb.170:
	buffer_load_dword v4, off, s[0:3], 0 offset:16
	buffer_load_dword v5, off, s[0:3], 0 offset:20
	s_waitcnt vmcnt(0)
	ds_write_b64 v1, v[4:5]
	buffer_store_dword v2, off, s[0:3], 0 offset:16
	buffer_store_dword v2, off, s[0:3], 0 offset:20
.LBB26_171:
	s_or_b64 exec, exec, s[4:5]
	s_waitcnt lgkmcnt(0)
	; wave barrier
	s_waitcnt lgkmcnt(0)
	buffer_load_dword v3, off, s[0:3], 0 offset:28
	buffer_load_dword v106, off, s[0:3], 0 offset:36
	buffer_load_dword v108, off, s[0:3], 0 offset:44
	buffer_load_dword v110, off, s[0:3], 0 offset:52
	buffer_load_dword v114, off, s[0:3], 0 offset:60
	buffer_load_dword v115, off, s[0:3], 0 offset:68
	buffer_load_dword v116, off, s[0:3], 0 offset:76
	buffer_load_dword v117, off, s[0:3], 0 offset:84
	buffer_load_dword v118, off, s[0:3], 0 offset:92
	buffer_load_dword v119, off, s[0:3], 0 offset:100
	buffer_load_dword v120, off, s[0:3], 0 offset:108
	buffer_load_dword v121, off, s[0:3], 0 offset:116
	buffer_load_dword v122, off, s[0:3], 0 offset:124
	buffer_load_dword v123, off, s[0:3], 0 offset:132
	buffer_load_dword v124, off, s[0:3], 0 offset:24
	buffer_load_dword v125, off, s[0:3], 0 offset:32
	buffer_load_dword v126, off, s[0:3], 0 offset:40
	buffer_load_dword v127, off, s[0:3], 0 offset:48
	buffer_load_dword v128, off, s[0:3], 0 offset:56
	buffer_load_dword v129, off, s[0:3], 0 offset:64
	buffer_load_dword v130, off, s[0:3], 0 offset:72
	buffer_load_dword v131, off, s[0:3], 0 offset:80
	buffer_load_dword v132, off, s[0:3], 0 offset:88
	buffer_load_dword v133, off, s[0:3], 0 offset:96
	buffer_load_dword v134, off, s[0:3], 0 offset:104
	buffer_load_dword v135, off, s[0:3], 0 offset:112
	buffer_load_dword v136, off, s[0:3], 0 offset:120
	buffer_load_dword v137, off, s[0:3], 0 offset:128
	buffer_load_dword v138, off, s[0:3], 0 offset:140
	buffer_load_dword v139, off, s[0:3], 0 offset:136
	buffer_load_dword v140, off, s[0:3], 0 offset:148
	buffer_load_dword v141, off, s[0:3], 0 offset:144
	buffer_load_dword v8, off, s[0:3], 0 offset:16
	buffer_load_dword v9, off, s[0:3], 0 offset:20
	ds_read2_b64 v[4:7], v2 offset0:31 offset1:32
	ds_read2_b64 v[64:67], v2 offset0:33 offset1:34
	;; [unrolled: 1-line block ×8, first 2 shown]
	buffer_load_dword v93, off, s[0:3], 0 offset:172
	buffer_load_dword v92, off, s[0:3], 0 offset:168
	;; [unrolled: 1-line block ×9, first 2 shown]
	v_cmp_lt_u32_e32 vcc, 1, v0
	s_waitcnt vmcnt(42) lgkmcnt(7)
	v_mul_f32_e32 v98, v4, v3
	s_waitcnt vmcnt(41)
	v_mul_f32_e32 v102, v6, v106
	s_waitcnt vmcnt(40) lgkmcnt(6)
	v_mul_f32_e32 v103, v64, v108
	s_waitcnt vmcnt(39)
	v_mul_f32_e32 v104, v66, v110
	;; [unrolled: 4-line block ×6, first 2 shown]
	s_waitcnt vmcnt(30) lgkmcnt(1)
	v_mul_f32_e32 v144, v84, v122
	v_mul_f32_e32 v3, v5, v3
	s_waitcnt vmcnt(28)
	v_fmac_f32_e32 v98, v5, v124
	s_waitcnt vmcnt(27)
	v_fmac_f32_e32 v102, v7, v125
	v_add_f32_e32 v98, 0, v98
	s_waitcnt vmcnt(26)
	v_fmac_f32_e32 v103, v65, v126
	v_add_f32_e32 v98, v98, v102
	;; [unrolled: 3-line block ×12, first 2 shown]
	v_add_f32_e32 v107, v98, v144
	buffer_load_dword v103, off, s[0:3], 0 offset:196
	buffer_load_dword v102, off, s[0:3], 0 offset:192
	;; [unrolled: 1-line block ×7, first 2 shown]
	v_fma_f32 v3, v4, v124, -v3
	v_mul_f32_e32 v4, v7, v106
	v_add_f32_e32 v3, 0, v3
	v_fma_f32 v4, v6, v125, -v4
	v_add_f32_e32 v3, v3, v4
	v_mul_f32_e32 v4, v65, v108
	v_fma_f32 v4, v64, v126, -v4
	v_add_f32_e32 v3, v3, v4
	v_mul_f32_e32 v4, v67, v110
	;; [unrolled: 3-line block ×12, first 2 shown]
	s_waitcnt vmcnt(22)
	v_fma_f32 v4, v86, v137, -v4
	v_add_f32_e32 v106, v3, v4
	ds_read2_b64 v[4:7], v2 offset0:47 offset1:48
	ds_read2_b64 v[64:67], v2 offset0:49 offset1:50
	;; [unrolled: 1-line block ×4, first 2 shown]
	s_waitcnt vmcnt(11)
	v_mov_b32_e32 v76, v97
	s_waitcnt lgkmcnt(3)
	v_pk_mul_f32 v[76:77], v[4:5], v[76:77] op_sel_hi:[1,0]
	s_waitcnt vmcnt(10)
	v_pk_fma_f32 v[78:79], v[4:5], v[96:97], v[76:77] op_sel:[0,0,1] op_sel_hi:[1,1,0] neg_lo:[0,0,1] neg_hi:[0,0,1]
	v_pk_fma_f32 v[4:5], v[4:5], v[96:97], v[76:77] op_sel:[0,0,1] op_sel_hi:[1,0,0]
	v_mov_b32_e32 v4, v95
	v_mul_f32_e32 v145, v86, v123
	v_mov_b32_e32 v79, v5
	v_pk_mul_f32 v[4:5], v[6:7], v[4:5] op_sel_hi:[1,0]
	v_fmac_f32_e32 v145, v87, v137
	v_mul_f32_e32 v109, v88, v138
	v_mul_f32_e32 v3, v89, v138
	v_pk_fma_f32 v[76:77], v[6:7], v[94:95], v[4:5] op_sel:[0,0,1] op_sel_hi:[1,1,0] neg_lo:[0,0,1] neg_hi:[0,0,1]
	v_pk_fma_f32 v[4:5], v[6:7], v[94:95], v[4:5] op_sel:[0,0,1] op_sel_hi:[1,0,0]
	v_add_f32_e32 v107, v107, v145
	v_fmac_f32_e32 v109, v89, v139
	v_mul_f32_e32 v111, v90, v140
	v_fma_f32 v108, v88, v139, -v3
	v_mul_f32_e32 v3, v91, v140
	v_mov_b32_e32 v4, v93
	v_fmac_f32_e32 v111, v91, v141
	v_fma_f32 v110, v90, v141, -v3
	v_pk_add_f32 v[2:3], v[106:107], v[108:109]
	v_mov_b32_e32 v77, v5
	s_waitcnt lgkmcnt(2)
	v_pk_mul_f32 v[4:5], v[64:65], v[4:5] op_sel_hi:[1,0]
	v_pk_add_f32 v[2:3], v[2:3], v[110:111]
	v_pk_fma_f32 v[6:7], v[64:65], v[92:93], v[4:5] op_sel:[0,0,1] op_sel_hi:[1,1,0] neg_lo:[0,0,1] neg_hi:[0,0,1]
	v_pk_fma_f32 v[4:5], v[64:65], v[92:93], v[4:5] op_sel:[0,0,1] op_sel_hi:[1,0,0]
	v_pk_add_f32 v[2:3], v[2:3], v[78:79]
	s_waitcnt vmcnt(9)
	v_mov_b32_e32 v4, v99
	v_pk_add_f32 v[2:3], v[2:3], v[76:77]
	v_mov_b32_e32 v7, v5
	v_pk_mul_f32 v[4:5], v[66:67], v[4:5] op_sel_hi:[1,0]
	v_pk_add_f32 v[2:3], v[2:3], v[6:7]
	s_waitcnt vmcnt(2)
	v_pk_fma_f32 v[6:7], v[66:67], v[98:99], v[4:5] op_sel:[0,0,1] op_sel_hi:[1,1,0] neg_lo:[0,0,1] neg_hi:[0,0,1]
	v_pk_fma_f32 v[4:5], v[66:67], v[98:99], v[4:5] op_sel:[0,0,1] op_sel_hi:[1,0,0]
	v_mov_b32_e32 v4, v105
	v_mov_b32_e32 v7, v5
	s_waitcnt lgkmcnt(1)
	v_pk_mul_f32 v[4:5], v[68:69], v[4:5] op_sel_hi:[1,0]
	v_pk_add_f32 v[2:3], v[2:3], v[6:7]
	v_pk_fma_f32 v[6:7], v[68:69], v[104:105], v[4:5] op_sel:[0,0,1] op_sel_hi:[1,1,0] neg_lo:[0,0,1] neg_hi:[0,0,1]
	v_pk_fma_f32 v[4:5], v[68:69], v[104:105], v[4:5] op_sel:[0,0,1] op_sel_hi:[1,0,0]
	v_mov_b32_e32 v4, v103
	v_mov_b32_e32 v7, v5
	v_pk_mul_f32 v[4:5], v[70:71], v[4:5] op_sel_hi:[1,0]
	v_pk_add_f32 v[2:3], v[2:3], v[6:7]
	v_pk_fma_f32 v[6:7], v[70:71], v[102:103], v[4:5] op_sel:[0,0,1] op_sel_hi:[1,1,0] neg_lo:[0,0,1] neg_hi:[0,0,1]
	v_pk_fma_f32 v[4:5], v[70:71], v[102:103], v[4:5] op_sel:[0,0,1] op_sel_hi:[1,0,0]
	v_mov_b32_e32 v4, v101
	v_mov_b32_e32 v7, v5
	s_waitcnt lgkmcnt(0)
	v_pk_mul_f32 v[4:5], v[72:73], v[4:5] op_sel_hi:[1,0]
	v_pk_add_f32 v[2:3], v[2:3], v[6:7]
	v_pk_fma_f32 v[6:7], v[72:73], v[100:101], v[4:5] op_sel:[0,0,1] op_sel_hi:[1,1,0] neg_lo:[0,0,1] neg_hi:[0,0,1]
	v_pk_fma_f32 v[4:5], v[72:73], v[100:101], v[4:5] op_sel:[0,0,1] op_sel_hi:[1,0,0]
	s_waitcnt vmcnt(1)
	v_mov_b32_e32 v4, v113
	v_mov_b32_e32 v7, v5
	v_pk_mul_f32 v[4:5], v[74:75], v[4:5] op_sel_hi:[1,0]
	v_pk_add_f32 v[2:3], v[2:3], v[6:7]
	s_waitcnt vmcnt(0)
	v_pk_fma_f32 v[6:7], v[74:75], v[112:113], v[4:5] op_sel:[0,0,1] op_sel_hi:[1,1,0] neg_lo:[0,0,1] neg_hi:[0,0,1]
	v_pk_fma_f32 v[4:5], v[74:75], v[112:113], v[4:5] op_sel:[0,0,1] op_sel_hi:[1,0,0]
	v_mov_b32_e32 v7, v5
	v_pk_add_f32 v[2:3], v[2:3], v[6:7]
	v_pk_add_f32 v[2:3], v[8:9], v[2:3] neg_lo:[0,1] neg_hi:[0,1]
	buffer_store_dword v3, off, s[0:3], 0 offset:20
	buffer_store_dword v2, off, s[0:3], 0 offset:16
	s_and_saveexec_b64 s[4:5], vcc
	s_cbranch_execz .LBB26_173
; %bb.172:
	buffer_load_dword v2, off, s[0:3], 0 offset:8
	buffer_load_dword v3, off, s[0:3], 0 offset:12
	v_mov_b32_e32 v4, 0
	buffer_store_dword v4, off, s[0:3], 0 offset:8
	buffer_store_dword v4, off, s[0:3], 0 offset:12
	s_waitcnt vmcnt(2)
	ds_write_b64 v1, v[2:3]
.LBB26_173:
	s_or_b64 exec, exec, s[4:5]
	s_waitcnt lgkmcnt(0)
	; wave barrier
	s_waitcnt lgkmcnt(0)
	buffer_load_dword v5, off, s[0:3], 0 offset:20
	buffer_load_dword v112, off, s[0:3], 0 offset:28
	;; [unrolled: 1-line block ×36, first 2 shown]
	v_mov_b32_e32 v4, 0
	buffer_load_dword v101, off, s[0:3], 0 offset:164
	buffer_load_dword v100, off, s[0:3], 0 offset:160
	;; [unrolled: 1-line block ×5, first 2 shown]
	ds_read_b128 v[6:9], v4 offset:240
	ds_read_b128 v[64:67], v4 offset:256
	;; [unrolled: 1-line block ×8, first 2 shown]
	v_cmp_ne_u32_e32 vcc, 0, v0
	s_waitcnt vmcnt(40) lgkmcnt(7)
	v_mul_f32_e32 v92, v6, v5
	s_waitcnt vmcnt(39)
	v_mul_f32_e32 v93, v8, v112
	s_waitcnt vmcnt(38) lgkmcnt(6)
	v_mul_f32_e32 v94, v64, v114
	s_waitcnt vmcnt(37)
	v_mul_f32_e32 v95, v66, v116
	;; [unrolled: 4-line block ×7, first 2 shown]
	s_waitcnt vmcnt(26) lgkmcnt(0)
	v_mul_f32_e32 v113, v88, v132
	s_waitcnt vmcnt(25)
	v_fmac_f32_e32 v92, v7, v133
	s_waitcnt vmcnt(24)
	v_fmac_f32_e32 v93, v9, v134
	v_add_f32_e32 v92, 0, v92
	s_waitcnt vmcnt(23)
	v_fmac_f32_e32 v94, v65, v135
	v_add_f32_e32 v92, v92, v93
	;; [unrolled: 3-line block ×13, first 2 shown]
	v_add_f32_e32 v96, v92, v110
	buffer_load_dword v107, off, s[0:3], 0 offset:196
	buffer_load_dword v106, off, s[0:3], 0 offset:192
	;; [unrolled: 1-line block ×7, first 2 shown]
	s_waitcnt vmcnt(18)
	v_fmac_f32_e32 v113, v89, v147
	ds_read_b128 v[92:95], v4 offset:368
	v_add_f32_e32 v113, v96, v113
	ds_read_b128 v[96:99], v4 offset:384
	buffer_load_dword v119, off, s[0:3], 0 offset:212
	buffer_load_dword v118, off, s[0:3], 0 offset:208
	;; [unrolled: 1-line block ×4, first 2 shown]
	v_mul_f32_e32 v5, v7, v5
	v_fma_f32 v5, v6, v133, -v5
	v_mul_f32_e32 v6, v9, v112
	v_add_f32_e32 v5, 0, v5
	v_fma_f32 v6, v8, v134, -v6
	v_add_f32_e32 v5, v5, v6
	v_mul_f32_e32 v6, v65, v114
	v_fma_f32 v6, v64, v135, -v6
	v_add_f32_e32 v5, v5, v6
	v_mul_f32_e32 v6, v67, v116
	;; [unrolled: 3-line block ×13, first 2 shown]
	v_fma_f32 v6, v88, v147, -v6
	s_waitcnt vmcnt(13)
	v_mov_b32_e32 v72, v103
	v_mul_f32_e32 v115, v90, v148
	v_add_f32_e32 v112, v5, v6
	v_mul_f32_e32 v5, v91, v148
	s_waitcnt lgkmcnt(1)
	v_pk_mul_f32 v[72:73], v[94:95], v[72:73] op_sel_hi:[1,0]
	v_fmac_f32_e32 v115, v91, v149
	v_mul_f32_e32 v117, v92, v150
	v_fma_f32 v114, v90, v149, -v5
	v_mul_f32_e32 v5, v93, v150
	s_waitcnt vmcnt(12)
	v_pk_fma_f32 v[74:75], v[94:95], v[102:103], v[72:73] op_sel:[0,0,1] op_sel_hi:[1,1,0] neg_lo:[0,0,1] neg_hi:[0,0,1]
	v_pk_fma_f32 v[72:73], v[94:95], v[102:103], v[72:73] op_sel:[0,0,1] op_sel_hi:[1,0,0]
	v_fmac_f32_e32 v117, v93, v151
	v_fma_f32 v116, v92, v151, -v5
	v_pk_add_f32 v[70:71], v[112:113], v[114:115]
	v_mov_b32_e32 v72, v101
	v_pk_add_f32 v[70:71], v[70:71], v[116:117]
	v_mov_b32_e32 v75, v73
	s_waitcnt lgkmcnt(0)
	v_pk_mul_f32 v[72:73], v[96:97], v[72:73] op_sel_hi:[1,0]
	v_pk_add_f32 v[70:71], v[70:71], v[74:75]
	v_pk_fma_f32 v[74:75], v[96:97], v[100:101], v[72:73] op_sel:[0,0,1] op_sel_hi:[1,1,0] neg_lo:[0,0,1] neg_hi:[0,0,1]
	v_pk_fma_f32 v[72:73], v[96:97], v[100:101], v[72:73] op_sel:[0,0,1] op_sel_hi:[1,0,0]
	s_waitcnt vmcnt(11)
	v_mov_b32_e32 v72, v105
	ds_read_b128 v[6:9], v4 offset:400
	ds_read_b128 v[64:67], v4 offset:416
	ds_read_b64 v[68:69], v4 offset:432
	v_mov_b32_e32 v75, v73
	v_pk_mul_f32 v[72:73], v[98:99], v[72:73] op_sel_hi:[1,0]
	v_pk_add_f32 v[70:71], v[70:71], v[74:75]
	s_waitcnt vmcnt(4)
	v_pk_fma_f32 v[74:75], v[98:99], v[104:105], v[72:73] op_sel:[0,0,1] op_sel_hi:[1,1,0] neg_lo:[0,0,1] neg_hi:[0,0,1]
	v_pk_fma_f32 v[72:73], v[98:99], v[104:105], v[72:73] op_sel:[0,0,1] op_sel_hi:[1,0,0]
	v_mov_b32_e32 v72, v111
	v_mov_b32_e32 v75, v73
	s_waitcnt lgkmcnt(2)
	v_pk_mul_f32 v[72:73], v[6:7], v[72:73] op_sel_hi:[1,0]
	v_pk_add_f32 v[70:71], v[70:71], v[74:75]
	v_pk_fma_f32 v[74:75], v[6:7], v[110:111], v[72:73] op_sel:[0,0,1] op_sel_hi:[1,1,0] neg_lo:[0,0,1] neg_hi:[0,0,1]
	v_pk_fma_f32 v[6:7], v[6:7], v[110:111], v[72:73] op_sel:[0,0,1] op_sel_hi:[1,0,0]
	v_mov_b32_e32 v75, v7
	v_pk_add_f32 v[6:7], v[70:71], v[74:75]
	v_mov_b32_e32 v70, v109
	v_pk_mul_f32 v[70:71], v[8:9], v[70:71] op_sel_hi:[1,0]
	v_pk_fma_f32 v[72:73], v[8:9], v[108:109], v[70:71] op_sel:[0,0,1] op_sel_hi:[1,1,0] neg_lo:[0,0,1] neg_hi:[0,0,1]
	v_pk_fma_f32 v[8:9], v[8:9], v[108:109], v[70:71] op_sel:[0,0,1] op_sel_hi:[1,0,0]
	v_mov_b32_e32 v8, v107
	v_mov_b32_e32 v73, v9
	s_waitcnt lgkmcnt(1)
	v_pk_mul_f32 v[8:9], v[64:65], v[8:9] op_sel_hi:[1,0]
	v_pk_fma_f32 v[70:71], v[64:65], v[106:107], v[8:9] op_sel:[0,0,1] op_sel_hi:[1,1,0] neg_lo:[0,0,1] neg_hi:[0,0,1]
	v_pk_fma_f32 v[8:9], v[64:65], v[106:107], v[8:9] op_sel:[0,0,1] op_sel_hi:[1,0,0]
	s_waitcnt vmcnt(1)
	v_mov_b32_e32 v8, v121
	v_mov_b32_e32 v71, v9
	v_pk_mul_f32 v[8:9], v[66:67], v[8:9] op_sel_hi:[1,0]
	s_waitcnt vmcnt(0)
	v_pk_fma_f32 v[64:65], v[66:67], v[120:121], v[8:9] op_sel:[0,0,1] op_sel_hi:[1,1,0] neg_lo:[0,0,1] neg_hi:[0,0,1]
	v_pk_fma_f32 v[8:9], v[66:67], v[120:121], v[8:9] op_sel:[0,0,1] op_sel_hi:[1,0,0]
	v_pk_add_f32 v[6:7], v[6:7], v[72:73]
	v_mov_b32_e32 v8, v119
	v_pk_add_f32 v[6:7], v[6:7], v[70:71]
	v_mov_b32_e32 v65, v9
	s_waitcnt lgkmcnt(0)
	v_pk_mul_f32 v[8:9], v[68:69], v[8:9] op_sel_hi:[1,0]
	v_pk_add_f32 v[6:7], v[6:7], v[64:65]
	v_pk_fma_f32 v[64:65], v[68:69], v[118:119], v[8:9] op_sel:[0,0,1] op_sel_hi:[1,1,0] neg_lo:[0,0,1] neg_hi:[0,0,1]
	v_pk_fma_f32 v[8:9], v[68:69], v[118:119], v[8:9] op_sel:[0,0,1] op_sel_hi:[1,0,0]
	v_mov_b32_e32 v65, v9
	v_pk_add_f32 v[6:7], v[6:7], v[64:65]
	v_pk_add_f32 v[2:3], v[2:3], v[6:7] neg_lo:[0,1] neg_hi:[0,1]
	buffer_store_dword v3, off, s[0:3], 0 offset:12
	buffer_store_dword v2, off, s[0:3], 0 offset:8
	s_and_saveexec_b64 s[4:5], vcc
	s_cbranch_execz .LBB26_175
; %bb.174:
	buffer_load_dword v2, off, s[0:3], 0
	buffer_load_dword v3, off, s[0:3], 0 offset:4
	s_waitcnt vmcnt(0)
	ds_write_b64 v1, v[2:3]
	buffer_store_dword v4, off, s[0:3], 0
	buffer_store_dword v4, off, s[0:3], 0 offset:4
.LBB26_175:
	s_or_b64 exec, exec, s[4:5]
	s_waitcnt lgkmcnt(0)
	; wave barrier
	s_waitcnt lgkmcnt(0)
	buffer_load_dword v5, off, s[0:3], 0 offset:12
	buffer_load_dword v108, off, s[0:3], 0 offset:20
	;; [unrolled: 1-line block ×36, first 2 shown]
	buffer_load_dword v96, off, s[0:3], 0
	buffer_load_dword v97, off, s[0:3], 0 offset:4
	ds_read2_b64 v[0:3], v4 offset0:29 offset1:30
	ds_read2_b64 v[6:9], v4 offset0:31 offset1:32
	;; [unrolled: 1-line block ×8, first 2 shown]
	buffer_load_dword v99, off, s[0:3], 0 offset:156
	buffer_load_dword v98, off, s[0:3], 0 offset:152
	buffer_load_dword v101, off, s[0:3], 0 offset:188
	buffer_load_dword v100, off, s[0:3], 0 offset:184
	s_and_b64 vcc, exec, s[20:21]
	s_waitcnt vmcnt(41) lgkmcnt(7)
	v_mul_f32_e32 v88, v0, v5
	s_waitcnt vmcnt(40)
	v_mul_f32_e32 v89, v2, v108
	s_waitcnt vmcnt(39) lgkmcnt(6)
	v_mul_f32_e32 v90, v6, v110
	s_waitcnt vmcnt(38)
	v_mul_f32_e32 v91, v8, v112
	;; [unrolled: 4-line block ×7, first 2 shown]
	s_waitcnt vmcnt(27) lgkmcnt(0)
	v_mul_f32_e32 v109, v84, v130
	s_waitcnt vmcnt(26)
	v_fmac_f32_e32 v88, v1, v131
	s_waitcnt vmcnt(25)
	v_fmac_f32_e32 v89, v3, v132
	v_add_f32_e32 v88, 0, v88
	s_waitcnt vmcnt(24)
	v_fmac_f32_e32 v90, v7, v133
	v_add_f32_e32 v88, v88, v89
	;; [unrolled: 3-line block ×13, first 2 shown]
	v_add_f32_e32 v88, v88, v107
	buffer_load_dword v103, off, s[0:3], 0 offset:180
	buffer_load_dword v102, off, s[0:3], 0 offset:176
	;; [unrolled: 1-line block ×6, first 2 shown]
	s_waitcnt vmcnt(18)
	v_fmac_f32_e32 v109, v85, v145
	s_waitcnt vmcnt(17)
	v_mul_f32_e32 v93, v86, v146
	v_add_f32_e32 v92, v88, v109
	s_waitcnt vmcnt(16)
	v_fmac_f32_e32 v93, v87, v147
	ds_read2_b64 v[88:91], v4 offset0:45 offset1:46
	v_add_f32_e32 v109, v92, v93
	ds_read2_b64 v[92:95], v4 offset0:47 offset1:48
	buffer_load_dword v115, off, s[0:3], 0 offset:212
	buffer_load_dword v114, off, s[0:3], 0 offset:208
	;; [unrolled: 1-line block ×6, first 2 shown]
	v_mul_f32_e32 v1, v1, v5
	v_fma_f32 v0, v0, v131, -v1
	v_mul_f32_e32 v1, v3, v108
	v_add_f32_e32 v0, 0, v0
	v_fma_f32 v1, v2, v132, -v1
	v_add_f32_e32 v0, v0, v1
	v_mul_f32_e32 v1, v7, v110
	v_fma_f32 v1, v6, v133, -v1
	v_add_f32_e32 v0, v0, v1
	v_mul_f32_e32 v1, v9, v112
	;; [unrolled: 3-line block ×14, first 2 shown]
	v_fma_f32 v1, v86, v147, -v1
	s_waitcnt vmcnt(15)
	v_mov_b32_e32 v68, v99
	s_waitcnt lgkmcnt(1)
	v_mul_f32_e32 v111, v88, v148
	v_add_f32_e32 v108, v0, v1
	v_mul_f32_e32 v0, v89, v148
	s_waitcnt lgkmcnt(0)
	v_pk_mul_f32 v[68:69], v[92:93], v[68:69] op_sel_hi:[1,0]
	v_fmac_f32_e32 v111, v89, v149
	v_mul_f32_e32 v113, v90, v150
	v_fma_f32 v110, v88, v149, -v0
	v_mul_f32_e32 v0, v91, v150
	s_waitcnt vmcnt(14)
	v_pk_fma_f32 v[70:71], v[92:93], v[98:99], v[68:69] op_sel:[0,0,1] op_sel_hi:[1,1,0] neg_lo:[0,0,1] neg_hi:[0,0,1]
	v_pk_fma_f32 v[68:69], v[92:93], v[98:99], v[68:69] op_sel:[0,0,1] op_sel_hi:[1,0,0]
	v_fmac_f32_e32 v113, v91, v151
	v_fma_f32 v112, v90, v151, -v0
	ds_read2_b64 v[0:3], v4 offset0:49 offset1:50
	ds_read2_b64 v[6:9], v4 offset0:51 offset1:52
	;; [unrolled: 1-line block ×3, first 2 shown]
	v_pk_add_f32 v[4:5], v[108:109], v[110:111]
	v_pk_add_f32 v[4:5], v[4:5], v[112:113]
	v_mov_b32_e32 v71, v69
	v_pk_add_f32 v[4:5], v[4:5], v[70:71]
	s_waitcnt vmcnt(7)
	v_mov_b32_e32 v68, v107
	v_pk_mul_f32 v[68:69], v[94:95], v[68:69] op_sel_hi:[1,0]
	s_waitcnt vmcnt(6)
	v_pk_fma_f32 v[70:71], v[94:95], v[106:107], v[68:69] op_sel:[0,0,1] op_sel_hi:[1,1,0] neg_lo:[0,0,1] neg_hi:[0,0,1]
	v_pk_fma_f32 v[68:69], v[94:95], v[106:107], v[68:69] op_sel:[0,0,1] op_sel_hi:[1,0,0]
	v_mov_b32_e32 v68, v105
	v_mov_b32_e32 v71, v69
	s_waitcnt lgkmcnt(2)
	v_pk_mul_f32 v[68:69], v[0:1], v[68:69] op_sel_hi:[1,0]
	v_pk_add_f32 v[4:5], v[4:5], v[70:71]
	v_pk_fma_f32 v[70:71], v[0:1], v[104:105], v[68:69] op_sel:[0,0,1] op_sel_hi:[1,1,0] neg_lo:[0,0,1] neg_hi:[0,0,1]
	v_pk_fma_f32 v[0:1], v[0:1], v[104:105], v[68:69] op_sel:[0,0,1] op_sel_hi:[1,0,0]
	v_mov_b32_e32 v71, v1
	v_pk_add_f32 v[0:1], v[4:5], v[70:71]
	v_mov_b32_e32 v4, v103
	v_pk_mul_f32 v[4:5], v[2:3], v[4:5] op_sel_hi:[1,0]
	v_pk_fma_f32 v[68:69], v[2:3], v[102:103], v[4:5] op_sel:[0,0,1] op_sel_hi:[1,1,0] neg_lo:[0,0,1] neg_hi:[0,0,1]
	v_pk_fma_f32 v[2:3], v[2:3], v[102:103], v[4:5] op_sel:[0,0,1] op_sel_hi:[1,0,0]
	v_mov_b32_e32 v2, v101
	v_mov_b32_e32 v69, v3
	s_waitcnt lgkmcnt(1)
	v_pk_mul_f32 v[2:3], v[6:7], v[2:3] op_sel_hi:[1,0]
	v_pk_fma_f32 v[4:5], v[6:7], v[100:101], v[2:3] op_sel:[0,0,1] op_sel_hi:[1,1,0] neg_lo:[0,0,1] neg_hi:[0,0,1]
	v_pk_fma_f32 v[2:3], v[6:7], v[100:101], v[2:3] op_sel:[0,0,1] op_sel_hi:[1,0,0]
	s_waitcnt vmcnt(1)
	v_mov_b32_e32 v2, v119
	v_pk_add_f32 v[0:1], v[0:1], v[68:69]
	v_mov_b32_e32 v5, v3
	v_pk_mul_f32 v[2:3], v[8:9], v[2:3] op_sel_hi:[1,0]
	v_pk_add_f32 v[0:1], v[0:1], v[4:5]
	s_waitcnt vmcnt(0)
	v_pk_fma_f32 v[4:5], v[8:9], v[118:119], v[2:3] op_sel:[0,0,1] op_sel_hi:[1,1,0] neg_lo:[0,0,1] neg_hi:[0,0,1]
	v_pk_fma_f32 v[2:3], v[8:9], v[118:119], v[2:3] op_sel:[0,0,1] op_sel_hi:[1,0,0]
	v_mov_b32_e32 v2, v117
	v_mov_b32_e32 v5, v3
	s_waitcnt lgkmcnt(0)
	v_pk_mul_f32 v[2:3], v[64:65], v[2:3] op_sel_hi:[1,0]
	v_pk_add_f32 v[0:1], v[0:1], v[4:5]
	v_pk_fma_f32 v[4:5], v[64:65], v[116:117], v[2:3] op_sel:[0,0,1] op_sel_hi:[1,1,0] neg_lo:[0,0,1] neg_hi:[0,0,1]
	v_pk_fma_f32 v[2:3], v[64:65], v[116:117], v[2:3] op_sel:[0,0,1] op_sel_hi:[1,0,0]
	v_mov_b32_e32 v2, v115
	v_mov_b32_e32 v5, v3
	v_pk_mul_f32 v[2:3], v[66:67], v[2:3] op_sel_hi:[1,0]
	v_pk_add_f32 v[0:1], v[0:1], v[4:5]
	v_pk_fma_f32 v[4:5], v[66:67], v[114:115], v[2:3] op_sel:[0,0,1] op_sel_hi:[1,1,0] neg_lo:[0,0,1] neg_hi:[0,0,1]
	v_pk_fma_f32 v[2:3], v[66:67], v[114:115], v[2:3] op_sel:[0,0,1] op_sel_hi:[1,0,0]
	v_mov_b32_e32 v5, v3
	v_pk_add_f32 v[0:1], v[0:1], v[4:5]
	v_pk_add_f32 v[0:1], v[96:97], v[0:1] neg_lo:[0,1] neg_hi:[0,1]
	buffer_store_dword v1, off, s[0:3], 0 offset:4
	buffer_store_dword v0, off, s[0:3], 0
	s_cbranch_vccz .LBB26_229
; %bb.176:
	v_pk_mov_b32 v[0:1], s[10:11], s[10:11] op_sel:[0,1]
	flat_load_dword v0, v[0:1] offset:100
	s_waitcnt vmcnt(0) lgkmcnt(0)
	v_add_u32_e32 v0, -1, v0
	v_cmp_ne_u32_e32 vcc, 25, v0
	s_and_saveexec_b64 s[4:5], vcc
	s_cbranch_execz .LBB26_178
; %bb.177:
	v_mov_b32_e32 v1, 0
	v_lshl_add_u32 v0, v0, 3, v1
	buffer_load_dword v1, v0, s[0:3], 0 offen
	buffer_load_dword v2, v0, s[0:3], 0 offen offset:4
	buffer_load_dword v3, off, s[0:3], 0 offset:200
	buffer_load_dword v4, off, s[0:3], 0 offset:204
	s_waitcnt vmcnt(3)
	buffer_store_dword v1, off, s[0:3], 0 offset:200
	s_waitcnt vmcnt(3)
	buffer_store_dword v2, off, s[0:3], 0 offset:204
	s_waitcnt vmcnt(3)
	buffer_store_dword v3, v0, s[0:3], 0 offen
	s_waitcnt vmcnt(3)
	buffer_store_dword v4, v0, s[0:3], 0 offen offset:4
.LBB26_178:
	s_or_b64 exec, exec, s[4:5]
	v_pk_mov_b32 v[0:1], s[10:11], s[10:11] op_sel:[0,1]
	flat_load_dword v0, v[0:1] offset:96
	s_waitcnt vmcnt(0) lgkmcnt(0)
	v_add_u32_e32 v0, -1, v0
	v_cmp_ne_u32_e32 vcc, 24, v0
	s_and_saveexec_b64 s[4:5], vcc
	s_cbranch_execz .LBB26_180
; %bb.179:
	v_mov_b32_e32 v1, 0
	v_lshl_add_u32 v0, v0, 3, v1
	buffer_load_dword v1, v0, s[0:3], 0 offen
	buffer_load_dword v2, v0, s[0:3], 0 offen offset:4
	buffer_load_dword v3, off, s[0:3], 0 offset:196
	buffer_load_dword v4, off, s[0:3], 0 offset:192
	s_waitcnt vmcnt(3)
	buffer_store_dword v1, off, s[0:3], 0 offset:192
	s_waitcnt vmcnt(3)
	buffer_store_dword v2, off, s[0:3], 0 offset:196
	s_waitcnt vmcnt(3)
	buffer_store_dword v3, v0, s[0:3], 0 offen offset:4
	s_waitcnt vmcnt(3)
	buffer_store_dword v4, v0, s[0:3], 0 offen
.LBB26_180:
	s_or_b64 exec, exec, s[4:5]
	v_pk_mov_b32 v[0:1], s[10:11], s[10:11] op_sel:[0,1]
	flat_load_dword v0, v[0:1] offset:92
	s_waitcnt vmcnt(0) lgkmcnt(0)
	v_add_u32_e32 v0, -1, v0
	v_cmp_ne_u32_e32 vcc, 23, v0
	s_and_saveexec_b64 s[4:5], vcc
	s_cbranch_execz .LBB26_182
; %bb.181:
	v_mov_b32_e32 v1, 0
	v_lshl_add_u32 v0, v0, 3, v1
	buffer_load_dword v1, v0, s[0:3], 0 offen
	buffer_load_dword v2, v0, s[0:3], 0 offen offset:4
	buffer_load_dword v3, off, s[0:3], 0 offset:184
	buffer_load_dword v4, off, s[0:3], 0 offset:188
	s_waitcnt vmcnt(3)
	buffer_store_dword v1, off, s[0:3], 0 offset:184
	s_waitcnt vmcnt(3)
	buffer_store_dword v2, off, s[0:3], 0 offset:188
	s_waitcnt vmcnt(3)
	buffer_store_dword v3, v0, s[0:3], 0 offen
	s_waitcnt vmcnt(3)
	buffer_store_dword v4, v0, s[0:3], 0 offen offset:4
.LBB26_182:
	s_or_b64 exec, exec, s[4:5]
	v_pk_mov_b32 v[0:1], s[10:11], s[10:11] op_sel:[0,1]
	flat_load_dword v0, v[0:1] offset:88
	s_waitcnt vmcnt(0) lgkmcnt(0)
	v_add_u32_e32 v0, -1, v0
	v_cmp_ne_u32_e32 vcc, 22, v0
	s_and_saveexec_b64 s[4:5], vcc
	s_cbranch_execz .LBB26_184
; %bb.183:
	v_mov_b32_e32 v1, 0
	v_lshl_add_u32 v0, v0, 3, v1
	buffer_load_dword v1, v0, s[0:3], 0 offen
	buffer_load_dword v2, v0, s[0:3], 0 offen offset:4
	buffer_load_dword v3, off, s[0:3], 0 offset:180
	buffer_load_dword v4, off, s[0:3], 0 offset:176
	s_waitcnt vmcnt(3)
	buffer_store_dword v1, off, s[0:3], 0 offset:176
	s_waitcnt vmcnt(3)
	buffer_store_dword v2, off, s[0:3], 0 offset:180
	s_waitcnt vmcnt(3)
	buffer_store_dword v3, v0, s[0:3], 0 offen offset:4
	s_waitcnt vmcnt(3)
	buffer_store_dword v4, v0, s[0:3], 0 offen
.LBB26_184:
	s_or_b64 exec, exec, s[4:5]
	;; [unrolled: 48-line block ×12, first 2 shown]
	v_pk_mov_b32 v[0:1], s[10:11], s[10:11] op_sel:[0,1]
	flat_load_dword v0, v[0:1] offset:4
	s_waitcnt vmcnt(0) lgkmcnt(0)
	v_add_u32_e32 v0, -1, v0
	v_cmp_ne_u32_e32 vcc, 1, v0
	s_and_saveexec_b64 s[4:5], vcc
	s_cbranch_execz .LBB26_226
; %bb.225:
	v_mov_b32_e32 v1, 0
	v_lshl_add_u32 v0, v0, 3, v1
	buffer_load_dword v1, v0, s[0:3], 0 offen
	buffer_load_dword v2, v0, s[0:3], 0 offen offset:4
	buffer_load_dword v3, off, s[0:3], 0 offset:8
	buffer_load_dword v4, off, s[0:3], 0 offset:12
	s_waitcnt vmcnt(3)
	buffer_store_dword v1, off, s[0:3], 0 offset:8
	s_waitcnt vmcnt(3)
	buffer_store_dword v2, off, s[0:3], 0 offset:12
	s_waitcnt vmcnt(3)
	buffer_store_dword v3, v0, s[0:3], 0 offen
	s_waitcnt vmcnt(3)
	buffer_store_dword v4, v0, s[0:3], 0 offen offset:4
.LBB26_226:
	s_or_b64 exec, exec, s[4:5]
	v_pk_mov_b32 v[0:1], s[10:11], s[10:11] op_sel:[0,1]
	flat_load_dword v2, v[0:1]
	s_nop 0
	buffer_load_dword v0, off, s[0:3], 0
	buffer_load_dword v1, off, s[0:3], 0 offset:4
	s_waitcnt vmcnt(0) lgkmcnt(0)
	v_add_u32_e32 v2, -1, v2
	v_cmp_ne_u32_e32 vcc, 0, v2
	s_and_saveexec_b64 s[4:5], vcc
	s_cbranch_execz .LBB26_228
; %bb.227:
	v_mov_b32_e32 v3, 0
	v_lshl_add_u32 v2, v2, 3, v3
	buffer_load_dword v3, v2, s[0:3], 0 offen offset:4
	buffer_load_dword v4, v2, s[0:3], 0 offen
	s_waitcnt vmcnt(1)
	buffer_store_dword v3, off, s[0:3], 0 offset:4
	s_waitcnt vmcnt(1)
	buffer_store_dword v4, off, s[0:3], 0
	buffer_store_dword v1, v2, s[0:3], 0 offen offset:4
	buffer_store_dword v0, v2, s[0:3], 0 offen
	buffer_load_dword v0, off, s[0:3], 0
	s_nop 0
	buffer_load_dword v1, off, s[0:3], 0 offset:4
.LBB26_228:
	s_or_b64 exec, exec, s[4:5]
.LBB26_229:
	buffer_load_dword v2, off, s[0:3], 0 offset:8
	buffer_load_dword v3, off, s[0:3], 0 offset:12
	;; [unrolled: 1-line block ×52, first 2 shown]
	s_waitcnt vmcnt(52)
	global_store_dwordx2 v[10:11], v[0:1], off
	s_waitcnt vmcnt(51)
	global_store_dwordx2 v[56:57], v[2:3], off
	;; [unrolled: 2-line block ×27, first 2 shown]
	s_endpgm
	.section	.rodata,"a",@progbits
	.p2align	6, 0x0
	.amdhsa_kernel _ZN9rocsolver6v33100L18getri_kernel_smallILi27E19rocblas_complex_numIfEPS3_EEvT1_iilPiilS6_bb
		.amdhsa_group_segment_fixed_size 440
		.amdhsa_private_segment_fixed_size 224
		.amdhsa_kernarg_size 60
		.amdhsa_user_sgpr_count 8
		.amdhsa_user_sgpr_private_segment_buffer 1
		.amdhsa_user_sgpr_dispatch_ptr 0
		.amdhsa_user_sgpr_queue_ptr 0
		.amdhsa_user_sgpr_kernarg_segment_ptr 1
		.amdhsa_user_sgpr_dispatch_id 0
		.amdhsa_user_sgpr_flat_scratch_init 1
		.amdhsa_user_sgpr_kernarg_preload_length 0
		.amdhsa_user_sgpr_kernarg_preload_offset 0
		.amdhsa_user_sgpr_private_segment_size 0
		.amdhsa_uses_dynamic_stack 0
		.amdhsa_system_sgpr_private_segment_wavefront_offset 1
		.amdhsa_system_sgpr_workgroup_id_x 1
		.amdhsa_system_sgpr_workgroup_id_y 0
		.amdhsa_system_sgpr_workgroup_id_z 0
		.amdhsa_system_sgpr_workgroup_info 0
		.amdhsa_system_vgpr_workitem_id 0
		.amdhsa_next_free_vgpr 152
		.amdhsa_next_free_sgpr 23
		.amdhsa_accum_offset 152
		.amdhsa_reserve_vcc 1
		.amdhsa_reserve_flat_scratch 1
		.amdhsa_float_round_mode_32 0
		.amdhsa_float_round_mode_16_64 0
		.amdhsa_float_denorm_mode_32 3
		.amdhsa_float_denorm_mode_16_64 3
		.amdhsa_dx10_clamp 1
		.amdhsa_ieee_mode 1
		.amdhsa_fp16_overflow 0
		.amdhsa_tg_split 0
		.amdhsa_exception_fp_ieee_invalid_op 0
		.amdhsa_exception_fp_denorm_src 0
		.amdhsa_exception_fp_ieee_div_zero 0
		.amdhsa_exception_fp_ieee_overflow 0
		.amdhsa_exception_fp_ieee_underflow 0
		.amdhsa_exception_fp_ieee_inexact 0
		.amdhsa_exception_int_div_zero 0
	.end_amdhsa_kernel
	.section	.text._ZN9rocsolver6v33100L18getri_kernel_smallILi27E19rocblas_complex_numIfEPS3_EEvT1_iilPiilS6_bb,"axG",@progbits,_ZN9rocsolver6v33100L18getri_kernel_smallILi27E19rocblas_complex_numIfEPS3_EEvT1_iilPiilS6_bb,comdat
.Lfunc_end26:
	.size	_ZN9rocsolver6v33100L18getri_kernel_smallILi27E19rocblas_complex_numIfEPS3_EEvT1_iilPiilS6_bb, .Lfunc_end26-_ZN9rocsolver6v33100L18getri_kernel_smallILi27E19rocblas_complex_numIfEPS3_EEvT1_iilPiilS6_bb
                                        ; -- End function
	.section	.AMDGPU.csdata,"",@progbits
; Kernel info:
; codeLenInByte = 36916
; NumSgprs: 29
; NumVgprs: 152
; NumAgprs: 0
; TotalNumVgprs: 152
; ScratchSize: 224
; MemoryBound: 0
; FloatMode: 240
; IeeeMode: 1
; LDSByteSize: 440 bytes/workgroup (compile time only)
; SGPRBlocks: 3
; VGPRBlocks: 18
; NumSGPRsForWavesPerEU: 29
; NumVGPRsForWavesPerEU: 152
; AccumOffset: 152
; Occupancy: 3
; WaveLimiterHint : 1
; COMPUTE_PGM_RSRC2:SCRATCH_EN: 1
; COMPUTE_PGM_RSRC2:USER_SGPR: 8
; COMPUTE_PGM_RSRC2:TRAP_HANDLER: 0
; COMPUTE_PGM_RSRC2:TGID_X_EN: 1
; COMPUTE_PGM_RSRC2:TGID_Y_EN: 0
; COMPUTE_PGM_RSRC2:TGID_Z_EN: 0
; COMPUTE_PGM_RSRC2:TIDIG_COMP_CNT: 0
; COMPUTE_PGM_RSRC3_GFX90A:ACCUM_OFFSET: 37
; COMPUTE_PGM_RSRC3_GFX90A:TG_SPLIT: 0
	.section	.text._ZN9rocsolver6v33100L18getri_kernel_smallILi28E19rocblas_complex_numIfEPS3_EEvT1_iilPiilS6_bb,"axG",@progbits,_ZN9rocsolver6v33100L18getri_kernel_smallILi28E19rocblas_complex_numIfEPS3_EEvT1_iilPiilS6_bb,comdat
	.globl	_ZN9rocsolver6v33100L18getri_kernel_smallILi28E19rocblas_complex_numIfEPS3_EEvT1_iilPiilS6_bb ; -- Begin function _ZN9rocsolver6v33100L18getri_kernel_smallILi28E19rocblas_complex_numIfEPS3_EEvT1_iilPiilS6_bb
	.p2align	8
	.type	_ZN9rocsolver6v33100L18getri_kernel_smallILi28E19rocblas_complex_numIfEPS3_EEvT1_iilPiilS6_bb,@function
_ZN9rocsolver6v33100L18getri_kernel_smallILi28E19rocblas_complex_numIfEPS3_EEvT1_iilPiilS6_bb: ; @_ZN9rocsolver6v33100L18getri_kernel_smallILi28E19rocblas_complex_numIfEPS3_EEvT1_iilPiilS6_bb
; %bb.0:
	s_add_u32 flat_scratch_lo, s6, s9
	s_addc_u32 flat_scratch_hi, s7, 0
	s_add_u32 s0, s0, s9
	s_addc_u32 s1, s1, 0
	v_cmp_gt_u32_e32 vcc, 28, v0
	s_and_saveexec_b64 s[6:7], vcc
	s_cbranch_execz .LBB27_126
; %bb.1:
	s_load_dword s22, s[4:5], 0x38
	s_load_dwordx4 s[16:19], s[4:5], 0x10
	s_load_dwordx4 s[12:15], s[4:5], 0x28
                                        ; implicit-def: $sgpr10_sgpr11
	s_waitcnt lgkmcnt(0)
	s_bitcmp1_b32 s22, 8
	s_cselect_b64 s[20:21], -1, 0
	s_ashr_i32 s9, s8, 31
	s_bfe_u32 s6, s22, 0x10008
	s_cmp_eq_u32 s6, 0
	s_cbranch_scc1 .LBB27_3
; %bb.2:
	s_load_dword s6, s[4:5], 0x20
	s_mul_i32 s7, s8, s13
	s_mul_hi_u32 s10, s8, s12
	s_mul_i32 s11, s9, s12
	s_add_i32 s10, s10, s7
	s_add_i32 s11, s10, s11
	s_mul_i32 s10, s8, s12
	s_waitcnt lgkmcnt(0)
	s_ashr_i32 s7, s6, 31
	s_lshl_b64 s[10:11], s[10:11], 2
	s_add_u32 s10, s18, s10
	s_addc_u32 s11, s19, s11
	s_lshl_b64 s[6:7], s[6:7], 2
	s_add_u32 s10, s10, s6
	s_addc_u32 s11, s11, s7
.LBB27_3:
	s_load_dwordx4 s[4:7], s[4:5], 0x0
	s_mul_i32 s12, s8, s17
	s_mul_hi_u32 s13, s8, s16
	s_add_i32 s17, s13, s12
	v_lshlrev_b32_e32 v62, 3, v0
	s_waitcnt lgkmcnt(0)
	s_ashr_i32 s13, s6, 31
	s_mov_b32 s12, s6
	s_mul_i32 s6, s9, s16
	s_add_i32 s17, s17, s6
	s_mul_i32 s16, s8, s16
	s_lshl_b64 s[16:17], s[16:17], 3
	s_add_u32 s6, s4, s16
	s_addc_u32 s16, s5, s17
	s_lshl_b64 s[4:5], s[12:13], 3
	s_add_u32 s4, s6, s4
	s_addc_u32 s5, s16, s5
	s_add_i32 s6, s7, s7
	v_add_u32_e32 v4, s6, v0
	v_ashrrev_i32_e32 v5, 31, v4
	v_lshlrev_b64 v[2:3], 3, v[4:5]
	v_add_u32_e32 v6, s7, v4
	v_mov_b32_e32 v5, s5
	v_add_co_u32_e32 v2, vcc, s4, v2
	v_ashrrev_i32_e32 v7, 31, v6
	v_addc_co_u32_e32 v3, vcc, v5, v3, vcc
	v_lshlrev_b64 v[4:5], 3, v[6:7]
	v_add_u32_e32 v8, s7, v6
	v_mov_b32_e32 v7, s5
	v_add_co_u32_e32 v4, vcc, s4, v4
	v_ashrrev_i32_e32 v9, 31, v8
	v_addc_co_u32_e32 v5, vcc, v7, v5, vcc
	;; [unrolled: 6-line block ×21, first 2 shown]
	v_lshlrev_b64 v[44:45], 3, v[46:47]
	v_mov_b32_e32 v47, s5
	v_add_co_u32_e32 v44, vcc, s4, v44
	v_addc_co_u32_e32 v45, vcc, v47, v45, vcc
	v_mov_b32_e32 v1, s5
	v_add_co_u32_e32 v48, vcc, s4, v62
	s_ashr_i32 s13, s7, 31
	s_mov_b32 s12, s7
	v_add_u32_e32 v52, s7, v46
	v_addc_co_u32_e32 v49, vcc, 0, v1, vcc
	s_lshl_b64 s[12:13], s[12:13], 3
	v_ashrrev_i32_e32 v53, 31, v52
	v_mov_b32_e32 v1, s13
	v_add_co_u32_e32 v50, vcc, s12, v48
	v_lshlrev_b64 v[46:47], 3, v[52:53]
	v_addc_co_u32_e32 v51, vcc, v49, v1, vcc
	v_add_u32_e32 v54, s7, v52
	v_mov_b32_e32 v53, s5
	v_add_co_u32_e32 v46, vcc, s4, v46
	v_ashrrev_i32_e32 v55, 31, v54
	v_addc_co_u32_e32 v47, vcc, v53, v47, vcc
	v_lshlrev_b64 v[52:53], 3, v[54:55]
	v_add_u32_e32 v56, s7, v54
	v_mov_b32_e32 v1, s5
	v_add_co_u32_e32 v52, vcc, s4, v52
	v_ashrrev_i32_e32 v57, 31, v56
	v_addc_co_u32_e32 v53, vcc, v1, v53, vcc
	v_lshlrev_b64 v[54:55], 3, v[56:57]
	v_add_co_u32_e32 v54, vcc, s4, v54
	global_load_dwordx2 v[58:59], v62, s[4:5]
	global_load_dwordx2 v[60:61], v[50:51], off
	global_load_dwordx2 v[64:65], v[2:3], off
	;; [unrolled: 1-line block ×18, first 2 shown]
	v_addc_co_u32_e32 v55, vcc, v1, v55, vcc
	global_load_dwordx2 v[98:99], v[36:37], off
	global_load_dwordx2 v[100:101], v[38:39], off
	;; [unrolled: 1-line block ×8, first 2 shown]
	v_add_u32_e32 v56, s7, v56
	v_ashrrev_i32_e32 v57, 31, v56
	v_lshlrev_b64 v[56:57], 3, v[56:57]
	v_add_co_u32_e32 v56, vcc, s4, v56
	v_addc_co_u32_e32 v57, vcc, v1, v57, vcc
	global_load_dwordx2 v[114:115], v[56:57], off
	s_bitcmp0_b32 s22, 0
	s_mov_b64 s[6:7], -1
	s_waitcnt vmcnt(27)
	buffer_store_dword v59, off, s[0:3], 0 offset:4
	buffer_store_dword v58, off, s[0:3], 0
	s_waitcnt vmcnt(28)
	buffer_store_dword v61, off, s[0:3], 0 offset:12
	buffer_store_dword v60, off, s[0:3], 0 offset:8
	s_waitcnt vmcnt(29)
	buffer_store_dword v65, off, s[0:3], 0 offset:20
	buffer_store_dword v64, off, s[0:3], 0 offset:16
	s_waitcnt vmcnt(30)
	buffer_store_dword v67, off, s[0:3], 0 offset:28
	buffer_store_dword v66, off, s[0:3], 0 offset:24
	s_waitcnt vmcnt(31)
	buffer_store_dword v69, off, s[0:3], 0 offset:36
	buffer_store_dword v68, off, s[0:3], 0 offset:32
	s_waitcnt vmcnt(32)
	buffer_store_dword v71, off, s[0:3], 0 offset:44
	buffer_store_dword v70, off, s[0:3], 0 offset:40
	s_waitcnt vmcnt(33)
	buffer_store_dword v73, off, s[0:3], 0 offset:52
	buffer_store_dword v72, off, s[0:3], 0 offset:48
	s_waitcnt vmcnt(34)
	buffer_store_dword v75, off, s[0:3], 0 offset:60
	buffer_store_dword v74, off, s[0:3], 0 offset:56
	s_waitcnt vmcnt(35)
	buffer_store_dword v77, off, s[0:3], 0 offset:68
	buffer_store_dword v76, off, s[0:3], 0 offset:64
	s_waitcnt vmcnt(36)
	buffer_store_dword v78, off, s[0:3], 0 offset:72
	buffer_store_dword v79, off, s[0:3], 0 offset:76
	s_waitcnt vmcnt(37)
	buffer_store_dword v80, off, s[0:3], 0 offset:80
	buffer_store_dword v81, off, s[0:3], 0 offset:84
	s_waitcnt vmcnt(38)
	buffer_store_dword v82, off, s[0:3], 0 offset:88
	buffer_store_dword v83, off, s[0:3], 0 offset:92
	s_waitcnt vmcnt(39)
	buffer_store_dword v84, off, s[0:3], 0 offset:96
	buffer_store_dword v85, off, s[0:3], 0 offset:100
	s_waitcnt vmcnt(40)
	buffer_store_dword v86, off, s[0:3], 0 offset:104
	buffer_store_dword v87, off, s[0:3], 0 offset:108
	s_waitcnt vmcnt(41)
	buffer_store_dword v89, off, s[0:3], 0 offset:116
	buffer_store_dword v88, off, s[0:3], 0 offset:112
	s_waitcnt vmcnt(42)
	buffer_store_dword v90, off, s[0:3], 0 offset:120
	buffer_store_dword v91, off, s[0:3], 0 offset:124
	s_waitcnt vmcnt(43)
	buffer_store_dword v92, off, s[0:3], 0 offset:128
	buffer_store_dword v93, off, s[0:3], 0 offset:132
	s_waitcnt vmcnt(44)
	buffer_store_dword v94, off, s[0:3], 0 offset:136
	buffer_store_dword v95, off, s[0:3], 0 offset:140
	s_waitcnt vmcnt(45)
	buffer_store_dword v96, off, s[0:3], 0 offset:144
	buffer_store_dword v97, off, s[0:3], 0 offset:148
	s_waitcnt vmcnt(46)
	buffer_store_dword v99, off, s[0:3], 0 offset:156
	buffer_store_dword v98, off, s[0:3], 0 offset:152
	s_waitcnt vmcnt(47)
	buffer_store_dword v101, off, s[0:3], 0 offset:164
	buffer_store_dword v100, off, s[0:3], 0 offset:160
	s_waitcnt vmcnt(48)
	buffer_store_dword v102, off, s[0:3], 0 offset:168
	buffer_store_dword v103, off, s[0:3], 0 offset:172
	s_waitcnt vmcnt(49)
	buffer_store_dword v104, off, s[0:3], 0 offset:176
	buffer_store_dword v105, off, s[0:3], 0 offset:180
	s_waitcnt vmcnt(50)
	buffer_store_dword v106, off, s[0:3], 0 offset:184
	buffer_store_dword v107, off, s[0:3], 0 offset:188
	s_waitcnt vmcnt(51)
	buffer_store_dword v108, off, s[0:3], 0 offset:192
	buffer_store_dword v109, off, s[0:3], 0 offset:196
	s_waitcnt vmcnt(52)
	buffer_store_dword v111, off, s[0:3], 0 offset:204
	buffer_store_dword v110, off, s[0:3], 0 offset:200
	s_waitcnt vmcnt(53)
	buffer_store_dword v113, off, s[0:3], 0 offset:212
	buffer_store_dword v112, off, s[0:3], 0 offset:208
	s_waitcnt vmcnt(54)
	buffer_store_dword v114, off, s[0:3], 0 offset:216
	buffer_store_dword v115, off, s[0:3], 0 offset:220
	s_cbranch_scc1 .LBB27_124
; %bb.4:
	v_cmp_eq_u32_e64 s[4:5], 0, v0
	s_and_saveexec_b64 s[6:7], s[4:5]
	s_cbranch_execz .LBB27_6
; %bb.5:
	v_mov_b32_e32 v1, 0
	ds_write_b32 v1, v1 offset:448
.LBB27_6:
	s_or_b64 exec, exec, s[6:7]
	v_mov_b32_e32 v1, 0
	v_lshl_add_u32 v63, v0, 3, v1
	s_waitcnt lgkmcnt(0)
	; wave barrier
	s_waitcnt lgkmcnt(0)
	buffer_load_dword v1, v63, s[0:3], 0 offen
	buffer_load_dword v58, v63, s[0:3], 0 offen offset:4
	s_waitcnt vmcnt(1)
	v_cmp_eq_f32_e32 vcc, 0, v1
	s_waitcnt vmcnt(0)
	v_cmp_eq_f32_e64 s[6:7], 0, v58
	s_and_b64 s[6:7], vcc, s[6:7]
	s_and_saveexec_b64 s[12:13], s[6:7]
	s_cbranch_execz .LBB27_10
; %bb.7:
	v_mov_b32_e32 v1, 0
	ds_read_b32 v59, v1 offset:448
	v_add_u32_e32 v58, 1, v0
	s_waitcnt lgkmcnt(0)
	v_readfirstlane_b32 s6, v59
	s_cmp_eq_u32 s6, 0
	s_cselect_b64 s[16:17], -1, 0
	v_cmp_gt_i32_e32 vcc, s6, v58
	s_or_b64 s[16:17], s[16:17], vcc
	s_and_b64 exec, exec, s[16:17]
	s_cbranch_execz .LBB27_10
; %bb.8:
	s_mov_b64 s[16:17], 0
	v_mov_b32_e32 v59, s6
.LBB27_9:                               ; =>This Inner Loop Header: Depth=1
	ds_cmpst_rtn_b32 v59, v1, v59, v58 offset:448
	s_waitcnt lgkmcnt(0)
	v_cmp_ne_u32_e32 vcc, 0, v59
	v_cmp_le_i32_e64 s[6:7], v59, v58
	s_and_b64 s[6:7], vcc, s[6:7]
	s_and_b64 s[6:7], exec, s[6:7]
	s_or_b64 s[16:17], s[6:7], s[16:17]
	s_andn2_b64 exec, exec, s[16:17]
	s_cbranch_execnz .LBB27_9
.LBB27_10:
	s_or_b64 exec, exec, s[12:13]
	v_mov_b32_e32 v58, 0
	s_waitcnt lgkmcnt(0)
	; wave barrier
	ds_read_b32 v1, v58 offset:448
	s_and_saveexec_b64 s[6:7], s[4:5]
	s_cbranch_execz .LBB27_12
; %bb.11:
	s_lshl_b64 s[12:13], s[8:9], 2
	s_add_u32 s12, s14, s12
	s_addc_u32 s13, s15, s13
	s_waitcnt lgkmcnt(0)
	global_store_dword v58, v1, s[12:13]
.LBB27_12:
	s_or_b64 exec, exec, s[6:7]
	s_waitcnt lgkmcnt(0)
	v_cmp_ne_u32_e32 vcc, 0, v1
	s_mov_b64 s[6:7], 0
	s_cbranch_vccnz .LBB27_124
; %bb.13:
	buffer_load_dword v64, v63, s[0:3], 0 offen offset:4
	buffer_load_dword v59, v63, s[0:3], 0 offen
	s_waitcnt vmcnt(1)
	v_cmp_gt_f32_e32 vcc, 0, v64
	v_cndmask_b32_e64 v1, v64, -v64, vcc
	s_waitcnt vmcnt(0)
	v_cmp_gt_f32_e32 vcc, 0, v59
	v_cndmask_b32_e64 v58, v59, -v59, vcc
	v_cmp_ngt_f32_e32 vcc, v58, v1
                                        ; implicit-def: $vgpr1
                                        ; implicit-def: $vgpr58
	s_and_saveexec_b64 s[6:7], vcc
	s_xor_b64 s[6:7], exec, s[6:7]
                                        ; implicit-def: $vgpr60_vgpr61
	s_cbranch_execz .LBB27_15
; %bb.14:
	v_div_scale_f32 v1, s[12:13], v64, v64, v59
	v_rcp_f32_e32 v58, v1
	v_div_scale_f32 v60, vcc, v59, v64, v59
	v_fma_f32 v61, -v1, v58, 1.0
	v_fmac_f32_e32 v58, v61, v58
	v_mul_f32_e32 v61, v60, v58
	v_fma_f32 v65, -v1, v61, v60
	v_fmac_f32_e32 v61, v65, v58
	v_fma_f32 v1, -v1, v61, v60
	v_div_fmas_f32 v1, v1, v58, v61
	v_div_fixup_f32 v58, v1, v64, v59
	v_fmac_f32_e32 v64, v59, v58
	v_div_scale_f32 v1, s[12:13], v64, v64, -1.0
	v_rcp_f32_e32 v59, v1
	v_fma_f32 v60, -v1, v59, 1.0
	v_fmac_f32_e32 v59, v60, v59
	v_div_scale_f32 v60, vcc, -1.0, v64, -1.0
	v_mul_f32_e32 v61, v60, v59
	v_fma_f32 v65, -v1, v61, v60
	v_fmac_f32_e32 v61, v65, v59
	v_fma_f32 v1, -v1, v61, v60
	v_div_fmas_f32 v1, v1, v59, v61
	v_div_fixup_f32 v1, v1, v64, -1.0
	v_mul_f32_e32 v58, v58, v1
	v_xor_b32_e32 v60, 0x80000000, v58
                                        ; implicit-def: $vgpr59
                                        ; implicit-def: $vgpr64
.LBB27_15:
	s_andn2_saveexec_b64 s[6:7], s[6:7]
	s_cbranch_execz .LBB27_17
; %bb.16:
	v_div_scale_f32 v1, s[12:13], v59, v59, v64
	v_rcp_f32_e32 v58, v1
	v_div_scale_f32 v60, vcc, v64, v59, v64
	v_fma_f32 v61, -v1, v58, 1.0
	v_fmac_f32_e32 v58, v61, v58
	v_mul_f32_e32 v61, v60, v58
	v_fma_f32 v65, -v1, v61, v60
	v_fmac_f32_e32 v61, v65, v58
	v_fma_f32 v1, -v1, v61, v60
	v_div_fmas_f32 v1, v1, v58, v61
	v_div_fixup_f32 v1, v1, v59, v64
	v_fmac_f32_e32 v59, v64, v1
	v_div_scale_f32 v58, s[12:13], v59, v59, 1.0
	v_rcp_f32_e32 v60, v58
	v_fma_f32 v61, -v58, v60, 1.0
	v_fmac_f32_e32 v60, v61, v60
	v_div_scale_f32 v61, vcc, 1.0, v59, 1.0
	v_mul_f32_e32 v64, v61, v60
	v_fma_f32 v65, -v58, v64, v61
	v_fmac_f32_e32 v64, v65, v60
	v_fma_f32 v58, -v58, v64, v61
	v_div_fmas_f32 v58, v58, v60, v64
	v_div_fixup_f32 v60, v58, v59, 1.0
	v_xor_b32_e32 v58, 0x80000000, v60
	v_mul_f32_e64 v1, v1, -v60
.LBB27_17:
	s_or_b64 exec, exec, s[6:7]
	buffer_store_dword v1, v63, s[0:3], 0 offen offset:4
	buffer_store_dword v60, v63, s[0:3], 0 offen
	buffer_load_dword v61, off, s[0:3], 0 offset:12
	s_nop 0
	buffer_load_dword v60, off, s[0:3], 0 offset:8
	v_xor_b32_e32 v59, 0x80000000, v1
	v_add_u32_e32 v1, 0xe0, v62
	s_waitcnt vmcnt(0)
	ds_write2_b64 v62, v[58:59], v[60:61] offset1:28
	s_waitcnt lgkmcnt(0)
	; wave barrier
	s_waitcnt lgkmcnt(0)
	s_and_saveexec_b64 s[6:7], s[4:5]
	s_cbranch_execz .LBB27_19
; %bb.18:
	buffer_load_dword v64, v63, s[0:3], 0 offen offset:4
	buffer_load_dword v65, v63, s[0:3], 0 offen
	ds_read_b64 v[58:59], v1
	v_mov_b32_e32 v60, 0
	ds_read_b64 v[60:61], v60 offset:8
	s_waitcnt vmcnt(1) lgkmcnt(1)
	v_mul_f32_e32 v66, v59, v64
	v_mul_f32_e32 v64, v58, v64
	s_waitcnt vmcnt(0)
	v_fmac_f32_e32 v64, v59, v65
	v_fma_f32 v58, v58, v65, -v66
	v_add_f32_e32 v59, 0, v64
	v_add_f32_e32 v58, 0, v58
	s_waitcnt lgkmcnt(0)
	v_mul_f32_e32 v64, v59, v61
	v_mul_f32_e32 v61, v58, v61
	v_fma_f32 v58, v58, v60, -v64
	v_fmac_f32_e32 v61, v59, v60
	buffer_store_dword v58, off, s[0:3], 0 offset:8
	buffer_store_dword v61, off, s[0:3], 0 offset:12
.LBB27_19:
	s_or_b64 exec, exec, s[6:7]
	s_waitcnt lgkmcnt(0)
	; wave barrier
	buffer_load_dword v58, off, s[0:3], 0 offset:16
	buffer_load_dword v59, off, s[0:3], 0 offset:20
	v_cmp_gt_u32_e32 vcc, 2, v0
	s_waitcnt vmcnt(0)
	ds_write_b64 v1, v[58:59]
	s_waitcnt lgkmcnt(0)
	; wave barrier
	s_waitcnt lgkmcnt(0)
	s_and_saveexec_b64 s[6:7], vcc
	s_cbranch_execz .LBB27_23
; %bb.20:
	buffer_load_dword v60, v63, s[0:3], 0 offen offset:4
	buffer_load_dword v61, v63, s[0:3], 0 offen
	ds_read_b64 v[58:59], v1
	s_waitcnt vmcnt(1) lgkmcnt(0)
	v_mul_f32_e32 v63, v59, v60
	v_mul_f32_e32 v60, v58, v60
	s_waitcnt vmcnt(0)
	v_fma_f32 v58, v58, v61, -v63
	v_fmac_f32_e32 v60, v59, v61
	v_add_f32_e32 v59, 0, v58
	v_add_f32_e32 v58, 0, v60
	s_and_saveexec_b64 s[12:13], s[4:5]
	s_cbranch_execz .LBB27_22
; %bb.21:
	buffer_load_dword v63, off, s[0:3], 0 offset:12
	buffer_load_dword v64, off, s[0:3], 0 offset:8
	v_mov_b32_e32 v60, 0
	ds_read_b64 v[60:61], v60 offset:232
	s_waitcnt vmcnt(1) lgkmcnt(0)
	v_mul_f32_e32 v65, v60, v63
	v_mul_f32_e32 v63, v61, v63
	s_waitcnt vmcnt(0)
	v_fmac_f32_e32 v65, v61, v64
	v_fma_f32 v60, v60, v64, -v63
	v_add_f32_e32 v58, v58, v65
	v_add_f32_e32 v59, v59, v60
.LBB27_22:
	s_or_b64 exec, exec, s[12:13]
	v_mov_b32_e32 v60, 0
	ds_read_b64 v[60:61], v60 offset:16
	s_waitcnt lgkmcnt(0)
	v_mul_f32_e32 v63, v58, v61
	v_mul_f32_e32 v61, v59, v61
	v_fma_f32 v59, v59, v60, -v63
	v_fmac_f32_e32 v61, v58, v60
	buffer_store_dword v59, off, s[0:3], 0 offset:16
	buffer_store_dword v61, off, s[0:3], 0 offset:20
.LBB27_23:
	s_or_b64 exec, exec, s[6:7]
	s_waitcnt lgkmcnt(0)
	; wave barrier
	buffer_load_dword v58, off, s[0:3], 0 offset:24
	buffer_load_dword v59, off, s[0:3], 0 offset:28
	v_cmp_gt_u32_e32 vcc, 3, v0
	s_waitcnt vmcnt(0)
	ds_write_b64 v1, v[58:59]
	v_add_u32_e32 v58, -1, v0
	s_waitcnt lgkmcnt(0)
	; wave barrier
	s_waitcnt lgkmcnt(0)
	s_and_saveexec_b64 s[4:5], vcc
	s_cbranch_execz .LBB27_27
; %bb.24:
	v_add_u32_e32 v60, -1, v0
	v_add_u32_e32 v61, 0xe0, v62
	v_add_u32_e32 v63, 0, v62
	s_mov_b64 s[6:7], 0
	v_mov_b32_e32 v59, 0
	v_mov_b32_e32 v64, 0
.LBB27_25:                              ; =>This Inner Loop Header: Depth=1
	buffer_load_dword v65, v63, s[0:3], 0 offen offset:4
	buffer_load_dword v68, v63, s[0:3], 0 offen
	ds_read_b64 v[66:67], v61
	v_add_u32_e32 v60, 1, v60
	v_cmp_lt_u32_e32 vcc, 1, v60
	v_add_u32_e32 v61, 8, v61
	v_add_u32_e32 v63, 8, v63
	s_or_b64 s[6:7], vcc, s[6:7]
	s_waitcnt vmcnt(1) lgkmcnt(0)
	v_mul_f32_e32 v69, v67, v65
	v_mul_f32_e32 v65, v66, v65
	s_waitcnt vmcnt(0)
	v_fma_f32 v66, v66, v68, -v69
	v_fmac_f32_e32 v65, v67, v68
	v_add_f32_e32 v64, v64, v66
	v_add_f32_e32 v59, v59, v65
	s_andn2_b64 exec, exec, s[6:7]
	s_cbranch_execnz .LBB27_25
; %bb.26:
	s_or_b64 exec, exec, s[6:7]
	v_mov_b32_e32 v60, 0
	ds_read_b64 v[60:61], v60 offset:24
	s_waitcnt lgkmcnt(0)
	v_mul_f32_e32 v63, v59, v61
	v_mul_f32_e32 v61, v64, v61
	v_fma_f32 v63, v64, v60, -v63
	v_fmac_f32_e32 v61, v59, v60
	buffer_store_dword v63, off, s[0:3], 0 offset:24
	buffer_store_dword v61, off, s[0:3], 0 offset:28
.LBB27_27:
	s_or_b64 exec, exec, s[4:5]
	s_waitcnt lgkmcnt(0)
	; wave barrier
	buffer_load_dword v60, off, s[0:3], 0 offset:32
	buffer_load_dword v61, off, s[0:3], 0 offset:36
	v_cmp_gt_u32_e32 vcc, 4, v0
	s_waitcnt vmcnt(0)
	ds_write_b64 v1, v[60:61]
	s_waitcnt lgkmcnt(0)
	; wave barrier
	s_waitcnt lgkmcnt(0)
	s_and_saveexec_b64 s[4:5], vcc
	s_cbranch_execz .LBB27_31
; %bb.28:
	v_add_u32_e32 v60, -1, v0
	v_add_u32_e32 v61, 0xe0, v62
	v_add_u32_e32 v63, 0, v62
	s_mov_b64 s[6:7], 0
	v_mov_b32_e32 v59, 0
	v_mov_b32_e32 v64, 0
.LBB27_29:                              ; =>This Inner Loop Header: Depth=1
	buffer_load_dword v65, v63, s[0:3], 0 offen offset:4
	buffer_load_dword v68, v63, s[0:3], 0 offen
	ds_read_b64 v[66:67], v61
	v_add_u32_e32 v60, 1, v60
	v_cmp_lt_u32_e32 vcc, 2, v60
	v_add_u32_e32 v61, 8, v61
	v_add_u32_e32 v63, 8, v63
	s_or_b64 s[6:7], vcc, s[6:7]
	s_waitcnt vmcnt(1) lgkmcnt(0)
	v_mul_f32_e32 v69, v67, v65
	v_mul_f32_e32 v65, v66, v65
	s_waitcnt vmcnt(0)
	v_fma_f32 v66, v66, v68, -v69
	v_fmac_f32_e32 v65, v67, v68
	v_add_f32_e32 v64, v64, v66
	v_add_f32_e32 v59, v59, v65
	s_andn2_b64 exec, exec, s[6:7]
	s_cbranch_execnz .LBB27_29
; %bb.30:
	s_or_b64 exec, exec, s[6:7]
	v_mov_b32_e32 v60, 0
	ds_read_b64 v[60:61], v60 offset:32
	s_waitcnt lgkmcnt(0)
	v_mul_f32_e32 v63, v59, v61
	v_mul_f32_e32 v61, v64, v61
	v_fma_f32 v63, v64, v60, -v63
	v_fmac_f32_e32 v61, v59, v60
	buffer_store_dword v63, off, s[0:3], 0 offset:32
	buffer_store_dword v61, off, s[0:3], 0 offset:36
.LBB27_31:
	s_or_b64 exec, exec, s[4:5]
	s_waitcnt lgkmcnt(0)
	; wave barrier
	buffer_load_dword v60, off, s[0:3], 0 offset:40
	buffer_load_dword v61, off, s[0:3], 0 offset:44
	v_cmp_gt_u32_e32 vcc, 5, v0
	s_waitcnt vmcnt(0)
	ds_write_b64 v1, v[60:61]
	;; [unrolled: 51-line block ×19, first 2 shown]
	s_waitcnt lgkmcnt(0)
	; wave barrier
	s_waitcnt lgkmcnt(0)
	s_and_saveexec_b64 s[4:5], vcc
	s_cbranch_execz .LBB27_103
; %bb.100:
	v_add_u32_e32 v60, -1, v0
	v_add_u32_e32 v61, 0xe0, v62
	v_add_u32_e32 v63, 0, v62
	s_mov_b64 s[6:7], 0
	v_mov_b32_e32 v59, 0
	v_mov_b32_e32 v64, 0
.LBB27_101:                             ; =>This Inner Loop Header: Depth=1
	buffer_load_dword v65, v63, s[0:3], 0 offen offset:4
	buffer_load_dword v68, v63, s[0:3], 0 offen
	ds_read_b64 v[66:67], v61
	v_add_u32_e32 v60, 1, v60
	v_cmp_lt_u32_e32 vcc, 20, v60
	v_add_u32_e32 v61, 8, v61
	v_add_u32_e32 v63, 8, v63
	s_or_b64 s[6:7], vcc, s[6:7]
	s_waitcnt vmcnt(1) lgkmcnt(0)
	v_mul_f32_e32 v69, v67, v65
	v_mul_f32_e32 v65, v66, v65
	s_waitcnt vmcnt(0)
	v_fma_f32 v66, v66, v68, -v69
	v_fmac_f32_e32 v65, v67, v68
	v_add_f32_e32 v64, v64, v66
	v_add_f32_e32 v59, v59, v65
	s_andn2_b64 exec, exec, s[6:7]
	s_cbranch_execnz .LBB27_101
; %bb.102:
	s_or_b64 exec, exec, s[6:7]
	v_mov_b32_e32 v60, 0
	ds_read_b64 v[60:61], v60 offset:176
	s_waitcnt lgkmcnt(0)
	v_mul_f32_e32 v63, v59, v61
	v_mul_f32_e32 v61, v64, v61
	v_fma_f32 v63, v64, v60, -v63
	v_fmac_f32_e32 v61, v59, v60
	buffer_store_dword v63, off, s[0:3], 0 offset:176
	buffer_store_dword v61, off, s[0:3], 0 offset:180
.LBB27_103:
	s_or_b64 exec, exec, s[4:5]
	s_waitcnt lgkmcnt(0)
	; wave barrier
	buffer_load_dword v60, off, s[0:3], 0 offset:184
	buffer_load_dword v61, off, s[0:3], 0 offset:188
	v_cmp_gt_u32_e32 vcc, 23, v0
	s_waitcnt vmcnt(0)
	ds_write_b64 v1, v[60:61]
	s_waitcnt lgkmcnt(0)
	; wave barrier
	s_waitcnt lgkmcnt(0)
	s_and_saveexec_b64 s[4:5], vcc
	s_cbranch_execz .LBB27_107
; %bb.104:
	v_add_u32_e32 v60, -1, v0
	v_add_u32_e32 v61, 0xe0, v62
	v_add_u32_e32 v63, 0, v62
	s_mov_b64 s[6:7], 0
	v_mov_b32_e32 v59, 0
	v_mov_b32_e32 v64, 0
.LBB27_105:                             ; =>This Inner Loop Header: Depth=1
	buffer_load_dword v65, v63, s[0:3], 0 offen offset:4
	buffer_load_dword v68, v63, s[0:3], 0 offen
	ds_read_b64 v[66:67], v61
	v_add_u32_e32 v60, 1, v60
	v_cmp_lt_u32_e32 vcc, 21, v60
	v_add_u32_e32 v61, 8, v61
	v_add_u32_e32 v63, 8, v63
	s_or_b64 s[6:7], vcc, s[6:7]
	s_waitcnt vmcnt(1) lgkmcnt(0)
	v_mul_f32_e32 v69, v67, v65
	v_mul_f32_e32 v65, v66, v65
	s_waitcnt vmcnt(0)
	v_fma_f32 v66, v66, v68, -v69
	v_fmac_f32_e32 v65, v67, v68
	v_add_f32_e32 v64, v64, v66
	v_add_f32_e32 v59, v59, v65
	s_andn2_b64 exec, exec, s[6:7]
	s_cbranch_execnz .LBB27_105
; %bb.106:
	s_or_b64 exec, exec, s[6:7]
	v_mov_b32_e32 v60, 0
	ds_read_b64 v[60:61], v60 offset:184
	s_waitcnt lgkmcnt(0)
	v_mul_f32_e32 v63, v59, v61
	v_mul_f32_e32 v61, v64, v61
	v_fma_f32 v63, v64, v60, -v63
	v_fmac_f32_e32 v61, v59, v60
	buffer_store_dword v63, off, s[0:3], 0 offset:184
	buffer_store_dword v61, off, s[0:3], 0 offset:188
.LBB27_107:
	s_or_b64 exec, exec, s[4:5]
	s_waitcnt lgkmcnt(0)
	; wave barrier
	buffer_load_dword v60, off, s[0:3], 0 offset:192
	buffer_load_dword v61, off, s[0:3], 0 offset:196
	v_cmp_gt_u32_e32 vcc, 24, v0
	s_waitcnt vmcnt(0)
	ds_write_b64 v1, v[60:61]
	;; [unrolled: 51-line block ×4, first 2 shown]
	s_waitcnt lgkmcnt(0)
	; wave barrier
	s_waitcnt lgkmcnt(0)
	s_and_saveexec_b64 s[4:5], vcc
	s_cbranch_execz .LBB27_119
; %bb.116:
	v_add_u32_e32 v60, -1, v0
	v_add_u32_e32 v61, 0xe0, v62
	v_add_u32_e32 v63, 0, v62
	s_mov_b64 s[6:7], 0
	v_mov_b32_e32 v59, 0
	v_mov_b32_e32 v64, 0
.LBB27_117:                             ; =>This Inner Loop Header: Depth=1
	buffer_load_dword v65, v63, s[0:3], 0 offen offset:4
	buffer_load_dword v68, v63, s[0:3], 0 offen
	ds_read_b64 v[66:67], v61
	v_add_u32_e32 v60, 1, v60
	v_cmp_lt_u32_e32 vcc, 24, v60
	v_add_u32_e32 v61, 8, v61
	v_add_u32_e32 v63, 8, v63
	s_or_b64 s[6:7], vcc, s[6:7]
	s_waitcnt vmcnt(1) lgkmcnt(0)
	v_mul_f32_e32 v69, v67, v65
	v_mul_f32_e32 v65, v66, v65
	s_waitcnt vmcnt(0)
	v_fma_f32 v66, v66, v68, -v69
	v_fmac_f32_e32 v65, v67, v68
	v_add_f32_e32 v64, v64, v66
	v_add_f32_e32 v59, v59, v65
	s_andn2_b64 exec, exec, s[6:7]
	s_cbranch_execnz .LBB27_117
; %bb.118:
	s_or_b64 exec, exec, s[6:7]
	v_mov_b32_e32 v60, 0
	ds_read_b64 v[60:61], v60 offset:208
	s_waitcnt lgkmcnt(0)
	v_mul_f32_e32 v63, v59, v61
	v_mul_f32_e32 v61, v64, v61
	v_fma_f32 v63, v64, v60, -v63
	v_fmac_f32_e32 v61, v59, v60
	buffer_store_dword v63, off, s[0:3], 0 offset:208
	buffer_store_dword v61, off, s[0:3], 0 offset:212
.LBB27_119:
	s_or_b64 exec, exec, s[4:5]
	s_waitcnt lgkmcnt(0)
	; wave barrier
	buffer_load_dword v60, off, s[0:3], 0 offset:216
	buffer_load_dword v61, off, s[0:3], 0 offset:220
	v_cmp_ne_u32_e32 vcc, 27, v0
	s_waitcnt vmcnt(0)
	ds_write_b64 v1, v[60:61]
	s_waitcnt lgkmcnt(0)
	; wave barrier
	s_waitcnt lgkmcnt(0)
	s_and_saveexec_b64 s[4:5], vcc
	s_cbranch_execz .LBB27_123
; %bb.120:
	v_add_u32_e32 v59, 0xe0, v62
	v_add_u32_e32 v60, 0, v62
	s_mov_b64 s[6:7], 0
	v_mov_b32_e32 v1, 0
	v_mov_b32_e32 v61, 0
.LBB27_121:                             ; =>This Inner Loop Header: Depth=1
	buffer_load_dword v64, v60, s[0:3], 0 offen offset:4
	buffer_load_dword v65, v60, s[0:3], 0 offen
	ds_read_b64 v[62:63], v59
	v_add_u32_e32 v58, 1, v58
	v_cmp_lt_u32_e32 vcc, 25, v58
	v_add_u32_e32 v59, 8, v59
	v_add_u32_e32 v60, 8, v60
	s_or_b64 s[6:7], vcc, s[6:7]
	s_waitcnt vmcnt(1) lgkmcnt(0)
	v_mul_f32_e32 v66, v63, v64
	v_mul_f32_e32 v64, v62, v64
	s_waitcnt vmcnt(0)
	v_fma_f32 v62, v62, v65, -v66
	v_fmac_f32_e32 v64, v63, v65
	v_add_f32_e32 v61, v61, v62
	v_add_f32_e32 v1, v1, v64
	s_andn2_b64 exec, exec, s[6:7]
	s_cbranch_execnz .LBB27_121
; %bb.122:
	s_or_b64 exec, exec, s[6:7]
	v_mov_b32_e32 v58, 0
	ds_read_b64 v[58:59], v58 offset:216
	s_waitcnt lgkmcnt(0)
	v_mul_f32_e32 v60, v1, v59
	v_mul_f32_e32 v59, v61, v59
	v_fma_f32 v60, v61, v58, -v60
	v_fmac_f32_e32 v59, v1, v58
	buffer_store_dword v60, off, s[0:3], 0 offset:216
	buffer_store_dword v59, off, s[0:3], 0 offset:220
.LBB27_123:
	s_or_b64 exec, exec, s[4:5]
	s_mov_b64 s[6:7], -1
	s_waitcnt lgkmcnt(0)
	; wave barrier
.LBB27_124:
	s_and_b64 vcc, exec, s[6:7]
	s_cbranch_vccz .LBB27_126
; %bb.125:
	s_lshl_b64 s[4:5], s[8:9], 2
	s_add_u32 s4, s14, s4
	s_addc_u32 s5, s15, s5
	v_mov_b32_e32 v1, 0
	global_load_dword v1, v1, s[4:5]
	s_waitcnt vmcnt(0)
	v_cmp_ne_u32_e32 vcc, 0, v1
	s_cbranch_vccz .LBB27_127
.LBB27_126:
	s_endpgm
.LBB27_127:
	v_mov_b32_e32 v1, 0xe0
	v_lshl_add_u32 v1, v0, 3, v1
	v_cmp_eq_u32_e32 vcc, 27, v0
	s_and_saveexec_b64 s[4:5], vcc
	s_cbranch_execz .LBB27_129
; %bb.128:
	buffer_load_dword v58, off, s[0:3], 0 offset:208
	buffer_load_dword v59, off, s[0:3], 0 offset:212
	v_mov_b32_e32 v60, 0
	buffer_store_dword v60, off, s[0:3], 0 offset:208
	buffer_store_dword v60, off, s[0:3], 0 offset:212
	s_waitcnt vmcnt(2)
	ds_write_b64 v1, v[58:59]
.LBB27_129:
	s_or_b64 exec, exec, s[4:5]
	s_waitcnt lgkmcnt(0)
	; wave barrier
	s_waitcnt lgkmcnt(0)
	buffer_load_dword v61, off, s[0:3], 0 offset:220
	buffer_load_dword v60, off, s[0:3], 0 offset:216
	;; [unrolled: 1-line block ×4, first 2 shown]
	v_mov_b32_e32 v58, 0
	ds_read_b64 v[64:65], v58 offset:440
	v_cmp_lt_u32_e32 vcc, 25, v0
	s_waitcnt vmcnt(3)
	v_mov_b32_e32 v66, v61
	s_waitcnt lgkmcnt(0)
	v_pk_mul_f32 v[66:67], v[64:65], v[66:67] op_sel_hi:[1,0]
	s_waitcnt vmcnt(2)
	v_pk_fma_f32 v[68:69], v[64:65], v[60:61], v[66:67] op_sel:[0,0,1] op_sel_hi:[1,1,0] neg_lo:[0,0,1] neg_hi:[0,0,1]
	v_pk_fma_f32 v[60:61], v[64:65], v[60:61], v[66:67] op_sel:[0,0,1] op_sel_hi:[1,0,0]
	v_mov_b32_e32 v69, v61
	v_pk_add_f32 v[60:61], v[68:69], 0 op_sel_hi:[1,0]
	s_waitcnt vmcnt(0)
	v_pk_add_f32 v[60:61], v[62:63], v[60:61] neg_lo:[0,1] neg_hi:[0,1]
	buffer_store_dword v60, off, s[0:3], 0 offset:208
	buffer_store_dword v61, off, s[0:3], 0 offset:212
	s_and_saveexec_b64 s[4:5], vcc
	s_cbranch_execz .LBB27_131
; %bb.130:
	buffer_load_dword v60, off, s[0:3], 0 offset:200
	buffer_load_dword v61, off, s[0:3], 0 offset:204
	s_waitcnt vmcnt(0)
	ds_write_b64 v1, v[60:61]
	buffer_store_dword v58, off, s[0:3], 0 offset:200
	buffer_store_dword v58, off, s[0:3], 0 offset:204
.LBB27_131:
	s_or_b64 exec, exec, s[4:5]
	s_waitcnt lgkmcnt(0)
	; wave barrier
	s_waitcnt lgkmcnt(0)
	buffer_load_dword v63, off, s[0:3], 0 offset:212
	buffer_load_dword v65, off, s[0:3], 0 offset:220
	;; [unrolled: 1-line block ×6, first 2 shown]
	ds_read_b128 v[58:61], v58 offset:432
	v_cmp_lt_u32_e32 vcc, 24, v0
	s_waitcnt vmcnt(5)
	v_mov_b32_e32 v68, v63
	s_waitcnt vmcnt(4)
	v_mov_b32_e32 v70, v65
	s_waitcnt lgkmcnt(0)
	v_pk_mul_f32 v[68:69], v[58:59], v[68:69] op_sel_hi:[1,0]
	v_pk_mul_f32 v[70:71], v[60:61], v[70:71] op_sel_hi:[1,0]
	s_waitcnt vmcnt(3)
	v_pk_fma_f32 v[72:73], v[58:59], v[62:63], v[68:69] op_sel:[0,0,1] op_sel_hi:[1,1,0] neg_lo:[0,0,1] neg_hi:[0,0,1]
	v_pk_fma_f32 v[58:59], v[58:59], v[62:63], v[68:69] op_sel:[0,0,1] op_sel_hi:[1,0,0]
	s_waitcnt vmcnt(2)
	v_pk_fma_f32 v[62:63], v[60:61], v[64:65], v[70:71] op_sel:[0,0,1] op_sel_hi:[1,1,0] neg_lo:[0,0,1] neg_hi:[0,0,1]
	v_pk_fma_f32 v[60:61], v[60:61], v[64:65], v[70:71] op_sel:[0,0,1] op_sel_hi:[1,0,0]
	v_mov_b32_e32 v73, v59
	v_mov_b32_e32 v63, v61
	v_pk_add_f32 v[58:59], v[72:73], 0 op_sel_hi:[1,0]
	v_pk_add_f32 v[58:59], v[58:59], v[62:63]
	s_waitcnt vmcnt(0)
	v_pk_add_f32 v[58:59], v[66:67], v[58:59] neg_lo:[0,1] neg_hi:[0,1]
	buffer_store_dword v58, off, s[0:3], 0 offset:200
	buffer_store_dword v59, off, s[0:3], 0 offset:204
	s_and_saveexec_b64 s[4:5], vcc
	s_cbranch_execz .LBB27_133
; %bb.132:
	buffer_load_dword v58, off, s[0:3], 0 offset:192
	buffer_load_dword v59, off, s[0:3], 0 offset:196
	v_mov_b32_e32 v60, 0
	buffer_store_dword v60, off, s[0:3], 0 offset:192
	buffer_store_dword v60, off, s[0:3], 0 offset:196
	s_waitcnt vmcnt(2)
	ds_write_b64 v1, v[58:59]
.LBB27_133:
	s_or_b64 exec, exec, s[4:5]
	s_waitcnt lgkmcnt(0)
	; wave barrier
	s_waitcnt lgkmcnt(0)
	buffer_load_dword v65, off, s[0:3], 0 offset:204
	buffer_load_dword v67, off, s[0:3], 0 offset:212
	;; [unrolled: 1-line block ×8, first 2 shown]
	v_mov_b32_e32 v58, 0
	ds_read2_b64 v[60:63], v58 offset0:53 offset1:54
	ds_read_b64 v[72:73], v58 offset:440
	v_cmp_lt_u32_e32 vcc, 23, v0
	s_waitcnt vmcnt(7)
	v_mov_b32_e32 v74, v65
	s_waitcnt vmcnt(6)
	v_mov_b32_e32 v76, v67
	s_waitcnt lgkmcnt(1)
	v_pk_mul_f32 v[74:75], v[60:61], v[74:75] op_sel_hi:[1,0]
	s_waitcnt vmcnt(5)
	v_mov_b32_e32 v78, v69
	v_pk_mul_f32 v[76:77], v[62:63], v[76:77] op_sel_hi:[1,0]
	s_waitcnt vmcnt(4)
	v_pk_fma_f32 v[80:81], v[60:61], v[64:65], v[74:75] op_sel:[0,0,1] op_sel_hi:[1,1,0] neg_lo:[0,0,1] neg_hi:[0,0,1]
	v_pk_fma_f32 v[60:61], v[60:61], v[64:65], v[74:75] op_sel:[0,0,1] op_sel_hi:[1,0,0]
	s_waitcnt lgkmcnt(0)
	v_pk_mul_f32 v[78:79], v[72:73], v[78:79] op_sel_hi:[1,0]
	s_waitcnt vmcnt(3)
	v_pk_fma_f32 v[64:65], v[62:63], v[66:67], v[76:77] op_sel:[0,0,1] op_sel_hi:[1,1,0] neg_lo:[0,0,1] neg_hi:[0,0,1]
	v_pk_fma_f32 v[62:63], v[62:63], v[66:67], v[76:77] op_sel:[0,0,1] op_sel_hi:[1,0,0]
	v_mov_b32_e32 v81, v61
	s_waitcnt vmcnt(2)
	v_pk_fma_f32 v[66:67], v[72:73], v[68:69], v[78:79] op_sel:[0,0,1] op_sel_hi:[1,1,0] neg_lo:[0,0,1] neg_hi:[0,0,1]
	v_pk_fma_f32 v[68:69], v[72:73], v[68:69], v[78:79] op_sel:[0,0,1] op_sel_hi:[1,0,0]
	v_mov_b32_e32 v65, v63
	v_pk_add_f32 v[60:61], v[80:81], 0 op_sel_hi:[1,0]
	v_mov_b32_e32 v67, v69
	v_pk_add_f32 v[60:61], v[60:61], v[64:65]
	v_pk_add_f32 v[60:61], v[60:61], v[66:67]
	s_waitcnt vmcnt(0)
	v_pk_add_f32 v[60:61], v[70:71], v[60:61] neg_lo:[0,1] neg_hi:[0,1]
	buffer_store_dword v60, off, s[0:3], 0 offset:192
	buffer_store_dword v61, off, s[0:3], 0 offset:196
	s_and_saveexec_b64 s[4:5], vcc
	s_cbranch_execz .LBB27_135
; %bb.134:
	buffer_load_dword v60, off, s[0:3], 0 offset:184
	buffer_load_dword v61, off, s[0:3], 0 offset:188
	s_waitcnt vmcnt(0)
	ds_write_b64 v1, v[60:61]
	buffer_store_dword v58, off, s[0:3], 0 offset:184
	buffer_store_dword v58, off, s[0:3], 0 offset:188
.LBB27_135:
	s_or_b64 exec, exec, s[4:5]
	s_waitcnt lgkmcnt(0)
	; wave barrier
	s_waitcnt lgkmcnt(0)
	buffer_load_dword v69, off, s[0:3], 0 offset:196
	buffer_load_dword v71, off, s[0:3], 0 offset:204
	;; [unrolled: 1-line block ×10, first 2 shown]
	ds_read_b128 v[60:63], v58 offset:416
	ds_read_b128 v[64:67], v58 offset:432
	v_cmp_lt_u32_e32 vcc, 22, v0
	s_waitcnt vmcnt(9)
	v_mov_b32_e32 v58, v69
	s_waitcnt vmcnt(8)
	v_mov_b32_e32 v78, v71
	s_waitcnt lgkmcnt(1)
	v_pk_mul_f32 v[58:59], v[60:61], v[58:59] op_sel_hi:[1,0]
	s_waitcnt vmcnt(7)
	v_mov_b32_e32 v80, v73
	v_pk_mul_f32 v[78:79], v[62:63], v[78:79] op_sel_hi:[1,0]
	s_waitcnt vmcnt(5)
	v_pk_fma_f32 v[84:85], v[60:61], v[68:69], v[58:59] op_sel:[0,0,1] op_sel_hi:[1,1,0] neg_lo:[0,0,1] neg_hi:[0,0,1]
	v_pk_fma_f32 v[58:59], v[60:61], v[68:69], v[58:59] op_sel:[0,0,1] op_sel_hi:[1,0,0]
	v_mov_b32_e32 v82, v75
	s_waitcnt lgkmcnt(0)
	v_pk_mul_f32 v[80:81], v[64:65], v[80:81] op_sel_hi:[1,0]
	s_waitcnt vmcnt(4)
	v_pk_fma_f32 v[60:61], v[62:63], v[70:71], v[78:79] op_sel:[0,0,1] op_sel_hi:[1,1,0] neg_lo:[0,0,1] neg_hi:[0,0,1]
	v_pk_fma_f32 v[62:63], v[62:63], v[70:71], v[78:79] op_sel:[0,0,1] op_sel_hi:[1,0,0]
	v_mov_b32_e32 v85, v59
	v_pk_mul_f32 v[82:83], v[66:67], v[82:83] op_sel_hi:[1,0]
	s_waitcnt vmcnt(3)
	v_pk_fma_f32 v[68:69], v[64:65], v[72:73], v[80:81] op_sel:[0,0,1] op_sel_hi:[1,1,0] neg_lo:[0,0,1] neg_hi:[0,0,1]
	v_pk_fma_f32 v[64:65], v[64:65], v[72:73], v[80:81] op_sel:[0,0,1] op_sel_hi:[1,0,0]
	v_mov_b32_e32 v61, v63
	v_pk_add_f32 v[58:59], v[84:85], 0 op_sel_hi:[1,0]
	s_waitcnt vmcnt(2)
	v_pk_fma_f32 v[70:71], v[66:67], v[74:75], v[82:83] op_sel:[0,0,1] op_sel_hi:[1,1,0] neg_lo:[0,0,1] neg_hi:[0,0,1]
	v_pk_fma_f32 v[66:67], v[66:67], v[74:75], v[82:83] op_sel:[0,0,1] op_sel_hi:[1,0,0]
	v_mov_b32_e32 v69, v65
	v_pk_add_f32 v[58:59], v[58:59], v[60:61]
	v_mov_b32_e32 v71, v67
	v_pk_add_f32 v[58:59], v[58:59], v[68:69]
	v_pk_add_f32 v[58:59], v[58:59], v[70:71]
	s_waitcnt vmcnt(0)
	v_pk_add_f32 v[58:59], v[76:77], v[58:59] neg_lo:[0,1] neg_hi:[0,1]
	buffer_store_dword v58, off, s[0:3], 0 offset:184
	buffer_store_dword v59, off, s[0:3], 0 offset:188
	s_and_saveexec_b64 s[4:5], vcc
	s_cbranch_execz .LBB27_137
; %bb.136:
	buffer_load_dword v58, off, s[0:3], 0 offset:176
	buffer_load_dword v59, off, s[0:3], 0 offset:180
	v_mov_b32_e32 v60, 0
	buffer_store_dword v60, off, s[0:3], 0 offset:176
	buffer_store_dword v60, off, s[0:3], 0 offset:180
	s_waitcnt vmcnt(2)
	ds_write_b64 v1, v[58:59]
.LBB27_137:
	s_or_b64 exec, exec, s[4:5]
	s_waitcnt lgkmcnt(0)
	; wave barrier
	s_waitcnt lgkmcnt(0)
	buffer_load_dword v69, off, s[0:3], 0 offset:188
	buffer_load_dword v71, off, s[0:3], 0 offset:196
	;; [unrolled: 1-line block ×12, first 2 shown]
	v_mov_b32_e32 v58, 0
	ds_read2_b64 v[60:63], v58 offset0:51 offset1:52
	ds_read2_b64 v[64:67], v58 offset0:53 offset1:54
	ds_read_b64 v[80:81], v58 offset:440
	v_cmp_lt_u32_e32 vcc, 21, v0
	s_waitcnt vmcnt(11)
	v_mov_b32_e32 v82, v69
	s_waitcnt vmcnt(10)
	v_mov_b32_e32 v84, v71
	s_waitcnt lgkmcnt(2)
	v_pk_mul_f32 v[82:83], v[60:61], v[82:83] op_sel_hi:[1,0]
	s_waitcnt vmcnt(9)
	v_mov_b32_e32 v86, v73
	v_pk_mul_f32 v[84:85], v[62:63], v[84:85] op_sel_hi:[1,0]
	s_waitcnt vmcnt(6)
	v_pk_fma_f32 v[92:93], v[60:61], v[68:69], v[82:83] op_sel:[0,0,1] op_sel_hi:[1,1,0] neg_lo:[0,0,1] neg_hi:[0,0,1]
	v_pk_fma_f32 v[60:61], v[60:61], v[68:69], v[82:83] op_sel:[0,0,1] op_sel_hi:[1,0,0]
	v_mov_b32_e32 v88, v75
	s_waitcnt lgkmcnt(1)
	v_pk_mul_f32 v[86:87], v[64:65], v[86:87] op_sel_hi:[1,0]
	s_waitcnt vmcnt(5)
	v_pk_fma_f32 v[68:69], v[62:63], v[70:71], v[84:85] op_sel:[0,0,1] op_sel_hi:[1,1,0] neg_lo:[0,0,1] neg_hi:[0,0,1]
	v_pk_fma_f32 v[62:63], v[62:63], v[70:71], v[84:85] op_sel:[0,0,1] op_sel_hi:[1,0,0]
	v_mov_b32_e32 v93, v61
	v_mov_b32_e32 v90, v77
	v_pk_mul_f32 v[88:89], v[66:67], v[88:89] op_sel_hi:[1,0]
	s_waitcnt vmcnt(4)
	v_pk_fma_f32 v[70:71], v[64:65], v[72:73], v[86:87] op_sel:[0,0,1] op_sel_hi:[1,1,0] neg_lo:[0,0,1] neg_hi:[0,0,1]
	v_pk_fma_f32 v[64:65], v[64:65], v[72:73], v[86:87] op_sel:[0,0,1] op_sel_hi:[1,0,0]
	v_mov_b32_e32 v69, v63
	v_pk_add_f32 v[60:61], v[92:93], 0 op_sel_hi:[1,0]
	s_waitcnt lgkmcnt(0)
	v_pk_mul_f32 v[90:91], v[80:81], v[90:91] op_sel_hi:[1,0]
	s_waitcnt vmcnt(3)
	v_pk_fma_f32 v[72:73], v[66:67], v[74:75], v[88:89] op_sel:[0,0,1] op_sel_hi:[1,1,0] neg_lo:[0,0,1] neg_hi:[0,0,1]
	v_pk_fma_f32 v[66:67], v[66:67], v[74:75], v[88:89] op_sel:[0,0,1] op_sel_hi:[1,0,0]
	v_mov_b32_e32 v71, v65
	v_pk_add_f32 v[60:61], v[60:61], v[68:69]
	s_waitcnt vmcnt(2)
	v_pk_fma_f32 v[74:75], v[80:81], v[76:77], v[90:91] op_sel:[0,0,1] op_sel_hi:[1,1,0] neg_lo:[0,0,1] neg_hi:[0,0,1]
	v_pk_fma_f32 v[76:77], v[80:81], v[76:77], v[90:91] op_sel:[0,0,1] op_sel_hi:[1,0,0]
	v_mov_b32_e32 v73, v67
	v_pk_add_f32 v[60:61], v[60:61], v[70:71]
	v_mov_b32_e32 v75, v77
	v_pk_add_f32 v[60:61], v[60:61], v[72:73]
	v_pk_add_f32 v[60:61], v[60:61], v[74:75]
	s_waitcnt vmcnt(0)
	v_pk_add_f32 v[60:61], v[78:79], v[60:61] neg_lo:[0,1] neg_hi:[0,1]
	buffer_store_dword v60, off, s[0:3], 0 offset:176
	buffer_store_dword v61, off, s[0:3], 0 offset:180
	s_and_saveexec_b64 s[4:5], vcc
	s_cbranch_execz .LBB27_139
; %bb.138:
	buffer_load_dword v60, off, s[0:3], 0 offset:168
	buffer_load_dword v61, off, s[0:3], 0 offset:172
	s_waitcnt vmcnt(0)
	ds_write_b64 v1, v[60:61]
	buffer_store_dword v58, off, s[0:3], 0 offset:168
	buffer_store_dword v58, off, s[0:3], 0 offset:172
.LBB27_139:
	s_or_b64 exec, exec, s[4:5]
	s_waitcnt lgkmcnt(0)
	; wave barrier
	s_waitcnt lgkmcnt(0)
	buffer_load_dword v73, off, s[0:3], 0 offset:180
	buffer_load_dword v75, off, s[0:3], 0 offset:188
	;; [unrolled: 1-line block ×14, first 2 shown]
	ds_read_b128 v[60:63], v58 offset:400
	ds_read_b128 v[64:67], v58 offset:416
	;; [unrolled: 1-line block ×3, first 2 shown]
	v_cmp_lt_u32_e32 vcc, 20, v0
	s_waitcnt vmcnt(13)
	v_mov_b32_e32 v58, v73
	s_waitcnt vmcnt(12)
	v_mov_b32_e32 v86, v75
	s_waitcnt lgkmcnt(2)
	v_pk_mul_f32 v[58:59], v[60:61], v[58:59] op_sel_hi:[1,0]
	s_waitcnt vmcnt(11)
	v_mov_b32_e32 v88, v77
	v_pk_mul_f32 v[86:87], v[62:63], v[86:87] op_sel_hi:[1,0]
	s_waitcnt vmcnt(10)
	v_mov_b32_e32 v90, v79
	s_waitcnt vmcnt(7)
	v_pk_fma_f32 v[96:97], v[60:61], v[72:73], v[58:59] op_sel:[0,0,1] op_sel_hi:[1,1,0] neg_lo:[0,0,1] neg_hi:[0,0,1]
	v_pk_fma_f32 v[58:59], v[60:61], v[72:73], v[58:59] op_sel:[0,0,1] op_sel_hi:[1,0,0]
	s_waitcnt lgkmcnt(1)
	v_pk_mul_f32 v[88:89], v[64:65], v[88:89] op_sel_hi:[1,0]
	s_waitcnt vmcnt(6)
	v_pk_fma_f32 v[60:61], v[62:63], v[74:75], v[86:87] op_sel:[0,0,1] op_sel_hi:[1,1,0] neg_lo:[0,0,1] neg_hi:[0,0,1]
	v_pk_fma_f32 v[62:63], v[62:63], v[74:75], v[86:87] op_sel:[0,0,1] op_sel_hi:[1,0,0]
	v_mov_b32_e32 v97, v59
	v_mov_b32_e32 v92, v81
	v_pk_mul_f32 v[90:91], v[66:67], v[90:91] op_sel_hi:[1,0]
	s_waitcnt vmcnt(5)
	v_pk_fma_f32 v[72:73], v[64:65], v[76:77], v[88:89] op_sel:[0,0,1] op_sel_hi:[1,1,0] neg_lo:[0,0,1] neg_hi:[0,0,1]
	v_pk_fma_f32 v[64:65], v[64:65], v[76:77], v[88:89] op_sel:[0,0,1] op_sel_hi:[1,0,0]
	v_mov_b32_e32 v61, v63
	v_pk_add_f32 v[58:59], v[96:97], 0 op_sel_hi:[1,0]
	v_mov_b32_e32 v94, v83
	s_waitcnt lgkmcnt(0)
	v_pk_mul_f32 v[92:93], v[68:69], v[92:93] op_sel_hi:[1,0]
	s_waitcnt vmcnt(4)
	v_pk_fma_f32 v[74:75], v[66:67], v[78:79], v[90:91] op_sel:[0,0,1] op_sel_hi:[1,1,0] neg_lo:[0,0,1] neg_hi:[0,0,1]
	v_pk_fma_f32 v[66:67], v[66:67], v[78:79], v[90:91] op_sel:[0,0,1] op_sel_hi:[1,0,0]
	v_mov_b32_e32 v73, v65
	v_pk_add_f32 v[58:59], v[58:59], v[60:61]
	v_pk_mul_f32 v[94:95], v[70:71], v[94:95] op_sel_hi:[1,0]
	s_waitcnt vmcnt(3)
	v_pk_fma_f32 v[76:77], v[68:69], v[80:81], v[92:93] op_sel:[0,0,1] op_sel_hi:[1,1,0] neg_lo:[0,0,1] neg_hi:[0,0,1]
	v_pk_fma_f32 v[68:69], v[68:69], v[80:81], v[92:93] op_sel:[0,0,1] op_sel_hi:[1,0,0]
	v_mov_b32_e32 v75, v67
	v_pk_add_f32 v[58:59], v[58:59], v[72:73]
	s_waitcnt vmcnt(2)
	v_pk_fma_f32 v[78:79], v[70:71], v[82:83], v[94:95] op_sel:[0,0,1] op_sel_hi:[1,1,0] neg_lo:[0,0,1] neg_hi:[0,0,1]
	v_pk_fma_f32 v[70:71], v[70:71], v[82:83], v[94:95] op_sel:[0,0,1] op_sel_hi:[1,0,0]
	v_mov_b32_e32 v77, v69
	v_pk_add_f32 v[58:59], v[58:59], v[74:75]
	v_mov_b32_e32 v79, v71
	v_pk_add_f32 v[58:59], v[58:59], v[76:77]
	v_pk_add_f32 v[58:59], v[58:59], v[78:79]
	s_waitcnt vmcnt(0)
	v_pk_add_f32 v[58:59], v[84:85], v[58:59] neg_lo:[0,1] neg_hi:[0,1]
	buffer_store_dword v58, off, s[0:3], 0 offset:168
	buffer_store_dword v59, off, s[0:3], 0 offset:172
	s_and_saveexec_b64 s[4:5], vcc
	s_cbranch_execz .LBB27_141
; %bb.140:
	buffer_load_dword v58, off, s[0:3], 0 offset:160
	buffer_load_dword v59, off, s[0:3], 0 offset:164
	v_mov_b32_e32 v60, 0
	buffer_store_dword v60, off, s[0:3], 0 offset:160
	buffer_store_dword v60, off, s[0:3], 0 offset:164
	s_waitcnt vmcnt(2)
	ds_write_b64 v1, v[58:59]
.LBB27_141:
	s_or_b64 exec, exec, s[4:5]
	s_waitcnt lgkmcnt(0)
	; wave barrier
	s_waitcnt lgkmcnt(0)
	buffer_load_dword v73, off, s[0:3], 0 offset:172
	buffer_load_dword v75, off, s[0:3], 0 offset:180
	;; [unrolled: 1-line block ×16, first 2 shown]
	v_mov_b32_e32 v58, 0
	ds_read2_b64 v[60:63], v58 offset0:49 offset1:50
	ds_read2_b64 v[64:67], v58 offset0:51 offset1:52
	;; [unrolled: 1-line block ×3, first 2 shown]
	ds_read_b64 v[88:89], v58 offset:440
	v_cmp_lt_u32_e32 vcc, 19, v0
	s_waitcnt vmcnt(15)
	v_mov_b32_e32 v90, v73
	s_waitcnt vmcnt(14)
	v_mov_b32_e32 v92, v75
	s_waitcnt lgkmcnt(3)
	v_pk_mul_f32 v[90:91], v[60:61], v[90:91] op_sel_hi:[1,0]
	s_waitcnt vmcnt(13)
	v_mov_b32_e32 v94, v77
	v_pk_mul_f32 v[92:93], v[62:63], v[92:93] op_sel_hi:[1,0]
	s_waitcnt vmcnt(12)
	v_mov_b32_e32 v96, v79
	s_waitcnt lgkmcnt(2)
	v_pk_mul_f32 v[94:95], v[64:65], v[94:95] op_sel_hi:[1,0]
	s_waitcnt vmcnt(8)
	v_pk_fma_f32 v[104:105], v[60:61], v[72:73], v[90:91] op_sel:[0,0,1] op_sel_hi:[1,1,0] neg_lo:[0,0,1] neg_hi:[0,0,1]
	v_pk_fma_f32 v[60:61], v[60:61], v[72:73], v[90:91] op_sel:[0,0,1] op_sel_hi:[1,0,0]
	s_waitcnt vmcnt(7)
	v_pk_fma_f32 v[72:73], v[62:63], v[74:75], v[92:93] op_sel:[0,0,1] op_sel_hi:[1,1,0] neg_lo:[0,0,1] neg_hi:[0,0,1]
	v_pk_fma_f32 v[62:63], v[62:63], v[74:75], v[92:93] op_sel:[0,0,1] op_sel_hi:[1,0,0]
	v_mov_b32_e32 v105, v61
	v_mov_b32_e32 v98, v81
	v_pk_mul_f32 v[96:97], v[66:67], v[96:97] op_sel_hi:[1,0]
	s_waitcnt vmcnt(6)
	v_pk_fma_f32 v[74:75], v[64:65], v[76:77], v[94:95] op_sel:[0,0,1] op_sel_hi:[1,1,0] neg_lo:[0,0,1] neg_hi:[0,0,1]
	v_pk_fma_f32 v[64:65], v[64:65], v[76:77], v[94:95] op_sel:[0,0,1] op_sel_hi:[1,0,0]
	v_mov_b32_e32 v73, v63
	v_pk_add_f32 v[60:61], v[104:105], 0 op_sel_hi:[1,0]
	v_mov_b32_e32 v100, v83
	s_waitcnt lgkmcnt(1)
	v_pk_mul_f32 v[98:99], v[68:69], v[98:99] op_sel_hi:[1,0]
	s_waitcnt vmcnt(5)
	v_pk_fma_f32 v[76:77], v[66:67], v[78:79], v[96:97] op_sel:[0,0,1] op_sel_hi:[1,1,0] neg_lo:[0,0,1] neg_hi:[0,0,1]
	v_pk_fma_f32 v[66:67], v[66:67], v[78:79], v[96:97] op_sel:[0,0,1] op_sel_hi:[1,0,0]
	v_mov_b32_e32 v75, v65
	v_pk_add_f32 v[60:61], v[60:61], v[72:73]
	v_mov_b32_e32 v102, v85
	v_pk_mul_f32 v[100:101], v[70:71], v[100:101] op_sel_hi:[1,0]
	s_waitcnt vmcnt(4)
	v_pk_fma_f32 v[78:79], v[68:69], v[80:81], v[98:99] op_sel:[0,0,1] op_sel_hi:[1,1,0] neg_lo:[0,0,1] neg_hi:[0,0,1]
	v_pk_fma_f32 v[68:69], v[68:69], v[80:81], v[98:99] op_sel:[0,0,1] op_sel_hi:[1,0,0]
	v_mov_b32_e32 v77, v67
	v_pk_add_f32 v[60:61], v[60:61], v[74:75]
	s_waitcnt lgkmcnt(0)
	v_pk_mul_f32 v[102:103], v[88:89], v[102:103] op_sel_hi:[1,0]
	s_waitcnt vmcnt(3)
	v_pk_fma_f32 v[80:81], v[70:71], v[82:83], v[100:101] op_sel:[0,0,1] op_sel_hi:[1,1,0] neg_lo:[0,0,1] neg_hi:[0,0,1]
	v_pk_fma_f32 v[70:71], v[70:71], v[82:83], v[100:101] op_sel:[0,0,1] op_sel_hi:[1,0,0]
	v_mov_b32_e32 v79, v69
	v_pk_add_f32 v[60:61], v[60:61], v[76:77]
	s_waitcnt vmcnt(2)
	v_pk_fma_f32 v[82:83], v[88:89], v[84:85], v[102:103] op_sel:[0,0,1] op_sel_hi:[1,1,0] neg_lo:[0,0,1] neg_hi:[0,0,1]
	v_pk_fma_f32 v[84:85], v[88:89], v[84:85], v[102:103] op_sel:[0,0,1] op_sel_hi:[1,0,0]
	v_mov_b32_e32 v81, v71
	v_pk_add_f32 v[60:61], v[60:61], v[78:79]
	v_mov_b32_e32 v83, v85
	v_pk_add_f32 v[60:61], v[60:61], v[80:81]
	v_pk_add_f32 v[60:61], v[60:61], v[82:83]
	s_waitcnt vmcnt(0)
	v_pk_add_f32 v[60:61], v[86:87], v[60:61] neg_lo:[0,1] neg_hi:[0,1]
	buffer_store_dword v60, off, s[0:3], 0 offset:160
	buffer_store_dword v61, off, s[0:3], 0 offset:164
	s_and_saveexec_b64 s[4:5], vcc
	s_cbranch_execz .LBB27_143
; %bb.142:
	buffer_load_dword v60, off, s[0:3], 0 offset:152
	buffer_load_dword v61, off, s[0:3], 0 offset:156
	s_waitcnt vmcnt(0)
	ds_write_b64 v1, v[60:61]
	buffer_store_dword v58, off, s[0:3], 0 offset:152
	buffer_store_dword v58, off, s[0:3], 0 offset:156
.LBB27_143:
	s_or_b64 exec, exec, s[4:5]
	s_waitcnt lgkmcnt(0)
	; wave barrier
	s_waitcnt lgkmcnt(0)
	buffer_load_dword v77, off, s[0:3], 0 offset:164
	buffer_load_dword v79, off, s[0:3], 0 offset:172
	;; [unrolled: 1-line block ×18, first 2 shown]
	ds_read_b128 v[60:63], v58 offset:384
	ds_read_b128 v[64:67], v58 offset:400
	;; [unrolled: 1-line block ×4, first 2 shown]
	v_cmp_lt_u32_e32 vcc, 18, v0
	s_waitcnt vmcnt(17)
	v_mov_b32_e32 v58, v77
	s_waitcnt vmcnt(16)
	v_mov_b32_e32 v94, v79
	s_waitcnt lgkmcnt(3)
	v_pk_mul_f32 v[58:59], v[60:61], v[58:59] op_sel_hi:[1,0]
	s_waitcnt vmcnt(15)
	v_mov_b32_e32 v96, v81
	v_pk_mul_f32 v[94:95], v[62:63], v[94:95] op_sel_hi:[1,0]
	s_waitcnt vmcnt(14)
	v_mov_b32_e32 v98, v83
	s_waitcnt lgkmcnt(2)
	v_pk_mul_f32 v[96:97], v[64:65], v[96:97] op_sel_hi:[1,0]
	s_waitcnt vmcnt(13)
	v_mov_b32_e32 v100, v85
	s_waitcnt vmcnt(9)
	v_pk_fma_f32 v[108:109], v[60:61], v[76:77], v[58:59] op_sel:[0,0,1] op_sel_hi:[1,1,0] neg_lo:[0,0,1] neg_hi:[0,0,1]
	v_pk_fma_f32 v[58:59], v[60:61], v[76:77], v[58:59] op_sel:[0,0,1] op_sel_hi:[1,0,0]
	s_waitcnt vmcnt(8)
	v_pk_fma_f32 v[60:61], v[62:63], v[78:79], v[94:95] op_sel:[0,0,1] op_sel_hi:[1,1,0] neg_lo:[0,0,1] neg_hi:[0,0,1]
	v_pk_fma_f32 v[62:63], v[62:63], v[78:79], v[94:95] op_sel:[0,0,1] op_sel_hi:[1,0,0]
	v_mov_b32_e32 v109, v59
	v_pk_mul_f32 v[98:99], v[66:67], v[98:99] op_sel_hi:[1,0]
	s_waitcnt vmcnt(7)
	v_pk_fma_f32 v[76:77], v[64:65], v[80:81], v[96:97] op_sel:[0,0,1] op_sel_hi:[1,1,0] neg_lo:[0,0,1] neg_hi:[0,0,1]
	v_pk_fma_f32 v[64:65], v[64:65], v[80:81], v[96:97] op_sel:[0,0,1] op_sel_hi:[1,0,0]
	v_mov_b32_e32 v61, v63
	v_pk_add_f32 v[58:59], v[108:109], 0 op_sel_hi:[1,0]
	v_mov_b32_e32 v102, v87
	s_waitcnt lgkmcnt(1)
	v_pk_mul_f32 v[100:101], v[68:69], v[100:101] op_sel_hi:[1,0]
	s_waitcnt vmcnt(6)
	v_pk_fma_f32 v[78:79], v[66:67], v[82:83], v[98:99] op_sel:[0,0,1] op_sel_hi:[1,1,0] neg_lo:[0,0,1] neg_hi:[0,0,1]
	v_pk_fma_f32 v[66:67], v[66:67], v[82:83], v[98:99] op_sel:[0,0,1] op_sel_hi:[1,0,0]
	v_mov_b32_e32 v77, v65
	v_pk_add_f32 v[58:59], v[58:59], v[60:61]
	v_mov_b32_e32 v104, v89
	v_pk_mul_f32 v[102:103], v[70:71], v[102:103] op_sel_hi:[1,0]
	s_waitcnt vmcnt(5)
	v_pk_fma_f32 v[80:81], v[68:69], v[84:85], v[100:101] op_sel:[0,0,1] op_sel_hi:[1,1,0] neg_lo:[0,0,1] neg_hi:[0,0,1]
	v_pk_fma_f32 v[68:69], v[68:69], v[84:85], v[100:101] op_sel:[0,0,1] op_sel_hi:[1,0,0]
	v_mov_b32_e32 v79, v67
	v_pk_add_f32 v[58:59], v[58:59], v[76:77]
	v_mov_b32_e32 v106, v91
	s_waitcnt lgkmcnt(0)
	v_pk_mul_f32 v[104:105], v[72:73], v[104:105] op_sel_hi:[1,0]
	s_waitcnt vmcnt(4)
	v_pk_fma_f32 v[82:83], v[70:71], v[86:87], v[102:103] op_sel:[0,0,1] op_sel_hi:[1,1,0] neg_lo:[0,0,1] neg_hi:[0,0,1]
	v_pk_fma_f32 v[70:71], v[70:71], v[86:87], v[102:103] op_sel:[0,0,1] op_sel_hi:[1,0,0]
	v_mov_b32_e32 v81, v69
	v_pk_add_f32 v[58:59], v[58:59], v[78:79]
	v_pk_mul_f32 v[106:107], v[74:75], v[106:107] op_sel_hi:[1,0]
	s_waitcnt vmcnt(3)
	v_pk_fma_f32 v[84:85], v[72:73], v[88:89], v[104:105] op_sel:[0,0,1] op_sel_hi:[1,1,0] neg_lo:[0,0,1] neg_hi:[0,0,1]
	v_pk_fma_f32 v[72:73], v[72:73], v[88:89], v[104:105] op_sel:[0,0,1] op_sel_hi:[1,0,0]
	v_mov_b32_e32 v83, v71
	v_pk_add_f32 v[58:59], v[58:59], v[80:81]
	s_waitcnt vmcnt(2)
	v_pk_fma_f32 v[86:87], v[74:75], v[90:91], v[106:107] op_sel:[0,0,1] op_sel_hi:[1,1,0] neg_lo:[0,0,1] neg_hi:[0,0,1]
	v_pk_fma_f32 v[74:75], v[74:75], v[90:91], v[106:107] op_sel:[0,0,1] op_sel_hi:[1,0,0]
	v_mov_b32_e32 v85, v73
	v_pk_add_f32 v[58:59], v[58:59], v[82:83]
	v_mov_b32_e32 v87, v75
	v_pk_add_f32 v[58:59], v[58:59], v[84:85]
	v_pk_add_f32 v[58:59], v[58:59], v[86:87]
	s_waitcnt vmcnt(0)
	v_pk_add_f32 v[58:59], v[92:93], v[58:59] neg_lo:[0,1] neg_hi:[0,1]
	buffer_store_dword v58, off, s[0:3], 0 offset:152
	buffer_store_dword v59, off, s[0:3], 0 offset:156
	s_and_saveexec_b64 s[4:5], vcc
	s_cbranch_execz .LBB27_145
; %bb.144:
	buffer_load_dword v58, off, s[0:3], 0 offset:144
	buffer_load_dword v59, off, s[0:3], 0 offset:148
	v_mov_b32_e32 v60, 0
	buffer_store_dword v60, off, s[0:3], 0 offset:144
	buffer_store_dword v60, off, s[0:3], 0 offset:148
	s_waitcnt vmcnt(2)
	ds_write_b64 v1, v[58:59]
.LBB27_145:
	s_or_b64 exec, exec, s[4:5]
	s_waitcnt lgkmcnt(0)
	; wave barrier
	s_waitcnt lgkmcnt(0)
	buffer_load_dword v59, off, s[0:3], 0 offset:156
	buffer_load_dword v77, off, s[0:3], 0 offset:164
	;; [unrolled: 1-line block ×20, first 2 shown]
	v_mov_b32_e32 v58, 0
	ds_read2_b64 v[60:63], v58 offset0:47 offset1:48
	ds_read2_b64 v[64:67], v58 offset0:49 offset1:50
	;; [unrolled: 1-line block ×4, first 2 shown]
	ds_read_b64 v[94:95], v58 offset:440
	v_cmp_lt_u32_e32 vcc, 17, v0
	s_waitcnt vmcnt(19) lgkmcnt(4)
	v_mul_f32_e32 v97, v60, v59
	v_mul_f32_e32 v59, v61, v59
	s_waitcnt vmcnt(18)
	v_mov_b32_e32 v98, v77
	s_waitcnt vmcnt(17)
	v_mov_b32_e32 v100, v79
	;; [unrolled: 2-line block ×8, first 2 shown]
	s_waitcnt vmcnt(10)
	v_fmac_f32_e32 v97, v61, v96
	v_fma_f32 v96, v60, v96, -v59
	v_pk_mul_f32 v[60:61], v[62:63], v[98:99] op_sel_hi:[1,0]
	s_waitcnt lgkmcnt(3)
	v_pk_mul_f32 v[98:99], v[64:65], v[100:101] op_sel_hi:[1,0]
	v_pk_mul_f32 v[100:101], v[66:67], v[102:103] op_sel_hi:[1,0]
	s_waitcnt lgkmcnt(2)
	v_pk_mul_f32 v[102:103], v[68:69], v[104:105] op_sel_hi:[1,0]
	;; [unrolled: 3-line block ×4, first 2 shown]
	s_waitcnt vmcnt(9)
	v_pk_fma_f32 v[112:113], v[62:63], v[76:77], v[60:61] op_sel:[0,0,1] op_sel_hi:[1,1,0] neg_lo:[0,0,1] neg_hi:[0,0,1]
	v_pk_fma_f32 v[60:61], v[62:63], v[76:77], v[60:61] op_sel:[0,0,1] op_sel_hi:[1,0,0]
	v_pk_add_f32 v[96:97], v[96:97], 0 op_sel_hi:[1,0]
	s_waitcnt vmcnt(8)
	v_pk_fma_f32 v[62:63], v[64:65], v[78:79], v[98:99] op_sel:[0,0,1] op_sel_hi:[1,1,0] neg_lo:[0,0,1] neg_hi:[0,0,1]
	v_pk_fma_f32 v[64:65], v[64:65], v[78:79], v[98:99] op_sel:[0,0,1] op_sel_hi:[1,0,0]
	v_mov_b32_e32 v113, v61
	s_waitcnt vmcnt(7)
	v_pk_fma_f32 v[76:77], v[66:67], v[80:81], v[100:101] op_sel:[0,0,1] op_sel_hi:[1,1,0] neg_lo:[0,0,1] neg_hi:[0,0,1]
	v_pk_fma_f32 v[66:67], v[66:67], v[80:81], v[100:101] op_sel:[0,0,1] op_sel_hi:[1,0,0]
	v_mov_b32_e32 v63, v65
	v_pk_add_f32 v[60:61], v[96:97], v[112:113]
	s_waitcnt vmcnt(6)
	v_pk_fma_f32 v[78:79], v[68:69], v[82:83], v[102:103] op_sel:[0,0,1] op_sel_hi:[1,1,0] neg_lo:[0,0,1] neg_hi:[0,0,1]
	v_pk_fma_f32 v[68:69], v[68:69], v[82:83], v[102:103] op_sel:[0,0,1] op_sel_hi:[1,0,0]
	v_mov_b32_e32 v77, v67
	v_pk_add_f32 v[60:61], v[60:61], v[62:63]
	;; [unrolled: 5-line block ×5, first 2 shown]
	v_pk_fma_f32 v[86:87], v[94:95], v[90:91], v[110:111] op_sel:[0,0,1] op_sel_hi:[1,1,0] neg_lo:[0,0,1] neg_hi:[0,0,1]
	v_pk_fma_f32 v[88:89], v[94:95], v[90:91], v[110:111] op_sel:[0,0,1] op_sel_hi:[1,0,0]
	v_mov_b32_e32 v85, v75
	v_pk_add_f32 v[60:61], v[60:61], v[82:83]
	v_mov_b32_e32 v87, v89
	v_pk_add_f32 v[60:61], v[60:61], v[84:85]
	v_pk_add_f32 v[60:61], v[60:61], v[86:87]
	s_waitcnt vmcnt(0)
	v_pk_add_f32 v[60:61], v[92:93], v[60:61] neg_lo:[0,1] neg_hi:[0,1]
	buffer_store_dword v60, off, s[0:3], 0 offset:144
	buffer_store_dword v61, off, s[0:3], 0 offset:148
	s_and_saveexec_b64 s[4:5], vcc
	s_cbranch_execz .LBB27_147
; %bb.146:
	buffer_load_dword v60, off, s[0:3], 0 offset:136
	buffer_load_dword v61, off, s[0:3], 0 offset:140
	s_waitcnt vmcnt(0)
	ds_write_b64 v1, v[60:61]
	buffer_store_dword v58, off, s[0:3], 0 offset:136
	buffer_store_dword v58, off, s[0:3], 0 offset:140
.LBB27_147:
	s_or_b64 exec, exec, s[4:5]
	s_waitcnt lgkmcnt(0)
	; wave barrier
	s_waitcnt lgkmcnt(0)
	buffer_load_dword v98, off, s[0:3], 0 offset:148
	buffer_load_dword v100, off, s[0:3], 0 offset:156
	;; [unrolled: 1-line block ×22, first 2 shown]
	ds_read_b128 v[60:63], v58 offset:368
	ds_read_b128 v[64:67], v58 offset:384
	;; [unrolled: 1-line block ×5, first 2 shown]
	v_cmp_lt_u32_e32 vcc, 16, v0
	s_waitcnt vmcnt(21) lgkmcnt(4)
	v_mul_f32_e32 v59, v60, v98
	s_waitcnt vmcnt(20)
	v_mul_f32_e32 v99, v62, v100
	v_mul_f32_e32 v58, v61, v98
	v_mul_f32_e32 v98, v63, v100
	s_waitcnt vmcnt(19)
	v_mov_b32_e32 v100, v81
	s_waitcnt vmcnt(18)
	v_mov_b32_e32 v102, v83
	;; [unrolled: 2-line block ×5, first 2 shown]
	v_mov_b32_e32 v106, v87
	s_waitcnt vmcnt(11)
	v_fmac_f32_e32 v59, v61, v101
	v_fma_f32 v58, v60, v101, -v58
	s_waitcnt lgkmcnt(3)
	v_pk_mul_f32 v[60:61], v[64:65], v[100:101] op_sel_hi:[1,0]
	s_waitcnt vmcnt(10)
	v_fmac_f32_e32 v99, v63, v103
	v_fma_f32 v98, v62, v103, -v98
	v_pk_mul_f32 v[62:63], v[66:67], v[102:103] op_sel_hi:[1,0]
	s_waitcnt lgkmcnt(2)
	v_pk_mul_f32 v[100:101], v[68:69], v[104:105] op_sel_hi:[1,0]
	s_waitcnt lgkmcnt(1)
	;; [unrolled: 2-line block ×3, first 2 shown]
	v_pk_mul_f32 v[108:109], v[76:77], v[112:113] op_sel_hi:[1,0]
	v_pk_add_f32 v[58:59], v[58:59], 0 op_sel_hi:[1,0]
	s_waitcnt vmcnt(9)
	v_pk_fma_f32 v[112:113], v[64:65], v[80:81], v[60:61] op_sel:[0,0,1] op_sel_hi:[1,1,0] neg_lo:[0,0,1] neg_hi:[0,0,1]
	v_pk_fma_f32 v[60:61], v[64:65], v[80:81], v[60:61] op_sel:[0,0,1] op_sel_hi:[1,0,0]
	s_waitcnt vmcnt(8)
	v_pk_fma_f32 v[64:65], v[66:67], v[82:83], v[62:63] op_sel:[0,0,1] op_sel_hi:[1,1,0] neg_lo:[0,0,1] neg_hi:[0,0,1]
	v_pk_fma_f32 v[62:63], v[66:67], v[82:83], v[62:63] op_sel:[0,0,1] op_sel_hi:[1,0,0]
	v_pk_add_f32 v[58:59], v[58:59], v[98:99]
	v_mov_b32_e32 v113, v61
	v_pk_mul_f32 v[102:103], v[70:71], v[106:107] op_sel_hi:[1,0]
	s_waitcnt vmcnt(7)
	v_pk_fma_f32 v[66:67], v[68:69], v[84:85], v[100:101] op_sel:[0,0,1] op_sel_hi:[1,1,0] neg_lo:[0,0,1] neg_hi:[0,0,1]
	v_pk_fma_f32 v[68:69], v[68:69], v[84:85], v[100:101] op_sel:[0,0,1] op_sel_hi:[1,0,0]
	v_mov_b32_e32 v65, v63
	v_pk_add_f32 v[58:59], v[58:59], v[112:113]
	v_mov_b32_e32 v110, v91
	s_waitcnt vmcnt(6)
	v_pk_fma_f32 v[80:81], v[70:71], v[86:87], v[102:103] op_sel:[0,0,1] op_sel_hi:[1,1,0] neg_lo:[0,0,1] neg_hi:[0,0,1]
	v_pk_fma_f32 v[70:71], v[70:71], v[86:87], v[102:103] op_sel:[0,0,1] op_sel_hi:[1,0,0]
	v_mov_b32_e32 v67, v69
	v_pk_add_f32 v[58:59], v[58:59], v[64:65]
	v_pk_mul_f32 v[106:107], v[74:75], v[110:111] op_sel_hi:[1,0]
	s_waitcnt vmcnt(5)
	v_pk_fma_f32 v[82:83], v[72:73], v[88:89], v[104:105] op_sel:[0,0,1] op_sel_hi:[1,1,0] neg_lo:[0,0,1] neg_hi:[0,0,1]
	v_pk_fma_f32 v[72:73], v[72:73], v[88:89], v[104:105] op_sel:[0,0,1] op_sel_hi:[1,0,0]
	v_mov_b32_e32 v81, v71
	v_pk_add_f32 v[58:59], v[58:59], v[66:67]
	v_mov_b32_e32 v114, v95
	s_waitcnt vmcnt(2)
	v_pk_fma_f32 v[84:85], v[74:75], v[90:91], v[106:107] op_sel:[0,0,1] op_sel_hi:[1,1,0] neg_lo:[0,0,1] neg_hi:[0,0,1]
	v_pk_fma_f32 v[74:75], v[74:75], v[90:91], v[106:107] op_sel:[0,0,1] op_sel_hi:[1,0,0]
	v_mov_b32_e32 v83, v73
	v_pk_add_f32 v[58:59], v[58:59], v[80:81]
	v_pk_mul_f32 v[110:111], v[78:79], v[114:115] op_sel_hi:[1,0]
	v_pk_fma_f32 v[86:87], v[76:77], v[92:93], v[108:109] op_sel:[0,0,1] op_sel_hi:[1,1,0] neg_lo:[0,0,1] neg_hi:[0,0,1]
	v_pk_fma_f32 v[76:77], v[76:77], v[92:93], v[108:109] op_sel:[0,0,1] op_sel_hi:[1,0,0]
	v_mov_b32_e32 v85, v75
	v_pk_add_f32 v[58:59], v[58:59], v[82:83]
	v_pk_fma_f32 v[88:89], v[78:79], v[94:95], v[110:111] op_sel:[0,0,1] op_sel_hi:[1,1,0] neg_lo:[0,0,1] neg_hi:[0,0,1]
	v_pk_fma_f32 v[78:79], v[78:79], v[94:95], v[110:111] op_sel:[0,0,1] op_sel_hi:[1,0,0]
	v_mov_b32_e32 v87, v77
	v_pk_add_f32 v[58:59], v[58:59], v[84:85]
	v_mov_b32_e32 v89, v79
	v_pk_add_f32 v[58:59], v[58:59], v[86:87]
	v_pk_add_f32 v[58:59], v[58:59], v[88:89]
	s_waitcnt vmcnt(0)
	v_pk_add_f32 v[58:59], v[96:97], v[58:59] neg_lo:[0,1] neg_hi:[0,1]
	buffer_store_dword v58, off, s[0:3], 0 offset:136
	buffer_store_dword v59, off, s[0:3], 0 offset:140
	s_and_saveexec_b64 s[4:5], vcc
	s_cbranch_execz .LBB27_149
; %bb.148:
	buffer_load_dword v58, off, s[0:3], 0 offset:128
	buffer_load_dword v59, off, s[0:3], 0 offset:132
	v_mov_b32_e32 v60, 0
	buffer_store_dword v60, off, s[0:3], 0 offset:128
	buffer_store_dword v60, off, s[0:3], 0 offset:132
	s_waitcnt vmcnt(2)
	ds_write_b64 v1, v[58:59]
.LBB27_149:
	s_or_b64 exec, exec, s[4:5]
	s_waitcnt lgkmcnt(0)
	; wave barrier
	s_waitcnt lgkmcnt(0)
	buffer_load_dword v59, off, s[0:3], 0 offset:140
	buffer_load_dword v100, off, s[0:3], 0 offset:148
	;; [unrolled: 1-line block ×24, first 2 shown]
	v_mov_b32_e32 v58, 0
	ds_read2_b64 v[60:63], v58 offset0:45 offset1:46
	ds_read2_b64 v[64:67], v58 offset0:47 offset1:48
	;; [unrolled: 1-line block ×5, first 2 shown]
	ds_read_b64 v[98:99], v58 offset:440
	v_cmp_lt_u32_e32 vcc, 15, v0
	s_waitcnt vmcnt(23) lgkmcnt(5)
	v_mul_f32_e32 v113, v60, v59
	v_mul_f32_e32 v59, v61, v59
	s_waitcnt vmcnt(22)
	v_mul_f32_e32 v101, v62, v100
	s_waitcnt vmcnt(21) lgkmcnt(4)
	v_mul_f32_e32 v103, v64, v102
	v_mul_f32_e32 v100, v63, v100
	;; [unrolled: 1-line block ×3, first 2 shown]
	s_waitcnt vmcnt(20)
	v_mov_b32_e32 v104, v81
	s_waitcnt vmcnt(19)
	v_mov_b32_e32 v106, v83
	;; [unrolled: 2-line block ×5, first 2 shown]
	s_waitcnt vmcnt(12)
	v_fmac_f32_e32 v113, v61, v105
	v_fma_f32 v59, v60, v105, -v59
	v_mov_b32_e32 v114, v91
	s_waitcnt vmcnt(11)
	v_fmac_f32_e32 v101, v63, v107
	s_waitcnt vmcnt(10)
	v_fmac_f32_e32 v103, v65, v109
	v_fma_f32 v100, v62, v107, -v100
	v_fma_f32 v102, v64, v109, -v102
	v_pk_mul_f32 v[60:61], v[66:67], v[104:105] op_sel_hi:[1,0]
	s_waitcnt lgkmcnt(3)
	v_pk_mul_f32 v[62:63], v[68:69], v[106:107] op_sel_hi:[1,0]
	v_pk_mul_f32 v[64:65], v[70:71], v[108:109] op_sel_hi:[1,0]
	s_waitcnt lgkmcnt(2)
	v_pk_mul_f32 v[104:105], v[72:73], v[110:111] op_sel_hi:[1,0]
	v_pk_mul_f32 v[106:107], v[74:75], v[112:113] op_sel_hi:[1,0]
	v_add_f32_e32 v113, 0, v113
	v_add_f32_e32 v112, 0, v59
	s_waitcnt lgkmcnt(1)
	v_pk_mul_f32 v[108:109], v[76:77], v[114:115] op_sel_hi:[1,0]
	s_waitcnt vmcnt(9)
	v_pk_fma_f32 v[114:115], v[66:67], v[80:81], v[60:61] op_sel:[0,0,1] op_sel_hi:[1,1,0] neg_lo:[0,0,1] neg_hi:[0,0,1]
	v_pk_fma_f32 v[60:61], v[66:67], v[80:81], v[60:61] op_sel:[0,0,1] op_sel_hi:[1,0,0]
	s_waitcnt vmcnt(8)
	v_pk_fma_f32 v[66:67], v[68:69], v[82:83], v[62:63] op_sel:[0,0,1] op_sel_hi:[1,1,0] neg_lo:[0,0,1] neg_hi:[0,0,1]
	v_pk_fma_f32 v[62:63], v[68:69], v[82:83], v[62:63] op_sel:[0,0,1] op_sel_hi:[1,0,0]
	;; [unrolled: 3-line block ×4, first 2 shown]
	v_pk_add_f32 v[86:87], v[112:113], v[100:101]
	v_mov_b32_e32 v115, v61
	v_pk_add_f32 v[60:61], v[86:87], v[102:103]
	v_mov_b32_e32 v67, v63
	;; [unrolled: 2-line block ×4, first 2 shown]
	s_waitcnt vmcnt(2)
	v_pk_fma_f32 v[80:81], v[74:75], v[88:89], v[106:107] op_sel:[0,0,1] op_sel_hi:[1,1,0] neg_lo:[0,0,1] neg_hi:[0,0,1]
	v_pk_fma_f32 v[74:75], v[74:75], v[88:89], v[106:107] op_sel:[0,0,1] op_sel_hi:[1,0,0]
	v_mov_b32_e32 v71, v73
	v_pk_add_f32 v[60:61], v[60:61], v[68:69]
	v_mov_b32_e32 v118, v95
	v_pk_mul_f32 v[110:111], v[78:79], v[116:117] op_sel_hi:[1,0]
	v_pk_fma_f32 v[82:83], v[76:77], v[90:91], v[108:109] op_sel:[0,0,1] op_sel_hi:[1,1,0] neg_lo:[0,0,1] neg_hi:[0,0,1]
	v_pk_fma_f32 v[76:77], v[76:77], v[90:91], v[108:109] op_sel:[0,0,1] op_sel_hi:[1,0,0]
	v_mov_b32_e32 v81, v75
	v_pk_add_f32 v[60:61], v[60:61], v[70:71]
	v_pk_fma_f32 v[84:85], v[78:79], v[92:93], v[110:111] op_sel:[0,0,1] op_sel_hi:[1,1,0] neg_lo:[0,0,1] neg_hi:[0,0,1]
	v_pk_fma_f32 v[78:79], v[78:79], v[92:93], v[110:111] op_sel:[0,0,1] op_sel_hi:[1,0,0]
	v_mov_b32_e32 v83, v77
	v_pk_add_f32 v[60:61], v[60:61], v[80:81]
	s_waitcnt lgkmcnt(0)
	v_pk_mul_f32 v[62:63], v[98:99], v[118:119] op_sel_hi:[1,0]
	v_mov_b32_e32 v85, v79
	v_pk_add_f32 v[60:61], v[60:61], v[82:83]
	v_pk_fma_f32 v[64:65], v[98:99], v[94:95], v[62:63] op_sel:[0,0,1] op_sel_hi:[1,1,0] neg_lo:[0,0,1] neg_hi:[0,0,1]
	v_pk_fma_f32 v[62:63], v[98:99], v[94:95], v[62:63] op_sel:[0,0,1] op_sel_hi:[1,0,0]
	v_pk_add_f32 v[60:61], v[60:61], v[84:85]
	v_mov_b32_e32 v65, v63
	v_pk_add_f32 v[60:61], v[60:61], v[64:65]
	s_waitcnt vmcnt(0)
	v_pk_add_f32 v[60:61], v[96:97], v[60:61] neg_lo:[0,1] neg_hi:[0,1]
	buffer_store_dword v61, off, s[0:3], 0 offset:132
	buffer_store_dword v60, off, s[0:3], 0 offset:128
	s_and_saveexec_b64 s[4:5], vcc
	s_cbranch_execz .LBB27_151
; %bb.150:
	buffer_load_dword v60, off, s[0:3], 0 offset:120
	buffer_load_dword v61, off, s[0:3], 0 offset:124
	s_waitcnt vmcnt(0)
	ds_write_b64 v1, v[60:61]
	buffer_store_dword v58, off, s[0:3], 0 offset:120
	buffer_store_dword v58, off, s[0:3], 0 offset:124
.LBB27_151:
	s_or_b64 exec, exec, s[4:5]
	s_waitcnt lgkmcnt(0)
	; wave barrier
	s_waitcnt lgkmcnt(0)
	buffer_load_dword v102, off, s[0:3], 0 offset:132
	buffer_load_dword v104, off, s[0:3], 0 offset:140
	;; [unrolled: 1-line block ×26, first 2 shown]
	ds_read_b128 v[60:63], v58 offset:352
	ds_read_b128 v[64:67], v58 offset:368
	ds_read_b128 v[68:71], v58 offset:384
	ds_read_b128 v[72:75], v58 offset:400
	ds_read_b128 v[76:79], v58 offset:416
	ds_read_b128 v[80:83], v58 offset:432
	v_cmp_lt_u32_e32 vcc, 14, v0
	s_waitcnt vmcnt(25) lgkmcnt(5)
	v_mul_f32_e32 v115, v60, v102
	v_mul_f32_e32 v58, v61, v102
	s_waitcnt vmcnt(24)
	v_mul_f32_e32 v116, v62, v104
	s_waitcnt vmcnt(23) lgkmcnt(4)
	v_mul_f32_e32 v59, v64, v105
	s_waitcnt vmcnt(22)
	v_mul_f32_e32 v103, v66, v106
	v_mul_f32_e32 v102, v63, v104
	;; [unrolled: 1-line block ×4, first 2 shown]
	s_waitcnt vmcnt(21)
	v_mov_b32_e32 v104, v85
	s_waitcnt vmcnt(20)
	v_mov_b32_e32 v106, v87
	;; [unrolled: 2-line block ×3, first 2 shown]
	s_waitcnt vmcnt(15)
	v_fmac_f32_e32 v115, v61, v107
	v_fma_f32 v118, v60, v107, -v58
	v_mov_b32_e32 v108, v89
	s_waitcnt vmcnt(14)
	v_fmac_f32_e32 v116, v63, v109
	s_waitcnt vmcnt(13)
	v_fmac_f32_e32 v59, v65, v111
	;; [unrolled: 2-line block ×3, first 2 shown]
	v_fma_f32 v119, v62, v109, -v102
	v_fma_f32 v58, v64, v111, -v105
	;; [unrolled: 1-line block ×3, first 2 shown]
	s_waitcnt lgkmcnt(3)
	v_pk_mul_f32 v[60:61], v[68:69], v[104:105] op_sel_hi:[1,0]
	v_pk_mul_f32 v[62:63], v[70:71], v[106:107] op_sel_hi:[1,0]
	s_waitcnt lgkmcnt(2)
	v_pk_mul_f32 v[66:67], v[74:75], v[110:111] op_sel_hi:[1,0]
	v_add_f32_e32 v110, 0, v115
	v_add_f32_e32 v111, 0, v118
	v_pk_mul_f32 v[64:65], v[72:73], v[108:109] op_sel_hi:[1,0]
	s_waitcnt vmcnt(11)
	v_pk_fma_f32 v[108:109], v[68:69], v[84:85], v[60:61] op_sel:[0,0,1] op_sel_hi:[1,1,0] neg_lo:[0,0,1] neg_hi:[0,0,1]
	v_pk_fma_f32 v[60:61], v[68:69], v[84:85], v[60:61] op_sel:[0,0,1] op_sel_hi:[1,0,0]
	s_waitcnt vmcnt(10)
	v_pk_fma_f32 v[68:69], v[70:71], v[86:87], v[62:63] op_sel:[0,0,1] op_sel_hi:[1,1,0] neg_lo:[0,0,1] neg_hi:[0,0,1]
	v_pk_fma_f32 v[62:63], v[70:71], v[86:87], v[62:63] op_sel:[0,0,1] op_sel_hi:[1,0,0]
	v_add_f32_e32 v87, v110, v116
	v_add_f32_e32 v86, v111, v119
	v_pk_add_f32 v[58:59], v[86:87], v[58:59]
	v_mov_b32_e32 v109, v61
	v_pk_add_f32 v[58:59], v[58:59], v[102:103]
	v_mov_b32_e32 v112, v93
	s_waitcnt vmcnt(9)
	v_pk_fma_f32 v[70:71], v[72:73], v[88:89], v[64:65] op_sel:[0,0,1] op_sel_hi:[1,1,0] neg_lo:[0,0,1] neg_hi:[0,0,1]
	v_pk_fma_f32 v[64:65], v[72:73], v[88:89], v[64:65] op_sel:[0,0,1] op_sel_hi:[1,0,0]
	v_mov_b32_e32 v69, v63
	v_pk_add_f32 v[58:59], v[58:59], v[108:109]
	v_mov_b32_e32 v114, v95
	s_waitcnt lgkmcnt(1)
	v_pk_mul_f32 v[104:105], v[76:77], v[112:113] op_sel_hi:[1,0]
	s_waitcnt vmcnt(5)
	v_pk_fma_f32 v[72:73], v[74:75], v[90:91], v[66:67] op_sel:[0,0,1] op_sel_hi:[1,1,0] neg_lo:[0,0,1] neg_hi:[0,0,1]
	v_pk_fma_f32 v[66:67], v[74:75], v[90:91], v[66:67] op_sel:[0,0,1] op_sel_hi:[1,0,0]
	v_mov_b32_e32 v71, v65
	v_pk_add_f32 v[58:59], v[58:59], v[68:69]
	s_waitcnt vmcnt(4)
	v_mov_b32_e32 v60, v97
	v_pk_mul_f32 v[106:107], v[78:79], v[114:115] op_sel_hi:[1,0]
	v_pk_fma_f32 v[74:75], v[76:77], v[92:93], v[104:105] op_sel:[0,0,1] op_sel_hi:[1,1,0] neg_lo:[0,0,1] neg_hi:[0,0,1]
	v_pk_fma_f32 v[76:77], v[76:77], v[92:93], v[104:105] op_sel:[0,0,1] op_sel_hi:[1,0,0]
	v_mov_b32_e32 v73, v67
	v_pk_add_f32 v[58:59], v[58:59], v[70:71]
	s_waitcnt lgkmcnt(0)
	v_pk_mul_f32 v[60:61], v[80:81], v[60:61] op_sel_hi:[1,0]
	v_pk_fma_f32 v[84:85], v[78:79], v[94:95], v[106:107] op_sel:[0,0,1] op_sel_hi:[1,1,0] neg_lo:[0,0,1] neg_hi:[0,0,1]
	v_pk_fma_f32 v[78:79], v[78:79], v[94:95], v[106:107] op_sel:[0,0,1] op_sel_hi:[1,0,0]
	v_mov_b32_e32 v75, v77
	v_pk_add_f32 v[58:59], v[58:59], v[72:73]
	v_pk_fma_f32 v[62:63], v[80:81], v[96:97], v[60:61] op_sel:[0,0,1] op_sel_hi:[1,1,0] neg_lo:[0,0,1] neg_hi:[0,0,1]
	v_pk_fma_f32 v[60:61], v[80:81], v[96:97], v[60:61] op_sel:[0,0,1] op_sel_hi:[1,0,0]
	v_mov_b32_e32 v85, v79
	v_pk_add_f32 v[58:59], v[58:59], v[74:75]
	s_waitcnt vmcnt(3)
	v_mov_b32_e32 v60, v99
	v_pk_add_f32 v[58:59], v[58:59], v[84:85]
	v_mov_b32_e32 v63, v61
	v_pk_mul_f32 v[60:61], v[82:83], v[60:61] op_sel_hi:[1,0]
	v_pk_add_f32 v[58:59], v[58:59], v[62:63]
	s_waitcnt vmcnt(2)
	v_pk_fma_f32 v[62:63], v[82:83], v[98:99], v[60:61] op_sel:[0,0,1] op_sel_hi:[1,1,0] neg_lo:[0,0,1] neg_hi:[0,0,1]
	v_pk_fma_f32 v[60:61], v[82:83], v[98:99], v[60:61] op_sel:[0,0,1] op_sel_hi:[1,0,0]
	v_mov_b32_e32 v63, v61
	v_pk_add_f32 v[58:59], v[58:59], v[62:63]
	s_waitcnt vmcnt(0)
	v_pk_add_f32 v[58:59], v[100:101], v[58:59] neg_lo:[0,1] neg_hi:[0,1]
	buffer_store_dword v59, off, s[0:3], 0 offset:124
	buffer_store_dword v58, off, s[0:3], 0 offset:120
	s_and_saveexec_b64 s[4:5], vcc
	s_cbranch_execz .LBB27_153
; %bb.152:
	buffer_load_dword v58, off, s[0:3], 0 offset:112
	buffer_load_dword v59, off, s[0:3], 0 offset:116
	v_mov_b32_e32 v60, 0
	buffer_store_dword v60, off, s[0:3], 0 offset:112
	buffer_store_dword v60, off, s[0:3], 0 offset:116
	s_waitcnt vmcnt(2)
	ds_write_b64 v1, v[58:59]
.LBB27_153:
	s_or_b64 exec, exec, s[4:5]
	s_waitcnt lgkmcnt(0)
	; wave barrier
	s_waitcnt lgkmcnt(0)
	buffer_load_dword v59, off, s[0:3], 0 offset:124
	buffer_load_dword v104, off, s[0:3], 0 offset:132
	;; [unrolled: 1-line block ×28, first 2 shown]
	v_mov_b32_e32 v58, 0
	ds_read2_b64 v[60:63], v58 offset0:43 offset1:44
	ds_read2_b64 v[64:67], v58 offset0:45 offset1:46
	;; [unrolled: 1-line block ×6, first 2 shown]
	ds_read_b64 v[102:103], v58 offset:440
	v_cmp_lt_u32_e32 vcc, 13, v0
	s_waitcnt vmcnt(27) lgkmcnt(6)
	v_mul_f32_e32 v119, v60, v59
	v_mul_f32_e32 v59, v61, v59
	s_waitcnt vmcnt(26)
	v_mul_f32_e32 v120, v62, v104
	s_waitcnt vmcnt(24) lgkmcnt(5)
	v_mul_f32_e32 v105, v66, v108
	s_waitcnt vmcnt(23) lgkmcnt(4)
	v_mul_f32_e32 v107, v68, v109
	v_mul_f32_e32 v122, v67, v108
	;; [unrolled: 1-line block ×3, first 2 shown]
	s_waitcnt vmcnt(22)
	v_mov_b32_e32 v108, v85
	v_mul_f32_e32 v121, v64, v106
	v_mul_f32_e32 v104, v63, v104
	;; [unrolled: 1-line block ×3, first 2 shown]
	s_waitcnt vmcnt(17)
	v_fmac_f32_e32 v119, v61, v111
	v_fma_f32 v59, v60, v111, -v59
	v_pk_mul_f32 v[60:61], v[70:71], v[108:109] op_sel_hi:[1,0]
	s_waitcnt vmcnt(16)
	v_fmac_f32_e32 v120, v63, v113
	s_waitcnt vmcnt(13)
	v_fmac_f32_e32 v107, v69, v118
	v_fma_f32 v111, v62, v113, -v104
	v_fma_f32 v113, v64, v115, -v106
	;; [unrolled: 1-line block ×3, first 2 shown]
	v_add_f32_e32 v108, 0, v119
	v_add_f32_e32 v59, 0, v59
	s_waitcnt vmcnt(12)
	v_pk_fma_f32 v[68:69], v[70:71], v[84:85], v[60:61] op_sel:[0,0,1] op_sel_hi:[1,1,0] neg_lo:[0,0,1] neg_hi:[0,0,1]
	v_pk_fma_f32 v[60:61], v[70:71], v[84:85], v[60:61] op_sel:[0,0,1] op_sel_hi:[1,0,0]
	v_fmac_f32_e32 v121, v65, v115
	v_add_f32_e32 v60, v108, v120
	v_add_f32_e32 v59, v59, v111
	v_mov_b32_e32 v110, v87
	v_fmac_f32_e32 v105, v67, v117
	v_fma_f32 v104, v66, v117, -v122
	v_mov_b32_e32 v69, v61
	v_add_f32_e32 v61, v60, v121
	v_add_f32_e32 v60, v59, v113
	v_mov_b32_e32 v112, v89
	s_waitcnt lgkmcnt(3)
	v_pk_mul_f32 v[62:63], v[72:73], v[110:111] op_sel_hi:[1,0]
	v_pk_add_f32 v[60:61], v[60:61], v[104:105]
	v_mov_b32_e32 v114, v91
	v_mov_b32_e32 v116, v93
	v_pk_mul_f32 v[64:65], v[74:75], v[112:113] op_sel_hi:[1,0]
	s_waitcnt vmcnt(11)
	v_pk_fma_f32 v[70:71], v[72:73], v[86:87], v[62:63] op_sel:[0,0,1] op_sel_hi:[1,1,0] neg_lo:[0,0,1] neg_hi:[0,0,1]
	v_pk_fma_f32 v[62:63], v[72:73], v[86:87], v[62:63] op_sel:[0,0,1] op_sel_hi:[1,0,0]
	v_pk_add_f32 v[60:61], v[60:61], v[106:107]
	s_waitcnt lgkmcnt(2)
	v_pk_mul_f32 v[66:67], v[76:77], v[114:115] op_sel_hi:[1,0]
	s_waitcnt vmcnt(7)
	v_pk_fma_f32 v[72:73], v[74:75], v[88:89], v[64:65] op_sel:[0,0,1] op_sel_hi:[1,1,0] neg_lo:[0,0,1] neg_hi:[0,0,1]
	v_pk_fma_f32 v[64:65], v[74:75], v[88:89], v[64:65] op_sel:[0,0,1] op_sel_hi:[1,0,0]
	v_mov_b32_e32 v71, v63
	v_pk_add_f32 v[60:61], v[60:61], v[68:69]
	v_pk_mul_f32 v[62:63], v[78:79], v[116:117] op_sel_hi:[1,0]
	v_pk_fma_f32 v[74:75], v[76:77], v[90:91], v[66:67] op_sel:[0,0,1] op_sel_hi:[1,1,0] neg_lo:[0,0,1] neg_hi:[0,0,1]
	v_pk_fma_f32 v[66:67], v[76:77], v[90:91], v[66:67] op_sel:[0,0,1] op_sel_hi:[1,0,0]
	v_mov_b32_e32 v73, v65
	v_pk_add_f32 v[60:61], v[60:61], v[70:71]
	v_pk_fma_f32 v[64:65], v[78:79], v[92:93], v[62:63] op_sel:[0,0,1] op_sel_hi:[1,1,0] neg_lo:[0,0,1] neg_hi:[0,0,1]
	v_pk_fma_f32 v[62:63], v[78:79], v[92:93], v[62:63] op_sel:[0,0,1] op_sel_hi:[1,0,0]
	v_mov_b32_e32 v75, v67
	v_pk_add_f32 v[60:61], v[60:61], v[72:73]
	s_waitcnt vmcnt(6)
	v_mov_b32_e32 v62, v95
	v_pk_add_f32 v[60:61], v[60:61], v[74:75]
	v_mov_b32_e32 v65, v63
	s_waitcnt lgkmcnt(1)
	v_pk_mul_f32 v[62:63], v[80:81], v[62:63] op_sel_hi:[1,0]
	v_pk_add_f32 v[60:61], v[60:61], v[64:65]
	v_pk_fma_f32 v[64:65], v[80:81], v[94:95], v[62:63] op_sel:[0,0,1] op_sel_hi:[1,1,0] neg_lo:[0,0,1] neg_hi:[0,0,1]
	v_pk_fma_f32 v[62:63], v[80:81], v[94:95], v[62:63] op_sel:[0,0,1] op_sel_hi:[1,0,0]
	s_waitcnt vmcnt(5)
	v_mov_b32_e32 v62, v97
	v_mov_b32_e32 v65, v63
	v_pk_mul_f32 v[62:63], v[82:83], v[62:63] op_sel_hi:[1,0]
	v_pk_add_f32 v[60:61], v[60:61], v[64:65]
	s_waitcnt vmcnt(3)
	v_pk_fma_f32 v[64:65], v[82:83], v[96:97], v[62:63] op_sel:[0,0,1] op_sel_hi:[1,1,0] neg_lo:[0,0,1] neg_hi:[0,0,1]
	v_pk_fma_f32 v[62:63], v[82:83], v[96:97], v[62:63] op_sel:[0,0,1] op_sel_hi:[1,0,0]
	s_waitcnt vmcnt(2)
	v_mov_b32_e32 v62, v99
	v_mov_b32_e32 v65, v63
	s_waitcnt lgkmcnt(0)
	v_pk_mul_f32 v[62:63], v[102:103], v[62:63] op_sel_hi:[1,0]
	v_pk_add_f32 v[60:61], v[60:61], v[64:65]
	v_pk_fma_f32 v[64:65], v[102:103], v[98:99], v[62:63] op_sel:[0,0,1] op_sel_hi:[1,1,0] neg_lo:[0,0,1] neg_hi:[0,0,1]
	v_pk_fma_f32 v[62:63], v[102:103], v[98:99], v[62:63] op_sel:[0,0,1] op_sel_hi:[1,0,0]
	v_mov_b32_e32 v65, v63
	v_pk_add_f32 v[60:61], v[60:61], v[64:65]
	s_waitcnt vmcnt(0)
	v_pk_add_f32 v[60:61], v[100:101], v[60:61] neg_lo:[0,1] neg_hi:[0,1]
	buffer_store_dword v61, off, s[0:3], 0 offset:116
	buffer_store_dword v60, off, s[0:3], 0 offset:112
	s_and_saveexec_b64 s[4:5], vcc
	s_cbranch_execz .LBB27_155
; %bb.154:
	buffer_load_dword v60, off, s[0:3], 0 offset:104
	buffer_load_dword v61, off, s[0:3], 0 offset:108
	s_waitcnt vmcnt(0)
	ds_write_b64 v1, v[60:61]
	buffer_store_dword v58, off, s[0:3], 0 offset:104
	buffer_store_dword v58, off, s[0:3], 0 offset:108
.LBB27_155:
	s_or_b64 exec, exec, s[4:5]
	s_waitcnt lgkmcnt(0)
	; wave barrier
	s_waitcnt lgkmcnt(0)
	buffer_load_dword v106, off, s[0:3], 0 offset:116
	buffer_load_dword v108, off, s[0:3], 0 offset:124
	;; [unrolled: 1-line block ×30, first 2 shown]
	ds_read_b128 v[60:63], v58 offset:336
	ds_read_b128 v[64:67], v58 offset:352
	;; [unrolled: 1-line block ×7, first 2 shown]
	v_cmp_lt_u32_e32 vcc, 12, v0
	s_waitcnt vmcnt(29) lgkmcnt(6)
	v_mul_f32_e32 v119, v60, v106
	s_waitcnt vmcnt(28)
	v_mul_f32_e32 v120, v62, v108
	s_waitcnt vmcnt(27) lgkmcnt(5)
	v_mul_f32_e32 v121, v64, v109
	v_mul_f32_e32 v109, v65, v109
	s_waitcnt vmcnt(26)
	v_mul_f32_e32 v122, v66, v110
	s_waitcnt vmcnt(25) lgkmcnt(4)
	v_mul_f32_e32 v59, v68, v111
	v_mul_f32_e32 v58, v61, v106
	;; [unrolled: 1-line block ×5, first 2 shown]
	s_waitcnt vmcnt(23)
	v_mov_b32_e32 v108, v89
	s_waitcnt vmcnt(22)
	v_mov_b32_e32 v110, v91
	s_waitcnt vmcnt(18)
	v_fma_f32 v109, v64, v115, -v109
	v_fmac_f32_e32 v119, v61, v113
	v_fmac_f32_e32 v120, v63, v114
	s_waitcnt vmcnt(17)
	v_fmac_f32_e32 v122, v67, v116
	v_fma_f32 v67, v60, v113, -v58
	v_fma_f32 v113, v62, v114, -v106
	s_waitcnt lgkmcnt(3)
	v_pk_mul_f32 v[60:61], v[72:73], v[108:109] op_sel_hi:[1,0]
	v_pk_mul_f32 v[62:63], v[74:75], v[110:111] op_sel_hi:[1,0]
	s_waitcnt vmcnt(16)
	v_fmac_f32_e32 v59, v69, v117
	v_fma_f32 v114, v66, v116, -v123
	v_fma_f32 v58, v68, v117, -v111
	v_add_f32_e32 v108, 0, v119
	v_add_f32_e32 v110, 0, v67
	s_waitcnt vmcnt(14)
	v_pk_fma_f32 v[66:67], v[72:73], v[88:89], v[60:61] op_sel:[0,0,1] op_sel_hi:[1,1,0] neg_lo:[0,0,1] neg_hi:[0,0,1]
	v_pk_fma_f32 v[60:61], v[72:73], v[88:89], v[60:61] op_sel:[0,0,1] op_sel_hi:[1,0,0]
	s_waitcnt vmcnt(10)
	v_pk_fma_f32 v[68:69], v[74:75], v[90:91], v[62:63] op_sel:[0,0,1] op_sel_hi:[1,1,0] neg_lo:[0,0,1] neg_hi:[0,0,1]
	v_pk_fma_f32 v[62:63], v[74:75], v[90:91], v[62:63] op_sel:[0,0,1] op_sel_hi:[1,0,0]
	v_fmac_f32_e32 v121, v65, v115
	v_add_f32_e32 v60, v108, v120
	v_add_f32_e32 v62, v110, v113
	;; [unrolled: 1-line block ×4, first 2 shown]
	v_mul_f32_e32 v107, v70, v112
	v_mul_f32_e32 v124, v71, v112
	v_mov_b32_e32 v67, v61
	v_add_f32_e32 v61, v60, v122
	v_add_f32_e32 v60, v62, v114
	v_mov_b32_e32 v112, v93
	v_fmac_f32_e32 v107, v71, v118
	v_fma_f32 v106, v70, v118, -v124
	v_pk_add_f32 v[58:59], v[60:61], v[58:59]
	s_waitcnt vmcnt(9)
	v_mov_b32_e32 v60, v97
	s_waitcnt lgkmcnt(2)
	v_pk_mul_f32 v[64:65], v[76:77], v[112:113] op_sel_hi:[1,0]
	v_pk_add_f32 v[58:59], v[58:59], v[106:107]
	v_pk_mul_f32 v[60:61], v[78:79], v[60:61] op_sel_hi:[1,0]
	v_pk_fma_f32 v[70:71], v[76:77], v[92:93], v[64:65] op_sel:[0,0,1] op_sel_hi:[1,1,0] neg_lo:[0,0,1] neg_hi:[0,0,1]
	v_pk_fma_f32 v[64:65], v[76:77], v[92:93], v[64:65] op_sel:[0,0,1] op_sel_hi:[1,0,0]
	v_mov_b32_e32 v69, v63
	v_pk_add_f32 v[58:59], v[58:59], v[66:67]
	v_pk_fma_f32 v[62:63], v[78:79], v[96:97], v[60:61] op_sel:[0,0,1] op_sel_hi:[1,1,0] neg_lo:[0,0,1] neg_hi:[0,0,1]
	v_pk_fma_f32 v[60:61], v[78:79], v[96:97], v[60:61] op_sel:[0,0,1] op_sel_hi:[1,0,0]
	v_mov_b32_e32 v71, v65
	v_pk_add_f32 v[58:59], v[58:59], v[68:69]
	s_waitcnt vmcnt(8)
	v_mov_b32_e32 v60, v95
	v_pk_add_f32 v[58:59], v[58:59], v[70:71]
	v_mov_b32_e32 v63, v61
	s_waitcnt lgkmcnt(1)
	v_pk_mul_f32 v[60:61], v[80:81], v[60:61] op_sel_hi:[1,0]
	v_pk_add_f32 v[58:59], v[58:59], v[62:63]
	v_pk_fma_f32 v[62:63], v[80:81], v[94:95], v[60:61] op_sel:[0,0,1] op_sel_hi:[1,1,0] neg_lo:[0,0,1] neg_hi:[0,0,1]
	v_pk_fma_f32 v[60:61], v[80:81], v[94:95], v[60:61] op_sel:[0,0,1] op_sel_hi:[1,0,0]
	s_waitcnt vmcnt(7)
	v_mov_b32_e32 v60, v99
	v_mov_b32_e32 v63, v61
	v_pk_mul_f32 v[60:61], v[82:83], v[60:61] op_sel_hi:[1,0]
	v_pk_add_f32 v[58:59], v[58:59], v[62:63]
	s_waitcnt vmcnt(4)
	v_pk_fma_f32 v[62:63], v[82:83], v[98:99], v[60:61] op_sel:[0,0,1] op_sel_hi:[1,1,0] neg_lo:[0,0,1] neg_hi:[0,0,1]
	v_pk_fma_f32 v[60:61], v[82:83], v[98:99], v[60:61] op_sel:[0,0,1] op_sel_hi:[1,0,0]
	s_waitcnt vmcnt(3)
	v_mov_b32_e32 v60, v103
	v_mov_b32_e32 v63, v61
	s_waitcnt lgkmcnt(0)
	v_pk_mul_f32 v[60:61], v[84:85], v[60:61] op_sel_hi:[1,0]
	v_pk_add_f32 v[58:59], v[58:59], v[62:63]
	v_pk_fma_f32 v[62:63], v[84:85], v[102:103], v[60:61] op_sel:[0,0,1] op_sel_hi:[1,1,0] neg_lo:[0,0,1] neg_hi:[0,0,1]
	v_pk_fma_f32 v[60:61], v[84:85], v[102:103], v[60:61] op_sel:[0,0,1] op_sel_hi:[1,0,0]
	s_waitcnt vmcnt(0)
	v_mov_b32_e32 v60, v101
	v_mov_b32_e32 v63, v61
	v_pk_mul_f32 v[60:61], v[86:87], v[60:61] op_sel_hi:[1,0]
	v_pk_add_f32 v[58:59], v[58:59], v[62:63]
	v_pk_fma_f32 v[62:63], v[86:87], v[100:101], v[60:61] op_sel:[0,0,1] op_sel_hi:[1,1,0] neg_lo:[0,0,1] neg_hi:[0,0,1]
	v_pk_fma_f32 v[60:61], v[86:87], v[100:101], v[60:61] op_sel:[0,0,1] op_sel_hi:[1,0,0]
	v_mov_b32_e32 v63, v61
	v_pk_add_f32 v[58:59], v[58:59], v[62:63]
	v_pk_add_f32 v[58:59], v[104:105], v[58:59] neg_lo:[0,1] neg_hi:[0,1]
	buffer_store_dword v59, off, s[0:3], 0 offset:108
	buffer_store_dword v58, off, s[0:3], 0 offset:104
	s_and_saveexec_b64 s[4:5], vcc
	s_cbranch_execz .LBB27_157
; %bb.156:
	buffer_load_dword v58, off, s[0:3], 0 offset:96
	buffer_load_dword v59, off, s[0:3], 0 offset:100
	v_mov_b32_e32 v60, 0
	buffer_store_dword v60, off, s[0:3], 0 offset:96
	buffer_store_dword v60, off, s[0:3], 0 offset:100
	s_waitcnt vmcnt(2)
	ds_write_b64 v1, v[58:59]
.LBB27_157:
	s_or_b64 exec, exec, s[4:5]
	v_mov_b32_e32 v60, 0
	s_waitcnt lgkmcnt(0)
	; wave barrier
	s_waitcnt lgkmcnt(0)
	ds_read2_b64 v[62:65], v60 offset0:41 offset1:42
	buffer_load_dword v58, off, s[0:3], 0 offset:96
	buffer_load_dword v59, off, s[0:3], 0 offset:100
	;; [unrolled: 1-line block ×16, first 2 shown]
	v_cmp_lt_u32_e32 vcc, 11, v0
	s_waitcnt vmcnt(12) lgkmcnt(0)
	v_mul_f32_e32 v66, v62, v78
	v_fmac_f32_e32 v66, v63, v61
	s_waitcnt vmcnt(10)
	v_mul_f32_e32 v67, v64, v82
	v_add_f32_e32 v66, 0, v66
	v_fmac_f32_e32 v67, v65, v80
	v_add_f32_e32 v70, v66, v67
	ds_read2_b64 v[66:69], v60 offset0:43 offset1:44
	v_mul_f32_e32 v63, v63, v78
	v_fma_f32 v61, v62, v61, -v63
	v_mul_f32_e32 v62, v65, v82
	v_add_f32_e32 v61, 0, v61
	s_waitcnt vmcnt(8) lgkmcnt(0)
	v_mul_f32_e32 v71, v66, v101
	v_fmac_f32_e32 v71, v67, v100
	v_add_f32_e32 v70, v70, v71
	s_waitcnt vmcnt(6)
	v_mul_f32_e32 v71, v68, v103
	v_fmac_f32_e32 v71, v69, v102
	v_add_f32_e32 v74, v70, v71
	ds_read2_b64 v[70:73], v60 offset0:45 offset1:46
	v_fma_f32 v62, v64, v80, -v62
	v_add_f32_e32 v61, v61, v62
	v_mul_f32_e32 v62, v67, v101
	v_fma_f32 v62, v66, v100, -v62
	s_waitcnt vmcnt(4) lgkmcnt(0)
	v_mul_f32_e32 v75, v70, v105
	v_fmac_f32_e32 v75, v71, v104
	v_add_f32_e32 v79, v74, v75
	ds_read2_b64 v[74:77], v60 offset0:47 offset1:48
	buffer_load_dword v85, off, s[0:3], 0 offset:164
	buffer_load_dword v84, off, s[0:3], 0 offset:160
	;; [unrolled: 1-line block ×16, first 2 shown]
	v_add_f32_e32 v61, v61, v62
	v_mul_f32_e32 v62, v69, v103
	v_fma_f32 v62, v68, v102, -v62
	v_add_f32_e32 v61, v61, v62
	v_mul_f32_e32 v62, v71, v105
	v_fma_f32 v62, v70, v104, -v62
	s_waitcnt vmcnt(18)
	v_mul_f32_e32 v81, v72, v107
	v_add_f32_e32 v78, v61, v62
	v_mul_f32_e32 v61, v73, v107
	v_fmac_f32_e32 v81, v73, v106
	v_fma_f32 v80, v72, v106, -v61
	s_waitcnt vmcnt(16) lgkmcnt(0)
	v_mul_f32_e32 v83, v74, v109
	v_mul_f32_e32 v61, v75, v109
	v_pk_add_f32 v[78:79], v[78:79], v[80:81]
	v_fmac_f32_e32 v83, v75, v108
	v_fma_f32 v82, v74, v108, -v61
	v_pk_add_f32 v[78:79], v[78:79], v[82:83]
	ds_read2_b64 v[62:65], v60 offset0:49 offset1:50
	ds_read2_b64 v[66:69], v60 offset0:51 offset1:52
	;; [unrolled: 1-line block ×3, first 2 shown]
	ds_read_b64 v[74:75], v60 offset:440
	s_waitcnt vmcnt(15)
	v_mov_b32_e32 v80, v85
	v_pk_mul_f32 v[80:81], v[76:77], v[80:81] op_sel_hi:[1,0]
	s_waitcnt vmcnt(14)
	v_pk_fma_f32 v[82:83], v[76:77], v[84:85], v[80:81] op_sel:[0,0,1] op_sel_hi:[1,1,0] neg_lo:[0,0,1] neg_hi:[0,0,1]
	v_pk_fma_f32 v[76:77], v[76:77], v[84:85], v[80:81] op_sel:[0,0,1] op_sel_hi:[1,0,0]
	v_mov_b32_e32 v83, v77
	v_pk_add_f32 v[76:77], v[78:79], v[82:83]
	s_waitcnt vmcnt(13)
	v_mov_b32_e32 v78, v87
	s_waitcnt lgkmcnt(3)
	v_pk_mul_f32 v[78:79], v[62:63], v[78:79] op_sel_hi:[1,0]
	s_waitcnt vmcnt(12)
	v_pk_fma_f32 v[80:81], v[62:63], v[86:87], v[78:79] op_sel:[0,0,1] op_sel_hi:[1,1,0] neg_lo:[0,0,1] neg_hi:[0,0,1]
	v_pk_fma_f32 v[62:63], v[62:63], v[86:87], v[78:79] op_sel:[0,0,1] op_sel_hi:[1,0,0]
	v_mov_b32_e32 v81, v63
	v_pk_add_f32 v[62:63], v[76:77], v[80:81]
	s_waitcnt vmcnt(11)
	v_mov_b32_e32 v76, v89
	v_pk_mul_f32 v[76:77], v[64:65], v[76:77] op_sel_hi:[1,0]
	s_waitcnt vmcnt(10)
	v_pk_fma_f32 v[78:79], v[64:65], v[88:89], v[76:77] op_sel:[0,0,1] op_sel_hi:[1,1,0] neg_lo:[0,0,1] neg_hi:[0,0,1]
	v_pk_fma_f32 v[64:65], v[64:65], v[88:89], v[76:77] op_sel:[0,0,1] op_sel_hi:[1,0,0]
	s_waitcnt vmcnt(9)
	v_mov_b32_e32 v64, v91
	v_mov_b32_e32 v79, v65
	s_waitcnt lgkmcnt(2)
	v_pk_mul_f32 v[64:65], v[66:67], v[64:65] op_sel_hi:[1,0]
	s_waitcnt vmcnt(8)
	v_pk_fma_f32 v[76:77], v[66:67], v[90:91], v[64:65] op_sel:[0,0,1] op_sel_hi:[1,1,0] neg_lo:[0,0,1] neg_hi:[0,0,1]
	v_pk_fma_f32 v[64:65], v[66:67], v[90:91], v[64:65] op_sel:[0,0,1] op_sel_hi:[1,0,0]
	s_waitcnt vmcnt(7)
	v_mov_b32_e32 v64, v93
	v_mov_b32_e32 v77, v65
	v_pk_mul_f32 v[64:65], v[68:69], v[64:65] op_sel_hi:[1,0]
	s_waitcnt vmcnt(6)
	v_pk_fma_f32 v[66:67], v[68:69], v[92:93], v[64:65] op_sel:[0,0,1] op_sel_hi:[1,1,0] neg_lo:[0,0,1] neg_hi:[0,0,1]
	v_pk_fma_f32 v[64:65], v[68:69], v[92:93], v[64:65] op_sel:[0,0,1] op_sel_hi:[1,0,0]
	v_pk_add_f32 v[62:63], v[62:63], v[78:79]
	s_waitcnt vmcnt(5)
	v_mov_b32_e32 v64, v95
	v_pk_add_f32 v[62:63], v[62:63], v[76:77]
	v_mov_b32_e32 v67, v65
	s_waitcnt lgkmcnt(1)
	v_pk_mul_f32 v[64:65], v[70:71], v[64:65] op_sel_hi:[1,0]
	v_pk_add_f32 v[62:63], v[62:63], v[66:67]
	s_waitcnt vmcnt(4)
	v_pk_fma_f32 v[66:67], v[70:71], v[94:95], v[64:65] op_sel:[0,0,1] op_sel_hi:[1,1,0] neg_lo:[0,0,1] neg_hi:[0,0,1]
	v_pk_fma_f32 v[64:65], v[70:71], v[94:95], v[64:65] op_sel:[0,0,1] op_sel_hi:[1,0,0]
	s_waitcnt vmcnt(3)
	v_mov_b32_e32 v64, v97
	v_mov_b32_e32 v67, v65
	v_pk_mul_f32 v[64:65], v[72:73], v[64:65] op_sel_hi:[1,0]
	v_pk_add_f32 v[62:63], v[62:63], v[66:67]
	s_waitcnt vmcnt(2)
	v_pk_fma_f32 v[66:67], v[72:73], v[96:97], v[64:65] op_sel:[0,0,1] op_sel_hi:[1,1,0] neg_lo:[0,0,1] neg_hi:[0,0,1]
	v_pk_fma_f32 v[64:65], v[72:73], v[96:97], v[64:65] op_sel:[0,0,1] op_sel_hi:[1,0,0]
	s_waitcnt vmcnt(1)
	v_mov_b32_e32 v64, v99
	v_mov_b32_e32 v67, v65
	s_waitcnt lgkmcnt(0)
	v_pk_mul_f32 v[64:65], v[74:75], v[64:65] op_sel_hi:[1,0]
	v_pk_add_f32 v[62:63], v[62:63], v[66:67]
	s_waitcnt vmcnt(0)
	v_pk_fma_f32 v[66:67], v[74:75], v[98:99], v[64:65] op_sel:[0,0,1] op_sel_hi:[1,1,0] neg_lo:[0,0,1] neg_hi:[0,0,1]
	v_pk_fma_f32 v[64:65], v[74:75], v[98:99], v[64:65] op_sel:[0,0,1] op_sel_hi:[1,0,0]
	v_mov_b32_e32 v67, v65
	v_pk_add_f32 v[62:63], v[62:63], v[66:67]
	v_pk_add_f32 v[58:59], v[58:59], v[62:63] neg_lo:[0,1] neg_hi:[0,1]
	buffer_store_dword v59, off, s[0:3], 0 offset:100
	buffer_store_dword v58, off, s[0:3], 0 offset:96
	s_and_saveexec_b64 s[4:5], vcc
	s_cbranch_execz .LBB27_159
; %bb.158:
	buffer_load_dword v58, off, s[0:3], 0 offset:88
	buffer_load_dword v59, off, s[0:3], 0 offset:92
	s_waitcnt vmcnt(0)
	ds_write_b64 v1, v[58:59]
	buffer_store_dword v60, off, s[0:3], 0 offset:88
	buffer_store_dword v60, off, s[0:3], 0 offset:92
.LBB27_159:
	s_or_b64 exec, exec, s[4:5]
	s_waitcnt lgkmcnt(0)
	; wave barrier
	s_waitcnt lgkmcnt(0)
	ds_read_b128 v[62:65], v60 offset:320
	ds_read_b128 v[66:69], v60 offset:336
	;; [unrolled: 1-line block ×4, first 2 shown]
	buffer_load_dword v58, off, s[0:3], 0 offset:88
	buffer_load_dword v59, off, s[0:3], 0 offset:92
	;; [unrolled: 1-line block ×20, first 2 shown]
	v_cmp_lt_u32_e32 vcc, 10, v0
	s_waitcnt vmcnt(16) lgkmcnt(3)
	v_mul_f32_e32 v78, v62, v82
	v_fmac_f32_e32 v78, v63, v61
	s_waitcnt vmcnt(14)
	v_mul_f32_e32 v79, v64, v86
	v_add_f32_e32 v78, 0, v78
	v_fmac_f32_e32 v79, v65, v84
	v_add_f32_e32 v78, v78, v79
	s_waitcnt vmcnt(12) lgkmcnt(2)
	v_mul_f32_e32 v79, v66, v105
	v_fmac_f32_e32 v79, v67, v104
	v_add_f32_e32 v78, v78, v79
	s_waitcnt vmcnt(10)
	v_mul_f32_e32 v79, v68, v107
	v_fmac_f32_e32 v79, v69, v106
	v_add_f32_e32 v78, v78, v79
	s_waitcnt vmcnt(8) lgkmcnt(1)
	v_mul_f32_e32 v79, v70, v109
	v_fmac_f32_e32 v79, v71, v108
	v_add_f32_e32 v78, v78, v79
	s_waitcnt vmcnt(6)
	v_mul_f32_e32 v79, v72, v111
	v_fmac_f32_e32 v79, v73, v110
	v_add_f32_e32 v83, v78, v79
	ds_read_b128 v[78:81], v60 offset:384
	buffer_load_dword v91, off, s[0:3], 0 offset:172
	buffer_load_dword v90, off, s[0:3], 0 offset:168
	;; [unrolled: 1-line block ×14, first 2 shown]
	v_mul_f32_e32 v63, v63, v82
	v_fma_f32 v61, v62, v61, -v63
	v_mul_f32_e32 v62, v65, v86
	v_add_f32_e32 v61, 0, v61
	v_fma_f32 v62, v64, v84, -v62
	v_add_f32_e32 v61, v61, v62
	v_mul_f32_e32 v62, v67, v105
	v_fma_f32 v62, v66, v104, -v62
	v_add_f32_e32 v61, v61, v62
	v_mul_f32_e32 v62, v69, v107
	;; [unrolled: 3-line block ×4, first 2 shown]
	v_fma_f32 v62, v72, v110, -v62
	v_add_f32_e32 v82, v61, v62
	s_waitcnt vmcnt(18) lgkmcnt(1)
	v_mul_f32_e32 v61, v75, v113
	v_mul_f32_e32 v85, v74, v113
	v_fma_f32 v84, v74, v112, -v61
	s_waitcnt vmcnt(15)
	v_mov_b32_e32 v74, v89
	v_fmac_f32_e32 v85, v75, v112
	v_mul_f32_e32 v87, v76, v115
	v_mul_f32_e32 v61, v77, v115
	s_waitcnt lgkmcnt(0)
	v_pk_mul_f32 v[74:75], v[78:79], v[74:75] op_sel_hi:[1,0]
	v_fmac_f32_e32 v87, v77, v114
	v_fma_f32 v86, v76, v114, -v61
	s_waitcnt vmcnt(14)
	v_pk_fma_f32 v[76:77], v[78:79], v[88:89], v[74:75] op_sel:[0,0,1] op_sel_hi:[1,1,0] neg_lo:[0,0,1] neg_hi:[0,0,1]
	v_pk_fma_f32 v[74:75], v[78:79], v[88:89], v[74:75] op_sel:[0,0,1] op_sel_hi:[1,0,0]
	ds_read_b128 v[62:65], v60 offset:400
	ds_read_b128 v[66:69], v60 offset:416
	;; [unrolled: 1-line block ×3, first 2 shown]
	v_pk_add_f32 v[60:61], v[82:83], v[84:85]
	v_pk_add_f32 v[60:61], v[60:61], v[86:87]
	v_mov_b32_e32 v77, v75
	v_pk_add_f32 v[60:61], v[60:61], v[76:77]
	s_waitcnt vmcnt(13)
	v_mov_b32_e32 v74, v91
	v_pk_mul_f32 v[74:75], v[80:81], v[74:75] op_sel_hi:[1,0]
	s_waitcnt vmcnt(12)
	v_pk_fma_f32 v[76:77], v[80:81], v[90:91], v[74:75] op_sel:[0,0,1] op_sel_hi:[1,1,0] neg_lo:[0,0,1] neg_hi:[0,0,1]
	v_pk_fma_f32 v[74:75], v[80:81], v[90:91], v[74:75] op_sel:[0,0,1] op_sel_hi:[1,0,0]
	s_waitcnt vmcnt(11)
	v_mov_b32_e32 v74, v93
	v_mov_b32_e32 v77, v75
	s_waitcnt lgkmcnt(2)
	v_pk_mul_f32 v[74:75], v[62:63], v[74:75] op_sel_hi:[1,0]
	v_pk_add_f32 v[60:61], v[60:61], v[76:77]
	s_waitcnt vmcnt(10)
	v_pk_fma_f32 v[76:77], v[62:63], v[92:93], v[74:75] op_sel:[0,0,1] op_sel_hi:[1,1,0] neg_lo:[0,0,1] neg_hi:[0,0,1]
	v_pk_fma_f32 v[62:63], v[62:63], v[92:93], v[74:75] op_sel:[0,0,1] op_sel_hi:[1,0,0]
	s_waitcnt vmcnt(9)
	v_mov_b32_e32 v62, v95
	v_mov_b32_e32 v77, v63
	v_pk_mul_f32 v[62:63], v[64:65], v[62:63] op_sel_hi:[1,0]
	s_waitcnt vmcnt(8)
	v_pk_fma_f32 v[74:75], v[64:65], v[94:95], v[62:63] op_sel:[0,0,1] op_sel_hi:[1,1,0] neg_lo:[0,0,1] neg_hi:[0,0,1]
	v_pk_fma_f32 v[62:63], v[64:65], v[94:95], v[62:63] op_sel:[0,0,1] op_sel_hi:[1,0,0]
	s_waitcnt vmcnt(7)
	v_mov_b32_e32 v62, v97
	v_mov_b32_e32 v75, v63
	s_waitcnt lgkmcnt(1)
	v_pk_mul_f32 v[62:63], v[66:67], v[62:63] op_sel_hi:[1,0]
	s_waitcnt vmcnt(6)
	v_pk_fma_f32 v[64:65], v[66:67], v[96:97], v[62:63] op_sel:[0,0,1] op_sel_hi:[1,1,0] neg_lo:[0,0,1] neg_hi:[0,0,1]
	v_pk_fma_f32 v[62:63], v[66:67], v[96:97], v[62:63] op_sel:[0,0,1] op_sel_hi:[1,0,0]
	v_pk_add_f32 v[60:61], v[60:61], v[76:77]
	s_waitcnt vmcnt(5)
	v_mov_b32_e32 v62, v99
	v_pk_add_f32 v[60:61], v[60:61], v[74:75]
	v_mov_b32_e32 v65, v63
	v_pk_mul_f32 v[62:63], v[68:69], v[62:63] op_sel_hi:[1,0]
	v_pk_add_f32 v[60:61], v[60:61], v[64:65]
	s_waitcnt vmcnt(4)
	v_pk_fma_f32 v[64:65], v[68:69], v[98:99], v[62:63] op_sel:[0,0,1] op_sel_hi:[1,1,0] neg_lo:[0,0,1] neg_hi:[0,0,1]
	v_pk_fma_f32 v[62:63], v[68:69], v[98:99], v[62:63] op_sel:[0,0,1] op_sel_hi:[1,0,0]
	s_waitcnt vmcnt(3)
	v_mov_b32_e32 v62, v101
	v_mov_b32_e32 v65, v63
	s_waitcnt lgkmcnt(0)
	v_pk_mul_f32 v[62:63], v[70:71], v[62:63] op_sel_hi:[1,0]
	v_pk_add_f32 v[60:61], v[60:61], v[64:65]
	s_waitcnt vmcnt(2)
	v_pk_fma_f32 v[64:65], v[70:71], v[100:101], v[62:63] op_sel:[0,0,1] op_sel_hi:[1,1,0] neg_lo:[0,0,1] neg_hi:[0,0,1]
	v_pk_fma_f32 v[62:63], v[70:71], v[100:101], v[62:63] op_sel:[0,0,1] op_sel_hi:[1,0,0]
	s_waitcnt vmcnt(1)
	v_mov_b32_e32 v62, v103
	v_mov_b32_e32 v65, v63
	v_pk_mul_f32 v[62:63], v[72:73], v[62:63] op_sel_hi:[1,0]
	v_pk_add_f32 v[60:61], v[60:61], v[64:65]
	s_waitcnt vmcnt(0)
	v_pk_fma_f32 v[64:65], v[72:73], v[102:103], v[62:63] op_sel:[0,0,1] op_sel_hi:[1,1,0] neg_lo:[0,0,1] neg_hi:[0,0,1]
	v_pk_fma_f32 v[62:63], v[72:73], v[102:103], v[62:63] op_sel:[0,0,1] op_sel_hi:[1,0,0]
	v_mov_b32_e32 v65, v63
	v_pk_add_f32 v[60:61], v[60:61], v[64:65]
	v_pk_add_f32 v[58:59], v[58:59], v[60:61] neg_lo:[0,1] neg_hi:[0,1]
	buffer_store_dword v59, off, s[0:3], 0 offset:92
	buffer_store_dword v58, off, s[0:3], 0 offset:88
	s_and_saveexec_b64 s[4:5], vcc
	s_cbranch_execz .LBB27_161
; %bb.160:
	buffer_load_dword v58, off, s[0:3], 0 offset:80
	buffer_load_dword v59, off, s[0:3], 0 offset:84
	v_mov_b32_e32 v60, 0
	buffer_store_dword v60, off, s[0:3], 0 offset:80
	buffer_store_dword v60, off, s[0:3], 0 offset:84
	s_waitcnt vmcnt(2)
	ds_write_b64 v1, v[58:59]
.LBB27_161:
	s_or_b64 exec, exec, s[4:5]
	v_mov_b32_e32 v60, 0
	s_waitcnt lgkmcnt(0)
	; wave barrier
	s_waitcnt lgkmcnt(0)
	ds_read2_b64 v[62:65], v60 offset0:39 offset1:40
	buffer_load_dword v58, off, s[0:3], 0 offset:80
	buffer_load_dword v59, off, s[0:3], 0 offset:84
	;; [unrolled: 1-line block ×16, first 2 shown]
	v_cmp_lt_u32_e32 vcc, 9, v0
	s_waitcnt vmcnt(12) lgkmcnt(0)
	v_mul_f32_e32 v66, v62, v82
	v_fmac_f32_e32 v66, v63, v61
	s_waitcnt vmcnt(10)
	v_mul_f32_e32 v67, v64, v86
	v_add_f32_e32 v66, 0, v66
	v_fmac_f32_e32 v67, v65, v84
	v_add_f32_e32 v70, v66, v67
	ds_read2_b64 v[66:69], v60 offset0:41 offset1:42
	v_mul_f32_e32 v63, v63, v82
	v_fma_f32 v61, v62, v61, -v63
	v_mul_f32_e32 v62, v65, v86
	v_add_f32_e32 v61, 0, v61
	s_waitcnt vmcnt(8) lgkmcnt(0)
	v_mul_f32_e32 v71, v66, v105
	v_fmac_f32_e32 v71, v67, v104
	v_add_f32_e32 v70, v70, v71
	s_waitcnt vmcnt(6)
	v_mul_f32_e32 v71, v68, v107
	v_fmac_f32_e32 v71, v69, v106
	v_add_f32_e32 v74, v70, v71
	ds_read2_b64 v[70:73], v60 offset0:43 offset1:44
	v_fma_f32 v62, v64, v84, -v62
	v_add_f32_e32 v61, v61, v62
	v_mul_f32_e32 v62, v67, v105
	v_fma_f32 v62, v66, v104, -v62
	s_waitcnt vmcnt(4) lgkmcnt(0)
	v_mul_f32_e32 v75, v70, v109
	v_fmac_f32_e32 v75, v71, v108
	v_add_f32_e32 v74, v74, v75
	s_waitcnt vmcnt(2)
	v_mul_f32_e32 v75, v72, v111
	v_fmac_f32_e32 v75, v73, v110
	v_add_f32_e32 v78, v74, v75
	ds_read2_b64 v[74:77], v60 offset0:45 offset1:46
	buffer_load_dword v114, off, s[0:3], 0 offset:144
	buffer_load_dword v115, off, s[0:3], 0 offset:148
	v_add_f32_e32 v61, v61, v62
	v_mul_f32_e32 v62, v69, v107
	v_fma_f32 v62, v68, v106, -v62
	s_waitcnt vmcnt(2) lgkmcnt(0)
	v_mul_f32_e32 v79, v74, v113
	v_fmac_f32_e32 v79, v75, v112
	v_add_f32_e32 v83, v78, v79
	ds_read2_b64 v[78:81], v60 offset0:47 offset1:48
	buffer_load_dword v116, off, s[0:3], 0 offset:152
	buffer_load_dword v117, off, s[0:3], 0 offset:156
	;; [unrolled: 1-line block ×18, first 2 shown]
	v_add_f32_e32 v61, v61, v62
	v_mul_f32_e32 v62, v71, v109
	v_fma_f32 v62, v70, v108, -v62
	v_add_f32_e32 v61, v61, v62
	v_mul_f32_e32 v62, v73, v111
	v_fma_f32 v62, v72, v110, -v62
	;; [unrolled: 3-line block ×3, first 2 shown]
	v_add_f32_e32 v82, v61, v62
	ds_read2_b64 v[62:65], v60 offset0:49 offset1:50
	ds_read2_b64 v[66:69], v60 offset0:51 offset1:52
	;; [unrolled: 1-line block ×3, first 2 shown]
	ds_read_b64 v[74:75], v60 offset:440
	s_waitcnt vmcnt(18)
	v_mul_f32_e32 v61, v77, v115
	v_fma_f32 v84, v76, v114, -v61
	v_mul_f32_e32 v85, v76, v115
	v_fmac_f32_e32 v85, v77, v114
	v_pk_add_f32 v[76:77], v[82:83], v[84:85]
	s_waitcnt vmcnt(16) lgkmcnt(4)
	v_mul_f32_e32 v61, v79, v117
	v_mul_f32_e32 v87, v78, v117
	v_fma_f32 v86, v78, v116, -v61
	s_waitcnt vmcnt(15)
	v_mov_b32_e32 v78, v89
	v_fmac_f32_e32 v87, v79, v116
	v_pk_mul_f32 v[78:79], v[80:81], v[78:79] op_sel_hi:[1,0]
	s_waitcnt vmcnt(14)
	v_pk_fma_f32 v[82:83], v[80:81], v[88:89], v[78:79] op_sel:[0,0,1] op_sel_hi:[1,1,0] neg_lo:[0,0,1] neg_hi:[0,0,1]
	v_pk_fma_f32 v[78:79], v[80:81], v[88:89], v[78:79] op_sel:[0,0,1] op_sel_hi:[1,0,0]
	s_waitcnt vmcnt(13)
	v_mov_b32_e32 v78, v91
	v_mov_b32_e32 v83, v79
	s_waitcnt lgkmcnt(3)
	v_pk_mul_f32 v[78:79], v[62:63], v[78:79] op_sel_hi:[1,0]
	v_pk_add_f32 v[76:77], v[76:77], v[86:87]
	s_waitcnt vmcnt(12)
	v_pk_fma_f32 v[80:81], v[62:63], v[90:91], v[78:79] op_sel:[0,0,1] op_sel_hi:[1,1,0] neg_lo:[0,0,1] neg_hi:[0,0,1]
	v_pk_fma_f32 v[62:63], v[62:63], v[90:91], v[78:79] op_sel:[0,0,1] op_sel_hi:[1,0,0]
	v_pk_add_f32 v[76:77], v[76:77], v[82:83]
	v_mov_b32_e32 v81, v63
	v_pk_add_f32 v[62:63], v[76:77], v[80:81]
	s_waitcnt vmcnt(11)
	v_mov_b32_e32 v76, v93
	v_pk_mul_f32 v[76:77], v[64:65], v[76:77] op_sel_hi:[1,0]
	s_waitcnt vmcnt(10)
	v_pk_fma_f32 v[78:79], v[64:65], v[92:93], v[76:77] op_sel:[0,0,1] op_sel_hi:[1,1,0] neg_lo:[0,0,1] neg_hi:[0,0,1]
	v_pk_fma_f32 v[64:65], v[64:65], v[92:93], v[76:77] op_sel:[0,0,1] op_sel_hi:[1,0,0]
	s_waitcnt vmcnt(9)
	v_mov_b32_e32 v64, v95
	v_mov_b32_e32 v79, v65
	s_waitcnt lgkmcnt(2)
	v_pk_mul_f32 v[64:65], v[66:67], v[64:65] op_sel_hi:[1,0]
	s_waitcnt vmcnt(8)
	v_pk_fma_f32 v[76:77], v[66:67], v[94:95], v[64:65] op_sel:[0,0,1] op_sel_hi:[1,1,0] neg_lo:[0,0,1] neg_hi:[0,0,1]
	v_pk_fma_f32 v[64:65], v[66:67], v[94:95], v[64:65] op_sel:[0,0,1] op_sel_hi:[1,0,0]
	s_waitcnt vmcnt(7)
	v_mov_b32_e32 v64, v97
	v_mov_b32_e32 v77, v65
	v_pk_mul_f32 v[64:65], v[68:69], v[64:65] op_sel_hi:[1,0]
	s_waitcnt vmcnt(6)
	v_pk_fma_f32 v[66:67], v[68:69], v[96:97], v[64:65] op_sel:[0,0,1] op_sel_hi:[1,1,0] neg_lo:[0,0,1] neg_hi:[0,0,1]
	v_pk_fma_f32 v[64:65], v[68:69], v[96:97], v[64:65] op_sel:[0,0,1] op_sel_hi:[1,0,0]
	v_pk_add_f32 v[62:63], v[62:63], v[78:79]
	s_waitcnt vmcnt(5)
	v_mov_b32_e32 v64, v99
	v_pk_add_f32 v[62:63], v[62:63], v[76:77]
	v_mov_b32_e32 v67, v65
	s_waitcnt lgkmcnt(1)
	v_pk_mul_f32 v[64:65], v[70:71], v[64:65] op_sel_hi:[1,0]
	v_pk_add_f32 v[62:63], v[62:63], v[66:67]
	s_waitcnt vmcnt(4)
	v_pk_fma_f32 v[66:67], v[70:71], v[98:99], v[64:65] op_sel:[0,0,1] op_sel_hi:[1,1,0] neg_lo:[0,0,1] neg_hi:[0,0,1]
	v_pk_fma_f32 v[64:65], v[70:71], v[98:99], v[64:65] op_sel:[0,0,1] op_sel_hi:[1,0,0]
	s_waitcnt vmcnt(3)
	v_mov_b32_e32 v64, v101
	v_mov_b32_e32 v67, v65
	v_pk_mul_f32 v[64:65], v[72:73], v[64:65] op_sel_hi:[1,0]
	v_pk_add_f32 v[62:63], v[62:63], v[66:67]
	s_waitcnt vmcnt(2)
	v_pk_fma_f32 v[66:67], v[72:73], v[100:101], v[64:65] op_sel:[0,0,1] op_sel_hi:[1,1,0] neg_lo:[0,0,1] neg_hi:[0,0,1]
	v_pk_fma_f32 v[64:65], v[72:73], v[100:101], v[64:65] op_sel:[0,0,1] op_sel_hi:[1,0,0]
	s_waitcnt vmcnt(1)
	v_mov_b32_e32 v64, v103
	v_mov_b32_e32 v67, v65
	s_waitcnt lgkmcnt(0)
	v_pk_mul_f32 v[64:65], v[74:75], v[64:65] op_sel_hi:[1,0]
	v_pk_add_f32 v[62:63], v[62:63], v[66:67]
	s_waitcnt vmcnt(0)
	v_pk_fma_f32 v[66:67], v[74:75], v[102:103], v[64:65] op_sel:[0,0,1] op_sel_hi:[1,1,0] neg_lo:[0,0,1] neg_hi:[0,0,1]
	v_pk_fma_f32 v[64:65], v[74:75], v[102:103], v[64:65] op_sel:[0,0,1] op_sel_hi:[1,0,0]
	v_mov_b32_e32 v67, v65
	v_pk_add_f32 v[62:63], v[62:63], v[66:67]
	v_pk_add_f32 v[58:59], v[58:59], v[62:63] neg_lo:[0,1] neg_hi:[0,1]
	buffer_store_dword v59, off, s[0:3], 0 offset:84
	buffer_store_dword v58, off, s[0:3], 0 offset:80
	s_and_saveexec_b64 s[4:5], vcc
	s_cbranch_execz .LBB27_163
; %bb.162:
	buffer_load_dword v58, off, s[0:3], 0 offset:72
	buffer_load_dword v59, off, s[0:3], 0 offset:76
	s_waitcnt vmcnt(0)
	ds_write_b64 v1, v[58:59]
	buffer_store_dword v60, off, s[0:3], 0 offset:72
	buffer_store_dword v60, off, s[0:3], 0 offset:76
.LBB27_163:
	s_or_b64 exec, exec, s[4:5]
	s_waitcnt lgkmcnt(0)
	; wave barrier
	s_waitcnt lgkmcnt(0)
	ds_read_b128 v[62:65], v60 offset:304
	ds_read_b128 v[66:69], v60 offset:320
	;; [unrolled: 1-line block ×4, first 2 shown]
	buffer_load_dword v58, off, s[0:3], 0 offset:72
	buffer_load_dword v59, off, s[0:3], 0 offset:76
	;; [unrolled: 1-line block ×18, first 2 shown]
	v_cmp_lt_u32_e32 vcc, 8, v0
	s_waitcnt vmcnt(14) lgkmcnt(3)
	v_mul_f32_e32 v78, v62, v86
	v_fmac_f32_e32 v78, v63, v61
	s_waitcnt vmcnt(12)
	v_mul_f32_e32 v79, v64, v90
	v_add_f32_e32 v78, 0, v78
	v_fmac_f32_e32 v79, v65, v88
	v_add_f32_e32 v78, v78, v79
	s_waitcnt vmcnt(10) lgkmcnt(2)
	v_mul_f32_e32 v79, v66, v109
	v_fmac_f32_e32 v79, v67, v108
	v_add_f32_e32 v78, v78, v79
	s_waitcnt vmcnt(8)
	v_mul_f32_e32 v79, v68, v111
	v_fmac_f32_e32 v79, v69, v110
	v_add_f32_e32 v78, v78, v79
	s_waitcnt vmcnt(6) lgkmcnt(1)
	v_mul_f32_e32 v79, v70, v113
	v_fmac_f32_e32 v79, v71, v112
	v_add_f32_e32 v78, v78, v79
	s_waitcnt vmcnt(4)
	v_mul_f32_e32 v79, v72, v115
	;; [unrolled: 8-line block ×3, first 2 shown]
	v_fmac_f32_e32 v79, v77, v118
	v_add_f32_e32 v87, v78, v79
	ds_read_b128 v[78:81], v60 offset:368
	buffer_load_dword v120, off, s[0:3], 0 offset:144
	buffer_load_dword v121, off, s[0:3], 0 offset:148
	;; [unrolled: 1-line block ×6, first 2 shown]
	ds_read_b128 v[82:85], v60 offset:384
	buffer_load_dword v95, off, s[0:3], 0 offset:172
	buffer_load_dword v94, off, s[0:3], 0 offset:168
	buffer_load_dword v97, off, s[0:3], 0 offset:180
	buffer_load_dword v96, off, s[0:3], 0 offset:176
	buffer_load_dword v99, off, s[0:3], 0 offset:188
	buffer_load_dword v98, off, s[0:3], 0 offset:184
	buffer_load_dword v101, off, s[0:3], 0 offset:196
	buffer_load_dword v100, off, s[0:3], 0 offset:192
	buffer_load_dword v103, off, s[0:3], 0 offset:204
	buffer_load_dword v102, off, s[0:3], 0 offset:200
	buffer_load_dword v105, off, s[0:3], 0 offset:212
	buffer_load_dword v104, off, s[0:3], 0 offset:208
	buffer_load_dword v107, off, s[0:3], 0 offset:220
	buffer_load_dword v106, off, s[0:3], 0 offset:216
	v_mul_f32_e32 v63, v63, v86
	v_fma_f32 v61, v62, v61, -v63
	v_mul_f32_e32 v62, v65, v90
	v_add_f32_e32 v61, 0, v61
	v_fma_f32 v62, v64, v88, -v62
	v_add_f32_e32 v61, v61, v62
	v_mul_f32_e32 v62, v67, v109
	v_fma_f32 v62, v66, v108, -v62
	v_add_f32_e32 v61, v61, v62
	v_mul_f32_e32 v62, v69, v111
	;; [unrolled: 3-line block ×6, first 2 shown]
	v_fma_f32 v62, v76, v118, -v62
	v_add_f32_e32 v86, v61, v62
	ds_read_b128 v[62:65], v60 offset:400
	ds_read_b128 v[66:69], v60 offset:416
	;; [unrolled: 1-line block ×3, first 2 shown]
	s_waitcnt vmcnt(18) lgkmcnt(4)
	v_mul_f32_e32 v89, v78, v121
	s_waitcnt vmcnt(15)
	v_mov_b32_e32 v74, v93
	v_mul_f32_e32 v61, v79, v121
	s_waitcnt lgkmcnt(3)
	v_pk_mul_f32 v[74:75], v[82:83], v[74:75] op_sel_hi:[1,0]
	v_fmac_f32_e32 v89, v79, v120
	v_mul_f32_e32 v91, v80, v123
	v_fma_f32 v88, v78, v120, -v61
	v_mul_f32_e32 v61, v81, v123
	s_waitcnt vmcnt(14)
	v_pk_fma_f32 v[76:77], v[82:83], v[92:93], v[74:75] op_sel:[0,0,1] op_sel_hi:[1,1,0] neg_lo:[0,0,1] neg_hi:[0,0,1]
	v_pk_fma_f32 v[74:75], v[82:83], v[92:93], v[74:75] op_sel:[0,0,1] op_sel_hi:[1,0,0]
	v_fmac_f32_e32 v91, v81, v122
	v_fma_f32 v90, v80, v122, -v61
	v_pk_add_f32 v[60:61], v[86:87], v[88:89]
	s_waitcnt vmcnt(13)
	v_mov_b32_e32 v74, v95
	v_pk_add_f32 v[60:61], v[60:61], v[90:91]
	v_mov_b32_e32 v77, v75
	v_pk_mul_f32 v[74:75], v[84:85], v[74:75] op_sel_hi:[1,0]
	v_pk_add_f32 v[60:61], v[60:61], v[76:77]
	s_waitcnt vmcnt(12)
	v_pk_fma_f32 v[76:77], v[84:85], v[94:95], v[74:75] op_sel:[0,0,1] op_sel_hi:[1,1,0] neg_lo:[0,0,1] neg_hi:[0,0,1]
	v_pk_fma_f32 v[74:75], v[84:85], v[94:95], v[74:75] op_sel:[0,0,1] op_sel_hi:[1,0,0]
	s_waitcnt vmcnt(11)
	v_mov_b32_e32 v74, v97
	v_mov_b32_e32 v77, v75
	s_waitcnt lgkmcnt(2)
	v_pk_mul_f32 v[74:75], v[62:63], v[74:75] op_sel_hi:[1,0]
	v_pk_add_f32 v[60:61], v[60:61], v[76:77]
	s_waitcnt vmcnt(10)
	v_pk_fma_f32 v[76:77], v[62:63], v[96:97], v[74:75] op_sel:[0,0,1] op_sel_hi:[1,1,0] neg_lo:[0,0,1] neg_hi:[0,0,1]
	v_pk_fma_f32 v[62:63], v[62:63], v[96:97], v[74:75] op_sel:[0,0,1] op_sel_hi:[1,0,0]
	s_waitcnt vmcnt(9)
	v_mov_b32_e32 v62, v99
	v_mov_b32_e32 v77, v63
	v_pk_mul_f32 v[62:63], v[64:65], v[62:63] op_sel_hi:[1,0]
	s_waitcnt vmcnt(8)
	v_pk_fma_f32 v[74:75], v[64:65], v[98:99], v[62:63] op_sel:[0,0,1] op_sel_hi:[1,1,0] neg_lo:[0,0,1] neg_hi:[0,0,1]
	v_pk_fma_f32 v[62:63], v[64:65], v[98:99], v[62:63] op_sel:[0,0,1] op_sel_hi:[1,0,0]
	s_waitcnt vmcnt(7)
	v_mov_b32_e32 v62, v101
	v_mov_b32_e32 v75, v63
	s_waitcnt lgkmcnt(1)
	v_pk_mul_f32 v[62:63], v[66:67], v[62:63] op_sel_hi:[1,0]
	s_waitcnt vmcnt(6)
	v_pk_fma_f32 v[64:65], v[66:67], v[100:101], v[62:63] op_sel:[0,0,1] op_sel_hi:[1,1,0] neg_lo:[0,0,1] neg_hi:[0,0,1]
	v_pk_fma_f32 v[62:63], v[66:67], v[100:101], v[62:63] op_sel:[0,0,1] op_sel_hi:[1,0,0]
	v_pk_add_f32 v[60:61], v[60:61], v[76:77]
	s_waitcnt vmcnt(5)
	v_mov_b32_e32 v62, v103
	v_pk_add_f32 v[60:61], v[60:61], v[74:75]
	v_mov_b32_e32 v65, v63
	v_pk_mul_f32 v[62:63], v[68:69], v[62:63] op_sel_hi:[1,0]
	v_pk_add_f32 v[60:61], v[60:61], v[64:65]
	s_waitcnt vmcnt(4)
	v_pk_fma_f32 v[64:65], v[68:69], v[102:103], v[62:63] op_sel:[0,0,1] op_sel_hi:[1,1,0] neg_lo:[0,0,1] neg_hi:[0,0,1]
	v_pk_fma_f32 v[62:63], v[68:69], v[102:103], v[62:63] op_sel:[0,0,1] op_sel_hi:[1,0,0]
	s_waitcnt vmcnt(3)
	v_mov_b32_e32 v62, v105
	v_mov_b32_e32 v65, v63
	s_waitcnt lgkmcnt(0)
	v_pk_mul_f32 v[62:63], v[70:71], v[62:63] op_sel_hi:[1,0]
	v_pk_add_f32 v[60:61], v[60:61], v[64:65]
	s_waitcnt vmcnt(2)
	v_pk_fma_f32 v[64:65], v[70:71], v[104:105], v[62:63] op_sel:[0,0,1] op_sel_hi:[1,1,0] neg_lo:[0,0,1] neg_hi:[0,0,1]
	v_pk_fma_f32 v[62:63], v[70:71], v[104:105], v[62:63] op_sel:[0,0,1] op_sel_hi:[1,0,0]
	s_waitcnt vmcnt(1)
	v_mov_b32_e32 v62, v107
	v_mov_b32_e32 v65, v63
	v_pk_mul_f32 v[62:63], v[72:73], v[62:63] op_sel_hi:[1,0]
	v_pk_add_f32 v[60:61], v[60:61], v[64:65]
	s_waitcnt vmcnt(0)
	v_pk_fma_f32 v[64:65], v[72:73], v[106:107], v[62:63] op_sel:[0,0,1] op_sel_hi:[1,1,0] neg_lo:[0,0,1] neg_hi:[0,0,1]
	v_pk_fma_f32 v[62:63], v[72:73], v[106:107], v[62:63] op_sel:[0,0,1] op_sel_hi:[1,0,0]
	v_mov_b32_e32 v65, v63
	v_pk_add_f32 v[60:61], v[60:61], v[64:65]
	v_pk_add_f32 v[58:59], v[58:59], v[60:61] neg_lo:[0,1] neg_hi:[0,1]
	buffer_store_dword v59, off, s[0:3], 0 offset:76
	buffer_store_dword v58, off, s[0:3], 0 offset:72
	s_and_saveexec_b64 s[4:5], vcc
	s_cbranch_execz .LBB27_165
; %bb.164:
	buffer_load_dword v58, off, s[0:3], 0 offset:64
	buffer_load_dword v59, off, s[0:3], 0 offset:68
	v_mov_b32_e32 v60, 0
	buffer_store_dword v60, off, s[0:3], 0 offset:64
	buffer_store_dword v60, off, s[0:3], 0 offset:68
	s_waitcnt vmcnt(2)
	ds_write_b64 v1, v[58:59]
.LBB27_165:
	s_or_b64 exec, exec, s[4:5]
	v_mov_b32_e32 v60, 0
	s_waitcnt lgkmcnt(0)
	; wave barrier
	s_waitcnt lgkmcnt(0)
	ds_read2_b64 v[62:65], v60 offset0:37 offset1:38
	buffer_load_dword v58, off, s[0:3], 0 offset:64
	buffer_load_dword v59, off, s[0:3], 0 offset:68
	;; [unrolled: 1-line block ×16, first 2 shown]
	v_cmp_lt_u32_e32 vcc, 7, v0
	s_waitcnt vmcnt(12) lgkmcnt(0)
	v_mul_f32_e32 v66, v62, v86
	v_fmac_f32_e32 v66, v63, v61
	s_waitcnt vmcnt(10)
	v_mul_f32_e32 v67, v64, v90
	v_add_f32_e32 v66, 0, v66
	v_fmac_f32_e32 v67, v65, v88
	v_add_f32_e32 v70, v66, v67
	ds_read2_b64 v[66:69], v60 offset0:39 offset1:40
	v_mul_f32_e32 v63, v63, v86
	v_fma_f32 v61, v62, v61, -v63
	v_mul_f32_e32 v62, v65, v90
	v_add_f32_e32 v61, 0, v61
	s_waitcnt vmcnt(8) lgkmcnt(0)
	v_mul_f32_e32 v71, v66, v109
	v_fmac_f32_e32 v71, v67, v108
	v_add_f32_e32 v70, v70, v71
	s_waitcnt vmcnt(6)
	v_mul_f32_e32 v71, v68, v111
	v_fmac_f32_e32 v71, v69, v110
	v_add_f32_e32 v74, v70, v71
	ds_read2_b64 v[70:73], v60 offset0:41 offset1:42
	v_fma_f32 v62, v64, v88, -v62
	v_add_f32_e32 v61, v61, v62
	v_mul_f32_e32 v62, v67, v109
	v_fma_f32 v62, v66, v108, -v62
	s_waitcnt vmcnt(4) lgkmcnt(0)
	v_mul_f32_e32 v75, v70, v113
	v_fmac_f32_e32 v75, v71, v112
	v_add_f32_e32 v74, v74, v75
	s_waitcnt vmcnt(2)
	v_mul_f32_e32 v75, v72, v115
	v_fmac_f32_e32 v75, v73, v114
	v_add_f32_e32 v78, v74, v75
	ds_read2_b64 v[74:77], v60 offset0:43 offset1:44
	buffer_load_dword v118, off, s[0:3], 0 offset:128
	buffer_load_dword v119, off, s[0:3], 0 offset:132
	v_add_f32_e32 v61, v61, v62
	v_mul_f32_e32 v62, v69, v111
	v_fma_f32 v62, v68, v110, -v62
	s_waitcnt vmcnt(2) lgkmcnt(0)
	v_mul_f32_e32 v79, v74, v117
	v_fmac_f32_e32 v79, v75, v116
	v_add_f32_e32 v78, v78, v79
	v_add_f32_e32 v61, v61, v62
	v_mul_f32_e32 v62, v71, v113
	v_fma_f32 v62, v70, v112, -v62
	v_add_f32_e32 v61, v61, v62
	v_mul_f32_e32 v62, v73, v115
	v_fma_f32 v62, v72, v114, -v62
	;; [unrolled: 3-line block ×3, first 2 shown]
	v_add_f32_e32 v61, v61, v62
	s_waitcnt vmcnt(0)
	v_mul_f32_e32 v79, v76, v119
	v_fmac_f32_e32 v79, v77, v118
	v_add_f32_e32 v82, v78, v79
	ds_read2_b64 v[78:81], v60 offset0:45 offset1:46
	buffer_load_dword v120, off, s[0:3], 0 offset:136
	buffer_load_dword v121, off, s[0:3], 0 offset:140
	;; [unrolled: 1-line block ×4, first 2 shown]
	v_mul_f32_e32 v62, v77, v119
	v_fma_f32 v62, v76, v118, -v62
	v_add_f32_e32 v61, v61, v62
	s_waitcnt vmcnt(2) lgkmcnt(0)
	v_mul_f32_e32 v83, v78, v121
	v_fmac_f32_e32 v83, v79, v120
	v_add_f32_e32 v87, v82, v83
	ds_read2_b64 v[82:85], v60 offset0:47 offset1:48
	buffer_load_dword v124, off, s[0:3], 0 offset:152
	buffer_load_dword v125, off, s[0:3], 0 offset:156
	;; [unrolled: 1-line block ×18, first 2 shown]
	v_mul_f32_e32 v62, v79, v121
	v_fma_f32 v62, v78, v120, -v62
	s_waitcnt vmcnt(18)
	v_mul_f32_e32 v89, v80, v123
	v_add_f32_e32 v86, v61, v62
	v_mul_f32_e32 v61, v81, v123
	v_fmac_f32_e32 v89, v81, v122
	v_fma_f32 v88, v80, v122, -v61
	ds_read2_b64 v[62:65], v60 offset0:49 offset1:50
	ds_read2_b64 v[66:69], v60 offset0:51 offset1:52
	;; [unrolled: 1-line block ×3, first 2 shown]
	ds_read_b64 v[74:75], v60 offset:440
	v_pk_add_f32 v[76:77], v[86:87], v[88:89]
	s_waitcnt vmcnt(15)
	v_mov_b32_e32 v78, v93
	s_waitcnt lgkmcnt(4)
	v_pk_mul_f32 v[78:79], v[84:85], v[78:79] op_sel_hi:[1,0]
	s_waitcnt vmcnt(14)
	v_pk_fma_f32 v[80:81], v[84:85], v[92:93], v[78:79] op_sel:[0,0,1] op_sel_hi:[1,1,0] neg_lo:[0,0,1] neg_hi:[0,0,1]
	v_pk_fma_f32 v[78:79], v[84:85], v[92:93], v[78:79] op_sel:[0,0,1] op_sel_hi:[1,0,0]
	s_waitcnt vmcnt(13)
	v_mov_b32_e32 v78, v95
	v_mov_b32_e32 v81, v79
	s_waitcnt lgkmcnt(3)
	v_pk_mul_f32 v[78:79], v[62:63], v[78:79] op_sel_hi:[1,0]
	v_mul_f32_e32 v91, v82, v125
	v_mul_f32_e32 v61, v83, v125
	v_fmac_f32_e32 v91, v83, v124
	v_fma_f32 v90, v82, v124, -v61
	v_pk_add_f32 v[76:77], v[76:77], v[90:91]
	v_pk_add_f32 v[76:77], v[76:77], v[80:81]
	s_waitcnt vmcnt(12)
	v_pk_fma_f32 v[80:81], v[62:63], v[94:95], v[78:79] op_sel:[0,0,1] op_sel_hi:[1,1,0] neg_lo:[0,0,1] neg_hi:[0,0,1]
	v_pk_fma_f32 v[62:63], v[62:63], v[94:95], v[78:79] op_sel:[0,0,1] op_sel_hi:[1,0,0]
	v_mov_b32_e32 v81, v63
	v_pk_add_f32 v[62:63], v[76:77], v[80:81]
	s_waitcnt vmcnt(11)
	v_mov_b32_e32 v76, v97
	v_pk_mul_f32 v[76:77], v[64:65], v[76:77] op_sel_hi:[1,0]
	s_waitcnt vmcnt(10)
	v_pk_fma_f32 v[78:79], v[64:65], v[96:97], v[76:77] op_sel:[0,0,1] op_sel_hi:[1,1,0] neg_lo:[0,0,1] neg_hi:[0,0,1]
	v_pk_fma_f32 v[64:65], v[64:65], v[96:97], v[76:77] op_sel:[0,0,1] op_sel_hi:[1,0,0]
	s_waitcnt vmcnt(9)
	v_mov_b32_e32 v64, v99
	v_mov_b32_e32 v79, v65
	s_waitcnt lgkmcnt(2)
	v_pk_mul_f32 v[64:65], v[66:67], v[64:65] op_sel_hi:[1,0]
	s_waitcnt vmcnt(8)
	v_pk_fma_f32 v[76:77], v[66:67], v[98:99], v[64:65] op_sel:[0,0,1] op_sel_hi:[1,1,0] neg_lo:[0,0,1] neg_hi:[0,0,1]
	v_pk_fma_f32 v[64:65], v[66:67], v[98:99], v[64:65] op_sel:[0,0,1] op_sel_hi:[1,0,0]
	s_waitcnt vmcnt(7)
	v_mov_b32_e32 v64, v101
	v_mov_b32_e32 v77, v65
	v_pk_mul_f32 v[64:65], v[68:69], v[64:65] op_sel_hi:[1,0]
	s_waitcnt vmcnt(6)
	v_pk_fma_f32 v[66:67], v[68:69], v[100:101], v[64:65] op_sel:[0,0,1] op_sel_hi:[1,1,0] neg_lo:[0,0,1] neg_hi:[0,0,1]
	v_pk_fma_f32 v[64:65], v[68:69], v[100:101], v[64:65] op_sel:[0,0,1] op_sel_hi:[1,0,0]
	v_pk_add_f32 v[62:63], v[62:63], v[78:79]
	s_waitcnt vmcnt(5)
	v_mov_b32_e32 v64, v103
	v_pk_add_f32 v[62:63], v[62:63], v[76:77]
	v_mov_b32_e32 v67, v65
	s_waitcnt lgkmcnt(1)
	v_pk_mul_f32 v[64:65], v[70:71], v[64:65] op_sel_hi:[1,0]
	v_pk_add_f32 v[62:63], v[62:63], v[66:67]
	s_waitcnt vmcnt(4)
	v_pk_fma_f32 v[66:67], v[70:71], v[102:103], v[64:65] op_sel:[0,0,1] op_sel_hi:[1,1,0] neg_lo:[0,0,1] neg_hi:[0,0,1]
	v_pk_fma_f32 v[64:65], v[70:71], v[102:103], v[64:65] op_sel:[0,0,1] op_sel_hi:[1,0,0]
	s_waitcnt vmcnt(3)
	v_mov_b32_e32 v64, v105
	v_mov_b32_e32 v67, v65
	v_pk_mul_f32 v[64:65], v[72:73], v[64:65] op_sel_hi:[1,0]
	v_pk_add_f32 v[62:63], v[62:63], v[66:67]
	s_waitcnt vmcnt(2)
	v_pk_fma_f32 v[66:67], v[72:73], v[104:105], v[64:65] op_sel:[0,0,1] op_sel_hi:[1,1,0] neg_lo:[0,0,1] neg_hi:[0,0,1]
	v_pk_fma_f32 v[64:65], v[72:73], v[104:105], v[64:65] op_sel:[0,0,1] op_sel_hi:[1,0,0]
	s_waitcnt vmcnt(1)
	v_mov_b32_e32 v64, v107
	v_mov_b32_e32 v67, v65
	s_waitcnt lgkmcnt(0)
	v_pk_mul_f32 v[64:65], v[74:75], v[64:65] op_sel_hi:[1,0]
	v_pk_add_f32 v[62:63], v[62:63], v[66:67]
	s_waitcnt vmcnt(0)
	v_pk_fma_f32 v[66:67], v[74:75], v[106:107], v[64:65] op_sel:[0,0,1] op_sel_hi:[1,1,0] neg_lo:[0,0,1] neg_hi:[0,0,1]
	v_pk_fma_f32 v[64:65], v[74:75], v[106:107], v[64:65] op_sel:[0,0,1] op_sel_hi:[1,0,0]
	v_mov_b32_e32 v67, v65
	v_pk_add_f32 v[62:63], v[62:63], v[66:67]
	v_pk_add_f32 v[58:59], v[58:59], v[62:63] neg_lo:[0,1] neg_hi:[0,1]
	buffer_store_dword v59, off, s[0:3], 0 offset:68
	buffer_store_dword v58, off, s[0:3], 0 offset:64
	s_and_saveexec_b64 s[4:5], vcc
	s_cbranch_execz .LBB27_167
; %bb.166:
	buffer_load_dword v58, off, s[0:3], 0 offset:56
	buffer_load_dword v59, off, s[0:3], 0 offset:60
	s_waitcnt vmcnt(0)
	ds_write_b64 v1, v[58:59]
	buffer_store_dword v60, off, s[0:3], 0 offset:56
	buffer_store_dword v60, off, s[0:3], 0 offset:60
.LBB27_167:
	s_or_b64 exec, exec, s[4:5]
	s_waitcnt lgkmcnt(0)
	; wave barrier
	s_waitcnt lgkmcnt(0)
	buffer_load_dword v58, off, s[0:3], 0 offset:68
	buffer_load_dword v59, off, s[0:3], 0 offset:76
	;; [unrolled: 1-line block ×26, first 2 shown]
	ds_read_b128 v[62:65], v60 offset:288
	ds_read_b128 v[66:69], v60 offset:304
	;; [unrolled: 1-line block ×6, first 2 shown]
	buffer_load_dword v89, off, s[0:3], 0 offset:180
	buffer_load_dword v88, off, s[0:3], 0 offset:176
	buffer_load_dword v91, off, s[0:3], 0 offset:172
	buffer_load_dword v90, off, s[0:3], 0 offset:168
	buffer_load_dword v93, off, s[0:3], 0 offset:164
	buffer_load_dword v92, off, s[0:3], 0 offset:160
	buffer_load_dword v95, off, s[0:3], 0 offset:212
	buffer_load_dword v94, off, s[0:3], 0 offset:208
	buffer_load_dword v97, off, s[0:3], 0 offset:204
	buffer_load_dword v96, off, s[0:3], 0 offset:200
	buffer_load_dword v99, off, s[0:3], 0 offset:196
	buffer_load_dword v98, off, s[0:3], 0 offset:192
	buffer_load_dword v101, off, s[0:3], 0 offset:188
	buffer_load_dword v100, off, s[0:3], 0 offset:184
	buffer_load_dword v103, off, s[0:3], 0 offset:220
	buffer_load_dword v102, off, s[0:3], 0 offset:216
	v_cmp_lt_u32_e32 vcc, 6, v0
	s_waitcnt vmcnt(41) lgkmcnt(5)
	v_mul_f32_e32 v127, v62, v58
	s_waitcnt vmcnt(40)
	v_mul_f32_e32 v128, v64, v59
	v_mul_f32_e32 v58, v63, v58
	s_waitcnt vmcnt(39) lgkmcnt(4)
	v_mul_f32_e32 v129, v66, v61
	v_mul_f32_e32 v59, v65, v59
	s_waitcnt vmcnt(38)
	v_mul_f32_e32 v130, v68, v104
	s_waitcnt vmcnt(37) lgkmcnt(3)
	v_mul_f32_e32 v131, v70, v106
	s_waitcnt vmcnt(36)
	v_mul_f32_e32 v132, v72, v108
	s_waitcnt vmcnt(35) lgkmcnt(2)
	;; [unrolled: 4-line block ×3, first 2 shown]
	v_mul_f32_e32 v135, v78, v112
	s_waitcnt vmcnt(32)
	v_mul_f32_e32 v136, v80, v113
	s_waitcnt vmcnt(29)
	v_fmac_f32_e32 v127, v63, v109
	s_waitcnt vmcnt(28)
	v_fmac_f32_e32 v128, v65, v116
	v_fma_f32 v58, v62, v109, -v58
	v_add_f32_e32 v62, 0, v127
	s_waitcnt vmcnt(27)
	v_fmac_f32_e32 v129, v67, v117
	v_fma_f32 v59, v64, v116, -v59
	v_add_f32_e32 v58, 0, v58
	v_add_f32_e32 v62, v62, v128
	s_waitcnt vmcnt(26)
	v_fmac_f32_e32 v130, v69, v118
	v_add_f32_e32 v58, v58, v59
	v_add_f32_e32 v59, v62, v129
	s_waitcnt vmcnt(25)
	v_fmac_f32_e32 v131, v71, v119
	v_add_f32_e32 v59, v59, v130
	s_waitcnt vmcnt(24)
	v_fmac_f32_e32 v132, v73, v120
	;; [unrolled: 3-line block ×5, first 2 shown]
	v_add_f32_e32 v59, v59, v134
	v_mul_f32_e32 v61, v67, v61
	s_waitcnt vmcnt(20)
	v_fmac_f32_e32 v136, v81, v124
	v_add_f32_e32 v59, v59, v135
	v_fma_f32 v61, v66, v117, -v61
	v_add_f32_e32 v109, v59, v136
	v_mul_f32_e32 v59, v69, v104
	v_add_f32_e32 v58, v58, v61
	v_fma_f32 v59, v68, v118, -v59
	v_add_f32_e32 v58, v58, v59
	v_mul_f32_e32 v59, v71, v106
	v_fma_f32 v59, v70, v119, -v59
	v_add_f32_e32 v58, v58, v59
	v_mul_f32_e32 v59, v73, v108
	;; [unrolled: 3-line block ×6, first 2 shown]
	v_fma_f32 v59, v80, v124, -v59
	v_add_f32_e32 v108, v58, v59
	s_waitcnt lgkmcnt(0)
	v_mul_f32_e32 v58, v83, v114
	s_waitcnt vmcnt(19)
	v_fma_f32 v104, v82, v125, -v58
	v_mul_f32_e32 v58, v85, v115
	s_waitcnt vmcnt(18)
	v_fma_f32 v106, v84, v126, -v58
	ds_read_b128 v[62:65], v60 offset:384
	ds_read_b128 v[66:69], v60 offset:400
	;; [unrolled: 1-line block ×4, first 2 shown]
	v_mul_f32_e32 v105, v82, v114
	s_waitcnt vmcnt(11)
	v_mov_b32_e32 v76, v93
	v_mul_f32_e32 v107, v84, v115
	v_fmac_f32_e32 v105, v83, v125
	s_waitcnt lgkmcnt(3)
	v_pk_mul_f32 v[76:77], v[62:63], v[76:77] op_sel_hi:[1,0]
	v_fmac_f32_e32 v107, v85, v126
	v_pk_add_f32 v[74:75], v[108:109], v[104:105]
	s_waitcnt vmcnt(10)
	v_pk_fma_f32 v[78:79], v[62:63], v[92:93], v[76:77] op_sel:[0,0,1] op_sel_hi:[1,1,0] neg_lo:[0,0,1] neg_hi:[0,0,1]
	v_pk_fma_f32 v[62:63], v[62:63], v[92:93], v[76:77] op_sel:[0,0,1] op_sel_hi:[1,0,0]
	v_pk_add_f32 v[74:75], v[74:75], v[106:107]
	v_mov_b32_e32 v79, v63
	v_pk_add_f32 v[62:63], v[74:75], v[78:79]
	v_mov_b32_e32 v74, v91
	v_pk_mul_f32 v[74:75], v[64:65], v[74:75] op_sel_hi:[1,0]
	v_pk_fma_f32 v[76:77], v[64:65], v[90:91], v[74:75] op_sel:[0,0,1] op_sel_hi:[1,1,0] neg_lo:[0,0,1] neg_hi:[0,0,1]
	v_pk_fma_f32 v[64:65], v[64:65], v[90:91], v[74:75] op_sel:[0,0,1] op_sel_hi:[1,0,0]
	v_mov_b32_e32 v64, v89
	v_mov_b32_e32 v77, v65
	s_waitcnt lgkmcnt(2)
	v_pk_mul_f32 v[64:65], v[66:67], v[64:65] op_sel_hi:[1,0]
	v_pk_fma_f32 v[74:75], v[66:67], v[88:89], v[64:65] op_sel:[0,0,1] op_sel_hi:[1,1,0] neg_lo:[0,0,1] neg_hi:[0,0,1]
	v_pk_fma_f32 v[64:65], v[66:67], v[88:89], v[64:65] op_sel:[0,0,1] op_sel_hi:[1,0,0]
	s_waitcnt vmcnt(3)
	v_mov_b32_e32 v64, v101
	v_mov_b32_e32 v75, v65
	v_pk_mul_f32 v[64:65], v[68:69], v[64:65] op_sel_hi:[1,0]
	s_waitcnt vmcnt(2)
	v_pk_fma_f32 v[66:67], v[68:69], v[100:101], v[64:65] op_sel:[0,0,1] op_sel_hi:[1,1,0] neg_lo:[0,0,1] neg_hi:[0,0,1]
	v_pk_fma_f32 v[64:65], v[68:69], v[100:101], v[64:65] op_sel:[0,0,1] op_sel_hi:[1,0,0]
	v_pk_add_f32 v[62:63], v[62:63], v[76:77]
	v_mov_b32_e32 v64, v99
	v_pk_add_f32 v[62:63], v[62:63], v[74:75]
	v_mov_b32_e32 v67, v65
	s_waitcnt lgkmcnt(1)
	v_pk_mul_f32 v[64:65], v[70:71], v[64:65] op_sel_hi:[1,0]
	v_pk_add_f32 v[62:63], v[62:63], v[66:67]
	v_pk_fma_f32 v[66:67], v[70:71], v[98:99], v[64:65] op_sel:[0,0,1] op_sel_hi:[1,1,0] neg_lo:[0,0,1] neg_hi:[0,0,1]
	v_pk_fma_f32 v[64:65], v[70:71], v[98:99], v[64:65] op_sel:[0,0,1] op_sel_hi:[1,0,0]
	v_mov_b32_e32 v64, v97
	v_mov_b32_e32 v67, v65
	v_pk_mul_f32 v[64:65], v[72:73], v[64:65] op_sel_hi:[1,0]
	v_pk_add_f32 v[62:63], v[62:63], v[66:67]
	v_pk_fma_f32 v[66:67], v[72:73], v[96:97], v[64:65] op_sel:[0,0,1] op_sel_hi:[1,1,0] neg_lo:[0,0,1] neg_hi:[0,0,1]
	v_pk_fma_f32 v[64:65], v[72:73], v[96:97], v[64:65] op_sel:[0,0,1] op_sel_hi:[1,0,0]
	v_mov_b32_e32 v64, v95
	v_mov_b32_e32 v67, v65
	s_waitcnt lgkmcnt(0)
	v_pk_mul_f32 v[64:65], v[58:59], v[64:65] op_sel_hi:[1,0]
	v_pk_add_f32 v[62:63], v[62:63], v[66:67]
	v_pk_fma_f32 v[66:67], v[58:59], v[94:95], v[64:65] op_sel:[0,0,1] op_sel_hi:[1,1,0] neg_lo:[0,0,1] neg_hi:[0,0,1]
	v_pk_fma_f32 v[58:59], v[58:59], v[94:95], v[64:65] op_sel:[0,0,1] op_sel_hi:[1,0,0]
	v_mov_b32_e32 v67, v59
	v_pk_add_f32 v[58:59], v[62:63], v[66:67]
	s_waitcnt vmcnt(1)
	v_mov_b32_e32 v62, v103
	v_pk_mul_f32 v[62:63], v[60:61], v[62:63] op_sel_hi:[1,0]
	s_waitcnt vmcnt(0)
	v_pk_fma_f32 v[64:65], v[60:61], v[102:103], v[62:63] op_sel:[0,0,1] op_sel_hi:[1,1,0] neg_lo:[0,0,1] neg_hi:[0,0,1]
	v_pk_fma_f32 v[60:61], v[60:61], v[102:103], v[62:63] op_sel:[0,0,1] op_sel_hi:[1,0,0]
	v_mov_b32_e32 v65, v61
	v_pk_add_f32 v[58:59], v[58:59], v[64:65]
	v_pk_add_f32 v[58:59], v[86:87], v[58:59] neg_lo:[0,1] neg_hi:[0,1]
	buffer_store_dword v59, off, s[0:3], 0 offset:60
	buffer_store_dword v58, off, s[0:3], 0 offset:56
	s_and_saveexec_b64 s[4:5], vcc
	s_cbranch_execz .LBB27_169
; %bb.168:
	buffer_load_dword v58, off, s[0:3], 0 offset:48
	buffer_load_dword v59, off, s[0:3], 0 offset:52
	v_mov_b32_e32 v60, 0
	buffer_store_dword v60, off, s[0:3], 0 offset:48
	buffer_store_dword v60, off, s[0:3], 0 offset:52
	s_waitcnt vmcnt(2)
	ds_write_b64 v1, v[58:59]
.LBB27_169:
	s_or_b64 exec, exec, s[4:5]
	s_waitcnt lgkmcnt(0)
	; wave barrier
	s_waitcnt lgkmcnt(0)
	buffer_load_dword v59, off, s[0:3], 0 offset:60
	buffer_load_dword v110, off, s[0:3], 0 offset:68
	;; [unrolled: 1-line block ×44, first 2 shown]
	v_mov_b32_e32 v58, 0
	ds_read2_b64 v[60:63], v58 offset0:35 offset1:36
	ds_read2_b64 v[64:67], v58 offset0:37 offset1:38
	;; [unrolled: 1-line block ×8, first 2 shown]
	v_cmp_lt_u32_e32 vcc, 5, v0
	s_waitcnt vmcnt(43) lgkmcnt(7)
	v_mul_f32_e32 v115, v60, v59
	v_mul_f32_e32 v59, v61, v59
	s_waitcnt vmcnt(42)
	v_mul_f32_e32 v138, v62, v110
	s_waitcnt vmcnt(41) lgkmcnt(6)
	v_mul_f32_e32 v139, v64, v112
	s_waitcnt vmcnt(40)
	v_mul_f32_e32 v140, v66, v114
	s_waitcnt vmcnt(39) lgkmcnt(5)
	;; [unrolled: 4-line block ×5, first 2 shown]
	v_mul_f32_e32 v147, v80, v122
	s_waitcnt vmcnt(32)
	v_mul_f32_e32 v111, v82, v123
	s_waitcnt vmcnt(30)
	v_fma_f32 v59, v60, v125, -v59
	v_mul_f32_e32 v60, v63, v110
	v_add_f32_e32 v59, 0, v59
	s_waitcnt vmcnt(29)
	v_fma_f32 v60, v62, v126, -v60
	v_add_f32_e32 v59, v59, v60
	v_mul_f32_e32 v60, v65, v112
	s_waitcnt vmcnt(28)
	v_fma_f32 v60, v64, v127, -v60
	v_add_f32_e32 v59, v59, v60
	v_mul_f32_e32 v60, v67, v114
	;; [unrolled: 4-line block ×4, first 2 shown]
	s_waitcnt vmcnt(25)
	v_fma_f32 v60, v70, v130, -v60
	v_fmac_f32_e32 v115, v61, v125
	v_add_f32_e32 v59, v59, v60
	v_mul_f32_e32 v60, v73, v118
	v_fmac_f32_e32 v138, v63, v126
	v_add_f32_e32 v61, 0, v115
	s_waitcnt vmcnt(24)
	v_fma_f32 v60, v72, v131, -v60
	v_fmac_f32_e32 v139, v65, v127
	v_add_f32_e32 v61, v61, v138
	v_add_f32_e32 v59, v59, v60
	v_mul_f32_e32 v60, v75, v119
	v_fmac_f32_e32 v140, v67, v128
	v_add_f32_e32 v61, v61, v139
	s_waitcnt vmcnt(23)
	v_fma_f32 v60, v74, v132, -v60
	v_fmac_f32_e32 v141, v69, v129
	v_add_f32_e32 v61, v61, v140
	;; [unrolled: 8-line block ×4, first 2 shown]
	v_add_f32_e32 v59, v59, v60
	v_mul_f32_e32 v60, v81, v122
	v_fmac_f32_e32 v146, v79, v134
	v_add_f32_e32 v61, v61, v145
	s_waitcnt vmcnt(20)
	v_fma_f32 v60, v80, v135, -v60
	s_waitcnt vmcnt(13)
	v_mov_b32_e32 v72, v97
	v_fmac_f32_e32 v147, v81, v135
	v_add_f32_e32 v61, v61, v146
	v_add_f32_e32 v114, v59, v60
	v_mul_f32_e32 v59, v83, v123
	s_waitcnt lgkmcnt(1)
	v_pk_mul_f32 v[72:73], v[86:87], v[72:73] op_sel_hi:[1,0]
	v_mul_f32_e32 v113, v84, v124
	v_fmac_f32_e32 v111, v83, v136
	v_add_f32_e32 v115, v61, v147
	v_fma_f32 v110, v82, v136, -v59
	v_mul_f32_e32 v59, v85, v124
	s_waitcnt vmcnt(12)
	v_pk_fma_f32 v[74:75], v[86:87], v[96:97], v[72:73] op_sel:[0,0,1] op_sel_hi:[1,1,0] neg_lo:[0,0,1] neg_hi:[0,0,1]
	v_pk_fma_f32 v[72:73], v[86:87], v[96:97], v[72:73] op_sel:[0,0,1] op_sel_hi:[1,0,0]
	v_fmac_f32_e32 v113, v85, v137
	v_fma_f32 v112, v84, v137, -v59
	v_pk_add_f32 v[70:71], v[114:115], v[110:111]
	v_mov_b32_e32 v72, v95
	v_pk_add_f32 v[70:71], v[70:71], v[112:113]
	v_mov_b32_e32 v75, v73
	s_waitcnt lgkmcnt(0)
	v_pk_mul_f32 v[72:73], v[88:89], v[72:73] op_sel_hi:[1,0]
	v_pk_add_f32 v[70:71], v[70:71], v[74:75]
	v_pk_fma_f32 v[74:75], v[88:89], v[94:95], v[72:73] op_sel:[0,0,1] op_sel_hi:[1,1,0] neg_lo:[0,0,1] neg_hi:[0,0,1]
	v_pk_fma_f32 v[72:73], v[88:89], v[94:95], v[72:73] op_sel:[0,0,1] op_sel_hi:[1,0,0]
	s_waitcnt vmcnt(5)
	v_mov_b32_e32 v72, v105
	ds_read2_b64 v[60:63], v58 offset0:51 offset1:52
	ds_read2_b64 v[64:67], v58 offset0:53 offset1:54
	ds_read_b64 v[68:69], v58 offset:440
	v_mov_b32_e32 v75, v73
	v_pk_mul_f32 v[72:73], v[90:91], v[72:73] op_sel_hi:[1,0]
	v_pk_add_f32 v[70:71], v[70:71], v[74:75]
	s_waitcnt vmcnt(4)
	v_pk_fma_f32 v[74:75], v[90:91], v[104:105], v[72:73] op_sel:[0,0,1] op_sel_hi:[1,1,0] neg_lo:[0,0,1] neg_hi:[0,0,1]
	v_pk_fma_f32 v[72:73], v[90:91], v[104:105], v[72:73] op_sel:[0,0,1] op_sel_hi:[1,0,0]
	v_mov_b32_e32 v72, v103
	v_mov_b32_e32 v75, v73
	s_waitcnt lgkmcnt(2)
	v_pk_mul_f32 v[72:73], v[60:61], v[72:73] op_sel_hi:[1,0]
	v_pk_add_f32 v[70:71], v[70:71], v[74:75]
	v_pk_fma_f32 v[74:75], v[60:61], v[102:103], v[72:73] op_sel:[0,0,1] op_sel_hi:[1,1,0] neg_lo:[0,0,1] neg_hi:[0,0,1]
	v_pk_fma_f32 v[60:61], v[60:61], v[102:103], v[72:73] op_sel:[0,0,1] op_sel_hi:[1,0,0]
	v_mov_b32_e32 v75, v61
	v_pk_add_f32 v[60:61], v[70:71], v[74:75]
	v_mov_b32_e32 v70, v101
	v_pk_mul_f32 v[70:71], v[62:63], v[70:71] op_sel_hi:[1,0]
	v_pk_fma_f32 v[72:73], v[62:63], v[100:101], v[70:71] op_sel:[0,0,1] op_sel_hi:[1,1,0] neg_lo:[0,0,1] neg_hi:[0,0,1]
	v_pk_fma_f32 v[62:63], v[62:63], v[100:101], v[70:71] op_sel:[0,0,1] op_sel_hi:[1,0,0]
	v_mov_b32_e32 v62, v99
	v_mov_b32_e32 v73, v63
	s_waitcnt lgkmcnt(1)
	v_pk_mul_f32 v[62:63], v[64:65], v[62:63] op_sel_hi:[1,0]
	v_pk_fma_f32 v[70:71], v[64:65], v[98:99], v[62:63] op_sel:[0,0,1] op_sel_hi:[1,1,0] neg_lo:[0,0,1] neg_hi:[0,0,1]
	v_pk_fma_f32 v[62:63], v[64:65], v[98:99], v[62:63] op_sel:[0,0,1] op_sel_hi:[1,0,0]
	s_waitcnt vmcnt(1)
	v_mov_b32_e32 v62, v109
	v_mov_b32_e32 v71, v63
	v_pk_mul_f32 v[62:63], v[66:67], v[62:63] op_sel_hi:[1,0]
	s_waitcnt vmcnt(0)
	v_pk_fma_f32 v[64:65], v[66:67], v[108:109], v[62:63] op_sel:[0,0,1] op_sel_hi:[1,1,0] neg_lo:[0,0,1] neg_hi:[0,0,1]
	v_pk_fma_f32 v[62:63], v[66:67], v[108:109], v[62:63] op_sel:[0,0,1] op_sel_hi:[1,0,0]
	v_pk_add_f32 v[60:61], v[60:61], v[72:73]
	v_mov_b32_e32 v62, v107
	v_pk_add_f32 v[60:61], v[60:61], v[70:71]
	v_mov_b32_e32 v65, v63
	s_waitcnt lgkmcnt(0)
	v_pk_mul_f32 v[62:63], v[68:69], v[62:63] op_sel_hi:[1,0]
	v_pk_add_f32 v[60:61], v[60:61], v[64:65]
	v_pk_fma_f32 v[64:65], v[68:69], v[106:107], v[62:63] op_sel:[0,0,1] op_sel_hi:[1,1,0] neg_lo:[0,0,1] neg_hi:[0,0,1]
	v_pk_fma_f32 v[62:63], v[68:69], v[106:107], v[62:63] op_sel:[0,0,1] op_sel_hi:[1,0,0]
	v_mov_b32_e32 v65, v63
	v_pk_add_f32 v[60:61], v[60:61], v[64:65]
	v_pk_add_f32 v[60:61], v[92:93], v[60:61] neg_lo:[0,1] neg_hi:[0,1]
	buffer_store_dword v61, off, s[0:3], 0 offset:52
	buffer_store_dword v60, off, s[0:3], 0 offset:48
	s_and_saveexec_b64 s[4:5], vcc
	s_cbranch_execz .LBB27_171
; %bb.170:
	buffer_load_dword v60, off, s[0:3], 0 offset:40
	buffer_load_dword v61, off, s[0:3], 0 offset:44
	s_waitcnt vmcnt(0)
	ds_write_b64 v1, v[60:61]
	buffer_store_dword v58, off, s[0:3], 0 offset:40
	buffer_store_dword v58, off, s[0:3], 0 offset:44
.LBB27_171:
	s_or_b64 exec, exec, s[4:5]
	s_waitcnt lgkmcnt(0)
	; wave barrier
	s_waitcnt lgkmcnt(0)
	buffer_load_dword v59, off, s[0:3], 0 offset:52
	buffer_load_dword v110, off, s[0:3], 0 offset:60
	;; [unrolled: 1-line block ×30, first 2 shown]
	ds_read_b128 v[60:63], v58 offset:272
	ds_read_b128 v[64:67], v58 offset:288
	;; [unrolled: 1-line block ×6, first 2 shown]
	buffer_load_dword v95, off, s[0:3], 0 offset:164
	buffer_load_dword v94, off, s[0:3], 0 offset:160
	ds_read_b128 v[84:87], v58 offset:368
	ds_read_b128 v[88:91], v58 offset:384
	buffer_load_dword v97, off, s[0:3], 0 offset:196
	buffer_load_dword v96, off, s[0:3], 0 offset:192
	;; [unrolled: 1-line block ×14, first 2 shown]
	v_cmp_lt_u32_e32 vcc, 4, v0
	s_waitcnt vmcnt(45) lgkmcnt(7)
	v_mul_f32_e32 v113, v60, v59
	v_mul_f32_e32 v59, v61, v59
	s_waitcnt vmcnt(44)
	v_mul_f32_e32 v115, v62, v110
	s_waitcnt vmcnt(43) lgkmcnt(6)
	v_mul_f32_e32 v140, v64, v112
	s_waitcnt vmcnt(42)
	v_mul_f32_e32 v141, v66, v114
	s_waitcnt vmcnt(41) lgkmcnt(5)
	;; [unrolled: 4-line block ×5, first 2 shown]
	v_mul_f32_e32 v148, v80, v122
	s_waitcnt vmcnt(34)
	v_mul_f32_e32 v149, v82, v123
	s_waitcnt vmcnt(32)
	v_fma_f32 v59, v60, v125, -v59
	v_mul_f32_e32 v60, v63, v110
	v_add_f32_e32 v59, 0, v59
	s_waitcnt vmcnt(31)
	v_fma_f32 v60, v62, v126, -v60
	v_add_f32_e32 v59, v59, v60
	v_mul_f32_e32 v60, v65, v112
	s_waitcnt vmcnt(30)
	v_fma_f32 v60, v64, v127, -v60
	v_add_f32_e32 v59, v59, v60
	v_mul_f32_e32 v60, v67, v114
	;; [unrolled: 4-line block ×5, first 2 shown]
	v_fmac_f32_e32 v113, v61, v125
	s_waitcnt vmcnt(26)
	v_fma_f32 v60, v72, v131, -v60
	v_fmac_f32_e32 v115, v63, v126
	v_add_f32_e32 v113, 0, v113
	v_add_f32_e32 v59, v59, v60
	v_mul_f32_e32 v60, v75, v119
	v_fmac_f32_e32 v140, v65, v127
	v_add_f32_e32 v113, v113, v115
	s_waitcnt vmcnt(25)
	v_fma_f32 v60, v74, v132, -v60
	v_fmac_f32_e32 v141, v67, v128
	v_add_f32_e32 v113, v113, v140
	v_add_f32_e32 v59, v59, v60
	v_mul_f32_e32 v60, v77, v120
	v_fmac_f32_e32 v142, v69, v129
	v_add_f32_e32 v113, v113, v141
	;; [unrolled: 8-line block ×5, first 2 shown]
	s_waitcnt vmcnt(21)
	v_fma_f32 v60, v82, v136, -v60
	s_waitcnt vmcnt(15)
	v_mov_b32_e32 v72, v95
	s_waitcnt lgkmcnt(1)
	v_mul_f32_e32 v111, v84, v124
	v_fmac_f32_e32 v149, v83, v136
	v_add_f32_e32 v113, v113, v148
	v_add_f32_e32 v112, v59, v60
	v_mul_f32_e32 v59, v85, v124
	s_waitcnt lgkmcnt(0)
	v_pk_mul_f32 v[72:73], v[88:89], v[72:73] op_sel_hi:[1,0]
	v_fmac_f32_e32 v111, v85, v137
	v_add_f32_e32 v113, v113, v149
	v_mul_f32_e32 v115, v86, v138
	v_fma_f32 v110, v84, v137, -v59
	v_mul_f32_e32 v59, v87, v138
	s_waitcnt vmcnt(14)
	v_pk_fma_f32 v[74:75], v[88:89], v[94:95], v[72:73] op_sel:[0,0,1] op_sel_hi:[1,1,0] neg_lo:[0,0,1] neg_hi:[0,0,1]
	v_pk_fma_f32 v[72:73], v[88:89], v[94:95], v[72:73] op_sel:[0,0,1] op_sel_hi:[1,0,0]
	v_fmac_f32_e32 v115, v87, v139
	v_fma_f32 v114, v86, v139, -v59
	ds_read_b128 v[60:63], v58 offset:400
	ds_read_b128 v[64:67], v58 offset:416
	;; [unrolled: 1-line block ×3, first 2 shown]
	v_pk_add_f32 v[58:59], v[112:113], v[110:111]
	s_waitcnt vmcnt(7)
	v_mov_b32_e32 v72, v103
	v_pk_add_f32 v[58:59], v[58:59], v[114:115]
	v_mov_b32_e32 v75, v73
	v_pk_mul_f32 v[72:73], v[90:91], v[72:73] op_sel_hi:[1,0]
	v_pk_add_f32 v[58:59], v[58:59], v[74:75]
	s_waitcnt vmcnt(6)
	v_pk_fma_f32 v[74:75], v[90:91], v[102:103], v[72:73] op_sel:[0,0,1] op_sel_hi:[1,1,0] neg_lo:[0,0,1] neg_hi:[0,0,1]
	v_pk_fma_f32 v[72:73], v[90:91], v[102:103], v[72:73] op_sel:[0,0,1] op_sel_hi:[1,0,0]
	v_mov_b32_e32 v72, v101
	v_mov_b32_e32 v75, v73
	s_waitcnt lgkmcnt(2)
	v_pk_mul_f32 v[72:73], v[60:61], v[72:73] op_sel_hi:[1,0]
	v_pk_add_f32 v[58:59], v[58:59], v[74:75]
	v_pk_fma_f32 v[74:75], v[60:61], v[100:101], v[72:73] op_sel:[0,0,1] op_sel_hi:[1,1,0] neg_lo:[0,0,1] neg_hi:[0,0,1]
	v_pk_fma_f32 v[60:61], v[60:61], v[100:101], v[72:73] op_sel:[0,0,1] op_sel_hi:[1,0,0]
	v_mov_b32_e32 v60, v99
	v_mov_b32_e32 v75, v61
	v_pk_mul_f32 v[60:61], v[62:63], v[60:61] op_sel_hi:[1,0]
	v_pk_fma_f32 v[72:73], v[62:63], v[98:99], v[60:61] op_sel:[0,0,1] op_sel_hi:[1,1,0] neg_lo:[0,0,1] neg_hi:[0,0,1]
	v_pk_fma_f32 v[60:61], v[62:63], v[98:99], v[60:61] op_sel:[0,0,1] op_sel_hi:[1,0,0]
	v_mov_b32_e32 v60, v97
	v_mov_b32_e32 v73, v61
	s_waitcnt lgkmcnt(1)
	v_pk_mul_f32 v[60:61], v[64:65], v[60:61] op_sel_hi:[1,0]
	v_pk_fma_f32 v[62:63], v[64:65], v[96:97], v[60:61] op_sel:[0,0,1] op_sel_hi:[1,1,0] neg_lo:[0,0,1] neg_hi:[0,0,1]
	v_pk_fma_f32 v[60:61], v[64:65], v[96:97], v[60:61] op_sel:[0,0,1] op_sel_hi:[1,0,0]
	v_pk_add_f32 v[58:59], v[58:59], v[74:75]
	s_waitcnt vmcnt(1)
	v_mov_b32_e32 v60, v109
	v_pk_add_f32 v[58:59], v[58:59], v[72:73]
	v_mov_b32_e32 v63, v61
	v_pk_mul_f32 v[60:61], v[66:67], v[60:61] op_sel_hi:[1,0]
	v_pk_add_f32 v[58:59], v[58:59], v[62:63]
	s_waitcnt vmcnt(0)
	v_pk_fma_f32 v[62:63], v[66:67], v[108:109], v[60:61] op_sel:[0,0,1] op_sel_hi:[1,1,0] neg_lo:[0,0,1] neg_hi:[0,0,1]
	v_pk_fma_f32 v[60:61], v[66:67], v[108:109], v[60:61] op_sel:[0,0,1] op_sel_hi:[1,0,0]
	v_mov_b32_e32 v60, v107
	v_mov_b32_e32 v63, v61
	s_waitcnt lgkmcnt(0)
	v_pk_mul_f32 v[60:61], v[68:69], v[60:61] op_sel_hi:[1,0]
	v_pk_add_f32 v[58:59], v[58:59], v[62:63]
	v_pk_fma_f32 v[62:63], v[68:69], v[106:107], v[60:61] op_sel:[0,0,1] op_sel_hi:[1,1,0] neg_lo:[0,0,1] neg_hi:[0,0,1]
	v_pk_fma_f32 v[60:61], v[68:69], v[106:107], v[60:61] op_sel:[0,0,1] op_sel_hi:[1,0,0]
	v_mov_b32_e32 v60, v105
	v_mov_b32_e32 v63, v61
	v_pk_mul_f32 v[60:61], v[70:71], v[60:61] op_sel_hi:[1,0]
	v_pk_add_f32 v[58:59], v[58:59], v[62:63]
	v_pk_fma_f32 v[62:63], v[70:71], v[104:105], v[60:61] op_sel:[0,0,1] op_sel_hi:[1,1,0] neg_lo:[0,0,1] neg_hi:[0,0,1]
	v_pk_fma_f32 v[60:61], v[70:71], v[104:105], v[60:61] op_sel:[0,0,1] op_sel_hi:[1,0,0]
	v_mov_b32_e32 v63, v61
	v_pk_add_f32 v[58:59], v[58:59], v[62:63]
	v_pk_add_f32 v[58:59], v[92:93], v[58:59] neg_lo:[0,1] neg_hi:[0,1]
	buffer_store_dword v59, off, s[0:3], 0 offset:44
	buffer_store_dword v58, off, s[0:3], 0 offset:40
	s_and_saveexec_b64 s[4:5], vcc
	s_cbranch_execz .LBB27_173
; %bb.172:
	buffer_load_dword v58, off, s[0:3], 0 offset:32
	buffer_load_dword v59, off, s[0:3], 0 offset:36
	v_mov_b32_e32 v60, 0
	buffer_store_dword v60, off, s[0:3], 0 offset:32
	buffer_store_dword v60, off, s[0:3], 0 offset:36
	s_waitcnt vmcnt(2)
	ds_write_b64 v1, v[58:59]
.LBB27_173:
	s_or_b64 exec, exec, s[4:5]
	s_waitcnt lgkmcnt(0)
	; wave barrier
	s_waitcnt lgkmcnt(0)
	buffer_load_dword v59, off, s[0:3], 0 offset:44
	buffer_load_dword v108, off, s[0:3], 0 offset:52
	;; [unrolled: 1-line block ×32, first 2 shown]
	v_mov_b32_e32 v58, 0
	buffer_load_dword v95, off, s[0:3], 0 offset:188
	buffer_load_dword v94, off, s[0:3], 0 offset:184
	;; [unrolled: 1-line block ×13, first 2 shown]
	ds_read2_b64 v[60:63], v58 offset0:33 offset1:34
	ds_read2_b64 v[64:67], v58 offset0:35 offset1:36
	;; [unrolled: 1-line block ×8, first 2 shown]
	v_cmp_lt_u32_e32 vcc, 3, v0
	s_waitcnt vmcnt(44) lgkmcnt(7)
	v_mul_f32_e32 v102, v60, v59
	s_waitcnt vmcnt(43)
	v_mul_f32_e32 v109, v62, v108
	s_waitcnt vmcnt(42) lgkmcnt(6)
	v_mul_f32_e32 v110, v64, v112
	s_waitcnt vmcnt(41)
	v_mul_f32_e32 v111, v66, v114
	;; [unrolled: 4-line block ×6, first 2 shown]
	s_waitcnt vmcnt(32) lgkmcnt(1)
	v_mul_f32_e32 v148, v84, v124
	s_waitcnt vmcnt(31)
	v_fmac_f32_e32 v102, v61, v125
	s_waitcnt vmcnt(30)
	v_fmac_f32_e32 v109, v63, v126
	v_add_f32_e32 v102, 0, v102
	s_waitcnt vmcnt(29)
	v_fmac_f32_e32 v110, v65, v127
	v_add_f32_e32 v102, v102, v109
	;; [unrolled: 3-line block ×12, first 2 shown]
	v_add_f32_e32 v109, v102, v148
	buffer_load_dword v111, off, s[0:3], 0 offset:204
	buffer_load_dword v110, off, s[0:3], 0 offset:200
	;; [unrolled: 1-line block ×3, first 2 shown]
	v_mul_f32_e32 v59, v61, v59
	v_fma_f32 v59, v60, v125, -v59
	v_mul_f32_e32 v60, v63, v108
	v_add_f32_e32 v59, 0, v59
	v_fma_f32 v60, v62, v126, -v60
	v_add_f32_e32 v59, v59, v60
	v_mul_f32_e32 v60, v65, v112
	v_fma_f32 v60, v64, v127, -v60
	v_add_f32_e32 v59, v59, v60
	v_mul_f32_e32 v60, v67, v114
	;; [unrolled: 3-line block ×11, first 2 shown]
	v_fma_f32 v60, v84, v137, -v60
	s_waitcnt vmcnt(9)
	v_mov_b32_e32 v76, v101
	v_mul_f32_e32 v113, v86, v138
	v_add_f32_e32 v108, v59, v60
	v_mul_f32_e32 v59, v87, v138
	s_waitcnt lgkmcnt(0)
	v_pk_mul_f32 v[76:77], v[90:91], v[76:77] op_sel_hi:[1,0]
	v_fmac_f32_e32 v113, v87, v139
	v_mul_f32_e32 v115, v88, v140
	v_fma_f32 v112, v86, v139, -v59
	v_mul_f32_e32 v59, v89, v140
	ds_read2_b64 v[60:63], v58 offset0:49 offset1:50
	ds_read2_b64 v[64:67], v58 offset0:51 offset1:52
	;; [unrolled: 1-line block ×3, first 2 shown]
	ds_read_b64 v[72:73], v58 offset:440
	s_waitcnt vmcnt(8)
	v_pk_fma_f32 v[78:79], v[90:91], v[100:101], v[76:77] op_sel:[0,0,1] op_sel_hi:[1,1,0] neg_lo:[0,0,1] neg_hi:[0,0,1]
	v_pk_fma_f32 v[76:77], v[90:91], v[100:101], v[76:77] op_sel:[0,0,1] op_sel_hi:[1,0,0]
	v_fmac_f32_e32 v115, v89, v141
	v_fma_f32 v114, v88, v141, -v59
	v_pk_add_f32 v[74:75], v[108:109], v[112:113]
	v_mov_b32_e32 v76, v99
	v_pk_add_f32 v[74:75], v[74:75], v[114:115]
	v_mov_b32_e32 v79, v77
	s_waitcnt lgkmcnt(3)
	v_pk_mul_f32 v[76:77], v[60:61], v[76:77] op_sel_hi:[1,0]
	v_pk_add_f32 v[74:75], v[74:75], v[78:79]
	v_pk_fma_f32 v[78:79], v[60:61], v[98:99], v[76:77] op_sel:[0,0,1] op_sel_hi:[1,1,0] neg_lo:[0,0,1] neg_hi:[0,0,1]
	v_pk_fma_f32 v[60:61], v[60:61], v[98:99], v[76:77] op_sel:[0,0,1] op_sel_hi:[1,0,0]
	v_mov_b32_e32 v79, v61
	v_pk_add_f32 v[60:61], v[74:75], v[78:79]
	v_mov_b32_e32 v74, v97
	v_pk_mul_f32 v[74:75], v[62:63], v[74:75] op_sel_hi:[1,0]
	v_pk_fma_f32 v[76:77], v[62:63], v[96:97], v[74:75] op_sel:[0,0,1] op_sel_hi:[1,1,0] neg_lo:[0,0,1] neg_hi:[0,0,1]
	v_pk_fma_f32 v[62:63], v[62:63], v[96:97], v[74:75] op_sel:[0,0,1] op_sel_hi:[1,0,0]
	v_mov_b32_e32 v62, v95
	v_mov_b32_e32 v77, v63
	s_waitcnt lgkmcnt(2)
	v_pk_mul_f32 v[62:63], v[64:65], v[62:63] op_sel_hi:[1,0]
	v_pk_fma_f32 v[74:75], v[64:65], v[94:95], v[62:63] op_sel:[0,0,1] op_sel_hi:[1,1,0] neg_lo:[0,0,1] neg_hi:[0,0,1]
	v_pk_fma_f32 v[62:63], v[64:65], v[94:95], v[62:63] op_sel:[0,0,1] op_sel_hi:[1,0,0]
	s_waitcnt vmcnt(7)
	v_mov_b32_e32 v62, v103
	v_mov_b32_e32 v75, v63
	v_pk_mul_f32 v[62:63], v[66:67], v[62:63] op_sel_hi:[1,0]
	v_pk_add_f32 v[60:61], v[60:61], v[76:77]
	v_pk_add_f32 v[60:61], v[60:61], v[74:75]
	s_waitcnt vmcnt(0)
	v_pk_fma_f32 v[64:65], v[66:67], v[102:103], v[62:63] op_sel:[0,0,1] op_sel_hi:[1,1,0] neg_lo:[0,0,1] neg_hi:[0,0,1]
	v_pk_fma_f32 v[62:63], v[66:67], v[102:103], v[62:63] op_sel:[0,0,1] op_sel_hi:[1,0,0]
	v_mov_b32_e32 v62, v111
	v_mov_b32_e32 v65, v63
	s_waitcnt lgkmcnt(1)
	v_pk_mul_f32 v[62:63], v[68:69], v[62:63] op_sel_hi:[1,0]
	v_pk_add_f32 v[60:61], v[60:61], v[64:65]
	v_pk_fma_f32 v[64:65], v[68:69], v[110:111], v[62:63] op_sel:[0,0,1] op_sel_hi:[1,1,0] neg_lo:[0,0,1] neg_hi:[0,0,1]
	v_pk_fma_f32 v[62:63], v[68:69], v[110:111], v[62:63] op_sel:[0,0,1] op_sel_hi:[1,0,0]
	v_mov_b32_e32 v62, v107
	v_mov_b32_e32 v65, v63
	v_pk_mul_f32 v[62:63], v[70:71], v[62:63] op_sel_hi:[1,0]
	v_pk_add_f32 v[60:61], v[60:61], v[64:65]
	v_pk_fma_f32 v[64:65], v[70:71], v[106:107], v[62:63] op_sel:[0,0,1] op_sel_hi:[1,1,0] neg_lo:[0,0,1] neg_hi:[0,0,1]
	v_pk_fma_f32 v[62:63], v[70:71], v[106:107], v[62:63] op_sel:[0,0,1] op_sel_hi:[1,0,0]
	v_mov_b32_e32 v62, v105
	v_mov_b32_e32 v65, v63
	s_waitcnt lgkmcnt(0)
	v_pk_mul_f32 v[62:63], v[72:73], v[62:63] op_sel_hi:[1,0]
	v_pk_add_f32 v[60:61], v[60:61], v[64:65]
	v_pk_fma_f32 v[64:65], v[72:73], v[104:105], v[62:63] op_sel:[0,0,1] op_sel_hi:[1,1,0] neg_lo:[0,0,1] neg_hi:[0,0,1]
	v_pk_fma_f32 v[62:63], v[72:73], v[104:105], v[62:63] op_sel:[0,0,1] op_sel_hi:[1,0,0]
	v_mov_b32_e32 v65, v63
	v_pk_add_f32 v[60:61], v[60:61], v[64:65]
	v_pk_add_f32 v[60:61], v[92:93], v[60:61] neg_lo:[0,1] neg_hi:[0,1]
	buffer_store_dword v61, off, s[0:3], 0 offset:36
	buffer_store_dword v60, off, s[0:3], 0 offset:32
	s_and_saveexec_b64 s[4:5], vcc
	s_cbranch_execz .LBB27_175
; %bb.174:
	buffer_load_dword v60, off, s[0:3], 0 offset:24
	buffer_load_dword v61, off, s[0:3], 0 offset:28
	s_waitcnt vmcnt(0)
	ds_write_b64 v1, v[60:61]
	buffer_store_dword v58, off, s[0:3], 0 offset:24
	buffer_store_dword v58, off, s[0:3], 0 offset:28
.LBB27_175:
	s_or_b64 exec, exec, s[4:5]
	s_waitcnt lgkmcnt(0)
	; wave barrier
	s_waitcnt lgkmcnt(0)
	buffer_load_dword v59, off, s[0:3], 0 offset:36
	buffer_load_dword v108, off, s[0:3], 0 offset:44
	;; [unrolled: 1-line block ×34, first 2 shown]
	ds_read_b128 v[60:63], v58 offset:256
	ds_read_b128 v[64:67], v58 offset:272
	;; [unrolled: 1-line block ×8, first 2 shown]
	buffer_load_dword v95, off, s[0:3], 0 offset:180
	buffer_load_dword v94, off, s[0:3], 0 offset:176
	;; [unrolled: 1-line block ×9, first 2 shown]
	v_cmp_lt_u32_e32 vcc, 2, v0
	s_waitcnt vmcnt(42) lgkmcnt(7)
	v_mul_f32_e32 v100, v60, v59
	s_waitcnt vmcnt(41)
	v_mul_f32_e32 v104, v62, v108
	s_waitcnt vmcnt(40) lgkmcnt(6)
	v_mul_f32_e32 v105, v64, v110
	s_waitcnt vmcnt(39)
	v_mul_f32_e32 v106, v66, v112
	;; [unrolled: 4-line block ×6, first 2 shown]
	s_waitcnt vmcnt(30) lgkmcnt(1)
	v_mul_f32_e32 v146, v84, v124
	v_mul_f32_e32 v59, v61, v59
	s_waitcnt vmcnt(28)
	v_fmac_f32_e32 v100, v61, v126
	s_waitcnt vmcnt(27)
	v_fmac_f32_e32 v104, v63, v127
	v_add_f32_e32 v100, 0, v100
	s_waitcnt vmcnt(26)
	v_fmac_f32_e32 v105, v65, v128
	v_add_f32_e32 v100, v100, v104
	;; [unrolled: 3-line block ×12, first 2 shown]
	v_add_f32_e32 v109, v100, v146
	buffer_load_dword v105, off, s[0:3], 0 offset:204
	buffer_load_dword v104, off, s[0:3], 0 offset:200
	;; [unrolled: 1-line block ×7, first 2 shown]
	v_fma_f32 v59, v60, v126, -v59
	v_mul_f32_e32 v60, v63, v108
	v_add_f32_e32 v59, 0, v59
	v_fma_f32 v60, v62, v127, -v60
	v_add_f32_e32 v59, v59, v60
	v_mul_f32_e32 v60, v65, v110
	v_fma_f32 v60, v64, v128, -v60
	v_add_f32_e32 v59, v59, v60
	v_mul_f32_e32 v60, v67, v112
	v_fma_f32 v60, v66, v129, -v60
	v_add_f32_e32 v59, v59, v60
	v_mul_f32_e32 v60, v69, v116
	v_fma_f32 v60, v68, v130, -v60
	v_add_f32_e32 v59, v59, v60
	v_mul_f32_e32 v60, v71, v117
	v_fma_f32 v60, v70, v131, -v60
	v_add_f32_e32 v59, v59, v60
	v_mul_f32_e32 v60, v73, v118
	v_fma_f32 v60, v72, v132, -v60
	v_add_f32_e32 v59, v59, v60
	v_mul_f32_e32 v60, v75, v119
	v_fma_f32 v60, v74, v133, -v60
	v_add_f32_e32 v59, v59, v60
	v_mul_f32_e32 v60, v77, v120
	v_fma_f32 v60, v76, v134, -v60
	v_add_f32_e32 v59, v59, v60
	v_mul_f32_e32 v60, v79, v121
	v_fma_f32 v60, v78, v135, -v60
	v_add_f32_e32 v59, v59, v60
	v_mul_f32_e32 v60, v81, v122
	v_fma_f32 v60, v80, v136, -v60
	v_add_f32_e32 v59, v59, v60
	v_mul_f32_e32 v60, v83, v123
	v_fma_f32 v60, v82, v137, -v60
	v_add_f32_e32 v59, v59, v60
	v_mul_f32_e32 v60, v85, v124
	v_fma_f32 v60, v84, v138, -v60
	v_add_f32_e32 v59, v59, v60
	v_mul_f32_e32 v60, v87, v125
	s_waitcnt vmcnt(22)
	v_fma_f32 v60, v86, v139, -v60
	v_add_f32_e32 v108, v59, v60
	ds_read_b128 v[60:63], v58 offset:384
	ds_read_b128 v[64:67], v58 offset:400
	;; [unrolled: 1-line block ×4, first 2 shown]
	s_waitcnt vmcnt(11)
	v_mov_b32_e32 v76, v99
	s_waitcnt lgkmcnt(3)
	v_pk_mul_f32 v[76:77], v[60:61], v[76:77] op_sel_hi:[1,0]
	s_waitcnt vmcnt(10)
	v_pk_fma_f32 v[78:79], v[60:61], v[98:99], v[76:77] op_sel:[0,0,1] op_sel_hi:[1,1,0] neg_lo:[0,0,1] neg_hi:[0,0,1]
	v_pk_fma_f32 v[60:61], v[60:61], v[98:99], v[76:77] op_sel:[0,0,1] op_sel_hi:[1,0,0]
	v_mov_b32_e32 v60, v97
	v_mul_f32_e32 v147, v86, v125
	v_mov_b32_e32 v79, v61
	v_pk_mul_f32 v[60:61], v[62:63], v[60:61] op_sel_hi:[1,0]
	v_fmac_f32_e32 v147, v87, v139
	v_mul_f32_e32 v111, v88, v140
	v_mul_f32_e32 v59, v89, v140
	v_pk_fma_f32 v[76:77], v[62:63], v[96:97], v[60:61] op_sel:[0,0,1] op_sel_hi:[1,1,0] neg_lo:[0,0,1] neg_hi:[0,0,1]
	v_pk_fma_f32 v[60:61], v[62:63], v[96:97], v[60:61] op_sel:[0,0,1] op_sel_hi:[1,0,0]
	v_add_f32_e32 v109, v109, v147
	v_fmac_f32_e32 v111, v89, v141
	v_mul_f32_e32 v113, v90, v142
	v_fma_f32 v110, v88, v141, -v59
	v_mul_f32_e32 v59, v91, v142
	v_mov_b32_e32 v60, v95
	v_fmac_f32_e32 v113, v91, v143
	v_fma_f32 v112, v90, v143, -v59
	v_pk_add_f32 v[58:59], v[108:109], v[110:111]
	v_mov_b32_e32 v77, v61
	s_waitcnt lgkmcnt(2)
	v_pk_mul_f32 v[60:61], v[64:65], v[60:61] op_sel_hi:[1,0]
	v_pk_add_f32 v[58:59], v[58:59], v[112:113]
	v_pk_fma_f32 v[62:63], v[64:65], v[94:95], v[60:61] op_sel:[0,0,1] op_sel_hi:[1,1,0] neg_lo:[0,0,1] neg_hi:[0,0,1]
	v_pk_fma_f32 v[60:61], v[64:65], v[94:95], v[60:61] op_sel:[0,0,1] op_sel_hi:[1,0,0]
	v_pk_add_f32 v[58:59], v[58:59], v[78:79]
	s_waitcnt vmcnt(9)
	v_mov_b32_e32 v60, v101
	v_pk_add_f32 v[58:59], v[58:59], v[76:77]
	v_mov_b32_e32 v63, v61
	v_pk_mul_f32 v[60:61], v[66:67], v[60:61] op_sel_hi:[1,0]
	v_pk_add_f32 v[58:59], v[58:59], v[62:63]
	s_waitcnt vmcnt(2)
	v_pk_fma_f32 v[62:63], v[66:67], v[100:101], v[60:61] op_sel:[0,0,1] op_sel_hi:[1,1,0] neg_lo:[0,0,1] neg_hi:[0,0,1]
	v_pk_fma_f32 v[60:61], v[66:67], v[100:101], v[60:61] op_sel:[0,0,1] op_sel_hi:[1,0,0]
	v_mov_b32_e32 v60, v107
	v_mov_b32_e32 v63, v61
	s_waitcnt lgkmcnt(1)
	v_pk_mul_f32 v[60:61], v[68:69], v[60:61] op_sel_hi:[1,0]
	v_pk_add_f32 v[58:59], v[58:59], v[62:63]
	v_pk_fma_f32 v[62:63], v[68:69], v[106:107], v[60:61] op_sel:[0,0,1] op_sel_hi:[1,1,0] neg_lo:[0,0,1] neg_hi:[0,0,1]
	v_pk_fma_f32 v[60:61], v[68:69], v[106:107], v[60:61] op_sel:[0,0,1] op_sel_hi:[1,0,0]
	v_mov_b32_e32 v60, v105
	v_mov_b32_e32 v63, v61
	v_pk_mul_f32 v[60:61], v[70:71], v[60:61] op_sel_hi:[1,0]
	v_pk_add_f32 v[58:59], v[58:59], v[62:63]
	v_pk_fma_f32 v[62:63], v[70:71], v[104:105], v[60:61] op_sel:[0,0,1] op_sel_hi:[1,1,0] neg_lo:[0,0,1] neg_hi:[0,0,1]
	v_pk_fma_f32 v[60:61], v[70:71], v[104:105], v[60:61] op_sel:[0,0,1] op_sel_hi:[1,0,0]
	v_mov_b32_e32 v60, v103
	v_mov_b32_e32 v63, v61
	s_waitcnt lgkmcnt(0)
	v_pk_mul_f32 v[60:61], v[72:73], v[60:61] op_sel_hi:[1,0]
	v_pk_add_f32 v[58:59], v[58:59], v[62:63]
	v_pk_fma_f32 v[62:63], v[72:73], v[102:103], v[60:61] op_sel:[0,0,1] op_sel_hi:[1,1,0] neg_lo:[0,0,1] neg_hi:[0,0,1]
	v_pk_fma_f32 v[60:61], v[72:73], v[102:103], v[60:61] op_sel:[0,0,1] op_sel_hi:[1,0,0]
	s_waitcnt vmcnt(1)
	v_mov_b32_e32 v60, v115
	v_mov_b32_e32 v63, v61
	v_pk_mul_f32 v[60:61], v[74:75], v[60:61] op_sel_hi:[1,0]
	v_pk_add_f32 v[58:59], v[58:59], v[62:63]
	s_waitcnt vmcnt(0)
	v_pk_fma_f32 v[62:63], v[74:75], v[114:115], v[60:61] op_sel:[0,0,1] op_sel_hi:[1,1,0] neg_lo:[0,0,1] neg_hi:[0,0,1]
	v_pk_fma_f32 v[60:61], v[74:75], v[114:115], v[60:61] op_sel:[0,0,1] op_sel_hi:[1,0,0]
	v_mov_b32_e32 v63, v61
	v_pk_add_f32 v[58:59], v[58:59], v[62:63]
	v_pk_add_f32 v[58:59], v[92:93], v[58:59] neg_lo:[0,1] neg_hi:[0,1]
	buffer_store_dword v59, off, s[0:3], 0 offset:28
	buffer_store_dword v58, off, s[0:3], 0 offset:24
	s_and_saveexec_b64 s[4:5], vcc
	s_cbranch_execz .LBB27_177
; %bb.176:
	buffer_load_dword v58, off, s[0:3], 0 offset:16
	buffer_load_dword v59, off, s[0:3], 0 offset:20
	v_mov_b32_e32 v60, 0
	buffer_store_dword v60, off, s[0:3], 0 offset:16
	buffer_store_dword v60, off, s[0:3], 0 offset:20
	s_waitcnt vmcnt(2)
	ds_write_b64 v1, v[58:59]
.LBB27_177:
	s_or_b64 exec, exec, s[4:5]
	s_waitcnt lgkmcnt(0)
	; wave barrier
	s_waitcnt lgkmcnt(0)
	buffer_load_dword v61, off, s[0:3], 0 offset:28
	buffer_load_dword v114, off, s[0:3], 0 offset:36
	;; [unrolled: 1-line block ×36, first 2 shown]
	v_mov_b32_e32 v60, 0
	buffer_load_dword v103, off, s[0:3], 0 offset:172
	buffer_load_dword v102, off, s[0:3], 0 offset:168
	buffer_load_dword v105, off, s[0:3], 0 offset:164
	buffer_load_dword v104, off, s[0:3], 0 offset:160
	buffer_load_dword v107, off, s[0:3], 0 offset:180
	ds_read2_b64 v[62:65], v60 offset0:31 offset1:32
	ds_read2_b64 v[66:69], v60 offset0:33 offset1:34
	;; [unrolled: 1-line block ×8, first 2 shown]
	v_cmp_lt_u32_e32 vcc, 1, v0
	s_waitcnt vmcnt(40) lgkmcnt(7)
	v_mul_f32_e32 v94, v62, v61
	s_waitcnt vmcnt(39)
	v_mul_f32_e32 v95, v64, v114
	s_waitcnt vmcnt(38) lgkmcnt(6)
	v_mul_f32_e32 v96, v66, v116
	s_waitcnt vmcnt(37)
	v_mul_f32_e32 v97, v68, v118
	s_waitcnt vmcnt(36) lgkmcnt(5)
	v_mul_f32_e32 v98, v70, v124
	s_waitcnt vmcnt(35)
	v_mul_f32_e32 v99, v72, v125
	s_waitcnt vmcnt(34) lgkmcnt(4)
	v_mul_f32_e32 v100, v74, v126
	s_waitcnt vmcnt(33)
	v_mul_f32_e32 v101, v76, v127
	s_waitcnt vmcnt(32) lgkmcnt(3)
	v_mul_f32_e32 v106, v78, v128
	s_waitcnt vmcnt(31)
	v_mul_f32_e32 v108, v80, v129
	s_waitcnt vmcnt(30) lgkmcnt(2)
	v_mul_f32_e32 v109, v82, v130
	s_waitcnt vmcnt(29)
	v_mul_f32_e32 v110, v84, v131
	s_waitcnt vmcnt(28) lgkmcnt(1)
	v_mul_f32_e32 v111, v86, v132
	s_waitcnt vmcnt(27)
	v_mul_f32_e32 v112, v88, v133
	s_waitcnt vmcnt(26) lgkmcnt(0)
	v_mul_f32_e32 v115, v90, v134
	s_waitcnt vmcnt(25)
	v_fmac_f32_e32 v94, v63, v135
	s_waitcnt vmcnt(24)
	v_fmac_f32_e32 v95, v65, v136
	v_add_f32_e32 v94, 0, v94
	s_waitcnt vmcnt(23)
	v_fmac_f32_e32 v96, v67, v137
	v_add_f32_e32 v94, v94, v95
	;; [unrolled: 3-line block ×13, first 2 shown]
	v_add_f32_e32 v98, v94, v112
	buffer_load_dword v109, off, s[0:3], 0 offset:204
	buffer_load_dword v108, off, s[0:3], 0 offset:200
	;; [unrolled: 1-line block ×7, first 2 shown]
	s_waitcnt vmcnt(18)
	v_fmac_f32_e32 v115, v91, v149
	ds_read2_b64 v[94:97], v60 offset0:47 offset1:48
	v_add_f32_e32 v115, v98, v115
	ds_read2_b64 v[98:101], v60 offset0:49 offset1:50
	buffer_load_dword v121, off, s[0:3], 0 offset:220
	buffer_load_dword v120, off, s[0:3], 0 offset:216
	;; [unrolled: 1-line block ×4, first 2 shown]
	v_mul_f32_e32 v61, v63, v61
	v_fma_f32 v61, v62, v135, -v61
	v_mul_f32_e32 v62, v65, v114
	v_add_f32_e32 v61, 0, v61
	v_fma_f32 v62, v64, v136, -v62
	v_add_f32_e32 v61, v61, v62
	v_mul_f32_e32 v62, v67, v116
	v_fma_f32 v62, v66, v137, -v62
	v_add_f32_e32 v61, v61, v62
	v_mul_f32_e32 v62, v69, v118
	;; [unrolled: 3-line block ×13, first 2 shown]
	v_fma_f32 v62, v90, v149, -v62
	s_waitcnt vmcnt(13)
	v_mov_b32_e32 v74, v105
	v_mul_f32_e32 v117, v92, v150
	v_add_f32_e32 v114, v61, v62
	v_mul_f32_e32 v61, v93, v150
	s_waitcnt lgkmcnt(1)
	v_pk_mul_f32 v[74:75], v[96:97], v[74:75] op_sel_hi:[1,0]
	v_fmac_f32_e32 v117, v93, v151
	v_mul_f32_e32 v119, v94, v152
	v_fma_f32 v116, v92, v151, -v61
	v_mul_f32_e32 v61, v95, v152
	s_waitcnt vmcnt(12)
	v_pk_fma_f32 v[76:77], v[96:97], v[104:105], v[74:75] op_sel:[0,0,1] op_sel_hi:[1,1,0] neg_lo:[0,0,1] neg_hi:[0,0,1]
	v_pk_fma_f32 v[74:75], v[96:97], v[104:105], v[74:75] op_sel:[0,0,1] op_sel_hi:[1,0,0]
	v_fmac_f32_e32 v119, v95, v153
	v_fma_f32 v118, v94, v153, -v61
	v_pk_add_f32 v[72:73], v[114:115], v[116:117]
	v_mov_b32_e32 v74, v103
	v_pk_add_f32 v[72:73], v[72:73], v[118:119]
	v_mov_b32_e32 v77, v75
	s_waitcnt lgkmcnt(0)
	v_pk_mul_f32 v[74:75], v[98:99], v[74:75] op_sel_hi:[1,0]
	v_pk_add_f32 v[72:73], v[72:73], v[76:77]
	v_pk_fma_f32 v[76:77], v[98:99], v[102:103], v[74:75] op_sel:[0,0,1] op_sel_hi:[1,1,0] neg_lo:[0,0,1] neg_hi:[0,0,1]
	v_pk_fma_f32 v[74:75], v[98:99], v[102:103], v[74:75] op_sel:[0,0,1] op_sel_hi:[1,0,0]
	s_waitcnt vmcnt(11)
	v_mov_b32_e32 v74, v107
	ds_read2_b64 v[62:65], v60 offset0:51 offset1:52
	ds_read2_b64 v[66:69], v60 offset0:53 offset1:54
	ds_read_b64 v[70:71], v60 offset:440
	v_mov_b32_e32 v77, v75
	v_pk_mul_f32 v[74:75], v[100:101], v[74:75] op_sel_hi:[1,0]
	v_pk_add_f32 v[72:73], v[72:73], v[76:77]
	s_waitcnt vmcnt(4)
	v_pk_fma_f32 v[76:77], v[100:101], v[106:107], v[74:75] op_sel:[0,0,1] op_sel_hi:[1,1,0] neg_lo:[0,0,1] neg_hi:[0,0,1]
	v_pk_fma_f32 v[74:75], v[100:101], v[106:107], v[74:75] op_sel:[0,0,1] op_sel_hi:[1,0,0]
	v_mov_b32_e32 v74, v113
	v_mov_b32_e32 v77, v75
	s_waitcnt lgkmcnt(2)
	v_pk_mul_f32 v[74:75], v[62:63], v[74:75] op_sel_hi:[1,0]
	v_pk_add_f32 v[72:73], v[72:73], v[76:77]
	v_pk_fma_f32 v[76:77], v[62:63], v[112:113], v[74:75] op_sel:[0,0,1] op_sel_hi:[1,1,0] neg_lo:[0,0,1] neg_hi:[0,0,1]
	v_pk_fma_f32 v[62:63], v[62:63], v[112:113], v[74:75] op_sel:[0,0,1] op_sel_hi:[1,0,0]
	v_mov_b32_e32 v77, v63
	v_pk_add_f32 v[62:63], v[72:73], v[76:77]
	v_mov_b32_e32 v72, v111
	v_pk_mul_f32 v[72:73], v[64:65], v[72:73] op_sel_hi:[1,0]
	v_pk_fma_f32 v[74:75], v[64:65], v[110:111], v[72:73] op_sel:[0,0,1] op_sel_hi:[1,1,0] neg_lo:[0,0,1] neg_hi:[0,0,1]
	v_pk_fma_f32 v[64:65], v[64:65], v[110:111], v[72:73] op_sel:[0,0,1] op_sel_hi:[1,0,0]
	v_mov_b32_e32 v64, v109
	v_mov_b32_e32 v75, v65
	s_waitcnt lgkmcnt(1)
	v_pk_mul_f32 v[64:65], v[66:67], v[64:65] op_sel_hi:[1,0]
	v_pk_fma_f32 v[72:73], v[66:67], v[108:109], v[64:65] op_sel:[0,0,1] op_sel_hi:[1,1,0] neg_lo:[0,0,1] neg_hi:[0,0,1]
	v_pk_fma_f32 v[64:65], v[66:67], v[108:109], v[64:65] op_sel:[0,0,1] op_sel_hi:[1,0,0]
	s_waitcnt vmcnt(1)
	v_mov_b32_e32 v64, v123
	v_mov_b32_e32 v73, v65
	v_pk_mul_f32 v[64:65], v[68:69], v[64:65] op_sel_hi:[1,0]
	s_waitcnt vmcnt(0)
	v_pk_fma_f32 v[66:67], v[68:69], v[122:123], v[64:65] op_sel:[0,0,1] op_sel_hi:[1,1,0] neg_lo:[0,0,1] neg_hi:[0,0,1]
	v_pk_fma_f32 v[64:65], v[68:69], v[122:123], v[64:65] op_sel:[0,0,1] op_sel_hi:[1,0,0]
	v_pk_add_f32 v[62:63], v[62:63], v[74:75]
	v_mov_b32_e32 v64, v121
	v_pk_add_f32 v[62:63], v[62:63], v[72:73]
	v_mov_b32_e32 v67, v65
	s_waitcnt lgkmcnt(0)
	v_pk_mul_f32 v[64:65], v[70:71], v[64:65] op_sel_hi:[1,0]
	v_pk_add_f32 v[62:63], v[62:63], v[66:67]
	v_pk_fma_f32 v[66:67], v[70:71], v[120:121], v[64:65] op_sel:[0,0,1] op_sel_hi:[1,1,0] neg_lo:[0,0,1] neg_hi:[0,0,1]
	v_pk_fma_f32 v[64:65], v[70:71], v[120:121], v[64:65] op_sel:[0,0,1] op_sel_hi:[1,0,0]
	v_mov_b32_e32 v67, v65
	v_pk_add_f32 v[62:63], v[62:63], v[66:67]
	v_pk_add_f32 v[58:59], v[58:59], v[62:63] neg_lo:[0,1] neg_hi:[0,1]
	buffer_store_dword v59, off, s[0:3], 0 offset:20
	buffer_store_dword v58, off, s[0:3], 0 offset:16
	s_and_saveexec_b64 s[4:5], vcc
	s_cbranch_execz .LBB27_179
; %bb.178:
	buffer_load_dword v58, off, s[0:3], 0 offset:8
	buffer_load_dword v59, off, s[0:3], 0 offset:12
	s_waitcnt vmcnt(0)
	ds_write_b64 v1, v[58:59]
	buffer_store_dword v60, off, s[0:3], 0 offset:8
	buffer_store_dword v60, off, s[0:3], 0 offset:12
.LBB27_179:
	s_or_b64 exec, exec, s[4:5]
	s_waitcnt lgkmcnt(0)
	; wave barrier
	s_waitcnt lgkmcnt(0)
	buffer_load_dword v58, off, s[0:3], 0 offset:20
	buffer_load_dword v59, off, s[0:3], 0 offset:28
	;; [unrolled: 1-line block ×38, first 2 shown]
	ds_read_b128 v[62:65], v60 offset:240
	ds_read_b128 v[66:69], v60 offset:256
	;; [unrolled: 1-line block ×8, first 2 shown]
	buffer_load_dword v105, off, s[0:3], 0 offset:164
	buffer_load_dword v104, off, s[0:3], 0 offset:160
	;; [unrolled: 1-line block ×4, first 2 shown]
	v_cmp_ne_u32_e32 vcc, 0, v0
	s_waitcnt vmcnt(41) lgkmcnt(7)
	v_mul_f32_e32 v94, v62, v58
	s_waitcnt vmcnt(40)
	v_mul_f32_e32 v95, v64, v59
	s_waitcnt vmcnt(39) lgkmcnt(6)
	v_mul_f32_e32 v96, v66, v61
	s_waitcnt vmcnt(38)
	v_mul_f32_e32 v97, v68, v114
	;; [unrolled: 4-line block ×7, first 2 shown]
	s_waitcnt vmcnt(27) lgkmcnt(0)
	v_mul_f32_e32 v115, v90, v134
	s_waitcnt vmcnt(26)
	v_fmac_f32_e32 v94, v63, v135
	s_waitcnt vmcnt(25)
	v_fmac_f32_e32 v95, v65, v136
	v_add_f32_e32 v94, 0, v94
	s_waitcnt vmcnt(24)
	v_fmac_f32_e32 v96, v67, v137
	v_add_f32_e32 v94, v94, v95
	;; [unrolled: 3-line block ×13, first 2 shown]
	v_add_f32_e32 v94, v94, v113
	buffer_load_dword v109, off, s[0:3], 0 offset:188
	buffer_load_dword v108, off, s[0:3], 0 offset:184
	;; [unrolled: 1-line block ×6, first 2 shown]
	s_waitcnt vmcnt(18)
	v_fmac_f32_e32 v115, v91, v149
	s_waitcnt vmcnt(17)
	v_mul_f32_e32 v99, v92, v150
	v_add_f32_e32 v98, v94, v115
	s_waitcnt vmcnt(16)
	v_fmac_f32_e32 v99, v93, v151
	ds_read_b128 v[94:97], v60 offset:368
	v_add_f32_e32 v115, v98, v99
	ds_read_b128 v[98:101], v60 offset:384
	buffer_load_dword v121, off, s[0:3], 0 offset:220
	buffer_load_dword v120, off, s[0:3], 0 offset:216
	;; [unrolled: 1-line block ×6, first 2 shown]
	v_mul_f32_e32 v58, v63, v58
	v_fma_f32 v58, v62, v135, -v58
	v_mul_f32_e32 v59, v65, v59
	v_add_f32_e32 v58, 0, v58
	v_fma_f32 v59, v64, v136, -v59
	v_add_f32_e32 v58, v58, v59
	v_mul_f32_e32 v59, v67, v61
	v_fma_f32 v59, v66, v137, -v59
	v_add_f32_e32 v58, v58, v59
	v_mul_f32_e32 v59, v69, v114
	;; [unrolled: 3-line block ×14, first 2 shown]
	v_fma_f32 v59, v92, v151, -v59
	s_waitcnt vmcnt(15)
	v_mov_b32_e32 v72, v105
	s_waitcnt lgkmcnt(1)
	v_mul_f32_e32 v117, v94, v152
	v_add_f32_e32 v114, v58, v59
	v_mul_f32_e32 v58, v95, v152
	s_waitcnt lgkmcnt(0)
	v_pk_mul_f32 v[72:73], v[98:99], v[72:73] op_sel_hi:[1,0]
	v_fmac_f32_e32 v117, v95, v153
	v_mul_f32_e32 v119, v96, v154
	v_fma_f32 v116, v94, v153, -v58
	v_mul_f32_e32 v58, v97, v154
	s_waitcnt vmcnt(14)
	v_pk_fma_f32 v[74:75], v[98:99], v[104:105], v[72:73] op_sel:[0,0,1] op_sel_hi:[1,1,0] neg_lo:[0,0,1] neg_hi:[0,0,1]
	v_pk_fma_f32 v[72:73], v[98:99], v[104:105], v[72:73] op_sel:[0,0,1] op_sel_hi:[1,0,0]
	v_fmac_f32_e32 v119, v97, v155
	v_fma_f32 v118, v96, v155, -v58
	v_pk_add_f32 v[70:71], v[114:115], v[116:117]
	ds_read_b128 v[62:65], v60 offset:400
	ds_read_b128 v[66:69], v60 offset:416
	;; [unrolled: 1-line block ×3, first 2 shown]
	v_pk_add_f32 v[70:71], v[70:71], v[118:119]
	v_mov_b32_e32 v75, v73
	v_pk_add_f32 v[70:71], v[70:71], v[74:75]
	s_waitcnt vmcnt(7)
	v_mov_b32_e32 v72, v113
	v_pk_mul_f32 v[72:73], v[100:101], v[72:73] op_sel_hi:[1,0]
	s_waitcnt vmcnt(6)
	v_pk_fma_f32 v[74:75], v[100:101], v[112:113], v[72:73] op_sel:[0,0,1] op_sel_hi:[1,1,0] neg_lo:[0,0,1] neg_hi:[0,0,1]
	v_pk_fma_f32 v[72:73], v[100:101], v[112:113], v[72:73] op_sel:[0,0,1] op_sel_hi:[1,0,0]
	v_mov_b32_e32 v72, v111
	v_mov_b32_e32 v75, v73
	s_waitcnt lgkmcnt(2)
	v_pk_mul_f32 v[72:73], v[62:63], v[72:73] op_sel_hi:[1,0]
	v_pk_add_f32 v[70:71], v[70:71], v[74:75]
	v_pk_fma_f32 v[74:75], v[62:63], v[110:111], v[72:73] op_sel:[0,0,1] op_sel_hi:[1,1,0] neg_lo:[0,0,1] neg_hi:[0,0,1]
	v_pk_fma_f32 v[62:63], v[62:63], v[110:111], v[72:73] op_sel:[0,0,1] op_sel_hi:[1,0,0]
	v_mov_b32_e32 v75, v63
	v_pk_add_f32 v[62:63], v[70:71], v[74:75]
	v_mov_b32_e32 v70, v109
	v_pk_mul_f32 v[70:71], v[64:65], v[70:71] op_sel_hi:[1,0]
	v_pk_fma_f32 v[72:73], v[64:65], v[108:109], v[70:71] op_sel:[0,0,1] op_sel_hi:[1,1,0] neg_lo:[0,0,1] neg_hi:[0,0,1]
	v_pk_fma_f32 v[64:65], v[64:65], v[108:109], v[70:71] op_sel:[0,0,1] op_sel_hi:[1,0,0]
	v_mov_b32_e32 v64, v107
	v_mov_b32_e32 v73, v65
	s_waitcnt lgkmcnt(1)
	v_pk_mul_f32 v[64:65], v[66:67], v[64:65] op_sel_hi:[1,0]
	v_pk_fma_f32 v[70:71], v[66:67], v[106:107], v[64:65] op_sel:[0,0,1] op_sel_hi:[1,1,0] neg_lo:[0,0,1] neg_hi:[0,0,1]
	v_pk_fma_f32 v[64:65], v[66:67], v[106:107], v[64:65] op_sel:[0,0,1] op_sel_hi:[1,0,0]
	s_waitcnt vmcnt(1)
	v_mov_b32_e32 v64, v125
	v_mov_b32_e32 v71, v65
	v_pk_mul_f32 v[64:65], v[68:69], v[64:65] op_sel_hi:[1,0]
	s_waitcnt vmcnt(0)
	v_pk_fma_f32 v[66:67], v[68:69], v[124:125], v[64:65] op_sel:[0,0,1] op_sel_hi:[1,1,0] neg_lo:[0,0,1] neg_hi:[0,0,1]
	v_pk_fma_f32 v[64:65], v[68:69], v[124:125], v[64:65] op_sel:[0,0,1] op_sel_hi:[1,0,0]
	v_pk_add_f32 v[62:63], v[62:63], v[72:73]
	v_mov_b32_e32 v64, v123
	v_pk_add_f32 v[62:63], v[62:63], v[70:71]
	v_mov_b32_e32 v67, v65
	s_waitcnt lgkmcnt(0)
	v_pk_mul_f32 v[64:65], v[58:59], v[64:65] op_sel_hi:[1,0]
	v_pk_add_f32 v[62:63], v[62:63], v[66:67]
	v_pk_fma_f32 v[66:67], v[58:59], v[122:123], v[64:65] op_sel:[0,0,1] op_sel_hi:[1,1,0] neg_lo:[0,0,1] neg_hi:[0,0,1]
	v_pk_fma_f32 v[58:59], v[58:59], v[122:123], v[64:65] op_sel:[0,0,1] op_sel_hi:[1,0,0]
	v_mov_b32_e32 v67, v59
	v_pk_add_f32 v[58:59], v[62:63], v[66:67]
	v_mov_b32_e32 v62, v121
	v_pk_mul_f32 v[62:63], v[60:61], v[62:63] op_sel_hi:[1,0]
	v_pk_fma_f32 v[64:65], v[60:61], v[120:121], v[62:63] op_sel:[0,0,1] op_sel_hi:[1,1,0] neg_lo:[0,0,1] neg_hi:[0,0,1]
	v_pk_fma_f32 v[60:61], v[60:61], v[120:121], v[62:63] op_sel:[0,0,1] op_sel_hi:[1,0,0]
	v_mov_b32_e32 v65, v61
	v_pk_add_f32 v[58:59], v[58:59], v[64:65]
	v_pk_add_f32 v[58:59], v[102:103], v[58:59] neg_lo:[0,1] neg_hi:[0,1]
	buffer_store_dword v59, off, s[0:3], 0 offset:12
	buffer_store_dword v58, off, s[0:3], 0 offset:8
	s_and_saveexec_b64 s[4:5], vcc
	s_cbranch_execz .LBB27_181
; %bb.180:
	buffer_load_dword v58, off, s[0:3], 0
	buffer_load_dword v59, off, s[0:3], 0 offset:4
	v_mov_b32_e32 v0, 0
	buffer_store_dword v0, off, s[0:3], 0
	buffer_store_dword v0, off, s[0:3], 0 offset:4
	s_waitcnt vmcnt(2)
	ds_write_b64 v1, v[58:59]
.LBB27_181:
	s_or_b64 exec, exec, s[4:5]
	s_waitcnt lgkmcnt(0)
	; wave barrier
	s_waitcnt lgkmcnt(0)
	buffer_load_dword v106, off, s[0:3], 0 offset:12
	buffer_load_dword v108, off, s[0:3], 0 offset:20
	;; [unrolled: 1-line block ×38, first 2 shown]
	buffer_load_dword v0, off, s[0:3], 0
	buffer_load_dword v1, off, s[0:3], 0 offset:4
	v_mov_b32_e32 v155, 0
	ds_read2_b64 v[58:61], v155 offset0:29 offset1:30
	ds_read2_b64 v[62:65], v155 offset0:31 offset1:32
	;; [unrolled: 1-line block ×8, first 2 shown]
	s_and_b64 vcc, exec, s[20:21]
	s_waitcnt vmcnt(39) lgkmcnt(7)
	v_mul_f32_e32 v90, v58, v106
	s_waitcnt vmcnt(38)
	v_mul_f32_e32 v91, v60, v108
	s_waitcnt vmcnt(37) lgkmcnt(6)
	v_mul_f32_e32 v92, v62, v110
	s_waitcnt vmcnt(36)
	v_mul_f32_e32 v93, v64, v120
	;; [unrolled: 4-line block ×8, first 2 shown]
	s_waitcnt vmcnt(23)
	v_fmac_f32_e32 v90, v59, v133
	s_waitcnt vmcnt(22)
	v_fmac_f32_e32 v91, v61, v134
	v_add_f32_e32 v90, 0, v90
	s_waitcnt vmcnt(21)
	v_fmac_f32_e32 v92, v63, v135
	v_add_f32_e32 v90, v90, v91
	;; [unrolled: 3-line block ×14, first 2 shown]
	v_add_f32_e32 v90, v90, v104
	s_waitcnt vmcnt(8)
	v_fmac_f32_e32 v105, v89, v148
	v_add_f32_e32 v107, v90, v105
	ds_read2_b64 v[90:93], v155 offset0:45 offset1:46
	buffer_load_dword v99, off, s[0:3], 0 offset:164
	buffer_load_dword v101, off, s[0:3], 0 offset:188
	;; [unrolled: 1-line block ×8, first 2 shown]
	ds_read2_b64 v[94:97], v155 offset0:47 offset1:48
	buffer_load_dword v113, off, s[0:3], 0 offset:220
	buffer_load_dword v112, off, s[0:3], 0 offset:216
	;; [unrolled: 1-line block ×8, first 2 shown]
	v_mul_f32_e32 v59, v59, v106
	v_fma_f32 v58, v58, v133, -v59
	v_mul_f32_e32 v59, v61, v108
	v_add_f32_e32 v58, 0, v58
	v_fma_f32 v59, v60, v134, -v59
	v_add_f32_e32 v58, v58, v59
	v_mul_f32_e32 v59, v63, v110
	v_fma_f32 v59, v62, v135, -v59
	v_add_f32_e32 v58, v58, v59
	v_mul_f32_e32 v59, v65, v120
	;; [unrolled: 3-line block ×14, first 2 shown]
	v_fma_f32 v59, v88, v148, -v59
	v_add_f32_e32 v58, v58, v59
	s_waitcnt vmcnt(23) lgkmcnt(1)
	v_mul_f32_e32 v59, v91, v149
	v_mul_f32_e32 v109, v90, v149
	s_waitcnt vmcnt(22)
	v_fma_f32 v59, v90, v150, -v59
	v_fmac_f32_e32 v109, v91, v150
	v_add_f32_e32 v106, v58, v59
	s_waitcnt vmcnt(21)
	v_mul_f32_e32 v58, v93, v151
	v_add_f32_e32 v107, v107, v109
	v_mul_f32_e32 v109, v92, v151
	s_waitcnt vmcnt(20)
	v_fma_f32 v108, v92, v152, -v58
	s_waitcnt vmcnt(19) lgkmcnt(0)
	v_mul_f32_e32 v58, v95, v153
	v_fmac_f32_e32 v109, v93, v152
	v_mul_f32_e32 v111, v94, v153
	s_waitcnt vmcnt(18)
	v_fma_f32 v110, v94, v154, -v58
	ds_read2_b64 v[58:61], v155 offset0:49 offset1:50
	ds_read2_b64 v[62:65], v155 offset0:51 offset1:52
	;; [unrolled: 1-line block ×3, first 2 shown]
	ds_read_b64 v[70:71], v155 offset:440
	v_fmac_f32_e32 v111, v95, v154
	v_pk_add_f32 v[72:73], v[106:107], v[108:109]
	v_pk_add_f32 v[72:73], v[72:73], v[110:111]
	s_waitcnt vmcnt(15)
	v_mov_b32_e32 v74, v99
	v_pk_mul_f32 v[74:75], v[96:97], v[74:75] op_sel_hi:[1,0]
	s_waitcnt vmcnt(8)
	v_pk_fma_f32 v[76:77], v[96:97], v[98:99], v[74:75] op_sel:[0,0,1] op_sel_hi:[1,1,0] neg_lo:[0,0,1] neg_hi:[0,0,1]
	v_pk_fma_f32 v[74:75], v[96:97], v[98:99], v[74:75] op_sel:[0,0,1] op_sel_hi:[1,0,0]
	v_mov_b32_e32 v74, v105
	v_mov_b32_e32 v77, v75
	s_waitcnt lgkmcnt(3)
	v_pk_mul_f32 v[74:75], v[58:59], v[74:75] op_sel_hi:[1,0]
	v_pk_add_f32 v[72:73], v[72:73], v[76:77]
	v_pk_fma_f32 v[76:77], v[58:59], v[104:105], v[74:75] op_sel:[0,0,1] op_sel_hi:[1,1,0] neg_lo:[0,0,1] neg_hi:[0,0,1]
	v_pk_fma_f32 v[58:59], v[58:59], v[104:105], v[74:75] op_sel:[0,0,1] op_sel_hi:[1,0,0]
	v_mov_b32_e32 v77, v59
	v_pk_add_f32 v[58:59], v[72:73], v[76:77]
	v_mov_b32_e32 v72, v103
	v_pk_mul_f32 v[72:73], v[60:61], v[72:73] op_sel_hi:[1,0]
	v_pk_fma_f32 v[74:75], v[60:61], v[102:103], v[72:73] op_sel:[0,0,1] op_sel_hi:[1,1,0] neg_lo:[0,0,1] neg_hi:[0,0,1]
	v_pk_fma_f32 v[60:61], v[60:61], v[102:103], v[72:73] op_sel:[0,0,1] op_sel_hi:[1,0,0]
	v_mov_b32_e32 v60, v101
	v_mov_b32_e32 v75, v61
	s_waitcnt lgkmcnt(2)
	v_pk_mul_f32 v[60:61], v[62:63], v[60:61] op_sel_hi:[1,0]
	v_pk_fma_f32 v[72:73], v[62:63], v[100:101], v[60:61] op_sel:[0,0,1] op_sel_hi:[1,1,0] neg_lo:[0,0,1] neg_hi:[0,0,1]
	v_pk_fma_f32 v[60:61], v[62:63], v[100:101], v[60:61] op_sel:[0,0,1] op_sel_hi:[1,0,0]
	s_waitcnt vmcnt(1)
	v_mov_b32_e32 v60, v119
	v_mov_b32_e32 v73, v61
	v_pk_mul_f32 v[60:61], v[64:65], v[60:61] op_sel_hi:[1,0]
	s_waitcnt vmcnt(0)
	v_pk_fma_f32 v[62:63], v[64:65], v[118:119], v[60:61] op_sel:[0,0,1] op_sel_hi:[1,1,0] neg_lo:[0,0,1] neg_hi:[0,0,1]
	v_pk_fma_f32 v[60:61], v[64:65], v[118:119], v[60:61] op_sel:[0,0,1] op_sel_hi:[1,0,0]
	v_pk_add_f32 v[58:59], v[58:59], v[74:75]
	v_mov_b32_e32 v60, v117
	v_pk_add_f32 v[58:59], v[58:59], v[72:73]
	v_mov_b32_e32 v63, v61
	s_waitcnt lgkmcnt(1)
	v_pk_mul_f32 v[60:61], v[66:67], v[60:61] op_sel_hi:[1,0]
	v_pk_add_f32 v[58:59], v[58:59], v[62:63]
	v_pk_fma_f32 v[62:63], v[66:67], v[116:117], v[60:61] op_sel:[0,0,1] op_sel_hi:[1,1,0] neg_lo:[0,0,1] neg_hi:[0,0,1]
	v_pk_fma_f32 v[60:61], v[66:67], v[116:117], v[60:61] op_sel:[0,0,1] op_sel_hi:[1,0,0]
	v_mov_b32_e32 v60, v115
	v_mov_b32_e32 v63, v61
	v_pk_mul_f32 v[60:61], v[68:69], v[60:61] op_sel_hi:[1,0]
	v_pk_add_f32 v[58:59], v[58:59], v[62:63]
	v_pk_fma_f32 v[62:63], v[68:69], v[114:115], v[60:61] op_sel:[0,0,1] op_sel_hi:[1,1,0] neg_lo:[0,0,1] neg_hi:[0,0,1]
	v_pk_fma_f32 v[60:61], v[68:69], v[114:115], v[60:61] op_sel:[0,0,1] op_sel_hi:[1,0,0]
	v_mov_b32_e32 v60, v113
	v_mov_b32_e32 v63, v61
	s_waitcnt lgkmcnt(0)
	v_pk_mul_f32 v[60:61], v[70:71], v[60:61] op_sel_hi:[1,0]
	v_pk_add_f32 v[58:59], v[58:59], v[62:63]
	v_pk_fma_f32 v[62:63], v[70:71], v[112:113], v[60:61] op_sel:[0,0,1] op_sel_hi:[1,1,0] neg_lo:[0,0,1] neg_hi:[0,0,1]
	v_pk_fma_f32 v[60:61], v[70:71], v[112:113], v[60:61] op_sel:[0,0,1] op_sel_hi:[1,0,0]
	v_mov_b32_e32 v63, v61
	v_pk_add_f32 v[58:59], v[58:59], v[62:63]
	v_pk_add_f32 v[0:1], v[0:1], v[58:59] neg_lo:[0,1] neg_hi:[0,1]
	buffer_store_dword v1, off, s[0:3], 0 offset:4
	buffer_store_dword v0, off, s[0:3], 0
	s_cbranch_vccz .LBB27_237
; %bb.182:
	v_pk_mov_b32 v[0:1], s[10:11], s[10:11] op_sel:[0,1]
	flat_load_dword v0, v[0:1] offset:104
	s_waitcnt vmcnt(0) lgkmcnt(0)
	v_add_u32_e32 v0, -1, v0
	v_cmp_ne_u32_e32 vcc, 26, v0
	s_and_saveexec_b64 s[4:5], vcc
	s_cbranch_execz .LBB27_184
; %bb.183:
	v_mov_b32_e32 v1, 0
	v_lshl_add_u32 v0, v0, 3, v1
	buffer_load_dword v1, v0, s[0:3], 0 offen
	buffer_load_dword v58, v0, s[0:3], 0 offen offset:4
	buffer_load_dword v59, off, s[0:3], 0 offset:212
	buffer_load_dword v60, off, s[0:3], 0 offset:208
	s_waitcnt vmcnt(3)
	buffer_store_dword v1, off, s[0:3], 0 offset:208
	s_waitcnt vmcnt(3)
	buffer_store_dword v58, off, s[0:3], 0 offset:212
	s_waitcnt vmcnt(3)
	buffer_store_dword v59, v0, s[0:3], 0 offen offset:4
	s_waitcnt vmcnt(3)
	buffer_store_dword v60, v0, s[0:3], 0 offen
.LBB27_184:
	s_or_b64 exec, exec, s[4:5]
	v_pk_mov_b32 v[0:1], s[10:11], s[10:11] op_sel:[0,1]
	flat_load_dword v0, v[0:1] offset:100
	s_waitcnt vmcnt(0) lgkmcnt(0)
	v_add_u32_e32 v0, -1, v0
	v_cmp_ne_u32_e32 vcc, 25, v0
	s_and_saveexec_b64 s[4:5], vcc
	s_cbranch_execz .LBB27_186
; %bb.185:
	v_mov_b32_e32 v1, 0
	v_lshl_add_u32 v0, v0, 3, v1
	buffer_load_dword v1, v0, s[0:3], 0 offen
	buffer_load_dword v58, v0, s[0:3], 0 offen offset:4
	buffer_load_dword v59, off, s[0:3], 0 offset:200
	buffer_load_dword v60, off, s[0:3], 0 offset:204
	s_waitcnt vmcnt(3)
	buffer_store_dword v1, off, s[0:3], 0 offset:200
	s_waitcnt vmcnt(3)
	buffer_store_dword v58, off, s[0:3], 0 offset:204
	s_waitcnt vmcnt(3)
	buffer_store_dword v59, v0, s[0:3], 0 offen
	s_waitcnt vmcnt(3)
	buffer_store_dword v60, v0, s[0:3], 0 offen offset:4
.LBB27_186:
	s_or_b64 exec, exec, s[4:5]
	v_pk_mov_b32 v[0:1], s[10:11], s[10:11] op_sel:[0,1]
	flat_load_dword v0, v[0:1] offset:96
	s_waitcnt vmcnt(0) lgkmcnt(0)
	v_add_u32_e32 v0, -1, v0
	v_cmp_ne_u32_e32 vcc, 24, v0
	s_and_saveexec_b64 s[4:5], vcc
	s_cbranch_execz .LBB27_188
; %bb.187:
	v_mov_b32_e32 v1, 0
	v_lshl_add_u32 v0, v0, 3, v1
	buffer_load_dword v1, v0, s[0:3], 0 offen
	buffer_load_dword v58, v0, s[0:3], 0 offen offset:4
	buffer_load_dword v59, off, s[0:3], 0 offset:196
	buffer_load_dword v60, off, s[0:3], 0 offset:192
	s_waitcnt vmcnt(3)
	buffer_store_dword v1, off, s[0:3], 0 offset:192
	s_waitcnt vmcnt(3)
	buffer_store_dword v58, off, s[0:3], 0 offset:196
	s_waitcnt vmcnt(3)
	buffer_store_dword v59, v0, s[0:3], 0 offen offset:4
	s_waitcnt vmcnt(3)
	buffer_store_dword v60, v0, s[0:3], 0 offen
.LBB27_188:
	s_or_b64 exec, exec, s[4:5]
	v_pk_mov_b32 v[0:1], s[10:11], s[10:11] op_sel:[0,1]
	flat_load_dword v0, v[0:1] offset:92
	s_waitcnt vmcnt(0) lgkmcnt(0)
	v_add_u32_e32 v0, -1, v0
	v_cmp_ne_u32_e32 vcc, 23, v0
	s_and_saveexec_b64 s[4:5], vcc
	s_cbranch_execz .LBB27_190
; %bb.189:
	v_mov_b32_e32 v1, 0
	v_lshl_add_u32 v0, v0, 3, v1
	buffer_load_dword v1, v0, s[0:3], 0 offen
	buffer_load_dword v58, v0, s[0:3], 0 offen offset:4
	buffer_load_dword v59, off, s[0:3], 0 offset:184
	buffer_load_dword v60, off, s[0:3], 0 offset:188
	s_waitcnt vmcnt(3)
	buffer_store_dword v1, off, s[0:3], 0 offset:184
	s_waitcnt vmcnt(3)
	buffer_store_dword v58, off, s[0:3], 0 offset:188
	s_waitcnt vmcnt(3)
	buffer_store_dword v59, v0, s[0:3], 0 offen
	s_waitcnt vmcnt(3)
	buffer_store_dword v60, v0, s[0:3], 0 offen offset:4
.LBB27_190:
	s_or_b64 exec, exec, s[4:5]
	;; [unrolled: 48-line block ×13, first 2 shown]
	v_pk_mov_b32 v[0:1], s[10:11], s[10:11] op_sel:[0,1]
	flat_load_dword v58, v[0:1]
	s_nop 0
	buffer_load_dword v0, off, s[0:3], 0
	buffer_load_dword v1, off, s[0:3], 0 offset:4
	s_waitcnt vmcnt(0) lgkmcnt(0)
	v_add_u32_e32 v58, -1, v58
	v_cmp_ne_u32_e32 vcc, 0, v58
	s_and_saveexec_b64 s[4:5], vcc
	s_cbranch_execz .LBB27_236
; %bb.235:
	v_mov_b32_e32 v59, 0
	v_lshl_add_u32 v58, v58, 3, v59
	buffer_load_dword v59, v58, s[0:3], 0 offen offset:4
	buffer_load_dword v60, v58, s[0:3], 0 offen
	s_waitcnt vmcnt(1)
	buffer_store_dword v59, off, s[0:3], 0 offset:4
	s_waitcnt vmcnt(1)
	buffer_store_dword v60, off, s[0:3], 0
	buffer_store_dword v1, v58, s[0:3], 0 offen offset:4
	buffer_store_dword v0, v58, s[0:3], 0 offen
	buffer_load_dword v0, off, s[0:3], 0
	s_nop 0
	buffer_load_dword v1, off, s[0:3], 0 offset:4
.LBB27_236:
	s_or_b64 exec, exec, s[4:5]
.LBB27_237:
	buffer_load_dword v58, off, s[0:3], 0 offset:8
	buffer_load_dword v59, off, s[0:3], 0 offset:12
	;; [unrolled: 1-line block ×54, first 2 shown]
	s_waitcnt vmcnt(54)
	global_store_dwordx2 v[48:49], v[0:1], off
	s_waitcnt vmcnt(53)
	global_store_dwordx2 v[50:51], v[58:59], off
	;; [unrolled: 2-line block ×28, first 2 shown]
	s_endpgm
	.section	.rodata,"a",@progbits
	.p2align	6, 0x0
	.amdhsa_kernel _ZN9rocsolver6v33100L18getri_kernel_smallILi28E19rocblas_complex_numIfEPS3_EEvT1_iilPiilS6_bb
		.amdhsa_group_segment_fixed_size 452
		.amdhsa_private_segment_fixed_size 240
		.amdhsa_kernarg_size 60
		.amdhsa_user_sgpr_count 8
		.amdhsa_user_sgpr_private_segment_buffer 1
		.amdhsa_user_sgpr_dispatch_ptr 0
		.amdhsa_user_sgpr_queue_ptr 0
		.amdhsa_user_sgpr_kernarg_segment_ptr 1
		.amdhsa_user_sgpr_dispatch_id 0
		.amdhsa_user_sgpr_flat_scratch_init 1
		.amdhsa_user_sgpr_kernarg_preload_length 0
		.amdhsa_user_sgpr_kernarg_preload_offset 0
		.amdhsa_user_sgpr_private_segment_size 0
		.amdhsa_uses_dynamic_stack 0
		.amdhsa_system_sgpr_private_segment_wavefront_offset 1
		.amdhsa_system_sgpr_workgroup_id_x 1
		.amdhsa_system_sgpr_workgroup_id_y 0
		.amdhsa_system_sgpr_workgroup_id_z 0
		.amdhsa_system_sgpr_workgroup_info 0
		.amdhsa_system_vgpr_workitem_id 0
		.amdhsa_next_free_vgpr 156
		.amdhsa_next_free_sgpr 23
		.amdhsa_accum_offset 156
		.amdhsa_reserve_vcc 1
		.amdhsa_reserve_flat_scratch 1
		.amdhsa_float_round_mode_32 0
		.amdhsa_float_round_mode_16_64 0
		.amdhsa_float_denorm_mode_32 3
		.amdhsa_float_denorm_mode_16_64 3
		.amdhsa_dx10_clamp 1
		.amdhsa_ieee_mode 1
		.amdhsa_fp16_overflow 0
		.amdhsa_tg_split 0
		.amdhsa_exception_fp_ieee_invalid_op 0
		.amdhsa_exception_fp_denorm_src 0
		.amdhsa_exception_fp_ieee_div_zero 0
		.amdhsa_exception_fp_ieee_overflow 0
		.amdhsa_exception_fp_ieee_underflow 0
		.amdhsa_exception_fp_ieee_inexact 0
		.amdhsa_exception_int_div_zero 0
	.end_amdhsa_kernel
	.section	.text._ZN9rocsolver6v33100L18getri_kernel_smallILi28E19rocblas_complex_numIfEPS3_EEvT1_iilPiilS6_bb,"axG",@progbits,_ZN9rocsolver6v33100L18getri_kernel_smallILi28E19rocblas_complex_numIfEPS3_EEvT1_iilPiilS6_bb,comdat
.Lfunc_end27:
	.size	_ZN9rocsolver6v33100L18getri_kernel_smallILi28E19rocblas_complex_numIfEPS3_EEvT1_iilPiilS6_bb, .Lfunc_end27-_ZN9rocsolver6v33100L18getri_kernel_smallILi28E19rocblas_complex_numIfEPS3_EEvT1_iilPiilS6_bb
                                        ; -- End function
	.section	.AMDGPU.csdata,"",@progbits
; Kernel info:
; codeLenInByte = 39160
; NumSgprs: 29
; NumVgprs: 156
; NumAgprs: 0
; TotalNumVgprs: 156
; ScratchSize: 240
; MemoryBound: 0
; FloatMode: 240
; IeeeMode: 1
; LDSByteSize: 452 bytes/workgroup (compile time only)
; SGPRBlocks: 3
; VGPRBlocks: 19
; NumSGPRsForWavesPerEU: 29
; NumVGPRsForWavesPerEU: 156
; AccumOffset: 156
; Occupancy: 3
; WaveLimiterHint : 1
; COMPUTE_PGM_RSRC2:SCRATCH_EN: 1
; COMPUTE_PGM_RSRC2:USER_SGPR: 8
; COMPUTE_PGM_RSRC2:TRAP_HANDLER: 0
; COMPUTE_PGM_RSRC2:TGID_X_EN: 1
; COMPUTE_PGM_RSRC2:TGID_Y_EN: 0
; COMPUTE_PGM_RSRC2:TGID_Z_EN: 0
; COMPUTE_PGM_RSRC2:TIDIG_COMP_CNT: 0
; COMPUTE_PGM_RSRC3_GFX90A:ACCUM_OFFSET: 38
; COMPUTE_PGM_RSRC3_GFX90A:TG_SPLIT: 0
	.section	.text._ZN9rocsolver6v33100L18getri_kernel_smallILi29E19rocblas_complex_numIfEPS3_EEvT1_iilPiilS6_bb,"axG",@progbits,_ZN9rocsolver6v33100L18getri_kernel_smallILi29E19rocblas_complex_numIfEPS3_EEvT1_iilPiilS6_bb,comdat
	.globl	_ZN9rocsolver6v33100L18getri_kernel_smallILi29E19rocblas_complex_numIfEPS3_EEvT1_iilPiilS6_bb ; -- Begin function _ZN9rocsolver6v33100L18getri_kernel_smallILi29E19rocblas_complex_numIfEPS3_EEvT1_iilPiilS6_bb
	.p2align	8
	.type	_ZN9rocsolver6v33100L18getri_kernel_smallILi29E19rocblas_complex_numIfEPS3_EEvT1_iilPiilS6_bb,@function
_ZN9rocsolver6v33100L18getri_kernel_smallILi29E19rocblas_complex_numIfEPS3_EEvT1_iilPiilS6_bb: ; @_ZN9rocsolver6v33100L18getri_kernel_smallILi29E19rocblas_complex_numIfEPS3_EEvT1_iilPiilS6_bb
; %bb.0:
	s_add_u32 flat_scratch_lo, s6, s9
	s_addc_u32 flat_scratch_hi, s7, 0
	s_add_u32 s0, s0, s9
	s_addc_u32 s1, s1, 0
	v_cmp_gt_u32_e32 vcc, 29, v0
	s_and_saveexec_b64 s[6:7], vcc
	s_cbranch_execz .LBB28_130
; %bb.1:
	s_load_dword s22, s[4:5], 0x38
	s_load_dwordx4 s[16:19], s[4:5], 0x10
	s_load_dwordx4 s[12:15], s[4:5], 0x28
                                        ; implicit-def: $sgpr10_sgpr11
	s_waitcnt lgkmcnt(0)
	s_bitcmp1_b32 s22, 8
	s_cselect_b64 s[20:21], -1, 0
	s_ashr_i32 s9, s8, 31
	s_bfe_u32 s6, s22, 0x10008
	s_cmp_eq_u32 s6, 0
	s_cbranch_scc1 .LBB28_3
; %bb.2:
	s_load_dword s6, s[4:5], 0x20
	s_mul_i32 s7, s8, s13
	s_mul_hi_u32 s10, s8, s12
	s_mul_i32 s11, s9, s12
	s_add_i32 s10, s10, s7
	s_add_i32 s11, s10, s11
	s_mul_i32 s10, s8, s12
	s_waitcnt lgkmcnt(0)
	s_ashr_i32 s7, s6, 31
	s_lshl_b64 s[10:11], s[10:11], 2
	s_add_u32 s10, s18, s10
	s_addc_u32 s11, s19, s11
	s_lshl_b64 s[6:7], s[6:7], 2
	s_add_u32 s10, s10, s6
	s_addc_u32 s11, s11, s7
.LBB28_3:
	s_load_dwordx4 s[4:7], s[4:5], 0x0
	s_mul_i32 s12, s8, s17
	s_mul_hi_u32 s13, s8, s16
	s_add_i32 s17, s13, s12
	v_lshlrev_b32_e32 v64, 3, v0
	s_waitcnt lgkmcnt(0)
	s_ashr_i32 s13, s6, 31
	s_mov_b32 s12, s6
	s_mul_i32 s6, s9, s16
	s_add_i32 s17, s17, s6
	s_mul_i32 s16, s8, s16
	s_lshl_b64 s[16:17], s[16:17], 3
	s_add_u32 s6, s4, s16
	s_addc_u32 s16, s5, s17
	s_lshl_b64 s[4:5], s[12:13], 3
	s_add_u32 s4, s6, s4
	s_addc_u32 s5, s16, s5
	s_add_i32 s6, s7, s7
	v_add_u32_e32 v4, s6, v0
	v_ashrrev_i32_e32 v5, 31, v4
	v_lshlrev_b64 v[2:3], 3, v[4:5]
	v_add_u32_e32 v6, s7, v4
	v_mov_b32_e32 v5, s5
	v_add_co_u32_e32 v2, vcc, s4, v2
	v_ashrrev_i32_e32 v7, 31, v6
	v_addc_co_u32_e32 v3, vcc, v5, v3, vcc
	v_lshlrev_b64 v[4:5], 3, v[6:7]
	v_add_u32_e32 v8, s7, v6
	v_mov_b32_e32 v7, s5
	v_add_co_u32_e32 v4, vcc, s4, v4
	v_ashrrev_i32_e32 v9, 31, v8
	v_addc_co_u32_e32 v5, vcc, v7, v5, vcc
	;; [unrolled: 6-line block ×22, first 2 shown]
	v_lshlrev_b64 v[46:47], 3, v[48:49]
	v_mov_b32_e32 v49, s5
	v_add_co_u32_e32 v46, vcc, s4, v46
	v_addc_co_u32_e32 v47, vcc, v49, v47, vcc
	v_mov_b32_e32 v1, s5
	v_add_co_u32_e32 v50, vcc, s4, v64
	s_ashr_i32 s13, s7, 31
	s_mov_b32 s12, s7
	v_add_u32_e32 v54, s7, v48
	v_addc_co_u32_e32 v51, vcc, 0, v1, vcc
	s_lshl_b64 s[12:13], s[12:13], 3
	v_ashrrev_i32_e32 v55, 31, v54
	v_mov_b32_e32 v1, s13
	v_add_co_u32_e32 v52, vcc, s12, v50
	v_lshlrev_b64 v[48:49], 3, v[54:55]
	v_addc_co_u32_e32 v53, vcc, v51, v1, vcc
	v_add_u32_e32 v56, s7, v54
	v_mov_b32_e32 v55, s5
	v_add_co_u32_e32 v48, vcc, s4, v48
	v_ashrrev_i32_e32 v57, 31, v56
	v_addc_co_u32_e32 v49, vcc, v55, v49, vcc
	v_lshlrev_b64 v[54:55], 3, v[56:57]
	v_add_u32_e32 v58, s7, v56
	v_mov_b32_e32 v1, s5
	v_add_co_u32_e32 v54, vcc, s4, v54
	v_ashrrev_i32_e32 v59, 31, v58
	v_addc_co_u32_e32 v55, vcc, v1, v55, vcc
	v_lshlrev_b64 v[56:57], 3, v[58:59]
	v_add_co_u32_e32 v56, vcc, s4, v56
	global_load_dwordx2 v[60:61], v64, s[4:5]
	global_load_dwordx2 v[62:63], v[52:53], off
	global_load_dwordx2 v[66:67], v[2:3], off
	;; [unrolled: 1-line block ×19, first 2 shown]
	v_addc_co_u32_e32 v57, vcc, v1, v57, vcc
	global_load_dwordx2 v[102:103], v[38:39], off
	global_load_dwordx2 v[104:105], v[40:41], off
	global_load_dwordx2 v[106:107], v[42:43], off
	global_load_dwordx2 v[108:109], v[44:45], off
	global_load_dwordx2 v[110:111], v[46:47], off
	global_load_dwordx2 v[112:113], v[48:49], off
	global_load_dwordx2 v[114:115], v[54:55], off
	global_load_dwordx2 v[116:117], v[56:57], off
	v_add_u32_e32 v58, s7, v58
	v_ashrrev_i32_e32 v59, 31, v58
	v_lshlrev_b64 v[58:59], 3, v[58:59]
	v_add_co_u32_e32 v58, vcc, s4, v58
	v_addc_co_u32_e32 v59, vcc, v1, v59, vcc
	global_load_dwordx2 v[118:119], v[58:59], off
	s_bitcmp0_b32 s22, 0
	s_mov_b64 s[6:7], -1
	s_waitcnt vmcnt(28)
	buffer_store_dword v61, off, s[0:3], 0 offset:4
	buffer_store_dword v60, off, s[0:3], 0
	s_waitcnt vmcnt(29)
	buffer_store_dword v63, off, s[0:3], 0 offset:12
	buffer_store_dword v62, off, s[0:3], 0 offset:8
	s_waitcnt vmcnt(30)
	buffer_store_dword v67, off, s[0:3], 0 offset:20
	buffer_store_dword v66, off, s[0:3], 0 offset:16
	;; [unrolled: 3-line block ×28, first 2 shown]
	s_cbranch_scc1 .LBB28_128
; %bb.4:
	v_cmp_eq_u32_e64 s[4:5], 0, v0
	s_and_saveexec_b64 s[6:7], s[4:5]
	s_cbranch_execz .LBB28_6
; %bb.5:
	v_mov_b32_e32 v1, 0
	ds_write_b32 v1, v1 offset:232
.LBB28_6:
	s_or_b64 exec, exec, s[6:7]
	v_mov_b32_e32 v1, 0
	v_lshl_add_u32 v65, v0, 3, v1
	s_waitcnt lgkmcnt(0)
	; wave barrier
	s_waitcnt lgkmcnt(0)
	buffer_load_dword v1, v65, s[0:3], 0 offen
	buffer_load_dword v60, v65, s[0:3], 0 offen offset:4
	s_waitcnt vmcnt(1)
	v_cmp_eq_f32_e32 vcc, 0, v1
	s_waitcnt vmcnt(0)
	v_cmp_eq_f32_e64 s[6:7], 0, v60
	s_and_b64 s[6:7], vcc, s[6:7]
	s_and_saveexec_b64 s[12:13], s[6:7]
	s_cbranch_execz .LBB28_10
; %bb.7:
	v_mov_b32_e32 v1, 0
	ds_read_b32 v61, v1 offset:232
	v_add_u32_e32 v60, 1, v0
	s_waitcnt lgkmcnt(0)
	v_readfirstlane_b32 s6, v61
	s_cmp_eq_u32 s6, 0
	s_cselect_b64 s[16:17], -1, 0
	v_cmp_gt_i32_e32 vcc, s6, v60
	s_or_b64 s[16:17], s[16:17], vcc
	s_and_b64 exec, exec, s[16:17]
	s_cbranch_execz .LBB28_10
; %bb.8:
	s_mov_b64 s[16:17], 0
	v_mov_b32_e32 v61, s6
.LBB28_9:                               ; =>This Inner Loop Header: Depth=1
	ds_cmpst_rtn_b32 v61, v1, v61, v60 offset:232
	s_waitcnt lgkmcnt(0)
	v_cmp_ne_u32_e32 vcc, 0, v61
	v_cmp_le_i32_e64 s[6:7], v61, v60
	s_and_b64 s[6:7], vcc, s[6:7]
	s_and_b64 s[6:7], exec, s[6:7]
	s_or_b64 s[16:17], s[6:7], s[16:17]
	s_andn2_b64 exec, exec, s[16:17]
	s_cbranch_execnz .LBB28_9
.LBB28_10:
	s_or_b64 exec, exec, s[12:13]
	v_mov_b32_e32 v60, 0
	s_waitcnt lgkmcnt(0)
	; wave barrier
	ds_read_b32 v1, v60 offset:232
	s_and_saveexec_b64 s[6:7], s[4:5]
	s_cbranch_execz .LBB28_12
; %bb.11:
	s_lshl_b64 s[12:13], s[8:9], 2
	s_add_u32 s12, s14, s12
	s_addc_u32 s13, s15, s13
	s_waitcnt lgkmcnt(0)
	global_store_dword v60, v1, s[12:13]
.LBB28_12:
	s_or_b64 exec, exec, s[6:7]
	s_waitcnt lgkmcnt(0)
	v_cmp_ne_u32_e32 vcc, 0, v1
	s_mov_b64 s[6:7], 0
	s_cbranch_vccnz .LBB28_128
; %bb.13:
	buffer_load_dword v66, v65, s[0:3], 0 offen offset:4
	buffer_load_dword v61, v65, s[0:3], 0 offen
	s_waitcnt vmcnt(1)
	v_cmp_gt_f32_e32 vcc, 0, v66
	v_cndmask_b32_e64 v1, v66, -v66, vcc
	s_waitcnt vmcnt(0)
	v_cmp_gt_f32_e32 vcc, 0, v61
	v_cndmask_b32_e64 v60, v61, -v61, vcc
	v_cmp_ngt_f32_e32 vcc, v60, v1
                                        ; implicit-def: $vgpr1
                                        ; implicit-def: $vgpr60
	s_and_saveexec_b64 s[6:7], vcc
	s_xor_b64 s[6:7], exec, s[6:7]
                                        ; implicit-def: $vgpr62_vgpr63
	s_cbranch_execz .LBB28_15
; %bb.14:
	v_div_scale_f32 v1, s[12:13], v66, v66, v61
	v_rcp_f32_e32 v60, v1
	v_div_scale_f32 v62, vcc, v61, v66, v61
	v_fma_f32 v63, -v1, v60, 1.0
	v_fmac_f32_e32 v60, v63, v60
	v_mul_f32_e32 v63, v62, v60
	v_fma_f32 v67, -v1, v63, v62
	v_fmac_f32_e32 v63, v67, v60
	v_fma_f32 v1, -v1, v63, v62
	v_div_fmas_f32 v1, v1, v60, v63
	v_div_fixup_f32 v60, v1, v66, v61
	v_fmac_f32_e32 v66, v61, v60
	v_div_scale_f32 v1, s[12:13], v66, v66, -1.0
	v_rcp_f32_e32 v61, v1
	v_fma_f32 v62, -v1, v61, 1.0
	v_fmac_f32_e32 v61, v62, v61
	v_div_scale_f32 v62, vcc, -1.0, v66, -1.0
	v_mul_f32_e32 v63, v62, v61
	v_fma_f32 v67, -v1, v63, v62
	v_fmac_f32_e32 v63, v67, v61
	v_fma_f32 v1, -v1, v63, v62
	v_div_fmas_f32 v1, v1, v61, v63
	v_div_fixup_f32 v1, v1, v66, -1.0
	v_mul_f32_e32 v60, v60, v1
	v_xor_b32_e32 v62, 0x80000000, v60
                                        ; implicit-def: $vgpr61
                                        ; implicit-def: $vgpr66
.LBB28_15:
	s_andn2_saveexec_b64 s[6:7], s[6:7]
	s_cbranch_execz .LBB28_17
; %bb.16:
	v_div_scale_f32 v1, s[12:13], v61, v61, v66
	v_rcp_f32_e32 v60, v1
	v_div_scale_f32 v62, vcc, v66, v61, v66
	v_fma_f32 v63, -v1, v60, 1.0
	v_fmac_f32_e32 v60, v63, v60
	v_mul_f32_e32 v63, v62, v60
	v_fma_f32 v67, -v1, v63, v62
	v_fmac_f32_e32 v63, v67, v60
	v_fma_f32 v1, -v1, v63, v62
	v_div_fmas_f32 v1, v1, v60, v63
	v_div_fixup_f32 v1, v1, v61, v66
	v_fmac_f32_e32 v61, v66, v1
	v_div_scale_f32 v60, s[12:13], v61, v61, 1.0
	v_rcp_f32_e32 v62, v60
	v_fma_f32 v63, -v60, v62, 1.0
	v_fmac_f32_e32 v62, v63, v62
	v_div_scale_f32 v63, vcc, 1.0, v61, 1.0
	v_mul_f32_e32 v66, v63, v62
	v_fma_f32 v67, -v60, v66, v63
	v_fmac_f32_e32 v66, v67, v62
	v_fma_f32 v60, -v60, v66, v63
	v_div_fmas_f32 v60, v60, v62, v66
	v_div_fixup_f32 v62, v60, v61, 1.0
	v_xor_b32_e32 v60, 0x80000000, v62
	v_mul_f32_e64 v1, v1, -v62
.LBB28_17:
	s_or_b64 exec, exec, s[6:7]
	buffer_store_dword v1, v65, s[0:3], 0 offen offset:4
	buffer_store_dword v62, v65, s[0:3], 0 offen
	buffer_load_dword v63, off, s[0:3], 0 offset:12
	s_nop 0
	buffer_load_dword v62, off, s[0:3], 0 offset:8
	v_xor_b32_e32 v61, 0x80000000, v1
	v_add_u32_e32 v1, 0xf0, v64
	s_waitcnt vmcnt(0)
	ds_write2_b64 v64, v[60:61], v[62:63] offset1:30
	s_waitcnt lgkmcnt(0)
	; wave barrier
	s_waitcnt lgkmcnt(0)
	s_and_saveexec_b64 s[6:7], s[4:5]
	s_cbranch_execz .LBB28_19
; %bb.18:
	buffer_load_dword v66, v65, s[0:3], 0 offen offset:4
	buffer_load_dword v67, v65, s[0:3], 0 offen
	ds_read_b64 v[60:61], v1
	v_mov_b32_e32 v62, 0
	ds_read_b64 v[62:63], v62 offset:8
	s_waitcnt vmcnt(1) lgkmcnt(1)
	v_mul_f32_e32 v68, v61, v66
	v_mul_f32_e32 v66, v60, v66
	s_waitcnt vmcnt(0)
	v_fmac_f32_e32 v66, v61, v67
	v_fma_f32 v60, v60, v67, -v68
	v_add_f32_e32 v61, 0, v66
	v_add_f32_e32 v60, 0, v60
	s_waitcnt lgkmcnt(0)
	v_mul_f32_e32 v66, v61, v63
	v_mul_f32_e32 v63, v60, v63
	v_fma_f32 v60, v60, v62, -v66
	v_fmac_f32_e32 v63, v61, v62
	buffer_store_dword v60, off, s[0:3], 0 offset:8
	buffer_store_dword v63, off, s[0:3], 0 offset:12
.LBB28_19:
	s_or_b64 exec, exec, s[6:7]
	s_waitcnt lgkmcnt(0)
	; wave barrier
	buffer_load_dword v60, off, s[0:3], 0 offset:16
	buffer_load_dword v61, off, s[0:3], 0 offset:20
	v_cmp_gt_u32_e32 vcc, 2, v0
	s_waitcnt vmcnt(0)
	ds_write_b64 v1, v[60:61]
	s_waitcnt lgkmcnt(0)
	; wave barrier
	s_waitcnt lgkmcnt(0)
	s_and_saveexec_b64 s[6:7], vcc
	s_cbranch_execz .LBB28_23
; %bb.20:
	buffer_load_dword v62, v65, s[0:3], 0 offen offset:4
	buffer_load_dword v63, v65, s[0:3], 0 offen
	ds_read_b64 v[60:61], v1
	s_waitcnt vmcnt(1) lgkmcnt(0)
	v_mul_f32_e32 v65, v61, v62
	v_mul_f32_e32 v62, v60, v62
	s_waitcnt vmcnt(0)
	v_fma_f32 v60, v60, v63, -v65
	v_fmac_f32_e32 v62, v61, v63
	v_add_f32_e32 v61, 0, v60
	v_add_f32_e32 v60, 0, v62
	s_and_saveexec_b64 s[12:13], s[4:5]
	s_cbranch_execz .LBB28_22
; %bb.21:
	buffer_load_dword v65, off, s[0:3], 0 offset:12
	buffer_load_dword v66, off, s[0:3], 0 offset:8
	v_mov_b32_e32 v62, 0
	ds_read_b64 v[62:63], v62 offset:248
	s_waitcnt vmcnt(1) lgkmcnt(0)
	v_mul_f32_e32 v67, v62, v65
	v_mul_f32_e32 v65, v63, v65
	s_waitcnt vmcnt(0)
	v_fmac_f32_e32 v67, v63, v66
	v_fma_f32 v62, v62, v66, -v65
	v_add_f32_e32 v60, v60, v67
	v_add_f32_e32 v61, v61, v62
.LBB28_22:
	s_or_b64 exec, exec, s[12:13]
	v_mov_b32_e32 v62, 0
	ds_read_b64 v[62:63], v62 offset:16
	s_waitcnt lgkmcnt(0)
	v_mul_f32_e32 v65, v60, v63
	v_mul_f32_e32 v63, v61, v63
	v_fma_f32 v61, v61, v62, -v65
	v_fmac_f32_e32 v63, v60, v62
	buffer_store_dword v61, off, s[0:3], 0 offset:16
	buffer_store_dword v63, off, s[0:3], 0 offset:20
.LBB28_23:
	s_or_b64 exec, exec, s[6:7]
	s_waitcnt lgkmcnt(0)
	; wave barrier
	buffer_load_dword v60, off, s[0:3], 0 offset:24
	buffer_load_dword v61, off, s[0:3], 0 offset:28
	v_cmp_gt_u32_e32 vcc, 3, v0
	s_waitcnt vmcnt(0)
	ds_write_b64 v1, v[60:61]
	v_add_u32_e32 v60, -1, v0
	s_waitcnt lgkmcnt(0)
	; wave barrier
	s_waitcnt lgkmcnt(0)
	s_and_saveexec_b64 s[4:5], vcc
	s_cbranch_execz .LBB28_27
; %bb.24:
	v_add_u32_e32 v62, -1, v0
	v_add_u32_e32 v63, 0xf0, v64
	v_add_u32_e32 v65, 0, v64
	s_mov_b64 s[6:7], 0
	v_mov_b32_e32 v61, 0
	v_mov_b32_e32 v66, 0
.LBB28_25:                              ; =>This Inner Loop Header: Depth=1
	buffer_load_dword v67, v65, s[0:3], 0 offen offset:4
	buffer_load_dword v70, v65, s[0:3], 0 offen
	ds_read_b64 v[68:69], v63
	v_add_u32_e32 v62, 1, v62
	v_cmp_lt_u32_e32 vcc, 1, v62
	v_add_u32_e32 v63, 8, v63
	v_add_u32_e32 v65, 8, v65
	s_or_b64 s[6:7], vcc, s[6:7]
	s_waitcnt vmcnt(1) lgkmcnt(0)
	v_mul_f32_e32 v71, v69, v67
	v_mul_f32_e32 v67, v68, v67
	s_waitcnt vmcnt(0)
	v_fma_f32 v68, v68, v70, -v71
	v_fmac_f32_e32 v67, v69, v70
	v_add_f32_e32 v66, v66, v68
	v_add_f32_e32 v61, v61, v67
	s_andn2_b64 exec, exec, s[6:7]
	s_cbranch_execnz .LBB28_25
; %bb.26:
	s_or_b64 exec, exec, s[6:7]
	v_mov_b32_e32 v62, 0
	ds_read_b64 v[62:63], v62 offset:24
	s_waitcnt lgkmcnt(0)
	v_mul_f32_e32 v65, v61, v63
	v_mul_f32_e32 v63, v66, v63
	v_fma_f32 v65, v66, v62, -v65
	v_fmac_f32_e32 v63, v61, v62
	buffer_store_dword v65, off, s[0:3], 0 offset:24
	buffer_store_dword v63, off, s[0:3], 0 offset:28
.LBB28_27:
	s_or_b64 exec, exec, s[4:5]
	s_waitcnt lgkmcnt(0)
	; wave barrier
	buffer_load_dword v62, off, s[0:3], 0 offset:32
	buffer_load_dword v63, off, s[0:3], 0 offset:36
	v_cmp_gt_u32_e32 vcc, 4, v0
	s_waitcnt vmcnt(0)
	ds_write_b64 v1, v[62:63]
	s_waitcnt lgkmcnt(0)
	; wave barrier
	s_waitcnt lgkmcnt(0)
	s_and_saveexec_b64 s[4:5], vcc
	s_cbranch_execz .LBB28_31
; %bb.28:
	v_add_u32_e32 v62, -1, v0
	v_add_u32_e32 v63, 0xf0, v64
	v_add_u32_e32 v65, 0, v64
	s_mov_b64 s[6:7], 0
	v_mov_b32_e32 v61, 0
	v_mov_b32_e32 v66, 0
.LBB28_29:                              ; =>This Inner Loop Header: Depth=1
	buffer_load_dword v67, v65, s[0:3], 0 offen offset:4
	buffer_load_dword v70, v65, s[0:3], 0 offen
	ds_read_b64 v[68:69], v63
	v_add_u32_e32 v62, 1, v62
	v_cmp_lt_u32_e32 vcc, 2, v62
	v_add_u32_e32 v63, 8, v63
	v_add_u32_e32 v65, 8, v65
	s_or_b64 s[6:7], vcc, s[6:7]
	s_waitcnt vmcnt(1) lgkmcnt(0)
	v_mul_f32_e32 v71, v69, v67
	v_mul_f32_e32 v67, v68, v67
	s_waitcnt vmcnt(0)
	v_fma_f32 v68, v68, v70, -v71
	v_fmac_f32_e32 v67, v69, v70
	v_add_f32_e32 v66, v66, v68
	v_add_f32_e32 v61, v61, v67
	s_andn2_b64 exec, exec, s[6:7]
	s_cbranch_execnz .LBB28_29
; %bb.30:
	s_or_b64 exec, exec, s[6:7]
	v_mov_b32_e32 v62, 0
	ds_read_b64 v[62:63], v62 offset:32
	s_waitcnt lgkmcnt(0)
	v_mul_f32_e32 v65, v61, v63
	v_mul_f32_e32 v63, v66, v63
	v_fma_f32 v65, v66, v62, -v65
	v_fmac_f32_e32 v63, v61, v62
	buffer_store_dword v65, off, s[0:3], 0 offset:32
	buffer_store_dword v63, off, s[0:3], 0 offset:36
.LBB28_31:
	s_or_b64 exec, exec, s[4:5]
	s_waitcnt lgkmcnt(0)
	; wave barrier
	buffer_load_dword v62, off, s[0:3], 0 offset:40
	buffer_load_dword v63, off, s[0:3], 0 offset:44
	v_cmp_gt_u32_e32 vcc, 5, v0
	s_waitcnt vmcnt(0)
	ds_write_b64 v1, v[62:63]
	;; [unrolled: 51-line block ×19, first 2 shown]
	s_waitcnt lgkmcnt(0)
	; wave barrier
	s_waitcnt lgkmcnt(0)
	s_and_saveexec_b64 s[4:5], vcc
	s_cbranch_execz .LBB28_103
; %bb.100:
	v_add_u32_e32 v62, -1, v0
	v_add_u32_e32 v63, 0xf0, v64
	v_add_u32_e32 v65, 0, v64
	s_mov_b64 s[6:7], 0
	v_mov_b32_e32 v61, 0
	v_mov_b32_e32 v66, 0
.LBB28_101:                             ; =>This Inner Loop Header: Depth=1
	buffer_load_dword v67, v65, s[0:3], 0 offen offset:4
	buffer_load_dword v70, v65, s[0:3], 0 offen
	ds_read_b64 v[68:69], v63
	v_add_u32_e32 v62, 1, v62
	v_cmp_lt_u32_e32 vcc, 20, v62
	v_add_u32_e32 v63, 8, v63
	v_add_u32_e32 v65, 8, v65
	s_or_b64 s[6:7], vcc, s[6:7]
	s_waitcnt vmcnt(1) lgkmcnt(0)
	v_mul_f32_e32 v71, v69, v67
	v_mul_f32_e32 v67, v68, v67
	s_waitcnt vmcnt(0)
	v_fma_f32 v68, v68, v70, -v71
	v_fmac_f32_e32 v67, v69, v70
	v_add_f32_e32 v66, v66, v68
	v_add_f32_e32 v61, v61, v67
	s_andn2_b64 exec, exec, s[6:7]
	s_cbranch_execnz .LBB28_101
; %bb.102:
	s_or_b64 exec, exec, s[6:7]
	v_mov_b32_e32 v62, 0
	ds_read_b64 v[62:63], v62 offset:176
	s_waitcnt lgkmcnt(0)
	v_mul_f32_e32 v65, v61, v63
	v_mul_f32_e32 v63, v66, v63
	v_fma_f32 v65, v66, v62, -v65
	v_fmac_f32_e32 v63, v61, v62
	buffer_store_dword v65, off, s[0:3], 0 offset:176
	buffer_store_dword v63, off, s[0:3], 0 offset:180
.LBB28_103:
	s_or_b64 exec, exec, s[4:5]
	s_waitcnt lgkmcnt(0)
	; wave barrier
	buffer_load_dword v62, off, s[0:3], 0 offset:184
	buffer_load_dword v63, off, s[0:3], 0 offset:188
	v_cmp_gt_u32_e32 vcc, 23, v0
	s_waitcnt vmcnt(0)
	ds_write_b64 v1, v[62:63]
	s_waitcnt lgkmcnt(0)
	; wave barrier
	s_waitcnt lgkmcnt(0)
	s_and_saveexec_b64 s[4:5], vcc
	s_cbranch_execz .LBB28_107
; %bb.104:
	v_add_u32_e32 v62, -1, v0
	v_add_u32_e32 v63, 0xf0, v64
	v_add_u32_e32 v65, 0, v64
	s_mov_b64 s[6:7], 0
	v_mov_b32_e32 v61, 0
	v_mov_b32_e32 v66, 0
.LBB28_105:                             ; =>This Inner Loop Header: Depth=1
	buffer_load_dword v67, v65, s[0:3], 0 offen offset:4
	buffer_load_dword v70, v65, s[0:3], 0 offen
	ds_read_b64 v[68:69], v63
	v_add_u32_e32 v62, 1, v62
	v_cmp_lt_u32_e32 vcc, 21, v62
	v_add_u32_e32 v63, 8, v63
	v_add_u32_e32 v65, 8, v65
	s_or_b64 s[6:7], vcc, s[6:7]
	s_waitcnt vmcnt(1) lgkmcnt(0)
	v_mul_f32_e32 v71, v69, v67
	v_mul_f32_e32 v67, v68, v67
	s_waitcnt vmcnt(0)
	v_fma_f32 v68, v68, v70, -v71
	v_fmac_f32_e32 v67, v69, v70
	v_add_f32_e32 v66, v66, v68
	v_add_f32_e32 v61, v61, v67
	s_andn2_b64 exec, exec, s[6:7]
	s_cbranch_execnz .LBB28_105
; %bb.106:
	s_or_b64 exec, exec, s[6:7]
	v_mov_b32_e32 v62, 0
	ds_read_b64 v[62:63], v62 offset:184
	s_waitcnt lgkmcnt(0)
	v_mul_f32_e32 v65, v61, v63
	v_mul_f32_e32 v63, v66, v63
	v_fma_f32 v65, v66, v62, -v65
	v_fmac_f32_e32 v63, v61, v62
	buffer_store_dword v65, off, s[0:3], 0 offset:184
	buffer_store_dword v63, off, s[0:3], 0 offset:188
.LBB28_107:
	s_or_b64 exec, exec, s[4:5]
	s_waitcnt lgkmcnt(0)
	; wave barrier
	buffer_load_dword v62, off, s[0:3], 0 offset:192
	buffer_load_dword v63, off, s[0:3], 0 offset:196
	v_cmp_gt_u32_e32 vcc, 24, v0
	s_waitcnt vmcnt(0)
	ds_write_b64 v1, v[62:63]
	;; [unrolled: 51-line block ×5, first 2 shown]
	s_waitcnt lgkmcnt(0)
	; wave barrier
	s_waitcnt lgkmcnt(0)
	s_and_saveexec_b64 s[4:5], vcc
	s_cbranch_execz .LBB28_123
; %bb.120:
	v_add_u32_e32 v62, -1, v0
	v_add_u32_e32 v63, 0xf0, v64
	v_add_u32_e32 v65, 0, v64
	s_mov_b64 s[6:7], 0
	v_mov_b32_e32 v61, 0
	v_mov_b32_e32 v66, 0
.LBB28_121:                             ; =>This Inner Loop Header: Depth=1
	buffer_load_dword v67, v65, s[0:3], 0 offen offset:4
	buffer_load_dword v70, v65, s[0:3], 0 offen
	ds_read_b64 v[68:69], v63
	v_add_u32_e32 v62, 1, v62
	v_cmp_lt_u32_e32 vcc, 25, v62
	v_add_u32_e32 v63, 8, v63
	v_add_u32_e32 v65, 8, v65
	s_or_b64 s[6:7], vcc, s[6:7]
	s_waitcnt vmcnt(1) lgkmcnt(0)
	v_mul_f32_e32 v71, v69, v67
	v_mul_f32_e32 v67, v68, v67
	s_waitcnt vmcnt(0)
	v_fma_f32 v68, v68, v70, -v71
	v_fmac_f32_e32 v67, v69, v70
	v_add_f32_e32 v66, v66, v68
	v_add_f32_e32 v61, v61, v67
	s_andn2_b64 exec, exec, s[6:7]
	s_cbranch_execnz .LBB28_121
; %bb.122:
	s_or_b64 exec, exec, s[6:7]
	v_mov_b32_e32 v62, 0
	ds_read_b64 v[62:63], v62 offset:216
	s_waitcnt lgkmcnt(0)
	v_mul_f32_e32 v65, v61, v63
	v_mul_f32_e32 v63, v66, v63
	v_fma_f32 v65, v66, v62, -v65
	v_fmac_f32_e32 v63, v61, v62
	buffer_store_dword v65, off, s[0:3], 0 offset:216
	buffer_store_dword v63, off, s[0:3], 0 offset:220
.LBB28_123:
	s_or_b64 exec, exec, s[4:5]
	s_waitcnt lgkmcnt(0)
	; wave barrier
	buffer_load_dword v62, off, s[0:3], 0 offset:224
	buffer_load_dword v63, off, s[0:3], 0 offset:228
	v_cmp_ne_u32_e32 vcc, 28, v0
	s_waitcnt vmcnt(0)
	ds_write_b64 v1, v[62:63]
	s_waitcnt lgkmcnt(0)
	; wave barrier
	s_waitcnt lgkmcnt(0)
	s_and_saveexec_b64 s[4:5], vcc
	s_cbranch_execz .LBB28_127
; %bb.124:
	v_add_u32_e32 v61, 0xf0, v64
	v_add_u32_e32 v62, 0, v64
	s_mov_b64 s[6:7], 0
	v_mov_b32_e32 v1, 0
	v_mov_b32_e32 v63, 0
.LBB28_125:                             ; =>This Inner Loop Header: Depth=1
	buffer_load_dword v66, v62, s[0:3], 0 offen offset:4
	buffer_load_dword v67, v62, s[0:3], 0 offen
	ds_read_b64 v[64:65], v61
	v_add_u32_e32 v60, 1, v60
	v_cmp_lt_u32_e32 vcc, 26, v60
	v_add_u32_e32 v61, 8, v61
	v_add_u32_e32 v62, 8, v62
	s_or_b64 s[6:7], vcc, s[6:7]
	s_waitcnt vmcnt(1) lgkmcnt(0)
	v_mul_f32_e32 v68, v65, v66
	v_mul_f32_e32 v66, v64, v66
	s_waitcnt vmcnt(0)
	v_fma_f32 v64, v64, v67, -v68
	v_fmac_f32_e32 v66, v65, v67
	v_add_f32_e32 v63, v63, v64
	v_add_f32_e32 v1, v1, v66
	s_andn2_b64 exec, exec, s[6:7]
	s_cbranch_execnz .LBB28_125
; %bb.126:
	s_or_b64 exec, exec, s[6:7]
	v_mov_b32_e32 v60, 0
	ds_read_b64 v[60:61], v60 offset:224
	s_waitcnt lgkmcnt(0)
	v_mul_f32_e32 v62, v1, v61
	v_mul_f32_e32 v61, v63, v61
	v_fma_f32 v62, v63, v60, -v62
	v_fmac_f32_e32 v61, v1, v60
	buffer_store_dword v62, off, s[0:3], 0 offset:224
	buffer_store_dword v61, off, s[0:3], 0 offset:228
.LBB28_127:
	s_or_b64 exec, exec, s[4:5]
	s_mov_b64 s[6:7], -1
	s_waitcnt lgkmcnt(0)
	; wave barrier
.LBB28_128:
	s_and_b64 vcc, exec, s[6:7]
	s_cbranch_vccz .LBB28_130
; %bb.129:
	s_lshl_b64 s[4:5], s[8:9], 2
	s_add_u32 s4, s14, s4
	s_addc_u32 s5, s15, s5
	v_mov_b32_e32 v1, 0
	global_load_dword v1, v1, s[4:5]
	s_waitcnt vmcnt(0)
	v_cmp_ne_u32_e32 vcc, 0, v1
	s_cbranch_vccz .LBB28_131
.LBB28_130:
	s_endpgm
.LBB28_131:
	v_mov_b32_e32 v1, 0xf0
	v_lshl_add_u32 v1, v0, 3, v1
	v_cmp_eq_u32_e32 vcc, 28, v0
	s_and_saveexec_b64 s[4:5], vcc
	s_cbranch_execz .LBB28_133
; %bb.132:
	buffer_load_dword v60, off, s[0:3], 0 offset:216
	buffer_load_dword v61, off, s[0:3], 0 offset:220
	v_mov_b32_e32 v62, 0
	buffer_store_dword v62, off, s[0:3], 0 offset:216
	buffer_store_dword v62, off, s[0:3], 0 offset:220
	s_waitcnt vmcnt(2)
	ds_write_b64 v1, v[60:61]
.LBB28_133:
	s_or_b64 exec, exec, s[4:5]
	s_waitcnt lgkmcnt(0)
	; wave barrier
	s_waitcnt lgkmcnt(0)
	buffer_load_dword v63, off, s[0:3], 0 offset:228
	buffer_load_dword v62, off, s[0:3], 0 offset:224
	;; [unrolled: 1-line block ×4, first 2 shown]
	v_mov_b32_e32 v60, 0
	ds_read_b64 v[66:67], v60 offset:464
	v_cmp_lt_u32_e32 vcc, 26, v0
	s_waitcnt vmcnt(3)
	v_mov_b32_e32 v68, v63
	s_waitcnt lgkmcnt(0)
	v_pk_mul_f32 v[68:69], v[66:67], v[68:69] op_sel_hi:[1,0]
	s_waitcnt vmcnt(2)
	v_pk_fma_f32 v[70:71], v[66:67], v[62:63], v[68:69] op_sel:[0,0,1] op_sel_hi:[1,1,0] neg_lo:[0,0,1] neg_hi:[0,0,1]
	v_pk_fma_f32 v[62:63], v[66:67], v[62:63], v[68:69] op_sel:[0,0,1] op_sel_hi:[1,0,0]
	v_mov_b32_e32 v71, v63
	v_pk_add_f32 v[62:63], v[70:71], 0 op_sel_hi:[1,0]
	s_waitcnt vmcnt(0)
	v_pk_add_f32 v[62:63], v[64:65], v[62:63] neg_lo:[0,1] neg_hi:[0,1]
	buffer_store_dword v62, off, s[0:3], 0 offset:216
	buffer_store_dword v63, off, s[0:3], 0 offset:220
	s_and_saveexec_b64 s[4:5], vcc
	s_cbranch_execz .LBB28_135
; %bb.134:
	buffer_load_dword v62, off, s[0:3], 0 offset:208
	buffer_load_dword v63, off, s[0:3], 0 offset:212
	s_waitcnt vmcnt(0)
	ds_write_b64 v1, v[62:63]
	buffer_store_dword v60, off, s[0:3], 0 offset:208
	buffer_store_dword v60, off, s[0:3], 0 offset:212
.LBB28_135:
	s_or_b64 exec, exec, s[4:5]
	s_waitcnt lgkmcnt(0)
	; wave barrier
	s_waitcnt lgkmcnt(0)
	buffer_load_dword v65, off, s[0:3], 0 offset:220
	buffer_load_dword v67, off, s[0:3], 0 offset:228
	;; [unrolled: 1-line block ×6, first 2 shown]
	ds_read2_b64 v[60:63], v60 offset0:57 offset1:58
	v_cmp_lt_u32_e32 vcc, 25, v0
	s_waitcnt vmcnt(5)
	v_mov_b32_e32 v70, v65
	s_waitcnt vmcnt(4)
	v_mov_b32_e32 v72, v67
	s_waitcnt lgkmcnt(0)
	v_pk_mul_f32 v[70:71], v[60:61], v[70:71] op_sel_hi:[1,0]
	v_pk_mul_f32 v[72:73], v[62:63], v[72:73] op_sel_hi:[1,0]
	s_waitcnt vmcnt(3)
	v_pk_fma_f32 v[74:75], v[60:61], v[64:65], v[70:71] op_sel:[0,0,1] op_sel_hi:[1,1,0] neg_lo:[0,0,1] neg_hi:[0,0,1]
	v_pk_fma_f32 v[60:61], v[60:61], v[64:65], v[70:71] op_sel:[0,0,1] op_sel_hi:[1,0,0]
	s_waitcnt vmcnt(2)
	v_pk_fma_f32 v[64:65], v[62:63], v[66:67], v[72:73] op_sel:[0,0,1] op_sel_hi:[1,1,0] neg_lo:[0,0,1] neg_hi:[0,0,1]
	v_pk_fma_f32 v[62:63], v[62:63], v[66:67], v[72:73] op_sel:[0,0,1] op_sel_hi:[1,0,0]
	v_mov_b32_e32 v75, v61
	v_mov_b32_e32 v65, v63
	v_pk_add_f32 v[60:61], v[74:75], 0 op_sel_hi:[1,0]
	v_pk_add_f32 v[60:61], v[60:61], v[64:65]
	s_waitcnt vmcnt(0)
	v_pk_add_f32 v[60:61], v[68:69], v[60:61] neg_lo:[0,1] neg_hi:[0,1]
	buffer_store_dword v60, off, s[0:3], 0 offset:208
	buffer_store_dword v61, off, s[0:3], 0 offset:212
	s_and_saveexec_b64 s[4:5], vcc
	s_cbranch_execz .LBB28_137
; %bb.136:
	buffer_load_dword v60, off, s[0:3], 0 offset:200
	buffer_load_dword v61, off, s[0:3], 0 offset:204
	v_mov_b32_e32 v62, 0
	buffer_store_dword v62, off, s[0:3], 0 offset:200
	buffer_store_dword v62, off, s[0:3], 0 offset:204
	s_waitcnt vmcnt(2)
	ds_write_b64 v1, v[60:61]
.LBB28_137:
	s_or_b64 exec, exec, s[4:5]
	s_waitcnt lgkmcnt(0)
	; wave barrier
	s_waitcnt lgkmcnt(0)
	buffer_load_dword v67, off, s[0:3], 0 offset:212
	buffer_load_dword v69, off, s[0:3], 0 offset:220
	;; [unrolled: 1-line block ×8, first 2 shown]
	v_mov_b32_e32 v60, 0
	ds_read_b128 v[62:65], v60 offset:448
	ds_read_b64 v[74:75], v60 offset:464
	v_cmp_lt_u32_e32 vcc, 24, v0
	s_waitcnt vmcnt(7)
	v_mov_b32_e32 v76, v67
	s_waitcnt vmcnt(6)
	v_mov_b32_e32 v78, v69
	s_waitcnt lgkmcnt(1)
	v_pk_mul_f32 v[76:77], v[62:63], v[76:77] op_sel_hi:[1,0]
	s_waitcnt vmcnt(5)
	v_mov_b32_e32 v80, v71
	v_pk_mul_f32 v[78:79], v[64:65], v[78:79] op_sel_hi:[1,0]
	s_waitcnt vmcnt(4)
	v_pk_fma_f32 v[82:83], v[62:63], v[66:67], v[76:77] op_sel:[0,0,1] op_sel_hi:[1,1,0] neg_lo:[0,0,1] neg_hi:[0,0,1]
	v_pk_fma_f32 v[62:63], v[62:63], v[66:67], v[76:77] op_sel:[0,0,1] op_sel_hi:[1,0,0]
	s_waitcnt lgkmcnt(0)
	v_pk_mul_f32 v[80:81], v[74:75], v[80:81] op_sel_hi:[1,0]
	s_waitcnt vmcnt(3)
	v_pk_fma_f32 v[66:67], v[64:65], v[68:69], v[78:79] op_sel:[0,0,1] op_sel_hi:[1,1,0] neg_lo:[0,0,1] neg_hi:[0,0,1]
	v_pk_fma_f32 v[64:65], v[64:65], v[68:69], v[78:79] op_sel:[0,0,1] op_sel_hi:[1,0,0]
	v_mov_b32_e32 v83, v63
	s_waitcnt vmcnt(2)
	v_pk_fma_f32 v[68:69], v[74:75], v[70:71], v[80:81] op_sel:[0,0,1] op_sel_hi:[1,1,0] neg_lo:[0,0,1] neg_hi:[0,0,1]
	v_pk_fma_f32 v[70:71], v[74:75], v[70:71], v[80:81] op_sel:[0,0,1] op_sel_hi:[1,0,0]
	v_mov_b32_e32 v67, v65
	v_pk_add_f32 v[62:63], v[82:83], 0 op_sel_hi:[1,0]
	v_mov_b32_e32 v69, v71
	v_pk_add_f32 v[62:63], v[62:63], v[66:67]
	v_pk_add_f32 v[62:63], v[62:63], v[68:69]
	s_waitcnt vmcnt(0)
	v_pk_add_f32 v[62:63], v[72:73], v[62:63] neg_lo:[0,1] neg_hi:[0,1]
	buffer_store_dword v62, off, s[0:3], 0 offset:200
	buffer_store_dword v63, off, s[0:3], 0 offset:204
	s_and_saveexec_b64 s[4:5], vcc
	s_cbranch_execz .LBB28_139
; %bb.138:
	buffer_load_dword v62, off, s[0:3], 0 offset:192
	buffer_load_dword v63, off, s[0:3], 0 offset:196
	s_waitcnt vmcnt(0)
	ds_write_b64 v1, v[62:63]
	buffer_store_dword v60, off, s[0:3], 0 offset:192
	buffer_store_dword v60, off, s[0:3], 0 offset:196
.LBB28_139:
	s_or_b64 exec, exec, s[4:5]
	s_waitcnt lgkmcnt(0)
	; wave barrier
	s_waitcnt lgkmcnt(0)
	buffer_load_dword v71, off, s[0:3], 0 offset:204
	buffer_load_dword v73, off, s[0:3], 0 offset:212
	;; [unrolled: 1-line block ×10, first 2 shown]
	ds_read2_b64 v[62:65], v60 offset0:55 offset1:56
	ds_read2_b64 v[66:69], v60 offset0:57 offset1:58
	v_cmp_lt_u32_e32 vcc, 23, v0
	s_waitcnt vmcnt(9)
	v_mov_b32_e32 v60, v71
	s_waitcnt vmcnt(8)
	v_mov_b32_e32 v80, v73
	s_waitcnt lgkmcnt(1)
	v_pk_mul_f32 v[60:61], v[62:63], v[60:61] op_sel_hi:[1,0]
	s_waitcnt vmcnt(7)
	v_mov_b32_e32 v82, v75
	v_pk_mul_f32 v[80:81], v[64:65], v[80:81] op_sel_hi:[1,0]
	s_waitcnt vmcnt(5)
	v_pk_fma_f32 v[86:87], v[62:63], v[70:71], v[60:61] op_sel:[0,0,1] op_sel_hi:[1,1,0] neg_lo:[0,0,1] neg_hi:[0,0,1]
	v_pk_fma_f32 v[60:61], v[62:63], v[70:71], v[60:61] op_sel:[0,0,1] op_sel_hi:[1,0,0]
	v_mov_b32_e32 v84, v77
	s_waitcnt lgkmcnt(0)
	v_pk_mul_f32 v[82:83], v[66:67], v[82:83] op_sel_hi:[1,0]
	s_waitcnt vmcnt(4)
	v_pk_fma_f32 v[62:63], v[64:65], v[72:73], v[80:81] op_sel:[0,0,1] op_sel_hi:[1,1,0] neg_lo:[0,0,1] neg_hi:[0,0,1]
	v_pk_fma_f32 v[64:65], v[64:65], v[72:73], v[80:81] op_sel:[0,0,1] op_sel_hi:[1,0,0]
	v_mov_b32_e32 v87, v61
	v_pk_mul_f32 v[84:85], v[68:69], v[84:85] op_sel_hi:[1,0]
	s_waitcnt vmcnt(3)
	v_pk_fma_f32 v[70:71], v[66:67], v[74:75], v[82:83] op_sel:[0,0,1] op_sel_hi:[1,1,0] neg_lo:[0,0,1] neg_hi:[0,0,1]
	v_pk_fma_f32 v[66:67], v[66:67], v[74:75], v[82:83] op_sel:[0,0,1] op_sel_hi:[1,0,0]
	v_mov_b32_e32 v63, v65
	v_pk_add_f32 v[60:61], v[86:87], 0 op_sel_hi:[1,0]
	s_waitcnt vmcnt(2)
	v_pk_fma_f32 v[72:73], v[68:69], v[76:77], v[84:85] op_sel:[0,0,1] op_sel_hi:[1,1,0] neg_lo:[0,0,1] neg_hi:[0,0,1]
	v_pk_fma_f32 v[68:69], v[68:69], v[76:77], v[84:85] op_sel:[0,0,1] op_sel_hi:[1,0,0]
	v_mov_b32_e32 v71, v67
	v_pk_add_f32 v[60:61], v[60:61], v[62:63]
	v_mov_b32_e32 v73, v69
	v_pk_add_f32 v[60:61], v[60:61], v[70:71]
	v_pk_add_f32 v[60:61], v[60:61], v[72:73]
	s_waitcnt vmcnt(0)
	v_pk_add_f32 v[60:61], v[78:79], v[60:61] neg_lo:[0,1] neg_hi:[0,1]
	buffer_store_dword v60, off, s[0:3], 0 offset:192
	buffer_store_dword v61, off, s[0:3], 0 offset:196
	s_and_saveexec_b64 s[4:5], vcc
	s_cbranch_execz .LBB28_141
; %bb.140:
	buffer_load_dword v60, off, s[0:3], 0 offset:184
	buffer_load_dword v61, off, s[0:3], 0 offset:188
	v_mov_b32_e32 v62, 0
	buffer_store_dword v62, off, s[0:3], 0 offset:184
	buffer_store_dword v62, off, s[0:3], 0 offset:188
	s_waitcnt vmcnt(2)
	ds_write_b64 v1, v[60:61]
.LBB28_141:
	s_or_b64 exec, exec, s[4:5]
	s_waitcnt lgkmcnt(0)
	; wave barrier
	s_waitcnt lgkmcnt(0)
	buffer_load_dword v71, off, s[0:3], 0 offset:196
	buffer_load_dword v73, off, s[0:3], 0 offset:204
	buffer_load_dword v75, off, s[0:3], 0 offset:212
	buffer_load_dword v77, off, s[0:3], 0 offset:220
	buffer_load_dword v79, off, s[0:3], 0 offset:228
	buffer_load_dword v70, off, s[0:3], 0 offset:192
	buffer_load_dword v72, off, s[0:3], 0 offset:200
	buffer_load_dword v74, off, s[0:3], 0 offset:208
	buffer_load_dword v76, off, s[0:3], 0 offset:216
	buffer_load_dword v78, off, s[0:3], 0 offset:224
	buffer_load_dword v80, off, s[0:3], 0 offset:184
	buffer_load_dword v81, off, s[0:3], 0 offset:188
	v_mov_b32_e32 v60, 0
	ds_read_b128 v[62:65], v60 offset:432
	ds_read_b128 v[66:69], v60 offset:448
	ds_read_b64 v[82:83], v60 offset:464
	v_cmp_lt_u32_e32 vcc, 22, v0
	s_waitcnt vmcnt(11)
	v_mov_b32_e32 v84, v71
	s_waitcnt vmcnt(10)
	v_mov_b32_e32 v86, v73
	s_waitcnt lgkmcnt(2)
	v_pk_mul_f32 v[84:85], v[62:63], v[84:85] op_sel_hi:[1,0]
	s_waitcnt vmcnt(9)
	v_mov_b32_e32 v88, v75
	v_pk_mul_f32 v[86:87], v[64:65], v[86:87] op_sel_hi:[1,0]
	s_waitcnt vmcnt(6)
	v_pk_fma_f32 v[94:95], v[62:63], v[70:71], v[84:85] op_sel:[0,0,1] op_sel_hi:[1,1,0] neg_lo:[0,0,1] neg_hi:[0,0,1]
	v_pk_fma_f32 v[62:63], v[62:63], v[70:71], v[84:85] op_sel:[0,0,1] op_sel_hi:[1,0,0]
	v_mov_b32_e32 v90, v77
	s_waitcnt lgkmcnt(1)
	v_pk_mul_f32 v[88:89], v[66:67], v[88:89] op_sel_hi:[1,0]
	s_waitcnt vmcnt(5)
	v_pk_fma_f32 v[70:71], v[64:65], v[72:73], v[86:87] op_sel:[0,0,1] op_sel_hi:[1,1,0] neg_lo:[0,0,1] neg_hi:[0,0,1]
	v_pk_fma_f32 v[64:65], v[64:65], v[72:73], v[86:87] op_sel:[0,0,1] op_sel_hi:[1,0,0]
	v_mov_b32_e32 v95, v63
	v_mov_b32_e32 v92, v79
	v_pk_mul_f32 v[90:91], v[68:69], v[90:91] op_sel_hi:[1,0]
	s_waitcnt vmcnt(4)
	v_pk_fma_f32 v[72:73], v[66:67], v[74:75], v[88:89] op_sel:[0,0,1] op_sel_hi:[1,1,0] neg_lo:[0,0,1] neg_hi:[0,0,1]
	v_pk_fma_f32 v[66:67], v[66:67], v[74:75], v[88:89] op_sel:[0,0,1] op_sel_hi:[1,0,0]
	v_mov_b32_e32 v71, v65
	v_pk_add_f32 v[62:63], v[94:95], 0 op_sel_hi:[1,0]
	s_waitcnt lgkmcnt(0)
	v_pk_mul_f32 v[92:93], v[82:83], v[92:93] op_sel_hi:[1,0]
	s_waitcnt vmcnt(3)
	v_pk_fma_f32 v[74:75], v[68:69], v[76:77], v[90:91] op_sel:[0,0,1] op_sel_hi:[1,1,0] neg_lo:[0,0,1] neg_hi:[0,0,1]
	v_pk_fma_f32 v[68:69], v[68:69], v[76:77], v[90:91] op_sel:[0,0,1] op_sel_hi:[1,0,0]
	v_mov_b32_e32 v73, v67
	v_pk_add_f32 v[62:63], v[62:63], v[70:71]
	s_waitcnt vmcnt(2)
	v_pk_fma_f32 v[76:77], v[82:83], v[78:79], v[92:93] op_sel:[0,0,1] op_sel_hi:[1,1,0] neg_lo:[0,0,1] neg_hi:[0,0,1]
	v_pk_fma_f32 v[78:79], v[82:83], v[78:79], v[92:93] op_sel:[0,0,1] op_sel_hi:[1,0,0]
	v_mov_b32_e32 v75, v69
	v_pk_add_f32 v[62:63], v[62:63], v[72:73]
	v_mov_b32_e32 v77, v79
	v_pk_add_f32 v[62:63], v[62:63], v[74:75]
	v_pk_add_f32 v[62:63], v[62:63], v[76:77]
	s_waitcnt vmcnt(0)
	v_pk_add_f32 v[62:63], v[80:81], v[62:63] neg_lo:[0,1] neg_hi:[0,1]
	buffer_store_dword v62, off, s[0:3], 0 offset:184
	buffer_store_dword v63, off, s[0:3], 0 offset:188
	s_and_saveexec_b64 s[4:5], vcc
	s_cbranch_execz .LBB28_143
; %bb.142:
	buffer_load_dword v62, off, s[0:3], 0 offset:176
	buffer_load_dword v63, off, s[0:3], 0 offset:180
	s_waitcnt vmcnt(0)
	ds_write_b64 v1, v[62:63]
	buffer_store_dword v60, off, s[0:3], 0 offset:176
	buffer_store_dword v60, off, s[0:3], 0 offset:180
.LBB28_143:
	s_or_b64 exec, exec, s[4:5]
	s_waitcnt lgkmcnt(0)
	; wave barrier
	s_waitcnt lgkmcnt(0)
	buffer_load_dword v75, off, s[0:3], 0 offset:188
	buffer_load_dword v77, off, s[0:3], 0 offset:196
	;; [unrolled: 1-line block ×14, first 2 shown]
	ds_read2_b64 v[62:65], v60 offset0:53 offset1:54
	ds_read2_b64 v[66:69], v60 offset0:55 offset1:56
	;; [unrolled: 1-line block ×3, first 2 shown]
	v_cmp_lt_u32_e32 vcc, 21, v0
	s_waitcnt vmcnt(13)
	v_mov_b32_e32 v60, v75
	s_waitcnt vmcnt(12)
	v_mov_b32_e32 v88, v77
	s_waitcnt lgkmcnt(2)
	v_pk_mul_f32 v[60:61], v[62:63], v[60:61] op_sel_hi:[1,0]
	s_waitcnt vmcnt(11)
	v_mov_b32_e32 v90, v79
	v_pk_mul_f32 v[88:89], v[64:65], v[88:89] op_sel_hi:[1,0]
	s_waitcnt vmcnt(10)
	v_mov_b32_e32 v92, v81
	s_waitcnt vmcnt(7)
	v_pk_fma_f32 v[98:99], v[62:63], v[74:75], v[60:61] op_sel:[0,0,1] op_sel_hi:[1,1,0] neg_lo:[0,0,1] neg_hi:[0,0,1]
	v_pk_fma_f32 v[60:61], v[62:63], v[74:75], v[60:61] op_sel:[0,0,1] op_sel_hi:[1,0,0]
	s_waitcnt lgkmcnt(1)
	v_pk_mul_f32 v[90:91], v[66:67], v[90:91] op_sel_hi:[1,0]
	s_waitcnt vmcnt(6)
	v_pk_fma_f32 v[62:63], v[64:65], v[76:77], v[88:89] op_sel:[0,0,1] op_sel_hi:[1,1,0] neg_lo:[0,0,1] neg_hi:[0,0,1]
	v_pk_fma_f32 v[64:65], v[64:65], v[76:77], v[88:89] op_sel:[0,0,1] op_sel_hi:[1,0,0]
	v_mov_b32_e32 v99, v61
	v_mov_b32_e32 v94, v83
	v_pk_mul_f32 v[92:93], v[68:69], v[92:93] op_sel_hi:[1,0]
	s_waitcnt vmcnt(5)
	v_pk_fma_f32 v[74:75], v[66:67], v[78:79], v[90:91] op_sel:[0,0,1] op_sel_hi:[1,1,0] neg_lo:[0,0,1] neg_hi:[0,0,1]
	v_pk_fma_f32 v[66:67], v[66:67], v[78:79], v[90:91] op_sel:[0,0,1] op_sel_hi:[1,0,0]
	v_mov_b32_e32 v63, v65
	v_pk_add_f32 v[60:61], v[98:99], 0 op_sel_hi:[1,0]
	v_mov_b32_e32 v96, v85
	s_waitcnt lgkmcnt(0)
	v_pk_mul_f32 v[94:95], v[70:71], v[94:95] op_sel_hi:[1,0]
	s_waitcnt vmcnt(4)
	v_pk_fma_f32 v[76:77], v[68:69], v[80:81], v[92:93] op_sel:[0,0,1] op_sel_hi:[1,1,0] neg_lo:[0,0,1] neg_hi:[0,0,1]
	v_pk_fma_f32 v[68:69], v[68:69], v[80:81], v[92:93] op_sel:[0,0,1] op_sel_hi:[1,0,0]
	v_mov_b32_e32 v75, v67
	v_pk_add_f32 v[60:61], v[60:61], v[62:63]
	v_pk_mul_f32 v[96:97], v[72:73], v[96:97] op_sel_hi:[1,0]
	s_waitcnt vmcnt(3)
	v_pk_fma_f32 v[78:79], v[70:71], v[82:83], v[94:95] op_sel:[0,0,1] op_sel_hi:[1,1,0] neg_lo:[0,0,1] neg_hi:[0,0,1]
	v_pk_fma_f32 v[70:71], v[70:71], v[82:83], v[94:95] op_sel:[0,0,1] op_sel_hi:[1,0,0]
	v_mov_b32_e32 v77, v69
	v_pk_add_f32 v[60:61], v[60:61], v[74:75]
	s_waitcnt vmcnt(2)
	v_pk_fma_f32 v[80:81], v[72:73], v[84:85], v[96:97] op_sel:[0,0,1] op_sel_hi:[1,1,0] neg_lo:[0,0,1] neg_hi:[0,0,1]
	v_pk_fma_f32 v[72:73], v[72:73], v[84:85], v[96:97] op_sel:[0,0,1] op_sel_hi:[1,0,0]
	v_mov_b32_e32 v79, v71
	v_pk_add_f32 v[60:61], v[60:61], v[76:77]
	v_mov_b32_e32 v81, v73
	v_pk_add_f32 v[60:61], v[60:61], v[78:79]
	v_pk_add_f32 v[60:61], v[60:61], v[80:81]
	s_waitcnt vmcnt(0)
	v_pk_add_f32 v[60:61], v[86:87], v[60:61] neg_lo:[0,1] neg_hi:[0,1]
	buffer_store_dword v60, off, s[0:3], 0 offset:176
	buffer_store_dword v61, off, s[0:3], 0 offset:180
	s_and_saveexec_b64 s[4:5], vcc
	s_cbranch_execz .LBB28_145
; %bb.144:
	buffer_load_dword v60, off, s[0:3], 0 offset:168
	buffer_load_dword v61, off, s[0:3], 0 offset:172
	v_mov_b32_e32 v62, 0
	buffer_store_dword v62, off, s[0:3], 0 offset:168
	buffer_store_dword v62, off, s[0:3], 0 offset:172
	s_waitcnt vmcnt(2)
	ds_write_b64 v1, v[60:61]
.LBB28_145:
	s_or_b64 exec, exec, s[4:5]
	s_waitcnt lgkmcnt(0)
	; wave barrier
	s_waitcnt lgkmcnt(0)
	buffer_load_dword v75, off, s[0:3], 0 offset:180
	buffer_load_dword v77, off, s[0:3], 0 offset:188
	;; [unrolled: 1-line block ×16, first 2 shown]
	v_mov_b32_e32 v60, 0
	ds_read_b128 v[62:65], v60 offset:416
	ds_read_b128 v[66:69], v60 offset:432
	;; [unrolled: 1-line block ×3, first 2 shown]
	ds_read_b64 v[90:91], v60 offset:464
	v_cmp_lt_u32_e32 vcc, 20, v0
	s_waitcnt vmcnt(15)
	v_mov_b32_e32 v92, v75
	s_waitcnt vmcnt(14)
	v_mov_b32_e32 v94, v77
	s_waitcnt lgkmcnt(3)
	v_pk_mul_f32 v[92:93], v[62:63], v[92:93] op_sel_hi:[1,0]
	s_waitcnt vmcnt(13)
	v_mov_b32_e32 v96, v79
	v_pk_mul_f32 v[94:95], v[64:65], v[94:95] op_sel_hi:[1,0]
	s_waitcnt vmcnt(12)
	v_mov_b32_e32 v98, v81
	s_waitcnt lgkmcnt(2)
	v_pk_mul_f32 v[96:97], v[66:67], v[96:97] op_sel_hi:[1,0]
	s_waitcnt vmcnt(8)
	v_pk_fma_f32 v[106:107], v[62:63], v[74:75], v[92:93] op_sel:[0,0,1] op_sel_hi:[1,1,0] neg_lo:[0,0,1] neg_hi:[0,0,1]
	v_pk_fma_f32 v[62:63], v[62:63], v[74:75], v[92:93] op_sel:[0,0,1] op_sel_hi:[1,0,0]
	s_waitcnt vmcnt(7)
	v_pk_fma_f32 v[74:75], v[64:65], v[76:77], v[94:95] op_sel:[0,0,1] op_sel_hi:[1,1,0] neg_lo:[0,0,1] neg_hi:[0,0,1]
	v_pk_fma_f32 v[64:65], v[64:65], v[76:77], v[94:95] op_sel:[0,0,1] op_sel_hi:[1,0,0]
	v_mov_b32_e32 v107, v63
	v_mov_b32_e32 v100, v83
	v_pk_mul_f32 v[98:99], v[68:69], v[98:99] op_sel_hi:[1,0]
	s_waitcnt vmcnt(6)
	v_pk_fma_f32 v[76:77], v[66:67], v[78:79], v[96:97] op_sel:[0,0,1] op_sel_hi:[1,1,0] neg_lo:[0,0,1] neg_hi:[0,0,1]
	v_pk_fma_f32 v[66:67], v[66:67], v[78:79], v[96:97] op_sel:[0,0,1] op_sel_hi:[1,0,0]
	v_mov_b32_e32 v75, v65
	v_pk_add_f32 v[62:63], v[106:107], 0 op_sel_hi:[1,0]
	v_mov_b32_e32 v102, v85
	s_waitcnt lgkmcnt(1)
	v_pk_mul_f32 v[100:101], v[70:71], v[100:101] op_sel_hi:[1,0]
	s_waitcnt vmcnt(5)
	v_pk_fma_f32 v[78:79], v[68:69], v[80:81], v[98:99] op_sel:[0,0,1] op_sel_hi:[1,1,0] neg_lo:[0,0,1] neg_hi:[0,0,1]
	v_pk_fma_f32 v[68:69], v[68:69], v[80:81], v[98:99] op_sel:[0,0,1] op_sel_hi:[1,0,0]
	v_mov_b32_e32 v77, v67
	v_pk_add_f32 v[62:63], v[62:63], v[74:75]
	v_mov_b32_e32 v104, v87
	v_pk_mul_f32 v[102:103], v[72:73], v[102:103] op_sel_hi:[1,0]
	s_waitcnt vmcnt(4)
	v_pk_fma_f32 v[80:81], v[70:71], v[82:83], v[100:101] op_sel:[0,0,1] op_sel_hi:[1,1,0] neg_lo:[0,0,1] neg_hi:[0,0,1]
	v_pk_fma_f32 v[70:71], v[70:71], v[82:83], v[100:101] op_sel:[0,0,1] op_sel_hi:[1,0,0]
	v_mov_b32_e32 v79, v69
	v_pk_add_f32 v[62:63], v[62:63], v[76:77]
	s_waitcnt lgkmcnt(0)
	v_pk_mul_f32 v[104:105], v[90:91], v[104:105] op_sel_hi:[1,0]
	s_waitcnt vmcnt(3)
	v_pk_fma_f32 v[82:83], v[72:73], v[84:85], v[102:103] op_sel:[0,0,1] op_sel_hi:[1,1,0] neg_lo:[0,0,1] neg_hi:[0,0,1]
	v_pk_fma_f32 v[72:73], v[72:73], v[84:85], v[102:103] op_sel:[0,0,1] op_sel_hi:[1,0,0]
	v_mov_b32_e32 v81, v71
	v_pk_add_f32 v[62:63], v[62:63], v[78:79]
	s_waitcnt vmcnt(2)
	v_pk_fma_f32 v[84:85], v[90:91], v[86:87], v[104:105] op_sel:[0,0,1] op_sel_hi:[1,1,0] neg_lo:[0,0,1] neg_hi:[0,0,1]
	v_pk_fma_f32 v[86:87], v[90:91], v[86:87], v[104:105] op_sel:[0,0,1] op_sel_hi:[1,0,0]
	v_mov_b32_e32 v83, v73
	v_pk_add_f32 v[62:63], v[62:63], v[80:81]
	v_mov_b32_e32 v85, v87
	v_pk_add_f32 v[62:63], v[62:63], v[82:83]
	v_pk_add_f32 v[62:63], v[62:63], v[84:85]
	s_waitcnt vmcnt(0)
	v_pk_add_f32 v[62:63], v[88:89], v[62:63] neg_lo:[0,1] neg_hi:[0,1]
	buffer_store_dword v62, off, s[0:3], 0 offset:168
	buffer_store_dword v63, off, s[0:3], 0 offset:172
	s_and_saveexec_b64 s[4:5], vcc
	s_cbranch_execz .LBB28_147
; %bb.146:
	buffer_load_dword v62, off, s[0:3], 0 offset:160
	buffer_load_dword v63, off, s[0:3], 0 offset:164
	s_waitcnt vmcnt(0)
	ds_write_b64 v1, v[62:63]
	buffer_store_dword v60, off, s[0:3], 0 offset:160
	buffer_store_dword v60, off, s[0:3], 0 offset:164
.LBB28_147:
	s_or_b64 exec, exec, s[4:5]
	s_waitcnt lgkmcnt(0)
	; wave barrier
	s_waitcnt lgkmcnt(0)
	buffer_load_dword v79, off, s[0:3], 0 offset:172
	buffer_load_dword v81, off, s[0:3], 0 offset:180
	;; [unrolled: 1-line block ×18, first 2 shown]
	ds_read2_b64 v[62:65], v60 offset0:51 offset1:52
	ds_read2_b64 v[66:69], v60 offset0:53 offset1:54
	;; [unrolled: 1-line block ×4, first 2 shown]
	v_cmp_lt_u32_e32 vcc, 19, v0
	s_waitcnt vmcnt(17)
	v_mov_b32_e32 v60, v79
	s_waitcnt vmcnt(16)
	v_mov_b32_e32 v96, v81
	s_waitcnt lgkmcnt(3)
	v_pk_mul_f32 v[60:61], v[62:63], v[60:61] op_sel_hi:[1,0]
	s_waitcnt vmcnt(15)
	v_mov_b32_e32 v98, v83
	v_pk_mul_f32 v[96:97], v[64:65], v[96:97] op_sel_hi:[1,0]
	s_waitcnt vmcnt(14)
	v_mov_b32_e32 v100, v85
	s_waitcnt lgkmcnt(2)
	v_pk_mul_f32 v[98:99], v[66:67], v[98:99] op_sel_hi:[1,0]
	s_waitcnt vmcnt(13)
	v_mov_b32_e32 v102, v87
	s_waitcnt vmcnt(9)
	v_pk_fma_f32 v[110:111], v[62:63], v[78:79], v[60:61] op_sel:[0,0,1] op_sel_hi:[1,1,0] neg_lo:[0,0,1] neg_hi:[0,0,1]
	v_pk_fma_f32 v[60:61], v[62:63], v[78:79], v[60:61] op_sel:[0,0,1] op_sel_hi:[1,0,0]
	s_waitcnt vmcnt(8)
	v_pk_fma_f32 v[62:63], v[64:65], v[80:81], v[96:97] op_sel:[0,0,1] op_sel_hi:[1,1,0] neg_lo:[0,0,1] neg_hi:[0,0,1]
	v_pk_fma_f32 v[64:65], v[64:65], v[80:81], v[96:97] op_sel:[0,0,1] op_sel_hi:[1,0,0]
	v_mov_b32_e32 v111, v61
	v_pk_mul_f32 v[100:101], v[68:69], v[100:101] op_sel_hi:[1,0]
	s_waitcnt vmcnt(7)
	v_pk_fma_f32 v[78:79], v[66:67], v[82:83], v[98:99] op_sel:[0,0,1] op_sel_hi:[1,1,0] neg_lo:[0,0,1] neg_hi:[0,0,1]
	v_pk_fma_f32 v[66:67], v[66:67], v[82:83], v[98:99] op_sel:[0,0,1] op_sel_hi:[1,0,0]
	v_mov_b32_e32 v63, v65
	v_pk_add_f32 v[60:61], v[110:111], 0 op_sel_hi:[1,0]
	v_mov_b32_e32 v104, v89
	s_waitcnt lgkmcnt(1)
	v_pk_mul_f32 v[102:103], v[70:71], v[102:103] op_sel_hi:[1,0]
	s_waitcnt vmcnt(6)
	v_pk_fma_f32 v[80:81], v[68:69], v[84:85], v[100:101] op_sel:[0,0,1] op_sel_hi:[1,1,0] neg_lo:[0,0,1] neg_hi:[0,0,1]
	v_pk_fma_f32 v[68:69], v[68:69], v[84:85], v[100:101] op_sel:[0,0,1] op_sel_hi:[1,0,0]
	v_mov_b32_e32 v79, v67
	v_pk_add_f32 v[60:61], v[60:61], v[62:63]
	v_mov_b32_e32 v106, v91
	v_pk_mul_f32 v[104:105], v[72:73], v[104:105] op_sel_hi:[1,0]
	s_waitcnt vmcnt(5)
	v_pk_fma_f32 v[82:83], v[70:71], v[86:87], v[102:103] op_sel:[0,0,1] op_sel_hi:[1,1,0] neg_lo:[0,0,1] neg_hi:[0,0,1]
	v_pk_fma_f32 v[70:71], v[70:71], v[86:87], v[102:103] op_sel:[0,0,1] op_sel_hi:[1,0,0]
	v_mov_b32_e32 v81, v69
	v_pk_add_f32 v[60:61], v[60:61], v[78:79]
	v_mov_b32_e32 v108, v93
	s_waitcnt lgkmcnt(0)
	v_pk_mul_f32 v[106:107], v[74:75], v[106:107] op_sel_hi:[1,0]
	s_waitcnt vmcnt(4)
	v_pk_fma_f32 v[84:85], v[72:73], v[88:89], v[104:105] op_sel:[0,0,1] op_sel_hi:[1,1,0] neg_lo:[0,0,1] neg_hi:[0,0,1]
	v_pk_fma_f32 v[72:73], v[72:73], v[88:89], v[104:105] op_sel:[0,0,1] op_sel_hi:[1,0,0]
	v_mov_b32_e32 v83, v71
	v_pk_add_f32 v[60:61], v[60:61], v[80:81]
	v_pk_mul_f32 v[108:109], v[76:77], v[108:109] op_sel_hi:[1,0]
	s_waitcnt vmcnt(3)
	v_pk_fma_f32 v[86:87], v[74:75], v[90:91], v[106:107] op_sel:[0,0,1] op_sel_hi:[1,1,0] neg_lo:[0,0,1] neg_hi:[0,0,1]
	v_pk_fma_f32 v[74:75], v[74:75], v[90:91], v[106:107] op_sel:[0,0,1] op_sel_hi:[1,0,0]
	v_mov_b32_e32 v85, v73
	v_pk_add_f32 v[60:61], v[60:61], v[82:83]
	s_waitcnt vmcnt(2)
	v_pk_fma_f32 v[88:89], v[76:77], v[92:93], v[108:109] op_sel:[0,0,1] op_sel_hi:[1,1,0] neg_lo:[0,0,1] neg_hi:[0,0,1]
	v_pk_fma_f32 v[76:77], v[76:77], v[92:93], v[108:109] op_sel:[0,0,1] op_sel_hi:[1,0,0]
	v_mov_b32_e32 v87, v75
	v_pk_add_f32 v[60:61], v[60:61], v[84:85]
	v_mov_b32_e32 v89, v77
	v_pk_add_f32 v[60:61], v[60:61], v[86:87]
	v_pk_add_f32 v[60:61], v[60:61], v[88:89]
	s_waitcnt vmcnt(0)
	v_pk_add_f32 v[60:61], v[94:95], v[60:61] neg_lo:[0,1] neg_hi:[0,1]
	buffer_store_dword v60, off, s[0:3], 0 offset:160
	buffer_store_dword v61, off, s[0:3], 0 offset:164
	s_and_saveexec_b64 s[4:5], vcc
	s_cbranch_execz .LBB28_149
; %bb.148:
	buffer_load_dword v60, off, s[0:3], 0 offset:152
	buffer_load_dword v61, off, s[0:3], 0 offset:156
	v_mov_b32_e32 v62, 0
	buffer_store_dword v62, off, s[0:3], 0 offset:152
	buffer_store_dword v62, off, s[0:3], 0 offset:156
	s_waitcnt vmcnt(2)
	ds_write_b64 v1, v[60:61]
.LBB28_149:
	s_or_b64 exec, exec, s[4:5]
	s_waitcnt lgkmcnt(0)
	; wave barrier
	s_waitcnt lgkmcnt(0)
	buffer_load_dword v61, off, s[0:3], 0 offset:164
	buffer_load_dword v79, off, s[0:3], 0 offset:172
	;; [unrolled: 1-line block ×20, first 2 shown]
	v_mov_b32_e32 v60, 0
	ds_read_b128 v[62:65], v60 offset:400
	ds_read_b128 v[66:69], v60 offset:416
	;; [unrolled: 1-line block ×4, first 2 shown]
	ds_read_b64 v[96:97], v60 offset:464
	v_cmp_lt_u32_e32 vcc, 18, v0
	s_waitcnt vmcnt(19) lgkmcnt(4)
	v_mul_f32_e32 v99, v62, v61
	v_mul_f32_e32 v61, v63, v61
	s_waitcnt vmcnt(18)
	v_mov_b32_e32 v100, v79
	s_waitcnt vmcnt(17)
	v_mov_b32_e32 v102, v81
	;; [unrolled: 2-line block ×8, first 2 shown]
	s_waitcnt vmcnt(10)
	v_fmac_f32_e32 v99, v63, v98
	v_fma_f32 v98, v62, v98, -v61
	v_pk_mul_f32 v[62:63], v[64:65], v[100:101] op_sel_hi:[1,0]
	s_waitcnt lgkmcnt(3)
	v_pk_mul_f32 v[100:101], v[66:67], v[102:103] op_sel_hi:[1,0]
	v_pk_mul_f32 v[102:103], v[68:69], v[104:105] op_sel_hi:[1,0]
	s_waitcnt lgkmcnt(2)
	v_pk_mul_f32 v[104:105], v[70:71], v[106:107] op_sel_hi:[1,0]
	v_pk_mul_f32 v[106:107], v[72:73], v[108:109] op_sel_hi:[1,0]
	s_waitcnt lgkmcnt(1)
	v_pk_mul_f32 v[108:109], v[74:75], v[110:111] op_sel_hi:[1,0]
	v_pk_mul_f32 v[110:111], v[76:77], v[112:113] op_sel_hi:[1,0]
	s_waitcnt lgkmcnt(0)
	v_pk_mul_f32 v[112:113], v[96:97], v[114:115] op_sel_hi:[1,0]
	s_waitcnt vmcnt(9)
	v_pk_fma_f32 v[114:115], v[64:65], v[78:79], v[62:63] op_sel:[0,0,1] op_sel_hi:[1,1,0] neg_lo:[0,0,1] neg_hi:[0,0,1]
	v_pk_fma_f32 v[62:63], v[64:65], v[78:79], v[62:63] op_sel:[0,0,1] op_sel_hi:[1,0,0]
	v_pk_add_f32 v[98:99], v[98:99], 0 op_sel_hi:[1,0]
	s_waitcnt vmcnt(8)
	v_pk_fma_f32 v[64:65], v[66:67], v[80:81], v[100:101] op_sel:[0,0,1] op_sel_hi:[1,1,0] neg_lo:[0,0,1] neg_hi:[0,0,1]
	v_pk_fma_f32 v[66:67], v[66:67], v[80:81], v[100:101] op_sel:[0,0,1] op_sel_hi:[1,0,0]
	v_mov_b32_e32 v115, v63
	s_waitcnt vmcnt(7)
	v_pk_fma_f32 v[78:79], v[68:69], v[82:83], v[102:103] op_sel:[0,0,1] op_sel_hi:[1,1,0] neg_lo:[0,0,1] neg_hi:[0,0,1]
	v_pk_fma_f32 v[68:69], v[68:69], v[82:83], v[102:103] op_sel:[0,0,1] op_sel_hi:[1,0,0]
	v_mov_b32_e32 v65, v67
	v_pk_add_f32 v[62:63], v[98:99], v[114:115]
	s_waitcnt vmcnt(6)
	v_pk_fma_f32 v[80:81], v[70:71], v[84:85], v[104:105] op_sel:[0,0,1] op_sel_hi:[1,1,0] neg_lo:[0,0,1] neg_hi:[0,0,1]
	v_pk_fma_f32 v[70:71], v[70:71], v[84:85], v[104:105] op_sel:[0,0,1] op_sel_hi:[1,0,0]
	v_mov_b32_e32 v79, v69
	v_pk_add_f32 v[62:63], v[62:63], v[64:65]
	;; [unrolled: 5-line block ×5, first 2 shown]
	v_pk_fma_f32 v[88:89], v[96:97], v[92:93], v[112:113] op_sel:[0,0,1] op_sel_hi:[1,1,0] neg_lo:[0,0,1] neg_hi:[0,0,1]
	v_pk_fma_f32 v[90:91], v[96:97], v[92:93], v[112:113] op_sel:[0,0,1] op_sel_hi:[1,0,0]
	v_mov_b32_e32 v87, v77
	v_pk_add_f32 v[62:63], v[62:63], v[84:85]
	v_mov_b32_e32 v89, v91
	v_pk_add_f32 v[62:63], v[62:63], v[86:87]
	v_pk_add_f32 v[62:63], v[62:63], v[88:89]
	s_waitcnt vmcnt(0)
	v_pk_add_f32 v[62:63], v[94:95], v[62:63] neg_lo:[0,1] neg_hi:[0,1]
	buffer_store_dword v62, off, s[0:3], 0 offset:152
	buffer_store_dword v63, off, s[0:3], 0 offset:156
	s_and_saveexec_b64 s[4:5], vcc
	s_cbranch_execz .LBB28_151
; %bb.150:
	buffer_load_dword v62, off, s[0:3], 0 offset:144
	buffer_load_dword v63, off, s[0:3], 0 offset:148
	s_waitcnt vmcnt(0)
	ds_write_b64 v1, v[62:63]
	buffer_store_dword v60, off, s[0:3], 0 offset:144
	buffer_store_dword v60, off, s[0:3], 0 offset:148
.LBB28_151:
	s_or_b64 exec, exec, s[4:5]
	s_waitcnt lgkmcnt(0)
	; wave barrier
	s_waitcnt lgkmcnt(0)
	buffer_load_dword v100, off, s[0:3], 0 offset:156
	buffer_load_dword v102, off, s[0:3], 0 offset:164
	;; [unrolled: 1-line block ×22, first 2 shown]
	ds_read2_b64 v[62:65], v60 offset0:49 offset1:50
	ds_read2_b64 v[66:69], v60 offset0:51 offset1:52
	;; [unrolled: 1-line block ×5, first 2 shown]
	v_cmp_lt_u32_e32 vcc, 17, v0
	s_waitcnt vmcnt(21) lgkmcnt(4)
	v_mul_f32_e32 v61, v62, v100
	s_waitcnt vmcnt(20)
	v_mul_f32_e32 v101, v64, v102
	v_mul_f32_e32 v60, v63, v100
	;; [unrolled: 1-line block ×3, first 2 shown]
	s_waitcnt vmcnt(19)
	v_mov_b32_e32 v102, v83
	s_waitcnt vmcnt(18)
	v_mov_b32_e32 v104, v85
	;; [unrolled: 2-line block ×5, first 2 shown]
	v_mov_b32_e32 v108, v89
	s_waitcnt vmcnt(11)
	v_fmac_f32_e32 v61, v63, v103
	v_fma_f32 v60, v62, v103, -v60
	s_waitcnt lgkmcnt(3)
	v_pk_mul_f32 v[62:63], v[66:67], v[102:103] op_sel_hi:[1,0]
	s_waitcnt vmcnt(10)
	v_fmac_f32_e32 v101, v65, v105
	v_fma_f32 v100, v64, v105, -v100
	v_pk_mul_f32 v[64:65], v[68:69], v[104:105] op_sel_hi:[1,0]
	s_waitcnt lgkmcnt(2)
	v_pk_mul_f32 v[102:103], v[70:71], v[106:107] op_sel_hi:[1,0]
	s_waitcnt lgkmcnt(1)
	;; [unrolled: 2-line block ×3, first 2 shown]
	v_pk_mul_f32 v[110:111], v[78:79], v[114:115] op_sel_hi:[1,0]
	v_pk_add_f32 v[60:61], v[60:61], 0 op_sel_hi:[1,0]
	s_waitcnt vmcnt(9)
	v_pk_fma_f32 v[114:115], v[66:67], v[82:83], v[62:63] op_sel:[0,0,1] op_sel_hi:[1,1,0] neg_lo:[0,0,1] neg_hi:[0,0,1]
	v_pk_fma_f32 v[62:63], v[66:67], v[82:83], v[62:63] op_sel:[0,0,1] op_sel_hi:[1,0,0]
	s_waitcnt vmcnt(8)
	v_pk_fma_f32 v[66:67], v[68:69], v[84:85], v[64:65] op_sel:[0,0,1] op_sel_hi:[1,1,0] neg_lo:[0,0,1] neg_hi:[0,0,1]
	v_pk_fma_f32 v[64:65], v[68:69], v[84:85], v[64:65] op_sel:[0,0,1] op_sel_hi:[1,0,0]
	v_pk_add_f32 v[60:61], v[60:61], v[100:101]
	v_mov_b32_e32 v115, v63
	v_pk_mul_f32 v[104:105], v[72:73], v[108:109] op_sel_hi:[1,0]
	s_waitcnt vmcnt(7)
	v_pk_fma_f32 v[68:69], v[70:71], v[86:87], v[102:103] op_sel:[0,0,1] op_sel_hi:[1,1,0] neg_lo:[0,0,1] neg_hi:[0,0,1]
	v_pk_fma_f32 v[70:71], v[70:71], v[86:87], v[102:103] op_sel:[0,0,1] op_sel_hi:[1,0,0]
	v_mov_b32_e32 v67, v65
	v_pk_add_f32 v[60:61], v[60:61], v[114:115]
	v_mov_b32_e32 v112, v93
	s_waitcnt vmcnt(6)
	v_pk_fma_f32 v[82:83], v[72:73], v[88:89], v[104:105] op_sel:[0,0,1] op_sel_hi:[1,1,0] neg_lo:[0,0,1] neg_hi:[0,0,1]
	v_pk_fma_f32 v[72:73], v[72:73], v[88:89], v[104:105] op_sel:[0,0,1] op_sel_hi:[1,0,0]
	v_mov_b32_e32 v69, v71
	v_pk_add_f32 v[60:61], v[60:61], v[66:67]
	v_pk_mul_f32 v[108:109], v[76:77], v[112:113] op_sel_hi:[1,0]
	s_waitcnt vmcnt(5)
	v_pk_fma_f32 v[84:85], v[74:75], v[90:91], v[106:107] op_sel:[0,0,1] op_sel_hi:[1,1,0] neg_lo:[0,0,1] neg_hi:[0,0,1]
	v_pk_fma_f32 v[74:75], v[74:75], v[90:91], v[106:107] op_sel:[0,0,1] op_sel_hi:[1,0,0]
	v_mov_b32_e32 v83, v73
	v_pk_add_f32 v[60:61], v[60:61], v[68:69]
	v_mov_b32_e32 v116, v97
	s_waitcnt vmcnt(2)
	v_pk_fma_f32 v[86:87], v[76:77], v[92:93], v[108:109] op_sel:[0,0,1] op_sel_hi:[1,1,0] neg_lo:[0,0,1] neg_hi:[0,0,1]
	v_pk_fma_f32 v[76:77], v[76:77], v[92:93], v[108:109] op_sel:[0,0,1] op_sel_hi:[1,0,0]
	v_mov_b32_e32 v85, v75
	v_pk_add_f32 v[60:61], v[60:61], v[82:83]
	v_pk_mul_f32 v[112:113], v[80:81], v[116:117] op_sel_hi:[1,0]
	v_pk_fma_f32 v[88:89], v[78:79], v[94:95], v[110:111] op_sel:[0,0,1] op_sel_hi:[1,1,0] neg_lo:[0,0,1] neg_hi:[0,0,1]
	v_pk_fma_f32 v[78:79], v[78:79], v[94:95], v[110:111] op_sel:[0,0,1] op_sel_hi:[1,0,0]
	v_mov_b32_e32 v87, v77
	v_pk_add_f32 v[60:61], v[60:61], v[84:85]
	v_pk_fma_f32 v[90:91], v[80:81], v[96:97], v[112:113] op_sel:[0,0,1] op_sel_hi:[1,1,0] neg_lo:[0,0,1] neg_hi:[0,0,1]
	v_pk_fma_f32 v[80:81], v[80:81], v[96:97], v[112:113] op_sel:[0,0,1] op_sel_hi:[1,0,0]
	v_mov_b32_e32 v89, v79
	v_pk_add_f32 v[60:61], v[60:61], v[86:87]
	v_mov_b32_e32 v91, v81
	v_pk_add_f32 v[60:61], v[60:61], v[88:89]
	v_pk_add_f32 v[60:61], v[60:61], v[90:91]
	s_waitcnt vmcnt(0)
	v_pk_add_f32 v[60:61], v[98:99], v[60:61] neg_lo:[0,1] neg_hi:[0,1]
	buffer_store_dword v60, off, s[0:3], 0 offset:144
	buffer_store_dword v61, off, s[0:3], 0 offset:148
	s_and_saveexec_b64 s[4:5], vcc
	s_cbranch_execz .LBB28_153
; %bb.152:
	buffer_load_dword v60, off, s[0:3], 0 offset:136
	buffer_load_dword v61, off, s[0:3], 0 offset:140
	v_mov_b32_e32 v62, 0
	buffer_store_dword v62, off, s[0:3], 0 offset:136
	buffer_store_dword v62, off, s[0:3], 0 offset:140
	s_waitcnt vmcnt(2)
	ds_write_b64 v1, v[60:61]
.LBB28_153:
	s_or_b64 exec, exec, s[4:5]
	s_waitcnt lgkmcnt(0)
	; wave barrier
	s_waitcnt lgkmcnt(0)
	buffer_load_dword v61, off, s[0:3], 0 offset:148
	buffer_load_dword v102, off, s[0:3], 0 offset:156
	;; [unrolled: 1-line block ×24, first 2 shown]
	v_mov_b32_e32 v60, 0
	ds_read_b128 v[62:65], v60 offset:384
	ds_read_b128 v[66:69], v60 offset:400
	;; [unrolled: 1-line block ×5, first 2 shown]
	ds_read_b64 v[100:101], v60 offset:464
	v_cmp_lt_u32_e32 vcc, 16, v0
	s_waitcnt vmcnt(23) lgkmcnt(5)
	v_mul_f32_e32 v115, v62, v61
	v_mul_f32_e32 v61, v63, v61
	s_waitcnt vmcnt(22)
	v_mul_f32_e32 v103, v64, v102
	s_waitcnt vmcnt(21) lgkmcnt(4)
	v_mul_f32_e32 v105, v66, v104
	v_mul_f32_e32 v102, v65, v102
	;; [unrolled: 1-line block ×3, first 2 shown]
	s_waitcnt vmcnt(20)
	v_mov_b32_e32 v106, v83
	s_waitcnt vmcnt(19)
	v_mov_b32_e32 v108, v85
	;; [unrolled: 2-line block ×5, first 2 shown]
	s_waitcnt vmcnt(12)
	v_fmac_f32_e32 v115, v63, v107
	v_fma_f32 v61, v62, v107, -v61
	v_mov_b32_e32 v116, v93
	s_waitcnt vmcnt(11)
	v_fmac_f32_e32 v103, v65, v109
	s_waitcnt vmcnt(10)
	v_fmac_f32_e32 v105, v67, v111
	v_fma_f32 v102, v64, v109, -v102
	v_fma_f32 v104, v66, v111, -v104
	v_pk_mul_f32 v[62:63], v[68:69], v[106:107] op_sel_hi:[1,0]
	s_waitcnt lgkmcnt(3)
	v_pk_mul_f32 v[64:65], v[70:71], v[108:109] op_sel_hi:[1,0]
	v_pk_mul_f32 v[66:67], v[72:73], v[110:111] op_sel_hi:[1,0]
	s_waitcnt lgkmcnt(2)
	v_pk_mul_f32 v[106:107], v[74:75], v[112:113] op_sel_hi:[1,0]
	v_pk_mul_f32 v[108:109], v[76:77], v[114:115] op_sel_hi:[1,0]
	v_add_f32_e32 v115, 0, v115
	v_add_f32_e32 v114, 0, v61
	s_waitcnt lgkmcnt(1)
	v_pk_mul_f32 v[110:111], v[78:79], v[116:117] op_sel_hi:[1,0]
	s_waitcnt vmcnt(9)
	v_pk_fma_f32 v[116:117], v[68:69], v[82:83], v[62:63] op_sel:[0,0,1] op_sel_hi:[1,1,0] neg_lo:[0,0,1] neg_hi:[0,0,1]
	v_pk_fma_f32 v[62:63], v[68:69], v[82:83], v[62:63] op_sel:[0,0,1] op_sel_hi:[1,0,0]
	s_waitcnt vmcnt(8)
	v_pk_fma_f32 v[68:69], v[70:71], v[84:85], v[64:65] op_sel:[0,0,1] op_sel_hi:[1,1,0] neg_lo:[0,0,1] neg_hi:[0,0,1]
	v_pk_fma_f32 v[64:65], v[70:71], v[84:85], v[64:65] op_sel:[0,0,1] op_sel_hi:[1,0,0]
	;; [unrolled: 3-line block ×4, first 2 shown]
	v_pk_add_f32 v[88:89], v[114:115], v[102:103]
	v_mov_b32_e32 v117, v63
	v_pk_add_f32 v[62:63], v[88:89], v[104:105]
	v_mov_b32_e32 v69, v65
	;; [unrolled: 2-line block ×4, first 2 shown]
	s_waitcnt vmcnt(2)
	v_pk_fma_f32 v[82:83], v[76:77], v[90:91], v[108:109] op_sel:[0,0,1] op_sel_hi:[1,1,0] neg_lo:[0,0,1] neg_hi:[0,0,1]
	v_pk_fma_f32 v[76:77], v[76:77], v[90:91], v[108:109] op_sel:[0,0,1] op_sel_hi:[1,0,0]
	v_mov_b32_e32 v73, v75
	v_pk_add_f32 v[62:63], v[62:63], v[70:71]
	v_mov_b32_e32 v120, v97
	v_pk_mul_f32 v[112:113], v[80:81], v[118:119] op_sel_hi:[1,0]
	v_pk_fma_f32 v[84:85], v[78:79], v[92:93], v[110:111] op_sel:[0,0,1] op_sel_hi:[1,1,0] neg_lo:[0,0,1] neg_hi:[0,0,1]
	v_pk_fma_f32 v[78:79], v[78:79], v[92:93], v[110:111] op_sel:[0,0,1] op_sel_hi:[1,0,0]
	v_mov_b32_e32 v83, v77
	v_pk_add_f32 v[62:63], v[62:63], v[72:73]
	v_pk_fma_f32 v[86:87], v[80:81], v[94:95], v[112:113] op_sel:[0,0,1] op_sel_hi:[1,1,0] neg_lo:[0,0,1] neg_hi:[0,0,1]
	v_pk_fma_f32 v[80:81], v[80:81], v[94:95], v[112:113] op_sel:[0,0,1] op_sel_hi:[1,0,0]
	v_mov_b32_e32 v85, v79
	v_pk_add_f32 v[62:63], v[62:63], v[82:83]
	s_waitcnt lgkmcnt(0)
	v_pk_mul_f32 v[64:65], v[100:101], v[120:121] op_sel_hi:[1,0]
	v_mov_b32_e32 v87, v81
	v_pk_add_f32 v[62:63], v[62:63], v[84:85]
	v_pk_fma_f32 v[66:67], v[100:101], v[96:97], v[64:65] op_sel:[0,0,1] op_sel_hi:[1,1,0] neg_lo:[0,0,1] neg_hi:[0,0,1]
	v_pk_fma_f32 v[64:65], v[100:101], v[96:97], v[64:65] op_sel:[0,0,1] op_sel_hi:[1,0,0]
	v_pk_add_f32 v[62:63], v[62:63], v[86:87]
	v_mov_b32_e32 v67, v65
	v_pk_add_f32 v[62:63], v[62:63], v[66:67]
	s_waitcnt vmcnt(0)
	v_pk_add_f32 v[62:63], v[98:99], v[62:63] neg_lo:[0,1] neg_hi:[0,1]
	buffer_store_dword v63, off, s[0:3], 0 offset:140
	buffer_store_dword v62, off, s[0:3], 0 offset:136
	s_and_saveexec_b64 s[4:5], vcc
	s_cbranch_execz .LBB28_155
; %bb.154:
	buffer_load_dword v62, off, s[0:3], 0 offset:128
	buffer_load_dword v63, off, s[0:3], 0 offset:132
	s_waitcnt vmcnt(0)
	ds_write_b64 v1, v[62:63]
	buffer_store_dword v60, off, s[0:3], 0 offset:128
	buffer_store_dword v60, off, s[0:3], 0 offset:132
.LBB28_155:
	s_or_b64 exec, exec, s[4:5]
	s_waitcnt lgkmcnt(0)
	; wave barrier
	s_waitcnt lgkmcnt(0)
	buffer_load_dword v104, off, s[0:3], 0 offset:140
	buffer_load_dword v106, off, s[0:3], 0 offset:148
	;; [unrolled: 1-line block ×26, first 2 shown]
	ds_read2_b64 v[62:65], v60 offset0:47 offset1:48
	ds_read2_b64 v[66:69], v60 offset0:49 offset1:50
	;; [unrolled: 1-line block ×6, first 2 shown]
	v_cmp_lt_u32_e32 vcc, 15, v0
	s_waitcnt vmcnt(25) lgkmcnt(5)
	v_mul_f32_e32 v117, v62, v104
	v_mul_f32_e32 v60, v63, v104
	s_waitcnt vmcnt(24)
	v_mul_f32_e32 v118, v64, v106
	s_waitcnt vmcnt(23) lgkmcnt(4)
	v_mul_f32_e32 v61, v66, v107
	s_waitcnt vmcnt(22)
	v_mul_f32_e32 v105, v68, v108
	v_mul_f32_e32 v104, v65, v106
	v_mul_f32_e32 v107, v67, v107
	v_mul_f32_e32 v119, v69, v108
	s_waitcnt vmcnt(21)
	v_mov_b32_e32 v106, v87
	s_waitcnt vmcnt(20)
	v_mov_b32_e32 v108, v89
	;; [unrolled: 2-line block ×3, first 2 shown]
	s_waitcnt vmcnt(15)
	v_fmac_f32_e32 v117, v63, v109
	v_fma_f32 v120, v62, v109, -v60
	v_mov_b32_e32 v110, v91
	s_waitcnt vmcnt(14)
	v_fmac_f32_e32 v118, v65, v111
	s_waitcnt vmcnt(13)
	v_fmac_f32_e32 v61, v67, v113
	;; [unrolled: 2-line block ×3, first 2 shown]
	v_fma_f32 v121, v64, v111, -v104
	v_fma_f32 v60, v66, v113, -v107
	;; [unrolled: 1-line block ×3, first 2 shown]
	s_waitcnt lgkmcnt(3)
	v_pk_mul_f32 v[62:63], v[70:71], v[106:107] op_sel_hi:[1,0]
	v_pk_mul_f32 v[64:65], v[72:73], v[108:109] op_sel_hi:[1,0]
	s_waitcnt lgkmcnt(2)
	v_pk_mul_f32 v[68:69], v[76:77], v[112:113] op_sel_hi:[1,0]
	v_add_f32_e32 v112, 0, v117
	v_add_f32_e32 v113, 0, v120
	v_pk_mul_f32 v[66:67], v[74:75], v[110:111] op_sel_hi:[1,0]
	s_waitcnt vmcnt(11)
	v_pk_fma_f32 v[110:111], v[70:71], v[86:87], v[62:63] op_sel:[0,0,1] op_sel_hi:[1,1,0] neg_lo:[0,0,1] neg_hi:[0,0,1]
	v_pk_fma_f32 v[62:63], v[70:71], v[86:87], v[62:63] op_sel:[0,0,1] op_sel_hi:[1,0,0]
	s_waitcnt vmcnt(10)
	v_pk_fma_f32 v[70:71], v[72:73], v[88:89], v[64:65] op_sel:[0,0,1] op_sel_hi:[1,1,0] neg_lo:[0,0,1] neg_hi:[0,0,1]
	v_pk_fma_f32 v[64:65], v[72:73], v[88:89], v[64:65] op_sel:[0,0,1] op_sel_hi:[1,0,0]
	v_add_f32_e32 v89, v112, v118
	v_add_f32_e32 v88, v113, v121
	v_pk_add_f32 v[60:61], v[88:89], v[60:61]
	v_mov_b32_e32 v111, v63
	v_pk_add_f32 v[60:61], v[60:61], v[104:105]
	v_mov_b32_e32 v114, v95
	s_waitcnt vmcnt(9)
	v_pk_fma_f32 v[72:73], v[74:75], v[90:91], v[66:67] op_sel:[0,0,1] op_sel_hi:[1,1,0] neg_lo:[0,0,1] neg_hi:[0,0,1]
	v_pk_fma_f32 v[66:67], v[74:75], v[90:91], v[66:67] op_sel:[0,0,1] op_sel_hi:[1,0,0]
	v_mov_b32_e32 v71, v65
	v_pk_add_f32 v[60:61], v[60:61], v[110:111]
	v_mov_b32_e32 v116, v97
	s_waitcnt lgkmcnt(1)
	v_pk_mul_f32 v[106:107], v[78:79], v[114:115] op_sel_hi:[1,0]
	s_waitcnt vmcnt(5)
	v_pk_fma_f32 v[74:75], v[76:77], v[92:93], v[68:69] op_sel:[0,0,1] op_sel_hi:[1,1,0] neg_lo:[0,0,1] neg_hi:[0,0,1]
	v_pk_fma_f32 v[68:69], v[76:77], v[92:93], v[68:69] op_sel:[0,0,1] op_sel_hi:[1,0,0]
	v_mov_b32_e32 v73, v67
	v_pk_add_f32 v[60:61], v[60:61], v[70:71]
	s_waitcnt vmcnt(4)
	v_mov_b32_e32 v62, v99
	v_pk_mul_f32 v[108:109], v[80:81], v[116:117] op_sel_hi:[1,0]
	v_pk_fma_f32 v[76:77], v[78:79], v[94:95], v[106:107] op_sel:[0,0,1] op_sel_hi:[1,1,0] neg_lo:[0,0,1] neg_hi:[0,0,1]
	v_pk_fma_f32 v[78:79], v[78:79], v[94:95], v[106:107] op_sel:[0,0,1] op_sel_hi:[1,0,0]
	v_mov_b32_e32 v75, v69
	v_pk_add_f32 v[60:61], v[60:61], v[72:73]
	s_waitcnt lgkmcnt(0)
	v_pk_mul_f32 v[62:63], v[82:83], v[62:63] op_sel_hi:[1,0]
	v_pk_fma_f32 v[86:87], v[80:81], v[96:97], v[108:109] op_sel:[0,0,1] op_sel_hi:[1,1,0] neg_lo:[0,0,1] neg_hi:[0,0,1]
	v_pk_fma_f32 v[80:81], v[80:81], v[96:97], v[108:109] op_sel:[0,0,1] op_sel_hi:[1,0,0]
	v_mov_b32_e32 v77, v79
	v_pk_add_f32 v[60:61], v[60:61], v[74:75]
	v_pk_fma_f32 v[64:65], v[82:83], v[98:99], v[62:63] op_sel:[0,0,1] op_sel_hi:[1,1,0] neg_lo:[0,0,1] neg_hi:[0,0,1]
	v_pk_fma_f32 v[62:63], v[82:83], v[98:99], v[62:63] op_sel:[0,0,1] op_sel_hi:[1,0,0]
	v_mov_b32_e32 v87, v81
	v_pk_add_f32 v[60:61], v[60:61], v[76:77]
	s_waitcnt vmcnt(3)
	v_mov_b32_e32 v62, v101
	v_pk_add_f32 v[60:61], v[60:61], v[86:87]
	v_mov_b32_e32 v65, v63
	v_pk_mul_f32 v[62:63], v[84:85], v[62:63] op_sel_hi:[1,0]
	v_pk_add_f32 v[60:61], v[60:61], v[64:65]
	s_waitcnt vmcnt(2)
	v_pk_fma_f32 v[64:65], v[84:85], v[100:101], v[62:63] op_sel:[0,0,1] op_sel_hi:[1,1,0] neg_lo:[0,0,1] neg_hi:[0,0,1]
	v_pk_fma_f32 v[62:63], v[84:85], v[100:101], v[62:63] op_sel:[0,0,1] op_sel_hi:[1,0,0]
	v_mov_b32_e32 v65, v63
	v_pk_add_f32 v[60:61], v[60:61], v[64:65]
	s_waitcnt vmcnt(0)
	v_pk_add_f32 v[60:61], v[102:103], v[60:61] neg_lo:[0,1] neg_hi:[0,1]
	buffer_store_dword v61, off, s[0:3], 0 offset:132
	buffer_store_dword v60, off, s[0:3], 0 offset:128
	s_and_saveexec_b64 s[4:5], vcc
	s_cbranch_execz .LBB28_157
; %bb.156:
	buffer_load_dword v60, off, s[0:3], 0 offset:120
	buffer_load_dword v61, off, s[0:3], 0 offset:124
	v_mov_b32_e32 v62, 0
	buffer_store_dword v62, off, s[0:3], 0 offset:120
	buffer_store_dword v62, off, s[0:3], 0 offset:124
	s_waitcnt vmcnt(2)
	ds_write_b64 v1, v[60:61]
.LBB28_157:
	s_or_b64 exec, exec, s[4:5]
	s_waitcnt lgkmcnt(0)
	; wave barrier
	s_waitcnt lgkmcnt(0)
	buffer_load_dword v61, off, s[0:3], 0 offset:132
	buffer_load_dword v106, off, s[0:3], 0 offset:140
	buffer_load_dword v108, off, s[0:3], 0 offset:148
	buffer_load_dword v110, off, s[0:3], 0 offset:156
	buffer_load_dword v111, off, s[0:3], 0 offset:164
	buffer_load_dword v87, off, s[0:3], 0 offset:172
	buffer_load_dword v89, off, s[0:3], 0 offset:180
	buffer_load_dword v91, off, s[0:3], 0 offset:188
	buffer_load_dword v93, off, s[0:3], 0 offset:196
	buffer_load_dword v95, off, s[0:3], 0 offset:204
	buffer_load_dword v113, off, s[0:3], 0 offset:128
	buffer_load_dword v115, off, s[0:3], 0 offset:136
	buffer_load_dword v117, off, s[0:3], 0 offset:144
	buffer_load_dword v119, off, s[0:3], 0 offset:152
	buffer_load_dword v120, off, s[0:3], 0 offset:160
	buffer_load_dword v86, off, s[0:3], 0 offset:168
	buffer_load_dword v88, off, s[0:3], 0 offset:176
	buffer_load_dword v96, off, s[0:3], 0 offset:208
	buffer_load_dword v94, off, s[0:3], 0 offset:200
	buffer_load_dword v92, off, s[0:3], 0 offset:192
	buffer_load_dword v90, off, s[0:3], 0 offset:184
	buffer_load_dword v97, off, s[0:3], 0 offset:212
	buffer_load_dword v99, off, s[0:3], 0 offset:220
	buffer_load_dword v100, off, s[0:3], 0 offset:224
	buffer_load_dword v98, off, s[0:3], 0 offset:216
	buffer_load_dword v101, off, s[0:3], 0 offset:228
	buffer_load_dword v102, off, s[0:3], 0 offset:120
	buffer_load_dword v103, off, s[0:3], 0 offset:124
	v_mov_b32_e32 v60, 0
	ds_read_b128 v[62:65], v60 offset:368
	ds_read_b128 v[66:69], v60 offset:384
	ds_read_b128 v[70:73], v60 offset:400
	ds_read_b128 v[74:77], v60 offset:416
	ds_read_b128 v[78:81], v60 offset:432
	ds_read_b128 v[82:85], v60 offset:448
	ds_read_b64 v[104:105], v60 offset:464
	v_cmp_lt_u32_e32 vcc, 14, v0
	s_waitcnt vmcnt(27) lgkmcnt(6)
	v_mul_f32_e32 v121, v62, v61
	v_mul_f32_e32 v61, v63, v61
	s_waitcnt vmcnt(26)
	v_mul_f32_e32 v122, v64, v106
	s_waitcnt vmcnt(24) lgkmcnt(5)
	v_mul_f32_e32 v107, v68, v110
	s_waitcnt vmcnt(23) lgkmcnt(4)
	v_mul_f32_e32 v109, v70, v111
	v_mul_f32_e32 v124, v69, v110
	;; [unrolled: 1-line block ×3, first 2 shown]
	s_waitcnt vmcnt(22)
	v_mov_b32_e32 v110, v87
	v_mul_f32_e32 v123, v66, v108
	v_mul_f32_e32 v106, v65, v106
	;; [unrolled: 1-line block ×3, first 2 shown]
	s_waitcnt vmcnt(17)
	v_fmac_f32_e32 v121, v63, v113
	v_fma_f32 v61, v62, v113, -v61
	v_pk_mul_f32 v[62:63], v[72:73], v[110:111] op_sel_hi:[1,0]
	s_waitcnt vmcnt(16)
	v_fmac_f32_e32 v122, v65, v115
	s_waitcnt vmcnt(13)
	v_fmac_f32_e32 v109, v71, v120
	v_fma_f32 v113, v64, v115, -v106
	v_fma_f32 v115, v66, v117, -v108
	;; [unrolled: 1-line block ×3, first 2 shown]
	v_add_f32_e32 v110, 0, v121
	v_add_f32_e32 v61, 0, v61
	s_waitcnt vmcnt(12)
	v_pk_fma_f32 v[70:71], v[72:73], v[86:87], v[62:63] op_sel:[0,0,1] op_sel_hi:[1,1,0] neg_lo:[0,0,1] neg_hi:[0,0,1]
	v_pk_fma_f32 v[62:63], v[72:73], v[86:87], v[62:63] op_sel:[0,0,1] op_sel_hi:[1,0,0]
	v_fmac_f32_e32 v123, v67, v117
	v_add_f32_e32 v62, v110, v122
	v_add_f32_e32 v61, v61, v113
	v_mov_b32_e32 v112, v89
	v_fmac_f32_e32 v107, v69, v119
	v_fma_f32 v106, v68, v119, -v124
	v_mov_b32_e32 v71, v63
	v_add_f32_e32 v63, v62, v123
	v_add_f32_e32 v62, v61, v115
	v_mov_b32_e32 v114, v91
	s_waitcnt lgkmcnt(3)
	v_pk_mul_f32 v[64:65], v[74:75], v[112:113] op_sel_hi:[1,0]
	v_pk_add_f32 v[62:63], v[62:63], v[106:107]
	v_mov_b32_e32 v116, v93
	v_mov_b32_e32 v118, v95
	v_pk_mul_f32 v[66:67], v[76:77], v[114:115] op_sel_hi:[1,0]
	s_waitcnt vmcnt(11)
	v_pk_fma_f32 v[72:73], v[74:75], v[88:89], v[64:65] op_sel:[0,0,1] op_sel_hi:[1,1,0] neg_lo:[0,0,1] neg_hi:[0,0,1]
	v_pk_fma_f32 v[64:65], v[74:75], v[88:89], v[64:65] op_sel:[0,0,1] op_sel_hi:[1,0,0]
	v_pk_add_f32 v[62:63], v[62:63], v[108:109]
	s_waitcnt lgkmcnt(2)
	v_pk_mul_f32 v[68:69], v[78:79], v[116:117] op_sel_hi:[1,0]
	s_waitcnt vmcnt(7)
	v_pk_fma_f32 v[74:75], v[76:77], v[90:91], v[66:67] op_sel:[0,0,1] op_sel_hi:[1,1,0] neg_lo:[0,0,1] neg_hi:[0,0,1]
	v_pk_fma_f32 v[66:67], v[76:77], v[90:91], v[66:67] op_sel:[0,0,1] op_sel_hi:[1,0,0]
	v_mov_b32_e32 v73, v65
	v_pk_add_f32 v[62:63], v[62:63], v[70:71]
	v_pk_mul_f32 v[64:65], v[80:81], v[118:119] op_sel_hi:[1,0]
	v_pk_fma_f32 v[76:77], v[78:79], v[92:93], v[68:69] op_sel:[0,0,1] op_sel_hi:[1,1,0] neg_lo:[0,0,1] neg_hi:[0,0,1]
	v_pk_fma_f32 v[68:69], v[78:79], v[92:93], v[68:69] op_sel:[0,0,1] op_sel_hi:[1,0,0]
	v_mov_b32_e32 v75, v67
	v_pk_add_f32 v[62:63], v[62:63], v[72:73]
	v_pk_fma_f32 v[66:67], v[80:81], v[94:95], v[64:65] op_sel:[0,0,1] op_sel_hi:[1,1,0] neg_lo:[0,0,1] neg_hi:[0,0,1]
	v_pk_fma_f32 v[64:65], v[80:81], v[94:95], v[64:65] op_sel:[0,0,1] op_sel_hi:[1,0,0]
	v_mov_b32_e32 v77, v69
	v_pk_add_f32 v[62:63], v[62:63], v[74:75]
	s_waitcnt vmcnt(6)
	v_mov_b32_e32 v64, v97
	v_pk_add_f32 v[62:63], v[62:63], v[76:77]
	v_mov_b32_e32 v67, v65
	s_waitcnt lgkmcnt(1)
	v_pk_mul_f32 v[64:65], v[82:83], v[64:65] op_sel_hi:[1,0]
	v_pk_add_f32 v[62:63], v[62:63], v[66:67]
	v_pk_fma_f32 v[66:67], v[82:83], v[96:97], v[64:65] op_sel:[0,0,1] op_sel_hi:[1,1,0] neg_lo:[0,0,1] neg_hi:[0,0,1]
	v_pk_fma_f32 v[64:65], v[82:83], v[96:97], v[64:65] op_sel:[0,0,1] op_sel_hi:[1,0,0]
	s_waitcnt vmcnt(5)
	v_mov_b32_e32 v64, v99
	v_mov_b32_e32 v67, v65
	v_pk_mul_f32 v[64:65], v[84:85], v[64:65] op_sel_hi:[1,0]
	v_pk_add_f32 v[62:63], v[62:63], v[66:67]
	s_waitcnt vmcnt(3)
	v_pk_fma_f32 v[66:67], v[84:85], v[98:99], v[64:65] op_sel:[0,0,1] op_sel_hi:[1,1,0] neg_lo:[0,0,1] neg_hi:[0,0,1]
	v_pk_fma_f32 v[64:65], v[84:85], v[98:99], v[64:65] op_sel:[0,0,1] op_sel_hi:[1,0,0]
	s_waitcnt vmcnt(2)
	v_mov_b32_e32 v64, v101
	v_mov_b32_e32 v67, v65
	s_waitcnt lgkmcnt(0)
	v_pk_mul_f32 v[64:65], v[104:105], v[64:65] op_sel_hi:[1,0]
	v_pk_add_f32 v[62:63], v[62:63], v[66:67]
	v_pk_fma_f32 v[66:67], v[104:105], v[100:101], v[64:65] op_sel:[0,0,1] op_sel_hi:[1,1,0] neg_lo:[0,0,1] neg_hi:[0,0,1]
	v_pk_fma_f32 v[64:65], v[104:105], v[100:101], v[64:65] op_sel:[0,0,1] op_sel_hi:[1,0,0]
	v_mov_b32_e32 v67, v65
	v_pk_add_f32 v[62:63], v[62:63], v[66:67]
	s_waitcnt vmcnt(0)
	v_pk_add_f32 v[62:63], v[102:103], v[62:63] neg_lo:[0,1] neg_hi:[0,1]
	buffer_store_dword v63, off, s[0:3], 0 offset:124
	buffer_store_dword v62, off, s[0:3], 0 offset:120
	s_and_saveexec_b64 s[4:5], vcc
	s_cbranch_execz .LBB28_159
; %bb.158:
	buffer_load_dword v62, off, s[0:3], 0 offset:112
	buffer_load_dword v63, off, s[0:3], 0 offset:116
	s_waitcnt vmcnt(0)
	ds_write_b64 v1, v[62:63]
	buffer_store_dword v60, off, s[0:3], 0 offset:112
	buffer_store_dword v60, off, s[0:3], 0 offset:116
.LBB28_159:
	s_or_b64 exec, exec, s[4:5]
	s_waitcnt lgkmcnt(0)
	; wave barrier
	s_waitcnt lgkmcnt(0)
	buffer_load_dword v108, off, s[0:3], 0 offset:124
	buffer_load_dword v110, off, s[0:3], 0 offset:132
	;; [unrolled: 1-line block ×30, first 2 shown]
	ds_read2_b64 v[62:65], v60 offset0:45 offset1:46
	ds_read2_b64 v[66:69], v60 offset0:47 offset1:48
	;; [unrolled: 1-line block ×7, first 2 shown]
	v_cmp_lt_u32_e32 vcc, 13, v0
	s_waitcnt vmcnt(29) lgkmcnt(6)
	v_mul_f32_e32 v121, v62, v108
	s_waitcnt vmcnt(28)
	v_mul_f32_e32 v122, v64, v110
	s_waitcnt vmcnt(27) lgkmcnt(5)
	v_mul_f32_e32 v123, v66, v111
	v_mul_f32_e32 v111, v67, v111
	s_waitcnt vmcnt(26)
	v_mul_f32_e32 v124, v68, v112
	s_waitcnt vmcnt(25) lgkmcnt(4)
	v_mul_f32_e32 v61, v70, v113
	v_mul_f32_e32 v60, v63, v108
	;; [unrolled: 1-line block ×5, first 2 shown]
	s_waitcnt vmcnt(23)
	v_mov_b32_e32 v110, v91
	s_waitcnt vmcnt(22)
	v_mov_b32_e32 v112, v93
	s_waitcnt vmcnt(18)
	v_fma_f32 v111, v66, v117, -v111
	v_fmac_f32_e32 v121, v63, v115
	v_fmac_f32_e32 v122, v65, v116
	s_waitcnt vmcnt(17)
	v_fmac_f32_e32 v124, v69, v118
	v_fma_f32 v69, v62, v115, -v60
	v_fma_f32 v115, v64, v116, -v108
	s_waitcnt lgkmcnt(3)
	v_pk_mul_f32 v[62:63], v[74:75], v[110:111] op_sel_hi:[1,0]
	v_pk_mul_f32 v[64:65], v[76:77], v[112:113] op_sel_hi:[1,0]
	s_waitcnt vmcnt(16)
	v_fmac_f32_e32 v61, v71, v119
	v_fma_f32 v116, v68, v118, -v125
	v_fma_f32 v60, v70, v119, -v113
	v_add_f32_e32 v110, 0, v121
	v_add_f32_e32 v112, 0, v69
	s_waitcnt vmcnt(14)
	v_pk_fma_f32 v[68:69], v[74:75], v[90:91], v[62:63] op_sel:[0,0,1] op_sel_hi:[1,1,0] neg_lo:[0,0,1] neg_hi:[0,0,1]
	v_pk_fma_f32 v[62:63], v[74:75], v[90:91], v[62:63] op_sel:[0,0,1] op_sel_hi:[1,0,0]
	s_waitcnt vmcnt(10)
	v_pk_fma_f32 v[70:71], v[76:77], v[92:93], v[64:65] op_sel:[0,0,1] op_sel_hi:[1,1,0] neg_lo:[0,0,1] neg_hi:[0,0,1]
	v_pk_fma_f32 v[64:65], v[76:77], v[92:93], v[64:65] op_sel:[0,0,1] op_sel_hi:[1,0,0]
	v_fmac_f32_e32 v123, v67, v117
	v_add_f32_e32 v62, v110, v122
	v_add_f32_e32 v64, v112, v115
	;; [unrolled: 1-line block ×4, first 2 shown]
	v_mul_f32_e32 v109, v72, v114
	v_mul_f32_e32 v126, v73, v114
	v_mov_b32_e32 v69, v63
	v_add_f32_e32 v63, v62, v124
	v_add_f32_e32 v62, v64, v116
	v_mov_b32_e32 v114, v95
	v_fmac_f32_e32 v109, v73, v120
	v_fma_f32 v108, v72, v120, -v126
	v_pk_add_f32 v[60:61], v[62:63], v[60:61]
	s_waitcnt vmcnt(9)
	v_mov_b32_e32 v62, v99
	s_waitcnt lgkmcnt(2)
	v_pk_mul_f32 v[66:67], v[78:79], v[114:115] op_sel_hi:[1,0]
	v_pk_add_f32 v[60:61], v[60:61], v[108:109]
	v_pk_mul_f32 v[62:63], v[80:81], v[62:63] op_sel_hi:[1,0]
	v_pk_fma_f32 v[72:73], v[78:79], v[94:95], v[66:67] op_sel:[0,0,1] op_sel_hi:[1,1,0] neg_lo:[0,0,1] neg_hi:[0,0,1]
	v_pk_fma_f32 v[66:67], v[78:79], v[94:95], v[66:67] op_sel:[0,0,1] op_sel_hi:[1,0,0]
	v_mov_b32_e32 v71, v65
	v_pk_add_f32 v[60:61], v[60:61], v[68:69]
	v_pk_fma_f32 v[64:65], v[80:81], v[98:99], v[62:63] op_sel:[0,0,1] op_sel_hi:[1,1,0] neg_lo:[0,0,1] neg_hi:[0,0,1]
	v_pk_fma_f32 v[62:63], v[80:81], v[98:99], v[62:63] op_sel:[0,0,1] op_sel_hi:[1,0,0]
	v_mov_b32_e32 v73, v67
	v_pk_add_f32 v[60:61], v[60:61], v[70:71]
	s_waitcnt vmcnt(8)
	v_mov_b32_e32 v62, v97
	v_pk_add_f32 v[60:61], v[60:61], v[72:73]
	v_mov_b32_e32 v65, v63
	s_waitcnt lgkmcnt(1)
	v_pk_mul_f32 v[62:63], v[82:83], v[62:63] op_sel_hi:[1,0]
	v_pk_add_f32 v[60:61], v[60:61], v[64:65]
	v_pk_fma_f32 v[64:65], v[82:83], v[96:97], v[62:63] op_sel:[0,0,1] op_sel_hi:[1,1,0] neg_lo:[0,0,1] neg_hi:[0,0,1]
	v_pk_fma_f32 v[62:63], v[82:83], v[96:97], v[62:63] op_sel:[0,0,1] op_sel_hi:[1,0,0]
	s_waitcnt vmcnt(7)
	v_mov_b32_e32 v62, v101
	v_mov_b32_e32 v65, v63
	v_pk_mul_f32 v[62:63], v[84:85], v[62:63] op_sel_hi:[1,0]
	v_pk_add_f32 v[60:61], v[60:61], v[64:65]
	s_waitcnt vmcnt(4)
	v_pk_fma_f32 v[64:65], v[84:85], v[100:101], v[62:63] op_sel:[0,0,1] op_sel_hi:[1,1,0] neg_lo:[0,0,1] neg_hi:[0,0,1]
	v_pk_fma_f32 v[62:63], v[84:85], v[100:101], v[62:63] op_sel:[0,0,1] op_sel_hi:[1,0,0]
	s_waitcnt vmcnt(3)
	v_mov_b32_e32 v62, v105
	v_mov_b32_e32 v65, v63
	s_waitcnt lgkmcnt(0)
	v_pk_mul_f32 v[62:63], v[86:87], v[62:63] op_sel_hi:[1,0]
	v_pk_add_f32 v[60:61], v[60:61], v[64:65]
	v_pk_fma_f32 v[64:65], v[86:87], v[104:105], v[62:63] op_sel:[0,0,1] op_sel_hi:[1,1,0] neg_lo:[0,0,1] neg_hi:[0,0,1]
	v_pk_fma_f32 v[62:63], v[86:87], v[104:105], v[62:63] op_sel:[0,0,1] op_sel_hi:[1,0,0]
	s_waitcnt vmcnt(0)
	v_mov_b32_e32 v62, v103
	v_mov_b32_e32 v65, v63
	v_pk_mul_f32 v[62:63], v[88:89], v[62:63] op_sel_hi:[1,0]
	v_pk_add_f32 v[60:61], v[60:61], v[64:65]
	v_pk_fma_f32 v[64:65], v[88:89], v[102:103], v[62:63] op_sel:[0,0,1] op_sel_hi:[1,1,0] neg_lo:[0,0,1] neg_hi:[0,0,1]
	v_pk_fma_f32 v[62:63], v[88:89], v[102:103], v[62:63] op_sel:[0,0,1] op_sel_hi:[1,0,0]
	v_mov_b32_e32 v65, v63
	v_pk_add_f32 v[60:61], v[60:61], v[64:65]
	v_pk_add_f32 v[60:61], v[106:107], v[60:61] neg_lo:[0,1] neg_hi:[0,1]
	buffer_store_dword v61, off, s[0:3], 0 offset:116
	buffer_store_dword v60, off, s[0:3], 0 offset:112
	s_and_saveexec_b64 s[4:5], vcc
	s_cbranch_execz .LBB28_161
; %bb.160:
	buffer_load_dword v60, off, s[0:3], 0 offset:104
	buffer_load_dword v61, off, s[0:3], 0 offset:108
	v_mov_b32_e32 v62, 0
	buffer_store_dword v62, off, s[0:3], 0 offset:104
	buffer_store_dword v62, off, s[0:3], 0 offset:108
	s_waitcnt vmcnt(2)
	ds_write_b64 v1, v[60:61]
.LBB28_161:
	s_or_b64 exec, exec, s[4:5]
	v_mov_b32_e32 v62, 0
	s_waitcnt lgkmcnt(0)
	; wave barrier
	s_waitcnt lgkmcnt(0)
	ds_read_b128 v[64:67], v62 offset:352
	ds_read_b128 v[68:71], v62 offset:368
	ds_read_b128 v[72:75], v62 offset:384
	ds_read_b128 v[76:79], v62 offset:400
	buffer_load_dword v60, off, s[0:3], 0 offset:104
	buffer_load_dword v61, off, s[0:3], 0 offset:108
	;; [unrolled: 1-line block ×32, first 2 shown]
	v_cmp_lt_u32_e32 vcc, 12, v0
	s_waitcnt vmcnt(28) lgkmcnt(3)
	v_mul_f32_e32 v81, v64, v80
	v_fmac_f32_e32 v81, v65, v63
	v_mul_f32_e32 v65, v65, v80
	s_waitcnt vmcnt(26)
	v_mul_f32_e32 v83, v66, v84
	v_fma_f32 v63, v64, v63, -v65
	v_mul_f32_e32 v64, v67, v84
	v_add_f32_e32 v81, 0, v81
	v_fmac_f32_e32 v83, v67, v82
	v_add_f32_e32 v63, 0, v63
	v_fma_f32 v64, v66, v82, -v64
	v_add_f32_e32 v81, v81, v83
	s_waitcnt vmcnt(24) lgkmcnt(2)
	v_mul_f32_e32 v83, v68, v103
	v_add_f32_e32 v63, v63, v64
	v_mul_f32_e32 v64, v69, v103
	v_fmac_f32_e32 v83, v69, v102
	v_fma_f32 v64, v68, v102, -v64
	v_add_f32_e32 v81, v81, v83
	s_waitcnt vmcnt(22)
	v_mul_f32_e32 v83, v70, v105
	v_add_f32_e32 v63, v63, v64
	v_mul_f32_e32 v64, v71, v105
	v_fmac_f32_e32 v83, v71, v104
	v_fma_f32 v64, v70, v104, -v64
	v_add_f32_e32 v81, v81, v83
	s_waitcnt vmcnt(20) lgkmcnt(1)
	v_mul_f32_e32 v83, v72, v107
	v_add_f32_e32 v63, v63, v64
	v_mul_f32_e32 v64, v73, v107
	v_fmac_f32_e32 v83, v73, v106
	v_fma_f32 v64, v72, v106, -v64
	v_add_f32_e32 v81, v81, v83
	s_waitcnt vmcnt(18)
	v_mul_f32_e32 v83, v74, v109
	v_add_f32_e32 v80, v63, v64
	v_mul_f32_e32 v63, v75, v109
	v_fmac_f32_e32 v83, v75, v108
	v_fma_f32 v82, v74, v108, -v63
	s_waitcnt vmcnt(16) lgkmcnt(0)
	v_mul_f32_e32 v85, v76, v111
	v_mul_f32_e32 v63, v77, v111
	v_pk_add_f32 v[80:81], v[80:81], v[82:83]
	s_waitcnt vmcnt(15)
	v_mov_b32_e32 v82, v87
	v_fmac_f32_e32 v85, v77, v110
	v_fma_f32 v84, v76, v110, -v63
	v_pk_mul_f32 v[82:83], v[78:79], v[82:83] op_sel_hi:[1,0]
	v_pk_add_f32 v[80:81], v[80:81], v[84:85]
	s_waitcnt vmcnt(14)
	v_pk_fma_f32 v[84:85], v[78:79], v[86:87], v[82:83] op_sel:[0,0,1] op_sel_hi:[1,1,0] neg_lo:[0,0,1] neg_hi:[0,0,1]
	v_pk_fma_f32 v[78:79], v[78:79], v[86:87], v[82:83] op_sel:[0,0,1] op_sel_hi:[1,0,0]
	ds_read_b128 v[64:67], v62 offset:416
	ds_read_b128 v[68:71], v62 offset:432
	;; [unrolled: 1-line block ×3, first 2 shown]
	ds_read_b64 v[76:77], v62 offset:464
	v_mov_b32_e32 v85, v79
	v_pk_add_f32 v[78:79], v[80:81], v[84:85]
	s_waitcnt vmcnt(13)
	v_mov_b32_e32 v80, v89
	s_waitcnt lgkmcnt(3)
	v_pk_mul_f32 v[80:81], v[64:65], v[80:81] op_sel_hi:[1,0]
	s_waitcnt vmcnt(12)
	v_pk_fma_f32 v[82:83], v[64:65], v[88:89], v[80:81] op_sel:[0,0,1] op_sel_hi:[1,1,0] neg_lo:[0,0,1] neg_hi:[0,0,1]
	v_pk_fma_f32 v[64:65], v[64:65], v[88:89], v[80:81] op_sel:[0,0,1] op_sel_hi:[1,0,0]
	v_mov_b32_e32 v83, v65
	v_pk_add_f32 v[64:65], v[78:79], v[82:83]
	s_waitcnt vmcnt(11)
	v_mov_b32_e32 v78, v91
	v_pk_mul_f32 v[78:79], v[66:67], v[78:79] op_sel_hi:[1,0]
	s_waitcnt vmcnt(10)
	v_pk_fma_f32 v[80:81], v[66:67], v[90:91], v[78:79] op_sel:[0,0,1] op_sel_hi:[1,1,0] neg_lo:[0,0,1] neg_hi:[0,0,1]
	v_pk_fma_f32 v[66:67], v[66:67], v[90:91], v[78:79] op_sel:[0,0,1] op_sel_hi:[1,0,0]
	s_waitcnt vmcnt(9)
	v_mov_b32_e32 v66, v93
	v_mov_b32_e32 v81, v67
	s_waitcnt lgkmcnt(2)
	v_pk_mul_f32 v[66:67], v[68:69], v[66:67] op_sel_hi:[1,0]
	s_waitcnt vmcnt(8)
	v_pk_fma_f32 v[78:79], v[68:69], v[92:93], v[66:67] op_sel:[0,0,1] op_sel_hi:[1,1,0] neg_lo:[0,0,1] neg_hi:[0,0,1]
	v_pk_fma_f32 v[66:67], v[68:69], v[92:93], v[66:67] op_sel:[0,0,1] op_sel_hi:[1,0,0]
	s_waitcnt vmcnt(7)
	v_mov_b32_e32 v66, v95
	v_mov_b32_e32 v79, v67
	v_pk_mul_f32 v[66:67], v[70:71], v[66:67] op_sel_hi:[1,0]
	s_waitcnt vmcnt(6)
	v_pk_fma_f32 v[68:69], v[70:71], v[94:95], v[66:67] op_sel:[0,0,1] op_sel_hi:[1,1,0] neg_lo:[0,0,1] neg_hi:[0,0,1]
	v_pk_fma_f32 v[66:67], v[70:71], v[94:95], v[66:67] op_sel:[0,0,1] op_sel_hi:[1,0,0]
	v_pk_add_f32 v[64:65], v[64:65], v[80:81]
	s_waitcnt vmcnt(5)
	v_mov_b32_e32 v66, v97
	v_pk_add_f32 v[64:65], v[64:65], v[78:79]
	v_mov_b32_e32 v69, v67
	s_waitcnt lgkmcnt(1)
	v_pk_mul_f32 v[66:67], v[72:73], v[66:67] op_sel_hi:[1,0]
	v_pk_add_f32 v[64:65], v[64:65], v[68:69]
	s_waitcnt vmcnt(4)
	v_pk_fma_f32 v[68:69], v[72:73], v[96:97], v[66:67] op_sel:[0,0,1] op_sel_hi:[1,1,0] neg_lo:[0,0,1] neg_hi:[0,0,1]
	v_pk_fma_f32 v[66:67], v[72:73], v[96:97], v[66:67] op_sel:[0,0,1] op_sel_hi:[1,0,0]
	s_waitcnt vmcnt(3)
	v_mov_b32_e32 v66, v99
	v_mov_b32_e32 v69, v67
	v_pk_mul_f32 v[66:67], v[74:75], v[66:67] op_sel_hi:[1,0]
	v_pk_add_f32 v[64:65], v[64:65], v[68:69]
	s_waitcnt vmcnt(2)
	v_pk_fma_f32 v[68:69], v[74:75], v[98:99], v[66:67] op_sel:[0,0,1] op_sel_hi:[1,1,0] neg_lo:[0,0,1] neg_hi:[0,0,1]
	v_pk_fma_f32 v[66:67], v[74:75], v[98:99], v[66:67] op_sel:[0,0,1] op_sel_hi:[1,0,0]
	s_waitcnt vmcnt(1)
	v_mov_b32_e32 v66, v101
	v_mov_b32_e32 v69, v67
	s_waitcnt lgkmcnt(0)
	v_pk_mul_f32 v[66:67], v[76:77], v[66:67] op_sel_hi:[1,0]
	v_pk_add_f32 v[64:65], v[64:65], v[68:69]
	s_waitcnt vmcnt(0)
	v_pk_fma_f32 v[68:69], v[76:77], v[100:101], v[66:67] op_sel:[0,0,1] op_sel_hi:[1,1,0] neg_lo:[0,0,1] neg_hi:[0,0,1]
	v_pk_fma_f32 v[66:67], v[76:77], v[100:101], v[66:67] op_sel:[0,0,1] op_sel_hi:[1,0,0]
	v_mov_b32_e32 v69, v67
	v_pk_add_f32 v[64:65], v[64:65], v[68:69]
	v_pk_add_f32 v[60:61], v[60:61], v[64:65] neg_lo:[0,1] neg_hi:[0,1]
	buffer_store_dword v61, off, s[0:3], 0 offset:108
	buffer_store_dword v60, off, s[0:3], 0 offset:104
	s_and_saveexec_b64 s[4:5], vcc
	s_cbranch_execz .LBB28_163
; %bb.162:
	buffer_load_dword v60, off, s[0:3], 0 offset:96
	buffer_load_dword v61, off, s[0:3], 0 offset:100
	s_waitcnt vmcnt(0)
	ds_write_b64 v1, v[60:61]
	buffer_store_dword v62, off, s[0:3], 0 offset:96
	buffer_store_dword v62, off, s[0:3], 0 offset:100
.LBB28_163:
	s_or_b64 exec, exec, s[4:5]
	s_waitcnt lgkmcnt(0)
	; wave barrier
	s_waitcnt lgkmcnt(0)
	ds_read2_b64 v[64:67], v62 offset0:43 offset1:44
	buffer_load_dword v60, off, s[0:3], 0 offset:96
	buffer_load_dword v61, off, s[0:3], 0 offset:100
	;; [unrolled: 1-line block ×16, first 2 shown]
	v_cmp_lt_u32_e32 vcc, 11, v0
	s_waitcnt vmcnt(12) lgkmcnt(0)
	v_mul_f32_e32 v68, v64, v84
	v_fmac_f32_e32 v68, v65, v63
	s_waitcnt vmcnt(10)
	v_mul_f32_e32 v69, v66, v88
	v_add_f32_e32 v68, 0, v68
	v_fmac_f32_e32 v69, v67, v86
	v_add_f32_e32 v72, v68, v69
	ds_read2_b64 v[68:71], v62 offset0:45 offset1:46
	v_mul_f32_e32 v65, v65, v84
	v_fma_f32 v63, v64, v63, -v65
	v_mul_f32_e32 v64, v67, v88
	v_add_f32_e32 v63, 0, v63
	s_waitcnt vmcnt(8) lgkmcnt(0)
	v_mul_f32_e32 v73, v68, v107
	v_fmac_f32_e32 v73, v69, v106
	v_add_f32_e32 v72, v72, v73
	s_waitcnt vmcnt(6)
	v_mul_f32_e32 v73, v70, v109
	v_fmac_f32_e32 v73, v71, v108
	v_add_f32_e32 v76, v72, v73
	ds_read2_b64 v[72:75], v62 offset0:47 offset1:48
	v_fma_f32 v64, v66, v86, -v64
	v_add_f32_e32 v63, v63, v64
	v_mul_f32_e32 v64, v69, v107
	v_fma_f32 v64, v68, v106, -v64
	s_waitcnt vmcnt(4) lgkmcnt(0)
	v_mul_f32_e32 v77, v72, v111
	v_fmac_f32_e32 v77, v73, v110
	v_add_f32_e32 v76, v76, v77
	s_waitcnt vmcnt(2)
	v_mul_f32_e32 v77, v74, v113
	v_fmac_f32_e32 v77, v75, v112
	v_add_f32_e32 v85, v76, v77
	ds_read2_b64 v[76:79], v62 offset0:49 offset1:50
	buffer_load_dword v116, off, s[0:3], 0 offset:160
	buffer_load_dword v117, off, s[0:3], 0 offset:164
	;; [unrolled: 1-line block ×4, first 2 shown]
	ds_read2_b64 v[80:83], v62 offset0:51 offset1:52
	buffer_load_dword v93, off, s[0:3], 0 offset:180
	buffer_load_dword v92, off, s[0:3], 0 offset:176
	;; [unrolled: 1-line block ×14, first 2 shown]
	v_add_f32_e32 v63, v63, v64
	v_mul_f32_e32 v64, v71, v109
	v_fma_f32 v64, v70, v108, -v64
	v_add_f32_e32 v63, v63, v64
	v_mul_f32_e32 v64, v73, v111
	v_fma_f32 v64, v72, v110, -v64
	;; [unrolled: 3-line block ×3, first 2 shown]
	v_add_f32_e32 v84, v63, v64
	s_waitcnt vmcnt(18) lgkmcnt(1)
	v_mul_f32_e32 v63, v77, v115
	v_mul_f32_e32 v87, v76, v115
	v_fma_f32 v86, v76, v114, -v63
	v_fmac_f32_e32 v87, v77, v114
	ds_read2_b64 v[64:67], v62 offset0:53 offset1:54
	ds_read2_b64 v[68:71], v62 offset0:55 offset1:56
	;; [unrolled: 1-line block ×3, first 2 shown]
	s_waitcnt vmcnt(15)
	v_mov_b32_e32 v76, v91
	v_mul_f32_e32 v89, v78, v117
	v_mul_f32_e32 v63, v79, v117
	s_waitcnt lgkmcnt(3)
	v_pk_mul_f32 v[76:77], v[80:81], v[76:77] op_sel_hi:[1,0]
	v_fmac_f32_e32 v89, v79, v116
	v_fma_f32 v88, v78, v116, -v63
	s_waitcnt vmcnt(14)
	v_pk_fma_f32 v[78:79], v[80:81], v[90:91], v[76:77] op_sel:[0,0,1] op_sel_hi:[1,1,0] neg_lo:[0,0,1] neg_hi:[0,0,1]
	v_pk_fma_f32 v[76:77], v[80:81], v[90:91], v[76:77] op_sel:[0,0,1] op_sel_hi:[1,0,0]
	v_pk_add_f32 v[62:63], v[84:85], v[86:87]
	s_waitcnt vmcnt(13)
	v_mov_b32_e32 v76, v93
	v_pk_add_f32 v[62:63], v[62:63], v[88:89]
	v_mov_b32_e32 v79, v77
	v_pk_mul_f32 v[76:77], v[82:83], v[76:77] op_sel_hi:[1,0]
	v_pk_add_f32 v[62:63], v[62:63], v[78:79]
	s_waitcnt vmcnt(12)
	v_pk_fma_f32 v[78:79], v[82:83], v[92:93], v[76:77] op_sel:[0,0,1] op_sel_hi:[1,1,0] neg_lo:[0,0,1] neg_hi:[0,0,1]
	v_pk_fma_f32 v[76:77], v[82:83], v[92:93], v[76:77] op_sel:[0,0,1] op_sel_hi:[1,0,0]
	s_waitcnt vmcnt(11)
	v_mov_b32_e32 v76, v95
	v_mov_b32_e32 v79, v77
	s_waitcnt lgkmcnt(2)
	v_pk_mul_f32 v[76:77], v[64:65], v[76:77] op_sel_hi:[1,0]
	v_pk_add_f32 v[62:63], v[62:63], v[78:79]
	s_waitcnt vmcnt(10)
	v_pk_fma_f32 v[78:79], v[64:65], v[94:95], v[76:77] op_sel:[0,0,1] op_sel_hi:[1,1,0] neg_lo:[0,0,1] neg_hi:[0,0,1]
	v_pk_fma_f32 v[64:65], v[64:65], v[94:95], v[76:77] op_sel:[0,0,1] op_sel_hi:[1,0,0]
	s_waitcnt vmcnt(9)
	v_mov_b32_e32 v64, v97
	v_mov_b32_e32 v79, v65
	v_pk_mul_f32 v[64:65], v[66:67], v[64:65] op_sel_hi:[1,0]
	s_waitcnt vmcnt(8)
	v_pk_fma_f32 v[76:77], v[66:67], v[96:97], v[64:65] op_sel:[0,0,1] op_sel_hi:[1,1,0] neg_lo:[0,0,1] neg_hi:[0,0,1]
	v_pk_fma_f32 v[64:65], v[66:67], v[96:97], v[64:65] op_sel:[0,0,1] op_sel_hi:[1,0,0]
	s_waitcnt vmcnt(7)
	v_mov_b32_e32 v64, v99
	v_mov_b32_e32 v77, v65
	s_waitcnt lgkmcnt(1)
	v_pk_mul_f32 v[64:65], v[68:69], v[64:65] op_sel_hi:[1,0]
	s_waitcnt vmcnt(6)
	v_pk_fma_f32 v[66:67], v[68:69], v[98:99], v[64:65] op_sel:[0,0,1] op_sel_hi:[1,1,0] neg_lo:[0,0,1] neg_hi:[0,0,1]
	v_pk_fma_f32 v[64:65], v[68:69], v[98:99], v[64:65] op_sel:[0,0,1] op_sel_hi:[1,0,0]
	v_pk_add_f32 v[62:63], v[62:63], v[78:79]
	s_waitcnt vmcnt(5)
	v_mov_b32_e32 v64, v101
	v_pk_add_f32 v[62:63], v[62:63], v[76:77]
	v_mov_b32_e32 v67, v65
	v_pk_mul_f32 v[64:65], v[70:71], v[64:65] op_sel_hi:[1,0]
	v_pk_add_f32 v[62:63], v[62:63], v[66:67]
	s_waitcnt vmcnt(4)
	v_pk_fma_f32 v[66:67], v[70:71], v[100:101], v[64:65] op_sel:[0,0,1] op_sel_hi:[1,1,0] neg_lo:[0,0,1] neg_hi:[0,0,1]
	v_pk_fma_f32 v[64:65], v[70:71], v[100:101], v[64:65] op_sel:[0,0,1] op_sel_hi:[1,0,0]
	s_waitcnt vmcnt(3)
	v_mov_b32_e32 v64, v103
	v_mov_b32_e32 v67, v65
	s_waitcnt lgkmcnt(0)
	v_pk_mul_f32 v[64:65], v[72:73], v[64:65] op_sel_hi:[1,0]
	v_pk_add_f32 v[62:63], v[62:63], v[66:67]
	s_waitcnt vmcnt(2)
	v_pk_fma_f32 v[66:67], v[72:73], v[102:103], v[64:65] op_sel:[0,0,1] op_sel_hi:[1,1,0] neg_lo:[0,0,1] neg_hi:[0,0,1]
	v_pk_fma_f32 v[64:65], v[72:73], v[102:103], v[64:65] op_sel:[0,0,1] op_sel_hi:[1,0,0]
	s_waitcnt vmcnt(1)
	v_mov_b32_e32 v64, v105
	v_mov_b32_e32 v67, v65
	v_pk_mul_f32 v[64:65], v[74:75], v[64:65] op_sel_hi:[1,0]
	v_pk_add_f32 v[62:63], v[62:63], v[66:67]
	s_waitcnt vmcnt(0)
	v_pk_fma_f32 v[66:67], v[74:75], v[104:105], v[64:65] op_sel:[0,0,1] op_sel_hi:[1,1,0] neg_lo:[0,0,1] neg_hi:[0,0,1]
	v_pk_fma_f32 v[64:65], v[74:75], v[104:105], v[64:65] op_sel:[0,0,1] op_sel_hi:[1,0,0]
	v_mov_b32_e32 v67, v65
	v_pk_add_f32 v[62:63], v[62:63], v[66:67]
	v_pk_add_f32 v[60:61], v[60:61], v[62:63] neg_lo:[0,1] neg_hi:[0,1]
	buffer_store_dword v61, off, s[0:3], 0 offset:100
	buffer_store_dword v60, off, s[0:3], 0 offset:96
	s_and_saveexec_b64 s[4:5], vcc
	s_cbranch_execz .LBB28_165
; %bb.164:
	buffer_load_dword v60, off, s[0:3], 0 offset:88
	buffer_load_dword v61, off, s[0:3], 0 offset:92
	v_mov_b32_e32 v62, 0
	buffer_store_dword v62, off, s[0:3], 0 offset:88
	buffer_store_dword v62, off, s[0:3], 0 offset:92
	s_waitcnt vmcnt(2)
	ds_write_b64 v1, v[60:61]
.LBB28_165:
	s_or_b64 exec, exec, s[4:5]
	v_mov_b32_e32 v62, 0
	s_waitcnt lgkmcnt(0)
	; wave barrier
	s_waitcnt lgkmcnt(0)
	ds_read_b128 v[64:67], v62 offset:336
	ds_read_b128 v[68:71], v62 offset:352
	;; [unrolled: 1-line block ×4, first 2 shown]
	buffer_load_dword v60, off, s[0:3], 0 offset:88
	buffer_load_dword v61, off, s[0:3], 0 offset:92
	;; [unrolled: 1-line block ×18, first 2 shown]
	v_cmp_lt_u32_e32 vcc, 10, v0
	s_waitcnt vmcnt(14) lgkmcnt(3)
	v_mul_f32_e32 v80, v64, v84
	v_fmac_f32_e32 v80, v65, v63
	s_waitcnt vmcnt(12)
	v_mul_f32_e32 v81, v66, v88
	v_add_f32_e32 v80, 0, v80
	v_fmac_f32_e32 v81, v67, v86
	v_add_f32_e32 v80, v80, v81
	s_waitcnt vmcnt(10) lgkmcnt(2)
	v_mul_f32_e32 v81, v68, v107
	v_fmac_f32_e32 v81, v69, v106
	v_add_f32_e32 v80, v80, v81
	s_waitcnt vmcnt(8)
	v_mul_f32_e32 v81, v70, v109
	v_fmac_f32_e32 v81, v71, v108
	v_add_f32_e32 v80, v80, v81
	s_waitcnt vmcnt(6) lgkmcnt(1)
	v_mul_f32_e32 v81, v72, v111
	v_fmac_f32_e32 v81, v73, v110
	v_add_f32_e32 v80, v80, v81
	s_waitcnt vmcnt(4)
	v_mul_f32_e32 v81, v74, v113
	v_fmac_f32_e32 v81, v75, v112
	v_add_f32_e32 v80, v80, v81
	s_waitcnt vmcnt(2) lgkmcnt(0)
	v_mul_f32_e32 v81, v76, v115
	v_fmac_f32_e32 v81, v77, v114
	v_add_f32_e32 v85, v80, v81
	ds_read_b128 v[80:83], v62 offset:400
	buffer_load_dword v118, off, s[0:3], 0 offset:160
	buffer_load_dword v119, off, s[0:3], 0 offset:164
	;; [unrolled: 1-line block ×18, first 2 shown]
	v_mul_f32_e32 v65, v65, v84
	v_fma_f32 v63, v64, v63, -v65
	v_mul_f32_e32 v64, v67, v88
	v_add_f32_e32 v63, 0, v63
	v_fma_f32 v64, v66, v86, -v64
	v_add_f32_e32 v63, v63, v64
	v_mul_f32_e32 v64, v69, v107
	v_fma_f32 v64, v68, v106, -v64
	v_add_f32_e32 v63, v63, v64
	v_mul_f32_e32 v64, v71, v109
	;; [unrolled: 3-line block ×5, first 2 shown]
	v_fma_f32 v64, v76, v114, -v64
	v_add_f32_e32 v84, v63, v64
	s_waitcnt vmcnt(18)
	v_mul_f32_e32 v63, v79, v117
	v_fma_f32 v86, v78, v116, -v63
	v_mul_f32_e32 v87, v78, v117
	v_fmac_f32_e32 v87, v79, v116
	ds_read_b128 v[64:67], v62 offset:416
	ds_read_b128 v[68:71], v62 offset:432
	;; [unrolled: 1-line block ×3, first 2 shown]
	ds_read_b64 v[76:77], v62 offset:464
	v_pk_add_f32 v[78:79], v[84:85], v[86:87]
	s_waitcnt vmcnt(16) lgkmcnt(4)
	v_mul_f32_e32 v63, v81, v119
	v_mul_f32_e32 v89, v80, v119
	v_fma_f32 v88, v80, v118, -v63
	s_waitcnt vmcnt(15)
	v_mov_b32_e32 v80, v91
	v_fmac_f32_e32 v89, v81, v118
	v_pk_mul_f32 v[80:81], v[82:83], v[80:81] op_sel_hi:[1,0]
	s_waitcnt vmcnt(14)
	v_pk_fma_f32 v[84:85], v[82:83], v[90:91], v[80:81] op_sel:[0,0,1] op_sel_hi:[1,1,0] neg_lo:[0,0,1] neg_hi:[0,0,1]
	v_pk_fma_f32 v[80:81], v[82:83], v[90:91], v[80:81] op_sel:[0,0,1] op_sel_hi:[1,0,0]
	s_waitcnt vmcnt(13)
	v_mov_b32_e32 v80, v93
	v_mov_b32_e32 v85, v81
	s_waitcnt lgkmcnt(3)
	v_pk_mul_f32 v[80:81], v[64:65], v[80:81] op_sel_hi:[1,0]
	v_pk_add_f32 v[78:79], v[78:79], v[88:89]
	s_waitcnt vmcnt(12)
	v_pk_fma_f32 v[82:83], v[64:65], v[92:93], v[80:81] op_sel:[0,0,1] op_sel_hi:[1,1,0] neg_lo:[0,0,1] neg_hi:[0,0,1]
	v_pk_fma_f32 v[64:65], v[64:65], v[92:93], v[80:81] op_sel:[0,0,1] op_sel_hi:[1,0,0]
	v_pk_add_f32 v[78:79], v[78:79], v[84:85]
	v_mov_b32_e32 v83, v65
	v_pk_add_f32 v[64:65], v[78:79], v[82:83]
	s_waitcnt vmcnt(11)
	v_mov_b32_e32 v78, v95
	v_pk_mul_f32 v[78:79], v[66:67], v[78:79] op_sel_hi:[1,0]
	s_waitcnt vmcnt(10)
	v_pk_fma_f32 v[80:81], v[66:67], v[94:95], v[78:79] op_sel:[0,0,1] op_sel_hi:[1,1,0] neg_lo:[0,0,1] neg_hi:[0,0,1]
	v_pk_fma_f32 v[66:67], v[66:67], v[94:95], v[78:79] op_sel:[0,0,1] op_sel_hi:[1,0,0]
	s_waitcnt vmcnt(9)
	v_mov_b32_e32 v66, v97
	v_mov_b32_e32 v81, v67
	s_waitcnt lgkmcnt(2)
	v_pk_mul_f32 v[66:67], v[68:69], v[66:67] op_sel_hi:[1,0]
	s_waitcnt vmcnt(8)
	v_pk_fma_f32 v[78:79], v[68:69], v[96:97], v[66:67] op_sel:[0,0,1] op_sel_hi:[1,1,0] neg_lo:[0,0,1] neg_hi:[0,0,1]
	v_pk_fma_f32 v[66:67], v[68:69], v[96:97], v[66:67] op_sel:[0,0,1] op_sel_hi:[1,0,0]
	s_waitcnt vmcnt(7)
	v_mov_b32_e32 v66, v99
	v_mov_b32_e32 v79, v67
	v_pk_mul_f32 v[66:67], v[70:71], v[66:67] op_sel_hi:[1,0]
	s_waitcnt vmcnt(6)
	v_pk_fma_f32 v[68:69], v[70:71], v[98:99], v[66:67] op_sel:[0,0,1] op_sel_hi:[1,1,0] neg_lo:[0,0,1] neg_hi:[0,0,1]
	v_pk_fma_f32 v[66:67], v[70:71], v[98:99], v[66:67] op_sel:[0,0,1] op_sel_hi:[1,0,0]
	v_pk_add_f32 v[64:65], v[64:65], v[80:81]
	s_waitcnt vmcnt(5)
	v_mov_b32_e32 v66, v101
	v_pk_add_f32 v[64:65], v[64:65], v[78:79]
	v_mov_b32_e32 v69, v67
	s_waitcnt lgkmcnt(1)
	v_pk_mul_f32 v[66:67], v[72:73], v[66:67] op_sel_hi:[1,0]
	v_pk_add_f32 v[64:65], v[64:65], v[68:69]
	s_waitcnt vmcnt(4)
	v_pk_fma_f32 v[68:69], v[72:73], v[100:101], v[66:67] op_sel:[0,0,1] op_sel_hi:[1,1,0] neg_lo:[0,0,1] neg_hi:[0,0,1]
	v_pk_fma_f32 v[66:67], v[72:73], v[100:101], v[66:67] op_sel:[0,0,1] op_sel_hi:[1,0,0]
	s_waitcnt vmcnt(3)
	v_mov_b32_e32 v66, v103
	v_mov_b32_e32 v69, v67
	v_pk_mul_f32 v[66:67], v[74:75], v[66:67] op_sel_hi:[1,0]
	v_pk_add_f32 v[64:65], v[64:65], v[68:69]
	s_waitcnt vmcnt(2)
	v_pk_fma_f32 v[68:69], v[74:75], v[102:103], v[66:67] op_sel:[0,0,1] op_sel_hi:[1,1,0] neg_lo:[0,0,1] neg_hi:[0,0,1]
	v_pk_fma_f32 v[66:67], v[74:75], v[102:103], v[66:67] op_sel:[0,0,1] op_sel_hi:[1,0,0]
	s_waitcnt vmcnt(1)
	v_mov_b32_e32 v66, v105
	v_mov_b32_e32 v69, v67
	s_waitcnt lgkmcnt(0)
	v_pk_mul_f32 v[66:67], v[76:77], v[66:67] op_sel_hi:[1,0]
	v_pk_add_f32 v[64:65], v[64:65], v[68:69]
	s_waitcnt vmcnt(0)
	v_pk_fma_f32 v[68:69], v[76:77], v[104:105], v[66:67] op_sel:[0,0,1] op_sel_hi:[1,1,0] neg_lo:[0,0,1] neg_hi:[0,0,1]
	v_pk_fma_f32 v[66:67], v[76:77], v[104:105], v[66:67] op_sel:[0,0,1] op_sel_hi:[1,0,0]
	v_mov_b32_e32 v69, v67
	v_pk_add_f32 v[64:65], v[64:65], v[68:69]
	v_pk_add_f32 v[60:61], v[60:61], v[64:65] neg_lo:[0,1] neg_hi:[0,1]
	buffer_store_dword v61, off, s[0:3], 0 offset:92
	buffer_store_dword v60, off, s[0:3], 0 offset:88
	s_and_saveexec_b64 s[4:5], vcc
	s_cbranch_execz .LBB28_167
; %bb.166:
	buffer_load_dword v60, off, s[0:3], 0 offset:80
	buffer_load_dword v61, off, s[0:3], 0 offset:84
	s_waitcnt vmcnt(0)
	ds_write_b64 v1, v[60:61]
	buffer_store_dword v62, off, s[0:3], 0 offset:80
	buffer_store_dword v62, off, s[0:3], 0 offset:84
.LBB28_167:
	s_or_b64 exec, exec, s[4:5]
	s_waitcnt lgkmcnt(0)
	; wave barrier
	s_waitcnt lgkmcnt(0)
	ds_read2_b64 v[64:67], v62 offset0:41 offset1:42
	buffer_load_dword v60, off, s[0:3], 0 offset:80
	buffer_load_dword v61, off, s[0:3], 0 offset:84
	;; [unrolled: 1-line block ×16, first 2 shown]
	v_cmp_lt_u32_e32 vcc, 9, v0
	s_waitcnt vmcnt(12) lgkmcnt(0)
	v_mul_f32_e32 v68, v64, v88
	v_fmac_f32_e32 v68, v65, v63
	s_waitcnt vmcnt(10)
	v_mul_f32_e32 v69, v66, v92
	v_add_f32_e32 v68, 0, v68
	v_fmac_f32_e32 v69, v67, v90
	v_add_f32_e32 v72, v68, v69
	ds_read2_b64 v[68:71], v62 offset0:43 offset1:44
	v_mul_f32_e32 v65, v65, v88
	v_fma_f32 v63, v64, v63, -v65
	v_mul_f32_e32 v64, v67, v92
	v_add_f32_e32 v63, 0, v63
	s_waitcnt vmcnt(8) lgkmcnt(0)
	v_mul_f32_e32 v73, v68, v111
	v_fmac_f32_e32 v73, v69, v110
	v_add_f32_e32 v72, v72, v73
	s_waitcnt vmcnt(6)
	v_mul_f32_e32 v73, v70, v113
	v_fmac_f32_e32 v73, v71, v112
	v_add_f32_e32 v76, v72, v73
	ds_read2_b64 v[72:75], v62 offset0:45 offset1:46
	v_fma_f32 v64, v66, v90, -v64
	v_add_f32_e32 v63, v63, v64
	v_mul_f32_e32 v64, v69, v111
	v_fma_f32 v64, v68, v110, -v64
	s_waitcnt vmcnt(4) lgkmcnt(0)
	v_mul_f32_e32 v77, v72, v115
	v_fmac_f32_e32 v77, v73, v114
	v_add_f32_e32 v76, v76, v77
	s_waitcnt vmcnt(2)
	v_mul_f32_e32 v77, v74, v117
	v_fmac_f32_e32 v77, v75, v116
	v_add_f32_e32 v80, v76, v77
	ds_read2_b64 v[76:79], v62 offset0:47 offset1:48
	buffer_load_dword v120, off, s[0:3], 0 offset:144
	buffer_load_dword v121, off, s[0:3], 0 offset:148
	v_add_f32_e32 v63, v63, v64
	v_mul_f32_e32 v64, v71, v113
	v_fma_f32 v64, v70, v112, -v64
	s_waitcnt vmcnt(2) lgkmcnt(0)
	v_mul_f32_e32 v81, v76, v119
	v_fmac_f32_e32 v81, v77, v118
	v_add_f32_e32 v80, v80, v81
	v_add_f32_e32 v63, v63, v64
	v_mul_f32_e32 v64, v73, v115
	v_fma_f32 v64, v72, v114, -v64
	v_add_f32_e32 v63, v63, v64
	v_mul_f32_e32 v64, v75, v117
	v_fma_f32 v64, v74, v116, -v64
	v_add_f32_e32 v63, v63, v64
	v_mul_f32_e32 v64, v77, v119
	v_fma_f32 v64, v76, v118, -v64
	v_add_f32_e32 v63, v63, v64
	s_waitcnt vmcnt(0)
	v_mul_f32_e32 v81, v78, v121
	v_fmac_f32_e32 v81, v79, v120
	v_add_f32_e32 v89, v80, v81
	ds_read2_b64 v[80:83], v62 offset0:49 offset1:50
	buffer_load_dword v122, off, s[0:3], 0 offset:152
	buffer_load_dword v123, off, s[0:3], 0 offset:156
	;; [unrolled: 1-line block ×6, first 2 shown]
	ds_read2_b64 v[84:87], v62 offset0:51 offset1:52
	buffer_load_dword v97, off, s[0:3], 0 offset:180
	buffer_load_dword v96, off, s[0:3], 0 offset:176
	;; [unrolled: 1-line block ×14, first 2 shown]
	v_mul_f32_e32 v64, v79, v121
	v_fma_f32 v64, v78, v120, -v64
	v_add_f32_e32 v88, v63, v64
	ds_read2_b64 v[64:67], v62 offset0:53 offset1:54
	ds_read2_b64 v[68:71], v62 offset0:55 offset1:56
	;; [unrolled: 1-line block ×3, first 2 shown]
	s_waitcnt vmcnt(18) lgkmcnt(4)
	v_mul_f32_e32 v91, v80, v123
	s_waitcnt vmcnt(15)
	v_mov_b32_e32 v76, v95
	v_mul_f32_e32 v63, v81, v123
	s_waitcnt lgkmcnt(3)
	v_pk_mul_f32 v[76:77], v[84:85], v[76:77] op_sel_hi:[1,0]
	v_fmac_f32_e32 v91, v81, v122
	v_mul_f32_e32 v93, v82, v125
	v_fma_f32 v90, v80, v122, -v63
	v_mul_f32_e32 v63, v83, v125
	s_waitcnt vmcnt(14)
	v_pk_fma_f32 v[78:79], v[84:85], v[94:95], v[76:77] op_sel:[0,0,1] op_sel_hi:[1,1,0] neg_lo:[0,0,1] neg_hi:[0,0,1]
	v_pk_fma_f32 v[76:77], v[84:85], v[94:95], v[76:77] op_sel:[0,0,1] op_sel_hi:[1,0,0]
	v_fmac_f32_e32 v93, v83, v124
	v_fma_f32 v92, v82, v124, -v63
	v_pk_add_f32 v[62:63], v[88:89], v[90:91]
	s_waitcnt vmcnt(13)
	v_mov_b32_e32 v76, v97
	v_pk_add_f32 v[62:63], v[62:63], v[92:93]
	v_mov_b32_e32 v79, v77
	v_pk_mul_f32 v[76:77], v[86:87], v[76:77] op_sel_hi:[1,0]
	v_pk_add_f32 v[62:63], v[62:63], v[78:79]
	s_waitcnt vmcnt(12)
	v_pk_fma_f32 v[78:79], v[86:87], v[96:97], v[76:77] op_sel:[0,0,1] op_sel_hi:[1,1,0] neg_lo:[0,0,1] neg_hi:[0,0,1]
	v_pk_fma_f32 v[76:77], v[86:87], v[96:97], v[76:77] op_sel:[0,0,1] op_sel_hi:[1,0,0]
	s_waitcnt vmcnt(11)
	v_mov_b32_e32 v76, v99
	v_mov_b32_e32 v79, v77
	s_waitcnt lgkmcnt(2)
	v_pk_mul_f32 v[76:77], v[64:65], v[76:77] op_sel_hi:[1,0]
	v_pk_add_f32 v[62:63], v[62:63], v[78:79]
	s_waitcnt vmcnt(10)
	v_pk_fma_f32 v[78:79], v[64:65], v[98:99], v[76:77] op_sel:[0,0,1] op_sel_hi:[1,1,0] neg_lo:[0,0,1] neg_hi:[0,0,1]
	v_pk_fma_f32 v[64:65], v[64:65], v[98:99], v[76:77] op_sel:[0,0,1] op_sel_hi:[1,0,0]
	s_waitcnt vmcnt(9)
	v_mov_b32_e32 v64, v101
	v_mov_b32_e32 v79, v65
	v_pk_mul_f32 v[64:65], v[66:67], v[64:65] op_sel_hi:[1,0]
	s_waitcnt vmcnt(8)
	v_pk_fma_f32 v[76:77], v[66:67], v[100:101], v[64:65] op_sel:[0,0,1] op_sel_hi:[1,1,0] neg_lo:[0,0,1] neg_hi:[0,0,1]
	v_pk_fma_f32 v[64:65], v[66:67], v[100:101], v[64:65] op_sel:[0,0,1] op_sel_hi:[1,0,0]
	s_waitcnt vmcnt(7)
	v_mov_b32_e32 v64, v103
	v_mov_b32_e32 v77, v65
	s_waitcnt lgkmcnt(1)
	v_pk_mul_f32 v[64:65], v[68:69], v[64:65] op_sel_hi:[1,0]
	s_waitcnt vmcnt(6)
	v_pk_fma_f32 v[66:67], v[68:69], v[102:103], v[64:65] op_sel:[0,0,1] op_sel_hi:[1,1,0] neg_lo:[0,0,1] neg_hi:[0,0,1]
	v_pk_fma_f32 v[64:65], v[68:69], v[102:103], v[64:65] op_sel:[0,0,1] op_sel_hi:[1,0,0]
	v_pk_add_f32 v[62:63], v[62:63], v[78:79]
	s_waitcnt vmcnt(5)
	v_mov_b32_e32 v64, v105
	v_pk_add_f32 v[62:63], v[62:63], v[76:77]
	v_mov_b32_e32 v67, v65
	v_pk_mul_f32 v[64:65], v[70:71], v[64:65] op_sel_hi:[1,0]
	v_pk_add_f32 v[62:63], v[62:63], v[66:67]
	s_waitcnt vmcnt(4)
	v_pk_fma_f32 v[66:67], v[70:71], v[104:105], v[64:65] op_sel:[0,0,1] op_sel_hi:[1,1,0] neg_lo:[0,0,1] neg_hi:[0,0,1]
	v_pk_fma_f32 v[64:65], v[70:71], v[104:105], v[64:65] op_sel:[0,0,1] op_sel_hi:[1,0,0]
	s_waitcnt vmcnt(3)
	v_mov_b32_e32 v64, v107
	v_mov_b32_e32 v67, v65
	s_waitcnt lgkmcnt(0)
	v_pk_mul_f32 v[64:65], v[72:73], v[64:65] op_sel_hi:[1,0]
	v_pk_add_f32 v[62:63], v[62:63], v[66:67]
	s_waitcnt vmcnt(2)
	v_pk_fma_f32 v[66:67], v[72:73], v[106:107], v[64:65] op_sel:[0,0,1] op_sel_hi:[1,1,0] neg_lo:[0,0,1] neg_hi:[0,0,1]
	v_pk_fma_f32 v[64:65], v[72:73], v[106:107], v[64:65] op_sel:[0,0,1] op_sel_hi:[1,0,0]
	s_waitcnt vmcnt(1)
	v_mov_b32_e32 v64, v109
	v_mov_b32_e32 v67, v65
	v_pk_mul_f32 v[64:65], v[74:75], v[64:65] op_sel_hi:[1,0]
	v_pk_add_f32 v[62:63], v[62:63], v[66:67]
	s_waitcnt vmcnt(0)
	v_pk_fma_f32 v[66:67], v[74:75], v[108:109], v[64:65] op_sel:[0,0,1] op_sel_hi:[1,1,0] neg_lo:[0,0,1] neg_hi:[0,0,1]
	v_pk_fma_f32 v[64:65], v[74:75], v[108:109], v[64:65] op_sel:[0,0,1] op_sel_hi:[1,0,0]
	v_mov_b32_e32 v67, v65
	v_pk_add_f32 v[62:63], v[62:63], v[66:67]
	v_pk_add_f32 v[60:61], v[60:61], v[62:63] neg_lo:[0,1] neg_hi:[0,1]
	buffer_store_dword v61, off, s[0:3], 0 offset:84
	buffer_store_dword v60, off, s[0:3], 0 offset:80
	s_and_saveexec_b64 s[4:5], vcc
	s_cbranch_execz .LBB28_169
; %bb.168:
	buffer_load_dword v60, off, s[0:3], 0 offset:72
	buffer_load_dword v61, off, s[0:3], 0 offset:76
	v_mov_b32_e32 v62, 0
	buffer_store_dword v62, off, s[0:3], 0 offset:72
	buffer_store_dword v62, off, s[0:3], 0 offset:76
	s_waitcnt vmcnt(2)
	ds_write_b64 v1, v[60:61]
.LBB28_169:
	s_or_b64 exec, exec, s[4:5]
	s_waitcnt lgkmcnt(0)
	; wave barrier
	s_waitcnt lgkmcnt(0)
	buffer_load_dword v61, off, s[0:3], 0 offset:84
	buffer_load_dword v104, off, s[0:3], 0 offset:92
	;; [unrolled: 1-line block ×40, first 2 shown]
	v_mov_b32_e32 v60, 0
	ds_read_b128 v[62:65], v60 offset:320
	ds_read_b128 v[66:69], v60 offset:336
	;; [unrolled: 1-line block ×6, first 2 shown]
	v_cmp_lt_u32_e32 vcc, 8, v0
	s_waitcnt vmcnt(39) lgkmcnt(5)
	v_mul_f32_e32 v127, v62, v61
	s_waitcnt vmcnt(38)
	v_mul_f32_e32 v128, v64, v104
	v_mul_f32_e32 v61, v63, v61
	s_waitcnt vmcnt(37) lgkmcnt(4)
	v_mul_f32_e32 v129, v66, v106
	v_mul_f32_e32 v104, v65, v104
	s_waitcnt vmcnt(36)
	v_mul_f32_e32 v130, v68, v108
	s_waitcnt vmcnt(35) lgkmcnt(3)
	v_mul_f32_e32 v131, v70, v110
	s_waitcnt vmcnt(34)
	v_mul_f32_e32 v132, v72, v111
	s_waitcnt vmcnt(33) lgkmcnt(2)
	;; [unrolled: 4-line block ×3, first 2 shown]
	v_mul_f32_e32 v135, v78, v114
	s_waitcnt vmcnt(28)
	v_fmac_f32_e32 v127, v63, v109
	s_waitcnt vmcnt(27)
	v_fmac_f32_e32 v128, v65, v117
	v_fma_f32 v61, v62, v109, -v61
	v_add_f32_e32 v65, 0, v127
	s_waitcnt vmcnt(26)
	v_fmac_f32_e32 v129, v67, v118
	v_fma_f32 v62, v64, v117, -v104
	v_add_f32_e32 v61, 0, v61
	v_add_f32_e32 v65, v65, v128
	s_waitcnt vmcnt(25)
	v_fmac_f32_e32 v130, v69, v119
	v_add_f32_e32 v61, v61, v62
	v_add_f32_e32 v62, v65, v129
	s_waitcnt vmcnt(24)
	v_fmac_f32_e32 v131, v71, v120
	v_add_f32_e32 v62, v62, v130
	s_waitcnt vmcnt(23)
	v_fmac_f32_e32 v132, v73, v121
	v_add_f32_e32 v62, v62, v131
	s_waitcnt vmcnt(22)
	v_fmac_f32_e32 v133, v75, v122
	v_add_f32_e32 v62, v62, v132
	v_mul_f32_e32 v106, v67, v106
	s_waitcnt vmcnt(21)
	v_fmac_f32_e32 v134, v77, v123
	v_add_f32_e32 v62, v62, v133
	v_mul_f32_e32 v108, v69, v108
	s_waitcnt vmcnt(20)
	v_fmac_f32_e32 v135, v79, v124
	v_fma_f32 v63, v66, v118, -v106
	v_add_f32_e32 v62, v62, v134
	v_fma_f32 v64, v68, v119, -v108
	v_add_f32_e32 v61, v61, v63
	v_add_f32_e32 v109, v62, v135
	v_mul_f32_e32 v62, v71, v110
	v_add_f32_e32 v61, v61, v64
	v_fma_f32 v62, v70, v120, -v62
	v_add_f32_e32 v61, v61, v62
	v_mul_f32_e32 v62, v73, v111
	v_fma_f32 v62, v72, v121, -v62
	v_add_f32_e32 v61, v61, v62
	v_mul_f32_e32 v62, v75, v112
	;; [unrolled: 3-line block ×4, first 2 shown]
	v_fma_f32 v62, v78, v124, -v62
	s_waitcnt vmcnt(9)
	v_mov_b32_e32 v78, v95
	v_mul_f32_e32 v105, v80, v115
	v_add_f32_e32 v108, v61, v62
	v_mul_f32_e32 v61, v81, v115
	s_waitcnt lgkmcnt(0)
	v_pk_mul_f32 v[78:79], v[84:85], v[78:79] op_sel_hi:[1,0]
	v_mul_f32_e32 v107, v82, v116
	v_fmac_f32_e32 v105, v81, v125
	v_fma_f32 v104, v80, v125, -v61
	v_mul_f32_e32 v61, v83, v116
	ds_read_b128 v[62:65], v60 offset:416
	ds_read_b128 v[66:69], v60 offset:432
	;; [unrolled: 1-line block ×3, first 2 shown]
	ds_read_b64 v[74:75], v60 offset:464
	s_waitcnt vmcnt(8)
	v_pk_fma_f32 v[80:81], v[84:85], v[94:95], v[78:79] op_sel:[0,0,1] op_sel_hi:[1,1,0] neg_lo:[0,0,1] neg_hi:[0,0,1]
	v_pk_fma_f32 v[78:79], v[84:85], v[94:95], v[78:79] op_sel:[0,0,1] op_sel_hi:[1,0,0]
	v_fmac_f32_e32 v107, v83, v126
	v_fma_f32 v106, v82, v126, -v61
	v_pk_add_f32 v[76:77], v[108:109], v[104:105]
	v_mov_b32_e32 v78, v93
	v_pk_add_f32 v[76:77], v[76:77], v[106:107]
	v_mov_b32_e32 v81, v79
	s_waitcnt lgkmcnt(3)
	v_pk_mul_f32 v[78:79], v[62:63], v[78:79] op_sel_hi:[1,0]
	v_pk_add_f32 v[76:77], v[76:77], v[80:81]
	v_pk_fma_f32 v[80:81], v[62:63], v[92:93], v[78:79] op_sel:[0,0,1] op_sel_hi:[1,1,0] neg_lo:[0,0,1] neg_hi:[0,0,1]
	v_pk_fma_f32 v[62:63], v[62:63], v[92:93], v[78:79] op_sel:[0,0,1] op_sel_hi:[1,0,0]
	v_mov_b32_e32 v81, v63
	v_pk_add_f32 v[62:63], v[76:77], v[80:81]
	v_mov_b32_e32 v76, v91
	v_pk_mul_f32 v[76:77], v[64:65], v[76:77] op_sel_hi:[1,0]
	v_pk_fma_f32 v[78:79], v[64:65], v[90:91], v[76:77] op_sel:[0,0,1] op_sel_hi:[1,1,0] neg_lo:[0,0,1] neg_hi:[0,0,1]
	v_pk_fma_f32 v[64:65], v[64:65], v[90:91], v[76:77] op_sel:[0,0,1] op_sel_hi:[1,0,0]
	v_mov_b32_e32 v64, v89
	v_mov_b32_e32 v79, v65
	s_waitcnt lgkmcnt(2)
	v_pk_mul_f32 v[64:65], v[66:67], v[64:65] op_sel_hi:[1,0]
	v_pk_fma_f32 v[76:77], v[66:67], v[88:89], v[64:65] op_sel:[0,0,1] op_sel_hi:[1,1,0] neg_lo:[0,0,1] neg_hi:[0,0,1]
	v_pk_fma_f32 v[64:65], v[66:67], v[88:89], v[64:65] op_sel:[0,0,1] op_sel_hi:[1,0,0]
	s_waitcnt vmcnt(1)
	v_mov_b32_e32 v64, v103
	v_mov_b32_e32 v77, v65
	v_pk_mul_f32 v[64:65], v[68:69], v[64:65] op_sel_hi:[1,0]
	s_waitcnt vmcnt(0)
	v_pk_fma_f32 v[66:67], v[68:69], v[102:103], v[64:65] op_sel:[0,0,1] op_sel_hi:[1,1,0] neg_lo:[0,0,1] neg_hi:[0,0,1]
	v_pk_fma_f32 v[64:65], v[68:69], v[102:103], v[64:65] op_sel:[0,0,1] op_sel_hi:[1,0,0]
	v_pk_add_f32 v[62:63], v[62:63], v[78:79]
	v_mov_b32_e32 v64, v101
	v_pk_add_f32 v[62:63], v[62:63], v[76:77]
	v_mov_b32_e32 v67, v65
	s_waitcnt lgkmcnt(1)
	v_pk_mul_f32 v[64:65], v[70:71], v[64:65] op_sel_hi:[1,0]
	v_pk_add_f32 v[62:63], v[62:63], v[66:67]
	v_pk_fma_f32 v[66:67], v[70:71], v[100:101], v[64:65] op_sel:[0,0,1] op_sel_hi:[1,1,0] neg_lo:[0,0,1] neg_hi:[0,0,1]
	v_pk_fma_f32 v[64:65], v[70:71], v[100:101], v[64:65] op_sel:[0,0,1] op_sel_hi:[1,0,0]
	v_mov_b32_e32 v64, v99
	v_mov_b32_e32 v67, v65
	v_pk_mul_f32 v[64:65], v[72:73], v[64:65] op_sel_hi:[1,0]
	v_pk_add_f32 v[62:63], v[62:63], v[66:67]
	v_pk_fma_f32 v[66:67], v[72:73], v[98:99], v[64:65] op_sel:[0,0,1] op_sel_hi:[1,1,0] neg_lo:[0,0,1] neg_hi:[0,0,1]
	v_pk_fma_f32 v[64:65], v[72:73], v[98:99], v[64:65] op_sel:[0,0,1] op_sel_hi:[1,0,0]
	v_mov_b32_e32 v64, v97
	v_mov_b32_e32 v67, v65
	s_waitcnt lgkmcnt(0)
	v_pk_mul_f32 v[64:65], v[74:75], v[64:65] op_sel_hi:[1,0]
	v_pk_add_f32 v[62:63], v[62:63], v[66:67]
	v_pk_fma_f32 v[66:67], v[74:75], v[96:97], v[64:65] op_sel:[0,0,1] op_sel_hi:[1,1,0] neg_lo:[0,0,1] neg_hi:[0,0,1]
	v_pk_fma_f32 v[64:65], v[74:75], v[96:97], v[64:65] op_sel:[0,0,1] op_sel_hi:[1,0,0]
	v_mov_b32_e32 v67, v65
	v_pk_add_f32 v[62:63], v[62:63], v[66:67]
	v_pk_add_f32 v[62:63], v[86:87], v[62:63] neg_lo:[0,1] neg_hi:[0,1]
	buffer_store_dword v63, off, s[0:3], 0 offset:76
	buffer_store_dword v62, off, s[0:3], 0 offset:72
	s_and_saveexec_b64 s[4:5], vcc
	s_cbranch_execz .LBB28_171
; %bb.170:
	buffer_load_dword v62, off, s[0:3], 0 offset:64
	buffer_load_dword v63, off, s[0:3], 0 offset:68
	s_waitcnt vmcnt(0)
	ds_write_b64 v1, v[62:63]
	buffer_store_dword v60, off, s[0:3], 0 offset:64
	buffer_store_dword v60, off, s[0:3], 0 offset:68
.LBB28_171:
	s_or_b64 exec, exec, s[4:5]
	s_waitcnt lgkmcnt(0)
	; wave barrier
	s_waitcnt lgkmcnt(0)
	buffer_load_dword v61, off, s[0:3], 0 offset:76
	buffer_load_dword v104, off, s[0:3], 0 offset:84
	;; [unrolled: 1-line block ×26, first 2 shown]
	ds_read2_b64 v[62:65], v60 offset0:39 offset1:40
	ds_read2_b64 v[66:69], v60 offset0:41 offset1:42
	;; [unrolled: 1-line block ×6, first 2 shown]
	buffer_load_dword v89, off, s[0:3], 0 offset:188
	buffer_load_dword v88, off, s[0:3], 0 offset:184
	;; [unrolled: 1-line block ×16, first 2 shown]
	v_cmp_lt_u32_e32 vcc, 7, v0
	s_waitcnt vmcnt(41) lgkmcnt(5)
	v_mul_f32_e32 v129, v62, v61
	s_waitcnt vmcnt(40)
	v_mul_f32_e32 v130, v64, v104
	v_mul_f32_e32 v61, v63, v61
	;; [unrolled: 1-line block ×3, first 2 shown]
	s_waitcnt vmcnt(39) lgkmcnt(4)
	v_mul_f32_e32 v131, v66, v106
	s_waitcnt vmcnt(38)
	v_mul_f32_e32 v132, v68, v108
	s_waitcnt vmcnt(37) lgkmcnt(3)
	v_mul_f32_e32 v133, v70, v110
	s_waitcnt vmcnt(36)
	v_mul_f32_e32 v134, v72, v111
	;; [unrolled: 4-line block ×4, first 2 shown]
	s_waitcnt vmcnt(29)
	v_fmac_f32_e32 v129, v63, v109
	s_waitcnt vmcnt(28)
	v_fmac_f32_e32 v130, v65, v118
	v_fma_f32 v61, v62, v109, -v61
	v_fma_f32 v62, v64, v118, -v104
	v_add_f32_e32 v64, 0, v129
	s_waitcnt vmcnt(27)
	v_fmac_f32_e32 v131, v67, v119
	v_add_f32_e32 v61, 0, v61
	v_add_f32_e32 v64, v64, v130
	s_waitcnt vmcnt(26)
	v_fmac_f32_e32 v132, v69, v120
	v_add_f32_e32 v61, v61, v62
	;; [unrolled: 4-line block ×3, first 2 shown]
	s_waitcnt vmcnt(24)
	v_fmac_f32_e32 v134, v73, v122
	v_add_f32_e32 v62, v62, v133
	s_waitcnt vmcnt(23)
	v_fmac_f32_e32 v135, v75, v123
	v_add_f32_e32 v62, v62, v134
	;; [unrolled: 3-line block ×4, first 2 shown]
	v_mul_f32_e32 v106, v67, v106
	s_waitcnt vmcnt(20)
	v_fmac_f32_e32 v138, v81, v126
	v_add_f32_e32 v62, v62, v137
	v_fma_f32 v63, v66, v119, -v106
	v_add_f32_e32 v109, v62, v138
	v_mul_f32_e32 v62, v69, v108
	v_add_f32_e32 v61, v61, v63
	v_fma_f32 v62, v68, v120, -v62
	v_add_f32_e32 v61, v61, v62
	v_mul_f32_e32 v62, v71, v110
	v_fma_f32 v62, v70, v121, -v62
	v_add_f32_e32 v61, v61, v62
	v_mul_f32_e32 v62, v73, v111
	;; [unrolled: 3-line block ×6, first 2 shown]
	v_fma_f32 v62, v80, v126, -v62
	v_add_f32_e32 v108, v61, v62
	ds_read2_b64 v[62:65], v60 offset0:51 offset1:52
	ds_read2_b64 v[66:69], v60 offset0:53 offset1:54
	;; [unrolled: 1-line block ×4, first 2 shown]
	s_waitcnt vmcnt(11)
	v_mov_b32_e32 v78, v93
	s_waitcnt lgkmcnt(3)
	v_pk_mul_f32 v[78:79], v[62:63], v[78:79] op_sel_hi:[1,0]
	s_waitcnt vmcnt(10)
	v_pk_fma_f32 v[80:81], v[62:63], v[92:93], v[78:79] op_sel:[0,0,1] op_sel_hi:[1,1,0] neg_lo:[0,0,1] neg_hi:[0,0,1]
	v_pk_fma_f32 v[62:63], v[62:63], v[92:93], v[78:79] op_sel:[0,0,1] op_sel_hi:[1,0,0]
	v_mov_b32_e32 v62, v91
	v_mov_b32_e32 v81, v63
	v_pk_mul_f32 v[62:63], v[64:65], v[62:63] op_sel_hi:[1,0]
	v_mul_f32_e32 v105, v82, v116
	v_mul_f32_e32 v61, v83, v116
	v_pk_fma_f32 v[78:79], v[64:65], v[90:91], v[62:63] op_sel:[0,0,1] op_sel_hi:[1,1,0] neg_lo:[0,0,1] neg_hi:[0,0,1]
	v_pk_fma_f32 v[62:63], v[64:65], v[90:91], v[62:63] op_sel:[0,0,1] op_sel_hi:[1,0,0]
	v_mul_f32_e32 v107, v84, v117
	v_fmac_f32_e32 v105, v83, v127
	v_fma_f32 v104, v82, v127, -v61
	v_mul_f32_e32 v61, v85, v117
	v_mov_b32_e32 v62, v89
	v_fmac_f32_e32 v107, v85, v128
	v_fma_f32 v106, v84, v128, -v61
	v_pk_add_f32 v[60:61], v[108:109], v[104:105]
	v_mov_b32_e32 v79, v63
	s_waitcnt lgkmcnt(2)
	v_pk_mul_f32 v[62:63], v[66:67], v[62:63] op_sel_hi:[1,0]
	v_pk_add_f32 v[60:61], v[60:61], v[106:107]
	v_pk_fma_f32 v[64:65], v[66:67], v[88:89], v[62:63] op_sel:[0,0,1] op_sel_hi:[1,1,0] neg_lo:[0,0,1] neg_hi:[0,0,1]
	v_pk_fma_f32 v[62:63], v[66:67], v[88:89], v[62:63] op_sel:[0,0,1] op_sel_hi:[1,0,0]
	v_pk_add_f32 v[60:61], v[60:61], v[80:81]
	s_waitcnt vmcnt(3)
	v_mov_b32_e32 v62, v101
	v_pk_add_f32 v[60:61], v[60:61], v[78:79]
	v_mov_b32_e32 v65, v63
	v_pk_mul_f32 v[62:63], v[68:69], v[62:63] op_sel_hi:[1,0]
	v_pk_add_f32 v[60:61], v[60:61], v[64:65]
	s_waitcnt vmcnt(2)
	v_pk_fma_f32 v[64:65], v[68:69], v[100:101], v[62:63] op_sel:[0,0,1] op_sel_hi:[1,1,0] neg_lo:[0,0,1] neg_hi:[0,0,1]
	v_pk_fma_f32 v[62:63], v[68:69], v[100:101], v[62:63] op_sel:[0,0,1] op_sel_hi:[1,0,0]
	v_mov_b32_e32 v62, v99
	v_mov_b32_e32 v65, v63
	s_waitcnt lgkmcnt(1)
	v_pk_mul_f32 v[62:63], v[70:71], v[62:63] op_sel_hi:[1,0]
	v_pk_add_f32 v[60:61], v[60:61], v[64:65]
	v_pk_fma_f32 v[64:65], v[70:71], v[98:99], v[62:63] op_sel:[0,0,1] op_sel_hi:[1,1,0] neg_lo:[0,0,1] neg_hi:[0,0,1]
	v_pk_fma_f32 v[62:63], v[70:71], v[98:99], v[62:63] op_sel:[0,0,1] op_sel_hi:[1,0,0]
	v_mov_b32_e32 v62, v97
	v_mov_b32_e32 v65, v63
	v_pk_mul_f32 v[62:63], v[72:73], v[62:63] op_sel_hi:[1,0]
	v_pk_add_f32 v[60:61], v[60:61], v[64:65]
	v_pk_fma_f32 v[64:65], v[72:73], v[96:97], v[62:63] op_sel:[0,0,1] op_sel_hi:[1,1,0] neg_lo:[0,0,1] neg_hi:[0,0,1]
	v_pk_fma_f32 v[62:63], v[72:73], v[96:97], v[62:63] op_sel:[0,0,1] op_sel_hi:[1,0,0]
	v_mov_b32_e32 v62, v95
	v_mov_b32_e32 v65, v63
	s_waitcnt lgkmcnt(0)
	v_pk_mul_f32 v[62:63], v[74:75], v[62:63] op_sel_hi:[1,0]
	v_pk_add_f32 v[60:61], v[60:61], v[64:65]
	v_pk_fma_f32 v[64:65], v[74:75], v[94:95], v[62:63] op_sel:[0,0,1] op_sel_hi:[1,1,0] neg_lo:[0,0,1] neg_hi:[0,0,1]
	v_pk_fma_f32 v[62:63], v[74:75], v[94:95], v[62:63] op_sel:[0,0,1] op_sel_hi:[1,0,0]
	s_waitcnt vmcnt(1)
	v_mov_b32_e32 v62, v103
	v_mov_b32_e32 v65, v63
	v_pk_mul_f32 v[62:63], v[76:77], v[62:63] op_sel_hi:[1,0]
	v_pk_add_f32 v[60:61], v[60:61], v[64:65]
	s_waitcnt vmcnt(0)
	v_pk_fma_f32 v[64:65], v[76:77], v[102:103], v[62:63] op_sel:[0,0,1] op_sel_hi:[1,1,0] neg_lo:[0,0,1] neg_hi:[0,0,1]
	v_pk_fma_f32 v[62:63], v[76:77], v[102:103], v[62:63] op_sel:[0,0,1] op_sel_hi:[1,0,0]
	v_mov_b32_e32 v65, v63
	v_pk_add_f32 v[60:61], v[60:61], v[64:65]
	v_pk_add_f32 v[60:61], v[86:87], v[60:61] neg_lo:[0,1] neg_hi:[0,1]
	buffer_store_dword v61, off, s[0:3], 0 offset:68
	buffer_store_dword v60, off, s[0:3], 0 offset:64
	s_and_saveexec_b64 s[4:5], vcc
	s_cbranch_execz .LBB28_173
; %bb.172:
	buffer_load_dword v60, off, s[0:3], 0 offset:56
	buffer_load_dword v61, off, s[0:3], 0 offset:60
	v_mov_b32_e32 v62, 0
	buffer_store_dword v62, off, s[0:3], 0 offset:56
	buffer_store_dword v62, off, s[0:3], 0 offset:60
	s_waitcnt vmcnt(2)
	ds_write_b64 v1, v[60:61]
.LBB28_173:
	s_or_b64 exec, exec, s[4:5]
	s_waitcnt lgkmcnt(0)
	; wave barrier
	s_waitcnt lgkmcnt(0)
	buffer_load_dword v61, off, s[0:3], 0 offset:68
	buffer_load_dword v112, off, s[0:3], 0 offset:76
	buffer_load_dword v114, off, s[0:3], 0 offset:84
	buffer_load_dword v116, off, s[0:3], 0 offset:92
	buffer_load_dword v118, off, s[0:3], 0 offset:100
	buffer_load_dword v119, off, s[0:3], 0 offset:108
	buffer_load_dword v120, off, s[0:3], 0 offset:116
	buffer_load_dword v121, off, s[0:3], 0 offset:124
	buffer_load_dword v122, off, s[0:3], 0 offset:132
	buffer_load_dword v123, off, s[0:3], 0 offset:140
	buffer_load_dword v124, off, s[0:3], 0 offset:148
	buffer_load_dword v125, off, s[0:3], 0 offset:156
	buffer_load_dword v126, off, s[0:3], 0 offset:164
	buffer_load_dword v127, off, s[0:3], 0 offset:64
	buffer_load_dword v128, off, s[0:3], 0 offset:72
	buffer_load_dword v129, off, s[0:3], 0 offset:80
	buffer_load_dword v130, off, s[0:3], 0 offset:88
	buffer_load_dword v131, off, s[0:3], 0 offset:96
	buffer_load_dword v132, off, s[0:3], 0 offset:104
	buffer_load_dword v133, off, s[0:3], 0 offset:112
	buffer_load_dword v134, off, s[0:3], 0 offset:120
	buffer_load_dword v135, off, s[0:3], 0 offset:128
	buffer_load_dword v136, off, s[0:3], 0 offset:136
	buffer_load_dword v137, off, s[0:3], 0 offset:144
	buffer_load_dword v138, off, s[0:3], 0 offset:152
	buffer_load_dword v139, off, s[0:3], 0 offset:160
	buffer_load_dword v94, off, s[0:3], 0 offset:56
	buffer_load_dword v95, off, s[0:3], 0 offset:60
	buffer_load_dword v97, off, s[0:3], 0 offset:180
	buffer_load_dword v96, off, s[0:3], 0 offset:176
	buffer_load_dword v99, off, s[0:3], 0 offset:172
	buffer_load_dword v98, off, s[0:3], 0 offset:168
	buffer_load_dword v101, off, s[0:3], 0 offset:212
	buffer_load_dword v100, off, s[0:3], 0 offset:208
	buffer_load_dword v103, off, s[0:3], 0 offset:204
	buffer_load_dword v102, off, s[0:3], 0 offset:200
	buffer_load_dword v105, off, s[0:3], 0 offset:196
	buffer_load_dword v104, off, s[0:3], 0 offset:192
	buffer_load_dword v107, off, s[0:3], 0 offset:188
	buffer_load_dword v106, off, s[0:3], 0 offset:184
	buffer_load_dword v109, off, s[0:3], 0 offset:228
	buffer_load_dword v108, off, s[0:3], 0 offset:224
	buffer_load_dword v111, off, s[0:3], 0 offset:220
	buffer_load_dword v110, off, s[0:3], 0 offset:216
	v_mov_b32_e32 v60, 0
	ds_read_b128 v[62:65], v60 offset:304
	ds_read_b128 v[66:69], v60 offset:320
	ds_read_b128 v[70:73], v60 offset:336
	ds_read_b128 v[74:77], v60 offset:352
	ds_read_b128 v[78:81], v60 offset:368
	ds_read_b128 v[82:85], v60 offset:384
	ds_read_b128 v[86:89], v60 offset:400
	ds_read_b128 v[90:93], v60 offset:416
	v_cmp_lt_u32_e32 vcc, 6, v0
	s_waitcnt vmcnt(43) lgkmcnt(7)
	v_mul_f32_e32 v117, v62, v61
	v_mul_f32_e32 v61, v63, v61
	s_waitcnt vmcnt(42)
	v_mul_f32_e32 v140, v64, v112
	s_waitcnt vmcnt(41) lgkmcnt(6)
	v_mul_f32_e32 v141, v66, v114
	s_waitcnt vmcnt(40)
	v_mul_f32_e32 v142, v68, v116
	s_waitcnt vmcnt(39) lgkmcnt(5)
	;; [unrolled: 4-line block ×5, first 2 shown]
	v_mul_f32_e32 v149, v82, v124
	s_waitcnt vmcnt(32)
	v_mul_f32_e32 v113, v84, v125
	s_waitcnt vmcnt(30)
	v_fma_f32 v61, v62, v127, -v61
	v_mul_f32_e32 v62, v65, v112
	v_add_f32_e32 v61, 0, v61
	s_waitcnt vmcnt(29)
	v_fma_f32 v62, v64, v128, -v62
	v_add_f32_e32 v61, v61, v62
	v_mul_f32_e32 v62, v67, v114
	s_waitcnt vmcnt(28)
	v_fma_f32 v62, v66, v129, -v62
	v_add_f32_e32 v61, v61, v62
	v_mul_f32_e32 v62, v69, v116
	;; [unrolled: 4-line block ×4, first 2 shown]
	s_waitcnt vmcnt(25)
	v_fma_f32 v62, v72, v132, -v62
	v_fmac_f32_e32 v117, v63, v127
	v_add_f32_e32 v61, v61, v62
	v_mul_f32_e32 v62, v75, v120
	v_fmac_f32_e32 v140, v65, v128
	v_add_f32_e32 v63, 0, v117
	s_waitcnt vmcnt(24)
	v_fma_f32 v62, v74, v133, -v62
	v_fmac_f32_e32 v141, v67, v129
	v_add_f32_e32 v63, v63, v140
	v_add_f32_e32 v61, v61, v62
	v_mul_f32_e32 v62, v77, v121
	v_fmac_f32_e32 v142, v69, v130
	v_add_f32_e32 v63, v63, v141
	s_waitcnt vmcnt(23)
	v_fma_f32 v62, v76, v134, -v62
	v_fmac_f32_e32 v143, v71, v131
	v_add_f32_e32 v63, v63, v142
	;; [unrolled: 8-line block ×4, first 2 shown]
	v_add_f32_e32 v61, v61, v62
	v_mul_f32_e32 v62, v83, v124
	v_fmac_f32_e32 v148, v81, v136
	v_add_f32_e32 v63, v63, v147
	s_waitcnt vmcnt(20)
	v_fma_f32 v62, v82, v137, -v62
	s_waitcnt vmcnt(13)
	v_mov_b32_e32 v74, v99
	v_fmac_f32_e32 v149, v83, v137
	v_add_f32_e32 v63, v63, v148
	v_add_f32_e32 v116, v61, v62
	v_mul_f32_e32 v61, v85, v125
	s_waitcnt lgkmcnt(1)
	v_pk_mul_f32 v[74:75], v[88:89], v[74:75] op_sel_hi:[1,0]
	v_mul_f32_e32 v115, v86, v126
	v_fmac_f32_e32 v113, v85, v138
	v_add_f32_e32 v117, v63, v149
	v_fma_f32 v112, v84, v138, -v61
	v_mul_f32_e32 v61, v87, v126
	s_waitcnt vmcnt(12)
	v_pk_fma_f32 v[76:77], v[88:89], v[98:99], v[74:75] op_sel:[0,0,1] op_sel_hi:[1,1,0] neg_lo:[0,0,1] neg_hi:[0,0,1]
	v_pk_fma_f32 v[74:75], v[88:89], v[98:99], v[74:75] op_sel:[0,0,1] op_sel_hi:[1,0,0]
	v_fmac_f32_e32 v115, v87, v139
	v_fma_f32 v114, v86, v139, -v61
	v_pk_add_f32 v[72:73], v[116:117], v[112:113]
	v_mov_b32_e32 v74, v97
	v_pk_add_f32 v[72:73], v[72:73], v[114:115]
	v_mov_b32_e32 v77, v75
	s_waitcnt lgkmcnt(0)
	v_pk_mul_f32 v[74:75], v[90:91], v[74:75] op_sel_hi:[1,0]
	v_pk_add_f32 v[72:73], v[72:73], v[76:77]
	v_pk_fma_f32 v[76:77], v[90:91], v[96:97], v[74:75] op_sel:[0,0,1] op_sel_hi:[1,1,0] neg_lo:[0,0,1] neg_hi:[0,0,1]
	v_pk_fma_f32 v[74:75], v[90:91], v[96:97], v[74:75] op_sel:[0,0,1] op_sel_hi:[1,0,0]
	s_waitcnt vmcnt(5)
	v_mov_b32_e32 v74, v107
	ds_read_b128 v[62:65], v60 offset:432
	ds_read_b128 v[66:69], v60 offset:448
	ds_read_b64 v[70:71], v60 offset:464
	v_mov_b32_e32 v77, v75
	v_pk_mul_f32 v[74:75], v[92:93], v[74:75] op_sel_hi:[1,0]
	v_pk_add_f32 v[72:73], v[72:73], v[76:77]
	s_waitcnt vmcnt(4)
	v_pk_fma_f32 v[76:77], v[92:93], v[106:107], v[74:75] op_sel:[0,0,1] op_sel_hi:[1,1,0] neg_lo:[0,0,1] neg_hi:[0,0,1]
	v_pk_fma_f32 v[74:75], v[92:93], v[106:107], v[74:75] op_sel:[0,0,1] op_sel_hi:[1,0,0]
	v_mov_b32_e32 v74, v105
	v_mov_b32_e32 v77, v75
	s_waitcnt lgkmcnt(2)
	v_pk_mul_f32 v[74:75], v[62:63], v[74:75] op_sel_hi:[1,0]
	v_pk_add_f32 v[72:73], v[72:73], v[76:77]
	v_pk_fma_f32 v[76:77], v[62:63], v[104:105], v[74:75] op_sel:[0,0,1] op_sel_hi:[1,1,0] neg_lo:[0,0,1] neg_hi:[0,0,1]
	v_pk_fma_f32 v[62:63], v[62:63], v[104:105], v[74:75] op_sel:[0,0,1] op_sel_hi:[1,0,0]
	v_mov_b32_e32 v77, v63
	v_pk_add_f32 v[62:63], v[72:73], v[76:77]
	v_mov_b32_e32 v72, v103
	v_pk_mul_f32 v[72:73], v[64:65], v[72:73] op_sel_hi:[1,0]
	v_pk_fma_f32 v[74:75], v[64:65], v[102:103], v[72:73] op_sel:[0,0,1] op_sel_hi:[1,1,0] neg_lo:[0,0,1] neg_hi:[0,0,1]
	v_pk_fma_f32 v[64:65], v[64:65], v[102:103], v[72:73] op_sel:[0,0,1] op_sel_hi:[1,0,0]
	v_mov_b32_e32 v64, v101
	v_mov_b32_e32 v75, v65
	s_waitcnt lgkmcnt(1)
	v_pk_mul_f32 v[64:65], v[66:67], v[64:65] op_sel_hi:[1,0]
	v_pk_fma_f32 v[72:73], v[66:67], v[100:101], v[64:65] op_sel:[0,0,1] op_sel_hi:[1,1,0] neg_lo:[0,0,1] neg_hi:[0,0,1]
	v_pk_fma_f32 v[64:65], v[66:67], v[100:101], v[64:65] op_sel:[0,0,1] op_sel_hi:[1,0,0]
	s_waitcnt vmcnt(1)
	v_mov_b32_e32 v64, v111
	v_mov_b32_e32 v73, v65
	v_pk_mul_f32 v[64:65], v[68:69], v[64:65] op_sel_hi:[1,0]
	s_waitcnt vmcnt(0)
	v_pk_fma_f32 v[66:67], v[68:69], v[110:111], v[64:65] op_sel:[0,0,1] op_sel_hi:[1,1,0] neg_lo:[0,0,1] neg_hi:[0,0,1]
	v_pk_fma_f32 v[64:65], v[68:69], v[110:111], v[64:65] op_sel:[0,0,1] op_sel_hi:[1,0,0]
	v_pk_add_f32 v[62:63], v[62:63], v[74:75]
	v_mov_b32_e32 v64, v109
	v_pk_add_f32 v[62:63], v[62:63], v[72:73]
	v_mov_b32_e32 v67, v65
	s_waitcnt lgkmcnt(0)
	v_pk_mul_f32 v[64:65], v[70:71], v[64:65] op_sel_hi:[1,0]
	v_pk_add_f32 v[62:63], v[62:63], v[66:67]
	v_pk_fma_f32 v[66:67], v[70:71], v[108:109], v[64:65] op_sel:[0,0,1] op_sel_hi:[1,1,0] neg_lo:[0,0,1] neg_hi:[0,0,1]
	v_pk_fma_f32 v[64:65], v[70:71], v[108:109], v[64:65] op_sel:[0,0,1] op_sel_hi:[1,0,0]
	v_mov_b32_e32 v67, v65
	v_pk_add_f32 v[62:63], v[62:63], v[66:67]
	v_pk_add_f32 v[62:63], v[94:95], v[62:63] neg_lo:[0,1] neg_hi:[0,1]
	buffer_store_dword v63, off, s[0:3], 0 offset:60
	buffer_store_dword v62, off, s[0:3], 0 offset:56
	s_and_saveexec_b64 s[4:5], vcc
	s_cbranch_execz .LBB28_175
; %bb.174:
	buffer_load_dword v62, off, s[0:3], 0 offset:48
	buffer_load_dword v63, off, s[0:3], 0 offset:52
	s_waitcnt vmcnt(0)
	ds_write_b64 v1, v[62:63]
	buffer_store_dword v60, off, s[0:3], 0 offset:48
	buffer_store_dword v60, off, s[0:3], 0 offset:52
.LBB28_175:
	s_or_b64 exec, exec, s[4:5]
	s_waitcnt lgkmcnt(0)
	; wave barrier
	s_waitcnt lgkmcnt(0)
	buffer_load_dword v61, off, s[0:3], 0 offset:60
	buffer_load_dword v112, off, s[0:3], 0 offset:68
	;; [unrolled: 1-line block ×30, first 2 shown]
	ds_read2_b64 v[62:65], v60 offset0:37 offset1:38
	ds_read2_b64 v[66:69], v60 offset0:39 offset1:40
	;; [unrolled: 1-line block ×6, first 2 shown]
	buffer_load_dword v97, off, s[0:3], 0 offset:172
	buffer_load_dword v96, off, s[0:3], 0 offset:168
	ds_read2_b64 v[86:89], v60 offset0:49 offset1:50
	ds_read2_b64 v[90:93], v60 offset0:51 offset1:52
	buffer_load_dword v99, off, s[0:3], 0 offset:204
	buffer_load_dword v98, off, s[0:3], 0 offset:200
	;; [unrolled: 1-line block ×14, first 2 shown]
	v_cmp_lt_u32_e32 vcc, 5, v0
	s_waitcnt vmcnt(45) lgkmcnt(7)
	v_mul_f32_e32 v115, v62, v61
	v_mul_f32_e32 v61, v63, v61
	s_waitcnt vmcnt(44)
	v_mul_f32_e32 v117, v64, v112
	s_waitcnt vmcnt(43) lgkmcnt(6)
	v_mul_f32_e32 v142, v66, v114
	s_waitcnt vmcnt(42)
	v_mul_f32_e32 v143, v68, v116
	s_waitcnt vmcnt(41) lgkmcnt(5)
	;; [unrolled: 4-line block ×5, first 2 shown]
	v_mul_f32_e32 v150, v82, v124
	s_waitcnt vmcnt(34)
	v_mul_f32_e32 v151, v84, v125
	s_waitcnt vmcnt(32)
	v_fma_f32 v61, v62, v127, -v61
	v_mul_f32_e32 v62, v65, v112
	v_add_f32_e32 v61, 0, v61
	s_waitcnt vmcnt(31)
	v_fma_f32 v62, v64, v128, -v62
	v_add_f32_e32 v61, v61, v62
	v_mul_f32_e32 v62, v67, v114
	s_waitcnt vmcnt(30)
	v_fma_f32 v62, v66, v129, -v62
	v_add_f32_e32 v61, v61, v62
	v_mul_f32_e32 v62, v69, v116
	;; [unrolled: 4-line block ×5, first 2 shown]
	v_fmac_f32_e32 v115, v63, v127
	s_waitcnt vmcnt(26)
	v_fma_f32 v62, v74, v133, -v62
	v_fmac_f32_e32 v117, v65, v128
	v_add_f32_e32 v115, 0, v115
	v_add_f32_e32 v61, v61, v62
	v_mul_f32_e32 v62, v77, v121
	v_fmac_f32_e32 v142, v67, v129
	v_add_f32_e32 v115, v115, v117
	s_waitcnt vmcnt(25)
	v_fma_f32 v62, v76, v134, -v62
	v_fmac_f32_e32 v143, v69, v130
	v_add_f32_e32 v115, v115, v142
	v_add_f32_e32 v61, v61, v62
	v_mul_f32_e32 v62, v79, v122
	v_fmac_f32_e32 v144, v71, v131
	v_add_f32_e32 v115, v115, v143
	;; [unrolled: 8-line block ×5, first 2 shown]
	s_waitcnt vmcnt(21)
	v_fma_f32 v62, v84, v138, -v62
	s_waitcnt vmcnt(15)
	v_mov_b32_e32 v74, v97
	s_waitcnt lgkmcnt(1)
	v_mul_f32_e32 v113, v86, v126
	v_fmac_f32_e32 v151, v85, v138
	v_add_f32_e32 v115, v115, v150
	v_add_f32_e32 v114, v61, v62
	v_mul_f32_e32 v61, v87, v126
	s_waitcnt lgkmcnt(0)
	v_pk_mul_f32 v[74:75], v[90:91], v[74:75] op_sel_hi:[1,0]
	v_fmac_f32_e32 v113, v87, v139
	v_add_f32_e32 v115, v115, v151
	v_mul_f32_e32 v117, v88, v140
	v_fma_f32 v112, v86, v139, -v61
	v_mul_f32_e32 v61, v89, v140
	s_waitcnt vmcnt(14)
	v_pk_fma_f32 v[76:77], v[90:91], v[96:97], v[74:75] op_sel:[0,0,1] op_sel_hi:[1,1,0] neg_lo:[0,0,1] neg_hi:[0,0,1]
	v_pk_fma_f32 v[74:75], v[90:91], v[96:97], v[74:75] op_sel:[0,0,1] op_sel_hi:[1,0,0]
	v_fmac_f32_e32 v117, v89, v141
	v_fma_f32 v116, v88, v141, -v61
	ds_read2_b64 v[62:65], v60 offset0:53 offset1:54
	ds_read2_b64 v[66:69], v60 offset0:55 offset1:56
	;; [unrolled: 1-line block ×3, first 2 shown]
	v_pk_add_f32 v[60:61], v[114:115], v[112:113]
	s_waitcnt vmcnt(7)
	v_mov_b32_e32 v74, v105
	v_pk_add_f32 v[60:61], v[60:61], v[116:117]
	v_mov_b32_e32 v77, v75
	v_pk_mul_f32 v[74:75], v[92:93], v[74:75] op_sel_hi:[1,0]
	v_pk_add_f32 v[60:61], v[60:61], v[76:77]
	s_waitcnt vmcnt(6)
	v_pk_fma_f32 v[76:77], v[92:93], v[104:105], v[74:75] op_sel:[0,0,1] op_sel_hi:[1,1,0] neg_lo:[0,0,1] neg_hi:[0,0,1]
	v_pk_fma_f32 v[74:75], v[92:93], v[104:105], v[74:75] op_sel:[0,0,1] op_sel_hi:[1,0,0]
	v_mov_b32_e32 v74, v103
	v_mov_b32_e32 v77, v75
	s_waitcnt lgkmcnt(2)
	v_pk_mul_f32 v[74:75], v[62:63], v[74:75] op_sel_hi:[1,0]
	v_pk_add_f32 v[60:61], v[60:61], v[76:77]
	v_pk_fma_f32 v[76:77], v[62:63], v[102:103], v[74:75] op_sel:[0,0,1] op_sel_hi:[1,1,0] neg_lo:[0,0,1] neg_hi:[0,0,1]
	v_pk_fma_f32 v[62:63], v[62:63], v[102:103], v[74:75] op_sel:[0,0,1] op_sel_hi:[1,0,0]
	v_mov_b32_e32 v62, v101
	v_mov_b32_e32 v77, v63
	v_pk_mul_f32 v[62:63], v[64:65], v[62:63] op_sel_hi:[1,0]
	v_pk_fma_f32 v[74:75], v[64:65], v[100:101], v[62:63] op_sel:[0,0,1] op_sel_hi:[1,1,0] neg_lo:[0,0,1] neg_hi:[0,0,1]
	v_pk_fma_f32 v[62:63], v[64:65], v[100:101], v[62:63] op_sel:[0,0,1] op_sel_hi:[1,0,0]
	v_mov_b32_e32 v62, v99
	v_mov_b32_e32 v75, v63
	s_waitcnt lgkmcnt(1)
	v_pk_mul_f32 v[62:63], v[66:67], v[62:63] op_sel_hi:[1,0]
	v_pk_fma_f32 v[64:65], v[66:67], v[98:99], v[62:63] op_sel:[0,0,1] op_sel_hi:[1,1,0] neg_lo:[0,0,1] neg_hi:[0,0,1]
	v_pk_fma_f32 v[62:63], v[66:67], v[98:99], v[62:63] op_sel:[0,0,1] op_sel_hi:[1,0,0]
	v_pk_add_f32 v[60:61], v[60:61], v[76:77]
	s_waitcnt vmcnt(1)
	v_mov_b32_e32 v62, v111
	v_pk_add_f32 v[60:61], v[60:61], v[74:75]
	v_mov_b32_e32 v65, v63
	v_pk_mul_f32 v[62:63], v[68:69], v[62:63] op_sel_hi:[1,0]
	v_pk_add_f32 v[60:61], v[60:61], v[64:65]
	s_waitcnt vmcnt(0)
	v_pk_fma_f32 v[64:65], v[68:69], v[110:111], v[62:63] op_sel:[0,0,1] op_sel_hi:[1,1,0] neg_lo:[0,0,1] neg_hi:[0,0,1]
	v_pk_fma_f32 v[62:63], v[68:69], v[110:111], v[62:63] op_sel:[0,0,1] op_sel_hi:[1,0,0]
	v_mov_b32_e32 v62, v109
	v_mov_b32_e32 v65, v63
	s_waitcnt lgkmcnt(0)
	v_pk_mul_f32 v[62:63], v[70:71], v[62:63] op_sel_hi:[1,0]
	v_pk_add_f32 v[60:61], v[60:61], v[64:65]
	v_pk_fma_f32 v[64:65], v[70:71], v[108:109], v[62:63] op_sel:[0,0,1] op_sel_hi:[1,1,0] neg_lo:[0,0,1] neg_hi:[0,0,1]
	v_pk_fma_f32 v[62:63], v[70:71], v[108:109], v[62:63] op_sel:[0,0,1] op_sel_hi:[1,0,0]
	v_mov_b32_e32 v62, v107
	v_mov_b32_e32 v65, v63
	v_pk_mul_f32 v[62:63], v[72:73], v[62:63] op_sel_hi:[1,0]
	v_pk_add_f32 v[60:61], v[60:61], v[64:65]
	v_pk_fma_f32 v[64:65], v[72:73], v[106:107], v[62:63] op_sel:[0,0,1] op_sel_hi:[1,1,0] neg_lo:[0,0,1] neg_hi:[0,0,1]
	v_pk_fma_f32 v[62:63], v[72:73], v[106:107], v[62:63] op_sel:[0,0,1] op_sel_hi:[1,0,0]
	v_mov_b32_e32 v65, v63
	v_pk_add_f32 v[60:61], v[60:61], v[64:65]
	v_pk_add_f32 v[60:61], v[94:95], v[60:61] neg_lo:[0,1] neg_hi:[0,1]
	buffer_store_dword v61, off, s[0:3], 0 offset:52
	buffer_store_dword v60, off, s[0:3], 0 offset:48
	s_and_saveexec_b64 s[4:5], vcc
	s_cbranch_execz .LBB28_177
; %bb.176:
	buffer_load_dword v60, off, s[0:3], 0 offset:40
	buffer_load_dword v61, off, s[0:3], 0 offset:44
	v_mov_b32_e32 v62, 0
	buffer_store_dword v62, off, s[0:3], 0 offset:40
	buffer_store_dword v62, off, s[0:3], 0 offset:44
	s_waitcnt vmcnt(2)
	ds_write_b64 v1, v[60:61]
.LBB28_177:
	s_or_b64 exec, exec, s[4:5]
	s_waitcnt lgkmcnt(0)
	; wave barrier
	s_waitcnt lgkmcnt(0)
	buffer_load_dword v61, off, s[0:3], 0 offset:52
	buffer_load_dword v110, off, s[0:3], 0 offset:60
	;; [unrolled: 1-line block ×32, first 2 shown]
	v_mov_b32_e32 v60, 0
	buffer_load_dword v97, off, s[0:3], 0 offset:196
	buffer_load_dword v96, off, s[0:3], 0 offset:192
	;; [unrolled: 1-line block ×13, first 2 shown]
	ds_read_b128 v[62:65], v60 offset:288
	ds_read_b128 v[66:69], v60 offset:304
	;; [unrolled: 1-line block ×8, first 2 shown]
	v_cmp_lt_u32_e32 vcc, 4, v0
	s_waitcnt vmcnt(44) lgkmcnt(7)
	v_mul_f32_e32 v104, v62, v61
	s_waitcnt vmcnt(43)
	v_mul_f32_e32 v111, v64, v110
	s_waitcnt vmcnt(42) lgkmcnt(6)
	v_mul_f32_e32 v112, v66, v114
	s_waitcnt vmcnt(41)
	v_mul_f32_e32 v113, v68, v116
	;; [unrolled: 4-line block ×6, first 2 shown]
	s_waitcnt vmcnt(32) lgkmcnt(1)
	v_mul_f32_e32 v150, v86, v126
	s_waitcnt vmcnt(31)
	v_fmac_f32_e32 v104, v63, v127
	s_waitcnt vmcnt(30)
	v_fmac_f32_e32 v111, v65, v128
	v_add_f32_e32 v104, 0, v104
	s_waitcnt vmcnt(29)
	v_fmac_f32_e32 v112, v67, v129
	v_add_f32_e32 v104, v104, v111
	;; [unrolled: 3-line block ×12, first 2 shown]
	v_add_f32_e32 v111, v104, v150
	buffer_load_dword v113, off, s[0:3], 0 offset:212
	buffer_load_dword v112, off, s[0:3], 0 offset:208
	;; [unrolled: 1-line block ×3, first 2 shown]
	v_mul_f32_e32 v61, v63, v61
	v_fma_f32 v61, v62, v127, -v61
	v_mul_f32_e32 v62, v65, v110
	v_add_f32_e32 v61, 0, v61
	v_fma_f32 v62, v64, v128, -v62
	v_add_f32_e32 v61, v61, v62
	v_mul_f32_e32 v62, v67, v114
	v_fma_f32 v62, v66, v129, -v62
	v_add_f32_e32 v61, v61, v62
	v_mul_f32_e32 v62, v69, v116
	;; [unrolled: 3-line block ×11, first 2 shown]
	v_fma_f32 v62, v86, v139, -v62
	s_waitcnt vmcnt(9)
	v_mov_b32_e32 v78, v103
	v_mul_f32_e32 v115, v88, v140
	v_add_f32_e32 v110, v61, v62
	v_mul_f32_e32 v61, v89, v140
	s_waitcnt lgkmcnt(0)
	v_pk_mul_f32 v[78:79], v[92:93], v[78:79] op_sel_hi:[1,0]
	v_fmac_f32_e32 v115, v89, v141
	v_mul_f32_e32 v117, v90, v142
	v_fma_f32 v114, v88, v141, -v61
	v_mul_f32_e32 v61, v91, v142
	ds_read_b128 v[62:65], v60 offset:416
	ds_read_b128 v[66:69], v60 offset:432
	;; [unrolled: 1-line block ×3, first 2 shown]
	ds_read_b64 v[74:75], v60 offset:464
	s_waitcnt vmcnt(8)
	v_pk_fma_f32 v[80:81], v[92:93], v[102:103], v[78:79] op_sel:[0,0,1] op_sel_hi:[1,1,0] neg_lo:[0,0,1] neg_hi:[0,0,1]
	v_pk_fma_f32 v[78:79], v[92:93], v[102:103], v[78:79] op_sel:[0,0,1] op_sel_hi:[1,0,0]
	v_fmac_f32_e32 v117, v91, v143
	v_fma_f32 v116, v90, v143, -v61
	v_pk_add_f32 v[76:77], v[110:111], v[114:115]
	v_mov_b32_e32 v78, v101
	v_pk_add_f32 v[76:77], v[76:77], v[116:117]
	v_mov_b32_e32 v81, v79
	s_waitcnt lgkmcnt(3)
	v_pk_mul_f32 v[78:79], v[62:63], v[78:79] op_sel_hi:[1,0]
	v_pk_add_f32 v[76:77], v[76:77], v[80:81]
	v_pk_fma_f32 v[80:81], v[62:63], v[100:101], v[78:79] op_sel:[0,0,1] op_sel_hi:[1,1,0] neg_lo:[0,0,1] neg_hi:[0,0,1]
	v_pk_fma_f32 v[62:63], v[62:63], v[100:101], v[78:79] op_sel:[0,0,1] op_sel_hi:[1,0,0]
	v_mov_b32_e32 v81, v63
	v_pk_add_f32 v[62:63], v[76:77], v[80:81]
	v_mov_b32_e32 v76, v99
	v_pk_mul_f32 v[76:77], v[64:65], v[76:77] op_sel_hi:[1,0]
	v_pk_fma_f32 v[78:79], v[64:65], v[98:99], v[76:77] op_sel:[0,0,1] op_sel_hi:[1,1,0] neg_lo:[0,0,1] neg_hi:[0,0,1]
	v_pk_fma_f32 v[64:65], v[64:65], v[98:99], v[76:77] op_sel:[0,0,1] op_sel_hi:[1,0,0]
	v_mov_b32_e32 v64, v97
	v_mov_b32_e32 v79, v65
	s_waitcnt lgkmcnt(2)
	v_pk_mul_f32 v[64:65], v[66:67], v[64:65] op_sel_hi:[1,0]
	v_pk_fma_f32 v[76:77], v[66:67], v[96:97], v[64:65] op_sel:[0,0,1] op_sel_hi:[1,1,0] neg_lo:[0,0,1] neg_hi:[0,0,1]
	v_pk_fma_f32 v[64:65], v[66:67], v[96:97], v[64:65] op_sel:[0,0,1] op_sel_hi:[1,0,0]
	s_waitcnt vmcnt(7)
	v_mov_b32_e32 v64, v105
	v_mov_b32_e32 v77, v65
	v_pk_mul_f32 v[64:65], v[68:69], v[64:65] op_sel_hi:[1,0]
	v_pk_add_f32 v[62:63], v[62:63], v[78:79]
	v_pk_add_f32 v[62:63], v[62:63], v[76:77]
	s_waitcnt vmcnt(0)
	v_pk_fma_f32 v[66:67], v[68:69], v[104:105], v[64:65] op_sel:[0,0,1] op_sel_hi:[1,1,0] neg_lo:[0,0,1] neg_hi:[0,0,1]
	v_pk_fma_f32 v[64:65], v[68:69], v[104:105], v[64:65] op_sel:[0,0,1] op_sel_hi:[1,0,0]
	v_mov_b32_e32 v64, v113
	v_mov_b32_e32 v67, v65
	s_waitcnt lgkmcnt(1)
	v_pk_mul_f32 v[64:65], v[70:71], v[64:65] op_sel_hi:[1,0]
	v_pk_add_f32 v[62:63], v[62:63], v[66:67]
	v_pk_fma_f32 v[66:67], v[70:71], v[112:113], v[64:65] op_sel:[0,0,1] op_sel_hi:[1,1,0] neg_lo:[0,0,1] neg_hi:[0,0,1]
	v_pk_fma_f32 v[64:65], v[70:71], v[112:113], v[64:65] op_sel:[0,0,1] op_sel_hi:[1,0,0]
	v_mov_b32_e32 v64, v109
	v_mov_b32_e32 v67, v65
	v_pk_mul_f32 v[64:65], v[72:73], v[64:65] op_sel_hi:[1,0]
	v_pk_add_f32 v[62:63], v[62:63], v[66:67]
	v_pk_fma_f32 v[66:67], v[72:73], v[108:109], v[64:65] op_sel:[0,0,1] op_sel_hi:[1,1,0] neg_lo:[0,0,1] neg_hi:[0,0,1]
	v_pk_fma_f32 v[64:65], v[72:73], v[108:109], v[64:65] op_sel:[0,0,1] op_sel_hi:[1,0,0]
	v_mov_b32_e32 v64, v107
	v_mov_b32_e32 v67, v65
	s_waitcnt lgkmcnt(0)
	v_pk_mul_f32 v[64:65], v[74:75], v[64:65] op_sel_hi:[1,0]
	v_pk_add_f32 v[62:63], v[62:63], v[66:67]
	v_pk_fma_f32 v[66:67], v[74:75], v[106:107], v[64:65] op_sel:[0,0,1] op_sel_hi:[1,1,0] neg_lo:[0,0,1] neg_hi:[0,0,1]
	v_pk_fma_f32 v[64:65], v[74:75], v[106:107], v[64:65] op_sel:[0,0,1] op_sel_hi:[1,0,0]
	v_mov_b32_e32 v67, v65
	v_pk_add_f32 v[62:63], v[62:63], v[66:67]
	v_pk_add_f32 v[62:63], v[94:95], v[62:63] neg_lo:[0,1] neg_hi:[0,1]
	buffer_store_dword v63, off, s[0:3], 0 offset:44
	buffer_store_dword v62, off, s[0:3], 0 offset:40
	s_and_saveexec_b64 s[4:5], vcc
	s_cbranch_execz .LBB28_179
; %bb.178:
	buffer_load_dword v62, off, s[0:3], 0 offset:32
	buffer_load_dword v63, off, s[0:3], 0 offset:36
	s_waitcnt vmcnt(0)
	ds_write_b64 v1, v[62:63]
	buffer_store_dword v60, off, s[0:3], 0 offset:32
	buffer_store_dword v60, off, s[0:3], 0 offset:36
.LBB28_179:
	s_or_b64 exec, exec, s[4:5]
	s_waitcnt lgkmcnt(0)
	; wave barrier
	s_waitcnt lgkmcnt(0)
	buffer_load_dword v61, off, s[0:3], 0 offset:44
	buffer_load_dword v110, off, s[0:3], 0 offset:52
	;; [unrolled: 1-line block ×34, first 2 shown]
	ds_read2_b64 v[62:65], v60 offset0:35 offset1:36
	ds_read2_b64 v[66:69], v60 offset0:37 offset1:38
	;; [unrolled: 1-line block ×8, first 2 shown]
	buffer_load_dword v97, off, s[0:3], 0 offset:188
	buffer_load_dword v96, off, s[0:3], 0 offset:184
	;; [unrolled: 1-line block ×9, first 2 shown]
	v_cmp_lt_u32_e32 vcc, 3, v0
	s_waitcnt vmcnt(42) lgkmcnt(7)
	v_mul_f32_e32 v102, v62, v61
	s_waitcnt vmcnt(41)
	v_mul_f32_e32 v106, v64, v110
	s_waitcnt vmcnt(40) lgkmcnt(6)
	v_mul_f32_e32 v107, v66, v112
	s_waitcnt vmcnt(39)
	v_mul_f32_e32 v108, v68, v114
	;; [unrolled: 4-line block ×6, first 2 shown]
	s_waitcnt vmcnt(30) lgkmcnt(1)
	v_mul_f32_e32 v148, v86, v126
	v_mul_f32_e32 v61, v63, v61
	s_waitcnt vmcnt(28)
	v_fmac_f32_e32 v102, v63, v128
	s_waitcnt vmcnt(27)
	v_fmac_f32_e32 v106, v65, v129
	v_add_f32_e32 v102, 0, v102
	s_waitcnt vmcnt(26)
	v_fmac_f32_e32 v107, v67, v130
	v_add_f32_e32 v102, v102, v106
	;; [unrolled: 3-line block ×12, first 2 shown]
	v_add_f32_e32 v111, v102, v148
	buffer_load_dword v107, off, s[0:3], 0 offset:212
	buffer_load_dword v106, off, s[0:3], 0 offset:208
	;; [unrolled: 1-line block ×7, first 2 shown]
	v_fma_f32 v61, v62, v128, -v61
	v_mul_f32_e32 v62, v65, v110
	v_add_f32_e32 v61, 0, v61
	v_fma_f32 v62, v64, v129, -v62
	v_add_f32_e32 v61, v61, v62
	v_mul_f32_e32 v62, v67, v112
	v_fma_f32 v62, v66, v130, -v62
	v_add_f32_e32 v61, v61, v62
	v_mul_f32_e32 v62, v69, v114
	;; [unrolled: 3-line block ×12, first 2 shown]
	s_waitcnt vmcnt(22)
	v_fma_f32 v62, v88, v141, -v62
	v_add_f32_e32 v110, v61, v62
	ds_read2_b64 v[62:65], v60 offset0:51 offset1:52
	ds_read2_b64 v[66:69], v60 offset0:53 offset1:54
	;; [unrolled: 1-line block ×4, first 2 shown]
	s_waitcnt vmcnt(11)
	v_mov_b32_e32 v78, v101
	s_waitcnt lgkmcnt(3)
	v_pk_mul_f32 v[78:79], v[62:63], v[78:79] op_sel_hi:[1,0]
	s_waitcnt vmcnt(10)
	v_pk_fma_f32 v[80:81], v[62:63], v[100:101], v[78:79] op_sel:[0,0,1] op_sel_hi:[1,1,0] neg_lo:[0,0,1] neg_hi:[0,0,1]
	v_pk_fma_f32 v[62:63], v[62:63], v[100:101], v[78:79] op_sel:[0,0,1] op_sel_hi:[1,0,0]
	v_mov_b32_e32 v62, v99
	v_mul_f32_e32 v149, v88, v127
	v_mov_b32_e32 v81, v63
	v_pk_mul_f32 v[62:63], v[64:65], v[62:63] op_sel_hi:[1,0]
	v_fmac_f32_e32 v149, v89, v141
	v_mul_f32_e32 v113, v90, v142
	v_mul_f32_e32 v61, v91, v142
	v_pk_fma_f32 v[78:79], v[64:65], v[98:99], v[62:63] op_sel:[0,0,1] op_sel_hi:[1,1,0] neg_lo:[0,0,1] neg_hi:[0,0,1]
	v_pk_fma_f32 v[62:63], v[64:65], v[98:99], v[62:63] op_sel:[0,0,1] op_sel_hi:[1,0,0]
	v_add_f32_e32 v111, v111, v149
	v_fmac_f32_e32 v113, v91, v143
	v_mul_f32_e32 v115, v92, v144
	v_fma_f32 v112, v90, v143, -v61
	v_mul_f32_e32 v61, v93, v144
	v_mov_b32_e32 v62, v97
	v_fmac_f32_e32 v115, v93, v145
	v_fma_f32 v114, v92, v145, -v61
	v_pk_add_f32 v[60:61], v[110:111], v[112:113]
	v_mov_b32_e32 v79, v63
	s_waitcnt lgkmcnt(2)
	v_pk_mul_f32 v[62:63], v[66:67], v[62:63] op_sel_hi:[1,0]
	v_pk_add_f32 v[60:61], v[60:61], v[114:115]
	v_pk_fma_f32 v[64:65], v[66:67], v[96:97], v[62:63] op_sel:[0,0,1] op_sel_hi:[1,1,0] neg_lo:[0,0,1] neg_hi:[0,0,1]
	v_pk_fma_f32 v[62:63], v[66:67], v[96:97], v[62:63] op_sel:[0,0,1] op_sel_hi:[1,0,0]
	v_pk_add_f32 v[60:61], v[60:61], v[80:81]
	s_waitcnt vmcnt(9)
	v_mov_b32_e32 v62, v103
	v_pk_add_f32 v[60:61], v[60:61], v[78:79]
	v_mov_b32_e32 v65, v63
	v_pk_mul_f32 v[62:63], v[68:69], v[62:63] op_sel_hi:[1,0]
	v_pk_add_f32 v[60:61], v[60:61], v[64:65]
	s_waitcnt vmcnt(2)
	v_pk_fma_f32 v[64:65], v[68:69], v[102:103], v[62:63] op_sel:[0,0,1] op_sel_hi:[1,1,0] neg_lo:[0,0,1] neg_hi:[0,0,1]
	v_pk_fma_f32 v[62:63], v[68:69], v[102:103], v[62:63] op_sel:[0,0,1] op_sel_hi:[1,0,0]
	v_mov_b32_e32 v62, v109
	v_mov_b32_e32 v65, v63
	s_waitcnt lgkmcnt(1)
	v_pk_mul_f32 v[62:63], v[70:71], v[62:63] op_sel_hi:[1,0]
	v_pk_add_f32 v[60:61], v[60:61], v[64:65]
	v_pk_fma_f32 v[64:65], v[70:71], v[108:109], v[62:63] op_sel:[0,0,1] op_sel_hi:[1,1,0] neg_lo:[0,0,1] neg_hi:[0,0,1]
	v_pk_fma_f32 v[62:63], v[70:71], v[108:109], v[62:63] op_sel:[0,0,1] op_sel_hi:[1,0,0]
	v_mov_b32_e32 v62, v107
	v_mov_b32_e32 v65, v63
	v_pk_mul_f32 v[62:63], v[72:73], v[62:63] op_sel_hi:[1,0]
	v_pk_add_f32 v[60:61], v[60:61], v[64:65]
	v_pk_fma_f32 v[64:65], v[72:73], v[106:107], v[62:63] op_sel:[0,0,1] op_sel_hi:[1,1,0] neg_lo:[0,0,1] neg_hi:[0,0,1]
	v_pk_fma_f32 v[62:63], v[72:73], v[106:107], v[62:63] op_sel:[0,0,1] op_sel_hi:[1,0,0]
	v_mov_b32_e32 v62, v105
	v_mov_b32_e32 v65, v63
	s_waitcnt lgkmcnt(0)
	v_pk_mul_f32 v[62:63], v[74:75], v[62:63] op_sel_hi:[1,0]
	v_pk_add_f32 v[60:61], v[60:61], v[64:65]
	v_pk_fma_f32 v[64:65], v[74:75], v[104:105], v[62:63] op_sel:[0,0,1] op_sel_hi:[1,1,0] neg_lo:[0,0,1] neg_hi:[0,0,1]
	v_pk_fma_f32 v[62:63], v[74:75], v[104:105], v[62:63] op_sel:[0,0,1] op_sel_hi:[1,0,0]
	s_waitcnt vmcnt(1)
	v_mov_b32_e32 v62, v117
	v_mov_b32_e32 v65, v63
	v_pk_mul_f32 v[62:63], v[76:77], v[62:63] op_sel_hi:[1,0]
	v_pk_add_f32 v[60:61], v[60:61], v[64:65]
	s_waitcnt vmcnt(0)
	v_pk_fma_f32 v[64:65], v[76:77], v[116:117], v[62:63] op_sel:[0,0,1] op_sel_hi:[1,1,0] neg_lo:[0,0,1] neg_hi:[0,0,1]
	v_pk_fma_f32 v[62:63], v[76:77], v[116:117], v[62:63] op_sel:[0,0,1] op_sel_hi:[1,0,0]
	v_mov_b32_e32 v65, v63
	v_pk_add_f32 v[60:61], v[60:61], v[64:65]
	v_pk_add_f32 v[60:61], v[94:95], v[60:61] neg_lo:[0,1] neg_hi:[0,1]
	buffer_store_dword v61, off, s[0:3], 0 offset:36
	buffer_store_dword v60, off, s[0:3], 0 offset:32
	s_and_saveexec_b64 s[4:5], vcc
	s_cbranch_execz .LBB28_181
; %bb.180:
	buffer_load_dword v60, off, s[0:3], 0 offset:24
	buffer_load_dword v61, off, s[0:3], 0 offset:28
	v_mov_b32_e32 v62, 0
	buffer_store_dword v62, off, s[0:3], 0 offset:24
	buffer_store_dword v62, off, s[0:3], 0 offset:28
	s_waitcnt vmcnt(2)
	ds_write_b64 v1, v[60:61]
.LBB28_181:
	s_or_b64 exec, exec, s[4:5]
	s_waitcnt lgkmcnt(0)
	; wave barrier
	s_waitcnt lgkmcnt(0)
	buffer_load_dword v63, off, s[0:3], 0 offset:36
	buffer_load_dword v116, off, s[0:3], 0 offset:44
	;; [unrolled: 1-line block ×36, first 2 shown]
	v_mov_b32_e32 v62, 0
	buffer_load_dword v105, off, s[0:3], 0 offset:180
	buffer_load_dword v104, off, s[0:3], 0 offset:176
	;; [unrolled: 1-line block ×5, first 2 shown]
	ds_read_b128 v[64:67], v62 offset:272
	ds_read_b128 v[68:71], v62 offset:288
	;; [unrolled: 1-line block ×8, first 2 shown]
	v_cmp_lt_u32_e32 vcc, 2, v0
	s_waitcnt vmcnt(40) lgkmcnt(7)
	v_mul_f32_e32 v96, v64, v63
	s_waitcnt vmcnt(39)
	v_mul_f32_e32 v97, v66, v116
	s_waitcnt vmcnt(38) lgkmcnt(6)
	v_mul_f32_e32 v98, v68, v118
	s_waitcnt vmcnt(37)
	v_mul_f32_e32 v99, v70, v120
	;; [unrolled: 4-line block ×7, first 2 shown]
	s_waitcnt vmcnt(26) lgkmcnt(0)
	v_mul_f32_e32 v117, v92, v136
	s_waitcnt vmcnt(25)
	v_fmac_f32_e32 v96, v65, v137
	s_waitcnt vmcnt(24)
	v_fmac_f32_e32 v97, v67, v138
	v_add_f32_e32 v96, 0, v96
	s_waitcnt vmcnt(23)
	v_fmac_f32_e32 v98, v69, v139
	v_add_f32_e32 v96, v96, v97
	;; [unrolled: 3-line block ×13, first 2 shown]
	v_add_f32_e32 v100, v96, v114
	buffer_load_dword v111, off, s[0:3], 0 offset:212
	buffer_load_dword v110, off, s[0:3], 0 offset:208
	buffer_load_dword v113, off, s[0:3], 0 offset:204
	buffer_load_dword v112, off, s[0:3], 0 offset:200
	buffer_load_dword v115, off, s[0:3], 0 offset:196
	buffer_load_dword v114, off, s[0:3], 0 offset:192
	buffer_load_dword v108, off, s[0:3], 0 offset:184
	s_waitcnt vmcnt(18)
	v_fmac_f32_e32 v117, v93, v151
	ds_read_b128 v[96:99], v62 offset:400
	v_add_f32_e32 v117, v100, v117
	ds_read_b128 v[100:103], v62 offset:416
	buffer_load_dword v123, off, s[0:3], 0 offset:228
	buffer_load_dword v122, off, s[0:3], 0 offset:224
	;; [unrolled: 1-line block ×4, first 2 shown]
	v_mul_f32_e32 v63, v65, v63
	v_fma_f32 v63, v64, v137, -v63
	v_mul_f32_e32 v64, v67, v116
	v_add_f32_e32 v63, 0, v63
	v_fma_f32 v64, v66, v138, -v64
	v_add_f32_e32 v63, v63, v64
	v_mul_f32_e32 v64, v69, v118
	v_fma_f32 v64, v68, v139, -v64
	v_add_f32_e32 v63, v63, v64
	v_mul_f32_e32 v64, v71, v120
	;; [unrolled: 3-line block ×13, first 2 shown]
	v_fma_f32 v64, v92, v151, -v64
	s_waitcnt vmcnt(13)
	v_mov_b32_e32 v76, v107
	v_mul_f32_e32 v119, v94, v152
	v_add_f32_e32 v116, v63, v64
	v_mul_f32_e32 v63, v95, v152
	s_waitcnt lgkmcnt(1)
	v_pk_mul_f32 v[76:77], v[98:99], v[76:77] op_sel_hi:[1,0]
	v_fmac_f32_e32 v119, v95, v153
	v_mul_f32_e32 v121, v96, v154
	v_fma_f32 v118, v94, v153, -v63
	v_mul_f32_e32 v63, v97, v154
	s_waitcnt vmcnt(12)
	v_pk_fma_f32 v[78:79], v[98:99], v[106:107], v[76:77] op_sel:[0,0,1] op_sel_hi:[1,1,0] neg_lo:[0,0,1] neg_hi:[0,0,1]
	v_pk_fma_f32 v[76:77], v[98:99], v[106:107], v[76:77] op_sel:[0,0,1] op_sel_hi:[1,0,0]
	v_fmac_f32_e32 v121, v97, v155
	v_fma_f32 v120, v96, v155, -v63
	v_pk_add_f32 v[74:75], v[116:117], v[118:119]
	v_mov_b32_e32 v76, v105
	v_pk_add_f32 v[74:75], v[74:75], v[120:121]
	v_mov_b32_e32 v79, v77
	s_waitcnt lgkmcnt(0)
	v_pk_mul_f32 v[76:77], v[100:101], v[76:77] op_sel_hi:[1,0]
	v_pk_add_f32 v[74:75], v[74:75], v[78:79]
	v_pk_fma_f32 v[78:79], v[100:101], v[104:105], v[76:77] op_sel:[0,0,1] op_sel_hi:[1,1,0] neg_lo:[0,0,1] neg_hi:[0,0,1]
	v_pk_fma_f32 v[76:77], v[100:101], v[104:105], v[76:77] op_sel:[0,0,1] op_sel_hi:[1,0,0]
	s_waitcnt vmcnt(11)
	v_mov_b32_e32 v76, v109
	ds_read_b128 v[64:67], v62 offset:432
	ds_read_b128 v[68:71], v62 offset:448
	ds_read_b64 v[72:73], v62 offset:464
	v_mov_b32_e32 v79, v77
	v_pk_mul_f32 v[76:77], v[102:103], v[76:77] op_sel_hi:[1,0]
	v_pk_add_f32 v[74:75], v[74:75], v[78:79]
	s_waitcnt vmcnt(4)
	v_pk_fma_f32 v[78:79], v[102:103], v[108:109], v[76:77] op_sel:[0,0,1] op_sel_hi:[1,1,0] neg_lo:[0,0,1] neg_hi:[0,0,1]
	v_pk_fma_f32 v[76:77], v[102:103], v[108:109], v[76:77] op_sel:[0,0,1] op_sel_hi:[1,0,0]
	v_mov_b32_e32 v76, v115
	v_mov_b32_e32 v79, v77
	s_waitcnt lgkmcnt(2)
	v_pk_mul_f32 v[76:77], v[64:65], v[76:77] op_sel_hi:[1,0]
	v_pk_add_f32 v[74:75], v[74:75], v[78:79]
	v_pk_fma_f32 v[78:79], v[64:65], v[114:115], v[76:77] op_sel:[0,0,1] op_sel_hi:[1,1,0] neg_lo:[0,0,1] neg_hi:[0,0,1]
	v_pk_fma_f32 v[64:65], v[64:65], v[114:115], v[76:77] op_sel:[0,0,1] op_sel_hi:[1,0,0]
	v_mov_b32_e32 v79, v65
	v_pk_add_f32 v[64:65], v[74:75], v[78:79]
	v_mov_b32_e32 v74, v113
	v_pk_mul_f32 v[74:75], v[66:67], v[74:75] op_sel_hi:[1,0]
	v_pk_fma_f32 v[76:77], v[66:67], v[112:113], v[74:75] op_sel:[0,0,1] op_sel_hi:[1,1,0] neg_lo:[0,0,1] neg_hi:[0,0,1]
	v_pk_fma_f32 v[66:67], v[66:67], v[112:113], v[74:75] op_sel:[0,0,1] op_sel_hi:[1,0,0]
	v_mov_b32_e32 v66, v111
	v_mov_b32_e32 v77, v67
	s_waitcnt lgkmcnt(1)
	v_pk_mul_f32 v[66:67], v[68:69], v[66:67] op_sel_hi:[1,0]
	v_pk_fma_f32 v[74:75], v[68:69], v[110:111], v[66:67] op_sel:[0,0,1] op_sel_hi:[1,1,0] neg_lo:[0,0,1] neg_hi:[0,0,1]
	v_pk_fma_f32 v[66:67], v[68:69], v[110:111], v[66:67] op_sel:[0,0,1] op_sel_hi:[1,0,0]
	s_waitcnt vmcnt(1)
	v_mov_b32_e32 v66, v125
	v_mov_b32_e32 v75, v67
	v_pk_mul_f32 v[66:67], v[70:71], v[66:67] op_sel_hi:[1,0]
	s_waitcnt vmcnt(0)
	v_pk_fma_f32 v[68:69], v[70:71], v[124:125], v[66:67] op_sel:[0,0,1] op_sel_hi:[1,1,0] neg_lo:[0,0,1] neg_hi:[0,0,1]
	v_pk_fma_f32 v[66:67], v[70:71], v[124:125], v[66:67] op_sel:[0,0,1] op_sel_hi:[1,0,0]
	v_pk_add_f32 v[64:65], v[64:65], v[76:77]
	v_mov_b32_e32 v66, v123
	v_pk_add_f32 v[64:65], v[64:65], v[74:75]
	v_mov_b32_e32 v69, v67
	s_waitcnt lgkmcnt(0)
	v_pk_mul_f32 v[66:67], v[72:73], v[66:67] op_sel_hi:[1,0]
	v_pk_add_f32 v[64:65], v[64:65], v[68:69]
	v_pk_fma_f32 v[68:69], v[72:73], v[122:123], v[66:67] op_sel:[0,0,1] op_sel_hi:[1,1,0] neg_lo:[0,0,1] neg_hi:[0,0,1]
	v_pk_fma_f32 v[66:67], v[72:73], v[122:123], v[66:67] op_sel:[0,0,1] op_sel_hi:[1,0,0]
	v_mov_b32_e32 v69, v67
	v_pk_add_f32 v[64:65], v[64:65], v[68:69]
	v_pk_add_f32 v[60:61], v[60:61], v[64:65] neg_lo:[0,1] neg_hi:[0,1]
	buffer_store_dword v61, off, s[0:3], 0 offset:28
	buffer_store_dword v60, off, s[0:3], 0 offset:24
	s_and_saveexec_b64 s[4:5], vcc
	s_cbranch_execz .LBB28_183
; %bb.182:
	buffer_load_dword v60, off, s[0:3], 0 offset:16
	buffer_load_dword v61, off, s[0:3], 0 offset:20
	s_waitcnt vmcnt(0)
	ds_write_b64 v1, v[60:61]
	buffer_store_dword v62, off, s[0:3], 0 offset:16
	buffer_store_dword v62, off, s[0:3], 0 offset:20
.LBB28_183:
	s_or_b64 exec, exec, s[4:5]
	s_waitcnt lgkmcnt(0)
	; wave barrier
	s_waitcnt lgkmcnt(0)
	buffer_load_dword v60, off, s[0:3], 0 offset:28
	buffer_load_dword v61, off, s[0:3], 0 offset:36
	;; [unrolled: 1-line block ×38, first 2 shown]
	ds_read2_b64 v[64:67], v62 offset0:33 offset1:34
	ds_read2_b64 v[68:71], v62 offset0:35 offset1:36
	;; [unrolled: 1-line block ×8, first 2 shown]
	buffer_load_dword v107, off, s[0:3], 0 offset:172
	buffer_load_dword v106, off, s[0:3], 0 offset:168
	buffer_load_dword v109, off, s[0:3], 0 offset:204
	buffer_load_dword v108, off, s[0:3], 0 offset:200
	v_cmp_lt_u32_e32 vcc, 1, v0
	s_waitcnt vmcnt(41) lgkmcnt(7)
	v_mul_f32_e32 v96, v64, v60
	s_waitcnt vmcnt(40)
	v_mul_f32_e32 v97, v66, v61
	s_waitcnt vmcnt(39) lgkmcnt(6)
	v_mul_f32_e32 v98, v68, v63
	s_waitcnt vmcnt(38)
	v_mul_f32_e32 v99, v70, v116
	;; [unrolled: 4-line block ×7, first 2 shown]
	s_waitcnt vmcnt(27) lgkmcnt(0)
	v_mul_f32_e32 v117, v92, v136
	s_waitcnt vmcnt(26)
	v_fmac_f32_e32 v96, v65, v137
	s_waitcnt vmcnt(25)
	v_fmac_f32_e32 v97, v67, v138
	v_add_f32_e32 v96, 0, v96
	s_waitcnt vmcnt(24)
	v_fmac_f32_e32 v98, v69, v139
	v_add_f32_e32 v96, v96, v97
	;; [unrolled: 3-line block ×13, first 2 shown]
	v_add_f32_e32 v96, v96, v115
	buffer_load_dword v111, off, s[0:3], 0 offset:196
	buffer_load_dword v110, off, s[0:3], 0 offset:192
	;; [unrolled: 1-line block ×6, first 2 shown]
	s_waitcnt vmcnt(18)
	v_fmac_f32_e32 v117, v93, v151
	s_waitcnt vmcnt(17)
	v_mul_f32_e32 v101, v94, v152
	v_add_f32_e32 v100, v96, v117
	s_waitcnt vmcnt(16)
	v_fmac_f32_e32 v101, v95, v153
	ds_read2_b64 v[96:99], v62 offset0:49 offset1:50
	v_add_f32_e32 v117, v100, v101
	ds_read2_b64 v[100:103], v62 offset0:51 offset1:52
	buffer_load_dword v123, off, s[0:3], 0 offset:228
	buffer_load_dword v122, off, s[0:3], 0 offset:224
	;; [unrolled: 1-line block ×6, first 2 shown]
	v_mul_f32_e32 v60, v65, v60
	v_fma_f32 v60, v64, v137, -v60
	v_mul_f32_e32 v61, v67, v61
	v_add_f32_e32 v60, 0, v60
	v_fma_f32 v61, v66, v138, -v61
	v_add_f32_e32 v60, v60, v61
	v_mul_f32_e32 v61, v69, v63
	v_fma_f32 v61, v68, v139, -v61
	v_add_f32_e32 v60, v60, v61
	v_mul_f32_e32 v61, v71, v116
	;; [unrolled: 3-line block ×14, first 2 shown]
	v_fma_f32 v61, v94, v153, -v61
	s_waitcnt vmcnt(15)
	v_mov_b32_e32 v74, v107
	s_waitcnt lgkmcnt(1)
	v_mul_f32_e32 v119, v96, v154
	v_add_f32_e32 v116, v60, v61
	v_mul_f32_e32 v60, v97, v154
	s_waitcnt lgkmcnt(0)
	v_pk_mul_f32 v[74:75], v[100:101], v[74:75] op_sel_hi:[1,0]
	v_fmac_f32_e32 v119, v97, v155
	v_mul_f32_e32 v121, v98, v156
	v_fma_f32 v118, v96, v155, -v60
	v_mul_f32_e32 v60, v99, v156
	s_waitcnt vmcnt(14)
	v_pk_fma_f32 v[76:77], v[100:101], v[106:107], v[74:75] op_sel:[0,0,1] op_sel_hi:[1,1,0] neg_lo:[0,0,1] neg_hi:[0,0,1]
	v_pk_fma_f32 v[74:75], v[100:101], v[106:107], v[74:75] op_sel:[0,0,1] op_sel_hi:[1,0,0]
	v_fmac_f32_e32 v121, v99, v157
	v_fma_f32 v120, v98, v157, -v60
	v_pk_add_f32 v[72:73], v[116:117], v[118:119]
	ds_read2_b64 v[64:67], v62 offset0:53 offset1:54
	ds_read2_b64 v[68:71], v62 offset0:55 offset1:56
	ds_read2_b64 v[60:63], v62 offset0:57 offset1:58
	v_pk_add_f32 v[72:73], v[72:73], v[120:121]
	v_mov_b32_e32 v77, v75
	v_pk_add_f32 v[72:73], v[72:73], v[76:77]
	s_waitcnt vmcnt(7)
	v_mov_b32_e32 v74, v115
	v_pk_mul_f32 v[74:75], v[102:103], v[74:75] op_sel_hi:[1,0]
	s_waitcnt vmcnt(6)
	v_pk_fma_f32 v[76:77], v[102:103], v[114:115], v[74:75] op_sel:[0,0,1] op_sel_hi:[1,1,0] neg_lo:[0,0,1] neg_hi:[0,0,1]
	v_pk_fma_f32 v[74:75], v[102:103], v[114:115], v[74:75] op_sel:[0,0,1] op_sel_hi:[1,0,0]
	v_mov_b32_e32 v74, v113
	v_mov_b32_e32 v77, v75
	s_waitcnt lgkmcnt(2)
	v_pk_mul_f32 v[74:75], v[64:65], v[74:75] op_sel_hi:[1,0]
	v_pk_add_f32 v[72:73], v[72:73], v[76:77]
	v_pk_fma_f32 v[76:77], v[64:65], v[112:113], v[74:75] op_sel:[0,0,1] op_sel_hi:[1,1,0] neg_lo:[0,0,1] neg_hi:[0,0,1]
	v_pk_fma_f32 v[64:65], v[64:65], v[112:113], v[74:75] op_sel:[0,0,1] op_sel_hi:[1,0,0]
	v_mov_b32_e32 v77, v65
	v_pk_add_f32 v[64:65], v[72:73], v[76:77]
	v_mov_b32_e32 v72, v111
	v_pk_mul_f32 v[72:73], v[66:67], v[72:73] op_sel_hi:[1,0]
	v_pk_fma_f32 v[74:75], v[66:67], v[110:111], v[72:73] op_sel:[0,0,1] op_sel_hi:[1,1,0] neg_lo:[0,0,1] neg_hi:[0,0,1]
	v_pk_fma_f32 v[66:67], v[66:67], v[110:111], v[72:73] op_sel:[0,0,1] op_sel_hi:[1,0,0]
	v_mov_b32_e32 v66, v109
	v_mov_b32_e32 v75, v67
	s_waitcnt lgkmcnt(1)
	v_pk_mul_f32 v[66:67], v[68:69], v[66:67] op_sel_hi:[1,0]
	v_pk_fma_f32 v[72:73], v[68:69], v[108:109], v[66:67] op_sel:[0,0,1] op_sel_hi:[1,1,0] neg_lo:[0,0,1] neg_hi:[0,0,1]
	v_pk_fma_f32 v[66:67], v[68:69], v[108:109], v[66:67] op_sel:[0,0,1] op_sel_hi:[1,0,0]
	s_waitcnt vmcnt(1)
	v_mov_b32_e32 v66, v127
	v_mov_b32_e32 v73, v67
	v_pk_mul_f32 v[66:67], v[70:71], v[66:67] op_sel_hi:[1,0]
	s_waitcnt vmcnt(0)
	v_pk_fma_f32 v[68:69], v[70:71], v[126:127], v[66:67] op_sel:[0,0,1] op_sel_hi:[1,1,0] neg_lo:[0,0,1] neg_hi:[0,0,1]
	v_pk_fma_f32 v[66:67], v[70:71], v[126:127], v[66:67] op_sel:[0,0,1] op_sel_hi:[1,0,0]
	v_pk_add_f32 v[64:65], v[64:65], v[74:75]
	v_mov_b32_e32 v66, v125
	v_pk_add_f32 v[64:65], v[64:65], v[72:73]
	v_mov_b32_e32 v69, v67
	s_waitcnt lgkmcnt(0)
	v_pk_mul_f32 v[66:67], v[60:61], v[66:67] op_sel_hi:[1,0]
	v_pk_add_f32 v[64:65], v[64:65], v[68:69]
	v_pk_fma_f32 v[68:69], v[60:61], v[124:125], v[66:67] op_sel:[0,0,1] op_sel_hi:[1,1,0] neg_lo:[0,0,1] neg_hi:[0,0,1]
	v_pk_fma_f32 v[60:61], v[60:61], v[124:125], v[66:67] op_sel:[0,0,1] op_sel_hi:[1,0,0]
	v_mov_b32_e32 v69, v61
	v_pk_add_f32 v[60:61], v[64:65], v[68:69]
	v_mov_b32_e32 v64, v123
	v_pk_mul_f32 v[64:65], v[62:63], v[64:65] op_sel_hi:[1,0]
	v_pk_fma_f32 v[66:67], v[62:63], v[122:123], v[64:65] op_sel:[0,0,1] op_sel_hi:[1,1,0] neg_lo:[0,0,1] neg_hi:[0,0,1]
	v_pk_fma_f32 v[62:63], v[62:63], v[122:123], v[64:65] op_sel:[0,0,1] op_sel_hi:[1,0,0]
	v_mov_b32_e32 v67, v63
	v_pk_add_f32 v[60:61], v[60:61], v[66:67]
	v_pk_add_f32 v[60:61], v[104:105], v[60:61] neg_lo:[0,1] neg_hi:[0,1]
	buffer_store_dword v61, off, s[0:3], 0 offset:20
	buffer_store_dword v60, off, s[0:3], 0 offset:16
	s_and_saveexec_b64 s[4:5], vcc
	s_cbranch_execz .LBB28_185
; %bb.184:
	buffer_load_dword v60, off, s[0:3], 0 offset:8
	buffer_load_dword v61, off, s[0:3], 0 offset:12
	v_mov_b32_e32 v62, 0
	buffer_store_dword v62, off, s[0:3], 0 offset:8
	buffer_store_dword v62, off, s[0:3], 0 offset:12
	s_waitcnt vmcnt(2)
	ds_write_b64 v1, v[60:61]
.LBB28_185:
	s_or_b64 exec, exec, s[4:5]
	s_waitcnt lgkmcnt(0)
	; wave barrier
	s_waitcnt lgkmcnt(0)
	buffer_load_dword v63, off, s[0:3], 0 offset:20
	buffer_load_dword v112, off, s[0:3], 0 offset:28
	;; [unrolled: 1-line block ×40, first 2 shown]
	v_mov_b32_e32 v62, 0
	ds_read_b128 v[64:67], v62 offset:256
	ds_read_b128 v[68:71], v62 offset:272
	;; [unrolled: 1-line block ×8, first 2 shown]
	v_cmp_ne_u32_e32 vcc, 0, v0
	s_waitcnt vmcnt(39) lgkmcnt(7)
	v_mul_f32_e32 v96, v64, v63
	s_waitcnt vmcnt(38)
	v_mul_f32_e32 v97, v66, v112
	s_waitcnt vmcnt(37) lgkmcnt(6)
	v_mul_f32_e32 v98, v68, v114
	s_waitcnt vmcnt(36)
	v_mul_f32_e32 v99, v70, v116
	;; [unrolled: 4-line block ×8, first 2 shown]
	s_waitcnt vmcnt(23)
	v_fmac_f32_e32 v96, v65, v138
	s_waitcnt vmcnt(22)
	v_fmac_f32_e32 v97, v67, v139
	v_add_f32_e32 v96, 0, v96
	s_waitcnt vmcnt(21)
	v_fmac_f32_e32 v98, v69, v140
	v_add_f32_e32 v96, v96, v97
	;; [unrolled: 3-line block ×14, first 2 shown]
	v_add_f32_e32 v96, v96, v110
	s_waitcnt vmcnt(8)
	v_fmac_f32_e32 v111, v95, v153
	v_add_f32_e32 v113, v96, v111
	ds_read_b128 v[96:99], v62 offset:384
	buffer_load_dword v105, off, s[0:3], 0 offset:172
	buffer_load_dword v107, off, s[0:3], 0 offset:196
	;; [unrolled: 1-line block ×8, first 2 shown]
	ds_read_b128 v[100:103], v62 offset:400
	buffer_load_dword v119, off, s[0:3], 0 offset:228
	buffer_load_dword v118, off, s[0:3], 0 offset:224
	;; [unrolled: 1-line block ×8, first 2 shown]
	v_mul_f32_e32 v63, v65, v63
	v_fma_f32 v63, v64, v138, -v63
	v_mul_f32_e32 v64, v67, v112
	v_add_f32_e32 v63, 0, v63
	v_fma_f32 v64, v66, v139, -v64
	v_add_f32_e32 v63, v63, v64
	v_mul_f32_e32 v64, v69, v114
	v_fma_f32 v64, v68, v140, -v64
	v_add_f32_e32 v63, v63, v64
	v_mul_f32_e32 v64, v71, v116
	;; [unrolled: 3-line block ×14, first 2 shown]
	v_fma_f32 v64, v94, v153, -v64
	s_waitcnt vmcnt(23) lgkmcnt(1)
	v_mul_f32_e32 v115, v96, v154
	v_add_f32_e32 v63, v63, v64
	v_mul_f32_e32 v64, v97, v154
	s_waitcnt vmcnt(22)
	v_fmac_f32_e32 v115, v97, v155
	v_fma_f32 v64, v96, v155, -v64
	v_add_f32_e32 v113, v113, v115
	s_waitcnt vmcnt(21)
	v_mul_f32_e32 v115, v98, v156
	v_add_f32_e32 v112, v63, v64
	v_mul_f32_e32 v63, v99, v156
	s_waitcnt vmcnt(20)
	v_fmac_f32_e32 v115, v99, v157
	s_waitcnt vmcnt(19) lgkmcnt(0)
	v_mul_f32_e32 v117, v100, v158
	v_fma_f32 v114, v98, v157, -v63
	v_mul_f32_e32 v63, v101, v158
	ds_read_b128 v[64:67], v62 offset:416
	ds_read_b128 v[68:71], v62 offset:432
	;; [unrolled: 1-line block ×3, first 2 shown]
	ds_read_b64 v[76:77], v62 offset:464
	s_waitcnt vmcnt(18)
	v_fmac_f32_e32 v117, v101, v159
	v_fma_f32 v116, v100, v159, -v63
	v_pk_add_f32 v[78:79], v[112:113], v[114:115]
	v_pk_add_f32 v[78:79], v[78:79], v[116:117]
	s_waitcnt vmcnt(15)
	v_mov_b32_e32 v80, v105
	v_pk_mul_f32 v[80:81], v[102:103], v[80:81] op_sel_hi:[1,0]
	s_waitcnt vmcnt(8)
	v_pk_fma_f32 v[82:83], v[102:103], v[104:105], v[80:81] op_sel:[0,0,1] op_sel_hi:[1,1,0] neg_lo:[0,0,1] neg_hi:[0,0,1]
	v_pk_fma_f32 v[80:81], v[102:103], v[104:105], v[80:81] op_sel:[0,0,1] op_sel_hi:[1,0,0]
	v_mov_b32_e32 v80, v111
	v_mov_b32_e32 v83, v81
	s_waitcnt lgkmcnt(3)
	v_pk_mul_f32 v[80:81], v[64:65], v[80:81] op_sel_hi:[1,0]
	v_pk_add_f32 v[78:79], v[78:79], v[82:83]
	v_pk_fma_f32 v[82:83], v[64:65], v[110:111], v[80:81] op_sel:[0,0,1] op_sel_hi:[1,1,0] neg_lo:[0,0,1] neg_hi:[0,0,1]
	v_pk_fma_f32 v[64:65], v[64:65], v[110:111], v[80:81] op_sel:[0,0,1] op_sel_hi:[1,0,0]
	v_mov_b32_e32 v83, v65
	v_pk_add_f32 v[64:65], v[78:79], v[82:83]
	v_mov_b32_e32 v78, v109
	v_pk_mul_f32 v[78:79], v[66:67], v[78:79] op_sel_hi:[1,0]
	v_pk_fma_f32 v[80:81], v[66:67], v[108:109], v[78:79] op_sel:[0,0,1] op_sel_hi:[1,1,0] neg_lo:[0,0,1] neg_hi:[0,0,1]
	v_pk_fma_f32 v[66:67], v[66:67], v[108:109], v[78:79] op_sel:[0,0,1] op_sel_hi:[1,0,0]
	v_mov_b32_e32 v66, v107
	v_mov_b32_e32 v81, v67
	s_waitcnt lgkmcnt(2)
	v_pk_mul_f32 v[66:67], v[68:69], v[66:67] op_sel_hi:[1,0]
	v_pk_fma_f32 v[78:79], v[68:69], v[106:107], v[66:67] op_sel:[0,0,1] op_sel_hi:[1,1,0] neg_lo:[0,0,1] neg_hi:[0,0,1]
	v_pk_fma_f32 v[66:67], v[68:69], v[106:107], v[66:67] op_sel:[0,0,1] op_sel_hi:[1,0,0]
	s_waitcnt vmcnt(1)
	v_mov_b32_e32 v66, v125
	v_mov_b32_e32 v79, v67
	v_pk_mul_f32 v[66:67], v[70:71], v[66:67] op_sel_hi:[1,0]
	s_waitcnt vmcnt(0)
	v_pk_fma_f32 v[68:69], v[70:71], v[124:125], v[66:67] op_sel:[0,0,1] op_sel_hi:[1,1,0] neg_lo:[0,0,1] neg_hi:[0,0,1]
	v_pk_fma_f32 v[66:67], v[70:71], v[124:125], v[66:67] op_sel:[0,0,1] op_sel_hi:[1,0,0]
	v_pk_add_f32 v[64:65], v[64:65], v[80:81]
	v_mov_b32_e32 v66, v123
	v_pk_add_f32 v[64:65], v[64:65], v[78:79]
	v_mov_b32_e32 v69, v67
	s_waitcnt lgkmcnt(1)
	v_pk_mul_f32 v[66:67], v[72:73], v[66:67] op_sel_hi:[1,0]
	v_pk_add_f32 v[64:65], v[64:65], v[68:69]
	v_pk_fma_f32 v[68:69], v[72:73], v[122:123], v[66:67] op_sel:[0,0,1] op_sel_hi:[1,1,0] neg_lo:[0,0,1] neg_hi:[0,0,1]
	v_pk_fma_f32 v[66:67], v[72:73], v[122:123], v[66:67] op_sel:[0,0,1] op_sel_hi:[1,0,0]
	v_mov_b32_e32 v66, v121
	v_mov_b32_e32 v69, v67
	v_pk_mul_f32 v[66:67], v[74:75], v[66:67] op_sel_hi:[1,0]
	v_pk_add_f32 v[64:65], v[64:65], v[68:69]
	v_pk_fma_f32 v[68:69], v[74:75], v[120:121], v[66:67] op_sel:[0,0,1] op_sel_hi:[1,1,0] neg_lo:[0,0,1] neg_hi:[0,0,1]
	v_pk_fma_f32 v[66:67], v[74:75], v[120:121], v[66:67] op_sel:[0,0,1] op_sel_hi:[1,0,0]
	v_mov_b32_e32 v66, v119
	v_mov_b32_e32 v69, v67
	s_waitcnt lgkmcnt(0)
	v_pk_mul_f32 v[66:67], v[76:77], v[66:67] op_sel_hi:[1,0]
	v_pk_add_f32 v[64:65], v[64:65], v[68:69]
	v_pk_fma_f32 v[68:69], v[76:77], v[118:119], v[66:67] op_sel:[0,0,1] op_sel_hi:[1,1,0] neg_lo:[0,0,1] neg_hi:[0,0,1]
	v_pk_fma_f32 v[66:67], v[76:77], v[118:119], v[66:67] op_sel:[0,0,1] op_sel_hi:[1,0,0]
	v_mov_b32_e32 v69, v67
	v_pk_add_f32 v[64:65], v[64:65], v[68:69]
	v_pk_add_f32 v[60:61], v[60:61], v[64:65] neg_lo:[0,1] neg_hi:[0,1]
	buffer_store_dword v61, off, s[0:3], 0 offset:12
	buffer_store_dword v60, off, s[0:3], 0 offset:8
	s_and_saveexec_b64 s[4:5], vcc
	s_cbranch_execz .LBB28_187
; %bb.186:
	buffer_load_dword v60, off, s[0:3], 0
	buffer_load_dword v61, off, s[0:3], 0 offset:4
	s_waitcnt vmcnt(0)
	ds_write_b64 v1, v[60:61]
	buffer_store_dword v62, off, s[0:3], 0
	buffer_store_dword v62, off, s[0:3], 0 offset:4
.LBB28_187:
	s_or_b64 exec, exec, s[4:5]
	s_waitcnt lgkmcnt(0)
	; wave barrier
	s_waitcnt lgkmcnt(0)
	buffer_load_dword v60, off, s[0:3], 0 offset:12
	buffer_load_dword v61, off, s[0:3], 0 offset:20
	;; [unrolled: 1-line block ×40, first 2 shown]
	buffer_load_dword v0, off, s[0:3], 0
	buffer_load_dword v1, off, s[0:3], 0 offset:4
	ds_read2_b64 v[64:67], v62 offset0:31 offset1:32
	ds_read2_b64 v[68:71], v62 offset0:33 offset1:34
	;; [unrolled: 1-line block ×8, first 2 shown]
	s_and_b64 vcc, exec, s[20:21]
	s_waitcnt vmcnt(41) lgkmcnt(7)
	v_mul_f32_e32 v96, v64, v60
	s_waitcnt vmcnt(40)
	v_mul_f32_e32 v97, v66, v61
	s_waitcnt vmcnt(39) lgkmcnt(6)
	v_mul_f32_e32 v98, v68, v63
	s_waitcnt vmcnt(38)
	v_mul_f32_e32 v99, v70, v104
	;; [unrolled: 4-line block ×7, first 2 shown]
	s_waitcnt vmcnt(27) lgkmcnt(0)
	v_mul_f32_e32 v112, v92, v134
	s_waitcnt vmcnt(26)
	v_fmac_f32_e32 v96, v65, v135
	s_waitcnt vmcnt(25)
	v_fmac_f32_e32 v97, v67, v136
	v_add_f32_e32 v96, 0, v96
	s_waitcnt vmcnt(24)
	v_fmac_f32_e32 v98, v69, v137
	v_add_f32_e32 v96, v96, v97
	;; [unrolled: 3-line block ×14, first 2 shown]
	s_waitcnt vmcnt(11)
	v_mul_f32_e32 v101, v94, v150
	v_add_f32_e32 v100, v96, v112
	s_waitcnt vmcnt(10)
	v_fmac_f32_e32 v101, v95, v151
	ds_read2_b64 v[96:99], v62 offset0:47 offset1:48
	v_add_f32_e32 v105, v100, v101
	ds_read2_b64 v[100:103], v62 offset0:49 offset1:50
	buffer_load_dword v109, off, s[0:3], 0 offset:172
	buffer_load_dword v111, off, s[0:3], 0 offset:188
	;; [unrolled: 1-line block ×16, first 2 shown]
	v_mul_f32_e32 v60, v65, v60
	v_fma_f32 v60, v64, v135, -v60
	v_mul_f32_e32 v61, v67, v61
	v_add_f32_e32 v60, 0, v60
	v_fma_f32 v61, v66, v136, -v61
	v_add_f32_e32 v60, v60, v61
	v_mul_f32_e32 v61, v69, v63
	v_fma_f32 v61, v68, v137, -v61
	v_add_f32_e32 v60, v60, v61
	v_mul_f32_e32 v61, v71, v104
	;; [unrolled: 3-line block ×14, first 2 shown]
	v_fma_f32 v61, v94, v151, -v61
	v_add_f32_e32 v60, v60, v61
	s_waitcnt vmcnt(25) lgkmcnt(1)
	v_mul_f32_e32 v61, v97, v152
	s_waitcnt vmcnt(24)
	v_fma_f32 v61, v96, v153, -v61
	v_add_f32_e32 v60, v60, v61
	s_waitcnt vmcnt(23)
	v_mul_f32_e32 v61, v99, v154
	v_mul_f32_e32 v107, v96, v152
	s_waitcnt vmcnt(22)
	v_fma_f32 v61, v98, v155, -v61
	v_fmac_f32_e32 v107, v97, v153
	v_add_f32_e32 v104, v60, v61
	s_waitcnt vmcnt(21) lgkmcnt(0)
	v_mul_f32_e32 v60, v101, v156
	v_add_f32_e32 v105, v105, v107
	v_mul_f32_e32 v107, v98, v154
	s_waitcnt vmcnt(20)
	v_fma_f32 v106, v100, v157, -v60
	s_waitcnt vmcnt(19)
	v_mul_f32_e32 v60, v103, v158
	v_fmac_f32_e32 v107, v99, v155
	s_waitcnt vmcnt(18)
	v_fma_f32 v114, v102, v159, -v60
	ds_read2_b64 v[64:67], v62 offset0:51 offset1:52
	ds_read2_b64 v[68:71], v62 offset0:53 offset1:54
	;; [unrolled: 1-line block ×4, first 2 shown]
	v_add_f32_e32 v105, v105, v107
	v_mul_f32_e32 v107, v100, v156
	v_fmac_f32_e32 v107, v101, v157
	v_mul_f32_e32 v115, v102, v158
	v_fmac_f32_e32 v115, v103, v159
	v_pk_add_f32 v[76:77], v[104:105], v[106:107]
	v_pk_add_f32 v[76:77], v[76:77], v[114:115]
	s_waitcnt vmcnt(15)
	v_mov_b32_e32 v78, v109
	s_waitcnt lgkmcnt(3)
	v_pk_mul_f32 v[78:79], v[64:65], v[78:79] op_sel_hi:[1,0]
	s_waitcnt vmcnt(10)
	v_pk_fma_f32 v[80:81], v[64:65], v[108:109], v[78:79] op_sel:[0,0,1] op_sel_hi:[1,1,0] neg_lo:[0,0,1] neg_hi:[0,0,1]
	v_pk_fma_f32 v[64:65], v[64:65], v[108:109], v[78:79] op_sel:[0,0,1] op_sel_hi:[1,0,0]
	v_mov_b32_e32 v81, v65
	v_pk_add_f32 v[64:65], v[76:77], v[80:81]
	v_mov_b32_e32 v76, v113
	v_pk_mul_f32 v[76:77], v[66:67], v[76:77] op_sel_hi:[1,0]
	v_pk_fma_f32 v[78:79], v[66:67], v[112:113], v[76:77] op_sel:[0,0,1] op_sel_hi:[1,1,0] neg_lo:[0,0,1] neg_hi:[0,0,1]
	v_pk_fma_f32 v[66:67], v[66:67], v[112:113], v[76:77] op_sel:[0,0,1] op_sel_hi:[1,0,0]
	v_mov_b32_e32 v66, v111
	v_mov_b32_e32 v79, v67
	s_waitcnt lgkmcnt(2)
	v_pk_mul_f32 v[66:67], v[68:69], v[66:67] op_sel_hi:[1,0]
	v_pk_fma_f32 v[76:77], v[68:69], v[110:111], v[66:67] op_sel:[0,0,1] op_sel_hi:[1,1,0] neg_lo:[0,0,1] neg_hi:[0,0,1]
	v_pk_fma_f32 v[66:67], v[68:69], v[110:111], v[66:67] op_sel:[0,0,1] op_sel_hi:[1,0,0]
	s_waitcnt vmcnt(3)
	v_mov_b32_e32 v66, v123
	v_mov_b32_e32 v77, v67
	v_pk_mul_f32 v[66:67], v[70:71], v[66:67] op_sel_hi:[1,0]
	s_waitcnt vmcnt(2)
	v_pk_fma_f32 v[68:69], v[70:71], v[122:123], v[66:67] op_sel:[0,0,1] op_sel_hi:[1,1,0] neg_lo:[0,0,1] neg_hi:[0,0,1]
	v_pk_fma_f32 v[66:67], v[70:71], v[122:123], v[66:67] op_sel:[0,0,1] op_sel_hi:[1,0,0]
	v_pk_add_f32 v[64:65], v[64:65], v[78:79]
	v_mov_b32_e32 v66, v121
	v_pk_add_f32 v[64:65], v[64:65], v[76:77]
	v_mov_b32_e32 v69, v67
	s_waitcnt lgkmcnt(1)
	v_pk_mul_f32 v[66:67], v[72:73], v[66:67] op_sel_hi:[1,0]
	v_pk_add_f32 v[64:65], v[64:65], v[68:69]
	v_pk_fma_f32 v[68:69], v[72:73], v[120:121], v[66:67] op_sel:[0,0,1] op_sel_hi:[1,1,0] neg_lo:[0,0,1] neg_hi:[0,0,1]
	v_pk_fma_f32 v[66:67], v[72:73], v[120:121], v[66:67] op_sel:[0,0,1] op_sel_hi:[1,0,0]
	v_mov_b32_e32 v66, v119
	v_mov_b32_e32 v69, v67
	v_pk_mul_f32 v[66:67], v[74:75], v[66:67] op_sel_hi:[1,0]
	v_pk_add_f32 v[64:65], v[64:65], v[68:69]
	v_pk_fma_f32 v[68:69], v[74:75], v[118:119], v[66:67] op_sel:[0,0,1] op_sel_hi:[1,1,0] neg_lo:[0,0,1] neg_hi:[0,0,1]
	v_pk_fma_f32 v[66:67], v[74:75], v[118:119], v[66:67] op_sel:[0,0,1] op_sel_hi:[1,0,0]
	v_mov_b32_e32 v66, v117
	v_mov_b32_e32 v69, v67
	s_waitcnt lgkmcnt(0)
	v_pk_mul_f32 v[66:67], v[60:61], v[66:67] op_sel_hi:[1,0]
	v_pk_add_f32 v[64:65], v[64:65], v[68:69]
	v_pk_fma_f32 v[68:69], v[60:61], v[116:117], v[66:67] op_sel:[0,0,1] op_sel_hi:[1,1,0] neg_lo:[0,0,1] neg_hi:[0,0,1]
	v_pk_fma_f32 v[60:61], v[60:61], v[116:117], v[66:67] op_sel:[0,0,1] op_sel_hi:[1,0,0]
	v_mov_b32_e32 v69, v61
	v_pk_add_f32 v[60:61], v[64:65], v[68:69]
	s_waitcnt vmcnt(1)
	v_mov_b32_e32 v64, v125
	v_pk_mul_f32 v[64:65], v[62:63], v[64:65] op_sel_hi:[1,0]
	s_waitcnt vmcnt(0)
	v_pk_fma_f32 v[66:67], v[62:63], v[124:125], v[64:65] op_sel:[0,0,1] op_sel_hi:[1,1,0] neg_lo:[0,0,1] neg_hi:[0,0,1]
	v_pk_fma_f32 v[62:63], v[62:63], v[124:125], v[64:65] op_sel:[0,0,1] op_sel_hi:[1,0,0]
	v_mov_b32_e32 v67, v63
	v_pk_add_f32 v[60:61], v[60:61], v[66:67]
	v_pk_add_f32 v[0:1], v[0:1], v[60:61] neg_lo:[0,1] neg_hi:[0,1]
	buffer_store_dword v1, off, s[0:3], 0 offset:4
	buffer_store_dword v0, off, s[0:3], 0
	s_cbranch_vccz .LBB28_245
; %bb.188:
	v_pk_mov_b32 v[0:1], s[10:11], s[10:11] op_sel:[0,1]
	flat_load_dword v0, v[0:1] offset:108
	s_waitcnt vmcnt(0) lgkmcnt(0)
	v_add_u32_e32 v0, -1, v0
	v_cmp_ne_u32_e32 vcc, 27, v0
	s_and_saveexec_b64 s[4:5], vcc
	s_cbranch_execz .LBB28_190
; %bb.189:
	v_mov_b32_e32 v1, 0
	v_lshl_add_u32 v0, v0, 3, v1
	buffer_load_dword v1, v0, s[0:3], 0 offen
	buffer_load_dword v60, v0, s[0:3], 0 offen offset:4
	buffer_load_dword v61, off, s[0:3], 0 offset:216
	buffer_load_dword v62, off, s[0:3], 0 offset:220
	s_waitcnt vmcnt(3)
	buffer_store_dword v1, off, s[0:3], 0 offset:216
	s_waitcnt vmcnt(3)
	buffer_store_dword v60, off, s[0:3], 0 offset:220
	s_waitcnt vmcnt(3)
	buffer_store_dword v61, v0, s[0:3], 0 offen
	s_waitcnt vmcnt(3)
	buffer_store_dword v62, v0, s[0:3], 0 offen offset:4
.LBB28_190:
	s_or_b64 exec, exec, s[4:5]
	v_pk_mov_b32 v[0:1], s[10:11], s[10:11] op_sel:[0,1]
	flat_load_dword v0, v[0:1] offset:104
	s_waitcnt vmcnt(0) lgkmcnt(0)
	v_add_u32_e32 v0, -1, v0
	v_cmp_ne_u32_e32 vcc, 26, v0
	s_and_saveexec_b64 s[4:5], vcc
	s_cbranch_execz .LBB28_192
; %bb.191:
	v_mov_b32_e32 v1, 0
	v_lshl_add_u32 v0, v0, 3, v1
	buffer_load_dword v1, v0, s[0:3], 0 offen
	buffer_load_dword v60, v0, s[0:3], 0 offen offset:4
	buffer_load_dword v61, off, s[0:3], 0 offset:212
	buffer_load_dword v62, off, s[0:3], 0 offset:208
	s_waitcnt vmcnt(3)
	buffer_store_dword v1, off, s[0:3], 0 offset:208
	s_waitcnt vmcnt(3)
	buffer_store_dword v60, off, s[0:3], 0 offset:212
	s_waitcnt vmcnt(3)
	buffer_store_dword v61, v0, s[0:3], 0 offen offset:4
	s_waitcnt vmcnt(3)
	buffer_store_dword v62, v0, s[0:3], 0 offen
.LBB28_192:
	s_or_b64 exec, exec, s[4:5]
	v_pk_mov_b32 v[0:1], s[10:11], s[10:11] op_sel:[0,1]
	flat_load_dword v0, v[0:1] offset:100
	s_waitcnt vmcnt(0) lgkmcnt(0)
	v_add_u32_e32 v0, -1, v0
	v_cmp_ne_u32_e32 vcc, 25, v0
	s_and_saveexec_b64 s[4:5], vcc
	s_cbranch_execz .LBB28_194
; %bb.193:
	v_mov_b32_e32 v1, 0
	v_lshl_add_u32 v0, v0, 3, v1
	buffer_load_dword v1, v0, s[0:3], 0 offen
	buffer_load_dword v60, v0, s[0:3], 0 offen offset:4
	buffer_load_dword v61, off, s[0:3], 0 offset:200
	buffer_load_dword v62, off, s[0:3], 0 offset:204
	s_waitcnt vmcnt(3)
	buffer_store_dword v1, off, s[0:3], 0 offset:200
	s_waitcnt vmcnt(3)
	buffer_store_dword v60, off, s[0:3], 0 offset:204
	s_waitcnt vmcnt(3)
	buffer_store_dword v61, v0, s[0:3], 0 offen
	s_waitcnt vmcnt(3)
	buffer_store_dword v62, v0, s[0:3], 0 offen offset:4
.LBB28_194:
	s_or_b64 exec, exec, s[4:5]
	v_pk_mov_b32 v[0:1], s[10:11], s[10:11] op_sel:[0,1]
	flat_load_dword v0, v[0:1] offset:96
	s_waitcnt vmcnt(0) lgkmcnt(0)
	v_add_u32_e32 v0, -1, v0
	v_cmp_ne_u32_e32 vcc, 24, v0
	s_and_saveexec_b64 s[4:5], vcc
	s_cbranch_execz .LBB28_196
; %bb.195:
	v_mov_b32_e32 v1, 0
	v_lshl_add_u32 v0, v0, 3, v1
	buffer_load_dword v1, v0, s[0:3], 0 offen
	buffer_load_dword v60, v0, s[0:3], 0 offen offset:4
	buffer_load_dword v61, off, s[0:3], 0 offset:196
	buffer_load_dword v62, off, s[0:3], 0 offset:192
	s_waitcnt vmcnt(3)
	buffer_store_dword v1, off, s[0:3], 0 offset:192
	s_waitcnt vmcnt(3)
	buffer_store_dword v60, off, s[0:3], 0 offset:196
	s_waitcnt vmcnt(3)
	buffer_store_dword v61, v0, s[0:3], 0 offen offset:4
	s_waitcnt vmcnt(3)
	buffer_store_dword v62, v0, s[0:3], 0 offen
.LBB28_196:
	s_or_b64 exec, exec, s[4:5]
	;; [unrolled: 48-line block ×13, first 2 shown]
	v_pk_mov_b32 v[0:1], s[10:11], s[10:11] op_sel:[0,1]
	flat_load_dword v0, v[0:1] offset:4
	s_waitcnt vmcnt(0) lgkmcnt(0)
	v_add_u32_e32 v0, -1, v0
	v_cmp_ne_u32_e32 vcc, 1, v0
	s_and_saveexec_b64 s[4:5], vcc
	s_cbranch_execz .LBB28_242
; %bb.241:
	v_mov_b32_e32 v1, 0
	v_lshl_add_u32 v0, v0, 3, v1
	buffer_load_dword v1, v0, s[0:3], 0 offen
	buffer_load_dword v60, v0, s[0:3], 0 offen offset:4
	buffer_load_dword v61, off, s[0:3], 0 offset:8
	buffer_load_dword v62, off, s[0:3], 0 offset:12
	s_waitcnt vmcnt(3)
	buffer_store_dword v1, off, s[0:3], 0 offset:8
	s_waitcnt vmcnt(3)
	buffer_store_dword v60, off, s[0:3], 0 offset:12
	s_waitcnt vmcnt(3)
	buffer_store_dword v61, v0, s[0:3], 0 offen
	s_waitcnt vmcnt(3)
	buffer_store_dword v62, v0, s[0:3], 0 offen offset:4
.LBB28_242:
	s_or_b64 exec, exec, s[4:5]
	v_pk_mov_b32 v[0:1], s[10:11], s[10:11] op_sel:[0,1]
	flat_load_dword v60, v[0:1]
	s_nop 0
	buffer_load_dword v0, off, s[0:3], 0
	buffer_load_dword v1, off, s[0:3], 0 offset:4
	s_waitcnt vmcnt(0) lgkmcnt(0)
	v_add_u32_e32 v60, -1, v60
	v_cmp_ne_u32_e32 vcc, 0, v60
	s_and_saveexec_b64 s[4:5], vcc
	s_cbranch_execz .LBB28_244
; %bb.243:
	v_mov_b32_e32 v61, 0
	v_lshl_add_u32 v60, v60, 3, v61
	buffer_load_dword v61, v60, s[0:3], 0 offen offset:4
	buffer_load_dword v62, v60, s[0:3], 0 offen
	s_waitcnt vmcnt(1)
	buffer_store_dword v61, off, s[0:3], 0 offset:4
	s_waitcnt vmcnt(1)
	buffer_store_dword v62, off, s[0:3], 0
	buffer_store_dword v1, v60, s[0:3], 0 offen offset:4
	buffer_store_dword v0, v60, s[0:3], 0 offen
	buffer_load_dword v0, off, s[0:3], 0
	s_nop 0
	buffer_load_dword v1, off, s[0:3], 0 offset:4
.LBB28_244:
	s_or_b64 exec, exec, s[4:5]
.LBB28_245:
	buffer_load_dword v60, off, s[0:3], 0 offset:8
	buffer_load_dword v61, off, s[0:3], 0 offset:12
	buffer_load_dword v62, off, s[0:3], 0 offset:16
	buffer_load_dword v63, off, s[0:3], 0 offset:20
	buffer_load_dword v64, off, s[0:3], 0 offset:24
	buffer_load_dword v65, off, s[0:3], 0 offset:28
	buffer_load_dword v66, off, s[0:3], 0 offset:32
	buffer_load_dword v67, off, s[0:3], 0 offset:36
	buffer_load_dword v68, off, s[0:3], 0 offset:40
	buffer_load_dword v69, off, s[0:3], 0 offset:44
	buffer_load_dword v70, off, s[0:3], 0 offset:48
	buffer_load_dword v71, off, s[0:3], 0 offset:52
	buffer_load_dword v72, off, s[0:3], 0 offset:56
	buffer_load_dword v73, off, s[0:3], 0 offset:60
	buffer_load_dword v74, off, s[0:3], 0 offset:64
	buffer_load_dword v75, off, s[0:3], 0 offset:68
	buffer_load_dword v76, off, s[0:3], 0 offset:72
	buffer_load_dword v77, off, s[0:3], 0 offset:76
	buffer_load_dword v78, off, s[0:3], 0 offset:80
	buffer_load_dword v79, off, s[0:3], 0 offset:84
	buffer_load_dword v80, off, s[0:3], 0 offset:88
	buffer_load_dword v81, off, s[0:3], 0 offset:92
	buffer_load_dword v82, off, s[0:3], 0 offset:96
	buffer_load_dword v83, off, s[0:3], 0 offset:100
	buffer_load_dword v84, off, s[0:3], 0 offset:104
	buffer_load_dword v85, off, s[0:3], 0 offset:108
	buffer_load_dword v86, off, s[0:3], 0 offset:112
	buffer_load_dword v87, off, s[0:3], 0 offset:116
	buffer_load_dword v88, off, s[0:3], 0 offset:120
	buffer_load_dword v89, off, s[0:3], 0 offset:124
	buffer_load_dword v90, off, s[0:3], 0 offset:128
	buffer_load_dword v91, off, s[0:3], 0 offset:132
	buffer_load_dword v92, off, s[0:3], 0 offset:136
	buffer_load_dword v93, off, s[0:3], 0 offset:140
	buffer_load_dword v94, off, s[0:3], 0 offset:144
	buffer_load_dword v95, off, s[0:3], 0 offset:148
	buffer_load_dword v96, off, s[0:3], 0 offset:152
	buffer_load_dword v97, off, s[0:3], 0 offset:156
	buffer_load_dword v98, off, s[0:3], 0 offset:160
	buffer_load_dword v99, off, s[0:3], 0 offset:164
	buffer_load_dword v100, off, s[0:3], 0 offset:168
	buffer_load_dword v101, off, s[0:3], 0 offset:172
	buffer_load_dword v102, off, s[0:3], 0 offset:176
	buffer_load_dword v103, off, s[0:3], 0 offset:180
	buffer_load_dword v104, off, s[0:3], 0 offset:184
	buffer_load_dword v105, off, s[0:3], 0 offset:188
	buffer_load_dword v106, off, s[0:3], 0 offset:192
	buffer_load_dword v107, off, s[0:3], 0 offset:196
	buffer_load_dword v108, off, s[0:3], 0 offset:200
	buffer_load_dword v109, off, s[0:3], 0 offset:204
	buffer_load_dword v110, off, s[0:3], 0 offset:208
	buffer_load_dword v111, off, s[0:3], 0 offset:212
	buffer_load_dword v112, off, s[0:3], 0 offset:216
	buffer_load_dword v113, off, s[0:3], 0 offset:220
	buffer_load_dword v114, off, s[0:3], 0 offset:224
	buffer_load_dword v115, off, s[0:3], 0 offset:228
	s_waitcnt vmcnt(56)
	global_store_dwordx2 v[50:51], v[0:1], off
	s_waitcnt vmcnt(55)
	global_store_dwordx2 v[52:53], v[60:61], off
	;; [unrolled: 2-line block ×29, first 2 shown]
	s_endpgm
	.section	.rodata,"a",@progbits
	.p2align	6, 0x0
	.amdhsa_kernel _ZN9rocsolver6v33100L18getri_kernel_smallILi29E19rocblas_complex_numIfEPS3_EEvT1_iilPiilS6_bb
		.amdhsa_group_segment_fixed_size 472
		.amdhsa_private_segment_fixed_size 240
		.amdhsa_kernarg_size 60
		.amdhsa_user_sgpr_count 8
		.amdhsa_user_sgpr_private_segment_buffer 1
		.amdhsa_user_sgpr_dispatch_ptr 0
		.amdhsa_user_sgpr_queue_ptr 0
		.amdhsa_user_sgpr_kernarg_segment_ptr 1
		.amdhsa_user_sgpr_dispatch_id 0
		.amdhsa_user_sgpr_flat_scratch_init 1
		.amdhsa_user_sgpr_kernarg_preload_length 0
		.amdhsa_user_sgpr_kernarg_preload_offset 0
		.amdhsa_user_sgpr_private_segment_size 0
		.amdhsa_uses_dynamic_stack 0
		.amdhsa_system_sgpr_private_segment_wavefront_offset 1
		.amdhsa_system_sgpr_workgroup_id_x 1
		.amdhsa_system_sgpr_workgroup_id_y 0
		.amdhsa_system_sgpr_workgroup_id_z 0
		.amdhsa_system_sgpr_workgroup_info 0
		.amdhsa_system_vgpr_workitem_id 0
		.amdhsa_next_free_vgpr 160
		.amdhsa_next_free_sgpr 23
		.amdhsa_accum_offset 160
		.amdhsa_reserve_vcc 1
		.amdhsa_reserve_flat_scratch 1
		.amdhsa_float_round_mode_32 0
		.amdhsa_float_round_mode_16_64 0
		.amdhsa_float_denorm_mode_32 3
		.amdhsa_float_denorm_mode_16_64 3
		.amdhsa_dx10_clamp 1
		.amdhsa_ieee_mode 1
		.amdhsa_fp16_overflow 0
		.amdhsa_tg_split 0
		.amdhsa_exception_fp_ieee_invalid_op 0
		.amdhsa_exception_fp_denorm_src 0
		.amdhsa_exception_fp_ieee_div_zero 0
		.amdhsa_exception_fp_ieee_overflow 0
		.amdhsa_exception_fp_ieee_underflow 0
		.amdhsa_exception_fp_ieee_inexact 0
		.amdhsa_exception_int_div_zero 0
	.end_amdhsa_kernel
	.section	.text._ZN9rocsolver6v33100L18getri_kernel_smallILi29E19rocblas_complex_numIfEPS3_EEvT1_iilPiilS6_bb,"axG",@progbits,_ZN9rocsolver6v33100L18getri_kernel_smallILi29E19rocblas_complex_numIfEPS3_EEvT1_iilPiilS6_bb,comdat
.Lfunc_end28:
	.size	_ZN9rocsolver6v33100L18getri_kernel_smallILi29E19rocblas_complex_numIfEPS3_EEvT1_iilPiilS6_bb, .Lfunc_end28-_ZN9rocsolver6v33100L18getri_kernel_smallILi29E19rocblas_complex_numIfEPS3_EEvT1_iilPiilS6_bb
                                        ; -- End function
	.section	.AMDGPU.csdata,"",@progbits
; Kernel info:
; codeLenInByte = 41324
; NumSgprs: 29
; NumVgprs: 160
; NumAgprs: 0
; TotalNumVgprs: 160
; ScratchSize: 240
; MemoryBound: 0
; FloatMode: 240
; IeeeMode: 1
; LDSByteSize: 472 bytes/workgroup (compile time only)
; SGPRBlocks: 3
; VGPRBlocks: 19
; NumSGPRsForWavesPerEU: 29
; NumVGPRsForWavesPerEU: 160
; AccumOffset: 160
; Occupancy: 3
; WaveLimiterHint : 1
; COMPUTE_PGM_RSRC2:SCRATCH_EN: 1
; COMPUTE_PGM_RSRC2:USER_SGPR: 8
; COMPUTE_PGM_RSRC2:TRAP_HANDLER: 0
; COMPUTE_PGM_RSRC2:TGID_X_EN: 1
; COMPUTE_PGM_RSRC2:TGID_Y_EN: 0
; COMPUTE_PGM_RSRC2:TGID_Z_EN: 0
; COMPUTE_PGM_RSRC2:TIDIG_COMP_CNT: 0
; COMPUTE_PGM_RSRC3_GFX90A:ACCUM_OFFSET: 39
; COMPUTE_PGM_RSRC3_GFX90A:TG_SPLIT: 0
	.section	.text._ZN9rocsolver6v33100L18getri_kernel_smallILi30E19rocblas_complex_numIfEPS3_EEvT1_iilPiilS6_bb,"axG",@progbits,_ZN9rocsolver6v33100L18getri_kernel_smallILi30E19rocblas_complex_numIfEPS3_EEvT1_iilPiilS6_bb,comdat
	.globl	_ZN9rocsolver6v33100L18getri_kernel_smallILi30E19rocblas_complex_numIfEPS3_EEvT1_iilPiilS6_bb ; -- Begin function _ZN9rocsolver6v33100L18getri_kernel_smallILi30E19rocblas_complex_numIfEPS3_EEvT1_iilPiilS6_bb
	.p2align	8
	.type	_ZN9rocsolver6v33100L18getri_kernel_smallILi30E19rocblas_complex_numIfEPS3_EEvT1_iilPiilS6_bb,@function
_ZN9rocsolver6v33100L18getri_kernel_smallILi30E19rocblas_complex_numIfEPS3_EEvT1_iilPiilS6_bb: ; @_ZN9rocsolver6v33100L18getri_kernel_smallILi30E19rocblas_complex_numIfEPS3_EEvT1_iilPiilS6_bb
; %bb.0:
	s_add_u32 flat_scratch_lo, s6, s9
	s_addc_u32 flat_scratch_hi, s7, 0
	s_add_u32 s0, s0, s9
	s_addc_u32 s1, s1, 0
	v_cmp_gt_u32_e32 vcc, 30, v0
	s_and_saveexec_b64 s[6:7], vcc
	s_cbranch_execz .LBB29_134
; %bb.1:
	s_load_dword s22, s[4:5], 0x38
	s_load_dwordx4 s[16:19], s[4:5], 0x10
	s_load_dwordx4 s[12:15], s[4:5], 0x28
                                        ; implicit-def: $sgpr10_sgpr11
	s_waitcnt lgkmcnt(0)
	s_bitcmp1_b32 s22, 8
	s_cselect_b64 s[20:21], -1, 0
	s_ashr_i32 s9, s8, 31
	s_bfe_u32 s6, s22, 0x10008
	s_cmp_eq_u32 s6, 0
	s_cbranch_scc1 .LBB29_3
; %bb.2:
	s_load_dword s6, s[4:5], 0x20
	s_mul_i32 s7, s8, s13
	s_mul_hi_u32 s10, s8, s12
	s_mul_i32 s11, s9, s12
	s_add_i32 s10, s10, s7
	s_add_i32 s11, s10, s11
	s_mul_i32 s10, s8, s12
	s_waitcnt lgkmcnt(0)
	s_ashr_i32 s7, s6, 31
	s_lshl_b64 s[10:11], s[10:11], 2
	s_add_u32 s10, s18, s10
	s_addc_u32 s11, s19, s11
	s_lshl_b64 s[6:7], s[6:7], 2
	s_add_u32 s10, s10, s6
	s_addc_u32 s11, s11, s7
.LBB29_3:
	s_load_dwordx4 s[4:7], s[4:5], 0x0
	s_mul_i32 s12, s8, s17
	s_mul_hi_u32 s13, s8, s16
	s_add_i32 s17, s13, s12
	v_lshlrev_b32_e32 v66, 3, v0
	s_waitcnt lgkmcnt(0)
	s_ashr_i32 s13, s6, 31
	s_mov_b32 s12, s6
	s_mul_i32 s6, s9, s16
	s_add_i32 s17, s17, s6
	s_mul_i32 s16, s8, s16
	s_lshl_b64 s[16:17], s[16:17], 3
	s_add_u32 s6, s4, s16
	s_addc_u32 s16, s5, s17
	s_lshl_b64 s[4:5], s[12:13], 3
	s_add_u32 s4, s6, s4
	s_addc_u32 s5, s16, s5
	s_add_i32 s6, s7, s7
	v_add_u32_e32 v4, s6, v0
	v_ashrrev_i32_e32 v5, 31, v4
	v_lshlrev_b64 v[2:3], 3, v[4:5]
	v_add_u32_e32 v6, s7, v4
	v_mov_b32_e32 v1, s5
	v_add_co_u32_e32 v2, vcc, s4, v2
	v_ashrrev_i32_e32 v7, 31, v6
	v_addc_co_u32_e32 v3, vcc, v1, v3, vcc
	v_lshlrev_b64 v[4:5], 3, v[6:7]
	v_add_u32_e32 v8, s7, v6
	v_add_co_u32_e32 v4, vcc, s4, v4
	v_ashrrev_i32_e32 v9, 31, v8
	v_addc_co_u32_e32 v5, vcc, v1, v5, vcc
	v_lshlrev_b64 v[6:7], 3, v[8:9]
	v_add_u32_e32 v10, s7, v8
	;; [unrolled: 5-line block ×22, first 2 shown]
	v_add_co_u32_e32 v46, vcc, s4, v46
	v_ashrrev_i32_e32 v51, 31, v50
	v_addc_co_u32_e32 v47, vcc, v1, v47, vcc
	v_lshlrev_b64 v[48:49], 3, v[50:51]
	v_add_co_u32_e32 v48, vcc, s4, v48
	v_addc_co_u32_e32 v49, vcc, v1, v49, vcc
	v_mov_b32_e32 v53, s5
	v_add_co_u32_e32 v52, vcc, s4, v66
	s_ashr_i32 s13, s7, 31
	s_mov_b32 s12, s7
	v_add_u32_e32 v56, s7, v50
	v_addc_co_u32_e32 v53, vcc, 0, v53, vcc
	s_lshl_b64 s[12:13], s[12:13], 3
	v_ashrrev_i32_e32 v57, 31, v56
	v_mov_b32_e32 v55, s13
	v_add_co_u32_e32 v54, vcc, s12, v52
	v_lshlrev_b64 v[50:51], 3, v[56:57]
	v_addc_co_u32_e32 v55, vcc, v53, v55, vcc
	v_add_u32_e32 v58, s7, v56
	v_add_co_u32_e32 v50, vcc, s4, v50
	v_ashrrev_i32_e32 v59, 31, v58
	v_addc_co_u32_e32 v51, vcc, v1, v51, vcc
	v_lshlrev_b64 v[56:57], 3, v[58:59]
	v_add_u32_e32 v60, s7, v58
	v_add_co_u32_e32 v56, vcc, s4, v56
	v_ashrrev_i32_e32 v61, 31, v60
	v_addc_co_u32_e32 v57, vcc, v1, v57, vcc
	v_lshlrev_b64 v[58:59], 3, v[60:61]
	v_add_co_u32_e32 v58, vcc, s4, v58
	global_load_dwordx2 v[62:63], v66, s[4:5]
	global_load_dwordx2 v[64:65], v[54:55], off
	global_load_dwordx2 v[68:69], v[2:3], off
	;; [unrolled: 1-line block ×20, first 2 shown]
	v_addc_co_u32_e32 v59, vcc, v1, v59, vcc
	global_load_dwordx2 v[106:107], v[40:41], off
	global_load_dwordx2 v[108:109], v[42:43], off
	;; [unrolled: 1-line block ×8, first 2 shown]
	v_add_u32_e32 v60, s7, v60
	v_ashrrev_i32_e32 v61, 31, v60
	v_lshlrev_b64 v[60:61], 3, v[60:61]
	v_add_co_u32_e32 v60, vcc, s4, v60
	v_addc_co_u32_e32 v61, vcc, v1, v61, vcc
	global_load_dwordx2 v[122:123], v[60:61], off
	s_bitcmp0_b32 s22, 0
	s_mov_b64 s[6:7], -1
	s_waitcnt vmcnt(29)
	buffer_store_dword v63, off, s[0:3], 0 offset:4
	buffer_store_dword v62, off, s[0:3], 0
	s_waitcnt vmcnt(30)
	buffer_store_dword v65, off, s[0:3], 0 offset:12
	buffer_store_dword v64, off, s[0:3], 0 offset:8
	s_waitcnt vmcnt(31)
	buffer_store_dword v69, off, s[0:3], 0 offset:20
	buffer_store_dword v68, off, s[0:3], 0 offset:16
	s_waitcnt vmcnt(32)
	buffer_store_dword v71, off, s[0:3], 0 offset:28
	buffer_store_dword v70, off, s[0:3], 0 offset:24
	s_waitcnt vmcnt(33)
	buffer_store_dword v73, off, s[0:3], 0 offset:36
	buffer_store_dword v72, off, s[0:3], 0 offset:32
	s_waitcnt vmcnt(34)
	buffer_store_dword v75, off, s[0:3], 0 offset:44
	buffer_store_dword v74, off, s[0:3], 0 offset:40
	s_waitcnt vmcnt(35)
	buffer_store_dword v77, off, s[0:3], 0 offset:52
	buffer_store_dword v76, off, s[0:3], 0 offset:48
	s_waitcnt vmcnt(36)
	buffer_store_dword v79, off, s[0:3], 0 offset:60
	buffer_store_dword v78, off, s[0:3], 0 offset:56
	s_waitcnt vmcnt(37)
	buffer_store_dword v81, off, s[0:3], 0 offset:68
	buffer_store_dword v80, off, s[0:3], 0 offset:64
	s_waitcnt vmcnt(38)
	buffer_store_dword v82, off, s[0:3], 0 offset:72
	buffer_store_dword v83, off, s[0:3], 0 offset:76
	s_waitcnt vmcnt(39)
	buffer_store_dword v84, off, s[0:3], 0 offset:80
	buffer_store_dword v85, off, s[0:3], 0 offset:84
	s_waitcnt vmcnt(40)
	buffer_store_dword v86, off, s[0:3], 0 offset:88
	buffer_store_dword v87, off, s[0:3], 0 offset:92
	s_waitcnt vmcnt(41)
	buffer_store_dword v88, off, s[0:3], 0 offset:96
	buffer_store_dword v89, off, s[0:3], 0 offset:100
	s_waitcnt vmcnt(42)
	buffer_store_dword v90, off, s[0:3], 0 offset:104
	buffer_store_dword v91, off, s[0:3], 0 offset:108
	s_waitcnt vmcnt(43)
	buffer_store_dword v93, off, s[0:3], 0 offset:116
	buffer_store_dword v92, off, s[0:3], 0 offset:112
	s_waitcnt vmcnt(44)
	buffer_store_dword v94, off, s[0:3], 0 offset:120
	buffer_store_dword v95, off, s[0:3], 0 offset:124
	s_waitcnt vmcnt(45)
	buffer_store_dword v96, off, s[0:3], 0 offset:128
	buffer_store_dword v97, off, s[0:3], 0 offset:132
	s_waitcnt vmcnt(46)
	buffer_store_dword v98, off, s[0:3], 0 offset:136
	buffer_store_dword v99, off, s[0:3], 0 offset:140
	s_waitcnt vmcnt(47)
	buffer_store_dword v100, off, s[0:3], 0 offset:144
	buffer_store_dword v101, off, s[0:3], 0 offset:148
	s_waitcnt vmcnt(48)
	buffer_store_dword v103, off, s[0:3], 0 offset:156
	buffer_store_dword v102, off, s[0:3], 0 offset:152
	s_waitcnt vmcnt(49)
	buffer_store_dword v105, off, s[0:3], 0 offset:164
	buffer_store_dword v104, off, s[0:3], 0 offset:160
	s_waitcnt vmcnt(50)
	buffer_store_dword v106, off, s[0:3], 0 offset:168
	buffer_store_dword v107, off, s[0:3], 0 offset:172
	s_waitcnt vmcnt(51)
	buffer_store_dword v108, off, s[0:3], 0 offset:176
	buffer_store_dword v109, off, s[0:3], 0 offset:180
	s_waitcnt vmcnt(52)
	buffer_store_dword v110, off, s[0:3], 0 offset:184
	buffer_store_dword v111, off, s[0:3], 0 offset:188
	s_waitcnt vmcnt(53)
	buffer_store_dword v112, off, s[0:3], 0 offset:192
	buffer_store_dword v113, off, s[0:3], 0 offset:196
	s_waitcnt vmcnt(54)
	buffer_store_dword v115, off, s[0:3], 0 offset:204
	buffer_store_dword v114, off, s[0:3], 0 offset:200
	s_waitcnt vmcnt(55)
	buffer_store_dword v117, off, s[0:3], 0 offset:212
	buffer_store_dword v116, off, s[0:3], 0 offset:208
	s_waitcnt vmcnt(56)
	buffer_store_dword v118, off, s[0:3], 0 offset:216
	buffer_store_dword v119, off, s[0:3], 0 offset:220
	s_waitcnt vmcnt(57)
	buffer_store_dword v120, off, s[0:3], 0 offset:224
	buffer_store_dword v121, off, s[0:3], 0 offset:228
	s_waitcnt vmcnt(58)
	buffer_store_dword v122, off, s[0:3], 0 offset:232
	buffer_store_dword v123, off, s[0:3], 0 offset:236
	s_cbranch_scc1 .LBB29_132
; %bb.4:
	v_cmp_eq_u32_e64 s[4:5], 0, v0
	s_and_saveexec_b64 s[6:7], s[4:5]
	s_cbranch_execz .LBB29_6
; %bb.5:
	v_mov_b32_e32 v1, 0
	ds_write_b32 v1, v1 offset:480
.LBB29_6:
	s_or_b64 exec, exec, s[6:7]
	v_mov_b32_e32 v1, 0
	v_lshl_add_u32 v67, v0, 3, v1
	s_waitcnt lgkmcnt(0)
	; wave barrier
	s_waitcnt lgkmcnt(0)
	buffer_load_dword v1, v67, s[0:3], 0 offen
	buffer_load_dword v62, v67, s[0:3], 0 offen offset:4
	s_waitcnt vmcnt(1)
	v_cmp_eq_f32_e32 vcc, 0, v1
	s_waitcnt vmcnt(0)
	v_cmp_eq_f32_e64 s[6:7], 0, v62
	s_and_b64 s[6:7], vcc, s[6:7]
	s_and_saveexec_b64 s[12:13], s[6:7]
	s_cbranch_execz .LBB29_10
; %bb.7:
	v_mov_b32_e32 v1, 0
	ds_read_b32 v63, v1 offset:480
	v_add_u32_e32 v62, 1, v0
	s_waitcnt lgkmcnt(0)
	v_readfirstlane_b32 s6, v63
	s_cmp_eq_u32 s6, 0
	s_cselect_b64 s[16:17], -1, 0
	v_cmp_gt_i32_e32 vcc, s6, v62
	s_or_b64 s[16:17], s[16:17], vcc
	s_and_b64 exec, exec, s[16:17]
	s_cbranch_execz .LBB29_10
; %bb.8:
	s_mov_b64 s[16:17], 0
	v_mov_b32_e32 v63, s6
.LBB29_9:                               ; =>This Inner Loop Header: Depth=1
	ds_cmpst_rtn_b32 v63, v1, v63, v62 offset:480
	s_waitcnt lgkmcnt(0)
	v_cmp_ne_u32_e32 vcc, 0, v63
	v_cmp_le_i32_e64 s[6:7], v63, v62
	s_and_b64 s[6:7], vcc, s[6:7]
	s_and_b64 s[6:7], exec, s[6:7]
	s_or_b64 s[16:17], s[6:7], s[16:17]
	s_andn2_b64 exec, exec, s[16:17]
	s_cbranch_execnz .LBB29_9
.LBB29_10:
	s_or_b64 exec, exec, s[12:13]
	v_mov_b32_e32 v62, 0
	s_waitcnt lgkmcnt(0)
	; wave barrier
	ds_read_b32 v1, v62 offset:480
	s_and_saveexec_b64 s[6:7], s[4:5]
	s_cbranch_execz .LBB29_12
; %bb.11:
	s_lshl_b64 s[12:13], s[8:9], 2
	s_add_u32 s12, s14, s12
	s_addc_u32 s13, s15, s13
	s_waitcnt lgkmcnt(0)
	global_store_dword v62, v1, s[12:13]
.LBB29_12:
	s_or_b64 exec, exec, s[6:7]
	s_waitcnt lgkmcnt(0)
	v_cmp_ne_u32_e32 vcc, 0, v1
	s_mov_b64 s[6:7], 0
	s_cbranch_vccnz .LBB29_132
; %bb.13:
	buffer_load_dword v68, v67, s[0:3], 0 offen offset:4
	buffer_load_dword v63, v67, s[0:3], 0 offen
	s_waitcnt vmcnt(1)
	v_cmp_gt_f32_e32 vcc, 0, v68
	v_cndmask_b32_e64 v1, v68, -v68, vcc
	s_waitcnt vmcnt(0)
	v_cmp_gt_f32_e32 vcc, 0, v63
	v_cndmask_b32_e64 v62, v63, -v63, vcc
	v_cmp_ngt_f32_e32 vcc, v62, v1
                                        ; implicit-def: $vgpr1
                                        ; implicit-def: $vgpr62
	s_and_saveexec_b64 s[6:7], vcc
	s_xor_b64 s[6:7], exec, s[6:7]
                                        ; implicit-def: $vgpr64_vgpr65
	s_cbranch_execz .LBB29_15
; %bb.14:
	v_div_scale_f32 v1, s[12:13], v68, v68, v63
	v_rcp_f32_e32 v62, v1
	v_div_scale_f32 v64, vcc, v63, v68, v63
	v_fma_f32 v65, -v1, v62, 1.0
	v_fmac_f32_e32 v62, v65, v62
	v_mul_f32_e32 v65, v64, v62
	v_fma_f32 v69, -v1, v65, v64
	v_fmac_f32_e32 v65, v69, v62
	v_fma_f32 v1, -v1, v65, v64
	v_div_fmas_f32 v1, v1, v62, v65
	v_div_fixup_f32 v62, v1, v68, v63
	v_fmac_f32_e32 v68, v63, v62
	v_div_scale_f32 v1, s[12:13], v68, v68, -1.0
	v_rcp_f32_e32 v63, v1
	v_fma_f32 v64, -v1, v63, 1.0
	v_fmac_f32_e32 v63, v64, v63
	v_div_scale_f32 v64, vcc, -1.0, v68, -1.0
	v_mul_f32_e32 v65, v64, v63
	v_fma_f32 v69, -v1, v65, v64
	v_fmac_f32_e32 v65, v69, v63
	v_fma_f32 v1, -v1, v65, v64
	v_div_fmas_f32 v1, v1, v63, v65
	v_div_fixup_f32 v1, v1, v68, -1.0
	v_mul_f32_e32 v62, v62, v1
	v_xor_b32_e32 v64, 0x80000000, v62
                                        ; implicit-def: $vgpr63
                                        ; implicit-def: $vgpr68
.LBB29_15:
	s_andn2_saveexec_b64 s[6:7], s[6:7]
	s_cbranch_execz .LBB29_17
; %bb.16:
	v_div_scale_f32 v1, s[12:13], v63, v63, v68
	v_rcp_f32_e32 v62, v1
	v_div_scale_f32 v64, vcc, v68, v63, v68
	v_fma_f32 v65, -v1, v62, 1.0
	v_fmac_f32_e32 v62, v65, v62
	v_mul_f32_e32 v65, v64, v62
	v_fma_f32 v69, -v1, v65, v64
	v_fmac_f32_e32 v65, v69, v62
	v_fma_f32 v1, -v1, v65, v64
	v_div_fmas_f32 v1, v1, v62, v65
	v_div_fixup_f32 v1, v1, v63, v68
	v_fmac_f32_e32 v63, v68, v1
	v_div_scale_f32 v62, s[12:13], v63, v63, 1.0
	v_rcp_f32_e32 v64, v62
	v_fma_f32 v65, -v62, v64, 1.0
	v_fmac_f32_e32 v64, v65, v64
	v_div_scale_f32 v65, vcc, 1.0, v63, 1.0
	v_mul_f32_e32 v68, v65, v64
	v_fma_f32 v69, -v62, v68, v65
	v_fmac_f32_e32 v68, v69, v64
	v_fma_f32 v62, -v62, v68, v65
	v_div_fmas_f32 v62, v62, v64, v68
	v_div_fixup_f32 v64, v62, v63, 1.0
	v_xor_b32_e32 v62, 0x80000000, v64
	v_mul_f32_e64 v1, v1, -v64
.LBB29_17:
	s_or_b64 exec, exec, s[6:7]
	buffer_store_dword v1, v67, s[0:3], 0 offen offset:4
	buffer_store_dword v64, v67, s[0:3], 0 offen
	buffer_load_dword v65, off, s[0:3], 0 offset:12
	s_nop 0
	buffer_load_dword v64, off, s[0:3], 0 offset:8
	v_xor_b32_e32 v63, 0x80000000, v1
	v_add_u32_e32 v1, 0xf0, v66
	s_waitcnt vmcnt(0)
	ds_write2_b64 v66, v[62:63], v[64:65] offset1:30
	s_waitcnt lgkmcnt(0)
	; wave barrier
	s_waitcnt lgkmcnt(0)
	s_and_saveexec_b64 s[6:7], s[4:5]
	s_cbranch_execz .LBB29_19
; %bb.18:
	buffer_load_dword v68, v67, s[0:3], 0 offen offset:4
	buffer_load_dword v69, v67, s[0:3], 0 offen
	ds_read_b64 v[62:63], v1
	v_mov_b32_e32 v64, 0
	ds_read_b64 v[64:65], v64 offset:8
	s_waitcnt vmcnt(1) lgkmcnt(1)
	v_mul_f32_e32 v70, v63, v68
	v_mul_f32_e32 v68, v62, v68
	s_waitcnt vmcnt(0)
	v_fmac_f32_e32 v68, v63, v69
	v_fma_f32 v62, v62, v69, -v70
	v_add_f32_e32 v63, 0, v68
	v_add_f32_e32 v62, 0, v62
	s_waitcnt lgkmcnt(0)
	v_mul_f32_e32 v68, v63, v65
	v_mul_f32_e32 v65, v62, v65
	v_fma_f32 v62, v62, v64, -v68
	v_fmac_f32_e32 v65, v63, v64
	buffer_store_dword v62, off, s[0:3], 0 offset:8
	buffer_store_dword v65, off, s[0:3], 0 offset:12
.LBB29_19:
	s_or_b64 exec, exec, s[6:7]
	s_waitcnt lgkmcnt(0)
	; wave barrier
	buffer_load_dword v62, off, s[0:3], 0 offset:16
	buffer_load_dword v63, off, s[0:3], 0 offset:20
	v_cmp_gt_u32_e32 vcc, 2, v0
	s_waitcnt vmcnt(0)
	ds_write_b64 v1, v[62:63]
	s_waitcnt lgkmcnt(0)
	; wave barrier
	s_waitcnt lgkmcnt(0)
	s_and_saveexec_b64 s[6:7], vcc
	s_cbranch_execz .LBB29_23
; %bb.20:
	buffer_load_dword v64, v67, s[0:3], 0 offen offset:4
	buffer_load_dword v65, v67, s[0:3], 0 offen
	ds_read_b64 v[62:63], v1
	s_waitcnt vmcnt(1) lgkmcnt(0)
	v_mul_f32_e32 v67, v63, v64
	v_mul_f32_e32 v64, v62, v64
	s_waitcnt vmcnt(0)
	v_fma_f32 v62, v62, v65, -v67
	v_fmac_f32_e32 v64, v63, v65
	v_add_f32_e32 v63, 0, v62
	v_add_f32_e32 v62, 0, v64
	s_and_saveexec_b64 s[12:13], s[4:5]
	s_cbranch_execz .LBB29_22
; %bb.21:
	buffer_load_dword v67, off, s[0:3], 0 offset:12
	buffer_load_dword v68, off, s[0:3], 0 offset:8
	v_mov_b32_e32 v64, 0
	ds_read_b64 v[64:65], v64 offset:248
	s_waitcnt vmcnt(1) lgkmcnt(0)
	v_mul_f32_e32 v69, v64, v67
	v_mul_f32_e32 v67, v65, v67
	s_waitcnt vmcnt(0)
	v_fmac_f32_e32 v69, v65, v68
	v_fma_f32 v64, v64, v68, -v67
	v_add_f32_e32 v62, v62, v69
	v_add_f32_e32 v63, v63, v64
.LBB29_22:
	s_or_b64 exec, exec, s[12:13]
	v_mov_b32_e32 v64, 0
	ds_read_b64 v[64:65], v64 offset:16
	s_waitcnt lgkmcnt(0)
	v_mul_f32_e32 v67, v62, v65
	v_mul_f32_e32 v65, v63, v65
	v_fma_f32 v63, v63, v64, -v67
	v_fmac_f32_e32 v65, v62, v64
	buffer_store_dword v63, off, s[0:3], 0 offset:16
	buffer_store_dword v65, off, s[0:3], 0 offset:20
.LBB29_23:
	s_or_b64 exec, exec, s[6:7]
	s_waitcnt lgkmcnt(0)
	; wave barrier
	buffer_load_dword v62, off, s[0:3], 0 offset:24
	buffer_load_dword v63, off, s[0:3], 0 offset:28
	v_cmp_gt_u32_e32 vcc, 3, v0
	s_waitcnt vmcnt(0)
	ds_write_b64 v1, v[62:63]
	v_add_u32_e32 v62, -1, v0
	s_waitcnt lgkmcnt(0)
	; wave barrier
	s_waitcnt lgkmcnt(0)
	s_and_saveexec_b64 s[4:5], vcc
	s_cbranch_execz .LBB29_27
; %bb.24:
	v_add_u32_e32 v64, -1, v0
	v_add_u32_e32 v65, 0xf0, v66
	v_add_u32_e32 v67, 0, v66
	s_mov_b64 s[6:7], 0
	v_mov_b32_e32 v63, 0
	v_mov_b32_e32 v68, 0
.LBB29_25:                              ; =>This Inner Loop Header: Depth=1
	buffer_load_dword v69, v67, s[0:3], 0 offen offset:4
	buffer_load_dword v72, v67, s[0:3], 0 offen
	ds_read_b64 v[70:71], v65
	v_add_u32_e32 v64, 1, v64
	v_cmp_lt_u32_e32 vcc, 1, v64
	v_add_u32_e32 v65, 8, v65
	v_add_u32_e32 v67, 8, v67
	s_or_b64 s[6:7], vcc, s[6:7]
	s_waitcnt vmcnt(1) lgkmcnt(0)
	v_mul_f32_e32 v73, v71, v69
	v_mul_f32_e32 v69, v70, v69
	s_waitcnt vmcnt(0)
	v_fma_f32 v70, v70, v72, -v73
	v_fmac_f32_e32 v69, v71, v72
	v_add_f32_e32 v68, v68, v70
	v_add_f32_e32 v63, v63, v69
	s_andn2_b64 exec, exec, s[6:7]
	s_cbranch_execnz .LBB29_25
; %bb.26:
	s_or_b64 exec, exec, s[6:7]
	v_mov_b32_e32 v64, 0
	ds_read_b64 v[64:65], v64 offset:24
	s_waitcnt lgkmcnt(0)
	v_mul_f32_e32 v67, v63, v65
	v_mul_f32_e32 v65, v68, v65
	v_fma_f32 v67, v68, v64, -v67
	v_fmac_f32_e32 v65, v63, v64
	buffer_store_dword v67, off, s[0:3], 0 offset:24
	buffer_store_dword v65, off, s[0:3], 0 offset:28
.LBB29_27:
	s_or_b64 exec, exec, s[4:5]
	s_waitcnt lgkmcnt(0)
	; wave barrier
	buffer_load_dword v64, off, s[0:3], 0 offset:32
	buffer_load_dword v65, off, s[0:3], 0 offset:36
	v_cmp_gt_u32_e32 vcc, 4, v0
	s_waitcnt vmcnt(0)
	ds_write_b64 v1, v[64:65]
	s_waitcnt lgkmcnt(0)
	; wave barrier
	s_waitcnt lgkmcnt(0)
	s_and_saveexec_b64 s[4:5], vcc
	s_cbranch_execz .LBB29_31
; %bb.28:
	v_add_u32_e32 v64, -1, v0
	v_add_u32_e32 v65, 0xf0, v66
	v_add_u32_e32 v67, 0, v66
	s_mov_b64 s[6:7], 0
	v_mov_b32_e32 v63, 0
	v_mov_b32_e32 v68, 0
.LBB29_29:                              ; =>This Inner Loop Header: Depth=1
	buffer_load_dword v69, v67, s[0:3], 0 offen offset:4
	buffer_load_dword v72, v67, s[0:3], 0 offen
	ds_read_b64 v[70:71], v65
	v_add_u32_e32 v64, 1, v64
	v_cmp_lt_u32_e32 vcc, 2, v64
	v_add_u32_e32 v65, 8, v65
	v_add_u32_e32 v67, 8, v67
	s_or_b64 s[6:7], vcc, s[6:7]
	s_waitcnt vmcnt(1) lgkmcnt(0)
	v_mul_f32_e32 v73, v71, v69
	v_mul_f32_e32 v69, v70, v69
	s_waitcnt vmcnt(0)
	v_fma_f32 v70, v70, v72, -v73
	v_fmac_f32_e32 v69, v71, v72
	v_add_f32_e32 v68, v68, v70
	v_add_f32_e32 v63, v63, v69
	s_andn2_b64 exec, exec, s[6:7]
	s_cbranch_execnz .LBB29_29
; %bb.30:
	s_or_b64 exec, exec, s[6:7]
	v_mov_b32_e32 v64, 0
	ds_read_b64 v[64:65], v64 offset:32
	s_waitcnt lgkmcnt(0)
	v_mul_f32_e32 v67, v63, v65
	v_mul_f32_e32 v65, v68, v65
	v_fma_f32 v67, v68, v64, -v67
	v_fmac_f32_e32 v65, v63, v64
	buffer_store_dword v67, off, s[0:3], 0 offset:32
	buffer_store_dword v65, off, s[0:3], 0 offset:36
.LBB29_31:
	s_or_b64 exec, exec, s[4:5]
	s_waitcnt lgkmcnt(0)
	; wave barrier
	buffer_load_dword v64, off, s[0:3], 0 offset:40
	buffer_load_dword v65, off, s[0:3], 0 offset:44
	v_cmp_gt_u32_e32 vcc, 5, v0
	s_waitcnt vmcnt(0)
	ds_write_b64 v1, v[64:65]
	;; [unrolled: 51-line block ×19, first 2 shown]
	s_waitcnt lgkmcnt(0)
	; wave barrier
	s_waitcnt lgkmcnt(0)
	s_and_saveexec_b64 s[4:5], vcc
	s_cbranch_execz .LBB29_103
; %bb.100:
	v_add_u32_e32 v64, -1, v0
	v_add_u32_e32 v65, 0xf0, v66
	v_add_u32_e32 v67, 0, v66
	s_mov_b64 s[6:7], 0
	v_mov_b32_e32 v63, 0
	v_mov_b32_e32 v68, 0
.LBB29_101:                             ; =>This Inner Loop Header: Depth=1
	buffer_load_dword v69, v67, s[0:3], 0 offen offset:4
	buffer_load_dword v72, v67, s[0:3], 0 offen
	ds_read_b64 v[70:71], v65
	v_add_u32_e32 v64, 1, v64
	v_cmp_lt_u32_e32 vcc, 20, v64
	v_add_u32_e32 v65, 8, v65
	v_add_u32_e32 v67, 8, v67
	s_or_b64 s[6:7], vcc, s[6:7]
	s_waitcnt vmcnt(1) lgkmcnt(0)
	v_mul_f32_e32 v73, v71, v69
	v_mul_f32_e32 v69, v70, v69
	s_waitcnt vmcnt(0)
	v_fma_f32 v70, v70, v72, -v73
	v_fmac_f32_e32 v69, v71, v72
	v_add_f32_e32 v68, v68, v70
	v_add_f32_e32 v63, v63, v69
	s_andn2_b64 exec, exec, s[6:7]
	s_cbranch_execnz .LBB29_101
; %bb.102:
	s_or_b64 exec, exec, s[6:7]
	v_mov_b32_e32 v64, 0
	ds_read_b64 v[64:65], v64 offset:176
	s_waitcnt lgkmcnt(0)
	v_mul_f32_e32 v67, v63, v65
	v_mul_f32_e32 v65, v68, v65
	v_fma_f32 v67, v68, v64, -v67
	v_fmac_f32_e32 v65, v63, v64
	buffer_store_dword v67, off, s[0:3], 0 offset:176
	buffer_store_dword v65, off, s[0:3], 0 offset:180
.LBB29_103:
	s_or_b64 exec, exec, s[4:5]
	s_waitcnt lgkmcnt(0)
	; wave barrier
	buffer_load_dword v64, off, s[0:3], 0 offset:184
	buffer_load_dword v65, off, s[0:3], 0 offset:188
	v_cmp_gt_u32_e32 vcc, 23, v0
	s_waitcnt vmcnt(0)
	ds_write_b64 v1, v[64:65]
	s_waitcnt lgkmcnt(0)
	; wave barrier
	s_waitcnt lgkmcnt(0)
	s_and_saveexec_b64 s[4:5], vcc
	s_cbranch_execz .LBB29_107
; %bb.104:
	v_add_u32_e32 v64, -1, v0
	v_add_u32_e32 v65, 0xf0, v66
	v_add_u32_e32 v67, 0, v66
	s_mov_b64 s[6:7], 0
	v_mov_b32_e32 v63, 0
	v_mov_b32_e32 v68, 0
.LBB29_105:                             ; =>This Inner Loop Header: Depth=1
	buffer_load_dword v69, v67, s[0:3], 0 offen offset:4
	buffer_load_dword v72, v67, s[0:3], 0 offen
	ds_read_b64 v[70:71], v65
	v_add_u32_e32 v64, 1, v64
	v_cmp_lt_u32_e32 vcc, 21, v64
	v_add_u32_e32 v65, 8, v65
	v_add_u32_e32 v67, 8, v67
	s_or_b64 s[6:7], vcc, s[6:7]
	s_waitcnt vmcnt(1) lgkmcnt(0)
	v_mul_f32_e32 v73, v71, v69
	v_mul_f32_e32 v69, v70, v69
	s_waitcnt vmcnt(0)
	v_fma_f32 v70, v70, v72, -v73
	v_fmac_f32_e32 v69, v71, v72
	v_add_f32_e32 v68, v68, v70
	v_add_f32_e32 v63, v63, v69
	s_andn2_b64 exec, exec, s[6:7]
	s_cbranch_execnz .LBB29_105
; %bb.106:
	s_or_b64 exec, exec, s[6:7]
	v_mov_b32_e32 v64, 0
	ds_read_b64 v[64:65], v64 offset:184
	s_waitcnt lgkmcnt(0)
	v_mul_f32_e32 v67, v63, v65
	v_mul_f32_e32 v65, v68, v65
	v_fma_f32 v67, v68, v64, -v67
	v_fmac_f32_e32 v65, v63, v64
	buffer_store_dword v67, off, s[0:3], 0 offset:184
	buffer_store_dword v65, off, s[0:3], 0 offset:188
.LBB29_107:
	s_or_b64 exec, exec, s[4:5]
	s_waitcnt lgkmcnt(0)
	; wave barrier
	buffer_load_dword v64, off, s[0:3], 0 offset:192
	buffer_load_dword v65, off, s[0:3], 0 offset:196
	v_cmp_gt_u32_e32 vcc, 24, v0
	s_waitcnt vmcnt(0)
	ds_write_b64 v1, v[64:65]
	;; [unrolled: 51-line block ×6, first 2 shown]
	s_waitcnt lgkmcnt(0)
	; wave barrier
	s_waitcnt lgkmcnt(0)
	s_and_saveexec_b64 s[4:5], vcc
	s_cbranch_execz .LBB29_127
; %bb.124:
	v_add_u32_e32 v64, -1, v0
	v_add_u32_e32 v65, 0xf0, v66
	v_add_u32_e32 v67, 0, v66
	s_mov_b64 s[6:7], 0
	v_mov_b32_e32 v63, 0
	v_mov_b32_e32 v68, 0
.LBB29_125:                             ; =>This Inner Loop Header: Depth=1
	buffer_load_dword v69, v67, s[0:3], 0 offen offset:4
	buffer_load_dword v72, v67, s[0:3], 0 offen
	ds_read_b64 v[70:71], v65
	v_add_u32_e32 v64, 1, v64
	v_cmp_lt_u32_e32 vcc, 26, v64
	v_add_u32_e32 v65, 8, v65
	v_add_u32_e32 v67, 8, v67
	s_or_b64 s[6:7], vcc, s[6:7]
	s_waitcnt vmcnt(1) lgkmcnt(0)
	v_mul_f32_e32 v73, v71, v69
	v_mul_f32_e32 v69, v70, v69
	s_waitcnt vmcnt(0)
	v_fma_f32 v70, v70, v72, -v73
	v_fmac_f32_e32 v69, v71, v72
	v_add_f32_e32 v68, v68, v70
	v_add_f32_e32 v63, v63, v69
	s_andn2_b64 exec, exec, s[6:7]
	s_cbranch_execnz .LBB29_125
; %bb.126:
	s_or_b64 exec, exec, s[6:7]
	v_mov_b32_e32 v64, 0
	ds_read_b64 v[64:65], v64 offset:224
	s_waitcnt lgkmcnt(0)
	v_mul_f32_e32 v67, v63, v65
	v_mul_f32_e32 v65, v68, v65
	v_fma_f32 v67, v68, v64, -v67
	v_fmac_f32_e32 v65, v63, v64
	buffer_store_dword v67, off, s[0:3], 0 offset:224
	buffer_store_dword v65, off, s[0:3], 0 offset:228
.LBB29_127:
	s_or_b64 exec, exec, s[4:5]
	s_waitcnt lgkmcnt(0)
	; wave barrier
	buffer_load_dword v64, off, s[0:3], 0 offset:232
	buffer_load_dword v65, off, s[0:3], 0 offset:236
	v_cmp_ne_u32_e32 vcc, 29, v0
	s_waitcnt vmcnt(0)
	ds_write_b64 v1, v[64:65]
	s_waitcnt lgkmcnt(0)
	; wave barrier
	s_waitcnt lgkmcnt(0)
	s_and_saveexec_b64 s[4:5], vcc
	s_cbranch_execz .LBB29_131
; %bb.128:
	v_add_u32_e32 v63, 0xf0, v66
	v_add_u32_e32 v64, 0, v66
	s_mov_b64 s[6:7], 0
	v_mov_b32_e32 v1, 0
	v_mov_b32_e32 v65, 0
.LBB29_129:                             ; =>This Inner Loop Header: Depth=1
	buffer_load_dword v68, v64, s[0:3], 0 offen offset:4
	buffer_load_dword v69, v64, s[0:3], 0 offen
	ds_read_b64 v[66:67], v63
	v_add_u32_e32 v62, 1, v62
	v_cmp_lt_u32_e32 vcc, 27, v62
	v_add_u32_e32 v63, 8, v63
	v_add_u32_e32 v64, 8, v64
	s_or_b64 s[6:7], vcc, s[6:7]
	s_waitcnt vmcnt(1) lgkmcnt(0)
	v_mul_f32_e32 v70, v67, v68
	v_mul_f32_e32 v68, v66, v68
	s_waitcnt vmcnt(0)
	v_fma_f32 v66, v66, v69, -v70
	v_fmac_f32_e32 v68, v67, v69
	v_add_f32_e32 v65, v65, v66
	v_add_f32_e32 v1, v1, v68
	s_andn2_b64 exec, exec, s[6:7]
	s_cbranch_execnz .LBB29_129
; %bb.130:
	s_or_b64 exec, exec, s[6:7]
	v_mov_b32_e32 v62, 0
	ds_read_b64 v[62:63], v62 offset:232
	s_waitcnt lgkmcnt(0)
	v_mul_f32_e32 v64, v1, v63
	v_mul_f32_e32 v63, v65, v63
	v_fma_f32 v64, v65, v62, -v64
	v_fmac_f32_e32 v63, v1, v62
	buffer_store_dword v64, off, s[0:3], 0 offset:232
	buffer_store_dword v63, off, s[0:3], 0 offset:236
.LBB29_131:
	s_or_b64 exec, exec, s[4:5]
	s_mov_b64 s[6:7], -1
	s_waitcnt lgkmcnt(0)
	; wave barrier
.LBB29_132:
	s_and_b64 vcc, exec, s[6:7]
	s_cbranch_vccz .LBB29_134
; %bb.133:
	s_lshl_b64 s[4:5], s[8:9], 2
	s_add_u32 s4, s14, s4
	s_addc_u32 s5, s15, s5
	v_mov_b32_e32 v1, 0
	global_load_dword v1, v1, s[4:5]
	s_waitcnt vmcnt(0)
	v_cmp_ne_u32_e32 vcc, 0, v1
	s_cbranch_vccz .LBB29_135
.LBB29_134:
	s_endpgm
.LBB29_135:
	v_mov_b32_e32 v1, 0xf0
	v_lshl_add_u32 v1, v0, 3, v1
	v_cmp_eq_u32_e32 vcc, 29, v0
	s_and_saveexec_b64 s[4:5], vcc
	s_cbranch_execz .LBB29_137
; %bb.136:
	buffer_load_dword v62, off, s[0:3], 0 offset:224
	buffer_load_dword v63, off, s[0:3], 0 offset:228
	v_mov_b32_e32 v64, 0
	buffer_store_dword v64, off, s[0:3], 0 offset:224
	buffer_store_dword v64, off, s[0:3], 0 offset:228
	s_waitcnt vmcnt(2)
	ds_write_b64 v1, v[62:63]
.LBB29_137:
	s_or_b64 exec, exec, s[4:5]
	s_waitcnt lgkmcnt(0)
	; wave barrier
	s_waitcnt lgkmcnt(0)
	buffer_load_dword v65, off, s[0:3], 0 offset:236
	buffer_load_dword v64, off, s[0:3], 0 offset:232
	;; [unrolled: 1-line block ×4, first 2 shown]
	v_mov_b32_e32 v62, 0
	ds_read_b64 v[68:69], v62 offset:472
	v_cmp_lt_u32_e32 vcc, 27, v0
	s_waitcnt vmcnt(3)
	v_mov_b32_e32 v70, v65
	s_waitcnt lgkmcnt(0)
	v_pk_mul_f32 v[70:71], v[68:69], v[70:71] op_sel_hi:[1,0]
	s_waitcnt vmcnt(2)
	v_pk_fma_f32 v[72:73], v[68:69], v[64:65], v[70:71] op_sel:[0,0,1] op_sel_hi:[1,1,0] neg_lo:[0,0,1] neg_hi:[0,0,1]
	v_pk_fma_f32 v[64:65], v[68:69], v[64:65], v[70:71] op_sel:[0,0,1] op_sel_hi:[1,0,0]
	v_mov_b32_e32 v73, v65
	v_pk_add_f32 v[64:65], v[72:73], 0 op_sel_hi:[1,0]
	s_waitcnt vmcnt(0)
	v_pk_add_f32 v[64:65], v[66:67], v[64:65] neg_lo:[0,1] neg_hi:[0,1]
	buffer_store_dword v64, off, s[0:3], 0 offset:224
	buffer_store_dword v65, off, s[0:3], 0 offset:228
	s_and_saveexec_b64 s[4:5], vcc
	s_cbranch_execz .LBB29_139
; %bb.138:
	buffer_load_dword v64, off, s[0:3], 0 offset:216
	buffer_load_dword v65, off, s[0:3], 0 offset:220
	s_waitcnt vmcnt(0)
	ds_write_b64 v1, v[64:65]
	buffer_store_dword v62, off, s[0:3], 0 offset:216
	buffer_store_dword v62, off, s[0:3], 0 offset:220
.LBB29_139:
	s_or_b64 exec, exec, s[4:5]
	s_waitcnt lgkmcnt(0)
	; wave barrier
	s_waitcnt lgkmcnt(0)
	buffer_load_dword v67, off, s[0:3], 0 offset:228
	buffer_load_dword v69, off, s[0:3], 0 offset:236
	;; [unrolled: 1-line block ×6, first 2 shown]
	ds_read_b128 v[62:65], v62 offset:464
	v_cmp_lt_u32_e32 vcc, 26, v0
	s_waitcnt vmcnt(5)
	v_mov_b32_e32 v72, v67
	s_waitcnt vmcnt(4)
	v_mov_b32_e32 v74, v69
	s_waitcnt lgkmcnt(0)
	v_pk_mul_f32 v[72:73], v[62:63], v[72:73] op_sel_hi:[1,0]
	v_pk_mul_f32 v[74:75], v[64:65], v[74:75] op_sel_hi:[1,0]
	s_waitcnt vmcnt(3)
	v_pk_fma_f32 v[76:77], v[62:63], v[66:67], v[72:73] op_sel:[0,0,1] op_sel_hi:[1,1,0] neg_lo:[0,0,1] neg_hi:[0,0,1]
	v_pk_fma_f32 v[62:63], v[62:63], v[66:67], v[72:73] op_sel:[0,0,1] op_sel_hi:[1,0,0]
	s_waitcnt vmcnt(2)
	v_pk_fma_f32 v[66:67], v[64:65], v[68:69], v[74:75] op_sel:[0,0,1] op_sel_hi:[1,1,0] neg_lo:[0,0,1] neg_hi:[0,0,1]
	v_pk_fma_f32 v[64:65], v[64:65], v[68:69], v[74:75] op_sel:[0,0,1] op_sel_hi:[1,0,0]
	v_mov_b32_e32 v77, v63
	v_mov_b32_e32 v67, v65
	v_pk_add_f32 v[62:63], v[76:77], 0 op_sel_hi:[1,0]
	v_pk_add_f32 v[62:63], v[62:63], v[66:67]
	s_waitcnt vmcnt(0)
	v_pk_add_f32 v[62:63], v[70:71], v[62:63] neg_lo:[0,1] neg_hi:[0,1]
	buffer_store_dword v62, off, s[0:3], 0 offset:216
	buffer_store_dword v63, off, s[0:3], 0 offset:220
	s_and_saveexec_b64 s[4:5], vcc
	s_cbranch_execz .LBB29_141
; %bb.140:
	buffer_load_dword v62, off, s[0:3], 0 offset:208
	buffer_load_dword v63, off, s[0:3], 0 offset:212
	v_mov_b32_e32 v64, 0
	buffer_store_dword v64, off, s[0:3], 0 offset:208
	buffer_store_dword v64, off, s[0:3], 0 offset:212
	s_waitcnt vmcnt(2)
	ds_write_b64 v1, v[62:63]
.LBB29_141:
	s_or_b64 exec, exec, s[4:5]
	s_waitcnt lgkmcnt(0)
	; wave barrier
	s_waitcnt lgkmcnt(0)
	buffer_load_dword v69, off, s[0:3], 0 offset:220
	buffer_load_dword v71, off, s[0:3], 0 offset:228
	;; [unrolled: 1-line block ×8, first 2 shown]
	v_mov_b32_e32 v62, 0
	ds_read2_b64 v[64:67], v62 offset0:57 offset1:58
	ds_read_b64 v[76:77], v62 offset:472
	v_cmp_lt_u32_e32 vcc, 25, v0
	s_waitcnt vmcnt(7)
	v_mov_b32_e32 v78, v69
	s_waitcnt vmcnt(6)
	v_mov_b32_e32 v80, v71
	s_waitcnt lgkmcnt(1)
	v_pk_mul_f32 v[78:79], v[64:65], v[78:79] op_sel_hi:[1,0]
	s_waitcnt vmcnt(5)
	v_mov_b32_e32 v82, v73
	v_pk_mul_f32 v[80:81], v[66:67], v[80:81] op_sel_hi:[1,0]
	s_waitcnt vmcnt(4)
	v_pk_fma_f32 v[84:85], v[64:65], v[68:69], v[78:79] op_sel:[0,0,1] op_sel_hi:[1,1,0] neg_lo:[0,0,1] neg_hi:[0,0,1]
	v_pk_fma_f32 v[64:65], v[64:65], v[68:69], v[78:79] op_sel:[0,0,1] op_sel_hi:[1,0,0]
	s_waitcnt lgkmcnt(0)
	v_pk_mul_f32 v[82:83], v[76:77], v[82:83] op_sel_hi:[1,0]
	s_waitcnt vmcnt(3)
	v_pk_fma_f32 v[68:69], v[66:67], v[70:71], v[80:81] op_sel:[0,0,1] op_sel_hi:[1,1,0] neg_lo:[0,0,1] neg_hi:[0,0,1]
	v_pk_fma_f32 v[66:67], v[66:67], v[70:71], v[80:81] op_sel:[0,0,1] op_sel_hi:[1,0,0]
	v_mov_b32_e32 v85, v65
	s_waitcnt vmcnt(2)
	v_pk_fma_f32 v[70:71], v[76:77], v[72:73], v[82:83] op_sel:[0,0,1] op_sel_hi:[1,1,0] neg_lo:[0,0,1] neg_hi:[0,0,1]
	v_pk_fma_f32 v[72:73], v[76:77], v[72:73], v[82:83] op_sel:[0,0,1] op_sel_hi:[1,0,0]
	v_mov_b32_e32 v69, v67
	v_pk_add_f32 v[64:65], v[84:85], 0 op_sel_hi:[1,0]
	v_mov_b32_e32 v71, v73
	v_pk_add_f32 v[64:65], v[64:65], v[68:69]
	v_pk_add_f32 v[64:65], v[64:65], v[70:71]
	s_waitcnt vmcnt(0)
	v_pk_add_f32 v[64:65], v[74:75], v[64:65] neg_lo:[0,1] neg_hi:[0,1]
	buffer_store_dword v64, off, s[0:3], 0 offset:208
	buffer_store_dword v65, off, s[0:3], 0 offset:212
	s_and_saveexec_b64 s[4:5], vcc
	s_cbranch_execz .LBB29_143
; %bb.142:
	buffer_load_dword v64, off, s[0:3], 0 offset:200
	buffer_load_dword v65, off, s[0:3], 0 offset:204
	s_waitcnt vmcnt(0)
	ds_write_b64 v1, v[64:65]
	buffer_store_dword v62, off, s[0:3], 0 offset:200
	buffer_store_dword v62, off, s[0:3], 0 offset:204
.LBB29_143:
	s_or_b64 exec, exec, s[4:5]
	s_waitcnt lgkmcnt(0)
	; wave barrier
	s_waitcnt lgkmcnt(0)
	buffer_load_dword v73, off, s[0:3], 0 offset:212
	buffer_load_dword v75, off, s[0:3], 0 offset:220
	;; [unrolled: 1-line block ×10, first 2 shown]
	ds_read_b128 v[64:67], v62 offset:448
	ds_read_b128 v[68:71], v62 offset:464
	v_cmp_lt_u32_e32 vcc, 24, v0
	s_waitcnt vmcnt(9)
	v_mov_b32_e32 v62, v73
	s_waitcnt vmcnt(8)
	v_mov_b32_e32 v82, v75
	s_waitcnt lgkmcnt(1)
	v_pk_mul_f32 v[62:63], v[64:65], v[62:63] op_sel_hi:[1,0]
	s_waitcnt vmcnt(7)
	v_mov_b32_e32 v84, v77
	v_pk_mul_f32 v[82:83], v[66:67], v[82:83] op_sel_hi:[1,0]
	s_waitcnt vmcnt(5)
	v_pk_fma_f32 v[88:89], v[64:65], v[72:73], v[62:63] op_sel:[0,0,1] op_sel_hi:[1,1,0] neg_lo:[0,0,1] neg_hi:[0,0,1]
	v_pk_fma_f32 v[62:63], v[64:65], v[72:73], v[62:63] op_sel:[0,0,1] op_sel_hi:[1,0,0]
	v_mov_b32_e32 v86, v79
	s_waitcnt lgkmcnt(0)
	v_pk_mul_f32 v[84:85], v[68:69], v[84:85] op_sel_hi:[1,0]
	s_waitcnt vmcnt(4)
	v_pk_fma_f32 v[64:65], v[66:67], v[74:75], v[82:83] op_sel:[0,0,1] op_sel_hi:[1,1,0] neg_lo:[0,0,1] neg_hi:[0,0,1]
	v_pk_fma_f32 v[66:67], v[66:67], v[74:75], v[82:83] op_sel:[0,0,1] op_sel_hi:[1,0,0]
	v_mov_b32_e32 v89, v63
	v_pk_mul_f32 v[86:87], v[70:71], v[86:87] op_sel_hi:[1,0]
	s_waitcnt vmcnt(3)
	v_pk_fma_f32 v[72:73], v[68:69], v[76:77], v[84:85] op_sel:[0,0,1] op_sel_hi:[1,1,0] neg_lo:[0,0,1] neg_hi:[0,0,1]
	v_pk_fma_f32 v[68:69], v[68:69], v[76:77], v[84:85] op_sel:[0,0,1] op_sel_hi:[1,0,0]
	v_mov_b32_e32 v65, v67
	v_pk_add_f32 v[62:63], v[88:89], 0 op_sel_hi:[1,0]
	s_waitcnt vmcnt(2)
	v_pk_fma_f32 v[74:75], v[70:71], v[78:79], v[86:87] op_sel:[0,0,1] op_sel_hi:[1,1,0] neg_lo:[0,0,1] neg_hi:[0,0,1]
	v_pk_fma_f32 v[70:71], v[70:71], v[78:79], v[86:87] op_sel:[0,0,1] op_sel_hi:[1,0,0]
	v_mov_b32_e32 v73, v69
	v_pk_add_f32 v[62:63], v[62:63], v[64:65]
	v_mov_b32_e32 v75, v71
	v_pk_add_f32 v[62:63], v[62:63], v[72:73]
	v_pk_add_f32 v[62:63], v[62:63], v[74:75]
	s_waitcnt vmcnt(0)
	v_pk_add_f32 v[62:63], v[80:81], v[62:63] neg_lo:[0,1] neg_hi:[0,1]
	buffer_store_dword v62, off, s[0:3], 0 offset:200
	buffer_store_dword v63, off, s[0:3], 0 offset:204
	s_and_saveexec_b64 s[4:5], vcc
	s_cbranch_execz .LBB29_145
; %bb.144:
	buffer_load_dword v62, off, s[0:3], 0 offset:192
	buffer_load_dword v63, off, s[0:3], 0 offset:196
	v_mov_b32_e32 v64, 0
	buffer_store_dword v64, off, s[0:3], 0 offset:192
	buffer_store_dword v64, off, s[0:3], 0 offset:196
	s_waitcnt vmcnt(2)
	ds_write_b64 v1, v[62:63]
.LBB29_145:
	s_or_b64 exec, exec, s[4:5]
	s_waitcnt lgkmcnt(0)
	; wave barrier
	s_waitcnt lgkmcnt(0)
	buffer_load_dword v73, off, s[0:3], 0 offset:204
	buffer_load_dword v75, off, s[0:3], 0 offset:212
	;; [unrolled: 1-line block ×12, first 2 shown]
	v_mov_b32_e32 v62, 0
	ds_read2_b64 v[64:67], v62 offset0:55 offset1:56
	ds_read2_b64 v[68:71], v62 offset0:57 offset1:58
	ds_read_b64 v[84:85], v62 offset:472
	v_cmp_lt_u32_e32 vcc, 23, v0
	s_waitcnt vmcnt(11)
	v_mov_b32_e32 v86, v73
	s_waitcnt vmcnt(10)
	v_mov_b32_e32 v88, v75
	s_waitcnt lgkmcnt(2)
	v_pk_mul_f32 v[86:87], v[64:65], v[86:87] op_sel_hi:[1,0]
	s_waitcnt vmcnt(9)
	v_mov_b32_e32 v90, v77
	v_pk_mul_f32 v[88:89], v[66:67], v[88:89] op_sel_hi:[1,0]
	s_waitcnt vmcnt(6)
	v_pk_fma_f32 v[96:97], v[64:65], v[72:73], v[86:87] op_sel:[0,0,1] op_sel_hi:[1,1,0] neg_lo:[0,0,1] neg_hi:[0,0,1]
	v_pk_fma_f32 v[64:65], v[64:65], v[72:73], v[86:87] op_sel:[0,0,1] op_sel_hi:[1,0,0]
	v_mov_b32_e32 v92, v79
	s_waitcnt lgkmcnt(1)
	v_pk_mul_f32 v[90:91], v[68:69], v[90:91] op_sel_hi:[1,0]
	s_waitcnt vmcnt(5)
	v_pk_fma_f32 v[72:73], v[66:67], v[74:75], v[88:89] op_sel:[0,0,1] op_sel_hi:[1,1,0] neg_lo:[0,0,1] neg_hi:[0,0,1]
	v_pk_fma_f32 v[66:67], v[66:67], v[74:75], v[88:89] op_sel:[0,0,1] op_sel_hi:[1,0,0]
	v_mov_b32_e32 v97, v65
	v_mov_b32_e32 v94, v81
	v_pk_mul_f32 v[92:93], v[70:71], v[92:93] op_sel_hi:[1,0]
	s_waitcnt vmcnt(4)
	v_pk_fma_f32 v[74:75], v[68:69], v[76:77], v[90:91] op_sel:[0,0,1] op_sel_hi:[1,1,0] neg_lo:[0,0,1] neg_hi:[0,0,1]
	v_pk_fma_f32 v[68:69], v[68:69], v[76:77], v[90:91] op_sel:[0,0,1] op_sel_hi:[1,0,0]
	v_mov_b32_e32 v73, v67
	v_pk_add_f32 v[64:65], v[96:97], 0 op_sel_hi:[1,0]
	s_waitcnt lgkmcnt(0)
	v_pk_mul_f32 v[94:95], v[84:85], v[94:95] op_sel_hi:[1,0]
	s_waitcnt vmcnt(3)
	v_pk_fma_f32 v[76:77], v[70:71], v[78:79], v[92:93] op_sel:[0,0,1] op_sel_hi:[1,1,0] neg_lo:[0,0,1] neg_hi:[0,0,1]
	v_pk_fma_f32 v[70:71], v[70:71], v[78:79], v[92:93] op_sel:[0,0,1] op_sel_hi:[1,0,0]
	v_mov_b32_e32 v75, v69
	v_pk_add_f32 v[64:65], v[64:65], v[72:73]
	s_waitcnt vmcnt(2)
	v_pk_fma_f32 v[78:79], v[84:85], v[80:81], v[94:95] op_sel:[0,0,1] op_sel_hi:[1,1,0] neg_lo:[0,0,1] neg_hi:[0,0,1]
	v_pk_fma_f32 v[80:81], v[84:85], v[80:81], v[94:95] op_sel:[0,0,1] op_sel_hi:[1,0,0]
	v_mov_b32_e32 v77, v71
	v_pk_add_f32 v[64:65], v[64:65], v[74:75]
	v_mov_b32_e32 v79, v81
	v_pk_add_f32 v[64:65], v[64:65], v[76:77]
	v_pk_add_f32 v[64:65], v[64:65], v[78:79]
	s_waitcnt vmcnt(0)
	v_pk_add_f32 v[64:65], v[82:83], v[64:65] neg_lo:[0,1] neg_hi:[0,1]
	buffer_store_dword v64, off, s[0:3], 0 offset:192
	buffer_store_dword v65, off, s[0:3], 0 offset:196
	s_and_saveexec_b64 s[4:5], vcc
	s_cbranch_execz .LBB29_147
; %bb.146:
	buffer_load_dword v64, off, s[0:3], 0 offset:184
	buffer_load_dword v65, off, s[0:3], 0 offset:188
	s_waitcnt vmcnt(0)
	ds_write_b64 v1, v[64:65]
	buffer_store_dword v62, off, s[0:3], 0 offset:184
	buffer_store_dword v62, off, s[0:3], 0 offset:188
.LBB29_147:
	s_or_b64 exec, exec, s[4:5]
	s_waitcnt lgkmcnt(0)
	; wave barrier
	s_waitcnt lgkmcnt(0)
	buffer_load_dword v77, off, s[0:3], 0 offset:196
	buffer_load_dword v79, off, s[0:3], 0 offset:204
	;; [unrolled: 1-line block ×14, first 2 shown]
	ds_read_b128 v[64:67], v62 offset:432
	ds_read_b128 v[68:71], v62 offset:448
	;; [unrolled: 1-line block ×3, first 2 shown]
	v_cmp_lt_u32_e32 vcc, 22, v0
	s_waitcnt vmcnt(13)
	v_mov_b32_e32 v62, v77
	s_waitcnt vmcnt(12)
	v_mov_b32_e32 v90, v79
	s_waitcnt lgkmcnt(2)
	v_pk_mul_f32 v[62:63], v[64:65], v[62:63] op_sel_hi:[1,0]
	s_waitcnt vmcnt(11)
	v_mov_b32_e32 v92, v81
	v_pk_mul_f32 v[90:91], v[66:67], v[90:91] op_sel_hi:[1,0]
	s_waitcnt vmcnt(10)
	v_mov_b32_e32 v94, v83
	s_waitcnt vmcnt(7)
	v_pk_fma_f32 v[100:101], v[64:65], v[76:77], v[62:63] op_sel:[0,0,1] op_sel_hi:[1,1,0] neg_lo:[0,0,1] neg_hi:[0,0,1]
	v_pk_fma_f32 v[62:63], v[64:65], v[76:77], v[62:63] op_sel:[0,0,1] op_sel_hi:[1,0,0]
	s_waitcnt lgkmcnt(1)
	v_pk_mul_f32 v[92:93], v[68:69], v[92:93] op_sel_hi:[1,0]
	s_waitcnt vmcnt(6)
	v_pk_fma_f32 v[64:65], v[66:67], v[78:79], v[90:91] op_sel:[0,0,1] op_sel_hi:[1,1,0] neg_lo:[0,0,1] neg_hi:[0,0,1]
	v_pk_fma_f32 v[66:67], v[66:67], v[78:79], v[90:91] op_sel:[0,0,1] op_sel_hi:[1,0,0]
	v_mov_b32_e32 v101, v63
	v_mov_b32_e32 v96, v85
	v_pk_mul_f32 v[94:95], v[70:71], v[94:95] op_sel_hi:[1,0]
	s_waitcnt vmcnt(5)
	v_pk_fma_f32 v[76:77], v[68:69], v[80:81], v[92:93] op_sel:[0,0,1] op_sel_hi:[1,1,0] neg_lo:[0,0,1] neg_hi:[0,0,1]
	v_pk_fma_f32 v[68:69], v[68:69], v[80:81], v[92:93] op_sel:[0,0,1] op_sel_hi:[1,0,0]
	v_mov_b32_e32 v65, v67
	v_pk_add_f32 v[62:63], v[100:101], 0 op_sel_hi:[1,0]
	v_mov_b32_e32 v98, v87
	s_waitcnt lgkmcnt(0)
	v_pk_mul_f32 v[96:97], v[72:73], v[96:97] op_sel_hi:[1,0]
	s_waitcnt vmcnt(4)
	v_pk_fma_f32 v[78:79], v[70:71], v[82:83], v[94:95] op_sel:[0,0,1] op_sel_hi:[1,1,0] neg_lo:[0,0,1] neg_hi:[0,0,1]
	v_pk_fma_f32 v[70:71], v[70:71], v[82:83], v[94:95] op_sel:[0,0,1] op_sel_hi:[1,0,0]
	v_mov_b32_e32 v77, v69
	v_pk_add_f32 v[62:63], v[62:63], v[64:65]
	v_pk_mul_f32 v[98:99], v[74:75], v[98:99] op_sel_hi:[1,0]
	s_waitcnt vmcnt(3)
	v_pk_fma_f32 v[80:81], v[72:73], v[84:85], v[96:97] op_sel:[0,0,1] op_sel_hi:[1,1,0] neg_lo:[0,0,1] neg_hi:[0,0,1]
	v_pk_fma_f32 v[72:73], v[72:73], v[84:85], v[96:97] op_sel:[0,0,1] op_sel_hi:[1,0,0]
	v_mov_b32_e32 v79, v71
	v_pk_add_f32 v[62:63], v[62:63], v[76:77]
	s_waitcnt vmcnt(2)
	v_pk_fma_f32 v[82:83], v[74:75], v[86:87], v[98:99] op_sel:[0,0,1] op_sel_hi:[1,1,0] neg_lo:[0,0,1] neg_hi:[0,0,1]
	v_pk_fma_f32 v[74:75], v[74:75], v[86:87], v[98:99] op_sel:[0,0,1] op_sel_hi:[1,0,0]
	v_mov_b32_e32 v81, v73
	v_pk_add_f32 v[62:63], v[62:63], v[78:79]
	v_mov_b32_e32 v83, v75
	v_pk_add_f32 v[62:63], v[62:63], v[80:81]
	v_pk_add_f32 v[62:63], v[62:63], v[82:83]
	s_waitcnt vmcnt(0)
	v_pk_add_f32 v[62:63], v[88:89], v[62:63] neg_lo:[0,1] neg_hi:[0,1]
	buffer_store_dword v62, off, s[0:3], 0 offset:184
	buffer_store_dword v63, off, s[0:3], 0 offset:188
	s_and_saveexec_b64 s[4:5], vcc
	s_cbranch_execz .LBB29_149
; %bb.148:
	buffer_load_dword v62, off, s[0:3], 0 offset:176
	buffer_load_dword v63, off, s[0:3], 0 offset:180
	v_mov_b32_e32 v64, 0
	buffer_store_dword v64, off, s[0:3], 0 offset:176
	buffer_store_dword v64, off, s[0:3], 0 offset:180
	s_waitcnt vmcnt(2)
	ds_write_b64 v1, v[62:63]
.LBB29_149:
	s_or_b64 exec, exec, s[4:5]
	s_waitcnt lgkmcnt(0)
	; wave barrier
	s_waitcnt lgkmcnt(0)
	buffer_load_dword v77, off, s[0:3], 0 offset:188
	buffer_load_dword v79, off, s[0:3], 0 offset:196
	;; [unrolled: 1-line block ×16, first 2 shown]
	v_mov_b32_e32 v62, 0
	ds_read2_b64 v[64:67], v62 offset0:53 offset1:54
	ds_read2_b64 v[68:71], v62 offset0:55 offset1:56
	ds_read2_b64 v[72:75], v62 offset0:57 offset1:58
	ds_read_b64 v[92:93], v62 offset:472
	v_cmp_lt_u32_e32 vcc, 21, v0
	s_waitcnt vmcnt(15)
	v_mov_b32_e32 v94, v77
	s_waitcnt vmcnt(14)
	v_mov_b32_e32 v96, v79
	s_waitcnt lgkmcnt(3)
	v_pk_mul_f32 v[94:95], v[64:65], v[94:95] op_sel_hi:[1,0]
	s_waitcnt vmcnt(13)
	v_mov_b32_e32 v98, v81
	v_pk_mul_f32 v[96:97], v[66:67], v[96:97] op_sel_hi:[1,0]
	s_waitcnt vmcnt(12)
	v_mov_b32_e32 v100, v83
	s_waitcnt lgkmcnt(2)
	v_pk_mul_f32 v[98:99], v[68:69], v[98:99] op_sel_hi:[1,0]
	s_waitcnt vmcnt(8)
	v_pk_fma_f32 v[108:109], v[64:65], v[76:77], v[94:95] op_sel:[0,0,1] op_sel_hi:[1,1,0] neg_lo:[0,0,1] neg_hi:[0,0,1]
	v_pk_fma_f32 v[64:65], v[64:65], v[76:77], v[94:95] op_sel:[0,0,1] op_sel_hi:[1,0,0]
	s_waitcnt vmcnt(7)
	v_pk_fma_f32 v[76:77], v[66:67], v[78:79], v[96:97] op_sel:[0,0,1] op_sel_hi:[1,1,0] neg_lo:[0,0,1] neg_hi:[0,0,1]
	v_pk_fma_f32 v[66:67], v[66:67], v[78:79], v[96:97] op_sel:[0,0,1] op_sel_hi:[1,0,0]
	v_mov_b32_e32 v109, v65
	v_mov_b32_e32 v102, v85
	v_pk_mul_f32 v[100:101], v[70:71], v[100:101] op_sel_hi:[1,0]
	s_waitcnt vmcnt(6)
	v_pk_fma_f32 v[78:79], v[68:69], v[80:81], v[98:99] op_sel:[0,0,1] op_sel_hi:[1,1,0] neg_lo:[0,0,1] neg_hi:[0,0,1]
	v_pk_fma_f32 v[68:69], v[68:69], v[80:81], v[98:99] op_sel:[0,0,1] op_sel_hi:[1,0,0]
	v_mov_b32_e32 v77, v67
	v_pk_add_f32 v[64:65], v[108:109], 0 op_sel_hi:[1,0]
	v_mov_b32_e32 v104, v87
	s_waitcnt lgkmcnt(1)
	v_pk_mul_f32 v[102:103], v[72:73], v[102:103] op_sel_hi:[1,0]
	s_waitcnt vmcnt(5)
	v_pk_fma_f32 v[80:81], v[70:71], v[82:83], v[100:101] op_sel:[0,0,1] op_sel_hi:[1,1,0] neg_lo:[0,0,1] neg_hi:[0,0,1]
	v_pk_fma_f32 v[70:71], v[70:71], v[82:83], v[100:101] op_sel:[0,0,1] op_sel_hi:[1,0,0]
	v_mov_b32_e32 v79, v69
	v_pk_add_f32 v[64:65], v[64:65], v[76:77]
	v_mov_b32_e32 v106, v89
	v_pk_mul_f32 v[104:105], v[74:75], v[104:105] op_sel_hi:[1,0]
	s_waitcnt vmcnt(4)
	v_pk_fma_f32 v[82:83], v[72:73], v[84:85], v[102:103] op_sel:[0,0,1] op_sel_hi:[1,1,0] neg_lo:[0,0,1] neg_hi:[0,0,1]
	v_pk_fma_f32 v[72:73], v[72:73], v[84:85], v[102:103] op_sel:[0,0,1] op_sel_hi:[1,0,0]
	v_mov_b32_e32 v81, v71
	v_pk_add_f32 v[64:65], v[64:65], v[78:79]
	s_waitcnt lgkmcnt(0)
	v_pk_mul_f32 v[106:107], v[92:93], v[106:107] op_sel_hi:[1,0]
	s_waitcnt vmcnt(3)
	v_pk_fma_f32 v[84:85], v[74:75], v[86:87], v[104:105] op_sel:[0,0,1] op_sel_hi:[1,1,0] neg_lo:[0,0,1] neg_hi:[0,0,1]
	v_pk_fma_f32 v[74:75], v[74:75], v[86:87], v[104:105] op_sel:[0,0,1] op_sel_hi:[1,0,0]
	v_mov_b32_e32 v83, v73
	v_pk_add_f32 v[64:65], v[64:65], v[80:81]
	s_waitcnt vmcnt(2)
	v_pk_fma_f32 v[86:87], v[92:93], v[88:89], v[106:107] op_sel:[0,0,1] op_sel_hi:[1,1,0] neg_lo:[0,0,1] neg_hi:[0,0,1]
	v_pk_fma_f32 v[88:89], v[92:93], v[88:89], v[106:107] op_sel:[0,0,1] op_sel_hi:[1,0,0]
	v_mov_b32_e32 v85, v75
	v_pk_add_f32 v[64:65], v[64:65], v[82:83]
	v_mov_b32_e32 v87, v89
	v_pk_add_f32 v[64:65], v[64:65], v[84:85]
	v_pk_add_f32 v[64:65], v[64:65], v[86:87]
	s_waitcnt vmcnt(0)
	v_pk_add_f32 v[64:65], v[90:91], v[64:65] neg_lo:[0,1] neg_hi:[0,1]
	buffer_store_dword v64, off, s[0:3], 0 offset:176
	buffer_store_dword v65, off, s[0:3], 0 offset:180
	s_and_saveexec_b64 s[4:5], vcc
	s_cbranch_execz .LBB29_151
; %bb.150:
	buffer_load_dword v64, off, s[0:3], 0 offset:168
	buffer_load_dword v65, off, s[0:3], 0 offset:172
	s_waitcnt vmcnt(0)
	ds_write_b64 v1, v[64:65]
	buffer_store_dword v62, off, s[0:3], 0 offset:168
	buffer_store_dword v62, off, s[0:3], 0 offset:172
.LBB29_151:
	s_or_b64 exec, exec, s[4:5]
	s_waitcnt lgkmcnt(0)
	; wave barrier
	s_waitcnt lgkmcnt(0)
	buffer_load_dword v81, off, s[0:3], 0 offset:180
	buffer_load_dword v83, off, s[0:3], 0 offset:188
	;; [unrolled: 1-line block ×18, first 2 shown]
	ds_read_b128 v[64:67], v62 offset:416
	ds_read_b128 v[68:71], v62 offset:432
	;; [unrolled: 1-line block ×4, first 2 shown]
	v_cmp_lt_u32_e32 vcc, 20, v0
	s_waitcnt vmcnt(17)
	v_mov_b32_e32 v62, v81
	s_waitcnt vmcnt(16)
	v_mov_b32_e32 v98, v83
	s_waitcnt lgkmcnt(3)
	v_pk_mul_f32 v[62:63], v[64:65], v[62:63] op_sel_hi:[1,0]
	s_waitcnt vmcnt(15)
	v_mov_b32_e32 v100, v85
	v_pk_mul_f32 v[98:99], v[66:67], v[98:99] op_sel_hi:[1,0]
	s_waitcnt vmcnt(14)
	v_mov_b32_e32 v102, v87
	s_waitcnt lgkmcnt(2)
	v_pk_mul_f32 v[100:101], v[68:69], v[100:101] op_sel_hi:[1,0]
	s_waitcnt vmcnt(13)
	v_mov_b32_e32 v104, v89
	s_waitcnt vmcnt(9)
	v_pk_fma_f32 v[112:113], v[64:65], v[80:81], v[62:63] op_sel:[0,0,1] op_sel_hi:[1,1,0] neg_lo:[0,0,1] neg_hi:[0,0,1]
	v_pk_fma_f32 v[62:63], v[64:65], v[80:81], v[62:63] op_sel:[0,0,1] op_sel_hi:[1,0,0]
	s_waitcnt vmcnt(8)
	v_pk_fma_f32 v[64:65], v[66:67], v[82:83], v[98:99] op_sel:[0,0,1] op_sel_hi:[1,1,0] neg_lo:[0,0,1] neg_hi:[0,0,1]
	v_pk_fma_f32 v[66:67], v[66:67], v[82:83], v[98:99] op_sel:[0,0,1] op_sel_hi:[1,0,0]
	v_mov_b32_e32 v113, v63
	v_pk_mul_f32 v[102:103], v[70:71], v[102:103] op_sel_hi:[1,0]
	s_waitcnt vmcnt(7)
	v_pk_fma_f32 v[80:81], v[68:69], v[84:85], v[100:101] op_sel:[0,0,1] op_sel_hi:[1,1,0] neg_lo:[0,0,1] neg_hi:[0,0,1]
	v_pk_fma_f32 v[68:69], v[68:69], v[84:85], v[100:101] op_sel:[0,0,1] op_sel_hi:[1,0,0]
	v_mov_b32_e32 v65, v67
	v_pk_add_f32 v[62:63], v[112:113], 0 op_sel_hi:[1,0]
	v_mov_b32_e32 v106, v91
	s_waitcnt lgkmcnt(1)
	v_pk_mul_f32 v[104:105], v[72:73], v[104:105] op_sel_hi:[1,0]
	s_waitcnt vmcnt(6)
	v_pk_fma_f32 v[82:83], v[70:71], v[86:87], v[102:103] op_sel:[0,0,1] op_sel_hi:[1,1,0] neg_lo:[0,0,1] neg_hi:[0,0,1]
	v_pk_fma_f32 v[70:71], v[70:71], v[86:87], v[102:103] op_sel:[0,0,1] op_sel_hi:[1,0,0]
	v_mov_b32_e32 v81, v69
	v_pk_add_f32 v[62:63], v[62:63], v[64:65]
	v_mov_b32_e32 v108, v93
	v_pk_mul_f32 v[106:107], v[74:75], v[106:107] op_sel_hi:[1,0]
	s_waitcnt vmcnt(5)
	v_pk_fma_f32 v[84:85], v[72:73], v[88:89], v[104:105] op_sel:[0,0,1] op_sel_hi:[1,1,0] neg_lo:[0,0,1] neg_hi:[0,0,1]
	v_pk_fma_f32 v[72:73], v[72:73], v[88:89], v[104:105] op_sel:[0,0,1] op_sel_hi:[1,0,0]
	v_mov_b32_e32 v83, v71
	v_pk_add_f32 v[62:63], v[62:63], v[80:81]
	v_mov_b32_e32 v110, v95
	s_waitcnt lgkmcnt(0)
	v_pk_mul_f32 v[108:109], v[76:77], v[108:109] op_sel_hi:[1,0]
	s_waitcnt vmcnt(4)
	v_pk_fma_f32 v[86:87], v[74:75], v[90:91], v[106:107] op_sel:[0,0,1] op_sel_hi:[1,1,0] neg_lo:[0,0,1] neg_hi:[0,0,1]
	v_pk_fma_f32 v[74:75], v[74:75], v[90:91], v[106:107] op_sel:[0,0,1] op_sel_hi:[1,0,0]
	v_mov_b32_e32 v85, v73
	v_pk_add_f32 v[62:63], v[62:63], v[82:83]
	v_pk_mul_f32 v[110:111], v[78:79], v[110:111] op_sel_hi:[1,0]
	s_waitcnt vmcnt(3)
	v_pk_fma_f32 v[88:89], v[76:77], v[92:93], v[108:109] op_sel:[0,0,1] op_sel_hi:[1,1,0] neg_lo:[0,0,1] neg_hi:[0,0,1]
	v_pk_fma_f32 v[76:77], v[76:77], v[92:93], v[108:109] op_sel:[0,0,1] op_sel_hi:[1,0,0]
	v_mov_b32_e32 v87, v75
	v_pk_add_f32 v[62:63], v[62:63], v[84:85]
	s_waitcnt vmcnt(2)
	v_pk_fma_f32 v[90:91], v[78:79], v[94:95], v[110:111] op_sel:[0,0,1] op_sel_hi:[1,1,0] neg_lo:[0,0,1] neg_hi:[0,0,1]
	v_pk_fma_f32 v[78:79], v[78:79], v[94:95], v[110:111] op_sel:[0,0,1] op_sel_hi:[1,0,0]
	v_mov_b32_e32 v89, v77
	v_pk_add_f32 v[62:63], v[62:63], v[86:87]
	v_mov_b32_e32 v91, v79
	v_pk_add_f32 v[62:63], v[62:63], v[88:89]
	v_pk_add_f32 v[62:63], v[62:63], v[90:91]
	s_waitcnt vmcnt(0)
	v_pk_add_f32 v[62:63], v[96:97], v[62:63] neg_lo:[0,1] neg_hi:[0,1]
	buffer_store_dword v62, off, s[0:3], 0 offset:168
	buffer_store_dword v63, off, s[0:3], 0 offset:172
	s_and_saveexec_b64 s[4:5], vcc
	s_cbranch_execz .LBB29_153
; %bb.152:
	buffer_load_dword v62, off, s[0:3], 0 offset:160
	buffer_load_dword v63, off, s[0:3], 0 offset:164
	v_mov_b32_e32 v64, 0
	buffer_store_dword v64, off, s[0:3], 0 offset:160
	buffer_store_dword v64, off, s[0:3], 0 offset:164
	s_waitcnt vmcnt(2)
	ds_write_b64 v1, v[62:63]
.LBB29_153:
	s_or_b64 exec, exec, s[4:5]
	s_waitcnt lgkmcnt(0)
	; wave barrier
	s_waitcnt lgkmcnt(0)
	buffer_load_dword v63, off, s[0:3], 0 offset:172
	buffer_load_dword v81, off, s[0:3], 0 offset:180
	;; [unrolled: 1-line block ×20, first 2 shown]
	v_mov_b32_e32 v62, 0
	ds_read2_b64 v[64:67], v62 offset0:51 offset1:52
	ds_read2_b64 v[68:71], v62 offset0:53 offset1:54
	;; [unrolled: 1-line block ×4, first 2 shown]
	ds_read_b64 v[98:99], v62 offset:472
	v_cmp_lt_u32_e32 vcc, 19, v0
	s_waitcnt vmcnt(19) lgkmcnt(4)
	v_mul_f32_e32 v101, v64, v63
	v_mul_f32_e32 v63, v65, v63
	s_waitcnt vmcnt(18)
	v_mov_b32_e32 v102, v81
	s_waitcnt vmcnt(17)
	v_mov_b32_e32 v104, v83
	;; [unrolled: 2-line block ×8, first 2 shown]
	s_waitcnt vmcnt(10)
	v_fmac_f32_e32 v101, v65, v100
	v_fma_f32 v100, v64, v100, -v63
	v_pk_mul_f32 v[64:65], v[66:67], v[102:103] op_sel_hi:[1,0]
	s_waitcnt lgkmcnt(3)
	v_pk_mul_f32 v[102:103], v[68:69], v[104:105] op_sel_hi:[1,0]
	v_pk_mul_f32 v[104:105], v[70:71], v[106:107] op_sel_hi:[1,0]
	s_waitcnt lgkmcnt(2)
	v_pk_mul_f32 v[106:107], v[72:73], v[108:109] op_sel_hi:[1,0]
	;; [unrolled: 3-line block ×4, first 2 shown]
	s_waitcnt vmcnt(9)
	v_pk_fma_f32 v[116:117], v[66:67], v[80:81], v[64:65] op_sel:[0,0,1] op_sel_hi:[1,1,0] neg_lo:[0,0,1] neg_hi:[0,0,1]
	v_pk_fma_f32 v[64:65], v[66:67], v[80:81], v[64:65] op_sel:[0,0,1] op_sel_hi:[1,0,0]
	v_pk_add_f32 v[100:101], v[100:101], 0 op_sel_hi:[1,0]
	s_waitcnt vmcnt(8)
	v_pk_fma_f32 v[66:67], v[68:69], v[82:83], v[102:103] op_sel:[0,0,1] op_sel_hi:[1,1,0] neg_lo:[0,0,1] neg_hi:[0,0,1]
	v_pk_fma_f32 v[68:69], v[68:69], v[82:83], v[102:103] op_sel:[0,0,1] op_sel_hi:[1,0,0]
	v_mov_b32_e32 v117, v65
	s_waitcnt vmcnt(7)
	v_pk_fma_f32 v[80:81], v[70:71], v[84:85], v[104:105] op_sel:[0,0,1] op_sel_hi:[1,1,0] neg_lo:[0,0,1] neg_hi:[0,0,1]
	v_pk_fma_f32 v[70:71], v[70:71], v[84:85], v[104:105] op_sel:[0,0,1] op_sel_hi:[1,0,0]
	v_mov_b32_e32 v67, v69
	v_pk_add_f32 v[64:65], v[100:101], v[116:117]
	s_waitcnt vmcnt(6)
	v_pk_fma_f32 v[82:83], v[72:73], v[86:87], v[106:107] op_sel:[0,0,1] op_sel_hi:[1,1,0] neg_lo:[0,0,1] neg_hi:[0,0,1]
	v_pk_fma_f32 v[72:73], v[72:73], v[86:87], v[106:107] op_sel:[0,0,1] op_sel_hi:[1,0,0]
	v_mov_b32_e32 v81, v71
	v_pk_add_f32 v[64:65], v[64:65], v[66:67]
	;; [unrolled: 5-line block ×5, first 2 shown]
	v_pk_fma_f32 v[90:91], v[98:99], v[94:95], v[114:115] op_sel:[0,0,1] op_sel_hi:[1,1,0] neg_lo:[0,0,1] neg_hi:[0,0,1]
	v_pk_fma_f32 v[92:93], v[98:99], v[94:95], v[114:115] op_sel:[0,0,1] op_sel_hi:[1,0,0]
	v_mov_b32_e32 v89, v79
	v_pk_add_f32 v[64:65], v[64:65], v[86:87]
	v_mov_b32_e32 v91, v93
	v_pk_add_f32 v[64:65], v[64:65], v[88:89]
	v_pk_add_f32 v[64:65], v[64:65], v[90:91]
	s_waitcnt vmcnt(0)
	v_pk_add_f32 v[64:65], v[96:97], v[64:65] neg_lo:[0,1] neg_hi:[0,1]
	buffer_store_dword v64, off, s[0:3], 0 offset:160
	buffer_store_dword v65, off, s[0:3], 0 offset:164
	s_and_saveexec_b64 s[4:5], vcc
	s_cbranch_execz .LBB29_155
; %bb.154:
	buffer_load_dword v64, off, s[0:3], 0 offset:152
	buffer_load_dword v65, off, s[0:3], 0 offset:156
	s_waitcnt vmcnt(0)
	ds_write_b64 v1, v[64:65]
	buffer_store_dword v62, off, s[0:3], 0 offset:152
	buffer_store_dword v62, off, s[0:3], 0 offset:156
.LBB29_155:
	s_or_b64 exec, exec, s[4:5]
	s_waitcnt lgkmcnt(0)
	; wave barrier
	s_waitcnt lgkmcnt(0)
	buffer_load_dword v102, off, s[0:3], 0 offset:164
	buffer_load_dword v104, off, s[0:3], 0 offset:172
	;; [unrolled: 1-line block ×22, first 2 shown]
	ds_read_b128 v[64:67], v62 offset:400
	ds_read_b128 v[68:71], v62 offset:416
	;; [unrolled: 1-line block ×5, first 2 shown]
	v_cmp_lt_u32_e32 vcc, 18, v0
	s_waitcnt vmcnt(21) lgkmcnt(4)
	v_mul_f32_e32 v63, v64, v102
	s_waitcnt vmcnt(20)
	v_mul_f32_e32 v103, v66, v104
	v_mul_f32_e32 v62, v65, v102
	;; [unrolled: 1-line block ×3, first 2 shown]
	s_waitcnt vmcnt(19)
	v_mov_b32_e32 v104, v85
	s_waitcnt vmcnt(18)
	v_mov_b32_e32 v106, v87
	;; [unrolled: 2-line block ×5, first 2 shown]
	v_mov_b32_e32 v110, v91
	s_waitcnt vmcnt(11)
	v_fmac_f32_e32 v63, v65, v105
	v_fma_f32 v62, v64, v105, -v62
	s_waitcnt lgkmcnt(3)
	v_pk_mul_f32 v[64:65], v[68:69], v[104:105] op_sel_hi:[1,0]
	s_waitcnt vmcnt(10)
	v_fmac_f32_e32 v103, v67, v107
	v_fma_f32 v102, v66, v107, -v102
	v_pk_mul_f32 v[66:67], v[70:71], v[106:107] op_sel_hi:[1,0]
	s_waitcnt lgkmcnt(2)
	v_pk_mul_f32 v[104:105], v[72:73], v[108:109] op_sel_hi:[1,0]
	s_waitcnt lgkmcnt(1)
	;; [unrolled: 2-line block ×3, first 2 shown]
	v_pk_mul_f32 v[112:113], v[80:81], v[116:117] op_sel_hi:[1,0]
	v_pk_add_f32 v[62:63], v[62:63], 0 op_sel_hi:[1,0]
	s_waitcnt vmcnt(9)
	v_pk_fma_f32 v[116:117], v[68:69], v[84:85], v[64:65] op_sel:[0,0,1] op_sel_hi:[1,1,0] neg_lo:[0,0,1] neg_hi:[0,0,1]
	v_pk_fma_f32 v[64:65], v[68:69], v[84:85], v[64:65] op_sel:[0,0,1] op_sel_hi:[1,0,0]
	s_waitcnt vmcnt(8)
	v_pk_fma_f32 v[68:69], v[70:71], v[86:87], v[66:67] op_sel:[0,0,1] op_sel_hi:[1,1,0] neg_lo:[0,0,1] neg_hi:[0,0,1]
	v_pk_fma_f32 v[66:67], v[70:71], v[86:87], v[66:67] op_sel:[0,0,1] op_sel_hi:[1,0,0]
	v_pk_add_f32 v[62:63], v[62:63], v[102:103]
	v_mov_b32_e32 v117, v65
	v_pk_mul_f32 v[106:107], v[74:75], v[110:111] op_sel_hi:[1,0]
	s_waitcnt vmcnt(7)
	v_pk_fma_f32 v[70:71], v[72:73], v[88:89], v[104:105] op_sel:[0,0,1] op_sel_hi:[1,1,0] neg_lo:[0,0,1] neg_hi:[0,0,1]
	v_pk_fma_f32 v[72:73], v[72:73], v[88:89], v[104:105] op_sel:[0,0,1] op_sel_hi:[1,0,0]
	v_mov_b32_e32 v69, v67
	v_pk_add_f32 v[62:63], v[62:63], v[116:117]
	v_mov_b32_e32 v114, v95
	s_waitcnt vmcnt(6)
	v_pk_fma_f32 v[84:85], v[74:75], v[90:91], v[106:107] op_sel:[0,0,1] op_sel_hi:[1,1,0] neg_lo:[0,0,1] neg_hi:[0,0,1]
	v_pk_fma_f32 v[74:75], v[74:75], v[90:91], v[106:107] op_sel:[0,0,1] op_sel_hi:[1,0,0]
	v_mov_b32_e32 v71, v73
	v_pk_add_f32 v[62:63], v[62:63], v[68:69]
	v_pk_mul_f32 v[110:111], v[78:79], v[114:115] op_sel_hi:[1,0]
	s_waitcnt vmcnt(5)
	v_pk_fma_f32 v[86:87], v[76:77], v[92:93], v[108:109] op_sel:[0,0,1] op_sel_hi:[1,1,0] neg_lo:[0,0,1] neg_hi:[0,0,1]
	v_pk_fma_f32 v[76:77], v[76:77], v[92:93], v[108:109] op_sel:[0,0,1] op_sel_hi:[1,0,0]
	v_mov_b32_e32 v85, v75
	v_pk_add_f32 v[62:63], v[62:63], v[70:71]
	v_mov_b32_e32 v118, v99
	s_waitcnt vmcnt(2)
	v_pk_fma_f32 v[88:89], v[78:79], v[94:95], v[110:111] op_sel:[0,0,1] op_sel_hi:[1,1,0] neg_lo:[0,0,1] neg_hi:[0,0,1]
	v_pk_fma_f32 v[78:79], v[78:79], v[94:95], v[110:111] op_sel:[0,0,1] op_sel_hi:[1,0,0]
	v_mov_b32_e32 v87, v77
	v_pk_add_f32 v[62:63], v[62:63], v[84:85]
	v_pk_mul_f32 v[114:115], v[82:83], v[118:119] op_sel_hi:[1,0]
	v_pk_fma_f32 v[90:91], v[80:81], v[96:97], v[112:113] op_sel:[0,0,1] op_sel_hi:[1,1,0] neg_lo:[0,0,1] neg_hi:[0,0,1]
	v_pk_fma_f32 v[80:81], v[80:81], v[96:97], v[112:113] op_sel:[0,0,1] op_sel_hi:[1,0,0]
	v_mov_b32_e32 v89, v79
	v_pk_add_f32 v[62:63], v[62:63], v[86:87]
	v_pk_fma_f32 v[92:93], v[82:83], v[98:99], v[114:115] op_sel:[0,0,1] op_sel_hi:[1,1,0] neg_lo:[0,0,1] neg_hi:[0,0,1]
	v_pk_fma_f32 v[82:83], v[82:83], v[98:99], v[114:115] op_sel:[0,0,1] op_sel_hi:[1,0,0]
	v_mov_b32_e32 v91, v81
	v_pk_add_f32 v[62:63], v[62:63], v[88:89]
	v_mov_b32_e32 v93, v83
	v_pk_add_f32 v[62:63], v[62:63], v[90:91]
	v_pk_add_f32 v[62:63], v[62:63], v[92:93]
	s_waitcnt vmcnt(0)
	v_pk_add_f32 v[62:63], v[100:101], v[62:63] neg_lo:[0,1] neg_hi:[0,1]
	buffer_store_dword v62, off, s[0:3], 0 offset:152
	buffer_store_dword v63, off, s[0:3], 0 offset:156
	s_and_saveexec_b64 s[4:5], vcc
	s_cbranch_execz .LBB29_157
; %bb.156:
	buffer_load_dword v62, off, s[0:3], 0 offset:144
	buffer_load_dword v63, off, s[0:3], 0 offset:148
	v_mov_b32_e32 v64, 0
	buffer_store_dword v64, off, s[0:3], 0 offset:144
	buffer_store_dword v64, off, s[0:3], 0 offset:148
	s_waitcnt vmcnt(2)
	ds_write_b64 v1, v[62:63]
.LBB29_157:
	s_or_b64 exec, exec, s[4:5]
	s_waitcnt lgkmcnt(0)
	; wave barrier
	s_waitcnt lgkmcnt(0)
	buffer_load_dword v63, off, s[0:3], 0 offset:156
	buffer_load_dword v104, off, s[0:3], 0 offset:164
	;; [unrolled: 1-line block ×24, first 2 shown]
	v_mov_b32_e32 v62, 0
	ds_read2_b64 v[64:67], v62 offset0:49 offset1:50
	ds_read2_b64 v[68:71], v62 offset0:51 offset1:52
	;; [unrolled: 1-line block ×5, first 2 shown]
	ds_read_b64 v[102:103], v62 offset:472
	v_cmp_lt_u32_e32 vcc, 17, v0
	s_waitcnt vmcnt(23) lgkmcnt(5)
	v_mul_f32_e32 v117, v64, v63
	v_mul_f32_e32 v63, v65, v63
	s_waitcnt vmcnt(22)
	v_mul_f32_e32 v105, v66, v104
	s_waitcnt vmcnt(21) lgkmcnt(4)
	v_mul_f32_e32 v107, v68, v106
	v_mul_f32_e32 v104, v67, v104
	;; [unrolled: 1-line block ×3, first 2 shown]
	s_waitcnt vmcnt(20)
	v_mov_b32_e32 v108, v85
	s_waitcnt vmcnt(19)
	v_mov_b32_e32 v110, v87
	s_waitcnt vmcnt(18)
	v_mov_b32_e32 v112, v89
	s_waitcnt vmcnt(17)
	v_mov_b32_e32 v114, v91
	s_waitcnt vmcnt(16)
	v_mov_b32_e32 v116, v93
	s_waitcnt vmcnt(12)
	v_fmac_f32_e32 v117, v65, v109
	v_fma_f32 v63, v64, v109, -v63
	v_mov_b32_e32 v118, v95
	s_waitcnt vmcnt(11)
	v_fmac_f32_e32 v105, v67, v111
	s_waitcnt vmcnt(10)
	v_fmac_f32_e32 v107, v69, v113
	v_fma_f32 v104, v66, v111, -v104
	v_fma_f32 v106, v68, v113, -v106
	v_pk_mul_f32 v[64:65], v[70:71], v[108:109] op_sel_hi:[1,0]
	s_waitcnt lgkmcnt(3)
	v_pk_mul_f32 v[66:67], v[72:73], v[110:111] op_sel_hi:[1,0]
	v_pk_mul_f32 v[68:69], v[74:75], v[112:113] op_sel_hi:[1,0]
	s_waitcnt lgkmcnt(2)
	v_pk_mul_f32 v[108:109], v[76:77], v[114:115] op_sel_hi:[1,0]
	v_pk_mul_f32 v[110:111], v[78:79], v[116:117] op_sel_hi:[1,0]
	v_add_f32_e32 v117, 0, v117
	v_add_f32_e32 v116, 0, v63
	s_waitcnt lgkmcnt(1)
	v_pk_mul_f32 v[112:113], v[80:81], v[118:119] op_sel_hi:[1,0]
	s_waitcnt vmcnt(9)
	v_pk_fma_f32 v[118:119], v[70:71], v[84:85], v[64:65] op_sel:[0,0,1] op_sel_hi:[1,1,0] neg_lo:[0,0,1] neg_hi:[0,0,1]
	v_pk_fma_f32 v[64:65], v[70:71], v[84:85], v[64:65] op_sel:[0,0,1] op_sel_hi:[1,0,0]
	s_waitcnt vmcnt(8)
	v_pk_fma_f32 v[70:71], v[72:73], v[86:87], v[66:67] op_sel:[0,0,1] op_sel_hi:[1,1,0] neg_lo:[0,0,1] neg_hi:[0,0,1]
	v_pk_fma_f32 v[66:67], v[72:73], v[86:87], v[66:67] op_sel:[0,0,1] op_sel_hi:[1,0,0]
	;; [unrolled: 3-line block ×4, first 2 shown]
	v_pk_add_f32 v[90:91], v[116:117], v[104:105]
	v_mov_b32_e32 v119, v65
	v_pk_add_f32 v[64:65], v[90:91], v[106:107]
	v_mov_b32_e32 v71, v67
	;; [unrolled: 2-line block ×4, first 2 shown]
	s_waitcnt vmcnt(2)
	v_pk_fma_f32 v[84:85], v[78:79], v[92:93], v[110:111] op_sel:[0,0,1] op_sel_hi:[1,1,0] neg_lo:[0,0,1] neg_hi:[0,0,1]
	v_pk_fma_f32 v[78:79], v[78:79], v[92:93], v[110:111] op_sel:[0,0,1] op_sel_hi:[1,0,0]
	v_mov_b32_e32 v75, v77
	v_pk_add_f32 v[64:65], v[64:65], v[72:73]
	v_mov_b32_e32 v122, v99
	v_pk_mul_f32 v[114:115], v[82:83], v[120:121] op_sel_hi:[1,0]
	v_pk_fma_f32 v[86:87], v[80:81], v[94:95], v[112:113] op_sel:[0,0,1] op_sel_hi:[1,1,0] neg_lo:[0,0,1] neg_hi:[0,0,1]
	v_pk_fma_f32 v[80:81], v[80:81], v[94:95], v[112:113] op_sel:[0,0,1] op_sel_hi:[1,0,0]
	v_mov_b32_e32 v85, v79
	v_pk_add_f32 v[64:65], v[64:65], v[74:75]
	v_pk_fma_f32 v[88:89], v[82:83], v[96:97], v[114:115] op_sel:[0,0,1] op_sel_hi:[1,1,0] neg_lo:[0,0,1] neg_hi:[0,0,1]
	v_pk_fma_f32 v[82:83], v[82:83], v[96:97], v[114:115] op_sel:[0,0,1] op_sel_hi:[1,0,0]
	v_mov_b32_e32 v87, v81
	v_pk_add_f32 v[64:65], v[64:65], v[84:85]
	s_waitcnt lgkmcnt(0)
	v_pk_mul_f32 v[66:67], v[102:103], v[122:123] op_sel_hi:[1,0]
	v_mov_b32_e32 v89, v83
	v_pk_add_f32 v[64:65], v[64:65], v[86:87]
	v_pk_fma_f32 v[68:69], v[102:103], v[98:99], v[66:67] op_sel:[0,0,1] op_sel_hi:[1,1,0] neg_lo:[0,0,1] neg_hi:[0,0,1]
	v_pk_fma_f32 v[66:67], v[102:103], v[98:99], v[66:67] op_sel:[0,0,1] op_sel_hi:[1,0,0]
	v_pk_add_f32 v[64:65], v[64:65], v[88:89]
	v_mov_b32_e32 v69, v67
	v_pk_add_f32 v[64:65], v[64:65], v[68:69]
	s_waitcnt vmcnt(0)
	v_pk_add_f32 v[64:65], v[100:101], v[64:65] neg_lo:[0,1] neg_hi:[0,1]
	buffer_store_dword v65, off, s[0:3], 0 offset:148
	buffer_store_dword v64, off, s[0:3], 0 offset:144
	s_and_saveexec_b64 s[4:5], vcc
	s_cbranch_execz .LBB29_159
; %bb.158:
	buffer_load_dword v64, off, s[0:3], 0 offset:136
	buffer_load_dword v65, off, s[0:3], 0 offset:140
	s_waitcnt vmcnt(0)
	ds_write_b64 v1, v[64:65]
	buffer_store_dword v62, off, s[0:3], 0 offset:136
	buffer_store_dword v62, off, s[0:3], 0 offset:140
.LBB29_159:
	s_or_b64 exec, exec, s[4:5]
	s_waitcnt lgkmcnt(0)
	; wave barrier
	s_waitcnt lgkmcnt(0)
	buffer_load_dword v106, off, s[0:3], 0 offset:148
	buffer_load_dword v108, off, s[0:3], 0 offset:156
	;; [unrolled: 1-line block ×26, first 2 shown]
	ds_read_b128 v[64:67], v62 offset:384
	ds_read_b128 v[68:71], v62 offset:400
	;; [unrolled: 1-line block ×6, first 2 shown]
	v_cmp_lt_u32_e32 vcc, 16, v0
	s_waitcnt vmcnt(25) lgkmcnt(5)
	v_mul_f32_e32 v119, v64, v106
	v_mul_f32_e32 v62, v65, v106
	s_waitcnt vmcnt(24)
	v_mul_f32_e32 v120, v66, v108
	s_waitcnt vmcnt(23) lgkmcnt(4)
	v_mul_f32_e32 v63, v68, v109
	s_waitcnt vmcnt(22)
	v_mul_f32_e32 v107, v70, v110
	v_mul_f32_e32 v106, v67, v108
	;; [unrolled: 1-line block ×4, first 2 shown]
	s_waitcnt vmcnt(21)
	v_mov_b32_e32 v108, v89
	s_waitcnt vmcnt(20)
	v_mov_b32_e32 v110, v91
	;; [unrolled: 2-line block ×3, first 2 shown]
	s_waitcnt vmcnt(15)
	v_fmac_f32_e32 v119, v65, v111
	v_fma_f32 v122, v64, v111, -v62
	v_mov_b32_e32 v112, v93
	s_waitcnt vmcnt(14)
	v_fmac_f32_e32 v120, v67, v113
	s_waitcnt vmcnt(13)
	v_fmac_f32_e32 v63, v69, v115
	;; [unrolled: 2-line block ×3, first 2 shown]
	v_fma_f32 v123, v66, v113, -v106
	v_fma_f32 v62, v68, v115, -v109
	;; [unrolled: 1-line block ×3, first 2 shown]
	s_waitcnt lgkmcnt(3)
	v_pk_mul_f32 v[64:65], v[72:73], v[108:109] op_sel_hi:[1,0]
	v_pk_mul_f32 v[66:67], v[74:75], v[110:111] op_sel_hi:[1,0]
	s_waitcnt lgkmcnt(2)
	v_pk_mul_f32 v[70:71], v[78:79], v[114:115] op_sel_hi:[1,0]
	v_add_f32_e32 v114, 0, v119
	v_add_f32_e32 v115, 0, v122
	v_pk_mul_f32 v[68:69], v[76:77], v[112:113] op_sel_hi:[1,0]
	s_waitcnt vmcnt(11)
	v_pk_fma_f32 v[112:113], v[72:73], v[88:89], v[64:65] op_sel:[0,0,1] op_sel_hi:[1,1,0] neg_lo:[0,0,1] neg_hi:[0,0,1]
	v_pk_fma_f32 v[64:65], v[72:73], v[88:89], v[64:65] op_sel:[0,0,1] op_sel_hi:[1,0,0]
	s_waitcnt vmcnt(10)
	v_pk_fma_f32 v[72:73], v[74:75], v[90:91], v[66:67] op_sel:[0,0,1] op_sel_hi:[1,1,0] neg_lo:[0,0,1] neg_hi:[0,0,1]
	v_pk_fma_f32 v[66:67], v[74:75], v[90:91], v[66:67] op_sel:[0,0,1] op_sel_hi:[1,0,0]
	v_add_f32_e32 v91, v114, v120
	v_add_f32_e32 v90, v115, v123
	v_pk_add_f32 v[62:63], v[90:91], v[62:63]
	v_mov_b32_e32 v113, v65
	v_pk_add_f32 v[62:63], v[62:63], v[106:107]
	v_mov_b32_e32 v116, v97
	s_waitcnt vmcnt(9)
	v_pk_fma_f32 v[74:75], v[76:77], v[92:93], v[68:69] op_sel:[0,0,1] op_sel_hi:[1,1,0] neg_lo:[0,0,1] neg_hi:[0,0,1]
	v_pk_fma_f32 v[68:69], v[76:77], v[92:93], v[68:69] op_sel:[0,0,1] op_sel_hi:[1,0,0]
	v_mov_b32_e32 v73, v67
	v_pk_add_f32 v[62:63], v[62:63], v[112:113]
	v_mov_b32_e32 v118, v99
	s_waitcnt lgkmcnt(1)
	v_pk_mul_f32 v[108:109], v[80:81], v[116:117] op_sel_hi:[1,0]
	s_waitcnt vmcnt(5)
	v_pk_fma_f32 v[76:77], v[78:79], v[94:95], v[70:71] op_sel:[0,0,1] op_sel_hi:[1,1,0] neg_lo:[0,0,1] neg_hi:[0,0,1]
	v_pk_fma_f32 v[70:71], v[78:79], v[94:95], v[70:71] op_sel:[0,0,1] op_sel_hi:[1,0,0]
	v_mov_b32_e32 v75, v69
	v_pk_add_f32 v[62:63], v[62:63], v[72:73]
	s_waitcnt vmcnt(4)
	v_mov_b32_e32 v64, v101
	v_pk_mul_f32 v[110:111], v[82:83], v[118:119] op_sel_hi:[1,0]
	v_pk_fma_f32 v[78:79], v[80:81], v[96:97], v[108:109] op_sel:[0,0,1] op_sel_hi:[1,1,0] neg_lo:[0,0,1] neg_hi:[0,0,1]
	v_pk_fma_f32 v[80:81], v[80:81], v[96:97], v[108:109] op_sel:[0,0,1] op_sel_hi:[1,0,0]
	v_mov_b32_e32 v77, v71
	v_pk_add_f32 v[62:63], v[62:63], v[74:75]
	s_waitcnt lgkmcnt(0)
	v_pk_mul_f32 v[64:65], v[84:85], v[64:65] op_sel_hi:[1,0]
	v_pk_fma_f32 v[88:89], v[82:83], v[98:99], v[110:111] op_sel:[0,0,1] op_sel_hi:[1,1,0] neg_lo:[0,0,1] neg_hi:[0,0,1]
	v_pk_fma_f32 v[82:83], v[82:83], v[98:99], v[110:111] op_sel:[0,0,1] op_sel_hi:[1,0,0]
	v_mov_b32_e32 v79, v81
	v_pk_add_f32 v[62:63], v[62:63], v[76:77]
	v_pk_fma_f32 v[66:67], v[84:85], v[100:101], v[64:65] op_sel:[0,0,1] op_sel_hi:[1,1,0] neg_lo:[0,0,1] neg_hi:[0,0,1]
	v_pk_fma_f32 v[64:65], v[84:85], v[100:101], v[64:65] op_sel:[0,0,1] op_sel_hi:[1,0,0]
	v_mov_b32_e32 v89, v83
	v_pk_add_f32 v[62:63], v[62:63], v[78:79]
	s_waitcnt vmcnt(3)
	v_mov_b32_e32 v64, v103
	v_pk_add_f32 v[62:63], v[62:63], v[88:89]
	v_mov_b32_e32 v67, v65
	v_pk_mul_f32 v[64:65], v[86:87], v[64:65] op_sel_hi:[1,0]
	v_pk_add_f32 v[62:63], v[62:63], v[66:67]
	s_waitcnt vmcnt(2)
	v_pk_fma_f32 v[66:67], v[86:87], v[102:103], v[64:65] op_sel:[0,0,1] op_sel_hi:[1,1,0] neg_lo:[0,0,1] neg_hi:[0,0,1]
	v_pk_fma_f32 v[64:65], v[86:87], v[102:103], v[64:65] op_sel:[0,0,1] op_sel_hi:[1,0,0]
	v_mov_b32_e32 v67, v65
	v_pk_add_f32 v[62:63], v[62:63], v[66:67]
	s_waitcnt vmcnt(0)
	v_pk_add_f32 v[62:63], v[104:105], v[62:63] neg_lo:[0,1] neg_hi:[0,1]
	buffer_store_dword v63, off, s[0:3], 0 offset:140
	buffer_store_dword v62, off, s[0:3], 0 offset:136
	s_and_saveexec_b64 s[4:5], vcc
	s_cbranch_execz .LBB29_161
; %bb.160:
	buffer_load_dword v62, off, s[0:3], 0 offset:128
	buffer_load_dword v63, off, s[0:3], 0 offset:132
	v_mov_b32_e32 v64, 0
	buffer_store_dword v64, off, s[0:3], 0 offset:128
	buffer_store_dword v64, off, s[0:3], 0 offset:132
	s_waitcnt vmcnt(2)
	ds_write_b64 v1, v[62:63]
.LBB29_161:
	s_or_b64 exec, exec, s[4:5]
	s_waitcnt lgkmcnt(0)
	; wave barrier
	s_waitcnt lgkmcnt(0)
	buffer_load_dword v65, off, s[0:3], 0 offset:140
	buffer_load_dword v108, off, s[0:3], 0 offset:148
	;; [unrolled: 1-line block ×28, first 2 shown]
	v_mov_b32_e32 v64, 0
	ds_read2_b64 v[66:69], v64 offset0:47 offset1:48
	ds_read2_b64 v[70:73], v64 offset0:49 offset1:50
	;; [unrolled: 1-line block ×6, first 2 shown]
	ds_read_b64 v[106:107], v64 offset:472
	v_cmp_lt_u32_e32 vcc, 15, v0
	s_waitcnt vmcnt(27) lgkmcnt(6)
	v_mul_f32_e32 v123, v66, v65
	v_mul_f32_e32 v65, v67, v65
	s_waitcnt vmcnt(26)
	v_mul_f32_e32 v124, v68, v108
	s_waitcnt vmcnt(24) lgkmcnt(5)
	v_mul_f32_e32 v109, v72, v112
	s_waitcnt vmcnt(23) lgkmcnt(4)
	v_mul_f32_e32 v111, v74, v113
	v_mul_f32_e32 v126, v73, v112
	;; [unrolled: 1-line block ×3, first 2 shown]
	s_waitcnt vmcnt(22)
	v_mov_b32_e32 v112, v63
	v_mul_f32_e32 v125, v70, v110
	v_mul_f32_e32 v108, v69, v108
	;; [unrolled: 1-line block ×3, first 2 shown]
	s_waitcnt vmcnt(17)
	v_fmac_f32_e32 v123, v67, v115
	v_fma_f32 v65, v66, v115, -v65
	v_pk_mul_f32 v[66:67], v[76:77], v[112:113] op_sel_hi:[1,0]
	s_waitcnt vmcnt(16)
	v_fmac_f32_e32 v124, v69, v117
	s_waitcnt vmcnt(13)
	v_fmac_f32_e32 v111, v75, v122
	v_fma_f32 v115, v68, v117, -v108
	v_fma_f32 v117, v70, v119, -v110
	;; [unrolled: 1-line block ×3, first 2 shown]
	v_add_f32_e32 v112, 0, v123
	v_add_f32_e32 v65, 0, v65
	s_waitcnt vmcnt(12)
	v_pk_fma_f32 v[74:75], v[76:77], v[62:63], v[66:67] op_sel:[0,0,1] op_sel_hi:[1,1,0] neg_lo:[0,0,1] neg_hi:[0,0,1]
	v_pk_fma_f32 v[62:63], v[76:77], v[62:63], v[66:67] op_sel:[0,0,1] op_sel_hi:[1,0,0]
	v_fmac_f32_e32 v125, v71, v119
	v_add_f32_e32 v62, v112, v124
	v_add_f32_e32 v65, v65, v115
	v_mov_b32_e32 v114, v91
	v_fmac_f32_e32 v109, v73, v121
	v_fma_f32 v108, v72, v121, -v126
	v_mov_b32_e32 v75, v63
	v_add_f32_e32 v63, v62, v125
	v_add_f32_e32 v62, v65, v117
	s_waitcnt lgkmcnt(3)
	v_pk_mul_f32 v[68:69], v[78:79], v[114:115] op_sel_hi:[1,0]
	v_pk_add_f32 v[62:63], v[62:63], v[108:109]
	v_mov_b32_e32 v116, v93
	s_waitcnt vmcnt(11)
	v_pk_fma_f32 v[66:67], v[78:79], v[90:91], v[68:69] op_sel:[0,0,1] op_sel_hi:[1,1,0] neg_lo:[0,0,1] neg_hi:[0,0,1]
	v_pk_fma_f32 v[68:69], v[78:79], v[90:91], v[68:69] op_sel:[0,0,1] op_sel_hi:[1,0,0]
	v_pk_add_f32 v[62:63], v[62:63], v[110:111]
	v_mov_b32_e32 v118, v95
	v_mov_b32_e32 v120, v97
	v_pk_mul_f32 v[70:71], v[80:81], v[116:117] op_sel_hi:[1,0]
	v_mov_b32_e32 v67, v69
	v_pk_add_f32 v[62:63], v[62:63], v[74:75]
	s_waitcnt lgkmcnt(2)
	v_pk_mul_f32 v[72:73], v[82:83], v[118:119] op_sel_hi:[1,0]
	s_waitcnt vmcnt(7)
	v_pk_fma_f32 v[76:77], v[80:81], v[92:93], v[70:71] op_sel:[0,0,1] op_sel_hi:[1,1,0] neg_lo:[0,0,1] neg_hi:[0,0,1]
	v_pk_fma_f32 v[70:71], v[80:81], v[92:93], v[70:71] op_sel:[0,0,1] op_sel_hi:[1,0,0]
	v_pk_add_f32 v[62:63], v[62:63], v[66:67]
	v_pk_mul_f32 v[66:67], v[84:85], v[120:121] op_sel_hi:[1,0]
	v_pk_fma_f32 v[78:79], v[82:83], v[94:95], v[72:73] op_sel:[0,0,1] op_sel_hi:[1,1,0] neg_lo:[0,0,1] neg_hi:[0,0,1]
	v_pk_fma_f32 v[72:73], v[82:83], v[94:95], v[72:73] op_sel:[0,0,1] op_sel_hi:[1,0,0]
	v_mov_b32_e32 v77, v71
	v_pk_fma_f32 v[68:69], v[84:85], v[96:97], v[66:67] op_sel:[0,0,1] op_sel_hi:[1,1,0] neg_lo:[0,0,1] neg_hi:[0,0,1]
	v_pk_fma_f32 v[66:67], v[84:85], v[96:97], v[66:67] op_sel:[0,0,1] op_sel_hi:[1,0,0]
	v_mov_b32_e32 v79, v73
	v_pk_add_f32 v[62:63], v[62:63], v[76:77]
	s_waitcnt vmcnt(6)
	v_mov_b32_e32 v66, v99
	v_pk_add_f32 v[62:63], v[62:63], v[78:79]
	v_mov_b32_e32 v69, v67
	s_waitcnt lgkmcnt(1)
	v_pk_mul_f32 v[66:67], v[86:87], v[66:67] op_sel_hi:[1,0]
	v_pk_add_f32 v[62:63], v[62:63], v[68:69]
	v_pk_fma_f32 v[68:69], v[86:87], v[98:99], v[66:67] op_sel:[0,0,1] op_sel_hi:[1,1,0] neg_lo:[0,0,1] neg_hi:[0,0,1]
	v_pk_fma_f32 v[66:67], v[86:87], v[98:99], v[66:67] op_sel:[0,0,1] op_sel_hi:[1,0,0]
	s_waitcnt vmcnt(5)
	v_mov_b32_e32 v66, v101
	v_mov_b32_e32 v69, v67
	v_pk_mul_f32 v[66:67], v[88:89], v[66:67] op_sel_hi:[1,0]
	v_pk_add_f32 v[62:63], v[62:63], v[68:69]
	s_waitcnt vmcnt(3)
	v_pk_fma_f32 v[68:69], v[88:89], v[100:101], v[66:67] op_sel:[0,0,1] op_sel_hi:[1,1,0] neg_lo:[0,0,1] neg_hi:[0,0,1]
	v_pk_fma_f32 v[66:67], v[88:89], v[100:101], v[66:67] op_sel:[0,0,1] op_sel_hi:[1,0,0]
	s_waitcnt vmcnt(2)
	v_mov_b32_e32 v66, v103
	v_mov_b32_e32 v69, v67
	s_waitcnt lgkmcnt(0)
	v_pk_mul_f32 v[66:67], v[106:107], v[66:67] op_sel_hi:[1,0]
	v_pk_add_f32 v[62:63], v[62:63], v[68:69]
	v_pk_fma_f32 v[68:69], v[106:107], v[102:103], v[66:67] op_sel:[0,0,1] op_sel_hi:[1,1,0] neg_lo:[0,0,1] neg_hi:[0,0,1]
	v_pk_fma_f32 v[66:67], v[106:107], v[102:103], v[66:67] op_sel:[0,0,1] op_sel_hi:[1,0,0]
	v_mov_b32_e32 v69, v67
	v_pk_add_f32 v[62:63], v[62:63], v[68:69]
	s_waitcnt vmcnt(0)
	v_pk_add_f32 v[62:63], v[104:105], v[62:63] neg_lo:[0,1] neg_hi:[0,1]
	buffer_store_dword v63, off, s[0:3], 0 offset:132
	buffer_store_dword v62, off, s[0:3], 0 offset:128
	s_and_saveexec_b64 s[4:5], vcc
	s_cbranch_execz .LBB29_163
; %bb.162:
	buffer_load_dword v62, off, s[0:3], 0 offset:120
	buffer_load_dword v63, off, s[0:3], 0 offset:124
	s_waitcnt vmcnt(0)
	ds_write_b64 v1, v[62:63]
	buffer_store_dword v64, off, s[0:3], 0 offset:120
	buffer_store_dword v64, off, s[0:3], 0 offset:124
.LBB29_163:
	s_or_b64 exec, exec, s[4:5]
	s_waitcnt lgkmcnt(0)
	; wave barrier
	s_waitcnt lgkmcnt(0)
	ds_read_b128 v[66:69], v64 offset:368
	ds_read_b128 v[70:73], v64 offset:384
	;; [unrolled: 1-line block ×4, first 2 shown]
	buffer_load_dword v62, off, s[0:3], 0 offset:120
	buffer_load_dword v63, off, s[0:3], 0 offset:124
	;; [unrolled: 1-line block ×30, first 2 shown]
	v_cmp_lt_u32_e32 vcc, 14, v0
	s_waitcnt vmcnt(26) lgkmcnt(3)
	v_mul_f32_e32 v85, v66, v84
	v_fmac_f32_e32 v85, v67, v65
	v_mul_f32_e32 v67, v67, v84
	s_waitcnt vmcnt(24)
	v_mul_f32_e32 v87, v68, v88
	v_fma_f32 v65, v66, v65, -v67
	v_mul_f32_e32 v66, v69, v88
	v_add_f32_e32 v85, 0, v85
	v_fmac_f32_e32 v87, v69, v86
	v_add_f32_e32 v65, 0, v65
	v_fma_f32 v66, v68, v86, -v66
	v_add_f32_e32 v85, v85, v87
	s_waitcnt vmcnt(22) lgkmcnt(2)
	v_mul_f32_e32 v87, v70, v105
	v_add_f32_e32 v65, v65, v66
	v_mul_f32_e32 v66, v71, v105
	v_fmac_f32_e32 v87, v71, v104
	v_fma_f32 v66, v70, v104, -v66
	v_add_f32_e32 v85, v85, v87
	s_waitcnt vmcnt(20)
	v_mul_f32_e32 v87, v72, v107
	v_add_f32_e32 v65, v65, v66
	v_mul_f32_e32 v66, v73, v107
	v_fmac_f32_e32 v87, v73, v106
	v_fma_f32 v66, v72, v106, -v66
	v_add_f32_e32 v85, v85, v87
	s_waitcnt vmcnt(18) lgkmcnt(1)
	v_mul_f32_e32 v87, v74, v109
	v_add_f32_e32 v84, v65, v66
	v_mul_f32_e32 v65, v75, v109
	v_fmac_f32_e32 v87, v75, v108
	s_waitcnt vmcnt(16)
	v_mul_f32_e32 v89, v76, v111
	v_fma_f32 v86, v74, v108, -v65
	v_mul_f32_e32 v65, v77, v111
	v_fmac_f32_e32 v89, v77, v110
	v_fma_f32 v88, v76, v110, -v65
	ds_read_b128 v[66:69], v64 offset:432
	ds_read_b128 v[70:73], v64 offset:448
	ds_read_b128 v[74:77], v64 offset:464
	v_pk_add_f32 v[64:65], v[84:85], v[86:87]
	s_waitcnt vmcnt(14)
	v_mov_b32_e32 v84, v83
	s_waitcnt lgkmcnt(3)
	v_pk_mul_f32 v[84:85], v[78:79], v[84:85] op_sel_hi:[1,0]
	v_pk_fma_f32 v[86:87], v[78:79], v[82:83], v[84:85] op_sel:[0,0,1] op_sel_hi:[1,1,0] neg_lo:[0,0,1] neg_hi:[0,0,1]
	v_pk_fma_f32 v[78:79], v[78:79], v[82:83], v[84:85] op_sel:[0,0,1] op_sel_hi:[1,0,0]
	s_waitcnt vmcnt(13)
	v_mov_b32_e32 v78, v91
	v_mov_b32_e32 v87, v79
	v_pk_mul_f32 v[78:79], v[80:81], v[78:79] op_sel_hi:[1,0]
	s_waitcnt vmcnt(12)
	v_pk_fma_f32 v[82:83], v[80:81], v[90:91], v[78:79] op_sel:[0,0,1] op_sel_hi:[1,1,0] neg_lo:[0,0,1] neg_hi:[0,0,1]
	v_pk_fma_f32 v[78:79], v[80:81], v[90:91], v[78:79] op_sel:[0,0,1] op_sel_hi:[1,0,0]
	s_waitcnt vmcnt(11)
	v_mov_b32_e32 v78, v93
	v_mov_b32_e32 v83, v79
	s_waitcnt lgkmcnt(2)
	v_pk_mul_f32 v[78:79], v[66:67], v[78:79] op_sel_hi:[1,0]
	s_waitcnt vmcnt(10)
	v_pk_fma_f32 v[80:81], v[66:67], v[92:93], v[78:79] op_sel:[0,0,1] op_sel_hi:[1,1,0] neg_lo:[0,0,1] neg_hi:[0,0,1]
	v_pk_fma_f32 v[66:67], v[66:67], v[92:93], v[78:79] op_sel:[0,0,1] op_sel_hi:[1,0,0]
	s_waitcnt vmcnt(9)
	v_mov_b32_e32 v66, v95
	v_mov_b32_e32 v81, v67
	v_pk_mul_f32 v[66:67], v[68:69], v[66:67] op_sel_hi:[1,0]
	s_waitcnt vmcnt(8)
	v_pk_fma_f32 v[78:79], v[68:69], v[94:95], v[66:67] op_sel:[0,0,1] op_sel_hi:[1,1,0] neg_lo:[0,0,1] neg_hi:[0,0,1]
	v_pk_fma_f32 v[66:67], v[68:69], v[94:95], v[66:67] op_sel:[0,0,1] op_sel_hi:[1,0,0]
	v_pk_add_f32 v[64:65], v[64:65], v[88:89]
	s_waitcnt vmcnt(7)
	v_mov_b32_e32 v66, v97
	v_pk_add_f32 v[64:65], v[64:65], v[86:87]
	v_mov_b32_e32 v79, v67
	s_waitcnt lgkmcnt(1)
	v_pk_mul_f32 v[66:67], v[70:71], v[66:67] op_sel_hi:[1,0]
	v_pk_add_f32 v[64:65], v[64:65], v[82:83]
	s_waitcnt vmcnt(6)
	v_pk_fma_f32 v[68:69], v[70:71], v[96:97], v[66:67] op_sel:[0,0,1] op_sel_hi:[1,1,0] neg_lo:[0,0,1] neg_hi:[0,0,1]
	v_pk_fma_f32 v[66:67], v[70:71], v[96:97], v[66:67] op_sel:[0,0,1] op_sel_hi:[1,0,0]
	v_pk_add_f32 v[64:65], v[64:65], v[80:81]
	s_waitcnt vmcnt(5)
	v_mov_b32_e32 v66, v99
	v_pk_add_f32 v[64:65], v[64:65], v[78:79]
	v_mov_b32_e32 v69, v67
	v_pk_mul_f32 v[66:67], v[72:73], v[66:67] op_sel_hi:[1,0]
	v_pk_add_f32 v[64:65], v[64:65], v[68:69]
	s_waitcnt vmcnt(4)
	v_pk_fma_f32 v[68:69], v[72:73], v[98:99], v[66:67] op_sel:[0,0,1] op_sel_hi:[1,1,0] neg_lo:[0,0,1] neg_hi:[0,0,1]
	v_pk_fma_f32 v[66:67], v[72:73], v[98:99], v[66:67] op_sel:[0,0,1] op_sel_hi:[1,0,0]
	s_waitcnt vmcnt(3)
	v_mov_b32_e32 v66, v101
	v_mov_b32_e32 v69, v67
	s_waitcnt lgkmcnt(0)
	v_pk_mul_f32 v[66:67], v[74:75], v[66:67] op_sel_hi:[1,0]
	v_pk_add_f32 v[64:65], v[64:65], v[68:69]
	s_waitcnt vmcnt(2)
	v_pk_fma_f32 v[68:69], v[74:75], v[100:101], v[66:67] op_sel:[0,0,1] op_sel_hi:[1,1,0] neg_lo:[0,0,1] neg_hi:[0,0,1]
	v_pk_fma_f32 v[66:67], v[74:75], v[100:101], v[66:67] op_sel:[0,0,1] op_sel_hi:[1,0,0]
	s_waitcnt vmcnt(1)
	v_mov_b32_e32 v66, v103
	v_mov_b32_e32 v69, v67
	v_pk_mul_f32 v[66:67], v[76:77], v[66:67] op_sel_hi:[1,0]
	v_pk_add_f32 v[64:65], v[64:65], v[68:69]
	s_waitcnt vmcnt(0)
	v_pk_fma_f32 v[68:69], v[76:77], v[102:103], v[66:67] op_sel:[0,0,1] op_sel_hi:[1,1,0] neg_lo:[0,0,1] neg_hi:[0,0,1]
	v_pk_fma_f32 v[66:67], v[76:77], v[102:103], v[66:67] op_sel:[0,0,1] op_sel_hi:[1,0,0]
	v_mov_b32_e32 v69, v67
	v_pk_add_f32 v[64:65], v[64:65], v[68:69]
	v_pk_add_f32 v[62:63], v[62:63], v[64:65] neg_lo:[0,1] neg_hi:[0,1]
	buffer_store_dword v63, off, s[0:3], 0 offset:124
	buffer_store_dword v62, off, s[0:3], 0 offset:120
	s_and_saveexec_b64 s[4:5], vcc
	s_cbranch_execz .LBB29_165
; %bb.164:
	buffer_load_dword v62, off, s[0:3], 0 offset:112
	buffer_load_dword v63, off, s[0:3], 0 offset:116
	v_mov_b32_e32 v64, 0
	buffer_store_dword v64, off, s[0:3], 0 offset:112
	buffer_store_dword v64, off, s[0:3], 0 offset:116
	s_waitcnt vmcnt(2)
	ds_write_b64 v1, v[62:63]
.LBB29_165:
	s_or_b64 exec, exec, s[4:5]
	v_mov_b32_e32 v64, 0
	s_waitcnt lgkmcnt(0)
	; wave barrier
	s_waitcnt lgkmcnt(0)
	ds_read2_b64 v[66:69], v64 offset0:45 offset1:46
	buffer_load_dword v62, off, s[0:3], 0 offset:112
	buffer_load_dword v63, off, s[0:3], 0 offset:116
	;; [unrolled: 1-line block ×16, first 2 shown]
	v_cmp_lt_u32_e32 vcc, 13, v0
	s_waitcnt vmcnt(12) lgkmcnt(0)
	v_mul_f32_e32 v70, v66, v82
	v_fmac_f32_e32 v70, v67, v65
	s_waitcnt vmcnt(10)
	v_mul_f32_e32 v71, v68, v86
	v_add_f32_e32 v70, 0, v70
	v_fmac_f32_e32 v71, v69, v84
	v_add_f32_e32 v74, v70, v71
	ds_read2_b64 v[70:73], v64 offset0:47 offset1:48
	v_mul_f32_e32 v67, v67, v82
	v_fma_f32 v65, v66, v65, -v67
	v_mul_f32_e32 v66, v69, v86
	v_add_f32_e32 v65, 0, v65
	s_waitcnt vmcnt(8) lgkmcnt(0)
	v_mul_f32_e32 v75, v70, v105
	v_fmac_f32_e32 v75, v71, v104
	v_add_f32_e32 v74, v74, v75
	s_waitcnt vmcnt(6)
	v_mul_f32_e32 v75, v72, v107
	v_fmac_f32_e32 v75, v73, v106
	v_add_f32_e32 v78, v74, v75
	ds_read2_b64 v[74:77], v64 offset0:49 offset1:50
	v_fma_f32 v66, v68, v84, -v66
	v_add_f32_e32 v65, v65, v66
	v_mul_f32_e32 v66, v71, v105
	v_fma_f32 v66, v70, v104, -v66
	s_waitcnt vmcnt(4) lgkmcnt(0)
	v_mul_f32_e32 v79, v74, v109
	v_fmac_f32_e32 v79, v75, v108
	v_add_f32_e32 v83, v78, v79
	ds_read2_b64 v[78:81], v64 offset0:51 offset1:52
	buffer_load_dword v89, off, s[0:3], 0 offset:180
	buffer_load_dword v88, off, s[0:3], 0 offset:176
	;; [unrolled: 1-line block ×16, first 2 shown]
	v_add_f32_e32 v65, v65, v66
	v_mul_f32_e32 v66, v73, v107
	v_fma_f32 v66, v72, v106, -v66
	v_add_f32_e32 v65, v65, v66
	v_mul_f32_e32 v66, v75, v109
	v_fma_f32 v66, v74, v108, -v66
	s_waitcnt vmcnt(18)
	v_mul_f32_e32 v85, v76, v111
	v_add_f32_e32 v82, v65, v66
	v_mul_f32_e32 v65, v77, v111
	v_fmac_f32_e32 v85, v77, v110
	v_fma_f32 v84, v76, v110, -v65
	s_waitcnt vmcnt(16) lgkmcnt(0)
	v_mul_f32_e32 v87, v78, v113
	v_mul_f32_e32 v65, v79, v113
	v_pk_add_f32 v[82:83], v[82:83], v[84:85]
	v_fmac_f32_e32 v87, v79, v112
	v_fma_f32 v86, v78, v112, -v65
	v_pk_add_f32 v[82:83], v[82:83], v[86:87]
	ds_read2_b64 v[66:69], v64 offset0:53 offset1:54
	ds_read2_b64 v[70:73], v64 offset0:55 offset1:56
	;; [unrolled: 1-line block ×3, first 2 shown]
	ds_read_b64 v[78:79], v64 offset:472
	s_waitcnt vmcnt(15)
	v_mov_b32_e32 v84, v89
	v_pk_mul_f32 v[84:85], v[80:81], v[84:85] op_sel_hi:[1,0]
	s_waitcnt vmcnt(14)
	v_pk_fma_f32 v[86:87], v[80:81], v[88:89], v[84:85] op_sel:[0,0,1] op_sel_hi:[1,1,0] neg_lo:[0,0,1] neg_hi:[0,0,1]
	v_pk_fma_f32 v[80:81], v[80:81], v[88:89], v[84:85] op_sel:[0,0,1] op_sel_hi:[1,0,0]
	v_mov_b32_e32 v87, v81
	v_pk_add_f32 v[80:81], v[82:83], v[86:87]
	s_waitcnt vmcnt(13)
	v_mov_b32_e32 v82, v91
	s_waitcnt lgkmcnt(3)
	v_pk_mul_f32 v[82:83], v[66:67], v[82:83] op_sel_hi:[1,0]
	s_waitcnt vmcnt(12)
	v_pk_fma_f32 v[84:85], v[66:67], v[90:91], v[82:83] op_sel:[0,0,1] op_sel_hi:[1,1,0] neg_lo:[0,0,1] neg_hi:[0,0,1]
	v_pk_fma_f32 v[66:67], v[66:67], v[90:91], v[82:83] op_sel:[0,0,1] op_sel_hi:[1,0,0]
	v_mov_b32_e32 v85, v67
	v_pk_add_f32 v[66:67], v[80:81], v[84:85]
	s_waitcnt vmcnt(11)
	v_mov_b32_e32 v80, v93
	v_pk_mul_f32 v[80:81], v[68:69], v[80:81] op_sel_hi:[1,0]
	s_waitcnt vmcnt(10)
	v_pk_fma_f32 v[82:83], v[68:69], v[92:93], v[80:81] op_sel:[0,0,1] op_sel_hi:[1,1,0] neg_lo:[0,0,1] neg_hi:[0,0,1]
	v_pk_fma_f32 v[68:69], v[68:69], v[92:93], v[80:81] op_sel:[0,0,1] op_sel_hi:[1,0,0]
	s_waitcnt vmcnt(9)
	v_mov_b32_e32 v68, v95
	v_mov_b32_e32 v83, v69
	s_waitcnt lgkmcnt(2)
	v_pk_mul_f32 v[68:69], v[70:71], v[68:69] op_sel_hi:[1,0]
	s_waitcnt vmcnt(8)
	v_pk_fma_f32 v[80:81], v[70:71], v[94:95], v[68:69] op_sel:[0,0,1] op_sel_hi:[1,1,0] neg_lo:[0,0,1] neg_hi:[0,0,1]
	v_pk_fma_f32 v[68:69], v[70:71], v[94:95], v[68:69] op_sel:[0,0,1] op_sel_hi:[1,0,0]
	s_waitcnt vmcnt(7)
	v_mov_b32_e32 v68, v97
	v_mov_b32_e32 v81, v69
	v_pk_mul_f32 v[68:69], v[72:73], v[68:69] op_sel_hi:[1,0]
	s_waitcnt vmcnt(6)
	v_pk_fma_f32 v[70:71], v[72:73], v[96:97], v[68:69] op_sel:[0,0,1] op_sel_hi:[1,1,0] neg_lo:[0,0,1] neg_hi:[0,0,1]
	v_pk_fma_f32 v[68:69], v[72:73], v[96:97], v[68:69] op_sel:[0,0,1] op_sel_hi:[1,0,0]
	v_pk_add_f32 v[66:67], v[66:67], v[82:83]
	s_waitcnt vmcnt(5)
	v_mov_b32_e32 v68, v99
	v_pk_add_f32 v[66:67], v[66:67], v[80:81]
	v_mov_b32_e32 v71, v69
	s_waitcnt lgkmcnt(1)
	v_pk_mul_f32 v[68:69], v[74:75], v[68:69] op_sel_hi:[1,0]
	v_pk_add_f32 v[66:67], v[66:67], v[70:71]
	s_waitcnt vmcnt(4)
	v_pk_fma_f32 v[70:71], v[74:75], v[98:99], v[68:69] op_sel:[0,0,1] op_sel_hi:[1,1,0] neg_lo:[0,0,1] neg_hi:[0,0,1]
	v_pk_fma_f32 v[68:69], v[74:75], v[98:99], v[68:69] op_sel:[0,0,1] op_sel_hi:[1,0,0]
	s_waitcnt vmcnt(3)
	v_mov_b32_e32 v68, v101
	v_mov_b32_e32 v71, v69
	v_pk_mul_f32 v[68:69], v[76:77], v[68:69] op_sel_hi:[1,0]
	v_pk_add_f32 v[66:67], v[66:67], v[70:71]
	s_waitcnt vmcnt(2)
	v_pk_fma_f32 v[70:71], v[76:77], v[100:101], v[68:69] op_sel:[0,0,1] op_sel_hi:[1,1,0] neg_lo:[0,0,1] neg_hi:[0,0,1]
	v_pk_fma_f32 v[68:69], v[76:77], v[100:101], v[68:69] op_sel:[0,0,1] op_sel_hi:[1,0,0]
	s_waitcnt vmcnt(1)
	v_mov_b32_e32 v68, v103
	v_mov_b32_e32 v71, v69
	s_waitcnt lgkmcnt(0)
	v_pk_mul_f32 v[68:69], v[78:79], v[68:69] op_sel_hi:[1,0]
	v_pk_add_f32 v[66:67], v[66:67], v[70:71]
	s_waitcnt vmcnt(0)
	v_pk_fma_f32 v[70:71], v[78:79], v[102:103], v[68:69] op_sel:[0,0,1] op_sel_hi:[1,1,0] neg_lo:[0,0,1] neg_hi:[0,0,1]
	v_pk_fma_f32 v[68:69], v[78:79], v[102:103], v[68:69] op_sel:[0,0,1] op_sel_hi:[1,0,0]
	v_mov_b32_e32 v71, v69
	v_pk_add_f32 v[66:67], v[66:67], v[70:71]
	v_pk_add_f32 v[62:63], v[62:63], v[66:67] neg_lo:[0,1] neg_hi:[0,1]
	buffer_store_dword v63, off, s[0:3], 0 offset:116
	buffer_store_dword v62, off, s[0:3], 0 offset:112
	s_and_saveexec_b64 s[4:5], vcc
	s_cbranch_execz .LBB29_167
; %bb.166:
	buffer_load_dword v62, off, s[0:3], 0 offset:104
	buffer_load_dword v63, off, s[0:3], 0 offset:108
	s_waitcnt vmcnt(0)
	ds_write_b64 v1, v[62:63]
	buffer_store_dword v64, off, s[0:3], 0 offset:104
	buffer_store_dword v64, off, s[0:3], 0 offset:108
.LBB29_167:
	s_or_b64 exec, exec, s[4:5]
	s_waitcnt lgkmcnt(0)
	; wave barrier
	s_waitcnt lgkmcnt(0)
	ds_read_b128 v[66:69], v64 offset:352
	ds_read_b128 v[70:73], v64 offset:368
	;; [unrolled: 1-line block ×4, first 2 shown]
	buffer_load_dword v62, off, s[0:3], 0 offset:104
	buffer_load_dword v63, off, s[0:3], 0 offset:108
	;; [unrolled: 1-line block ×20, first 2 shown]
	v_cmp_lt_u32_e32 vcc, 12, v0
	s_waitcnt vmcnt(16) lgkmcnt(3)
	v_mul_f32_e32 v82, v66, v86
	v_fmac_f32_e32 v82, v67, v65
	s_waitcnt vmcnt(14)
	v_mul_f32_e32 v83, v68, v90
	v_add_f32_e32 v82, 0, v82
	v_fmac_f32_e32 v83, v69, v88
	v_add_f32_e32 v82, v82, v83
	s_waitcnt vmcnt(12) lgkmcnt(2)
	v_mul_f32_e32 v83, v70, v109
	v_fmac_f32_e32 v83, v71, v108
	v_add_f32_e32 v82, v82, v83
	s_waitcnt vmcnt(10)
	v_mul_f32_e32 v83, v72, v111
	v_fmac_f32_e32 v83, v73, v110
	v_add_f32_e32 v82, v82, v83
	s_waitcnt vmcnt(8) lgkmcnt(1)
	v_mul_f32_e32 v83, v74, v113
	v_fmac_f32_e32 v83, v75, v112
	v_add_f32_e32 v82, v82, v83
	s_waitcnt vmcnt(6)
	v_mul_f32_e32 v83, v76, v115
	v_fmac_f32_e32 v83, v77, v114
	v_add_f32_e32 v87, v82, v83
	ds_read_b128 v[82:85], v64 offset:416
	buffer_load_dword v95, off, s[0:3], 0 offset:188
	buffer_load_dword v94, off, s[0:3], 0 offset:184
	;; [unrolled: 1-line block ×14, first 2 shown]
	v_mul_f32_e32 v67, v67, v86
	v_fma_f32 v65, v66, v65, -v67
	v_mul_f32_e32 v66, v69, v90
	v_add_f32_e32 v65, 0, v65
	v_fma_f32 v66, v68, v88, -v66
	v_add_f32_e32 v65, v65, v66
	v_mul_f32_e32 v66, v71, v109
	v_fma_f32 v66, v70, v108, -v66
	v_add_f32_e32 v65, v65, v66
	v_mul_f32_e32 v66, v73, v111
	;; [unrolled: 3-line block ×4, first 2 shown]
	v_fma_f32 v66, v76, v114, -v66
	v_add_f32_e32 v86, v65, v66
	s_waitcnt vmcnt(18) lgkmcnt(1)
	v_mul_f32_e32 v65, v79, v117
	v_mul_f32_e32 v89, v78, v117
	v_fma_f32 v88, v78, v116, -v65
	s_waitcnt vmcnt(15)
	v_mov_b32_e32 v78, v93
	v_fmac_f32_e32 v89, v79, v116
	v_mul_f32_e32 v91, v80, v119
	v_mul_f32_e32 v65, v81, v119
	s_waitcnt lgkmcnt(0)
	v_pk_mul_f32 v[78:79], v[82:83], v[78:79] op_sel_hi:[1,0]
	v_fmac_f32_e32 v91, v81, v118
	v_fma_f32 v90, v80, v118, -v65
	s_waitcnt vmcnt(14)
	v_pk_fma_f32 v[80:81], v[82:83], v[92:93], v[78:79] op_sel:[0,0,1] op_sel_hi:[1,1,0] neg_lo:[0,0,1] neg_hi:[0,0,1]
	v_pk_fma_f32 v[78:79], v[82:83], v[92:93], v[78:79] op_sel:[0,0,1] op_sel_hi:[1,0,0]
	ds_read_b128 v[66:69], v64 offset:432
	ds_read_b128 v[70:73], v64 offset:448
	;; [unrolled: 1-line block ×3, first 2 shown]
	v_pk_add_f32 v[64:65], v[86:87], v[88:89]
	v_pk_add_f32 v[64:65], v[64:65], v[90:91]
	v_mov_b32_e32 v81, v79
	v_pk_add_f32 v[64:65], v[64:65], v[80:81]
	s_waitcnt vmcnt(13)
	v_mov_b32_e32 v78, v95
	v_pk_mul_f32 v[78:79], v[84:85], v[78:79] op_sel_hi:[1,0]
	s_waitcnt vmcnt(12)
	v_pk_fma_f32 v[80:81], v[84:85], v[94:95], v[78:79] op_sel:[0,0,1] op_sel_hi:[1,1,0] neg_lo:[0,0,1] neg_hi:[0,0,1]
	v_pk_fma_f32 v[78:79], v[84:85], v[94:95], v[78:79] op_sel:[0,0,1] op_sel_hi:[1,0,0]
	s_waitcnt vmcnt(11)
	v_mov_b32_e32 v78, v97
	v_mov_b32_e32 v81, v79
	s_waitcnt lgkmcnt(2)
	v_pk_mul_f32 v[78:79], v[66:67], v[78:79] op_sel_hi:[1,0]
	v_pk_add_f32 v[64:65], v[64:65], v[80:81]
	s_waitcnt vmcnt(10)
	v_pk_fma_f32 v[80:81], v[66:67], v[96:97], v[78:79] op_sel:[0,0,1] op_sel_hi:[1,1,0] neg_lo:[0,0,1] neg_hi:[0,0,1]
	v_pk_fma_f32 v[66:67], v[66:67], v[96:97], v[78:79] op_sel:[0,0,1] op_sel_hi:[1,0,0]
	s_waitcnt vmcnt(9)
	v_mov_b32_e32 v66, v99
	v_mov_b32_e32 v81, v67
	v_pk_mul_f32 v[66:67], v[68:69], v[66:67] op_sel_hi:[1,0]
	s_waitcnt vmcnt(8)
	v_pk_fma_f32 v[78:79], v[68:69], v[98:99], v[66:67] op_sel:[0,0,1] op_sel_hi:[1,1,0] neg_lo:[0,0,1] neg_hi:[0,0,1]
	v_pk_fma_f32 v[66:67], v[68:69], v[98:99], v[66:67] op_sel:[0,0,1] op_sel_hi:[1,0,0]
	s_waitcnt vmcnt(7)
	v_mov_b32_e32 v66, v101
	v_mov_b32_e32 v79, v67
	s_waitcnt lgkmcnt(1)
	v_pk_mul_f32 v[66:67], v[70:71], v[66:67] op_sel_hi:[1,0]
	s_waitcnt vmcnt(6)
	v_pk_fma_f32 v[68:69], v[70:71], v[100:101], v[66:67] op_sel:[0,0,1] op_sel_hi:[1,1,0] neg_lo:[0,0,1] neg_hi:[0,0,1]
	v_pk_fma_f32 v[66:67], v[70:71], v[100:101], v[66:67] op_sel:[0,0,1] op_sel_hi:[1,0,0]
	v_pk_add_f32 v[64:65], v[64:65], v[80:81]
	s_waitcnt vmcnt(5)
	v_mov_b32_e32 v66, v103
	v_pk_add_f32 v[64:65], v[64:65], v[78:79]
	v_mov_b32_e32 v69, v67
	v_pk_mul_f32 v[66:67], v[72:73], v[66:67] op_sel_hi:[1,0]
	v_pk_add_f32 v[64:65], v[64:65], v[68:69]
	s_waitcnt vmcnt(4)
	v_pk_fma_f32 v[68:69], v[72:73], v[102:103], v[66:67] op_sel:[0,0,1] op_sel_hi:[1,1,0] neg_lo:[0,0,1] neg_hi:[0,0,1]
	v_pk_fma_f32 v[66:67], v[72:73], v[102:103], v[66:67] op_sel:[0,0,1] op_sel_hi:[1,0,0]
	s_waitcnt vmcnt(3)
	v_mov_b32_e32 v66, v105
	v_mov_b32_e32 v69, v67
	s_waitcnt lgkmcnt(0)
	v_pk_mul_f32 v[66:67], v[74:75], v[66:67] op_sel_hi:[1,0]
	v_pk_add_f32 v[64:65], v[64:65], v[68:69]
	s_waitcnt vmcnt(2)
	v_pk_fma_f32 v[68:69], v[74:75], v[104:105], v[66:67] op_sel:[0,0,1] op_sel_hi:[1,1,0] neg_lo:[0,0,1] neg_hi:[0,0,1]
	v_pk_fma_f32 v[66:67], v[74:75], v[104:105], v[66:67] op_sel:[0,0,1] op_sel_hi:[1,0,0]
	s_waitcnt vmcnt(1)
	v_mov_b32_e32 v66, v107
	v_mov_b32_e32 v69, v67
	v_pk_mul_f32 v[66:67], v[76:77], v[66:67] op_sel_hi:[1,0]
	v_pk_add_f32 v[64:65], v[64:65], v[68:69]
	s_waitcnt vmcnt(0)
	v_pk_fma_f32 v[68:69], v[76:77], v[106:107], v[66:67] op_sel:[0,0,1] op_sel_hi:[1,1,0] neg_lo:[0,0,1] neg_hi:[0,0,1]
	v_pk_fma_f32 v[66:67], v[76:77], v[106:107], v[66:67] op_sel:[0,0,1] op_sel_hi:[1,0,0]
	v_mov_b32_e32 v69, v67
	v_pk_add_f32 v[64:65], v[64:65], v[68:69]
	v_pk_add_f32 v[62:63], v[62:63], v[64:65] neg_lo:[0,1] neg_hi:[0,1]
	buffer_store_dword v63, off, s[0:3], 0 offset:108
	buffer_store_dword v62, off, s[0:3], 0 offset:104
	s_and_saveexec_b64 s[4:5], vcc
	s_cbranch_execz .LBB29_169
; %bb.168:
	buffer_load_dword v62, off, s[0:3], 0 offset:96
	buffer_load_dword v63, off, s[0:3], 0 offset:100
	v_mov_b32_e32 v64, 0
	buffer_store_dword v64, off, s[0:3], 0 offset:96
	buffer_store_dword v64, off, s[0:3], 0 offset:100
	s_waitcnt vmcnt(2)
	ds_write_b64 v1, v[62:63]
.LBB29_169:
	s_or_b64 exec, exec, s[4:5]
	v_mov_b32_e32 v64, 0
	s_waitcnt lgkmcnt(0)
	; wave barrier
	s_waitcnt lgkmcnt(0)
	ds_read2_b64 v[66:69], v64 offset0:43 offset1:44
	buffer_load_dword v62, off, s[0:3], 0 offset:96
	buffer_load_dword v63, off, s[0:3], 0 offset:100
	;; [unrolled: 1-line block ×16, first 2 shown]
	v_cmp_lt_u32_e32 vcc, 11, v0
	s_waitcnt vmcnt(12) lgkmcnt(0)
	v_mul_f32_e32 v70, v66, v86
	v_fmac_f32_e32 v70, v67, v65
	s_waitcnt vmcnt(10)
	v_mul_f32_e32 v71, v68, v90
	v_add_f32_e32 v70, 0, v70
	v_fmac_f32_e32 v71, v69, v88
	v_add_f32_e32 v74, v70, v71
	ds_read2_b64 v[70:73], v64 offset0:45 offset1:46
	v_mul_f32_e32 v67, v67, v86
	v_fma_f32 v65, v66, v65, -v67
	v_mul_f32_e32 v66, v69, v90
	v_add_f32_e32 v65, 0, v65
	s_waitcnt vmcnt(8) lgkmcnt(0)
	v_mul_f32_e32 v75, v70, v109
	v_fmac_f32_e32 v75, v71, v108
	v_add_f32_e32 v74, v74, v75
	s_waitcnt vmcnt(6)
	v_mul_f32_e32 v75, v72, v111
	v_fmac_f32_e32 v75, v73, v110
	v_add_f32_e32 v78, v74, v75
	ds_read2_b64 v[74:77], v64 offset0:47 offset1:48
	v_fma_f32 v66, v68, v88, -v66
	v_add_f32_e32 v65, v65, v66
	v_mul_f32_e32 v66, v71, v109
	v_fma_f32 v66, v70, v108, -v66
	s_waitcnt vmcnt(4) lgkmcnt(0)
	v_mul_f32_e32 v79, v74, v113
	v_fmac_f32_e32 v79, v75, v112
	v_add_f32_e32 v78, v78, v79
	s_waitcnt vmcnt(2)
	v_mul_f32_e32 v79, v76, v115
	v_fmac_f32_e32 v79, v77, v114
	v_add_f32_e32 v82, v78, v79
	ds_read2_b64 v[78:81], v64 offset0:49 offset1:50
	buffer_load_dword v118, off, s[0:3], 0 offset:160
	buffer_load_dword v119, off, s[0:3], 0 offset:164
	v_add_f32_e32 v65, v65, v66
	v_mul_f32_e32 v66, v73, v111
	v_fma_f32 v66, v72, v110, -v66
	s_waitcnt vmcnt(2) lgkmcnt(0)
	v_mul_f32_e32 v83, v78, v117
	v_fmac_f32_e32 v83, v79, v116
	v_add_f32_e32 v87, v82, v83
	ds_read2_b64 v[82:85], v64 offset0:51 offset1:52
	buffer_load_dword v120, off, s[0:3], 0 offset:168
	buffer_load_dword v121, off, s[0:3], 0 offset:172
	;; [unrolled: 1-line block ×18, first 2 shown]
	v_add_f32_e32 v65, v65, v66
	v_mul_f32_e32 v66, v75, v113
	v_fma_f32 v66, v74, v112, -v66
	v_add_f32_e32 v65, v65, v66
	v_mul_f32_e32 v66, v77, v115
	v_fma_f32 v66, v76, v114, -v66
	;; [unrolled: 3-line block ×3, first 2 shown]
	v_add_f32_e32 v86, v65, v66
	ds_read2_b64 v[66:69], v64 offset0:53 offset1:54
	ds_read2_b64 v[70:73], v64 offset0:55 offset1:56
	;; [unrolled: 1-line block ×3, first 2 shown]
	ds_read_b64 v[78:79], v64 offset:472
	s_waitcnt vmcnt(18)
	v_mul_f32_e32 v65, v81, v119
	v_fma_f32 v88, v80, v118, -v65
	v_mul_f32_e32 v89, v80, v119
	v_fmac_f32_e32 v89, v81, v118
	v_pk_add_f32 v[80:81], v[86:87], v[88:89]
	s_waitcnt vmcnt(16) lgkmcnt(4)
	v_mul_f32_e32 v65, v83, v121
	v_mul_f32_e32 v91, v82, v121
	v_fma_f32 v90, v82, v120, -v65
	s_waitcnt vmcnt(15)
	v_mov_b32_e32 v82, v93
	v_fmac_f32_e32 v91, v83, v120
	v_pk_mul_f32 v[82:83], v[84:85], v[82:83] op_sel_hi:[1,0]
	s_waitcnt vmcnt(14)
	v_pk_fma_f32 v[86:87], v[84:85], v[92:93], v[82:83] op_sel:[0,0,1] op_sel_hi:[1,1,0] neg_lo:[0,0,1] neg_hi:[0,0,1]
	v_pk_fma_f32 v[82:83], v[84:85], v[92:93], v[82:83] op_sel:[0,0,1] op_sel_hi:[1,0,0]
	s_waitcnt vmcnt(13)
	v_mov_b32_e32 v82, v95
	v_mov_b32_e32 v87, v83
	s_waitcnt lgkmcnt(3)
	v_pk_mul_f32 v[82:83], v[66:67], v[82:83] op_sel_hi:[1,0]
	v_pk_add_f32 v[80:81], v[80:81], v[90:91]
	s_waitcnt vmcnt(12)
	v_pk_fma_f32 v[84:85], v[66:67], v[94:95], v[82:83] op_sel:[0,0,1] op_sel_hi:[1,1,0] neg_lo:[0,0,1] neg_hi:[0,0,1]
	v_pk_fma_f32 v[66:67], v[66:67], v[94:95], v[82:83] op_sel:[0,0,1] op_sel_hi:[1,0,0]
	v_pk_add_f32 v[80:81], v[80:81], v[86:87]
	v_mov_b32_e32 v85, v67
	v_pk_add_f32 v[66:67], v[80:81], v[84:85]
	s_waitcnt vmcnt(11)
	v_mov_b32_e32 v80, v97
	v_pk_mul_f32 v[80:81], v[68:69], v[80:81] op_sel_hi:[1,0]
	s_waitcnt vmcnt(10)
	v_pk_fma_f32 v[82:83], v[68:69], v[96:97], v[80:81] op_sel:[0,0,1] op_sel_hi:[1,1,0] neg_lo:[0,0,1] neg_hi:[0,0,1]
	v_pk_fma_f32 v[68:69], v[68:69], v[96:97], v[80:81] op_sel:[0,0,1] op_sel_hi:[1,0,0]
	s_waitcnt vmcnt(9)
	v_mov_b32_e32 v68, v99
	v_mov_b32_e32 v83, v69
	s_waitcnt lgkmcnt(2)
	v_pk_mul_f32 v[68:69], v[70:71], v[68:69] op_sel_hi:[1,0]
	s_waitcnt vmcnt(8)
	v_pk_fma_f32 v[80:81], v[70:71], v[98:99], v[68:69] op_sel:[0,0,1] op_sel_hi:[1,1,0] neg_lo:[0,0,1] neg_hi:[0,0,1]
	v_pk_fma_f32 v[68:69], v[70:71], v[98:99], v[68:69] op_sel:[0,0,1] op_sel_hi:[1,0,0]
	s_waitcnt vmcnt(7)
	v_mov_b32_e32 v68, v101
	v_mov_b32_e32 v81, v69
	v_pk_mul_f32 v[68:69], v[72:73], v[68:69] op_sel_hi:[1,0]
	s_waitcnt vmcnt(6)
	v_pk_fma_f32 v[70:71], v[72:73], v[100:101], v[68:69] op_sel:[0,0,1] op_sel_hi:[1,1,0] neg_lo:[0,0,1] neg_hi:[0,0,1]
	v_pk_fma_f32 v[68:69], v[72:73], v[100:101], v[68:69] op_sel:[0,0,1] op_sel_hi:[1,0,0]
	v_pk_add_f32 v[66:67], v[66:67], v[82:83]
	s_waitcnt vmcnt(5)
	v_mov_b32_e32 v68, v103
	v_pk_add_f32 v[66:67], v[66:67], v[80:81]
	v_mov_b32_e32 v71, v69
	s_waitcnt lgkmcnt(1)
	v_pk_mul_f32 v[68:69], v[74:75], v[68:69] op_sel_hi:[1,0]
	v_pk_add_f32 v[66:67], v[66:67], v[70:71]
	s_waitcnt vmcnt(4)
	v_pk_fma_f32 v[70:71], v[74:75], v[102:103], v[68:69] op_sel:[0,0,1] op_sel_hi:[1,1,0] neg_lo:[0,0,1] neg_hi:[0,0,1]
	v_pk_fma_f32 v[68:69], v[74:75], v[102:103], v[68:69] op_sel:[0,0,1] op_sel_hi:[1,0,0]
	s_waitcnt vmcnt(3)
	v_mov_b32_e32 v68, v105
	v_mov_b32_e32 v71, v69
	v_pk_mul_f32 v[68:69], v[76:77], v[68:69] op_sel_hi:[1,0]
	v_pk_add_f32 v[66:67], v[66:67], v[70:71]
	s_waitcnt vmcnt(2)
	v_pk_fma_f32 v[70:71], v[76:77], v[104:105], v[68:69] op_sel:[0,0,1] op_sel_hi:[1,1,0] neg_lo:[0,0,1] neg_hi:[0,0,1]
	v_pk_fma_f32 v[68:69], v[76:77], v[104:105], v[68:69] op_sel:[0,0,1] op_sel_hi:[1,0,0]
	s_waitcnt vmcnt(1)
	v_mov_b32_e32 v68, v107
	v_mov_b32_e32 v71, v69
	s_waitcnt lgkmcnt(0)
	v_pk_mul_f32 v[68:69], v[78:79], v[68:69] op_sel_hi:[1,0]
	v_pk_add_f32 v[66:67], v[66:67], v[70:71]
	s_waitcnt vmcnt(0)
	v_pk_fma_f32 v[70:71], v[78:79], v[106:107], v[68:69] op_sel:[0,0,1] op_sel_hi:[1,1,0] neg_lo:[0,0,1] neg_hi:[0,0,1]
	v_pk_fma_f32 v[68:69], v[78:79], v[106:107], v[68:69] op_sel:[0,0,1] op_sel_hi:[1,0,0]
	v_mov_b32_e32 v71, v69
	v_pk_add_f32 v[66:67], v[66:67], v[70:71]
	v_pk_add_f32 v[62:63], v[62:63], v[66:67] neg_lo:[0,1] neg_hi:[0,1]
	buffer_store_dword v63, off, s[0:3], 0 offset:100
	buffer_store_dword v62, off, s[0:3], 0 offset:96
	s_and_saveexec_b64 s[4:5], vcc
	s_cbranch_execz .LBB29_171
; %bb.170:
	buffer_load_dword v62, off, s[0:3], 0 offset:88
	buffer_load_dword v63, off, s[0:3], 0 offset:92
	s_waitcnt vmcnt(0)
	ds_write_b64 v1, v[62:63]
	buffer_store_dword v64, off, s[0:3], 0 offset:88
	buffer_store_dword v64, off, s[0:3], 0 offset:92
.LBB29_171:
	s_or_b64 exec, exec, s[4:5]
	s_waitcnt lgkmcnt(0)
	; wave barrier
	s_waitcnt lgkmcnt(0)
	buffer_load_dword v62, off, s[0:3], 0 offset:100
	buffer_load_dword v63, off, s[0:3], 0 offset:108
	;; [unrolled: 1-line block ×22, first 2 shown]
	ds_read_b128 v[66:69], v64 offset:336
	ds_read_b128 v[70:73], v64 offset:352
	buffer_load_dword v93, off, s[0:3], 0 offset:180
	buffer_load_dword v92, off, s[0:3], 0 offset:176
	;; [unrolled: 1-line block ×10, first 2 shown]
	ds_read_b128 v[74:77], v64 offset:368
	ds_read_b128 v[78:81], v64 offset:384
	;; [unrolled: 1-line block ×4, first 2 shown]
	buffer_load_dword v103, off, s[0:3], 0 offset:236
	buffer_load_dword v102, off, s[0:3], 0 offset:232
	;; [unrolled: 1-line block ×6, first 2 shown]
	v_cmp_lt_u32_e32 vcc, 10, v0
	s_waitcnt vmcnt(37) lgkmcnt(5)
	v_mul_f32_e32 v127, v66, v62
	s_waitcnt vmcnt(36)
	v_mul_f32_e32 v128, v68, v63
	v_mul_f32_e32 v62, v67, v62
	;; [unrolled: 1-line block ×3, first 2 shown]
	s_waitcnt vmcnt(35) lgkmcnt(4)
	v_mul_f32_e32 v129, v70, v65
	s_waitcnt vmcnt(34)
	v_mul_f32_e32 v130, v72, v108
	s_waitcnt vmcnt(33) lgkmcnt(3)
	v_mul_f32_e32 v131, v74, v110
	s_waitcnt vmcnt(32)
	v_mul_f32_e32 v132, v76, v112
	v_mul_f32_e32 v65, v71, v65
	s_waitcnt vmcnt(31) lgkmcnt(2)
	v_mul_f32_e32 v133, v78, v113
	s_waitcnt vmcnt(27)
	v_fmac_f32_e32 v127, v67, v117
	s_waitcnt vmcnt(26)
	v_fmac_f32_e32 v128, v69, v118
	v_fma_f32 v62, v66, v117, -v62
	v_fma_f32 v63, v68, v118, -v63
	v_add_f32_e32 v68, 0, v127
	s_waitcnt vmcnt(25)
	v_fmac_f32_e32 v129, v71, v119
	v_add_f32_e32 v62, 0, v62
	v_add_f32_e32 v68, v68, v128
	s_waitcnt vmcnt(24)
	v_fmac_f32_e32 v130, v73, v120
	v_add_f32_e32 v62, v62, v63
	;; [unrolled: 4-line block ×3, first 2 shown]
	v_mul_f32_e32 v108, v73, v108
	s_waitcnt vmcnt(22)
	v_fmac_f32_e32 v132, v77, v122
	v_fma_f32 v65, v70, v119, -v65
	v_add_f32_e32 v63, v63, v131
	v_mul_f32_e32 v134, v80, v114
	v_mul_f32_e32 v110, v75, v110
	s_waitcnt vmcnt(21)
	v_fmac_f32_e32 v133, v79, v123
	v_fma_f32 v66, v72, v120, -v108
	v_add_f32_e32 v62, v62, v65
	v_add_f32_e32 v63, v63, v132
	v_mul_f32_e32 v112, v77, v112
	s_waitcnt vmcnt(20)
	v_fmac_f32_e32 v134, v81, v124
	v_fma_f32 v67, v74, v121, -v110
	v_add_f32_e32 v62, v62, v66
	v_add_f32_e32 v63, v63, v133
	;; [unrolled: 1-line block ×4, first 2 shown]
	v_fma_f32 v63, v76, v122, -v112
	v_add_f32_e32 v62, v62, v63
	v_mul_f32_e32 v63, v79, v113
	v_fma_f32 v63, v78, v123, -v63
	v_add_f32_e32 v62, v62, v63
	v_mul_f32_e32 v63, v81, v114
	v_fma_f32 v63, v80, v124, -v63
	s_waitcnt vmcnt(15)
	v_mov_b32_e32 v76, v93
	s_waitcnt lgkmcnt(1)
	v_mul_f32_e32 v109, v82, v115
	v_add_f32_e32 v74, v62, v63
	v_mul_f32_e32 v62, v83, v115
	s_waitcnt lgkmcnt(0)
	v_pk_mul_f32 v[76:77], v[86:87], v[76:77] op_sel_hi:[1,0]
	v_mul_f32_e32 v111, v84, v116
	v_fmac_f32_e32 v109, v83, v125
	v_fma_f32 v108, v82, v125, -v62
	v_mul_f32_e32 v62, v85, v116
	s_waitcnt vmcnt(14)
	v_pk_fma_f32 v[78:79], v[86:87], v[92:93], v[76:77] op_sel:[0,0,1] op_sel_hi:[1,1,0] neg_lo:[0,0,1] neg_hi:[0,0,1]
	v_pk_fma_f32 v[76:77], v[86:87], v[92:93], v[76:77] op_sel:[0,0,1] op_sel_hi:[1,0,0]
	v_fmac_f32_e32 v111, v85, v126
	v_fma_f32 v110, v84, v126, -v62
	v_pk_add_f32 v[74:75], v[74:75], v[108:109]
	s_waitcnt vmcnt(13)
	v_mov_b32_e32 v76, v95
	ds_read_b128 v[66:69], v64 offset:432
	ds_read_b128 v[70:73], v64 offset:448
	;; [unrolled: 1-line block ×3, first 2 shown]
	v_pk_add_f32 v[74:75], v[74:75], v[110:111]
	v_mov_b32_e32 v79, v77
	v_pk_mul_f32 v[76:77], v[88:89], v[76:77] op_sel_hi:[1,0]
	v_pk_add_f32 v[74:75], v[74:75], v[78:79]
	s_waitcnt vmcnt(6)
	v_pk_fma_f32 v[78:79], v[88:89], v[94:95], v[76:77] op_sel:[0,0,1] op_sel_hi:[1,1,0] neg_lo:[0,0,1] neg_hi:[0,0,1]
	v_pk_fma_f32 v[76:77], v[88:89], v[94:95], v[76:77] op_sel:[0,0,1] op_sel_hi:[1,0,0]
	v_mov_b32_e32 v76, v101
	v_mov_b32_e32 v79, v77
	s_waitcnt lgkmcnt(2)
	v_pk_mul_f32 v[76:77], v[66:67], v[76:77] op_sel_hi:[1,0]
	v_pk_add_f32 v[74:75], v[74:75], v[78:79]
	v_pk_fma_f32 v[78:79], v[66:67], v[100:101], v[76:77] op_sel:[0,0,1] op_sel_hi:[1,1,0] neg_lo:[0,0,1] neg_hi:[0,0,1]
	v_pk_fma_f32 v[66:67], v[66:67], v[100:101], v[76:77] op_sel:[0,0,1] op_sel_hi:[1,0,0]
	v_mov_b32_e32 v79, v67
	v_pk_add_f32 v[66:67], v[74:75], v[78:79]
	v_mov_b32_e32 v74, v99
	v_pk_mul_f32 v[74:75], v[68:69], v[74:75] op_sel_hi:[1,0]
	v_pk_fma_f32 v[76:77], v[68:69], v[98:99], v[74:75] op_sel:[0,0,1] op_sel_hi:[1,1,0] neg_lo:[0,0,1] neg_hi:[0,0,1]
	v_pk_fma_f32 v[68:69], v[68:69], v[98:99], v[74:75] op_sel:[0,0,1] op_sel_hi:[1,0,0]
	v_mov_b32_e32 v68, v97
	v_mov_b32_e32 v77, v69
	s_waitcnt lgkmcnt(1)
	v_pk_mul_f32 v[68:69], v[70:71], v[68:69] op_sel_hi:[1,0]
	v_pk_fma_f32 v[74:75], v[70:71], v[96:97], v[68:69] op_sel:[0,0,1] op_sel_hi:[1,1,0] neg_lo:[0,0,1] neg_hi:[0,0,1]
	v_pk_fma_f32 v[68:69], v[70:71], v[96:97], v[68:69] op_sel:[0,0,1] op_sel_hi:[1,0,0]
	s_waitcnt vmcnt(1)
	v_mov_b32_e32 v68, v107
	v_mov_b32_e32 v75, v69
	v_pk_mul_f32 v[68:69], v[72:73], v[68:69] op_sel_hi:[1,0]
	s_waitcnt vmcnt(0)
	v_pk_fma_f32 v[70:71], v[72:73], v[106:107], v[68:69] op_sel:[0,0,1] op_sel_hi:[1,1,0] neg_lo:[0,0,1] neg_hi:[0,0,1]
	v_pk_fma_f32 v[68:69], v[72:73], v[106:107], v[68:69] op_sel:[0,0,1] op_sel_hi:[1,0,0]
	v_pk_add_f32 v[66:67], v[66:67], v[76:77]
	v_mov_b32_e32 v68, v105
	v_pk_add_f32 v[66:67], v[66:67], v[74:75]
	v_mov_b32_e32 v71, v69
	s_waitcnt lgkmcnt(0)
	v_pk_mul_f32 v[68:69], v[62:63], v[68:69] op_sel_hi:[1,0]
	v_pk_add_f32 v[66:67], v[66:67], v[70:71]
	v_pk_fma_f32 v[70:71], v[62:63], v[104:105], v[68:69] op_sel:[0,0,1] op_sel_hi:[1,1,0] neg_lo:[0,0,1] neg_hi:[0,0,1]
	v_pk_fma_f32 v[62:63], v[62:63], v[104:105], v[68:69] op_sel:[0,0,1] op_sel_hi:[1,0,0]
	v_mov_b32_e32 v71, v63
	v_pk_add_f32 v[62:63], v[66:67], v[70:71]
	v_mov_b32_e32 v66, v103
	v_pk_mul_f32 v[66:67], v[64:65], v[66:67] op_sel_hi:[1,0]
	v_pk_fma_f32 v[68:69], v[64:65], v[102:103], v[66:67] op_sel:[0,0,1] op_sel_hi:[1,1,0] neg_lo:[0,0,1] neg_hi:[0,0,1]
	v_pk_fma_f32 v[64:65], v[64:65], v[102:103], v[66:67] op_sel:[0,0,1] op_sel_hi:[1,0,0]
	v_mov_b32_e32 v69, v65
	v_pk_add_f32 v[62:63], v[62:63], v[68:69]
	v_pk_add_f32 v[62:63], v[90:91], v[62:63] neg_lo:[0,1] neg_hi:[0,1]
	buffer_store_dword v63, off, s[0:3], 0 offset:92
	buffer_store_dword v62, off, s[0:3], 0 offset:88
	s_and_saveexec_b64 s[4:5], vcc
	s_cbranch_execz .LBB29_173
; %bb.172:
	buffer_load_dword v62, off, s[0:3], 0 offset:80
	buffer_load_dword v63, off, s[0:3], 0 offset:84
	v_mov_b32_e32 v64, 0
	buffer_store_dword v64, off, s[0:3], 0 offset:80
	buffer_store_dword v64, off, s[0:3], 0 offset:84
	s_waitcnt vmcnt(2)
	ds_write_b64 v1, v[62:63]
.LBB29_173:
	s_or_b64 exec, exec, s[4:5]
	s_waitcnt lgkmcnt(0)
	; wave barrier
	s_waitcnt lgkmcnt(0)
	buffer_load_dword v63, off, s[0:3], 0 offset:92
	buffer_load_dword v106, off, s[0:3], 0 offset:100
	;; [unrolled: 1-line block ×40, first 2 shown]
	v_mov_b32_e32 v62, 0
	ds_read2_b64 v[64:67], v62 offset0:41 offset1:42
	ds_read2_b64 v[68:71], v62 offset0:43 offset1:44
	;; [unrolled: 1-line block ×6, first 2 shown]
	v_cmp_lt_u32_e32 vcc, 9, v0
	s_waitcnt vmcnt(39) lgkmcnt(5)
	v_mul_f32_e32 v129, v64, v63
	s_waitcnt vmcnt(38)
	v_mul_f32_e32 v130, v66, v106
	v_mul_f32_e32 v63, v65, v63
	s_waitcnt vmcnt(37) lgkmcnt(4)
	v_mul_f32_e32 v131, v68, v108
	v_mul_f32_e32 v106, v67, v106
	s_waitcnt vmcnt(36)
	v_mul_f32_e32 v132, v70, v110
	s_waitcnt vmcnt(35) lgkmcnt(3)
	v_mul_f32_e32 v133, v72, v112
	s_waitcnt vmcnt(34)
	v_mul_f32_e32 v134, v74, v113
	s_waitcnt vmcnt(33) lgkmcnt(2)
	;; [unrolled: 4-line block ×3, first 2 shown]
	v_mul_f32_e32 v137, v80, v116
	s_waitcnt vmcnt(28)
	v_fmac_f32_e32 v129, v65, v111
	s_waitcnt vmcnt(27)
	v_fmac_f32_e32 v130, v67, v119
	v_fma_f32 v63, v64, v111, -v63
	v_add_f32_e32 v67, 0, v129
	s_waitcnt vmcnt(26)
	v_fmac_f32_e32 v131, v69, v120
	v_fma_f32 v64, v66, v119, -v106
	v_add_f32_e32 v63, 0, v63
	v_add_f32_e32 v67, v67, v130
	s_waitcnt vmcnt(25)
	v_fmac_f32_e32 v132, v71, v121
	v_add_f32_e32 v63, v63, v64
	v_add_f32_e32 v64, v67, v131
	s_waitcnt vmcnt(24)
	v_fmac_f32_e32 v133, v73, v122
	v_add_f32_e32 v64, v64, v132
	s_waitcnt vmcnt(23)
	v_fmac_f32_e32 v134, v75, v123
	;; [unrolled: 3-line block ×3, first 2 shown]
	v_add_f32_e32 v64, v64, v134
	v_mul_f32_e32 v108, v69, v108
	s_waitcnt vmcnt(21)
	v_fmac_f32_e32 v136, v79, v125
	v_add_f32_e32 v64, v64, v135
	v_mul_f32_e32 v110, v71, v110
	s_waitcnt vmcnt(20)
	v_fmac_f32_e32 v137, v81, v126
	v_fma_f32 v65, v68, v120, -v108
	v_add_f32_e32 v64, v64, v136
	v_fma_f32 v66, v70, v121, -v110
	v_add_f32_e32 v63, v63, v65
	v_add_f32_e32 v111, v64, v137
	v_mul_f32_e32 v64, v73, v112
	v_add_f32_e32 v63, v63, v66
	v_fma_f32 v64, v72, v122, -v64
	v_add_f32_e32 v63, v63, v64
	v_mul_f32_e32 v64, v75, v113
	v_fma_f32 v64, v74, v123, -v64
	v_add_f32_e32 v63, v63, v64
	v_mul_f32_e32 v64, v77, v114
	;; [unrolled: 3-line block ×4, first 2 shown]
	v_fma_f32 v64, v80, v126, -v64
	s_waitcnt vmcnt(9)
	v_mov_b32_e32 v80, v97
	v_mul_f32_e32 v107, v82, v117
	v_add_f32_e32 v110, v63, v64
	v_mul_f32_e32 v63, v83, v117
	s_waitcnt lgkmcnt(0)
	v_pk_mul_f32 v[80:81], v[86:87], v[80:81] op_sel_hi:[1,0]
	v_mul_f32_e32 v109, v84, v118
	v_fmac_f32_e32 v107, v83, v127
	v_fma_f32 v106, v82, v127, -v63
	v_mul_f32_e32 v63, v85, v118
	ds_read2_b64 v[64:67], v62 offset0:53 offset1:54
	ds_read2_b64 v[68:71], v62 offset0:55 offset1:56
	;; [unrolled: 1-line block ×3, first 2 shown]
	ds_read_b64 v[76:77], v62 offset:472
	s_waitcnt vmcnt(8)
	v_pk_fma_f32 v[82:83], v[86:87], v[96:97], v[80:81] op_sel:[0,0,1] op_sel_hi:[1,1,0] neg_lo:[0,0,1] neg_hi:[0,0,1]
	v_pk_fma_f32 v[80:81], v[86:87], v[96:97], v[80:81] op_sel:[0,0,1] op_sel_hi:[1,0,0]
	v_fmac_f32_e32 v109, v85, v128
	v_fma_f32 v108, v84, v128, -v63
	v_pk_add_f32 v[78:79], v[110:111], v[106:107]
	v_mov_b32_e32 v80, v95
	v_pk_add_f32 v[78:79], v[78:79], v[108:109]
	v_mov_b32_e32 v83, v81
	s_waitcnt lgkmcnt(3)
	v_pk_mul_f32 v[80:81], v[64:65], v[80:81] op_sel_hi:[1,0]
	v_pk_add_f32 v[78:79], v[78:79], v[82:83]
	v_pk_fma_f32 v[82:83], v[64:65], v[94:95], v[80:81] op_sel:[0,0,1] op_sel_hi:[1,1,0] neg_lo:[0,0,1] neg_hi:[0,0,1]
	v_pk_fma_f32 v[64:65], v[64:65], v[94:95], v[80:81] op_sel:[0,0,1] op_sel_hi:[1,0,0]
	v_mov_b32_e32 v83, v65
	v_pk_add_f32 v[64:65], v[78:79], v[82:83]
	v_mov_b32_e32 v78, v93
	v_pk_mul_f32 v[78:79], v[66:67], v[78:79] op_sel_hi:[1,0]
	v_pk_fma_f32 v[80:81], v[66:67], v[92:93], v[78:79] op_sel:[0,0,1] op_sel_hi:[1,1,0] neg_lo:[0,0,1] neg_hi:[0,0,1]
	v_pk_fma_f32 v[66:67], v[66:67], v[92:93], v[78:79] op_sel:[0,0,1] op_sel_hi:[1,0,0]
	v_mov_b32_e32 v66, v91
	v_mov_b32_e32 v81, v67
	s_waitcnt lgkmcnt(2)
	v_pk_mul_f32 v[66:67], v[68:69], v[66:67] op_sel_hi:[1,0]
	v_pk_fma_f32 v[78:79], v[68:69], v[90:91], v[66:67] op_sel:[0,0,1] op_sel_hi:[1,1,0] neg_lo:[0,0,1] neg_hi:[0,0,1]
	v_pk_fma_f32 v[66:67], v[68:69], v[90:91], v[66:67] op_sel:[0,0,1] op_sel_hi:[1,0,0]
	s_waitcnt vmcnt(1)
	v_mov_b32_e32 v66, v105
	v_mov_b32_e32 v79, v67
	v_pk_mul_f32 v[66:67], v[70:71], v[66:67] op_sel_hi:[1,0]
	s_waitcnt vmcnt(0)
	v_pk_fma_f32 v[68:69], v[70:71], v[104:105], v[66:67] op_sel:[0,0,1] op_sel_hi:[1,1,0] neg_lo:[0,0,1] neg_hi:[0,0,1]
	v_pk_fma_f32 v[66:67], v[70:71], v[104:105], v[66:67] op_sel:[0,0,1] op_sel_hi:[1,0,0]
	v_pk_add_f32 v[64:65], v[64:65], v[80:81]
	v_mov_b32_e32 v66, v103
	v_pk_add_f32 v[64:65], v[64:65], v[78:79]
	v_mov_b32_e32 v69, v67
	s_waitcnt lgkmcnt(1)
	v_pk_mul_f32 v[66:67], v[72:73], v[66:67] op_sel_hi:[1,0]
	v_pk_add_f32 v[64:65], v[64:65], v[68:69]
	v_pk_fma_f32 v[68:69], v[72:73], v[102:103], v[66:67] op_sel:[0,0,1] op_sel_hi:[1,1,0] neg_lo:[0,0,1] neg_hi:[0,0,1]
	v_pk_fma_f32 v[66:67], v[72:73], v[102:103], v[66:67] op_sel:[0,0,1] op_sel_hi:[1,0,0]
	v_mov_b32_e32 v66, v101
	v_mov_b32_e32 v69, v67
	v_pk_mul_f32 v[66:67], v[74:75], v[66:67] op_sel_hi:[1,0]
	v_pk_add_f32 v[64:65], v[64:65], v[68:69]
	v_pk_fma_f32 v[68:69], v[74:75], v[100:101], v[66:67] op_sel:[0,0,1] op_sel_hi:[1,1,0] neg_lo:[0,0,1] neg_hi:[0,0,1]
	v_pk_fma_f32 v[66:67], v[74:75], v[100:101], v[66:67] op_sel:[0,0,1] op_sel_hi:[1,0,0]
	v_mov_b32_e32 v66, v99
	v_mov_b32_e32 v69, v67
	s_waitcnt lgkmcnt(0)
	v_pk_mul_f32 v[66:67], v[76:77], v[66:67] op_sel_hi:[1,0]
	v_pk_add_f32 v[64:65], v[64:65], v[68:69]
	v_pk_fma_f32 v[68:69], v[76:77], v[98:99], v[66:67] op_sel:[0,0,1] op_sel_hi:[1,1,0] neg_lo:[0,0,1] neg_hi:[0,0,1]
	v_pk_fma_f32 v[66:67], v[76:77], v[98:99], v[66:67] op_sel:[0,0,1] op_sel_hi:[1,0,0]
	v_mov_b32_e32 v69, v67
	v_pk_add_f32 v[64:65], v[64:65], v[68:69]
	v_pk_add_f32 v[64:65], v[88:89], v[64:65] neg_lo:[0,1] neg_hi:[0,1]
	buffer_store_dword v65, off, s[0:3], 0 offset:84
	buffer_store_dword v64, off, s[0:3], 0 offset:80
	s_and_saveexec_b64 s[4:5], vcc
	s_cbranch_execz .LBB29_175
; %bb.174:
	buffer_load_dword v64, off, s[0:3], 0 offset:72
	buffer_load_dword v65, off, s[0:3], 0 offset:76
	s_waitcnt vmcnt(0)
	ds_write_b64 v1, v[64:65]
	buffer_store_dword v62, off, s[0:3], 0 offset:72
	buffer_store_dword v62, off, s[0:3], 0 offset:76
.LBB29_175:
	s_or_b64 exec, exec, s[4:5]
	s_waitcnt lgkmcnt(0)
	; wave barrier
	s_waitcnt lgkmcnt(0)
	buffer_load_dword v63, off, s[0:3], 0 offset:84
	buffer_load_dword v106, off, s[0:3], 0 offset:92
	;; [unrolled: 1-line block ×26, first 2 shown]
	ds_read_b128 v[64:67], v62 offset:320
	ds_read_b128 v[68:71], v62 offset:336
	;; [unrolled: 1-line block ×6, first 2 shown]
	buffer_load_dword v91, off, s[0:3], 0 offset:196
	buffer_load_dword v90, off, s[0:3], 0 offset:192
	;; [unrolled: 1-line block ×16, first 2 shown]
	v_cmp_lt_u32_e32 vcc, 8, v0
	s_waitcnt vmcnt(41) lgkmcnt(5)
	v_mul_f32_e32 v131, v64, v63
	s_waitcnt vmcnt(40)
	v_mul_f32_e32 v132, v66, v106
	v_mul_f32_e32 v63, v65, v63
	;; [unrolled: 1-line block ×3, first 2 shown]
	s_waitcnt vmcnt(39) lgkmcnt(4)
	v_mul_f32_e32 v133, v68, v108
	s_waitcnt vmcnt(38)
	v_mul_f32_e32 v134, v70, v110
	s_waitcnt vmcnt(37) lgkmcnt(3)
	v_mul_f32_e32 v135, v72, v112
	s_waitcnt vmcnt(36)
	v_mul_f32_e32 v136, v74, v113
	;; [unrolled: 4-line block ×4, first 2 shown]
	s_waitcnt vmcnt(29)
	v_fmac_f32_e32 v131, v65, v111
	s_waitcnt vmcnt(28)
	v_fmac_f32_e32 v132, v67, v120
	v_fma_f32 v63, v64, v111, -v63
	v_fma_f32 v64, v66, v120, -v106
	v_add_f32_e32 v66, 0, v131
	s_waitcnt vmcnt(27)
	v_fmac_f32_e32 v133, v69, v121
	v_add_f32_e32 v63, 0, v63
	v_add_f32_e32 v66, v66, v132
	s_waitcnt vmcnt(26)
	v_fmac_f32_e32 v134, v71, v122
	v_add_f32_e32 v63, v63, v64
	;; [unrolled: 4-line block ×3, first 2 shown]
	s_waitcnt vmcnt(24)
	v_fmac_f32_e32 v136, v75, v124
	v_add_f32_e32 v64, v64, v135
	s_waitcnt vmcnt(23)
	v_fmac_f32_e32 v137, v77, v125
	v_add_f32_e32 v64, v64, v136
	;; [unrolled: 3-line block ×4, first 2 shown]
	v_mul_f32_e32 v108, v69, v108
	s_waitcnt vmcnt(20)
	v_fmac_f32_e32 v140, v83, v128
	v_add_f32_e32 v64, v64, v139
	v_fma_f32 v65, v68, v121, -v108
	v_add_f32_e32 v111, v64, v140
	v_mul_f32_e32 v64, v71, v110
	v_add_f32_e32 v63, v63, v65
	v_fma_f32 v64, v70, v122, -v64
	v_add_f32_e32 v63, v63, v64
	v_mul_f32_e32 v64, v73, v112
	v_fma_f32 v64, v72, v123, -v64
	v_add_f32_e32 v63, v63, v64
	v_mul_f32_e32 v64, v75, v113
	;; [unrolled: 3-line block ×6, first 2 shown]
	v_fma_f32 v64, v82, v128, -v64
	v_add_f32_e32 v110, v63, v64
	ds_read_b128 v[64:67], v62 offset:416
	ds_read_b128 v[68:71], v62 offset:432
	ds_read_b128 v[72:75], v62 offset:448
	ds_read_b128 v[76:79], v62 offset:464
	s_waitcnt vmcnt(11)
	v_mov_b32_e32 v80, v95
	s_waitcnt lgkmcnt(3)
	v_pk_mul_f32 v[80:81], v[64:65], v[80:81] op_sel_hi:[1,0]
	s_waitcnt vmcnt(10)
	v_pk_fma_f32 v[82:83], v[64:65], v[94:95], v[80:81] op_sel:[0,0,1] op_sel_hi:[1,1,0] neg_lo:[0,0,1] neg_hi:[0,0,1]
	v_pk_fma_f32 v[64:65], v[64:65], v[94:95], v[80:81] op_sel:[0,0,1] op_sel_hi:[1,0,0]
	v_mov_b32_e32 v64, v93
	v_mov_b32_e32 v83, v65
	v_pk_mul_f32 v[64:65], v[66:67], v[64:65] op_sel_hi:[1,0]
	v_mul_f32_e32 v107, v84, v118
	v_mul_f32_e32 v63, v85, v118
	v_pk_fma_f32 v[80:81], v[66:67], v[92:93], v[64:65] op_sel:[0,0,1] op_sel_hi:[1,1,0] neg_lo:[0,0,1] neg_hi:[0,0,1]
	v_pk_fma_f32 v[64:65], v[66:67], v[92:93], v[64:65] op_sel:[0,0,1] op_sel_hi:[1,0,0]
	v_mul_f32_e32 v109, v86, v119
	v_fmac_f32_e32 v107, v85, v129
	v_fma_f32 v106, v84, v129, -v63
	v_mul_f32_e32 v63, v87, v119
	v_mov_b32_e32 v64, v91
	v_fmac_f32_e32 v109, v87, v130
	v_fma_f32 v108, v86, v130, -v63
	v_pk_add_f32 v[62:63], v[110:111], v[106:107]
	v_mov_b32_e32 v81, v65
	s_waitcnt lgkmcnt(2)
	v_pk_mul_f32 v[64:65], v[68:69], v[64:65] op_sel_hi:[1,0]
	v_pk_add_f32 v[62:63], v[62:63], v[108:109]
	v_pk_fma_f32 v[66:67], v[68:69], v[90:91], v[64:65] op_sel:[0,0,1] op_sel_hi:[1,1,0] neg_lo:[0,0,1] neg_hi:[0,0,1]
	v_pk_fma_f32 v[64:65], v[68:69], v[90:91], v[64:65] op_sel:[0,0,1] op_sel_hi:[1,0,0]
	v_pk_add_f32 v[62:63], v[62:63], v[82:83]
	s_waitcnt vmcnt(3)
	v_mov_b32_e32 v64, v103
	v_pk_add_f32 v[62:63], v[62:63], v[80:81]
	v_mov_b32_e32 v67, v65
	v_pk_mul_f32 v[64:65], v[70:71], v[64:65] op_sel_hi:[1,0]
	v_pk_add_f32 v[62:63], v[62:63], v[66:67]
	s_waitcnt vmcnt(2)
	v_pk_fma_f32 v[66:67], v[70:71], v[102:103], v[64:65] op_sel:[0,0,1] op_sel_hi:[1,1,0] neg_lo:[0,0,1] neg_hi:[0,0,1]
	v_pk_fma_f32 v[64:65], v[70:71], v[102:103], v[64:65] op_sel:[0,0,1] op_sel_hi:[1,0,0]
	v_mov_b32_e32 v64, v101
	v_mov_b32_e32 v67, v65
	s_waitcnt lgkmcnt(1)
	v_pk_mul_f32 v[64:65], v[72:73], v[64:65] op_sel_hi:[1,0]
	v_pk_add_f32 v[62:63], v[62:63], v[66:67]
	v_pk_fma_f32 v[66:67], v[72:73], v[100:101], v[64:65] op_sel:[0,0,1] op_sel_hi:[1,1,0] neg_lo:[0,0,1] neg_hi:[0,0,1]
	v_pk_fma_f32 v[64:65], v[72:73], v[100:101], v[64:65] op_sel:[0,0,1] op_sel_hi:[1,0,0]
	v_mov_b32_e32 v64, v99
	v_mov_b32_e32 v67, v65
	v_pk_mul_f32 v[64:65], v[74:75], v[64:65] op_sel_hi:[1,0]
	v_pk_add_f32 v[62:63], v[62:63], v[66:67]
	v_pk_fma_f32 v[66:67], v[74:75], v[98:99], v[64:65] op_sel:[0,0,1] op_sel_hi:[1,1,0] neg_lo:[0,0,1] neg_hi:[0,0,1]
	v_pk_fma_f32 v[64:65], v[74:75], v[98:99], v[64:65] op_sel:[0,0,1] op_sel_hi:[1,0,0]
	v_mov_b32_e32 v64, v97
	v_mov_b32_e32 v67, v65
	s_waitcnt lgkmcnt(0)
	v_pk_mul_f32 v[64:65], v[76:77], v[64:65] op_sel_hi:[1,0]
	v_pk_add_f32 v[62:63], v[62:63], v[66:67]
	v_pk_fma_f32 v[66:67], v[76:77], v[96:97], v[64:65] op_sel:[0,0,1] op_sel_hi:[1,1,0] neg_lo:[0,0,1] neg_hi:[0,0,1]
	v_pk_fma_f32 v[64:65], v[76:77], v[96:97], v[64:65] op_sel:[0,0,1] op_sel_hi:[1,0,0]
	s_waitcnt vmcnt(1)
	v_mov_b32_e32 v64, v105
	v_mov_b32_e32 v67, v65
	v_pk_mul_f32 v[64:65], v[78:79], v[64:65] op_sel_hi:[1,0]
	v_pk_add_f32 v[62:63], v[62:63], v[66:67]
	s_waitcnt vmcnt(0)
	v_pk_fma_f32 v[66:67], v[78:79], v[104:105], v[64:65] op_sel:[0,0,1] op_sel_hi:[1,1,0] neg_lo:[0,0,1] neg_hi:[0,0,1]
	v_pk_fma_f32 v[64:65], v[78:79], v[104:105], v[64:65] op_sel:[0,0,1] op_sel_hi:[1,0,0]
	v_mov_b32_e32 v67, v65
	v_pk_add_f32 v[62:63], v[62:63], v[66:67]
	v_pk_add_f32 v[62:63], v[88:89], v[62:63] neg_lo:[0,1] neg_hi:[0,1]
	buffer_store_dword v63, off, s[0:3], 0 offset:76
	buffer_store_dword v62, off, s[0:3], 0 offset:72
	s_and_saveexec_b64 s[4:5], vcc
	s_cbranch_execz .LBB29_177
; %bb.176:
	buffer_load_dword v62, off, s[0:3], 0 offset:64
	buffer_load_dword v63, off, s[0:3], 0 offset:68
	v_mov_b32_e32 v64, 0
	buffer_store_dword v64, off, s[0:3], 0 offset:64
	buffer_store_dword v64, off, s[0:3], 0 offset:68
	s_waitcnt vmcnt(2)
	ds_write_b64 v1, v[62:63]
.LBB29_177:
	s_or_b64 exec, exec, s[4:5]
	s_waitcnt lgkmcnt(0)
	; wave barrier
	s_waitcnt lgkmcnt(0)
	buffer_load_dword v63, off, s[0:3], 0 offset:76
	buffer_load_dword v114, off, s[0:3], 0 offset:84
	;; [unrolled: 1-line block ×44, first 2 shown]
	v_mov_b32_e32 v62, 0
	ds_read2_b64 v[64:67], v62 offset0:39 offset1:40
	ds_read2_b64 v[68:71], v62 offset0:41 offset1:42
	;; [unrolled: 1-line block ×8, first 2 shown]
	v_cmp_lt_u32_e32 vcc, 7, v0
	s_waitcnt vmcnt(43) lgkmcnt(7)
	v_mul_f32_e32 v119, v64, v63
	v_mul_f32_e32 v63, v65, v63
	s_waitcnt vmcnt(42)
	v_mul_f32_e32 v142, v66, v114
	s_waitcnt vmcnt(41) lgkmcnt(6)
	v_mul_f32_e32 v143, v68, v116
	s_waitcnt vmcnt(40)
	v_mul_f32_e32 v144, v70, v118
	s_waitcnt vmcnt(39) lgkmcnt(5)
	;; [unrolled: 4-line block ×5, first 2 shown]
	v_mul_f32_e32 v151, v84, v126
	s_waitcnt vmcnt(32)
	v_mul_f32_e32 v115, v86, v127
	s_waitcnt vmcnt(30)
	v_fma_f32 v63, v64, v129, -v63
	v_mul_f32_e32 v64, v67, v114
	v_add_f32_e32 v63, 0, v63
	s_waitcnt vmcnt(29)
	v_fma_f32 v64, v66, v130, -v64
	v_add_f32_e32 v63, v63, v64
	v_mul_f32_e32 v64, v69, v116
	s_waitcnt vmcnt(28)
	v_fma_f32 v64, v68, v131, -v64
	v_add_f32_e32 v63, v63, v64
	v_mul_f32_e32 v64, v71, v118
	;; [unrolled: 4-line block ×4, first 2 shown]
	s_waitcnt vmcnt(25)
	v_fma_f32 v64, v74, v134, -v64
	v_fmac_f32_e32 v119, v65, v129
	v_add_f32_e32 v63, v63, v64
	v_mul_f32_e32 v64, v77, v122
	v_fmac_f32_e32 v142, v67, v130
	v_add_f32_e32 v65, 0, v119
	s_waitcnt vmcnt(24)
	v_fma_f32 v64, v76, v135, -v64
	v_fmac_f32_e32 v143, v69, v131
	v_add_f32_e32 v65, v65, v142
	v_add_f32_e32 v63, v63, v64
	v_mul_f32_e32 v64, v79, v123
	v_fmac_f32_e32 v144, v71, v132
	v_add_f32_e32 v65, v65, v143
	s_waitcnt vmcnt(23)
	v_fma_f32 v64, v78, v136, -v64
	v_fmac_f32_e32 v145, v73, v133
	v_add_f32_e32 v65, v65, v144
	;; [unrolled: 8-line block ×4, first 2 shown]
	v_add_f32_e32 v63, v63, v64
	v_mul_f32_e32 v64, v85, v126
	v_fmac_f32_e32 v150, v83, v138
	v_add_f32_e32 v65, v65, v149
	s_waitcnt vmcnt(20)
	v_fma_f32 v64, v84, v139, -v64
	s_waitcnt vmcnt(13)
	v_mov_b32_e32 v76, v101
	v_fmac_f32_e32 v151, v85, v139
	v_add_f32_e32 v65, v65, v150
	v_add_f32_e32 v118, v63, v64
	v_mul_f32_e32 v63, v87, v127
	s_waitcnt lgkmcnt(1)
	v_pk_mul_f32 v[76:77], v[90:91], v[76:77] op_sel_hi:[1,0]
	v_mul_f32_e32 v117, v88, v128
	v_fmac_f32_e32 v115, v87, v140
	v_add_f32_e32 v119, v65, v151
	v_fma_f32 v114, v86, v140, -v63
	v_mul_f32_e32 v63, v89, v128
	s_waitcnt vmcnt(12)
	v_pk_fma_f32 v[78:79], v[90:91], v[100:101], v[76:77] op_sel:[0,0,1] op_sel_hi:[1,1,0] neg_lo:[0,0,1] neg_hi:[0,0,1]
	v_pk_fma_f32 v[76:77], v[90:91], v[100:101], v[76:77] op_sel:[0,0,1] op_sel_hi:[1,0,0]
	v_fmac_f32_e32 v117, v89, v141
	v_fma_f32 v116, v88, v141, -v63
	v_pk_add_f32 v[74:75], v[118:119], v[114:115]
	v_mov_b32_e32 v76, v99
	v_pk_add_f32 v[74:75], v[74:75], v[116:117]
	v_mov_b32_e32 v79, v77
	s_waitcnt lgkmcnt(0)
	v_pk_mul_f32 v[76:77], v[92:93], v[76:77] op_sel_hi:[1,0]
	v_pk_add_f32 v[74:75], v[74:75], v[78:79]
	v_pk_fma_f32 v[78:79], v[92:93], v[98:99], v[76:77] op_sel:[0,0,1] op_sel_hi:[1,1,0] neg_lo:[0,0,1] neg_hi:[0,0,1]
	v_pk_fma_f32 v[76:77], v[92:93], v[98:99], v[76:77] op_sel:[0,0,1] op_sel_hi:[1,0,0]
	s_waitcnt vmcnt(5)
	v_mov_b32_e32 v76, v109
	ds_read2_b64 v[64:67], v62 offset0:55 offset1:56
	ds_read2_b64 v[68:71], v62 offset0:57 offset1:58
	ds_read_b64 v[72:73], v62 offset:472
	v_mov_b32_e32 v79, v77
	v_pk_mul_f32 v[76:77], v[94:95], v[76:77] op_sel_hi:[1,0]
	v_pk_add_f32 v[74:75], v[74:75], v[78:79]
	s_waitcnt vmcnt(4)
	v_pk_fma_f32 v[78:79], v[94:95], v[108:109], v[76:77] op_sel:[0,0,1] op_sel_hi:[1,1,0] neg_lo:[0,0,1] neg_hi:[0,0,1]
	v_pk_fma_f32 v[76:77], v[94:95], v[108:109], v[76:77] op_sel:[0,0,1] op_sel_hi:[1,0,0]
	v_mov_b32_e32 v76, v107
	v_mov_b32_e32 v79, v77
	s_waitcnt lgkmcnt(2)
	v_pk_mul_f32 v[76:77], v[64:65], v[76:77] op_sel_hi:[1,0]
	v_pk_add_f32 v[74:75], v[74:75], v[78:79]
	v_pk_fma_f32 v[78:79], v[64:65], v[106:107], v[76:77] op_sel:[0,0,1] op_sel_hi:[1,1,0] neg_lo:[0,0,1] neg_hi:[0,0,1]
	v_pk_fma_f32 v[64:65], v[64:65], v[106:107], v[76:77] op_sel:[0,0,1] op_sel_hi:[1,0,0]
	v_mov_b32_e32 v79, v65
	v_pk_add_f32 v[64:65], v[74:75], v[78:79]
	v_mov_b32_e32 v74, v105
	v_pk_mul_f32 v[74:75], v[66:67], v[74:75] op_sel_hi:[1,0]
	v_pk_fma_f32 v[76:77], v[66:67], v[104:105], v[74:75] op_sel:[0,0,1] op_sel_hi:[1,1,0] neg_lo:[0,0,1] neg_hi:[0,0,1]
	v_pk_fma_f32 v[66:67], v[66:67], v[104:105], v[74:75] op_sel:[0,0,1] op_sel_hi:[1,0,0]
	v_mov_b32_e32 v66, v103
	v_mov_b32_e32 v77, v67
	s_waitcnt lgkmcnt(1)
	v_pk_mul_f32 v[66:67], v[68:69], v[66:67] op_sel_hi:[1,0]
	v_pk_fma_f32 v[74:75], v[68:69], v[102:103], v[66:67] op_sel:[0,0,1] op_sel_hi:[1,1,0] neg_lo:[0,0,1] neg_hi:[0,0,1]
	v_pk_fma_f32 v[66:67], v[68:69], v[102:103], v[66:67] op_sel:[0,0,1] op_sel_hi:[1,0,0]
	s_waitcnt vmcnt(1)
	v_mov_b32_e32 v66, v113
	v_mov_b32_e32 v75, v67
	v_pk_mul_f32 v[66:67], v[70:71], v[66:67] op_sel_hi:[1,0]
	s_waitcnt vmcnt(0)
	v_pk_fma_f32 v[68:69], v[70:71], v[112:113], v[66:67] op_sel:[0,0,1] op_sel_hi:[1,1,0] neg_lo:[0,0,1] neg_hi:[0,0,1]
	v_pk_fma_f32 v[66:67], v[70:71], v[112:113], v[66:67] op_sel:[0,0,1] op_sel_hi:[1,0,0]
	v_pk_add_f32 v[64:65], v[64:65], v[76:77]
	v_mov_b32_e32 v66, v111
	v_pk_add_f32 v[64:65], v[64:65], v[74:75]
	v_mov_b32_e32 v69, v67
	s_waitcnt lgkmcnt(0)
	v_pk_mul_f32 v[66:67], v[72:73], v[66:67] op_sel_hi:[1,0]
	v_pk_add_f32 v[64:65], v[64:65], v[68:69]
	v_pk_fma_f32 v[68:69], v[72:73], v[110:111], v[66:67] op_sel:[0,0,1] op_sel_hi:[1,1,0] neg_lo:[0,0,1] neg_hi:[0,0,1]
	v_pk_fma_f32 v[66:67], v[72:73], v[110:111], v[66:67] op_sel:[0,0,1] op_sel_hi:[1,0,0]
	v_mov_b32_e32 v69, v67
	v_pk_add_f32 v[64:65], v[64:65], v[68:69]
	v_pk_add_f32 v[64:65], v[96:97], v[64:65] neg_lo:[0,1] neg_hi:[0,1]
	buffer_store_dword v65, off, s[0:3], 0 offset:68
	buffer_store_dword v64, off, s[0:3], 0 offset:64
	s_and_saveexec_b64 s[4:5], vcc
	s_cbranch_execz .LBB29_179
; %bb.178:
	buffer_load_dword v64, off, s[0:3], 0 offset:56
	buffer_load_dword v65, off, s[0:3], 0 offset:60
	s_waitcnt vmcnt(0)
	ds_write_b64 v1, v[64:65]
	buffer_store_dword v62, off, s[0:3], 0 offset:56
	buffer_store_dword v62, off, s[0:3], 0 offset:60
.LBB29_179:
	s_or_b64 exec, exec, s[4:5]
	s_waitcnt lgkmcnt(0)
	; wave barrier
	s_waitcnt lgkmcnt(0)
	buffer_load_dword v63, off, s[0:3], 0 offset:68
	buffer_load_dword v114, off, s[0:3], 0 offset:76
	;; [unrolled: 1-line block ×30, first 2 shown]
	ds_read_b128 v[64:67], v62 offset:304
	ds_read_b128 v[68:71], v62 offset:320
	;; [unrolled: 1-line block ×6, first 2 shown]
	buffer_load_dword v99, off, s[0:3], 0 offset:180
	buffer_load_dword v98, off, s[0:3], 0 offset:176
	ds_read_b128 v[88:91], v62 offset:400
	ds_read_b128 v[92:95], v62 offset:416
	buffer_load_dword v101, off, s[0:3], 0 offset:212
	buffer_load_dword v100, off, s[0:3], 0 offset:208
	;; [unrolled: 1-line block ×14, first 2 shown]
	v_cmp_lt_u32_e32 vcc, 6, v0
	s_waitcnt vmcnt(45) lgkmcnt(7)
	v_mul_f32_e32 v117, v64, v63
	v_mul_f32_e32 v63, v65, v63
	s_waitcnt vmcnt(44)
	v_mul_f32_e32 v119, v66, v114
	s_waitcnt vmcnt(43) lgkmcnt(6)
	v_mul_f32_e32 v144, v68, v116
	s_waitcnt vmcnt(42)
	v_mul_f32_e32 v145, v70, v118
	s_waitcnt vmcnt(41) lgkmcnt(5)
	v_mul_f32_e32 v146, v72, v120
	s_waitcnt vmcnt(40)
	v_mul_f32_e32 v147, v74, v121
	s_waitcnt vmcnt(39) lgkmcnt(4)
	v_mul_f32_e32 v148, v76, v122
	s_waitcnt vmcnt(38)
	v_mul_f32_e32 v149, v78, v123
	s_waitcnt vmcnt(37) lgkmcnt(3)
	v_mul_f32_e32 v150, v80, v124
	s_waitcnt vmcnt(36)
	v_mul_f32_e32 v151, v82, v125
	s_waitcnt vmcnt(35) lgkmcnt(2)
	v_mul_f32_e32 v152, v84, v126
	s_waitcnt vmcnt(34)
	v_mul_f32_e32 v153, v86, v127
	s_waitcnt vmcnt(32)
	v_fma_f32 v63, v64, v129, -v63
	v_mul_f32_e32 v64, v67, v114
	v_add_f32_e32 v63, 0, v63
	s_waitcnt vmcnt(31)
	v_fma_f32 v64, v66, v130, -v64
	v_add_f32_e32 v63, v63, v64
	v_mul_f32_e32 v64, v69, v116
	s_waitcnt vmcnt(30)
	v_fma_f32 v64, v68, v131, -v64
	v_add_f32_e32 v63, v63, v64
	v_mul_f32_e32 v64, v71, v118
	;; [unrolled: 4-line block ×5, first 2 shown]
	v_fmac_f32_e32 v117, v65, v129
	s_waitcnt vmcnt(26)
	v_fma_f32 v64, v76, v135, -v64
	v_fmac_f32_e32 v119, v67, v130
	v_add_f32_e32 v117, 0, v117
	v_add_f32_e32 v63, v63, v64
	v_mul_f32_e32 v64, v79, v123
	v_fmac_f32_e32 v144, v69, v131
	v_add_f32_e32 v117, v117, v119
	s_waitcnt vmcnt(25)
	v_fma_f32 v64, v78, v136, -v64
	v_fmac_f32_e32 v145, v71, v132
	v_add_f32_e32 v117, v117, v144
	v_add_f32_e32 v63, v63, v64
	v_mul_f32_e32 v64, v81, v124
	v_fmac_f32_e32 v146, v73, v133
	v_add_f32_e32 v117, v117, v145
	;; [unrolled: 8-line block ×5, first 2 shown]
	s_waitcnt vmcnt(21)
	v_fma_f32 v64, v86, v140, -v64
	s_waitcnt vmcnt(15)
	v_mov_b32_e32 v76, v99
	s_waitcnt lgkmcnt(1)
	v_mul_f32_e32 v115, v88, v128
	v_fmac_f32_e32 v153, v87, v140
	v_add_f32_e32 v117, v117, v152
	v_add_f32_e32 v116, v63, v64
	v_mul_f32_e32 v63, v89, v128
	s_waitcnt lgkmcnt(0)
	v_pk_mul_f32 v[76:77], v[92:93], v[76:77] op_sel_hi:[1,0]
	v_fmac_f32_e32 v115, v89, v141
	v_add_f32_e32 v117, v117, v153
	v_mul_f32_e32 v119, v90, v142
	v_fma_f32 v114, v88, v141, -v63
	v_mul_f32_e32 v63, v91, v142
	s_waitcnt vmcnt(14)
	v_pk_fma_f32 v[78:79], v[92:93], v[98:99], v[76:77] op_sel:[0,0,1] op_sel_hi:[1,1,0] neg_lo:[0,0,1] neg_hi:[0,0,1]
	v_pk_fma_f32 v[76:77], v[92:93], v[98:99], v[76:77] op_sel:[0,0,1] op_sel_hi:[1,0,0]
	v_fmac_f32_e32 v119, v91, v143
	v_fma_f32 v118, v90, v143, -v63
	ds_read_b128 v[64:67], v62 offset:432
	ds_read_b128 v[68:71], v62 offset:448
	;; [unrolled: 1-line block ×3, first 2 shown]
	v_pk_add_f32 v[62:63], v[116:117], v[114:115]
	s_waitcnt vmcnt(7)
	v_mov_b32_e32 v76, v107
	v_pk_add_f32 v[62:63], v[62:63], v[118:119]
	v_mov_b32_e32 v79, v77
	v_pk_mul_f32 v[76:77], v[94:95], v[76:77] op_sel_hi:[1,0]
	v_pk_add_f32 v[62:63], v[62:63], v[78:79]
	s_waitcnt vmcnt(6)
	v_pk_fma_f32 v[78:79], v[94:95], v[106:107], v[76:77] op_sel:[0,0,1] op_sel_hi:[1,1,0] neg_lo:[0,0,1] neg_hi:[0,0,1]
	v_pk_fma_f32 v[76:77], v[94:95], v[106:107], v[76:77] op_sel:[0,0,1] op_sel_hi:[1,0,0]
	v_mov_b32_e32 v76, v105
	v_mov_b32_e32 v79, v77
	s_waitcnt lgkmcnt(2)
	v_pk_mul_f32 v[76:77], v[64:65], v[76:77] op_sel_hi:[1,0]
	v_pk_add_f32 v[62:63], v[62:63], v[78:79]
	v_pk_fma_f32 v[78:79], v[64:65], v[104:105], v[76:77] op_sel:[0,0,1] op_sel_hi:[1,1,0] neg_lo:[0,0,1] neg_hi:[0,0,1]
	v_pk_fma_f32 v[64:65], v[64:65], v[104:105], v[76:77] op_sel:[0,0,1] op_sel_hi:[1,0,0]
	v_mov_b32_e32 v64, v103
	v_mov_b32_e32 v79, v65
	v_pk_mul_f32 v[64:65], v[66:67], v[64:65] op_sel_hi:[1,0]
	v_pk_fma_f32 v[76:77], v[66:67], v[102:103], v[64:65] op_sel:[0,0,1] op_sel_hi:[1,1,0] neg_lo:[0,0,1] neg_hi:[0,0,1]
	v_pk_fma_f32 v[64:65], v[66:67], v[102:103], v[64:65] op_sel:[0,0,1] op_sel_hi:[1,0,0]
	v_mov_b32_e32 v64, v101
	v_mov_b32_e32 v77, v65
	s_waitcnt lgkmcnt(1)
	v_pk_mul_f32 v[64:65], v[68:69], v[64:65] op_sel_hi:[1,0]
	v_pk_fma_f32 v[66:67], v[68:69], v[100:101], v[64:65] op_sel:[0,0,1] op_sel_hi:[1,1,0] neg_lo:[0,0,1] neg_hi:[0,0,1]
	v_pk_fma_f32 v[64:65], v[68:69], v[100:101], v[64:65] op_sel:[0,0,1] op_sel_hi:[1,0,0]
	v_pk_add_f32 v[62:63], v[62:63], v[78:79]
	s_waitcnt vmcnt(1)
	v_mov_b32_e32 v64, v113
	v_pk_add_f32 v[62:63], v[62:63], v[76:77]
	v_mov_b32_e32 v67, v65
	v_pk_mul_f32 v[64:65], v[70:71], v[64:65] op_sel_hi:[1,0]
	v_pk_add_f32 v[62:63], v[62:63], v[66:67]
	s_waitcnt vmcnt(0)
	v_pk_fma_f32 v[66:67], v[70:71], v[112:113], v[64:65] op_sel:[0,0,1] op_sel_hi:[1,1,0] neg_lo:[0,0,1] neg_hi:[0,0,1]
	v_pk_fma_f32 v[64:65], v[70:71], v[112:113], v[64:65] op_sel:[0,0,1] op_sel_hi:[1,0,0]
	v_mov_b32_e32 v64, v111
	v_mov_b32_e32 v67, v65
	s_waitcnt lgkmcnt(0)
	v_pk_mul_f32 v[64:65], v[72:73], v[64:65] op_sel_hi:[1,0]
	v_pk_add_f32 v[62:63], v[62:63], v[66:67]
	v_pk_fma_f32 v[66:67], v[72:73], v[110:111], v[64:65] op_sel:[0,0,1] op_sel_hi:[1,1,0] neg_lo:[0,0,1] neg_hi:[0,0,1]
	v_pk_fma_f32 v[64:65], v[72:73], v[110:111], v[64:65] op_sel:[0,0,1] op_sel_hi:[1,0,0]
	v_mov_b32_e32 v64, v109
	v_mov_b32_e32 v67, v65
	v_pk_mul_f32 v[64:65], v[74:75], v[64:65] op_sel_hi:[1,0]
	v_pk_add_f32 v[62:63], v[62:63], v[66:67]
	v_pk_fma_f32 v[66:67], v[74:75], v[108:109], v[64:65] op_sel:[0,0,1] op_sel_hi:[1,1,0] neg_lo:[0,0,1] neg_hi:[0,0,1]
	v_pk_fma_f32 v[64:65], v[74:75], v[108:109], v[64:65] op_sel:[0,0,1] op_sel_hi:[1,0,0]
	v_mov_b32_e32 v67, v65
	v_pk_add_f32 v[62:63], v[62:63], v[66:67]
	v_pk_add_f32 v[62:63], v[96:97], v[62:63] neg_lo:[0,1] neg_hi:[0,1]
	buffer_store_dword v63, off, s[0:3], 0 offset:60
	buffer_store_dword v62, off, s[0:3], 0 offset:56
	s_and_saveexec_b64 s[4:5], vcc
	s_cbranch_execz .LBB29_181
; %bb.180:
	buffer_load_dword v62, off, s[0:3], 0 offset:48
	buffer_load_dword v63, off, s[0:3], 0 offset:52
	v_mov_b32_e32 v64, 0
	buffer_store_dword v64, off, s[0:3], 0 offset:48
	buffer_store_dword v64, off, s[0:3], 0 offset:52
	s_waitcnt vmcnt(2)
	ds_write_b64 v1, v[62:63]
.LBB29_181:
	s_or_b64 exec, exec, s[4:5]
	s_waitcnt lgkmcnt(0)
	; wave barrier
	s_waitcnt lgkmcnt(0)
	buffer_load_dword v63, off, s[0:3], 0 offset:60
	buffer_load_dword v112, off, s[0:3], 0 offset:68
	;; [unrolled: 1-line block ×32, first 2 shown]
	v_mov_b32_e32 v62, 0
	buffer_load_dword v99, off, s[0:3], 0 offset:204
	buffer_load_dword v98, off, s[0:3], 0 offset:200
	;; [unrolled: 1-line block ×13, first 2 shown]
	ds_read2_b64 v[64:67], v62 offset0:37 offset1:38
	ds_read2_b64 v[68:71], v62 offset0:39 offset1:40
	;; [unrolled: 1-line block ×8, first 2 shown]
	v_cmp_lt_u32_e32 vcc, 5, v0
	s_waitcnt vmcnt(44) lgkmcnt(7)
	v_mul_f32_e32 v106, v64, v63
	s_waitcnt vmcnt(43)
	v_mul_f32_e32 v113, v66, v112
	s_waitcnt vmcnt(42) lgkmcnt(6)
	v_mul_f32_e32 v114, v68, v116
	s_waitcnt vmcnt(41)
	v_mul_f32_e32 v115, v70, v118
	;; [unrolled: 4-line block ×6, first 2 shown]
	s_waitcnt vmcnt(32) lgkmcnt(1)
	v_mul_f32_e32 v152, v88, v128
	s_waitcnt vmcnt(31)
	v_fmac_f32_e32 v106, v65, v129
	s_waitcnt vmcnt(30)
	v_fmac_f32_e32 v113, v67, v130
	v_add_f32_e32 v106, 0, v106
	s_waitcnt vmcnt(29)
	v_fmac_f32_e32 v114, v69, v131
	v_add_f32_e32 v106, v106, v113
	;; [unrolled: 3-line block ×12, first 2 shown]
	v_add_f32_e32 v113, v106, v152
	buffer_load_dword v115, off, s[0:3], 0 offset:220
	buffer_load_dword v114, off, s[0:3], 0 offset:216
	;; [unrolled: 1-line block ×3, first 2 shown]
	v_mul_f32_e32 v63, v65, v63
	v_fma_f32 v63, v64, v129, -v63
	v_mul_f32_e32 v64, v67, v112
	v_add_f32_e32 v63, 0, v63
	v_fma_f32 v64, v66, v130, -v64
	v_add_f32_e32 v63, v63, v64
	v_mul_f32_e32 v64, v69, v116
	v_fma_f32 v64, v68, v131, -v64
	v_add_f32_e32 v63, v63, v64
	v_mul_f32_e32 v64, v71, v118
	;; [unrolled: 3-line block ×11, first 2 shown]
	v_fma_f32 v64, v88, v141, -v64
	s_waitcnt vmcnt(9)
	v_mov_b32_e32 v80, v105
	v_mul_f32_e32 v117, v90, v142
	v_add_f32_e32 v112, v63, v64
	v_mul_f32_e32 v63, v91, v142
	s_waitcnt lgkmcnt(0)
	v_pk_mul_f32 v[80:81], v[94:95], v[80:81] op_sel_hi:[1,0]
	v_fmac_f32_e32 v117, v91, v143
	v_mul_f32_e32 v119, v92, v144
	v_fma_f32 v116, v90, v143, -v63
	v_mul_f32_e32 v63, v93, v144
	ds_read2_b64 v[64:67], v62 offset0:53 offset1:54
	ds_read2_b64 v[68:71], v62 offset0:55 offset1:56
	;; [unrolled: 1-line block ×3, first 2 shown]
	ds_read_b64 v[76:77], v62 offset:472
	s_waitcnt vmcnt(8)
	v_pk_fma_f32 v[82:83], v[94:95], v[104:105], v[80:81] op_sel:[0,0,1] op_sel_hi:[1,1,0] neg_lo:[0,0,1] neg_hi:[0,0,1]
	v_pk_fma_f32 v[80:81], v[94:95], v[104:105], v[80:81] op_sel:[0,0,1] op_sel_hi:[1,0,0]
	v_fmac_f32_e32 v119, v93, v145
	v_fma_f32 v118, v92, v145, -v63
	v_pk_add_f32 v[78:79], v[112:113], v[116:117]
	v_mov_b32_e32 v80, v103
	v_pk_add_f32 v[78:79], v[78:79], v[118:119]
	v_mov_b32_e32 v83, v81
	s_waitcnt lgkmcnt(3)
	v_pk_mul_f32 v[80:81], v[64:65], v[80:81] op_sel_hi:[1,0]
	v_pk_add_f32 v[78:79], v[78:79], v[82:83]
	v_pk_fma_f32 v[82:83], v[64:65], v[102:103], v[80:81] op_sel:[0,0,1] op_sel_hi:[1,1,0] neg_lo:[0,0,1] neg_hi:[0,0,1]
	v_pk_fma_f32 v[64:65], v[64:65], v[102:103], v[80:81] op_sel:[0,0,1] op_sel_hi:[1,0,0]
	v_mov_b32_e32 v83, v65
	v_pk_add_f32 v[64:65], v[78:79], v[82:83]
	v_mov_b32_e32 v78, v101
	v_pk_mul_f32 v[78:79], v[66:67], v[78:79] op_sel_hi:[1,0]
	v_pk_fma_f32 v[80:81], v[66:67], v[100:101], v[78:79] op_sel:[0,0,1] op_sel_hi:[1,1,0] neg_lo:[0,0,1] neg_hi:[0,0,1]
	v_pk_fma_f32 v[66:67], v[66:67], v[100:101], v[78:79] op_sel:[0,0,1] op_sel_hi:[1,0,0]
	v_mov_b32_e32 v66, v99
	v_mov_b32_e32 v81, v67
	s_waitcnt lgkmcnt(2)
	v_pk_mul_f32 v[66:67], v[68:69], v[66:67] op_sel_hi:[1,0]
	v_pk_fma_f32 v[78:79], v[68:69], v[98:99], v[66:67] op_sel:[0,0,1] op_sel_hi:[1,1,0] neg_lo:[0,0,1] neg_hi:[0,0,1]
	v_pk_fma_f32 v[66:67], v[68:69], v[98:99], v[66:67] op_sel:[0,0,1] op_sel_hi:[1,0,0]
	s_waitcnt vmcnt(7)
	v_mov_b32_e32 v66, v107
	v_mov_b32_e32 v79, v67
	v_pk_mul_f32 v[66:67], v[70:71], v[66:67] op_sel_hi:[1,0]
	v_pk_add_f32 v[64:65], v[64:65], v[80:81]
	v_pk_add_f32 v[64:65], v[64:65], v[78:79]
	s_waitcnt vmcnt(0)
	v_pk_fma_f32 v[68:69], v[70:71], v[106:107], v[66:67] op_sel:[0,0,1] op_sel_hi:[1,1,0] neg_lo:[0,0,1] neg_hi:[0,0,1]
	v_pk_fma_f32 v[66:67], v[70:71], v[106:107], v[66:67] op_sel:[0,0,1] op_sel_hi:[1,0,0]
	v_mov_b32_e32 v66, v115
	v_mov_b32_e32 v69, v67
	s_waitcnt lgkmcnt(1)
	v_pk_mul_f32 v[66:67], v[72:73], v[66:67] op_sel_hi:[1,0]
	v_pk_add_f32 v[64:65], v[64:65], v[68:69]
	v_pk_fma_f32 v[68:69], v[72:73], v[114:115], v[66:67] op_sel:[0,0,1] op_sel_hi:[1,1,0] neg_lo:[0,0,1] neg_hi:[0,0,1]
	v_pk_fma_f32 v[66:67], v[72:73], v[114:115], v[66:67] op_sel:[0,0,1] op_sel_hi:[1,0,0]
	v_mov_b32_e32 v66, v111
	v_mov_b32_e32 v69, v67
	v_pk_mul_f32 v[66:67], v[74:75], v[66:67] op_sel_hi:[1,0]
	v_pk_add_f32 v[64:65], v[64:65], v[68:69]
	v_pk_fma_f32 v[68:69], v[74:75], v[110:111], v[66:67] op_sel:[0,0,1] op_sel_hi:[1,1,0] neg_lo:[0,0,1] neg_hi:[0,0,1]
	v_pk_fma_f32 v[66:67], v[74:75], v[110:111], v[66:67] op_sel:[0,0,1] op_sel_hi:[1,0,0]
	v_mov_b32_e32 v66, v109
	v_mov_b32_e32 v69, v67
	s_waitcnt lgkmcnt(0)
	v_pk_mul_f32 v[66:67], v[76:77], v[66:67] op_sel_hi:[1,0]
	v_pk_add_f32 v[64:65], v[64:65], v[68:69]
	v_pk_fma_f32 v[68:69], v[76:77], v[108:109], v[66:67] op_sel:[0,0,1] op_sel_hi:[1,1,0] neg_lo:[0,0,1] neg_hi:[0,0,1]
	v_pk_fma_f32 v[66:67], v[76:77], v[108:109], v[66:67] op_sel:[0,0,1] op_sel_hi:[1,0,0]
	v_mov_b32_e32 v69, v67
	v_pk_add_f32 v[64:65], v[64:65], v[68:69]
	v_pk_add_f32 v[64:65], v[96:97], v[64:65] neg_lo:[0,1] neg_hi:[0,1]
	buffer_store_dword v65, off, s[0:3], 0 offset:52
	buffer_store_dword v64, off, s[0:3], 0 offset:48
	s_and_saveexec_b64 s[4:5], vcc
	s_cbranch_execz .LBB29_183
; %bb.182:
	buffer_load_dword v64, off, s[0:3], 0 offset:40
	buffer_load_dword v65, off, s[0:3], 0 offset:44
	s_waitcnt vmcnt(0)
	ds_write_b64 v1, v[64:65]
	buffer_store_dword v62, off, s[0:3], 0 offset:40
	buffer_store_dword v62, off, s[0:3], 0 offset:44
.LBB29_183:
	s_or_b64 exec, exec, s[4:5]
	s_waitcnt lgkmcnt(0)
	; wave barrier
	s_waitcnt lgkmcnt(0)
	buffer_load_dword v63, off, s[0:3], 0 offset:52
	buffer_load_dword v112, off, s[0:3], 0 offset:60
	;; [unrolled: 1-line block ×34, first 2 shown]
	ds_read_b128 v[64:67], v62 offset:288
	ds_read_b128 v[68:71], v62 offset:304
	;; [unrolled: 1-line block ×8, first 2 shown]
	buffer_load_dword v99, off, s[0:3], 0 offset:196
	buffer_load_dword v98, off, s[0:3], 0 offset:192
	;; [unrolled: 1-line block ×9, first 2 shown]
	v_cmp_lt_u32_e32 vcc, 4, v0
	s_waitcnt vmcnt(42) lgkmcnt(7)
	v_mul_f32_e32 v104, v64, v63
	s_waitcnt vmcnt(41)
	v_mul_f32_e32 v108, v66, v112
	s_waitcnt vmcnt(40) lgkmcnt(6)
	v_mul_f32_e32 v109, v68, v114
	s_waitcnt vmcnt(39)
	v_mul_f32_e32 v110, v70, v116
	;; [unrolled: 4-line block ×6, first 2 shown]
	s_waitcnt vmcnt(30) lgkmcnt(1)
	v_mul_f32_e32 v150, v88, v128
	v_mul_f32_e32 v63, v65, v63
	s_waitcnt vmcnt(28)
	v_fmac_f32_e32 v104, v65, v130
	s_waitcnt vmcnt(27)
	v_fmac_f32_e32 v108, v67, v131
	v_add_f32_e32 v104, 0, v104
	s_waitcnt vmcnt(26)
	v_fmac_f32_e32 v109, v69, v132
	v_add_f32_e32 v104, v104, v108
	;; [unrolled: 3-line block ×12, first 2 shown]
	v_add_f32_e32 v113, v104, v150
	buffer_load_dword v109, off, s[0:3], 0 offset:220
	buffer_load_dword v108, off, s[0:3], 0 offset:216
	;; [unrolled: 1-line block ×7, first 2 shown]
	v_fma_f32 v63, v64, v130, -v63
	v_mul_f32_e32 v64, v67, v112
	v_add_f32_e32 v63, 0, v63
	v_fma_f32 v64, v66, v131, -v64
	v_add_f32_e32 v63, v63, v64
	v_mul_f32_e32 v64, v69, v114
	v_fma_f32 v64, v68, v132, -v64
	v_add_f32_e32 v63, v63, v64
	v_mul_f32_e32 v64, v71, v116
	;; [unrolled: 3-line block ×12, first 2 shown]
	s_waitcnt vmcnt(22)
	v_fma_f32 v64, v90, v143, -v64
	v_add_f32_e32 v112, v63, v64
	ds_read_b128 v[64:67], v62 offset:416
	ds_read_b128 v[68:71], v62 offset:432
	;; [unrolled: 1-line block ×4, first 2 shown]
	s_waitcnt vmcnt(11)
	v_mov_b32_e32 v80, v103
	s_waitcnt lgkmcnt(3)
	v_pk_mul_f32 v[80:81], v[64:65], v[80:81] op_sel_hi:[1,0]
	s_waitcnt vmcnt(10)
	v_pk_fma_f32 v[82:83], v[64:65], v[102:103], v[80:81] op_sel:[0,0,1] op_sel_hi:[1,1,0] neg_lo:[0,0,1] neg_hi:[0,0,1]
	v_pk_fma_f32 v[64:65], v[64:65], v[102:103], v[80:81] op_sel:[0,0,1] op_sel_hi:[1,0,0]
	v_mov_b32_e32 v64, v101
	v_mul_f32_e32 v151, v90, v129
	v_mov_b32_e32 v83, v65
	v_pk_mul_f32 v[64:65], v[66:67], v[64:65] op_sel_hi:[1,0]
	v_fmac_f32_e32 v151, v91, v143
	v_mul_f32_e32 v115, v92, v144
	v_mul_f32_e32 v63, v93, v144
	v_pk_fma_f32 v[80:81], v[66:67], v[100:101], v[64:65] op_sel:[0,0,1] op_sel_hi:[1,1,0] neg_lo:[0,0,1] neg_hi:[0,0,1]
	v_pk_fma_f32 v[64:65], v[66:67], v[100:101], v[64:65] op_sel:[0,0,1] op_sel_hi:[1,0,0]
	v_add_f32_e32 v113, v113, v151
	v_fmac_f32_e32 v115, v93, v145
	v_mul_f32_e32 v117, v94, v146
	v_fma_f32 v114, v92, v145, -v63
	v_mul_f32_e32 v63, v95, v146
	v_mov_b32_e32 v64, v99
	v_fmac_f32_e32 v117, v95, v147
	v_fma_f32 v116, v94, v147, -v63
	v_pk_add_f32 v[62:63], v[112:113], v[114:115]
	v_mov_b32_e32 v81, v65
	s_waitcnt lgkmcnt(2)
	v_pk_mul_f32 v[64:65], v[68:69], v[64:65] op_sel_hi:[1,0]
	v_pk_add_f32 v[62:63], v[62:63], v[116:117]
	v_pk_fma_f32 v[66:67], v[68:69], v[98:99], v[64:65] op_sel:[0,0,1] op_sel_hi:[1,1,0] neg_lo:[0,0,1] neg_hi:[0,0,1]
	v_pk_fma_f32 v[64:65], v[68:69], v[98:99], v[64:65] op_sel:[0,0,1] op_sel_hi:[1,0,0]
	v_pk_add_f32 v[62:63], v[62:63], v[82:83]
	s_waitcnt vmcnt(9)
	v_mov_b32_e32 v64, v105
	v_pk_add_f32 v[62:63], v[62:63], v[80:81]
	v_mov_b32_e32 v67, v65
	v_pk_mul_f32 v[64:65], v[70:71], v[64:65] op_sel_hi:[1,0]
	v_pk_add_f32 v[62:63], v[62:63], v[66:67]
	s_waitcnt vmcnt(2)
	v_pk_fma_f32 v[66:67], v[70:71], v[104:105], v[64:65] op_sel:[0,0,1] op_sel_hi:[1,1,0] neg_lo:[0,0,1] neg_hi:[0,0,1]
	v_pk_fma_f32 v[64:65], v[70:71], v[104:105], v[64:65] op_sel:[0,0,1] op_sel_hi:[1,0,0]
	v_mov_b32_e32 v64, v111
	v_mov_b32_e32 v67, v65
	s_waitcnt lgkmcnt(1)
	v_pk_mul_f32 v[64:65], v[72:73], v[64:65] op_sel_hi:[1,0]
	v_pk_add_f32 v[62:63], v[62:63], v[66:67]
	v_pk_fma_f32 v[66:67], v[72:73], v[110:111], v[64:65] op_sel:[0,0,1] op_sel_hi:[1,1,0] neg_lo:[0,0,1] neg_hi:[0,0,1]
	v_pk_fma_f32 v[64:65], v[72:73], v[110:111], v[64:65] op_sel:[0,0,1] op_sel_hi:[1,0,0]
	v_mov_b32_e32 v64, v109
	v_mov_b32_e32 v67, v65
	v_pk_mul_f32 v[64:65], v[74:75], v[64:65] op_sel_hi:[1,0]
	v_pk_add_f32 v[62:63], v[62:63], v[66:67]
	v_pk_fma_f32 v[66:67], v[74:75], v[108:109], v[64:65] op_sel:[0,0,1] op_sel_hi:[1,1,0] neg_lo:[0,0,1] neg_hi:[0,0,1]
	v_pk_fma_f32 v[64:65], v[74:75], v[108:109], v[64:65] op_sel:[0,0,1] op_sel_hi:[1,0,0]
	v_mov_b32_e32 v64, v107
	v_mov_b32_e32 v67, v65
	s_waitcnt lgkmcnt(0)
	v_pk_mul_f32 v[64:65], v[76:77], v[64:65] op_sel_hi:[1,0]
	v_pk_add_f32 v[62:63], v[62:63], v[66:67]
	v_pk_fma_f32 v[66:67], v[76:77], v[106:107], v[64:65] op_sel:[0,0,1] op_sel_hi:[1,1,0] neg_lo:[0,0,1] neg_hi:[0,0,1]
	v_pk_fma_f32 v[64:65], v[76:77], v[106:107], v[64:65] op_sel:[0,0,1] op_sel_hi:[1,0,0]
	s_waitcnt vmcnt(1)
	v_mov_b32_e32 v64, v119
	v_mov_b32_e32 v67, v65
	v_pk_mul_f32 v[64:65], v[78:79], v[64:65] op_sel_hi:[1,0]
	v_pk_add_f32 v[62:63], v[62:63], v[66:67]
	s_waitcnt vmcnt(0)
	v_pk_fma_f32 v[66:67], v[78:79], v[118:119], v[64:65] op_sel:[0,0,1] op_sel_hi:[1,1,0] neg_lo:[0,0,1] neg_hi:[0,0,1]
	v_pk_fma_f32 v[64:65], v[78:79], v[118:119], v[64:65] op_sel:[0,0,1] op_sel_hi:[1,0,0]
	v_mov_b32_e32 v67, v65
	v_pk_add_f32 v[62:63], v[62:63], v[66:67]
	v_pk_add_f32 v[62:63], v[96:97], v[62:63] neg_lo:[0,1] neg_hi:[0,1]
	buffer_store_dword v63, off, s[0:3], 0 offset:44
	buffer_store_dword v62, off, s[0:3], 0 offset:40
	s_and_saveexec_b64 s[4:5], vcc
	s_cbranch_execz .LBB29_185
; %bb.184:
	buffer_load_dword v62, off, s[0:3], 0 offset:32
	buffer_load_dword v63, off, s[0:3], 0 offset:36
	v_mov_b32_e32 v64, 0
	buffer_store_dword v64, off, s[0:3], 0 offset:32
	buffer_store_dword v64, off, s[0:3], 0 offset:36
	s_waitcnt vmcnt(2)
	ds_write_b64 v1, v[62:63]
.LBB29_185:
	s_or_b64 exec, exec, s[4:5]
	s_waitcnt lgkmcnt(0)
	; wave barrier
	s_waitcnt lgkmcnt(0)
	buffer_load_dword v65, off, s[0:3], 0 offset:44
	buffer_load_dword v118, off, s[0:3], 0 offset:52
	;; [unrolled: 1-line block ×36, first 2 shown]
	v_mov_b32_e32 v64, 0
	buffer_load_dword v107, off, s[0:3], 0 offset:188
	buffer_load_dword v106, off, s[0:3], 0 offset:184
	;; [unrolled: 1-line block ×5, first 2 shown]
	ds_read2_b64 v[66:69], v64 offset0:35 offset1:36
	ds_read2_b64 v[70:73], v64 offset0:37 offset1:38
	ds_read2_b64 v[74:77], v64 offset0:39 offset1:40
	ds_read2_b64 v[78:81], v64 offset0:41 offset1:42
	ds_read2_b64 v[82:85], v64 offset0:43 offset1:44
	ds_read2_b64 v[86:89], v64 offset0:45 offset1:46
	ds_read2_b64 v[90:93], v64 offset0:47 offset1:48
	ds_read2_b64 v[94:97], v64 offset0:49 offset1:50
	v_cmp_lt_u32_e32 vcc, 3, v0
	s_waitcnt vmcnt(40) lgkmcnt(7)
	v_mul_f32_e32 v98, v66, v65
	s_waitcnt vmcnt(39)
	v_mul_f32_e32 v99, v68, v118
	s_waitcnt vmcnt(38) lgkmcnt(6)
	v_mul_f32_e32 v100, v70, v120
	s_waitcnt vmcnt(37)
	v_mul_f32_e32 v101, v72, v122
	;; [unrolled: 4-line block ×7, first 2 shown]
	s_waitcnt vmcnt(26) lgkmcnt(0)
	v_mul_f32_e32 v119, v94, v138
	s_waitcnt vmcnt(25)
	v_fmac_f32_e32 v98, v67, v139
	s_waitcnt vmcnt(24)
	v_fmac_f32_e32 v99, v69, v140
	v_add_f32_e32 v98, 0, v98
	s_waitcnt vmcnt(23)
	v_fmac_f32_e32 v100, v71, v141
	v_add_f32_e32 v98, v98, v99
	;; [unrolled: 3-line block ×13, first 2 shown]
	v_add_f32_e32 v102, v98, v116
	buffer_load_dword v113, off, s[0:3], 0 offset:220
	buffer_load_dword v112, off, s[0:3], 0 offset:216
	;; [unrolled: 1-line block ×7, first 2 shown]
	s_waitcnt vmcnt(18)
	v_fmac_f32_e32 v119, v95, v153
	ds_read2_b64 v[98:101], v64 offset0:51 offset1:52
	v_add_f32_e32 v119, v102, v119
	ds_read2_b64 v[102:105], v64 offset0:53 offset1:54
	buffer_load_dword v125, off, s[0:3], 0 offset:236
	buffer_load_dword v124, off, s[0:3], 0 offset:232
	buffer_load_dword v127, off, s[0:3], 0 offset:228
	buffer_load_dword v126, off, s[0:3], 0 offset:224
	v_mul_f32_e32 v65, v67, v65
	v_fma_f32 v65, v66, v139, -v65
	v_mul_f32_e32 v66, v69, v118
	v_add_f32_e32 v65, 0, v65
	v_fma_f32 v66, v68, v140, -v66
	v_add_f32_e32 v65, v65, v66
	v_mul_f32_e32 v66, v71, v120
	v_fma_f32 v66, v70, v141, -v66
	v_add_f32_e32 v65, v65, v66
	v_mul_f32_e32 v66, v73, v122
	;; [unrolled: 3-line block ×13, first 2 shown]
	v_fma_f32 v66, v94, v153, -v66
	s_waitcnt vmcnt(13)
	v_mov_b32_e32 v78, v109
	v_mul_f32_e32 v121, v96, v154
	v_add_f32_e32 v118, v65, v66
	v_mul_f32_e32 v65, v97, v154
	s_waitcnt lgkmcnt(1)
	v_pk_mul_f32 v[78:79], v[100:101], v[78:79] op_sel_hi:[1,0]
	v_fmac_f32_e32 v121, v97, v155
	v_mul_f32_e32 v123, v98, v156
	v_fma_f32 v120, v96, v155, -v65
	v_mul_f32_e32 v65, v99, v156
	s_waitcnt vmcnt(12)
	v_pk_fma_f32 v[80:81], v[100:101], v[108:109], v[78:79] op_sel:[0,0,1] op_sel_hi:[1,1,0] neg_lo:[0,0,1] neg_hi:[0,0,1]
	v_pk_fma_f32 v[78:79], v[100:101], v[108:109], v[78:79] op_sel:[0,0,1] op_sel_hi:[1,0,0]
	v_fmac_f32_e32 v123, v99, v157
	v_fma_f32 v122, v98, v157, -v65
	v_pk_add_f32 v[76:77], v[118:119], v[120:121]
	v_mov_b32_e32 v78, v107
	v_pk_add_f32 v[76:77], v[76:77], v[122:123]
	v_mov_b32_e32 v81, v79
	s_waitcnt lgkmcnt(0)
	v_pk_mul_f32 v[78:79], v[102:103], v[78:79] op_sel_hi:[1,0]
	v_pk_add_f32 v[76:77], v[76:77], v[80:81]
	v_pk_fma_f32 v[80:81], v[102:103], v[106:107], v[78:79] op_sel:[0,0,1] op_sel_hi:[1,1,0] neg_lo:[0,0,1] neg_hi:[0,0,1]
	v_pk_fma_f32 v[78:79], v[102:103], v[106:107], v[78:79] op_sel:[0,0,1] op_sel_hi:[1,0,0]
	s_waitcnt vmcnt(11)
	v_mov_b32_e32 v78, v111
	ds_read2_b64 v[66:69], v64 offset0:55 offset1:56
	ds_read2_b64 v[70:73], v64 offset0:57 offset1:58
	ds_read_b64 v[74:75], v64 offset:472
	v_mov_b32_e32 v81, v79
	v_pk_mul_f32 v[78:79], v[104:105], v[78:79] op_sel_hi:[1,0]
	v_pk_add_f32 v[76:77], v[76:77], v[80:81]
	s_waitcnt vmcnt(4)
	v_pk_fma_f32 v[80:81], v[104:105], v[110:111], v[78:79] op_sel:[0,0,1] op_sel_hi:[1,1,0] neg_lo:[0,0,1] neg_hi:[0,0,1]
	v_pk_fma_f32 v[78:79], v[104:105], v[110:111], v[78:79] op_sel:[0,0,1] op_sel_hi:[1,0,0]
	v_mov_b32_e32 v78, v117
	v_mov_b32_e32 v81, v79
	s_waitcnt lgkmcnt(2)
	v_pk_mul_f32 v[78:79], v[66:67], v[78:79] op_sel_hi:[1,0]
	v_pk_add_f32 v[76:77], v[76:77], v[80:81]
	v_pk_fma_f32 v[80:81], v[66:67], v[116:117], v[78:79] op_sel:[0,0,1] op_sel_hi:[1,1,0] neg_lo:[0,0,1] neg_hi:[0,0,1]
	v_pk_fma_f32 v[66:67], v[66:67], v[116:117], v[78:79] op_sel:[0,0,1] op_sel_hi:[1,0,0]
	v_mov_b32_e32 v81, v67
	v_pk_add_f32 v[66:67], v[76:77], v[80:81]
	v_mov_b32_e32 v76, v115
	v_pk_mul_f32 v[76:77], v[68:69], v[76:77] op_sel_hi:[1,0]
	v_pk_fma_f32 v[78:79], v[68:69], v[114:115], v[76:77] op_sel:[0,0,1] op_sel_hi:[1,1,0] neg_lo:[0,0,1] neg_hi:[0,0,1]
	v_pk_fma_f32 v[68:69], v[68:69], v[114:115], v[76:77] op_sel:[0,0,1] op_sel_hi:[1,0,0]
	v_mov_b32_e32 v68, v113
	v_mov_b32_e32 v79, v69
	s_waitcnt lgkmcnt(1)
	v_pk_mul_f32 v[68:69], v[70:71], v[68:69] op_sel_hi:[1,0]
	v_pk_fma_f32 v[76:77], v[70:71], v[112:113], v[68:69] op_sel:[0,0,1] op_sel_hi:[1,1,0] neg_lo:[0,0,1] neg_hi:[0,0,1]
	v_pk_fma_f32 v[68:69], v[70:71], v[112:113], v[68:69] op_sel:[0,0,1] op_sel_hi:[1,0,0]
	s_waitcnt vmcnt(1)
	v_mov_b32_e32 v68, v127
	v_mov_b32_e32 v77, v69
	v_pk_mul_f32 v[68:69], v[72:73], v[68:69] op_sel_hi:[1,0]
	s_waitcnt vmcnt(0)
	v_pk_fma_f32 v[70:71], v[72:73], v[126:127], v[68:69] op_sel:[0,0,1] op_sel_hi:[1,1,0] neg_lo:[0,0,1] neg_hi:[0,0,1]
	v_pk_fma_f32 v[68:69], v[72:73], v[126:127], v[68:69] op_sel:[0,0,1] op_sel_hi:[1,0,0]
	v_pk_add_f32 v[66:67], v[66:67], v[78:79]
	v_mov_b32_e32 v68, v125
	v_pk_add_f32 v[66:67], v[66:67], v[76:77]
	v_mov_b32_e32 v71, v69
	s_waitcnt lgkmcnt(0)
	v_pk_mul_f32 v[68:69], v[74:75], v[68:69] op_sel_hi:[1,0]
	v_pk_add_f32 v[66:67], v[66:67], v[70:71]
	v_pk_fma_f32 v[70:71], v[74:75], v[124:125], v[68:69] op_sel:[0,0,1] op_sel_hi:[1,1,0] neg_lo:[0,0,1] neg_hi:[0,0,1]
	v_pk_fma_f32 v[68:69], v[74:75], v[124:125], v[68:69] op_sel:[0,0,1] op_sel_hi:[1,0,0]
	v_mov_b32_e32 v71, v69
	v_pk_add_f32 v[66:67], v[66:67], v[70:71]
	v_pk_add_f32 v[62:63], v[62:63], v[66:67] neg_lo:[0,1] neg_hi:[0,1]
	buffer_store_dword v63, off, s[0:3], 0 offset:36
	buffer_store_dword v62, off, s[0:3], 0 offset:32
	s_and_saveexec_b64 s[4:5], vcc
	s_cbranch_execz .LBB29_187
; %bb.186:
	buffer_load_dword v62, off, s[0:3], 0 offset:24
	buffer_load_dword v63, off, s[0:3], 0 offset:28
	s_waitcnt vmcnt(0)
	ds_write_b64 v1, v[62:63]
	buffer_store_dword v64, off, s[0:3], 0 offset:24
	buffer_store_dword v64, off, s[0:3], 0 offset:28
.LBB29_187:
	s_or_b64 exec, exec, s[4:5]
	s_waitcnt lgkmcnt(0)
	; wave barrier
	s_waitcnt lgkmcnt(0)
	buffer_load_dword v62, off, s[0:3], 0 offset:36
	buffer_load_dword v63, off, s[0:3], 0 offset:44
	;; [unrolled: 1-line block ×38, first 2 shown]
	ds_read_b128 v[66:69], v64 offset:272
	ds_read_b128 v[70:73], v64 offset:288
	;; [unrolled: 1-line block ×8, first 2 shown]
	buffer_load_dword v109, off, s[0:3], 0 offset:180
	buffer_load_dword v108, off, s[0:3], 0 offset:176
	;; [unrolled: 1-line block ×4, first 2 shown]
	v_cmp_lt_u32_e32 vcc, 2, v0
	s_waitcnt vmcnt(41) lgkmcnt(7)
	v_mul_f32_e32 v98, v66, v62
	s_waitcnt vmcnt(40)
	v_mul_f32_e32 v99, v68, v63
	s_waitcnt vmcnt(39) lgkmcnt(6)
	v_mul_f32_e32 v100, v70, v65
	s_waitcnt vmcnt(38)
	v_mul_f32_e32 v101, v72, v118
	;; [unrolled: 4-line block ×7, first 2 shown]
	s_waitcnt vmcnt(27) lgkmcnt(0)
	v_mul_f32_e32 v119, v94, v138
	s_waitcnt vmcnt(26)
	v_fmac_f32_e32 v98, v67, v139
	s_waitcnt vmcnt(25)
	v_fmac_f32_e32 v99, v69, v140
	v_add_f32_e32 v98, 0, v98
	s_waitcnt vmcnt(24)
	v_fmac_f32_e32 v100, v71, v141
	v_add_f32_e32 v98, v98, v99
	;; [unrolled: 3-line block ×13, first 2 shown]
	v_add_f32_e32 v98, v98, v117
	buffer_load_dword v113, off, s[0:3], 0 offset:204
	buffer_load_dword v112, off, s[0:3], 0 offset:200
	;; [unrolled: 1-line block ×6, first 2 shown]
	s_waitcnt vmcnt(18)
	v_fmac_f32_e32 v119, v95, v153
	s_waitcnt vmcnt(17)
	v_mul_f32_e32 v103, v96, v154
	v_add_f32_e32 v102, v98, v119
	s_waitcnt vmcnt(16)
	v_fmac_f32_e32 v103, v97, v155
	ds_read_b128 v[98:101], v64 offset:400
	v_add_f32_e32 v119, v102, v103
	ds_read_b128 v[102:105], v64 offset:416
	buffer_load_dword v125, off, s[0:3], 0 offset:236
	buffer_load_dword v124, off, s[0:3], 0 offset:232
	;; [unrolled: 1-line block ×6, first 2 shown]
	v_mul_f32_e32 v62, v67, v62
	v_fma_f32 v62, v66, v139, -v62
	v_mul_f32_e32 v63, v69, v63
	v_add_f32_e32 v62, 0, v62
	v_fma_f32 v63, v68, v140, -v63
	v_add_f32_e32 v62, v62, v63
	v_mul_f32_e32 v63, v71, v65
	v_fma_f32 v63, v70, v141, -v63
	v_add_f32_e32 v62, v62, v63
	v_mul_f32_e32 v63, v73, v118
	;; [unrolled: 3-line block ×14, first 2 shown]
	v_fma_f32 v63, v96, v155, -v63
	s_waitcnt vmcnt(15)
	v_mov_b32_e32 v76, v109
	s_waitcnt lgkmcnt(1)
	v_mul_f32_e32 v121, v98, v156
	v_add_f32_e32 v118, v62, v63
	v_mul_f32_e32 v62, v99, v156
	s_waitcnt lgkmcnt(0)
	v_pk_mul_f32 v[76:77], v[102:103], v[76:77] op_sel_hi:[1,0]
	v_fmac_f32_e32 v121, v99, v157
	v_mul_f32_e32 v123, v100, v158
	v_fma_f32 v120, v98, v157, -v62
	v_mul_f32_e32 v62, v101, v158
	s_waitcnt vmcnt(14)
	v_pk_fma_f32 v[78:79], v[102:103], v[108:109], v[76:77] op_sel:[0,0,1] op_sel_hi:[1,1,0] neg_lo:[0,0,1] neg_hi:[0,0,1]
	v_pk_fma_f32 v[76:77], v[102:103], v[108:109], v[76:77] op_sel:[0,0,1] op_sel_hi:[1,0,0]
	v_fmac_f32_e32 v123, v101, v159
	v_fma_f32 v122, v100, v159, -v62
	v_pk_add_f32 v[74:75], v[118:119], v[120:121]
	ds_read_b128 v[66:69], v64 offset:432
	ds_read_b128 v[70:73], v64 offset:448
	;; [unrolled: 1-line block ×3, first 2 shown]
	v_pk_add_f32 v[74:75], v[74:75], v[122:123]
	v_mov_b32_e32 v79, v77
	v_pk_add_f32 v[74:75], v[74:75], v[78:79]
	s_waitcnt vmcnt(7)
	v_mov_b32_e32 v76, v117
	v_pk_mul_f32 v[76:77], v[104:105], v[76:77] op_sel_hi:[1,0]
	s_waitcnt vmcnt(6)
	v_pk_fma_f32 v[78:79], v[104:105], v[116:117], v[76:77] op_sel:[0,0,1] op_sel_hi:[1,1,0] neg_lo:[0,0,1] neg_hi:[0,0,1]
	v_pk_fma_f32 v[76:77], v[104:105], v[116:117], v[76:77] op_sel:[0,0,1] op_sel_hi:[1,0,0]
	v_mov_b32_e32 v76, v115
	v_mov_b32_e32 v79, v77
	s_waitcnt lgkmcnt(2)
	v_pk_mul_f32 v[76:77], v[66:67], v[76:77] op_sel_hi:[1,0]
	v_pk_add_f32 v[74:75], v[74:75], v[78:79]
	v_pk_fma_f32 v[78:79], v[66:67], v[114:115], v[76:77] op_sel:[0,0,1] op_sel_hi:[1,1,0] neg_lo:[0,0,1] neg_hi:[0,0,1]
	v_pk_fma_f32 v[66:67], v[66:67], v[114:115], v[76:77] op_sel:[0,0,1] op_sel_hi:[1,0,0]
	v_mov_b32_e32 v79, v67
	v_pk_add_f32 v[66:67], v[74:75], v[78:79]
	v_mov_b32_e32 v74, v113
	v_pk_mul_f32 v[74:75], v[68:69], v[74:75] op_sel_hi:[1,0]
	v_pk_fma_f32 v[76:77], v[68:69], v[112:113], v[74:75] op_sel:[0,0,1] op_sel_hi:[1,1,0] neg_lo:[0,0,1] neg_hi:[0,0,1]
	v_pk_fma_f32 v[68:69], v[68:69], v[112:113], v[74:75] op_sel:[0,0,1] op_sel_hi:[1,0,0]
	v_mov_b32_e32 v68, v111
	v_mov_b32_e32 v77, v69
	s_waitcnt lgkmcnt(1)
	v_pk_mul_f32 v[68:69], v[70:71], v[68:69] op_sel_hi:[1,0]
	v_pk_fma_f32 v[74:75], v[70:71], v[110:111], v[68:69] op_sel:[0,0,1] op_sel_hi:[1,1,0] neg_lo:[0,0,1] neg_hi:[0,0,1]
	v_pk_fma_f32 v[68:69], v[70:71], v[110:111], v[68:69] op_sel:[0,0,1] op_sel_hi:[1,0,0]
	s_waitcnt vmcnt(1)
	v_mov_b32_e32 v68, v129
	v_mov_b32_e32 v75, v69
	v_pk_mul_f32 v[68:69], v[72:73], v[68:69] op_sel_hi:[1,0]
	s_waitcnt vmcnt(0)
	v_pk_fma_f32 v[70:71], v[72:73], v[128:129], v[68:69] op_sel:[0,0,1] op_sel_hi:[1,1,0] neg_lo:[0,0,1] neg_hi:[0,0,1]
	v_pk_fma_f32 v[68:69], v[72:73], v[128:129], v[68:69] op_sel:[0,0,1] op_sel_hi:[1,0,0]
	v_pk_add_f32 v[66:67], v[66:67], v[76:77]
	v_mov_b32_e32 v68, v127
	v_pk_add_f32 v[66:67], v[66:67], v[74:75]
	v_mov_b32_e32 v71, v69
	s_waitcnt lgkmcnt(0)
	v_pk_mul_f32 v[68:69], v[62:63], v[68:69] op_sel_hi:[1,0]
	v_pk_add_f32 v[66:67], v[66:67], v[70:71]
	v_pk_fma_f32 v[70:71], v[62:63], v[126:127], v[68:69] op_sel:[0,0,1] op_sel_hi:[1,1,0] neg_lo:[0,0,1] neg_hi:[0,0,1]
	v_pk_fma_f32 v[62:63], v[62:63], v[126:127], v[68:69] op_sel:[0,0,1] op_sel_hi:[1,0,0]
	v_mov_b32_e32 v71, v63
	v_pk_add_f32 v[62:63], v[66:67], v[70:71]
	v_mov_b32_e32 v66, v125
	v_pk_mul_f32 v[66:67], v[64:65], v[66:67] op_sel_hi:[1,0]
	v_pk_fma_f32 v[68:69], v[64:65], v[124:125], v[66:67] op_sel:[0,0,1] op_sel_hi:[1,1,0] neg_lo:[0,0,1] neg_hi:[0,0,1]
	v_pk_fma_f32 v[64:65], v[64:65], v[124:125], v[66:67] op_sel:[0,0,1] op_sel_hi:[1,0,0]
	v_mov_b32_e32 v69, v65
	v_pk_add_f32 v[62:63], v[62:63], v[68:69]
	v_pk_add_f32 v[62:63], v[106:107], v[62:63] neg_lo:[0,1] neg_hi:[0,1]
	buffer_store_dword v63, off, s[0:3], 0 offset:28
	buffer_store_dword v62, off, s[0:3], 0 offset:24
	s_and_saveexec_b64 s[4:5], vcc
	s_cbranch_execz .LBB29_189
; %bb.188:
	buffer_load_dword v62, off, s[0:3], 0 offset:16
	buffer_load_dword v63, off, s[0:3], 0 offset:20
	v_mov_b32_e32 v64, 0
	buffer_store_dword v64, off, s[0:3], 0 offset:16
	buffer_store_dword v64, off, s[0:3], 0 offset:20
	s_waitcnt vmcnt(2)
	ds_write_b64 v1, v[62:63]
.LBB29_189:
	s_or_b64 exec, exec, s[4:5]
	s_waitcnt lgkmcnt(0)
	; wave barrier
	s_waitcnt lgkmcnt(0)
	buffer_load_dword v65, off, s[0:3], 0 offset:28
	buffer_load_dword v114, off, s[0:3], 0 offset:36
	;; [unrolled: 1-line block ×40, first 2 shown]
	v_mov_b32_e32 v64, 0
	ds_read2_b64 v[66:69], v64 offset0:33 offset1:34
	ds_read2_b64 v[70:73], v64 offset0:35 offset1:36
	;; [unrolled: 1-line block ×8, first 2 shown]
	v_cmp_lt_u32_e32 vcc, 1, v0
	s_waitcnt vmcnt(39) lgkmcnt(7)
	v_mul_f32_e32 v98, v66, v65
	s_waitcnt vmcnt(38)
	v_mul_f32_e32 v99, v68, v114
	s_waitcnt vmcnt(37) lgkmcnt(6)
	v_mul_f32_e32 v100, v70, v116
	s_waitcnt vmcnt(36)
	v_mul_f32_e32 v101, v72, v118
	;; [unrolled: 4-line block ×8, first 2 shown]
	s_waitcnt vmcnt(23)
	v_fmac_f32_e32 v98, v67, v140
	s_waitcnt vmcnt(22)
	v_fmac_f32_e32 v99, v69, v141
	v_add_f32_e32 v98, 0, v98
	s_waitcnt vmcnt(21)
	v_fmac_f32_e32 v100, v71, v142
	v_add_f32_e32 v98, v98, v99
	;; [unrolled: 3-line block ×14, first 2 shown]
	v_add_f32_e32 v98, v98, v112
	s_waitcnt vmcnt(8)
	v_fmac_f32_e32 v113, v97, v155
	v_add_f32_e32 v115, v98, v113
	ds_read2_b64 v[98:101], v64 offset0:49 offset1:50
	buffer_load_dword v107, off, s[0:3], 0 offset:180
	buffer_load_dword v109, off, s[0:3], 0 offset:204
	;; [unrolled: 1-line block ×8, first 2 shown]
	ds_read2_b64 v[102:105], v64 offset0:51 offset1:52
	buffer_load_dword v121, off, s[0:3], 0 offset:236
	buffer_load_dword v120, off, s[0:3], 0 offset:232
	;; [unrolled: 1-line block ×8, first 2 shown]
	v_mul_f32_e32 v65, v67, v65
	v_fma_f32 v65, v66, v140, -v65
	v_mul_f32_e32 v66, v69, v114
	v_add_f32_e32 v65, 0, v65
	v_fma_f32 v66, v68, v141, -v66
	v_add_f32_e32 v65, v65, v66
	v_mul_f32_e32 v66, v71, v116
	v_fma_f32 v66, v70, v142, -v66
	v_add_f32_e32 v65, v65, v66
	v_mul_f32_e32 v66, v73, v118
	;; [unrolled: 3-line block ×14, first 2 shown]
	v_fma_f32 v66, v96, v155, -v66
	s_waitcnt vmcnt(23) lgkmcnt(1)
	v_mul_f32_e32 v117, v98, v156
	v_add_f32_e32 v65, v65, v66
	v_mul_f32_e32 v66, v99, v156
	s_waitcnt vmcnt(22)
	v_fmac_f32_e32 v117, v99, v157
	v_fma_f32 v66, v98, v157, -v66
	v_add_f32_e32 v115, v115, v117
	s_waitcnt vmcnt(21)
	v_mul_f32_e32 v117, v100, v158
	v_add_f32_e32 v114, v65, v66
	v_mul_f32_e32 v65, v101, v158
	s_waitcnt vmcnt(20)
	v_fmac_f32_e32 v117, v101, v159
	s_waitcnt vmcnt(19) lgkmcnt(0)
	v_mul_f32_e32 v119, v102, v160
	v_fma_f32 v116, v100, v159, -v65
	v_mul_f32_e32 v65, v103, v160
	ds_read2_b64 v[66:69], v64 offset0:53 offset1:54
	ds_read2_b64 v[70:73], v64 offset0:55 offset1:56
	;; [unrolled: 1-line block ×3, first 2 shown]
	ds_read_b64 v[78:79], v64 offset:472
	s_waitcnt vmcnt(18)
	v_fmac_f32_e32 v119, v103, v161
	v_fma_f32 v118, v102, v161, -v65
	v_pk_add_f32 v[80:81], v[114:115], v[116:117]
	v_pk_add_f32 v[80:81], v[80:81], v[118:119]
	s_waitcnt vmcnt(15)
	v_mov_b32_e32 v82, v107
	v_pk_mul_f32 v[82:83], v[104:105], v[82:83] op_sel_hi:[1,0]
	s_waitcnt vmcnt(8)
	v_pk_fma_f32 v[84:85], v[104:105], v[106:107], v[82:83] op_sel:[0,0,1] op_sel_hi:[1,1,0] neg_lo:[0,0,1] neg_hi:[0,0,1]
	v_pk_fma_f32 v[82:83], v[104:105], v[106:107], v[82:83] op_sel:[0,0,1] op_sel_hi:[1,0,0]
	v_mov_b32_e32 v82, v113
	v_mov_b32_e32 v85, v83
	s_waitcnt lgkmcnt(3)
	v_pk_mul_f32 v[82:83], v[66:67], v[82:83] op_sel_hi:[1,0]
	v_pk_add_f32 v[80:81], v[80:81], v[84:85]
	v_pk_fma_f32 v[84:85], v[66:67], v[112:113], v[82:83] op_sel:[0,0,1] op_sel_hi:[1,1,0] neg_lo:[0,0,1] neg_hi:[0,0,1]
	v_pk_fma_f32 v[66:67], v[66:67], v[112:113], v[82:83] op_sel:[0,0,1] op_sel_hi:[1,0,0]
	v_mov_b32_e32 v85, v67
	v_pk_add_f32 v[66:67], v[80:81], v[84:85]
	v_mov_b32_e32 v80, v111
	v_pk_mul_f32 v[80:81], v[68:69], v[80:81] op_sel_hi:[1,0]
	v_pk_fma_f32 v[82:83], v[68:69], v[110:111], v[80:81] op_sel:[0,0,1] op_sel_hi:[1,1,0] neg_lo:[0,0,1] neg_hi:[0,0,1]
	v_pk_fma_f32 v[68:69], v[68:69], v[110:111], v[80:81] op_sel:[0,0,1] op_sel_hi:[1,0,0]
	v_mov_b32_e32 v68, v109
	v_mov_b32_e32 v83, v69
	s_waitcnt lgkmcnt(2)
	v_pk_mul_f32 v[68:69], v[70:71], v[68:69] op_sel_hi:[1,0]
	v_pk_fma_f32 v[80:81], v[70:71], v[108:109], v[68:69] op_sel:[0,0,1] op_sel_hi:[1,1,0] neg_lo:[0,0,1] neg_hi:[0,0,1]
	v_pk_fma_f32 v[68:69], v[70:71], v[108:109], v[68:69] op_sel:[0,0,1] op_sel_hi:[1,0,0]
	s_waitcnt vmcnt(1)
	v_mov_b32_e32 v68, v127
	v_mov_b32_e32 v81, v69
	v_pk_mul_f32 v[68:69], v[72:73], v[68:69] op_sel_hi:[1,0]
	s_waitcnt vmcnt(0)
	v_pk_fma_f32 v[70:71], v[72:73], v[126:127], v[68:69] op_sel:[0,0,1] op_sel_hi:[1,1,0] neg_lo:[0,0,1] neg_hi:[0,0,1]
	v_pk_fma_f32 v[68:69], v[72:73], v[126:127], v[68:69] op_sel:[0,0,1] op_sel_hi:[1,0,0]
	v_pk_add_f32 v[66:67], v[66:67], v[82:83]
	v_mov_b32_e32 v68, v125
	v_pk_add_f32 v[66:67], v[66:67], v[80:81]
	v_mov_b32_e32 v71, v69
	s_waitcnt lgkmcnt(1)
	v_pk_mul_f32 v[68:69], v[74:75], v[68:69] op_sel_hi:[1,0]
	v_pk_add_f32 v[66:67], v[66:67], v[70:71]
	v_pk_fma_f32 v[70:71], v[74:75], v[124:125], v[68:69] op_sel:[0,0,1] op_sel_hi:[1,1,0] neg_lo:[0,0,1] neg_hi:[0,0,1]
	v_pk_fma_f32 v[68:69], v[74:75], v[124:125], v[68:69] op_sel:[0,0,1] op_sel_hi:[1,0,0]
	v_mov_b32_e32 v68, v123
	v_mov_b32_e32 v71, v69
	v_pk_mul_f32 v[68:69], v[76:77], v[68:69] op_sel_hi:[1,0]
	v_pk_add_f32 v[66:67], v[66:67], v[70:71]
	v_pk_fma_f32 v[70:71], v[76:77], v[122:123], v[68:69] op_sel:[0,0,1] op_sel_hi:[1,1,0] neg_lo:[0,0,1] neg_hi:[0,0,1]
	v_pk_fma_f32 v[68:69], v[76:77], v[122:123], v[68:69] op_sel:[0,0,1] op_sel_hi:[1,0,0]
	v_mov_b32_e32 v68, v121
	v_mov_b32_e32 v71, v69
	s_waitcnt lgkmcnt(0)
	v_pk_mul_f32 v[68:69], v[78:79], v[68:69] op_sel_hi:[1,0]
	v_pk_add_f32 v[66:67], v[66:67], v[70:71]
	v_pk_fma_f32 v[70:71], v[78:79], v[120:121], v[68:69] op_sel:[0,0,1] op_sel_hi:[1,1,0] neg_lo:[0,0,1] neg_hi:[0,0,1]
	v_pk_fma_f32 v[68:69], v[78:79], v[120:121], v[68:69] op_sel:[0,0,1] op_sel_hi:[1,0,0]
	v_mov_b32_e32 v71, v69
	v_pk_add_f32 v[66:67], v[66:67], v[70:71]
	v_pk_add_f32 v[62:63], v[62:63], v[66:67] neg_lo:[0,1] neg_hi:[0,1]
	buffer_store_dword v63, off, s[0:3], 0 offset:20
	buffer_store_dword v62, off, s[0:3], 0 offset:16
	s_and_saveexec_b64 s[4:5], vcc
	s_cbranch_execz .LBB29_191
; %bb.190:
	buffer_load_dword v62, off, s[0:3], 0 offset:8
	buffer_load_dword v63, off, s[0:3], 0 offset:12
	s_waitcnt vmcnt(0)
	ds_write_b64 v1, v[62:63]
	buffer_store_dword v64, off, s[0:3], 0 offset:8
	buffer_store_dword v64, off, s[0:3], 0 offset:12
.LBB29_191:
	s_or_b64 exec, exec, s[4:5]
	s_waitcnt lgkmcnt(0)
	; wave barrier
	s_waitcnt lgkmcnt(0)
	buffer_load_dword v65, off, s[0:3], 0 offset:20
	buffer_load_dword v106, off, s[0:3], 0 offset:28
	;; [unrolled: 1-line block ×42, first 2 shown]
	ds_read_b128 v[66:69], v64 offset:256
	ds_read_b128 v[70:73], v64 offset:272
	;; [unrolled: 1-line block ×8, first 2 shown]
	v_cmp_ne_u32_e32 vcc, 0, v0
	s_waitcnt vmcnt(41) lgkmcnt(7)
	v_mul_f32_e32 v98, v66, v65
	s_waitcnt vmcnt(40)
	v_mul_f32_e32 v99, v68, v106
	s_waitcnt vmcnt(39) lgkmcnt(6)
	v_mul_f32_e32 v100, v70, v108
	s_waitcnt vmcnt(38)
	v_mul_f32_e32 v101, v72, v116
	;; [unrolled: 4-line block ×7, first 2 shown]
	s_waitcnt vmcnt(27) lgkmcnt(0)
	v_mul_f32_e32 v114, v94, v138
	s_waitcnt vmcnt(26)
	v_fmac_f32_e32 v98, v67, v139
	s_waitcnt vmcnt(25)
	v_fmac_f32_e32 v99, v69, v140
	v_add_f32_e32 v98, 0, v98
	s_waitcnt vmcnt(24)
	v_fmac_f32_e32 v100, v71, v141
	v_add_f32_e32 v98, v98, v99
	;; [unrolled: 3-line block ×14, first 2 shown]
	s_waitcnt vmcnt(11)
	v_mul_f32_e32 v103, v96, v154
	v_add_f32_e32 v102, v98, v114
	s_waitcnt vmcnt(10)
	v_fmac_f32_e32 v103, v97, v155
	ds_read_b128 v[98:101], v64 offset:384
	v_add_f32_e32 v107, v102, v103
	ds_read_b128 v[102:105], v64 offset:400
	buffer_load_dword v111, off, s[0:3], 0 offset:180
	buffer_load_dword v113, off, s[0:3], 0 offset:196
	;; [unrolled: 1-line block ×16, first 2 shown]
	v_mul_f32_e32 v65, v67, v65
	v_fma_f32 v65, v66, v139, -v65
	v_mul_f32_e32 v66, v69, v106
	v_add_f32_e32 v65, 0, v65
	v_fma_f32 v66, v68, v140, -v66
	v_add_f32_e32 v65, v65, v66
	v_mul_f32_e32 v66, v71, v108
	v_fma_f32 v66, v70, v141, -v66
	v_add_f32_e32 v65, v65, v66
	v_mul_f32_e32 v66, v73, v116
	;; [unrolled: 3-line block ×14, first 2 shown]
	v_fma_f32 v66, v96, v155, -v66
	v_add_f32_e32 v65, v65, v66
	s_waitcnt vmcnt(25) lgkmcnt(1)
	v_mul_f32_e32 v66, v99, v156
	s_waitcnt vmcnt(24)
	v_fma_f32 v66, v98, v157, -v66
	v_add_f32_e32 v65, v65, v66
	s_waitcnt vmcnt(23)
	v_mul_f32_e32 v66, v101, v158
	s_waitcnt vmcnt(22)
	v_fma_f32 v66, v100, v159, -v66
	v_add_f32_e32 v106, v65, v66
	ds_read_b128 v[66:69], v64 offset:416
	ds_read_b128 v[70:73], v64 offset:432
	;; [unrolled: 1-line block ×4, first 2 shown]
	v_mul_f32_e32 v109, v98, v156
	v_fmac_f32_e32 v109, v99, v157
	v_add_f32_e32 v107, v107, v109
	v_mul_f32_e32 v109, v100, v158
	v_fmac_f32_e32 v109, v101, v159
	v_add_f32_e32 v107, v107, v109
	s_waitcnt vmcnt(21) lgkmcnt(4)
	v_mul_f32_e32 v109, v102, v160
	v_mul_f32_e32 v65, v103, v160
	s_waitcnt vmcnt(20)
	v_fmac_f32_e32 v109, v103, v161
	s_waitcnt vmcnt(19)
	v_mul_f32_e32 v117, v104, v162
	v_fma_f32 v108, v102, v161, -v65
	v_mul_f32_e32 v65, v105, v162
	s_waitcnt vmcnt(18)
	v_fmac_f32_e32 v117, v105, v163
	v_fma_f32 v116, v104, v163, -v65
	v_pk_add_f32 v[64:65], v[106:107], v[108:109]
	v_pk_add_f32 v[64:65], v[64:65], v[116:117]
	s_waitcnt vmcnt(15)
	v_mov_b32_e32 v82, v111
	s_waitcnt lgkmcnt(3)
	v_pk_mul_f32 v[82:83], v[66:67], v[82:83] op_sel_hi:[1,0]
	s_waitcnt vmcnt(10)
	v_pk_fma_f32 v[84:85], v[66:67], v[110:111], v[82:83] op_sel:[0,0,1] op_sel_hi:[1,1,0] neg_lo:[0,0,1] neg_hi:[0,0,1]
	v_pk_fma_f32 v[66:67], v[66:67], v[110:111], v[82:83] op_sel:[0,0,1] op_sel_hi:[1,0,0]
	v_mov_b32_e32 v66, v115
	v_mov_b32_e32 v85, v67
	v_pk_mul_f32 v[66:67], v[68:69], v[66:67] op_sel_hi:[1,0]
	v_pk_fma_f32 v[82:83], v[68:69], v[114:115], v[66:67] op_sel:[0,0,1] op_sel_hi:[1,1,0] neg_lo:[0,0,1] neg_hi:[0,0,1]
	v_pk_fma_f32 v[66:67], v[68:69], v[114:115], v[66:67] op_sel:[0,0,1] op_sel_hi:[1,0,0]
	v_mov_b32_e32 v66, v113
	v_mov_b32_e32 v83, v67
	s_waitcnt lgkmcnt(2)
	v_pk_mul_f32 v[66:67], v[70:71], v[66:67] op_sel_hi:[1,0]
	v_pk_fma_f32 v[68:69], v[70:71], v[112:113], v[66:67] op_sel:[0,0,1] op_sel_hi:[1,1,0] neg_lo:[0,0,1] neg_hi:[0,0,1]
	v_pk_fma_f32 v[66:67], v[70:71], v[112:113], v[66:67] op_sel:[0,0,1] op_sel_hi:[1,0,0]
	v_pk_add_f32 v[64:65], v[64:65], v[84:85]
	s_waitcnt vmcnt(3)
	v_mov_b32_e32 v66, v125
	v_pk_add_f32 v[64:65], v[64:65], v[82:83]
	v_mov_b32_e32 v69, v67
	v_pk_mul_f32 v[66:67], v[72:73], v[66:67] op_sel_hi:[1,0]
	v_pk_add_f32 v[64:65], v[64:65], v[68:69]
	s_waitcnt vmcnt(2)
	v_pk_fma_f32 v[68:69], v[72:73], v[124:125], v[66:67] op_sel:[0,0,1] op_sel_hi:[1,1,0] neg_lo:[0,0,1] neg_hi:[0,0,1]
	v_pk_fma_f32 v[66:67], v[72:73], v[124:125], v[66:67] op_sel:[0,0,1] op_sel_hi:[1,0,0]
	v_mov_b32_e32 v66, v123
	v_mov_b32_e32 v69, v67
	s_waitcnt lgkmcnt(1)
	v_pk_mul_f32 v[66:67], v[74:75], v[66:67] op_sel_hi:[1,0]
	v_pk_add_f32 v[64:65], v[64:65], v[68:69]
	v_pk_fma_f32 v[68:69], v[74:75], v[122:123], v[66:67] op_sel:[0,0,1] op_sel_hi:[1,1,0] neg_lo:[0,0,1] neg_hi:[0,0,1]
	v_pk_fma_f32 v[66:67], v[74:75], v[122:123], v[66:67] op_sel:[0,0,1] op_sel_hi:[1,0,0]
	v_mov_b32_e32 v66, v121
	v_mov_b32_e32 v69, v67
	v_pk_mul_f32 v[66:67], v[76:77], v[66:67] op_sel_hi:[1,0]
	v_pk_add_f32 v[64:65], v[64:65], v[68:69]
	v_pk_fma_f32 v[68:69], v[76:77], v[120:121], v[66:67] op_sel:[0,0,1] op_sel_hi:[1,1,0] neg_lo:[0,0,1] neg_hi:[0,0,1]
	v_pk_fma_f32 v[66:67], v[76:77], v[120:121], v[66:67] op_sel:[0,0,1] op_sel_hi:[1,0,0]
	v_mov_b32_e32 v66, v119
	v_mov_b32_e32 v69, v67
	s_waitcnt lgkmcnt(0)
	v_pk_mul_f32 v[66:67], v[78:79], v[66:67] op_sel_hi:[1,0]
	v_pk_add_f32 v[64:65], v[64:65], v[68:69]
	v_pk_fma_f32 v[68:69], v[78:79], v[118:119], v[66:67] op_sel:[0,0,1] op_sel_hi:[1,1,0] neg_lo:[0,0,1] neg_hi:[0,0,1]
	v_pk_fma_f32 v[66:67], v[78:79], v[118:119], v[66:67] op_sel:[0,0,1] op_sel_hi:[1,0,0]
	s_waitcnt vmcnt(1)
	v_mov_b32_e32 v66, v127
	v_mov_b32_e32 v69, v67
	v_pk_mul_f32 v[66:67], v[80:81], v[66:67] op_sel_hi:[1,0]
	v_pk_add_f32 v[64:65], v[64:65], v[68:69]
	s_waitcnt vmcnt(0)
	v_pk_fma_f32 v[68:69], v[80:81], v[126:127], v[66:67] op_sel:[0,0,1] op_sel_hi:[1,1,0] neg_lo:[0,0,1] neg_hi:[0,0,1]
	v_pk_fma_f32 v[66:67], v[80:81], v[126:127], v[66:67] op_sel:[0,0,1] op_sel_hi:[1,0,0]
	v_mov_b32_e32 v69, v67
	v_pk_add_f32 v[64:65], v[64:65], v[68:69]
	v_pk_add_f32 v[62:63], v[62:63], v[64:65] neg_lo:[0,1] neg_hi:[0,1]
	buffer_store_dword v63, off, s[0:3], 0 offset:12
	buffer_store_dword v62, off, s[0:3], 0 offset:8
	s_and_saveexec_b64 s[4:5], vcc
	s_cbranch_execz .LBB29_193
; %bb.192:
	buffer_load_dword v62, off, s[0:3], 0
	buffer_load_dword v63, off, s[0:3], 0 offset:4
	v_mov_b32_e32 v0, 0
	buffer_store_dword v0, off, s[0:3], 0
	buffer_store_dword v0, off, s[0:3], 0 offset:4
	s_waitcnt vmcnt(2)
	ds_write_b64 v1, v[62:63]
.LBB29_193:
	s_or_b64 exec, exec, s[4:5]
	s_waitcnt lgkmcnt(0)
	; wave barrier
	s_waitcnt lgkmcnt(0)
	buffer_load_dword v110, off, s[0:3], 0 offset:12
	buffer_load_dword v116, off, s[0:3], 0 offset:20
	;; [unrolled: 1-line block ×42, first 2 shown]
	buffer_load_dword v0, off, s[0:3], 0
	buffer_load_dword v1, off, s[0:3], 0 offset:4
	v_mov_b32_e32 v171, 0
	ds_read2_b64 v[62:65], v171 offset0:31 offset1:32
	ds_read2_b64 v[66:69], v171 offset0:33 offset1:34
	;; [unrolled: 1-line block ×8, first 2 shown]
	s_and_b64 vcc, exec, s[20:21]
	s_waitcnt vmcnt(43) lgkmcnt(7)
	v_mul_f32_e32 v94, v62, v110
	s_waitcnt vmcnt(42)
	v_mul_f32_e32 v95, v64, v116
	s_waitcnt vmcnt(41) lgkmcnt(6)
	v_mul_f32_e32 v96, v66, v118
	s_waitcnt vmcnt(40)
	v_mul_f32_e32 v97, v68, v132
	;; [unrolled: 4-line block ×7, first 2 shown]
	s_waitcnt vmcnt(29)
	v_fmac_f32_e32 v94, v63, v143
	s_waitcnt vmcnt(28)
	v_fmac_f32_e32 v95, v65, v144
	v_add_f32_e32 v94, 0, v94
	s_waitcnt vmcnt(27)
	v_fmac_f32_e32 v96, v67, v145
	v_add_f32_e32 v94, v94, v95
	;; [unrolled: 3-line block ×12, first 2 shown]
	v_add_f32_e32 v94, v94, v106
	s_waitcnt vmcnt(16)
	v_fmac_f32_e32 v107, v89, v156
	s_waitcnt vmcnt(15) lgkmcnt(0)
	v_mul_f32_e32 v95, v90, v157
	v_add_f32_e32 v94, v94, v107
	s_waitcnt vmcnt(14)
	v_fmac_f32_e32 v95, v91, v158
	v_add_f32_e32 v98, v94, v95
	ds_read2_b64 v[94:97], v171 offset0:47 offset1:48
	s_waitcnt vmcnt(13)
	v_mul_f32_e32 v99, v92, v159
	s_waitcnt vmcnt(12)
	v_fmac_f32_e32 v99, v93, v160
	v_add_f32_e32 v102, v98, v99
	ds_read2_b64 v[98:101], v171 offset0:49 offset1:50
	s_waitcnt vmcnt(11) lgkmcnt(1)
	v_mul_f32_e32 v103, v94, v161
	s_waitcnt vmcnt(10)
	v_fmac_f32_e32 v103, v95, v162
	v_add_f32_e32 v102, v102, v103
	s_waitcnt vmcnt(9)
	v_mul_f32_e32 v103, v96, v163
	s_waitcnt vmcnt(8)
	v_fmac_f32_e32 v103, v97, v164
	v_add_f32_e32 v102, v102, v103
	s_waitcnt vmcnt(7) lgkmcnt(0)
	v_mul_f32_e32 v103, v98, v165
	s_waitcnt vmcnt(6)
	v_fmac_f32_e32 v103, v99, v166
	v_add_f32_e32 v111, v102, v103
	ds_read2_b64 v[102:105], v171 offset0:51 offset1:52
	buffer_load_dword v113, off, s[0:3], 0 offset:188
	buffer_load_dword v112, off, s[0:3], 0 offset:184
	;; [unrolled: 1-line block ×4, first 2 shown]
	ds_read2_b64 v[106:109], v171 offset0:53 offset1:54
	buffer_load_dword v121, off, s[0:3], 0 offset:220
	buffer_load_dword v120, off, s[0:3], 0 offset:216
	;; [unrolled: 1-line block ×12, first 2 shown]
	v_mul_f32_e32 v63, v63, v110
	v_fma_f32 v62, v62, v143, -v63
	v_mul_f32_e32 v63, v65, v116
	v_add_f32_e32 v62, 0, v62
	v_fma_f32 v63, v64, v144, -v63
	v_add_f32_e32 v62, v62, v63
	v_mul_f32_e32 v63, v67, v118
	v_fma_f32 v63, v66, v145, -v63
	v_add_f32_e32 v62, v62, v63
	v_mul_f32_e32 v63, v69, v132
	;; [unrolled: 3-line block ×17, first 2 shown]
	v_fma_f32 v63, v98, v166, -v63
	s_waitcnt vmcnt(21)
	v_mul_f32_e32 v117, v100, v167
	v_add_f32_e32 v110, v62, v63
	v_mul_f32_e32 v62, v101, v167
	s_waitcnt vmcnt(20)
	v_fmac_f32_e32 v117, v101, v168
	s_waitcnt vmcnt(19) lgkmcnt(1)
	v_mul_f32_e32 v119, v102, v169
	v_fma_f32 v116, v100, v168, -v62
	v_mul_f32_e32 v62, v103, v169
	s_waitcnt vmcnt(18)
	v_fmac_f32_e32 v119, v103, v170
	v_fma_f32 v118, v102, v170, -v62
	v_pk_add_f32 v[72:73], v[110:111], v[116:117]
	v_pk_add_f32 v[72:73], v[72:73], v[118:119]
	ds_read2_b64 v[62:65], v171 offset0:55 offset1:56
	ds_read2_b64 v[66:69], v171 offset0:57 offset1:58
	ds_read_b64 v[70:71], v171 offset:472
	s_waitcnt vmcnt(13)
	v_mov_b32_e32 v74, v115
	v_pk_mul_f32 v[74:75], v[104:105], v[74:75] op_sel_hi:[1,0]
	s_waitcnt vmcnt(12)
	v_pk_fma_f32 v[76:77], v[104:105], v[114:115], v[74:75] op_sel:[0,0,1] op_sel_hi:[1,1,0] neg_lo:[0,0,1] neg_hi:[0,0,1]
	v_pk_fma_f32 v[74:75], v[104:105], v[114:115], v[74:75] op_sel:[0,0,1] op_sel_hi:[1,0,0]
	v_mov_b32_e32 v74, v113
	v_mov_b32_e32 v77, v75
	s_waitcnt lgkmcnt(3)
	v_pk_mul_f32 v[74:75], v[106:107], v[74:75] op_sel_hi:[1,0]
	v_pk_add_f32 v[72:73], v[72:73], v[76:77]
	v_pk_fma_f32 v[76:77], v[106:107], v[112:113], v[74:75] op_sel:[0,0,1] op_sel_hi:[1,1,0] neg_lo:[0,0,1] neg_hi:[0,0,1]
	v_pk_fma_f32 v[74:75], v[106:107], v[112:113], v[74:75] op_sel:[0,0,1] op_sel_hi:[1,0,0]
	s_waitcnt vmcnt(5)
	v_mov_b32_e32 v74, v127
	v_mov_b32_e32 v77, v75
	v_pk_mul_f32 v[74:75], v[108:109], v[74:75] op_sel_hi:[1,0]
	v_pk_add_f32 v[72:73], v[72:73], v[76:77]
	s_waitcnt vmcnt(4)
	v_pk_fma_f32 v[76:77], v[108:109], v[126:127], v[74:75] op_sel:[0,0,1] op_sel_hi:[1,1,0] neg_lo:[0,0,1] neg_hi:[0,0,1]
	v_pk_fma_f32 v[74:75], v[108:109], v[126:127], v[74:75] op_sel:[0,0,1] op_sel_hi:[1,0,0]
	v_mov_b32_e32 v74, v125
	v_mov_b32_e32 v77, v75
	s_waitcnt lgkmcnt(2)
	v_pk_mul_f32 v[74:75], v[62:63], v[74:75] op_sel_hi:[1,0]
	v_pk_add_f32 v[72:73], v[72:73], v[76:77]
	v_pk_fma_f32 v[76:77], v[62:63], v[124:125], v[74:75] op_sel:[0,0,1] op_sel_hi:[1,1,0] neg_lo:[0,0,1] neg_hi:[0,0,1]
	v_pk_fma_f32 v[62:63], v[62:63], v[124:125], v[74:75] op_sel:[0,0,1] op_sel_hi:[1,0,0]
	v_mov_b32_e32 v77, v63
	v_pk_add_f32 v[62:63], v[72:73], v[76:77]
	v_mov_b32_e32 v72, v123
	v_pk_mul_f32 v[72:73], v[64:65], v[72:73] op_sel_hi:[1,0]
	v_pk_fma_f32 v[74:75], v[64:65], v[122:123], v[72:73] op_sel:[0,0,1] op_sel_hi:[1,1,0] neg_lo:[0,0,1] neg_hi:[0,0,1]
	v_pk_fma_f32 v[64:65], v[64:65], v[122:123], v[72:73] op_sel:[0,0,1] op_sel_hi:[1,0,0]
	v_mov_b32_e32 v64, v121
	v_mov_b32_e32 v75, v65
	s_waitcnt lgkmcnt(1)
	v_pk_mul_f32 v[64:65], v[66:67], v[64:65] op_sel_hi:[1,0]
	v_pk_fma_f32 v[72:73], v[66:67], v[120:121], v[64:65] op_sel:[0,0,1] op_sel_hi:[1,1,0] neg_lo:[0,0,1] neg_hi:[0,0,1]
	v_pk_fma_f32 v[64:65], v[66:67], v[120:121], v[64:65] op_sel:[0,0,1] op_sel_hi:[1,0,0]
	s_waitcnt vmcnt(1)
	v_mov_b32_e32 v64, v131
	v_mov_b32_e32 v73, v65
	v_pk_mul_f32 v[64:65], v[68:69], v[64:65] op_sel_hi:[1,0]
	s_waitcnt vmcnt(0)
	v_pk_fma_f32 v[66:67], v[68:69], v[130:131], v[64:65] op_sel:[0,0,1] op_sel_hi:[1,1,0] neg_lo:[0,0,1] neg_hi:[0,0,1]
	v_pk_fma_f32 v[64:65], v[68:69], v[130:131], v[64:65] op_sel:[0,0,1] op_sel_hi:[1,0,0]
	v_pk_add_f32 v[62:63], v[62:63], v[74:75]
	v_mov_b32_e32 v64, v129
	v_pk_add_f32 v[62:63], v[62:63], v[72:73]
	v_mov_b32_e32 v67, v65
	s_waitcnt lgkmcnt(0)
	v_pk_mul_f32 v[64:65], v[70:71], v[64:65] op_sel_hi:[1,0]
	v_pk_add_f32 v[62:63], v[62:63], v[66:67]
	v_pk_fma_f32 v[66:67], v[70:71], v[128:129], v[64:65] op_sel:[0,0,1] op_sel_hi:[1,1,0] neg_lo:[0,0,1] neg_hi:[0,0,1]
	v_pk_fma_f32 v[64:65], v[70:71], v[128:129], v[64:65] op_sel:[0,0,1] op_sel_hi:[1,0,0]
	v_mov_b32_e32 v67, v65
	v_pk_add_f32 v[62:63], v[62:63], v[66:67]
	v_pk_add_f32 v[0:1], v[0:1], v[62:63] neg_lo:[0,1] neg_hi:[0,1]
	buffer_store_dword v1, off, s[0:3], 0 offset:4
	buffer_store_dword v0, off, s[0:3], 0
	s_cbranch_vccz .LBB29_253
; %bb.194:
	v_pk_mov_b32 v[0:1], s[10:11], s[10:11] op_sel:[0,1]
	flat_load_dword v0, v[0:1] offset:112
	s_waitcnt vmcnt(0) lgkmcnt(0)
	v_add_u32_e32 v0, -1, v0
	v_cmp_ne_u32_e32 vcc, 28, v0
	s_and_saveexec_b64 s[4:5], vcc
	s_cbranch_execz .LBB29_196
; %bb.195:
	v_mov_b32_e32 v1, 0
	v_lshl_add_u32 v0, v0, 3, v1
	buffer_load_dword v1, v0, s[0:3], 0 offen
	buffer_load_dword v62, v0, s[0:3], 0 offen offset:4
	buffer_load_dword v63, off, s[0:3], 0 offset:228
	buffer_load_dword v64, off, s[0:3], 0 offset:224
	s_waitcnt vmcnt(3)
	buffer_store_dword v1, off, s[0:3], 0 offset:224
	s_waitcnt vmcnt(3)
	buffer_store_dword v62, off, s[0:3], 0 offset:228
	s_waitcnt vmcnt(3)
	buffer_store_dword v63, v0, s[0:3], 0 offen offset:4
	s_waitcnt vmcnt(3)
	buffer_store_dword v64, v0, s[0:3], 0 offen
.LBB29_196:
	s_or_b64 exec, exec, s[4:5]
	v_pk_mov_b32 v[0:1], s[10:11], s[10:11] op_sel:[0,1]
	flat_load_dword v0, v[0:1] offset:108
	s_waitcnt vmcnt(0) lgkmcnt(0)
	v_add_u32_e32 v0, -1, v0
	v_cmp_ne_u32_e32 vcc, 27, v0
	s_and_saveexec_b64 s[4:5], vcc
	s_cbranch_execz .LBB29_198
; %bb.197:
	v_mov_b32_e32 v1, 0
	v_lshl_add_u32 v0, v0, 3, v1
	buffer_load_dword v1, v0, s[0:3], 0 offen
	buffer_load_dword v62, v0, s[0:3], 0 offen offset:4
	buffer_load_dword v63, off, s[0:3], 0 offset:216
	buffer_load_dword v64, off, s[0:3], 0 offset:220
	s_waitcnt vmcnt(3)
	buffer_store_dword v1, off, s[0:3], 0 offset:216
	s_waitcnt vmcnt(3)
	buffer_store_dword v62, off, s[0:3], 0 offset:220
	s_waitcnt vmcnt(3)
	buffer_store_dword v63, v0, s[0:3], 0 offen
	s_waitcnt vmcnt(3)
	buffer_store_dword v64, v0, s[0:3], 0 offen offset:4
.LBB29_198:
	s_or_b64 exec, exec, s[4:5]
	v_pk_mov_b32 v[0:1], s[10:11], s[10:11] op_sel:[0,1]
	flat_load_dword v0, v[0:1] offset:104
	s_waitcnt vmcnt(0) lgkmcnt(0)
	v_add_u32_e32 v0, -1, v0
	v_cmp_ne_u32_e32 vcc, 26, v0
	s_and_saveexec_b64 s[4:5], vcc
	s_cbranch_execz .LBB29_200
; %bb.199:
	v_mov_b32_e32 v1, 0
	v_lshl_add_u32 v0, v0, 3, v1
	buffer_load_dword v1, v0, s[0:3], 0 offen
	buffer_load_dword v62, v0, s[0:3], 0 offen offset:4
	buffer_load_dword v63, off, s[0:3], 0 offset:212
	buffer_load_dword v64, off, s[0:3], 0 offset:208
	s_waitcnt vmcnt(3)
	buffer_store_dword v1, off, s[0:3], 0 offset:208
	s_waitcnt vmcnt(3)
	buffer_store_dword v62, off, s[0:3], 0 offset:212
	s_waitcnt vmcnt(3)
	buffer_store_dword v63, v0, s[0:3], 0 offen offset:4
	s_waitcnt vmcnt(3)
	buffer_store_dword v64, v0, s[0:3], 0 offen
.LBB29_200:
	s_or_b64 exec, exec, s[4:5]
	v_pk_mov_b32 v[0:1], s[10:11], s[10:11] op_sel:[0,1]
	flat_load_dword v0, v[0:1] offset:100
	s_waitcnt vmcnt(0) lgkmcnt(0)
	v_add_u32_e32 v0, -1, v0
	v_cmp_ne_u32_e32 vcc, 25, v0
	s_and_saveexec_b64 s[4:5], vcc
	s_cbranch_execz .LBB29_202
; %bb.201:
	v_mov_b32_e32 v1, 0
	v_lshl_add_u32 v0, v0, 3, v1
	buffer_load_dword v1, v0, s[0:3], 0 offen
	buffer_load_dword v62, v0, s[0:3], 0 offen offset:4
	buffer_load_dword v63, off, s[0:3], 0 offset:200
	buffer_load_dword v64, off, s[0:3], 0 offset:204
	s_waitcnt vmcnt(3)
	buffer_store_dword v1, off, s[0:3], 0 offset:200
	s_waitcnt vmcnt(3)
	buffer_store_dword v62, off, s[0:3], 0 offset:204
	s_waitcnt vmcnt(3)
	buffer_store_dword v63, v0, s[0:3], 0 offen
	s_waitcnt vmcnt(3)
	buffer_store_dword v64, v0, s[0:3], 0 offen offset:4
.LBB29_202:
	s_or_b64 exec, exec, s[4:5]
	;; [unrolled: 48-line block ×14, first 2 shown]
	v_pk_mov_b32 v[0:1], s[10:11], s[10:11] op_sel:[0,1]
	flat_load_dword v62, v[0:1]
	s_nop 0
	buffer_load_dword v0, off, s[0:3], 0
	buffer_load_dword v1, off, s[0:3], 0 offset:4
	s_waitcnt vmcnt(0) lgkmcnt(0)
	v_add_u32_e32 v62, -1, v62
	v_cmp_ne_u32_e32 vcc, 0, v62
	s_and_saveexec_b64 s[4:5], vcc
	s_cbranch_execz .LBB29_252
; %bb.251:
	v_mov_b32_e32 v63, 0
	v_lshl_add_u32 v62, v62, 3, v63
	buffer_load_dword v63, v62, s[0:3], 0 offen offset:4
	buffer_load_dword v64, v62, s[0:3], 0 offen
	s_waitcnt vmcnt(1)
	buffer_store_dword v63, off, s[0:3], 0 offset:4
	s_waitcnt vmcnt(1)
	buffer_store_dword v64, off, s[0:3], 0
	buffer_store_dword v1, v62, s[0:3], 0 offen offset:4
	buffer_store_dword v0, v62, s[0:3], 0 offen
	buffer_load_dword v0, off, s[0:3], 0
	s_nop 0
	buffer_load_dword v1, off, s[0:3], 0 offset:4
.LBB29_252:
	s_or_b64 exec, exec, s[4:5]
.LBB29_253:
	buffer_load_dword v62, off, s[0:3], 0 offset:8
	buffer_load_dword v63, off, s[0:3], 0 offset:12
	;; [unrolled: 1-line block ×58, first 2 shown]
	s_waitcnt vmcnt(58)
	global_store_dwordx2 v[52:53], v[0:1], off
	s_waitcnt vmcnt(57)
	global_store_dwordx2 v[54:55], v[62:63], off
	;; [unrolled: 2-line block ×30, first 2 shown]
	s_endpgm
	.section	.rodata,"a",@progbits
	.p2align	6, 0x0
	.amdhsa_kernel _ZN9rocsolver6v33100L18getri_kernel_smallILi30E19rocblas_complex_numIfEPS3_EEvT1_iilPiilS6_bb
		.amdhsa_group_segment_fixed_size 484
		.amdhsa_private_segment_fixed_size 256
		.amdhsa_kernarg_size 60
		.amdhsa_user_sgpr_count 8
		.amdhsa_user_sgpr_private_segment_buffer 1
		.amdhsa_user_sgpr_dispatch_ptr 0
		.amdhsa_user_sgpr_queue_ptr 0
		.amdhsa_user_sgpr_kernarg_segment_ptr 1
		.amdhsa_user_sgpr_dispatch_id 0
		.amdhsa_user_sgpr_flat_scratch_init 1
		.amdhsa_user_sgpr_kernarg_preload_length 0
		.amdhsa_user_sgpr_kernarg_preload_offset 0
		.amdhsa_user_sgpr_private_segment_size 0
		.amdhsa_uses_dynamic_stack 0
		.amdhsa_system_sgpr_private_segment_wavefront_offset 1
		.amdhsa_system_sgpr_workgroup_id_x 1
		.amdhsa_system_sgpr_workgroup_id_y 0
		.amdhsa_system_sgpr_workgroup_id_z 0
		.amdhsa_system_sgpr_workgroup_info 0
		.amdhsa_system_vgpr_workitem_id 0
		.amdhsa_next_free_vgpr 172
		.amdhsa_next_free_sgpr 23
		.amdhsa_accum_offset 172
		.amdhsa_reserve_vcc 1
		.amdhsa_reserve_flat_scratch 1
		.amdhsa_float_round_mode_32 0
		.amdhsa_float_round_mode_16_64 0
		.amdhsa_float_denorm_mode_32 3
		.amdhsa_float_denorm_mode_16_64 3
		.amdhsa_dx10_clamp 1
		.amdhsa_ieee_mode 1
		.amdhsa_fp16_overflow 0
		.amdhsa_tg_split 0
		.amdhsa_exception_fp_ieee_invalid_op 0
		.amdhsa_exception_fp_denorm_src 0
		.amdhsa_exception_fp_ieee_div_zero 0
		.amdhsa_exception_fp_ieee_overflow 0
		.amdhsa_exception_fp_ieee_underflow 0
		.amdhsa_exception_fp_ieee_inexact 0
		.amdhsa_exception_int_div_zero 0
	.end_amdhsa_kernel
	.section	.text._ZN9rocsolver6v33100L18getri_kernel_smallILi30E19rocblas_complex_numIfEPS3_EEvT1_iilPiilS6_bb,"axG",@progbits,_ZN9rocsolver6v33100L18getri_kernel_smallILi30E19rocblas_complex_numIfEPS3_EEvT1_iilPiilS6_bb,comdat
.Lfunc_end29:
	.size	_ZN9rocsolver6v33100L18getri_kernel_smallILi30E19rocblas_complex_numIfEPS3_EEvT1_iilPiilS6_bb, .Lfunc_end29-_ZN9rocsolver6v33100L18getri_kernel_smallILi30E19rocblas_complex_numIfEPS3_EEvT1_iilPiilS6_bb
                                        ; -- End function
	.section	.AMDGPU.csdata,"",@progbits
; Kernel info:
; codeLenInByte = 43484
; NumSgprs: 29
; NumVgprs: 172
; NumAgprs: 0
; TotalNumVgprs: 172
; ScratchSize: 256
; MemoryBound: 0
; FloatMode: 240
; IeeeMode: 1
; LDSByteSize: 484 bytes/workgroup (compile time only)
; SGPRBlocks: 3
; VGPRBlocks: 21
; NumSGPRsForWavesPerEU: 29
; NumVGPRsForWavesPerEU: 172
; AccumOffset: 172
; Occupancy: 2
; WaveLimiterHint : 1
; COMPUTE_PGM_RSRC2:SCRATCH_EN: 1
; COMPUTE_PGM_RSRC2:USER_SGPR: 8
; COMPUTE_PGM_RSRC2:TRAP_HANDLER: 0
; COMPUTE_PGM_RSRC2:TGID_X_EN: 1
; COMPUTE_PGM_RSRC2:TGID_Y_EN: 0
; COMPUTE_PGM_RSRC2:TGID_Z_EN: 0
; COMPUTE_PGM_RSRC2:TIDIG_COMP_CNT: 0
; COMPUTE_PGM_RSRC3_GFX90A:ACCUM_OFFSET: 42
; COMPUTE_PGM_RSRC3_GFX90A:TG_SPLIT: 0
	.section	.text._ZN9rocsolver6v33100L18getri_kernel_smallILi31E19rocblas_complex_numIfEPS3_EEvT1_iilPiilS6_bb,"axG",@progbits,_ZN9rocsolver6v33100L18getri_kernel_smallILi31E19rocblas_complex_numIfEPS3_EEvT1_iilPiilS6_bb,comdat
	.globl	_ZN9rocsolver6v33100L18getri_kernel_smallILi31E19rocblas_complex_numIfEPS3_EEvT1_iilPiilS6_bb ; -- Begin function _ZN9rocsolver6v33100L18getri_kernel_smallILi31E19rocblas_complex_numIfEPS3_EEvT1_iilPiilS6_bb
	.p2align	8
	.type	_ZN9rocsolver6v33100L18getri_kernel_smallILi31E19rocblas_complex_numIfEPS3_EEvT1_iilPiilS6_bb,@function
_ZN9rocsolver6v33100L18getri_kernel_smallILi31E19rocblas_complex_numIfEPS3_EEvT1_iilPiilS6_bb: ; @_ZN9rocsolver6v33100L18getri_kernel_smallILi31E19rocblas_complex_numIfEPS3_EEvT1_iilPiilS6_bb
; %bb.0:
	s_add_u32 flat_scratch_lo, s6, s9
	s_addc_u32 flat_scratch_hi, s7, 0
	s_add_u32 s0, s0, s9
	s_addc_u32 s1, s1, 0
	v_cmp_gt_u32_e32 vcc, 31, v0
	s_and_saveexec_b64 s[6:7], vcc
	s_cbranch_execz .LBB30_138
; %bb.1:
	s_load_dword s22, s[4:5], 0x38
	s_load_dwordx4 s[16:19], s[4:5], 0x10
	s_load_dwordx4 s[12:15], s[4:5], 0x28
                                        ; implicit-def: $sgpr10_sgpr11
	s_waitcnt lgkmcnt(0)
	s_bitcmp1_b32 s22, 8
	s_cselect_b64 s[20:21], -1, 0
	s_ashr_i32 s9, s8, 31
	s_bfe_u32 s6, s22, 0x10008
	s_cmp_eq_u32 s6, 0
	s_cbranch_scc1 .LBB30_3
; %bb.2:
	s_load_dword s6, s[4:5], 0x20
	s_mul_i32 s7, s8, s13
	s_mul_hi_u32 s10, s8, s12
	s_mul_i32 s11, s9, s12
	s_add_i32 s10, s10, s7
	s_add_i32 s11, s10, s11
	s_mul_i32 s10, s8, s12
	s_waitcnt lgkmcnt(0)
	s_ashr_i32 s7, s6, 31
	s_lshl_b64 s[10:11], s[10:11], 2
	s_add_u32 s10, s18, s10
	s_addc_u32 s11, s19, s11
	s_lshl_b64 s[6:7], s[6:7], 2
	s_add_u32 s10, s10, s6
	s_addc_u32 s11, s11, s7
.LBB30_3:
	s_load_dwordx4 s[4:7], s[4:5], 0x0
	s_mul_i32 s12, s8, s17
	s_mul_hi_u32 s13, s8, s16
	s_add_i32 s17, s13, s12
	v_lshlrev_b32_e32 v68, 3, v0
	s_waitcnt lgkmcnt(0)
	s_ashr_i32 s13, s6, 31
	s_mov_b32 s12, s6
	s_mul_i32 s6, s9, s16
	s_add_i32 s17, s17, s6
	s_mul_i32 s16, s8, s16
	s_lshl_b64 s[16:17], s[16:17], 3
	s_add_u32 s6, s4, s16
	s_addc_u32 s16, s5, s17
	s_lshl_b64 s[4:5], s[12:13], 3
	s_add_u32 s4, s6, s4
	s_addc_u32 s5, s16, s5
	s_add_i32 s6, s7, s7
	v_add_u32_e32 v4, s6, v0
	v_ashrrev_i32_e32 v5, 31, v4
	v_lshlrev_b64 v[2:3], 3, v[4:5]
	v_add_u32_e32 v6, s7, v4
	v_mov_b32_e32 v1, s5
	v_add_co_u32_e32 v2, vcc, s4, v2
	v_ashrrev_i32_e32 v7, 31, v6
	v_addc_co_u32_e32 v3, vcc, v1, v3, vcc
	v_lshlrev_b64 v[4:5], 3, v[6:7]
	v_add_u32_e32 v8, s7, v6
	v_add_co_u32_e32 v4, vcc, s4, v4
	v_ashrrev_i32_e32 v9, 31, v8
	v_addc_co_u32_e32 v5, vcc, v1, v5, vcc
	v_lshlrev_b64 v[6:7], 3, v[8:9]
	v_add_u32_e32 v10, s7, v8
	;; [unrolled: 5-line block ×23, first 2 shown]
	v_add_co_u32_e32 v48, vcc, s4, v48
	v_ashrrev_i32_e32 v53, 31, v52
	v_addc_co_u32_e32 v49, vcc, v1, v49, vcc
	v_lshlrev_b64 v[50:51], 3, v[52:53]
	v_add_co_u32_e32 v50, vcc, s4, v50
	v_addc_co_u32_e32 v51, vcc, v1, v51, vcc
	v_add_co_u32_e32 v54, vcc, s4, v68
	s_ashr_i32 s13, s7, 31
	s_mov_b32 s12, s7
	v_add_u32_e32 v58, s7, v52
	v_addc_co_u32_e32 v55, vcc, 0, v1, vcc
	s_lshl_b64 s[12:13], s[12:13], 3
	v_ashrrev_i32_e32 v59, 31, v58
	v_mov_b32_e32 v1, s13
	v_add_co_u32_e32 v56, vcc, s12, v54
	v_lshlrev_b64 v[52:53], 3, v[58:59]
	v_addc_co_u32_e32 v57, vcc, v55, v1, vcc
	v_add_u32_e32 v60, s7, v58
	v_mov_b32_e32 v1, s5
	v_add_co_u32_e32 v52, vcc, s4, v52
	v_ashrrev_i32_e32 v61, 31, v60
	v_addc_co_u32_e32 v53, vcc, v1, v53, vcc
	v_lshlrev_b64 v[58:59], 3, v[60:61]
	v_add_u32_e32 v62, s7, v60
	v_add_co_u32_e32 v58, vcc, s4, v58
	v_ashrrev_i32_e32 v63, 31, v62
	v_addc_co_u32_e32 v59, vcc, v1, v59, vcc
	v_lshlrev_b64 v[60:61], 3, v[62:63]
	v_add_co_u32_e32 v60, vcc, s4, v60
	global_load_dwordx2 v[64:65], v68, s[4:5]
	global_load_dwordx2 v[66:67], v[56:57], off
	global_load_dwordx2 v[70:71], v[2:3], off
	global_load_dwordx2 v[72:73], v[4:5], off
	global_load_dwordx2 v[74:75], v[6:7], off
	global_load_dwordx2 v[76:77], v[8:9], off
	global_load_dwordx2 v[78:79], v[10:11], off
	global_load_dwordx2 v[80:81], v[12:13], off
	global_load_dwordx2 v[82:83], v[14:15], off
	global_load_dwordx2 v[84:85], v[16:17], off
	global_load_dwordx2 v[86:87], v[18:19], off
	global_load_dwordx2 v[88:89], v[20:21], off
	global_load_dwordx2 v[90:91], v[22:23], off
	global_load_dwordx2 v[92:93], v[24:25], off
	global_load_dwordx2 v[94:95], v[26:27], off
	global_load_dwordx2 v[96:97], v[28:29], off
	global_load_dwordx2 v[98:99], v[30:31], off
	global_load_dwordx2 v[100:101], v[32:33], off
	global_load_dwordx2 v[102:103], v[34:35], off
	global_load_dwordx2 v[104:105], v[36:37], off
	global_load_dwordx2 v[106:107], v[38:39], off
	global_load_dwordx2 v[108:109], v[40:41], off
	v_addc_co_u32_e32 v61, vcc, v1, v61, vcc
	global_load_dwordx2 v[110:111], v[42:43], off
	global_load_dwordx2 v[112:113], v[44:45], off
	;; [unrolled: 1-line block ×8, first 2 shown]
	v_add_u32_e32 v62, s7, v62
	v_ashrrev_i32_e32 v63, 31, v62
	v_lshlrev_b64 v[62:63], 3, v[62:63]
	v_add_co_u32_e32 v62, vcc, s4, v62
	v_addc_co_u32_e32 v63, vcc, v1, v63, vcc
	global_load_dwordx2 v[126:127], v[62:63], off
	s_bitcmp0_b32 s22, 0
	s_mov_b64 s[6:7], -1
	s_waitcnt vmcnt(30)
	buffer_store_dword v65, off, s[0:3], 0 offset:4
	buffer_store_dword v64, off, s[0:3], 0
	s_waitcnt vmcnt(31)
	buffer_store_dword v67, off, s[0:3], 0 offset:12
	buffer_store_dword v66, off, s[0:3], 0 offset:8
	s_waitcnt vmcnt(32)
	buffer_store_dword v71, off, s[0:3], 0 offset:20
	buffer_store_dword v70, off, s[0:3], 0 offset:16
	;; [unrolled: 3-line block ×30, first 2 shown]
	s_cbranch_scc1 .LBB30_136
; %bb.4:
	v_cmp_eq_u32_e64 s[4:5], 0, v0
	s_and_saveexec_b64 s[6:7], s[4:5]
	s_cbranch_execz .LBB30_6
; %bb.5:
	v_mov_b32_e32 v1, 0
	ds_write_b32 v1, v1 offset:248
.LBB30_6:
	s_or_b64 exec, exec, s[6:7]
	v_mov_b32_e32 v1, 0
	v_lshl_add_u32 v69, v0, 3, v1
	s_waitcnt lgkmcnt(0)
	; wave barrier
	s_waitcnt lgkmcnt(0)
	buffer_load_dword v1, v69, s[0:3], 0 offen
	buffer_load_dword v64, v69, s[0:3], 0 offen offset:4
	s_waitcnt vmcnt(1)
	v_cmp_eq_f32_e32 vcc, 0, v1
	s_waitcnt vmcnt(0)
	v_cmp_eq_f32_e64 s[6:7], 0, v64
	s_and_b64 s[6:7], vcc, s[6:7]
	s_and_saveexec_b64 s[12:13], s[6:7]
	s_cbranch_execz .LBB30_10
; %bb.7:
	v_mov_b32_e32 v1, 0
	ds_read_b32 v65, v1 offset:248
	v_add_u32_e32 v64, 1, v0
	s_waitcnt lgkmcnt(0)
	v_readfirstlane_b32 s6, v65
	s_cmp_eq_u32 s6, 0
	s_cselect_b64 s[16:17], -1, 0
	v_cmp_gt_i32_e32 vcc, s6, v64
	s_or_b64 s[16:17], s[16:17], vcc
	s_and_b64 exec, exec, s[16:17]
	s_cbranch_execz .LBB30_10
; %bb.8:
	s_mov_b64 s[16:17], 0
	v_mov_b32_e32 v65, s6
.LBB30_9:                               ; =>This Inner Loop Header: Depth=1
	ds_cmpst_rtn_b32 v65, v1, v65, v64 offset:248
	s_waitcnt lgkmcnt(0)
	v_cmp_ne_u32_e32 vcc, 0, v65
	v_cmp_le_i32_e64 s[6:7], v65, v64
	s_and_b64 s[6:7], vcc, s[6:7]
	s_and_b64 s[6:7], exec, s[6:7]
	s_or_b64 s[16:17], s[6:7], s[16:17]
	s_andn2_b64 exec, exec, s[16:17]
	s_cbranch_execnz .LBB30_9
.LBB30_10:
	s_or_b64 exec, exec, s[12:13]
	v_mov_b32_e32 v64, 0
	s_waitcnt lgkmcnt(0)
	; wave barrier
	ds_read_b32 v1, v64 offset:248
	s_and_saveexec_b64 s[6:7], s[4:5]
	s_cbranch_execz .LBB30_12
; %bb.11:
	s_lshl_b64 s[12:13], s[8:9], 2
	s_add_u32 s12, s14, s12
	s_addc_u32 s13, s15, s13
	s_waitcnt lgkmcnt(0)
	global_store_dword v64, v1, s[12:13]
.LBB30_12:
	s_or_b64 exec, exec, s[6:7]
	s_waitcnt lgkmcnt(0)
	v_cmp_ne_u32_e32 vcc, 0, v1
	s_mov_b64 s[6:7], 0
	s_cbranch_vccnz .LBB30_136
; %bb.13:
	buffer_load_dword v70, v69, s[0:3], 0 offen offset:4
	buffer_load_dword v65, v69, s[0:3], 0 offen
	s_waitcnt vmcnt(1)
	v_cmp_gt_f32_e32 vcc, 0, v70
	v_cndmask_b32_e64 v1, v70, -v70, vcc
	s_waitcnt vmcnt(0)
	v_cmp_gt_f32_e32 vcc, 0, v65
	v_cndmask_b32_e64 v64, v65, -v65, vcc
	v_cmp_ngt_f32_e32 vcc, v64, v1
                                        ; implicit-def: $vgpr1
                                        ; implicit-def: $vgpr64
	s_and_saveexec_b64 s[6:7], vcc
	s_xor_b64 s[6:7], exec, s[6:7]
                                        ; implicit-def: $vgpr66_vgpr67
	s_cbranch_execz .LBB30_15
; %bb.14:
	v_div_scale_f32 v1, s[12:13], v70, v70, v65
	v_rcp_f32_e32 v64, v1
	v_div_scale_f32 v66, vcc, v65, v70, v65
	v_fma_f32 v67, -v1, v64, 1.0
	v_fmac_f32_e32 v64, v67, v64
	v_mul_f32_e32 v67, v66, v64
	v_fma_f32 v71, -v1, v67, v66
	v_fmac_f32_e32 v67, v71, v64
	v_fma_f32 v1, -v1, v67, v66
	v_div_fmas_f32 v1, v1, v64, v67
	v_div_fixup_f32 v64, v1, v70, v65
	v_fmac_f32_e32 v70, v65, v64
	v_div_scale_f32 v1, s[12:13], v70, v70, -1.0
	v_rcp_f32_e32 v65, v1
	v_fma_f32 v66, -v1, v65, 1.0
	v_fmac_f32_e32 v65, v66, v65
	v_div_scale_f32 v66, vcc, -1.0, v70, -1.0
	v_mul_f32_e32 v67, v66, v65
	v_fma_f32 v71, -v1, v67, v66
	v_fmac_f32_e32 v67, v71, v65
	v_fma_f32 v1, -v1, v67, v66
	v_div_fmas_f32 v1, v1, v65, v67
	v_div_fixup_f32 v1, v1, v70, -1.0
	v_mul_f32_e32 v64, v64, v1
	v_xor_b32_e32 v66, 0x80000000, v64
                                        ; implicit-def: $vgpr65
                                        ; implicit-def: $vgpr70
.LBB30_15:
	s_andn2_saveexec_b64 s[6:7], s[6:7]
	s_cbranch_execz .LBB30_17
; %bb.16:
	v_div_scale_f32 v1, s[12:13], v65, v65, v70
	v_rcp_f32_e32 v64, v1
	v_div_scale_f32 v66, vcc, v70, v65, v70
	v_fma_f32 v67, -v1, v64, 1.0
	v_fmac_f32_e32 v64, v67, v64
	v_mul_f32_e32 v67, v66, v64
	v_fma_f32 v71, -v1, v67, v66
	v_fmac_f32_e32 v67, v71, v64
	v_fma_f32 v1, -v1, v67, v66
	v_div_fmas_f32 v1, v1, v64, v67
	v_div_fixup_f32 v1, v1, v65, v70
	v_fmac_f32_e32 v65, v70, v1
	v_div_scale_f32 v64, s[12:13], v65, v65, 1.0
	v_rcp_f32_e32 v66, v64
	v_fma_f32 v67, -v64, v66, 1.0
	v_fmac_f32_e32 v66, v67, v66
	v_div_scale_f32 v67, vcc, 1.0, v65, 1.0
	v_mul_f32_e32 v70, v67, v66
	v_fma_f32 v71, -v64, v70, v67
	v_fmac_f32_e32 v70, v71, v66
	v_fma_f32 v64, -v64, v70, v67
	v_div_fmas_f32 v64, v64, v66, v70
	v_div_fixup_f32 v66, v64, v65, 1.0
	v_xor_b32_e32 v64, 0x80000000, v66
	v_mul_f32_e64 v1, v1, -v66
.LBB30_17:
	s_or_b64 exec, exec, s[6:7]
	buffer_store_dword v1, v69, s[0:3], 0 offen offset:4
	buffer_store_dword v66, v69, s[0:3], 0 offen
	buffer_load_dword v67, off, s[0:3], 0 offset:12
	s_nop 0
	buffer_load_dword v66, off, s[0:3], 0 offset:8
	v_xor_b32_e32 v65, 0x80000000, v1
	v_add_u32_e32 v1, 0x100, v68
	s_waitcnt vmcnt(0)
	ds_write2_b64 v68, v[64:65], v[66:67] offset1:32
	s_waitcnt lgkmcnt(0)
	; wave barrier
	s_waitcnt lgkmcnt(0)
	s_and_saveexec_b64 s[6:7], s[4:5]
	s_cbranch_execz .LBB30_19
; %bb.18:
	buffer_load_dword v70, v69, s[0:3], 0 offen offset:4
	buffer_load_dword v71, v69, s[0:3], 0 offen
	ds_read_b64 v[64:65], v1
	v_mov_b32_e32 v66, 0
	ds_read_b64 v[66:67], v66 offset:8
	s_waitcnt vmcnt(1) lgkmcnt(1)
	v_mul_f32_e32 v72, v65, v70
	v_mul_f32_e32 v70, v64, v70
	s_waitcnt vmcnt(0)
	v_fmac_f32_e32 v70, v65, v71
	v_fma_f32 v64, v64, v71, -v72
	v_add_f32_e32 v65, 0, v70
	v_add_f32_e32 v64, 0, v64
	s_waitcnt lgkmcnt(0)
	v_mul_f32_e32 v70, v65, v67
	v_mul_f32_e32 v67, v64, v67
	v_fma_f32 v64, v64, v66, -v70
	v_fmac_f32_e32 v67, v65, v66
	buffer_store_dword v64, off, s[0:3], 0 offset:8
	buffer_store_dword v67, off, s[0:3], 0 offset:12
.LBB30_19:
	s_or_b64 exec, exec, s[6:7]
	s_waitcnt lgkmcnt(0)
	; wave barrier
	buffer_load_dword v64, off, s[0:3], 0 offset:16
	buffer_load_dword v65, off, s[0:3], 0 offset:20
	v_cmp_gt_u32_e32 vcc, 2, v0
	s_waitcnt vmcnt(0)
	ds_write_b64 v1, v[64:65]
	s_waitcnt lgkmcnt(0)
	; wave barrier
	s_waitcnt lgkmcnt(0)
	s_and_saveexec_b64 s[6:7], vcc
	s_cbranch_execz .LBB30_23
; %bb.20:
	buffer_load_dword v66, v69, s[0:3], 0 offen offset:4
	buffer_load_dword v67, v69, s[0:3], 0 offen
	ds_read_b64 v[64:65], v1
	s_waitcnt vmcnt(1) lgkmcnt(0)
	v_mul_f32_e32 v69, v65, v66
	v_mul_f32_e32 v66, v64, v66
	s_waitcnt vmcnt(0)
	v_fma_f32 v64, v64, v67, -v69
	v_fmac_f32_e32 v66, v65, v67
	v_add_f32_e32 v65, 0, v64
	v_add_f32_e32 v64, 0, v66
	s_and_saveexec_b64 s[12:13], s[4:5]
	s_cbranch_execz .LBB30_22
; %bb.21:
	buffer_load_dword v69, off, s[0:3], 0 offset:12
	buffer_load_dword v70, off, s[0:3], 0 offset:8
	v_mov_b32_e32 v66, 0
	ds_read_b64 v[66:67], v66 offset:264
	s_waitcnt vmcnt(1) lgkmcnt(0)
	v_mul_f32_e32 v71, v66, v69
	v_mul_f32_e32 v69, v67, v69
	s_waitcnt vmcnt(0)
	v_fmac_f32_e32 v71, v67, v70
	v_fma_f32 v66, v66, v70, -v69
	v_add_f32_e32 v64, v64, v71
	v_add_f32_e32 v65, v65, v66
.LBB30_22:
	s_or_b64 exec, exec, s[12:13]
	v_mov_b32_e32 v66, 0
	ds_read_b64 v[66:67], v66 offset:16
	s_waitcnt lgkmcnt(0)
	v_mul_f32_e32 v69, v64, v67
	v_mul_f32_e32 v67, v65, v67
	v_fma_f32 v65, v65, v66, -v69
	v_fmac_f32_e32 v67, v64, v66
	buffer_store_dword v65, off, s[0:3], 0 offset:16
	buffer_store_dword v67, off, s[0:3], 0 offset:20
.LBB30_23:
	s_or_b64 exec, exec, s[6:7]
	s_waitcnt lgkmcnt(0)
	; wave barrier
	buffer_load_dword v64, off, s[0:3], 0 offset:24
	buffer_load_dword v65, off, s[0:3], 0 offset:28
	v_cmp_gt_u32_e32 vcc, 3, v0
	s_waitcnt vmcnt(0)
	ds_write_b64 v1, v[64:65]
	v_add_u32_e32 v64, -1, v0
	s_waitcnt lgkmcnt(0)
	; wave barrier
	s_waitcnt lgkmcnt(0)
	s_and_saveexec_b64 s[4:5], vcc
	s_cbranch_execz .LBB30_27
; %bb.24:
	v_add_u32_e32 v66, -1, v0
	v_add_u32_e32 v67, 0x100, v68
	v_add_u32_e32 v69, 0, v68
	s_mov_b64 s[6:7], 0
	v_mov_b32_e32 v65, 0
	v_mov_b32_e32 v70, 0
.LBB30_25:                              ; =>This Inner Loop Header: Depth=1
	buffer_load_dword v71, v69, s[0:3], 0 offen offset:4
	buffer_load_dword v74, v69, s[0:3], 0 offen
	ds_read_b64 v[72:73], v67
	v_add_u32_e32 v66, 1, v66
	v_cmp_lt_u32_e32 vcc, 1, v66
	v_add_u32_e32 v67, 8, v67
	v_add_u32_e32 v69, 8, v69
	s_or_b64 s[6:7], vcc, s[6:7]
	s_waitcnt vmcnt(1) lgkmcnt(0)
	v_mul_f32_e32 v75, v73, v71
	v_mul_f32_e32 v71, v72, v71
	s_waitcnt vmcnt(0)
	v_fma_f32 v72, v72, v74, -v75
	v_fmac_f32_e32 v71, v73, v74
	v_add_f32_e32 v70, v70, v72
	v_add_f32_e32 v65, v65, v71
	s_andn2_b64 exec, exec, s[6:7]
	s_cbranch_execnz .LBB30_25
; %bb.26:
	s_or_b64 exec, exec, s[6:7]
	v_mov_b32_e32 v66, 0
	ds_read_b64 v[66:67], v66 offset:24
	s_waitcnt lgkmcnt(0)
	v_mul_f32_e32 v69, v65, v67
	v_mul_f32_e32 v67, v70, v67
	v_fma_f32 v69, v70, v66, -v69
	v_fmac_f32_e32 v67, v65, v66
	buffer_store_dword v69, off, s[0:3], 0 offset:24
	buffer_store_dword v67, off, s[0:3], 0 offset:28
.LBB30_27:
	s_or_b64 exec, exec, s[4:5]
	s_waitcnt lgkmcnt(0)
	; wave barrier
	buffer_load_dword v66, off, s[0:3], 0 offset:32
	buffer_load_dword v67, off, s[0:3], 0 offset:36
	v_cmp_gt_u32_e32 vcc, 4, v0
	s_waitcnt vmcnt(0)
	ds_write_b64 v1, v[66:67]
	s_waitcnt lgkmcnt(0)
	; wave barrier
	s_waitcnt lgkmcnt(0)
	s_and_saveexec_b64 s[4:5], vcc
	s_cbranch_execz .LBB30_31
; %bb.28:
	v_add_u32_e32 v66, -1, v0
	v_add_u32_e32 v67, 0x100, v68
	v_add_u32_e32 v69, 0, v68
	s_mov_b64 s[6:7], 0
	v_mov_b32_e32 v65, 0
	v_mov_b32_e32 v70, 0
.LBB30_29:                              ; =>This Inner Loop Header: Depth=1
	buffer_load_dword v71, v69, s[0:3], 0 offen offset:4
	buffer_load_dword v74, v69, s[0:3], 0 offen
	ds_read_b64 v[72:73], v67
	v_add_u32_e32 v66, 1, v66
	v_cmp_lt_u32_e32 vcc, 2, v66
	v_add_u32_e32 v67, 8, v67
	v_add_u32_e32 v69, 8, v69
	s_or_b64 s[6:7], vcc, s[6:7]
	s_waitcnt vmcnt(1) lgkmcnt(0)
	v_mul_f32_e32 v75, v73, v71
	v_mul_f32_e32 v71, v72, v71
	s_waitcnt vmcnt(0)
	v_fma_f32 v72, v72, v74, -v75
	v_fmac_f32_e32 v71, v73, v74
	v_add_f32_e32 v70, v70, v72
	v_add_f32_e32 v65, v65, v71
	s_andn2_b64 exec, exec, s[6:7]
	s_cbranch_execnz .LBB30_29
; %bb.30:
	s_or_b64 exec, exec, s[6:7]
	v_mov_b32_e32 v66, 0
	ds_read_b64 v[66:67], v66 offset:32
	s_waitcnt lgkmcnt(0)
	v_mul_f32_e32 v69, v65, v67
	v_mul_f32_e32 v67, v70, v67
	v_fma_f32 v69, v70, v66, -v69
	v_fmac_f32_e32 v67, v65, v66
	buffer_store_dword v69, off, s[0:3], 0 offset:32
	buffer_store_dword v67, off, s[0:3], 0 offset:36
.LBB30_31:
	s_or_b64 exec, exec, s[4:5]
	s_waitcnt lgkmcnt(0)
	; wave barrier
	buffer_load_dword v66, off, s[0:3], 0 offset:40
	buffer_load_dword v67, off, s[0:3], 0 offset:44
	v_cmp_gt_u32_e32 vcc, 5, v0
	s_waitcnt vmcnt(0)
	ds_write_b64 v1, v[66:67]
	;; [unrolled: 51-line block ×19, first 2 shown]
	s_waitcnt lgkmcnt(0)
	; wave barrier
	s_waitcnt lgkmcnt(0)
	s_and_saveexec_b64 s[4:5], vcc
	s_cbranch_execz .LBB30_103
; %bb.100:
	v_add_u32_e32 v66, -1, v0
	v_add_u32_e32 v67, 0x100, v68
	v_add_u32_e32 v69, 0, v68
	s_mov_b64 s[6:7], 0
	v_mov_b32_e32 v65, 0
	v_mov_b32_e32 v70, 0
.LBB30_101:                             ; =>This Inner Loop Header: Depth=1
	buffer_load_dword v71, v69, s[0:3], 0 offen offset:4
	buffer_load_dword v74, v69, s[0:3], 0 offen
	ds_read_b64 v[72:73], v67
	v_add_u32_e32 v66, 1, v66
	v_cmp_lt_u32_e32 vcc, 20, v66
	v_add_u32_e32 v67, 8, v67
	v_add_u32_e32 v69, 8, v69
	s_or_b64 s[6:7], vcc, s[6:7]
	s_waitcnt vmcnt(1) lgkmcnt(0)
	v_mul_f32_e32 v75, v73, v71
	v_mul_f32_e32 v71, v72, v71
	s_waitcnt vmcnt(0)
	v_fma_f32 v72, v72, v74, -v75
	v_fmac_f32_e32 v71, v73, v74
	v_add_f32_e32 v70, v70, v72
	v_add_f32_e32 v65, v65, v71
	s_andn2_b64 exec, exec, s[6:7]
	s_cbranch_execnz .LBB30_101
; %bb.102:
	s_or_b64 exec, exec, s[6:7]
	v_mov_b32_e32 v66, 0
	ds_read_b64 v[66:67], v66 offset:176
	s_waitcnt lgkmcnt(0)
	v_mul_f32_e32 v69, v65, v67
	v_mul_f32_e32 v67, v70, v67
	v_fma_f32 v69, v70, v66, -v69
	v_fmac_f32_e32 v67, v65, v66
	buffer_store_dword v69, off, s[0:3], 0 offset:176
	buffer_store_dword v67, off, s[0:3], 0 offset:180
.LBB30_103:
	s_or_b64 exec, exec, s[4:5]
	s_waitcnt lgkmcnt(0)
	; wave barrier
	buffer_load_dword v66, off, s[0:3], 0 offset:184
	buffer_load_dword v67, off, s[0:3], 0 offset:188
	v_cmp_gt_u32_e32 vcc, 23, v0
	s_waitcnt vmcnt(0)
	ds_write_b64 v1, v[66:67]
	s_waitcnt lgkmcnt(0)
	; wave barrier
	s_waitcnt lgkmcnt(0)
	s_and_saveexec_b64 s[4:5], vcc
	s_cbranch_execz .LBB30_107
; %bb.104:
	v_add_u32_e32 v66, -1, v0
	v_add_u32_e32 v67, 0x100, v68
	v_add_u32_e32 v69, 0, v68
	s_mov_b64 s[6:7], 0
	v_mov_b32_e32 v65, 0
	v_mov_b32_e32 v70, 0
.LBB30_105:                             ; =>This Inner Loop Header: Depth=1
	buffer_load_dword v71, v69, s[0:3], 0 offen offset:4
	buffer_load_dword v74, v69, s[0:3], 0 offen
	ds_read_b64 v[72:73], v67
	v_add_u32_e32 v66, 1, v66
	v_cmp_lt_u32_e32 vcc, 21, v66
	v_add_u32_e32 v67, 8, v67
	v_add_u32_e32 v69, 8, v69
	s_or_b64 s[6:7], vcc, s[6:7]
	s_waitcnt vmcnt(1) lgkmcnt(0)
	v_mul_f32_e32 v75, v73, v71
	v_mul_f32_e32 v71, v72, v71
	s_waitcnt vmcnt(0)
	v_fma_f32 v72, v72, v74, -v75
	v_fmac_f32_e32 v71, v73, v74
	v_add_f32_e32 v70, v70, v72
	v_add_f32_e32 v65, v65, v71
	s_andn2_b64 exec, exec, s[6:7]
	s_cbranch_execnz .LBB30_105
; %bb.106:
	s_or_b64 exec, exec, s[6:7]
	v_mov_b32_e32 v66, 0
	ds_read_b64 v[66:67], v66 offset:184
	s_waitcnt lgkmcnt(0)
	v_mul_f32_e32 v69, v65, v67
	v_mul_f32_e32 v67, v70, v67
	v_fma_f32 v69, v70, v66, -v69
	v_fmac_f32_e32 v67, v65, v66
	buffer_store_dword v69, off, s[0:3], 0 offset:184
	buffer_store_dword v67, off, s[0:3], 0 offset:188
.LBB30_107:
	s_or_b64 exec, exec, s[4:5]
	s_waitcnt lgkmcnt(0)
	; wave barrier
	buffer_load_dword v66, off, s[0:3], 0 offset:192
	buffer_load_dword v67, off, s[0:3], 0 offset:196
	v_cmp_gt_u32_e32 vcc, 24, v0
	s_waitcnt vmcnt(0)
	ds_write_b64 v1, v[66:67]
	;; [unrolled: 51-line block ×7, first 2 shown]
	s_waitcnt lgkmcnt(0)
	; wave barrier
	s_waitcnt lgkmcnt(0)
	s_and_saveexec_b64 s[4:5], vcc
	s_cbranch_execz .LBB30_131
; %bb.128:
	v_add_u32_e32 v66, -1, v0
	v_add_u32_e32 v67, 0x100, v68
	v_add_u32_e32 v69, 0, v68
	s_mov_b64 s[6:7], 0
	v_mov_b32_e32 v65, 0
	v_mov_b32_e32 v70, 0
.LBB30_129:                             ; =>This Inner Loop Header: Depth=1
	buffer_load_dword v71, v69, s[0:3], 0 offen offset:4
	buffer_load_dword v74, v69, s[0:3], 0 offen
	ds_read_b64 v[72:73], v67
	v_add_u32_e32 v66, 1, v66
	v_cmp_lt_u32_e32 vcc, 27, v66
	v_add_u32_e32 v67, 8, v67
	v_add_u32_e32 v69, 8, v69
	s_or_b64 s[6:7], vcc, s[6:7]
	s_waitcnt vmcnt(1) lgkmcnt(0)
	v_mul_f32_e32 v75, v73, v71
	v_mul_f32_e32 v71, v72, v71
	s_waitcnt vmcnt(0)
	v_fma_f32 v72, v72, v74, -v75
	v_fmac_f32_e32 v71, v73, v74
	v_add_f32_e32 v70, v70, v72
	v_add_f32_e32 v65, v65, v71
	s_andn2_b64 exec, exec, s[6:7]
	s_cbranch_execnz .LBB30_129
; %bb.130:
	s_or_b64 exec, exec, s[6:7]
	v_mov_b32_e32 v66, 0
	ds_read_b64 v[66:67], v66 offset:232
	s_waitcnt lgkmcnt(0)
	v_mul_f32_e32 v69, v65, v67
	v_mul_f32_e32 v67, v70, v67
	v_fma_f32 v69, v70, v66, -v69
	v_fmac_f32_e32 v67, v65, v66
	buffer_store_dword v69, off, s[0:3], 0 offset:232
	buffer_store_dword v67, off, s[0:3], 0 offset:236
.LBB30_131:
	s_or_b64 exec, exec, s[4:5]
	s_waitcnt lgkmcnt(0)
	; wave barrier
	buffer_load_dword v66, off, s[0:3], 0 offset:240
	buffer_load_dword v67, off, s[0:3], 0 offset:244
	v_cmp_ne_u32_e32 vcc, 30, v0
	s_waitcnt vmcnt(0)
	ds_write_b64 v1, v[66:67]
	s_waitcnt lgkmcnt(0)
	; wave barrier
	s_waitcnt lgkmcnt(0)
	s_and_saveexec_b64 s[4:5], vcc
	s_cbranch_execz .LBB30_135
; %bb.132:
	v_add_u32_e32 v65, 0x100, v68
	v_add_u32_e32 v66, 0, v68
	s_mov_b64 s[6:7], 0
	v_mov_b32_e32 v1, 0
	v_mov_b32_e32 v67, 0
.LBB30_133:                             ; =>This Inner Loop Header: Depth=1
	buffer_load_dword v70, v66, s[0:3], 0 offen offset:4
	buffer_load_dword v71, v66, s[0:3], 0 offen
	ds_read_b64 v[68:69], v65
	v_add_u32_e32 v64, 1, v64
	v_cmp_lt_u32_e32 vcc, 28, v64
	v_add_u32_e32 v65, 8, v65
	v_add_u32_e32 v66, 8, v66
	s_or_b64 s[6:7], vcc, s[6:7]
	s_waitcnt vmcnt(1) lgkmcnt(0)
	v_mul_f32_e32 v72, v69, v70
	v_mul_f32_e32 v70, v68, v70
	s_waitcnt vmcnt(0)
	v_fma_f32 v68, v68, v71, -v72
	v_fmac_f32_e32 v70, v69, v71
	v_add_f32_e32 v67, v67, v68
	v_add_f32_e32 v1, v1, v70
	s_andn2_b64 exec, exec, s[6:7]
	s_cbranch_execnz .LBB30_133
; %bb.134:
	s_or_b64 exec, exec, s[6:7]
	v_mov_b32_e32 v64, 0
	ds_read_b64 v[64:65], v64 offset:240
	s_waitcnt lgkmcnt(0)
	v_mul_f32_e32 v66, v1, v65
	v_mul_f32_e32 v65, v67, v65
	v_fma_f32 v66, v67, v64, -v66
	v_fmac_f32_e32 v65, v1, v64
	buffer_store_dword v66, off, s[0:3], 0 offset:240
	buffer_store_dword v65, off, s[0:3], 0 offset:244
.LBB30_135:
	s_or_b64 exec, exec, s[4:5]
	s_mov_b64 s[6:7], -1
	s_waitcnt lgkmcnt(0)
	; wave barrier
.LBB30_136:
	s_and_b64 vcc, exec, s[6:7]
	s_cbranch_vccz .LBB30_138
; %bb.137:
	s_lshl_b64 s[4:5], s[8:9], 2
	s_add_u32 s4, s14, s4
	s_addc_u32 s5, s15, s5
	v_mov_b32_e32 v1, 0
	global_load_dword v1, v1, s[4:5]
	s_waitcnt vmcnt(0)
	v_cmp_ne_u32_e32 vcc, 0, v1
	s_cbranch_vccz .LBB30_139
.LBB30_138:
	s_endpgm
.LBB30_139:
	v_mov_b32_e32 v1, 0x100
	v_lshl_add_u32 v1, v0, 3, v1
	v_cmp_eq_u32_e32 vcc, 30, v0
	s_and_saveexec_b64 s[4:5], vcc
	s_cbranch_execz .LBB30_141
; %bb.140:
	buffer_load_dword v64, off, s[0:3], 0 offset:232
	buffer_load_dword v65, off, s[0:3], 0 offset:236
	v_mov_b32_e32 v66, 0
	buffer_store_dword v66, off, s[0:3], 0 offset:232
	buffer_store_dword v66, off, s[0:3], 0 offset:236
	s_waitcnt vmcnt(2)
	ds_write_b64 v1, v[64:65]
.LBB30_141:
	s_or_b64 exec, exec, s[4:5]
	s_waitcnt lgkmcnt(0)
	; wave barrier
	s_waitcnt lgkmcnt(0)
	buffer_load_dword v67, off, s[0:3], 0 offset:244
	buffer_load_dword v66, off, s[0:3], 0 offset:240
	buffer_load_dword v68, off, s[0:3], 0 offset:232
	buffer_load_dword v69, off, s[0:3], 0 offset:236
	v_mov_b32_e32 v64, 0
	ds_read_b64 v[70:71], v64 offset:496
	v_cmp_lt_u32_e32 vcc, 28, v0
	s_waitcnt vmcnt(3)
	v_mov_b32_e32 v72, v67
	s_waitcnt lgkmcnt(0)
	v_pk_mul_f32 v[72:73], v[70:71], v[72:73] op_sel_hi:[1,0]
	s_waitcnt vmcnt(2)
	v_pk_fma_f32 v[74:75], v[70:71], v[66:67], v[72:73] op_sel:[0,0,1] op_sel_hi:[1,1,0] neg_lo:[0,0,1] neg_hi:[0,0,1]
	v_pk_fma_f32 v[66:67], v[70:71], v[66:67], v[72:73] op_sel:[0,0,1] op_sel_hi:[1,0,0]
	v_mov_b32_e32 v75, v67
	v_pk_add_f32 v[66:67], v[74:75], 0 op_sel_hi:[1,0]
	s_waitcnt vmcnt(0)
	v_pk_add_f32 v[66:67], v[68:69], v[66:67] neg_lo:[0,1] neg_hi:[0,1]
	buffer_store_dword v66, off, s[0:3], 0 offset:232
	buffer_store_dword v67, off, s[0:3], 0 offset:236
	s_and_saveexec_b64 s[4:5], vcc
	s_cbranch_execz .LBB30_143
; %bb.142:
	buffer_load_dword v66, off, s[0:3], 0 offset:224
	buffer_load_dword v67, off, s[0:3], 0 offset:228
	s_waitcnt vmcnt(0)
	ds_write_b64 v1, v[66:67]
	buffer_store_dword v64, off, s[0:3], 0 offset:224
	buffer_store_dword v64, off, s[0:3], 0 offset:228
.LBB30_143:
	s_or_b64 exec, exec, s[4:5]
	s_waitcnt lgkmcnt(0)
	; wave barrier
	s_waitcnt lgkmcnt(0)
	buffer_load_dword v69, off, s[0:3], 0 offset:236
	buffer_load_dword v71, off, s[0:3], 0 offset:244
	;; [unrolled: 1-line block ×6, first 2 shown]
	ds_read2_b64 v[64:67], v64 offset0:61 offset1:62
	v_cmp_lt_u32_e32 vcc, 27, v0
	s_waitcnt vmcnt(5)
	v_mov_b32_e32 v74, v69
	s_waitcnt vmcnt(4)
	v_mov_b32_e32 v76, v71
	s_waitcnt lgkmcnt(0)
	v_pk_mul_f32 v[74:75], v[64:65], v[74:75] op_sel_hi:[1,0]
	v_pk_mul_f32 v[76:77], v[66:67], v[76:77] op_sel_hi:[1,0]
	s_waitcnt vmcnt(3)
	v_pk_fma_f32 v[78:79], v[64:65], v[68:69], v[74:75] op_sel:[0,0,1] op_sel_hi:[1,1,0] neg_lo:[0,0,1] neg_hi:[0,0,1]
	v_pk_fma_f32 v[64:65], v[64:65], v[68:69], v[74:75] op_sel:[0,0,1] op_sel_hi:[1,0,0]
	s_waitcnt vmcnt(2)
	v_pk_fma_f32 v[68:69], v[66:67], v[70:71], v[76:77] op_sel:[0,0,1] op_sel_hi:[1,1,0] neg_lo:[0,0,1] neg_hi:[0,0,1]
	v_pk_fma_f32 v[66:67], v[66:67], v[70:71], v[76:77] op_sel:[0,0,1] op_sel_hi:[1,0,0]
	v_mov_b32_e32 v79, v65
	v_mov_b32_e32 v69, v67
	v_pk_add_f32 v[64:65], v[78:79], 0 op_sel_hi:[1,0]
	v_pk_add_f32 v[64:65], v[64:65], v[68:69]
	s_waitcnt vmcnt(0)
	v_pk_add_f32 v[64:65], v[72:73], v[64:65] neg_lo:[0,1] neg_hi:[0,1]
	buffer_store_dword v64, off, s[0:3], 0 offset:224
	buffer_store_dword v65, off, s[0:3], 0 offset:228
	s_and_saveexec_b64 s[4:5], vcc
	s_cbranch_execz .LBB30_145
; %bb.144:
	buffer_load_dword v64, off, s[0:3], 0 offset:216
	buffer_load_dword v65, off, s[0:3], 0 offset:220
	v_mov_b32_e32 v66, 0
	buffer_store_dword v66, off, s[0:3], 0 offset:216
	buffer_store_dword v66, off, s[0:3], 0 offset:220
	s_waitcnt vmcnt(2)
	ds_write_b64 v1, v[64:65]
.LBB30_145:
	s_or_b64 exec, exec, s[4:5]
	s_waitcnt lgkmcnt(0)
	; wave barrier
	s_waitcnt lgkmcnt(0)
	buffer_load_dword v71, off, s[0:3], 0 offset:228
	buffer_load_dword v73, off, s[0:3], 0 offset:236
	;; [unrolled: 1-line block ×8, first 2 shown]
	v_mov_b32_e32 v64, 0
	ds_read_b128 v[66:69], v64 offset:480
	ds_read_b64 v[78:79], v64 offset:496
	v_cmp_lt_u32_e32 vcc, 26, v0
	s_waitcnt vmcnt(7)
	v_mov_b32_e32 v80, v71
	s_waitcnt vmcnt(6)
	v_mov_b32_e32 v82, v73
	s_waitcnt lgkmcnt(1)
	v_pk_mul_f32 v[80:81], v[66:67], v[80:81] op_sel_hi:[1,0]
	s_waitcnt vmcnt(5)
	v_mov_b32_e32 v84, v75
	v_pk_mul_f32 v[82:83], v[68:69], v[82:83] op_sel_hi:[1,0]
	s_waitcnt vmcnt(4)
	v_pk_fma_f32 v[86:87], v[66:67], v[70:71], v[80:81] op_sel:[0,0,1] op_sel_hi:[1,1,0] neg_lo:[0,0,1] neg_hi:[0,0,1]
	v_pk_fma_f32 v[66:67], v[66:67], v[70:71], v[80:81] op_sel:[0,0,1] op_sel_hi:[1,0,0]
	s_waitcnt lgkmcnt(0)
	v_pk_mul_f32 v[84:85], v[78:79], v[84:85] op_sel_hi:[1,0]
	s_waitcnt vmcnt(3)
	v_pk_fma_f32 v[70:71], v[68:69], v[72:73], v[82:83] op_sel:[0,0,1] op_sel_hi:[1,1,0] neg_lo:[0,0,1] neg_hi:[0,0,1]
	v_pk_fma_f32 v[68:69], v[68:69], v[72:73], v[82:83] op_sel:[0,0,1] op_sel_hi:[1,0,0]
	v_mov_b32_e32 v87, v67
	s_waitcnt vmcnt(2)
	v_pk_fma_f32 v[72:73], v[78:79], v[74:75], v[84:85] op_sel:[0,0,1] op_sel_hi:[1,1,0] neg_lo:[0,0,1] neg_hi:[0,0,1]
	v_pk_fma_f32 v[74:75], v[78:79], v[74:75], v[84:85] op_sel:[0,0,1] op_sel_hi:[1,0,0]
	v_mov_b32_e32 v71, v69
	v_pk_add_f32 v[66:67], v[86:87], 0 op_sel_hi:[1,0]
	v_mov_b32_e32 v73, v75
	v_pk_add_f32 v[66:67], v[66:67], v[70:71]
	v_pk_add_f32 v[66:67], v[66:67], v[72:73]
	s_waitcnt vmcnt(0)
	v_pk_add_f32 v[66:67], v[76:77], v[66:67] neg_lo:[0,1] neg_hi:[0,1]
	buffer_store_dword v66, off, s[0:3], 0 offset:216
	buffer_store_dword v67, off, s[0:3], 0 offset:220
	s_and_saveexec_b64 s[4:5], vcc
	s_cbranch_execz .LBB30_147
; %bb.146:
	buffer_load_dword v66, off, s[0:3], 0 offset:208
	buffer_load_dword v67, off, s[0:3], 0 offset:212
	s_waitcnt vmcnt(0)
	ds_write_b64 v1, v[66:67]
	buffer_store_dword v64, off, s[0:3], 0 offset:208
	buffer_store_dword v64, off, s[0:3], 0 offset:212
.LBB30_147:
	s_or_b64 exec, exec, s[4:5]
	s_waitcnt lgkmcnt(0)
	; wave barrier
	s_waitcnt lgkmcnt(0)
	buffer_load_dword v75, off, s[0:3], 0 offset:220
	buffer_load_dword v77, off, s[0:3], 0 offset:228
	;; [unrolled: 1-line block ×10, first 2 shown]
	ds_read2_b64 v[66:69], v64 offset0:59 offset1:60
	ds_read2_b64 v[70:73], v64 offset0:61 offset1:62
	v_cmp_lt_u32_e32 vcc, 25, v0
	s_waitcnt vmcnt(9)
	v_mov_b32_e32 v64, v75
	s_waitcnt vmcnt(8)
	v_mov_b32_e32 v84, v77
	s_waitcnt lgkmcnt(1)
	v_pk_mul_f32 v[64:65], v[66:67], v[64:65] op_sel_hi:[1,0]
	s_waitcnt vmcnt(7)
	v_mov_b32_e32 v86, v79
	v_pk_mul_f32 v[84:85], v[68:69], v[84:85] op_sel_hi:[1,0]
	s_waitcnt vmcnt(5)
	v_pk_fma_f32 v[90:91], v[66:67], v[74:75], v[64:65] op_sel:[0,0,1] op_sel_hi:[1,1,0] neg_lo:[0,0,1] neg_hi:[0,0,1]
	v_pk_fma_f32 v[64:65], v[66:67], v[74:75], v[64:65] op_sel:[0,0,1] op_sel_hi:[1,0,0]
	v_mov_b32_e32 v88, v81
	s_waitcnt lgkmcnt(0)
	v_pk_mul_f32 v[86:87], v[70:71], v[86:87] op_sel_hi:[1,0]
	s_waitcnt vmcnt(4)
	v_pk_fma_f32 v[66:67], v[68:69], v[76:77], v[84:85] op_sel:[0,0,1] op_sel_hi:[1,1,0] neg_lo:[0,0,1] neg_hi:[0,0,1]
	v_pk_fma_f32 v[68:69], v[68:69], v[76:77], v[84:85] op_sel:[0,0,1] op_sel_hi:[1,0,0]
	v_mov_b32_e32 v91, v65
	v_pk_mul_f32 v[88:89], v[72:73], v[88:89] op_sel_hi:[1,0]
	s_waitcnt vmcnt(3)
	v_pk_fma_f32 v[74:75], v[70:71], v[78:79], v[86:87] op_sel:[0,0,1] op_sel_hi:[1,1,0] neg_lo:[0,0,1] neg_hi:[0,0,1]
	v_pk_fma_f32 v[70:71], v[70:71], v[78:79], v[86:87] op_sel:[0,0,1] op_sel_hi:[1,0,0]
	v_mov_b32_e32 v67, v69
	v_pk_add_f32 v[64:65], v[90:91], 0 op_sel_hi:[1,0]
	s_waitcnt vmcnt(2)
	v_pk_fma_f32 v[76:77], v[72:73], v[80:81], v[88:89] op_sel:[0,0,1] op_sel_hi:[1,1,0] neg_lo:[0,0,1] neg_hi:[0,0,1]
	v_pk_fma_f32 v[72:73], v[72:73], v[80:81], v[88:89] op_sel:[0,0,1] op_sel_hi:[1,0,0]
	v_mov_b32_e32 v75, v71
	v_pk_add_f32 v[64:65], v[64:65], v[66:67]
	v_mov_b32_e32 v77, v73
	v_pk_add_f32 v[64:65], v[64:65], v[74:75]
	v_pk_add_f32 v[64:65], v[64:65], v[76:77]
	s_waitcnt vmcnt(0)
	v_pk_add_f32 v[64:65], v[82:83], v[64:65] neg_lo:[0,1] neg_hi:[0,1]
	buffer_store_dword v64, off, s[0:3], 0 offset:208
	buffer_store_dword v65, off, s[0:3], 0 offset:212
	s_and_saveexec_b64 s[4:5], vcc
	s_cbranch_execz .LBB30_149
; %bb.148:
	buffer_load_dword v64, off, s[0:3], 0 offset:200
	buffer_load_dword v65, off, s[0:3], 0 offset:204
	v_mov_b32_e32 v66, 0
	buffer_store_dword v66, off, s[0:3], 0 offset:200
	buffer_store_dword v66, off, s[0:3], 0 offset:204
	s_waitcnt vmcnt(2)
	ds_write_b64 v1, v[64:65]
.LBB30_149:
	s_or_b64 exec, exec, s[4:5]
	s_waitcnt lgkmcnt(0)
	; wave barrier
	s_waitcnt lgkmcnt(0)
	buffer_load_dword v75, off, s[0:3], 0 offset:212
	buffer_load_dword v77, off, s[0:3], 0 offset:220
	;; [unrolled: 1-line block ×12, first 2 shown]
	v_mov_b32_e32 v64, 0
	ds_read_b128 v[66:69], v64 offset:464
	ds_read_b128 v[70:73], v64 offset:480
	ds_read_b64 v[86:87], v64 offset:496
	v_cmp_lt_u32_e32 vcc, 24, v0
	s_waitcnt vmcnt(11)
	v_mov_b32_e32 v88, v75
	s_waitcnt vmcnt(10)
	v_mov_b32_e32 v90, v77
	s_waitcnt lgkmcnt(2)
	v_pk_mul_f32 v[88:89], v[66:67], v[88:89] op_sel_hi:[1,0]
	s_waitcnt vmcnt(9)
	v_mov_b32_e32 v92, v79
	v_pk_mul_f32 v[90:91], v[68:69], v[90:91] op_sel_hi:[1,0]
	s_waitcnt vmcnt(6)
	v_pk_fma_f32 v[98:99], v[66:67], v[74:75], v[88:89] op_sel:[0,0,1] op_sel_hi:[1,1,0] neg_lo:[0,0,1] neg_hi:[0,0,1]
	v_pk_fma_f32 v[66:67], v[66:67], v[74:75], v[88:89] op_sel:[0,0,1] op_sel_hi:[1,0,0]
	v_mov_b32_e32 v94, v81
	s_waitcnt lgkmcnt(1)
	v_pk_mul_f32 v[92:93], v[70:71], v[92:93] op_sel_hi:[1,0]
	s_waitcnt vmcnt(5)
	v_pk_fma_f32 v[74:75], v[68:69], v[76:77], v[90:91] op_sel:[0,0,1] op_sel_hi:[1,1,0] neg_lo:[0,0,1] neg_hi:[0,0,1]
	v_pk_fma_f32 v[68:69], v[68:69], v[76:77], v[90:91] op_sel:[0,0,1] op_sel_hi:[1,0,0]
	v_mov_b32_e32 v99, v67
	v_mov_b32_e32 v96, v83
	v_pk_mul_f32 v[94:95], v[72:73], v[94:95] op_sel_hi:[1,0]
	s_waitcnt vmcnt(4)
	v_pk_fma_f32 v[76:77], v[70:71], v[78:79], v[92:93] op_sel:[0,0,1] op_sel_hi:[1,1,0] neg_lo:[0,0,1] neg_hi:[0,0,1]
	v_pk_fma_f32 v[70:71], v[70:71], v[78:79], v[92:93] op_sel:[0,0,1] op_sel_hi:[1,0,0]
	v_mov_b32_e32 v75, v69
	v_pk_add_f32 v[66:67], v[98:99], 0 op_sel_hi:[1,0]
	s_waitcnt lgkmcnt(0)
	v_pk_mul_f32 v[96:97], v[86:87], v[96:97] op_sel_hi:[1,0]
	s_waitcnt vmcnt(3)
	v_pk_fma_f32 v[78:79], v[72:73], v[80:81], v[94:95] op_sel:[0,0,1] op_sel_hi:[1,1,0] neg_lo:[0,0,1] neg_hi:[0,0,1]
	v_pk_fma_f32 v[72:73], v[72:73], v[80:81], v[94:95] op_sel:[0,0,1] op_sel_hi:[1,0,0]
	v_mov_b32_e32 v77, v71
	v_pk_add_f32 v[66:67], v[66:67], v[74:75]
	s_waitcnt vmcnt(2)
	v_pk_fma_f32 v[80:81], v[86:87], v[82:83], v[96:97] op_sel:[0,0,1] op_sel_hi:[1,1,0] neg_lo:[0,0,1] neg_hi:[0,0,1]
	v_pk_fma_f32 v[82:83], v[86:87], v[82:83], v[96:97] op_sel:[0,0,1] op_sel_hi:[1,0,0]
	v_mov_b32_e32 v79, v73
	v_pk_add_f32 v[66:67], v[66:67], v[76:77]
	v_mov_b32_e32 v81, v83
	v_pk_add_f32 v[66:67], v[66:67], v[78:79]
	v_pk_add_f32 v[66:67], v[66:67], v[80:81]
	s_waitcnt vmcnt(0)
	v_pk_add_f32 v[66:67], v[84:85], v[66:67] neg_lo:[0,1] neg_hi:[0,1]
	buffer_store_dword v66, off, s[0:3], 0 offset:200
	buffer_store_dword v67, off, s[0:3], 0 offset:204
	s_and_saveexec_b64 s[4:5], vcc
	s_cbranch_execz .LBB30_151
; %bb.150:
	buffer_load_dword v66, off, s[0:3], 0 offset:192
	buffer_load_dword v67, off, s[0:3], 0 offset:196
	s_waitcnt vmcnt(0)
	ds_write_b64 v1, v[66:67]
	buffer_store_dword v64, off, s[0:3], 0 offset:192
	buffer_store_dword v64, off, s[0:3], 0 offset:196
.LBB30_151:
	s_or_b64 exec, exec, s[4:5]
	s_waitcnt lgkmcnt(0)
	; wave barrier
	s_waitcnt lgkmcnt(0)
	buffer_load_dword v79, off, s[0:3], 0 offset:204
	buffer_load_dword v81, off, s[0:3], 0 offset:212
	;; [unrolled: 1-line block ×14, first 2 shown]
	ds_read2_b64 v[66:69], v64 offset0:57 offset1:58
	ds_read2_b64 v[70:73], v64 offset0:59 offset1:60
	;; [unrolled: 1-line block ×3, first 2 shown]
	v_cmp_lt_u32_e32 vcc, 23, v0
	s_waitcnt vmcnt(13)
	v_mov_b32_e32 v64, v79
	s_waitcnt vmcnt(12)
	v_mov_b32_e32 v92, v81
	s_waitcnt lgkmcnt(2)
	v_pk_mul_f32 v[64:65], v[66:67], v[64:65] op_sel_hi:[1,0]
	s_waitcnt vmcnt(11)
	v_mov_b32_e32 v94, v83
	v_pk_mul_f32 v[92:93], v[68:69], v[92:93] op_sel_hi:[1,0]
	s_waitcnt vmcnt(10)
	v_mov_b32_e32 v96, v85
	s_waitcnt vmcnt(7)
	v_pk_fma_f32 v[102:103], v[66:67], v[78:79], v[64:65] op_sel:[0,0,1] op_sel_hi:[1,1,0] neg_lo:[0,0,1] neg_hi:[0,0,1]
	v_pk_fma_f32 v[64:65], v[66:67], v[78:79], v[64:65] op_sel:[0,0,1] op_sel_hi:[1,0,0]
	s_waitcnt lgkmcnt(1)
	v_pk_mul_f32 v[94:95], v[70:71], v[94:95] op_sel_hi:[1,0]
	s_waitcnt vmcnt(6)
	v_pk_fma_f32 v[66:67], v[68:69], v[80:81], v[92:93] op_sel:[0,0,1] op_sel_hi:[1,1,0] neg_lo:[0,0,1] neg_hi:[0,0,1]
	v_pk_fma_f32 v[68:69], v[68:69], v[80:81], v[92:93] op_sel:[0,0,1] op_sel_hi:[1,0,0]
	v_mov_b32_e32 v103, v65
	v_mov_b32_e32 v98, v87
	v_pk_mul_f32 v[96:97], v[72:73], v[96:97] op_sel_hi:[1,0]
	s_waitcnt vmcnt(5)
	v_pk_fma_f32 v[78:79], v[70:71], v[82:83], v[94:95] op_sel:[0,0,1] op_sel_hi:[1,1,0] neg_lo:[0,0,1] neg_hi:[0,0,1]
	v_pk_fma_f32 v[70:71], v[70:71], v[82:83], v[94:95] op_sel:[0,0,1] op_sel_hi:[1,0,0]
	v_mov_b32_e32 v67, v69
	v_pk_add_f32 v[64:65], v[102:103], 0 op_sel_hi:[1,0]
	v_mov_b32_e32 v100, v89
	s_waitcnt lgkmcnt(0)
	v_pk_mul_f32 v[98:99], v[74:75], v[98:99] op_sel_hi:[1,0]
	s_waitcnt vmcnt(4)
	v_pk_fma_f32 v[80:81], v[72:73], v[84:85], v[96:97] op_sel:[0,0,1] op_sel_hi:[1,1,0] neg_lo:[0,0,1] neg_hi:[0,0,1]
	v_pk_fma_f32 v[72:73], v[72:73], v[84:85], v[96:97] op_sel:[0,0,1] op_sel_hi:[1,0,0]
	v_mov_b32_e32 v79, v71
	v_pk_add_f32 v[64:65], v[64:65], v[66:67]
	v_pk_mul_f32 v[100:101], v[76:77], v[100:101] op_sel_hi:[1,0]
	s_waitcnt vmcnt(3)
	v_pk_fma_f32 v[82:83], v[74:75], v[86:87], v[98:99] op_sel:[0,0,1] op_sel_hi:[1,1,0] neg_lo:[0,0,1] neg_hi:[0,0,1]
	v_pk_fma_f32 v[74:75], v[74:75], v[86:87], v[98:99] op_sel:[0,0,1] op_sel_hi:[1,0,0]
	v_mov_b32_e32 v81, v73
	v_pk_add_f32 v[64:65], v[64:65], v[78:79]
	s_waitcnt vmcnt(2)
	v_pk_fma_f32 v[84:85], v[76:77], v[88:89], v[100:101] op_sel:[0,0,1] op_sel_hi:[1,1,0] neg_lo:[0,0,1] neg_hi:[0,0,1]
	v_pk_fma_f32 v[76:77], v[76:77], v[88:89], v[100:101] op_sel:[0,0,1] op_sel_hi:[1,0,0]
	v_mov_b32_e32 v83, v75
	v_pk_add_f32 v[64:65], v[64:65], v[80:81]
	v_mov_b32_e32 v85, v77
	v_pk_add_f32 v[64:65], v[64:65], v[82:83]
	v_pk_add_f32 v[64:65], v[64:65], v[84:85]
	s_waitcnt vmcnt(0)
	v_pk_add_f32 v[64:65], v[90:91], v[64:65] neg_lo:[0,1] neg_hi:[0,1]
	buffer_store_dword v64, off, s[0:3], 0 offset:192
	buffer_store_dword v65, off, s[0:3], 0 offset:196
	s_and_saveexec_b64 s[4:5], vcc
	s_cbranch_execz .LBB30_153
; %bb.152:
	buffer_load_dword v64, off, s[0:3], 0 offset:184
	buffer_load_dword v65, off, s[0:3], 0 offset:188
	v_mov_b32_e32 v66, 0
	buffer_store_dword v66, off, s[0:3], 0 offset:184
	buffer_store_dword v66, off, s[0:3], 0 offset:188
	s_waitcnt vmcnt(2)
	ds_write_b64 v1, v[64:65]
.LBB30_153:
	s_or_b64 exec, exec, s[4:5]
	s_waitcnt lgkmcnt(0)
	; wave barrier
	s_waitcnt lgkmcnt(0)
	buffer_load_dword v79, off, s[0:3], 0 offset:196
	buffer_load_dword v81, off, s[0:3], 0 offset:204
	;; [unrolled: 1-line block ×16, first 2 shown]
	v_mov_b32_e32 v64, 0
	ds_read_b128 v[66:69], v64 offset:448
	ds_read_b128 v[70:73], v64 offset:464
	;; [unrolled: 1-line block ×3, first 2 shown]
	ds_read_b64 v[94:95], v64 offset:496
	v_cmp_lt_u32_e32 vcc, 22, v0
	s_waitcnt vmcnt(15)
	v_mov_b32_e32 v96, v79
	s_waitcnt vmcnt(14)
	v_mov_b32_e32 v98, v81
	s_waitcnt lgkmcnt(3)
	v_pk_mul_f32 v[96:97], v[66:67], v[96:97] op_sel_hi:[1,0]
	s_waitcnt vmcnt(13)
	v_mov_b32_e32 v100, v83
	v_pk_mul_f32 v[98:99], v[68:69], v[98:99] op_sel_hi:[1,0]
	s_waitcnt vmcnt(12)
	v_mov_b32_e32 v102, v85
	s_waitcnt lgkmcnt(2)
	v_pk_mul_f32 v[100:101], v[70:71], v[100:101] op_sel_hi:[1,0]
	s_waitcnt vmcnt(8)
	v_pk_fma_f32 v[110:111], v[66:67], v[78:79], v[96:97] op_sel:[0,0,1] op_sel_hi:[1,1,0] neg_lo:[0,0,1] neg_hi:[0,0,1]
	v_pk_fma_f32 v[66:67], v[66:67], v[78:79], v[96:97] op_sel:[0,0,1] op_sel_hi:[1,0,0]
	s_waitcnt vmcnt(7)
	v_pk_fma_f32 v[78:79], v[68:69], v[80:81], v[98:99] op_sel:[0,0,1] op_sel_hi:[1,1,0] neg_lo:[0,0,1] neg_hi:[0,0,1]
	v_pk_fma_f32 v[68:69], v[68:69], v[80:81], v[98:99] op_sel:[0,0,1] op_sel_hi:[1,0,0]
	v_mov_b32_e32 v111, v67
	v_mov_b32_e32 v104, v87
	v_pk_mul_f32 v[102:103], v[72:73], v[102:103] op_sel_hi:[1,0]
	s_waitcnt vmcnt(6)
	v_pk_fma_f32 v[80:81], v[70:71], v[82:83], v[100:101] op_sel:[0,0,1] op_sel_hi:[1,1,0] neg_lo:[0,0,1] neg_hi:[0,0,1]
	v_pk_fma_f32 v[70:71], v[70:71], v[82:83], v[100:101] op_sel:[0,0,1] op_sel_hi:[1,0,0]
	v_mov_b32_e32 v79, v69
	v_pk_add_f32 v[66:67], v[110:111], 0 op_sel_hi:[1,0]
	v_mov_b32_e32 v106, v89
	s_waitcnt lgkmcnt(1)
	v_pk_mul_f32 v[104:105], v[74:75], v[104:105] op_sel_hi:[1,0]
	s_waitcnt vmcnt(5)
	v_pk_fma_f32 v[82:83], v[72:73], v[84:85], v[102:103] op_sel:[0,0,1] op_sel_hi:[1,1,0] neg_lo:[0,0,1] neg_hi:[0,0,1]
	v_pk_fma_f32 v[72:73], v[72:73], v[84:85], v[102:103] op_sel:[0,0,1] op_sel_hi:[1,0,0]
	v_mov_b32_e32 v81, v71
	v_pk_add_f32 v[66:67], v[66:67], v[78:79]
	v_mov_b32_e32 v108, v91
	v_pk_mul_f32 v[106:107], v[76:77], v[106:107] op_sel_hi:[1,0]
	s_waitcnt vmcnt(4)
	v_pk_fma_f32 v[84:85], v[74:75], v[86:87], v[104:105] op_sel:[0,0,1] op_sel_hi:[1,1,0] neg_lo:[0,0,1] neg_hi:[0,0,1]
	v_pk_fma_f32 v[74:75], v[74:75], v[86:87], v[104:105] op_sel:[0,0,1] op_sel_hi:[1,0,0]
	v_mov_b32_e32 v83, v73
	v_pk_add_f32 v[66:67], v[66:67], v[80:81]
	s_waitcnt lgkmcnt(0)
	v_pk_mul_f32 v[108:109], v[94:95], v[108:109] op_sel_hi:[1,0]
	s_waitcnt vmcnt(3)
	v_pk_fma_f32 v[86:87], v[76:77], v[88:89], v[106:107] op_sel:[0,0,1] op_sel_hi:[1,1,0] neg_lo:[0,0,1] neg_hi:[0,0,1]
	v_pk_fma_f32 v[76:77], v[76:77], v[88:89], v[106:107] op_sel:[0,0,1] op_sel_hi:[1,0,0]
	v_mov_b32_e32 v85, v75
	v_pk_add_f32 v[66:67], v[66:67], v[82:83]
	s_waitcnt vmcnt(2)
	v_pk_fma_f32 v[88:89], v[94:95], v[90:91], v[108:109] op_sel:[0,0,1] op_sel_hi:[1,1,0] neg_lo:[0,0,1] neg_hi:[0,0,1]
	v_pk_fma_f32 v[90:91], v[94:95], v[90:91], v[108:109] op_sel:[0,0,1] op_sel_hi:[1,0,0]
	v_mov_b32_e32 v87, v77
	v_pk_add_f32 v[66:67], v[66:67], v[84:85]
	v_mov_b32_e32 v89, v91
	v_pk_add_f32 v[66:67], v[66:67], v[86:87]
	v_pk_add_f32 v[66:67], v[66:67], v[88:89]
	s_waitcnt vmcnt(0)
	v_pk_add_f32 v[66:67], v[92:93], v[66:67] neg_lo:[0,1] neg_hi:[0,1]
	buffer_store_dword v66, off, s[0:3], 0 offset:184
	buffer_store_dword v67, off, s[0:3], 0 offset:188
	s_and_saveexec_b64 s[4:5], vcc
	s_cbranch_execz .LBB30_155
; %bb.154:
	buffer_load_dword v66, off, s[0:3], 0 offset:176
	buffer_load_dword v67, off, s[0:3], 0 offset:180
	s_waitcnt vmcnt(0)
	ds_write_b64 v1, v[66:67]
	buffer_store_dword v64, off, s[0:3], 0 offset:176
	buffer_store_dword v64, off, s[0:3], 0 offset:180
.LBB30_155:
	s_or_b64 exec, exec, s[4:5]
	s_waitcnt lgkmcnt(0)
	; wave barrier
	s_waitcnt lgkmcnt(0)
	buffer_load_dword v83, off, s[0:3], 0 offset:188
	buffer_load_dword v85, off, s[0:3], 0 offset:196
	;; [unrolled: 1-line block ×18, first 2 shown]
	ds_read2_b64 v[66:69], v64 offset0:55 offset1:56
	ds_read2_b64 v[70:73], v64 offset0:57 offset1:58
	;; [unrolled: 1-line block ×4, first 2 shown]
	v_cmp_lt_u32_e32 vcc, 21, v0
	s_waitcnt vmcnt(17)
	v_mov_b32_e32 v64, v83
	s_waitcnt vmcnt(16)
	v_mov_b32_e32 v100, v85
	s_waitcnt lgkmcnt(3)
	v_pk_mul_f32 v[64:65], v[66:67], v[64:65] op_sel_hi:[1,0]
	s_waitcnt vmcnt(15)
	v_mov_b32_e32 v102, v87
	v_pk_mul_f32 v[100:101], v[68:69], v[100:101] op_sel_hi:[1,0]
	s_waitcnt vmcnt(14)
	v_mov_b32_e32 v104, v89
	s_waitcnt lgkmcnt(2)
	v_pk_mul_f32 v[102:103], v[70:71], v[102:103] op_sel_hi:[1,0]
	s_waitcnt vmcnt(13)
	v_mov_b32_e32 v106, v91
	s_waitcnt vmcnt(9)
	v_pk_fma_f32 v[114:115], v[66:67], v[82:83], v[64:65] op_sel:[0,0,1] op_sel_hi:[1,1,0] neg_lo:[0,0,1] neg_hi:[0,0,1]
	v_pk_fma_f32 v[64:65], v[66:67], v[82:83], v[64:65] op_sel:[0,0,1] op_sel_hi:[1,0,0]
	s_waitcnt vmcnt(8)
	v_pk_fma_f32 v[66:67], v[68:69], v[84:85], v[100:101] op_sel:[0,0,1] op_sel_hi:[1,1,0] neg_lo:[0,0,1] neg_hi:[0,0,1]
	v_pk_fma_f32 v[68:69], v[68:69], v[84:85], v[100:101] op_sel:[0,0,1] op_sel_hi:[1,0,0]
	v_mov_b32_e32 v115, v65
	v_pk_mul_f32 v[104:105], v[72:73], v[104:105] op_sel_hi:[1,0]
	s_waitcnt vmcnt(7)
	v_pk_fma_f32 v[82:83], v[70:71], v[86:87], v[102:103] op_sel:[0,0,1] op_sel_hi:[1,1,0] neg_lo:[0,0,1] neg_hi:[0,0,1]
	v_pk_fma_f32 v[70:71], v[70:71], v[86:87], v[102:103] op_sel:[0,0,1] op_sel_hi:[1,0,0]
	v_mov_b32_e32 v67, v69
	v_pk_add_f32 v[64:65], v[114:115], 0 op_sel_hi:[1,0]
	v_mov_b32_e32 v108, v93
	s_waitcnt lgkmcnt(1)
	v_pk_mul_f32 v[106:107], v[74:75], v[106:107] op_sel_hi:[1,0]
	s_waitcnt vmcnt(6)
	v_pk_fma_f32 v[84:85], v[72:73], v[88:89], v[104:105] op_sel:[0,0,1] op_sel_hi:[1,1,0] neg_lo:[0,0,1] neg_hi:[0,0,1]
	v_pk_fma_f32 v[72:73], v[72:73], v[88:89], v[104:105] op_sel:[0,0,1] op_sel_hi:[1,0,0]
	v_mov_b32_e32 v83, v71
	v_pk_add_f32 v[64:65], v[64:65], v[66:67]
	v_mov_b32_e32 v110, v95
	v_pk_mul_f32 v[108:109], v[76:77], v[108:109] op_sel_hi:[1,0]
	s_waitcnt vmcnt(5)
	v_pk_fma_f32 v[86:87], v[74:75], v[90:91], v[106:107] op_sel:[0,0,1] op_sel_hi:[1,1,0] neg_lo:[0,0,1] neg_hi:[0,0,1]
	v_pk_fma_f32 v[74:75], v[74:75], v[90:91], v[106:107] op_sel:[0,0,1] op_sel_hi:[1,0,0]
	v_mov_b32_e32 v85, v73
	v_pk_add_f32 v[64:65], v[64:65], v[82:83]
	v_mov_b32_e32 v112, v97
	s_waitcnt lgkmcnt(0)
	v_pk_mul_f32 v[110:111], v[78:79], v[110:111] op_sel_hi:[1,0]
	s_waitcnt vmcnt(4)
	v_pk_fma_f32 v[88:89], v[76:77], v[92:93], v[108:109] op_sel:[0,0,1] op_sel_hi:[1,1,0] neg_lo:[0,0,1] neg_hi:[0,0,1]
	v_pk_fma_f32 v[76:77], v[76:77], v[92:93], v[108:109] op_sel:[0,0,1] op_sel_hi:[1,0,0]
	v_mov_b32_e32 v87, v75
	v_pk_add_f32 v[64:65], v[64:65], v[84:85]
	v_pk_mul_f32 v[112:113], v[80:81], v[112:113] op_sel_hi:[1,0]
	s_waitcnt vmcnt(3)
	v_pk_fma_f32 v[90:91], v[78:79], v[94:95], v[110:111] op_sel:[0,0,1] op_sel_hi:[1,1,0] neg_lo:[0,0,1] neg_hi:[0,0,1]
	v_pk_fma_f32 v[78:79], v[78:79], v[94:95], v[110:111] op_sel:[0,0,1] op_sel_hi:[1,0,0]
	v_mov_b32_e32 v89, v77
	v_pk_add_f32 v[64:65], v[64:65], v[86:87]
	s_waitcnt vmcnt(2)
	v_pk_fma_f32 v[92:93], v[80:81], v[96:97], v[112:113] op_sel:[0,0,1] op_sel_hi:[1,1,0] neg_lo:[0,0,1] neg_hi:[0,0,1]
	v_pk_fma_f32 v[80:81], v[80:81], v[96:97], v[112:113] op_sel:[0,0,1] op_sel_hi:[1,0,0]
	v_mov_b32_e32 v91, v79
	v_pk_add_f32 v[64:65], v[64:65], v[88:89]
	v_mov_b32_e32 v93, v81
	v_pk_add_f32 v[64:65], v[64:65], v[90:91]
	v_pk_add_f32 v[64:65], v[64:65], v[92:93]
	s_waitcnt vmcnt(0)
	v_pk_add_f32 v[64:65], v[98:99], v[64:65] neg_lo:[0,1] neg_hi:[0,1]
	buffer_store_dword v64, off, s[0:3], 0 offset:176
	buffer_store_dword v65, off, s[0:3], 0 offset:180
	s_and_saveexec_b64 s[4:5], vcc
	s_cbranch_execz .LBB30_157
; %bb.156:
	buffer_load_dword v64, off, s[0:3], 0 offset:168
	buffer_load_dword v65, off, s[0:3], 0 offset:172
	v_mov_b32_e32 v66, 0
	buffer_store_dword v66, off, s[0:3], 0 offset:168
	buffer_store_dword v66, off, s[0:3], 0 offset:172
	s_waitcnt vmcnt(2)
	ds_write_b64 v1, v[64:65]
.LBB30_157:
	s_or_b64 exec, exec, s[4:5]
	s_waitcnt lgkmcnt(0)
	; wave barrier
	s_waitcnt lgkmcnt(0)
	buffer_load_dword v65, off, s[0:3], 0 offset:180
	buffer_load_dword v83, off, s[0:3], 0 offset:188
	;; [unrolled: 1-line block ×20, first 2 shown]
	v_mov_b32_e32 v64, 0
	ds_read_b128 v[66:69], v64 offset:432
	ds_read_b128 v[70:73], v64 offset:448
	ds_read_b128 v[74:77], v64 offset:464
	ds_read_b128 v[78:81], v64 offset:480
	ds_read_b64 v[100:101], v64 offset:496
	v_cmp_lt_u32_e32 vcc, 20, v0
	s_waitcnt vmcnt(19) lgkmcnt(4)
	v_mul_f32_e32 v103, v66, v65
	v_mul_f32_e32 v65, v67, v65
	s_waitcnt vmcnt(18)
	v_mov_b32_e32 v104, v83
	s_waitcnt vmcnt(17)
	v_mov_b32_e32 v106, v85
	;; [unrolled: 2-line block ×8, first 2 shown]
	s_waitcnt vmcnt(10)
	v_fmac_f32_e32 v103, v67, v102
	v_fma_f32 v102, v66, v102, -v65
	v_pk_mul_f32 v[66:67], v[68:69], v[104:105] op_sel_hi:[1,0]
	s_waitcnt lgkmcnt(3)
	v_pk_mul_f32 v[104:105], v[70:71], v[106:107] op_sel_hi:[1,0]
	v_pk_mul_f32 v[106:107], v[72:73], v[108:109] op_sel_hi:[1,0]
	s_waitcnt lgkmcnt(2)
	v_pk_mul_f32 v[108:109], v[74:75], v[110:111] op_sel_hi:[1,0]
	;; [unrolled: 3-line block ×4, first 2 shown]
	s_waitcnt vmcnt(9)
	v_pk_fma_f32 v[118:119], v[68:69], v[82:83], v[66:67] op_sel:[0,0,1] op_sel_hi:[1,1,0] neg_lo:[0,0,1] neg_hi:[0,0,1]
	v_pk_fma_f32 v[66:67], v[68:69], v[82:83], v[66:67] op_sel:[0,0,1] op_sel_hi:[1,0,0]
	v_pk_add_f32 v[102:103], v[102:103], 0 op_sel_hi:[1,0]
	s_waitcnt vmcnt(8)
	v_pk_fma_f32 v[68:69], v[70:71], v[84:85], v[104:105] op_sel:[0,0,1] op_sel_hi:[1,1,0] neg_lo:[0,0,1] neg_hi:[0,0,1]
	v_pk_fma_f32 v[70:71], v[70:71], v[84:85], v[104:105] op_sel:[0,0,1] op_sel_hi:[1,0,0]
	v_mov_b32_e32 v119, v67
	s_waitcnt vmcnt(7)
	v_pk_fma_f32 v[82:83], v[72:73], v[86:87], v[106:107] op_sel:[0,0,1] op_sel_hi:[1,1,0] neg_lo:[0,0,1] neg_hi:[0,0,1]
	v_pk_fma_f32 v[72:73], v[72:73], v[86:87], v[106:107] op_sel:[0,0,1] op_sel_hi:[1,0,0]
	v_mov_b32_e32 v69, v71
	v_pk_add_f32 v[66:67], v[102:103], v[118:119]
	s_waitcnt vmcnt(6)
	v_pk_fma_f32 v[84:85], v[74:75], v[88:89], v[108:109] op_sel:[0,0,1] op_sel_hi:[1,1,0] neg_lo:[0,0,1] neg_hi:[0,0,1]
	v_pk_fma_f32 v[74:75], v[74:75], v[88:89], v[108:109] op_sel:[0,0,1] op_sel_hi:[1,0,0]
	v_mov_b32_e32 v83, v73
	v_pk_add_f32 v[66:67], v[66:67], v[68:69]
	;; [unrolled: 5-line block ×5, first 2 shown]
	v_pk_fma_f32 v[92:93], v[100:101], v[96:97], v[116:117] op_sel:[0,0,1] op_sel_hi:[1,1,0] neg_lo:[0,0,1] neg_hi:[0,0,1]
	v_pk_fma_f32 v[94:95], v[100:101], v[96:97], v[116:117] op_sel:[0,0,1] op_sel_hi:[1,0,0]
	v_mov_b32_e32 v91, v81
	v_pk_add_f32 v[66:67], v[66:67], v[88:89]
	v_mov_b32_e32 v93, v95
	v_pk_add_f32 v[66:67], v[66:67], v[90:91]
	v_pk_add_f32 v[66:67], v[66:67], v[92:93]
	s_waitcnt vmcnt(0)
	v_pk_add_f32 v[66:67], v[98:99], v[66:67] neg_lo:[0,1] neg_hi:[0,1]
	buffer_store_dword v66, off, s[0:3], 0 offset:168
	buffer_store_dword v67, off, s[0:3], 0 offset:172
	s_and_saveexec_b64 s[4:5], vcc
	s_cbranch_execz .LBB30_159
; %bb.158:
	buffer_load_dword v66, off, s[0:3], 0 offset:160
	buffer_load_dword v67, off, s[0:3], 0 offset:164
	s_waitcnt vmcnt(0)
	ds_write_b64 v1, v[66:67]
	buffer_store_dword v64, off, s[0:3], 0 offset:160
	buffer_store_dword v64, off, s[0:3], 0 offset:164
.LBB30_159:
	s_or_b64 exec, exec, s[4:5]
	s_waitcnt lgkmcnt(0)
	; wave barrier
	s_waitcnt lgkmcnt(0)
	buffer_load_dword v104, off, s[0:3], 0 offset:172
	buffer_load_dword v106, off, s[0:3], 0 offset:180
	;; [unrolled: 1-line block ×22, first 2 shown]
	ds_read2_b64 v[66:69], v64 offset0:53 offset1:54
	ds_read2_b64 v[70:73], v64 offset0:55 offset1:56
	;; [unrolled: 1-line block ×5, first 2 shown]
	v_cmp_lt_u32_e32 vcc, 19, v0
	s_waitcnt vmcnt(21) lgkmcnt(4)
	v_mul_f32_e32 v65, v66, v104
	s_waitcnt vmcnt(20)
	v_mul_f32_e32 v105, v68, v106
	v_mul_f32_e32 v64, v67, v104
	v_mul_f32_e32 v104, v69, v106
	s_waitcnt vmcnt(19)
	v_mov_b32_e32 v106, v87
	s_waitcnt vmcnt(18)
	v_mov_b32_e32 v108, v89
	;; [unrolled: 2-line block ×5, first 2 shown]
	v_mov_b32_e32 v112, v93
	s_waitcnt vmcnt(11)
	v_fmac_f32_e32 v65, v67, v107
	v_fma_f32 v64, v66, v107, -v64
	s_waitcnt lgkmcnt(3)
	v_pk_mul_f32 v[66:67], v[70:71], v[106:107] op_sel_hi:[1,0]
	s_waitcnt vmcnt(10)
	v_fmac_f32_e32 v105, v69, v109
	v_fma_f32 v104, v68, v109, -v104
	v_pk_mul_f32 v[68:69], v[72:73], v[108:109] op_sel_hi:[1,0]
	s_waitcnt lgkmcnt(2)
	v_pk_mul_f32 v[106:107], v[74:75], v[110:111] op_sel_hi:[1,0]
	s_waitcnt lgkmcnt(1)
	;; [unrolled: 2-line block ×3, first 2 shown]
	v_pk_mul_f32 v[114:115], v[82:83], v[118:119] op_sel_hi:[1,0]
	v_pk_add_f32 v[64:65], v[64:65], 0 op_sel_hi:[1,0]
	s_waitcnt vmcnt(9)
	v_pk_fma_f32 v[118:119], v[70:71], v[86:87], v[66:67] op_sel:[0,0,1] op_sel_hi:[1,1,0] neg_lo:[0,0,1] neg_hi:[0,0,1]
	v_pk_fma_f32 v[66:67], v[70:71], v[86:87], v[66:67] op_sel:[0,0,1] op_sel_hi:[1,0,0]
	s_waitcnt vmcnt(8)
	v_pk_fma_f32 v[70:71], v[72:73], v[88:89], v[68:69] op_sel:[0,0,1] op_sel_hi:[1,1,0] neg_lo:[0,0,1] neg_hi:[0,0,1]
	v_pk_fma_f32 v[68:69], v[72:73], v[88:89], v[68:69] op_sel:[0,0,1] op_sel_hi:[1,0,0]
	v_pk_add_f32 v[64:65], v[64:65], v[104:105]
	v_mov_b32_e32 v119, v67
	v_pk_mul_f32 v[108:109], v[76:77], v[112:113] op_sel_hi:[1,0]
	s_waitcnt vmcnt(7)
	v_pk_fma_f32 v[72:73], v[74:75], v[90:91], v[106:107] op_sel:[0,0,1] op_sel_hi:[1,1,0] neg_lo:[0,0,1] neg_hi:[0,0,1]
	v_pk_fma_f32 v[74:75], v[74:75], v[90:91], v[106:107] op_sel:[0,0,1] op_sel_hi:[1,0,0]
	v_mov_b32_e32 v71, v69
	v_pk_add_f32 v[64:65], v[64:65], v[118:119]
	v_mov_b32_e32 v116, v97
	s_waitcnt vmcnt(6)
	v_pk_fma_f32 v[86:87], v[76:77], v[92:93], v[108:109] op_sel:[0,0,1] op_sel_hi:[1,1,0] neg_lo:[0,0,1] neg_hi:[0,0,1]
	v_pk_fma_f32 v[76:77], v[76:77], v[92:93], v[108:109] op_sel:[0,0,1] op_sel_hi:[1,0,0]
	v_mov_b32_e32 v73, v75
	v_pk_add_f32 v[64:65], v[64:65], v[70:71]
	v_pk_mul_f32 v[112:113], v[80:81], v[116:117] op_sel_hi:[1,0]
	s_waitcnt vmcnt(5)
	v_pk_fma_f32 v[88:89], v[78:79], v[94:95], v[110:111] op_sel:[0,0,1] op_sel_hi:[1,1,0] neg_lo:[0,0,1] neg_hi:[0,0,1]
	v_pk_fma_f32 v[78:79], v[78:79], v[94:95], v[110:111] op_sel:[0,0,1] op_sel_hi:[1,0,0]
	v_mov_b32_e32 v87, v77
	v_pk_add_f32 v[64:65], v[64:65], v[72:73]
	v_mov_b32_e32 v120, v101
	s_waitcnt vmcnt(2)
	v_pk_fma_f32 v[90:91], v[80:81], v[96:97], v[112:113] op_sel:[0,0,1] op_sel_hi:[1,1,0] neg_lo:[0,0,1] neg_hi:[0,0,1]
	v_pk_fma_f32 v[80:81], v[80:81], v[96:97], v[112:113] op_sel:[0,0,1] op_sel_hi:[1,0,0]
	v_mov_b32_e32 v89, v79
	v_pk_add_f32 v[64:65], v[64:65], v[86:87]
	v_pk_mul_f32 v[116:117], v[84:85], v[120:121] op_sel_hi:[1,0]
	v_pk_fma_f32 v[92:93], v[82:83], v[98:99], v[114:115] op_sel:[0,0,1] op_sel_hi:[1,1,0] neg_lo:[0,0,1] neg_hi:[0,0,1]
	v_pk_fma_f32 v[82:83], v[82:83], v[98:99], v[114:115] op_sel:[0,0,1] op_sel_hi:[1,0,0]
	v_mov_b32_e32 v91, v81
	v_pk_add_f32 v[64:65], v[64:65], v[88:89]
	v_pk_fma_f32 v[94:95], v[84:85], v[100:101], v[116:117] op_sel:[0,0,1] op_sel_hi:[1,1,0] neg_lo:[0,0,1] neg_hi:[0,0,1]
	v_pk_fma_f32 v[84:85], v[84:85], v[100:101], v[116:117] op_sel:[0,0,1] op_sel_hi:[1,0,0]
	v_mov_b32_e32 v93, v83
	v_pk_add_f32 v[64:65], v[64:65], v[90:91]
	v_mov_b32_e32 v95, v85
	v_pk_add_f32 v[64:65], v[64:65], v[92:93]
	v_pk_add_f32 v[64:65], v[64:65], v[94:95]
	s_waitcnt vmcnt(0)
	v_pk_add_f32 v[64:65], v[102:103], v[64:65] neg_lo:[0,1] neg_hi:[0,1]
	buffer_store_dword v64, off, s[0:3], 0 offset:160
	buffer_store_dword v65, off, s[0:3], 0 offset:164
	s_and_saveexec_b64 s[4:5], vcc
	s_cbranch_execz .LBB30_161
; %bb.160:
	buffer_load_dword v64, off, s[0:3], 0 offset:152
	buffer_load_dword v65, off, s[0:3], 0 offset:156
	v_mov_b32_e32 v66, 0
	buffer_store_dword v66, off, s[0:3], 0 offset:152
	buffer_store_dword v66, off, s[0:3], 0 offset:156
	s_waitcnt vmcnt(2)
	ds_write_b64 v1, v[64:65]
.LBB30_161:
	s_or_b64 exec, exec, s[4:5]
	s_waitcnt lgkmcnt(0)
	; wave barrier
	s_waitcnt lgkmcnt(0)
	buffer_load_dword v65, off, s[0:3], 0 offset:164
	buffer_load_dword v106, off, s[0:3], 0 offset:172
	;; [unrolled: 1-line block ×24, first 2 shown]
	v_mov_b32_e32 v64, 0
	ds_read_b128 v[66:69], v64 offset:416
	ds_read_b128 v[70:73], v64 offset:432
	;; [unrolled: 1-line block ×5, first 2 shown]
	ds_read_b64 v[104:105], v64 offset:496
	v_cmp_lt_u32_e32 vcc, 18, v0
	s_waitcnt vmcnt(23) lgkmcnt(5)
	v_mul_f32_e32 v119, v66, v65
	v_mul_f32_e32 v65, v67, v65
	s_waitcnt vmcnt(22)
	v_mul_f32_e32 v107, v68, v106
	s_waitcnt vmcnt(21) lgkmcnt(4)
	v_mul_f32_e32 v109, v70, v108
	v_mul_f32_e32 v106, v69, v106
	;; [unrolled: 1-line block ×3, first 2 shown]
	s_waitcnt vmcnt(20)
	v_mov_b32_e32 v110, v87
	s_waitcnt vmcnt(19)
	v_mov_b32_e32 v112, v89
	;; [unrolled: 2-line block ×5, first 2 shown]
	s_waitcnt vmcnt(12)
	v_fmac_f32_e32 v119, v67, v111
	v_fma_f32 v65, v66, v111, -v65
	v_mov_b32_e32 v120, v97
	s_waitcnt vmcnt(11)
	v_fmac_f32_e32 v107, v69, v113
	s_waitcnt vmcnt(10)
	v_fmac_f32_e32 v109, v71, v115
	v_fma_f32 v106, v68, v113, -v106
	v_fma_f32 v108, v70, v115, -v108
	v_pk_mul_f32 v[66:67], v[72:73], v[110:111] op_sel_hi:[1,0]
	s_waitcnt lgkmcnt(3)
	v_pk_mul_f32 v[68:69], v[74:75], v[112:113] op_sel_hi:[1,0]
	v_pk_mul_f32 v[70:71], v[76:77], v[114:115] op_sel_hi:[1,0]
	s_waitcnt lgkmcnt(2)
	v_pk_mul_f32 v[110:111], v[78:79], v[116:117] op_sel_hi:[1,0]
	v_pk_mul_f32 v[112:113], v[80:81], v[118:119] op_sel_hi:[1,0]
	v_add_f32_e32 v119, 0, v119
	v_add_f32_e32 v118, 0, v65
	s_waitcnt lgkmcnt(1)
	v_pk_mul_f32 v[114:115], v[82:83], v[120:121] op_sel_hi:[1,0]
	s_waitcnt vmcnt(9)
	v_pk_fma_f32 v[120:121], v[72:73], v[86:87], v[66:67] op_sel:[0,0,1] op_sel_hi:[1,1,0] neg_lo:[0,0,1] neg_hi:[0,0,1]
	v_pk_fma_f32 v[66:67], v[72:73], v[86:87], v[66:67] op_sel:[0,0,1] op_sel_hi:[1,0,0]
	s_waitcnt vmcnt(8)
	v_pk_fma_f32 v[72:73], v[74:75], v[88:89], v[68:69] op_sel:[0,0,1] op_sel_hi:[1,1,0] neg_lo:[0,0,1] neg_hi:[0,0,1]
	v_pk_fma_f32 v[68:69], v[74:75], v[88:89], v[68:69] op_sel:[0,0,1] op_sel_hi:[1,0,0]
	;; [unrolled: 3-line block ×4, first 2 shown]
	v_pk_add_f32 v[92:93], v[118:119], v[106:107]
	v_mov_b32_e32 v121, v67
	v_pk_add_f32 v[66:67], v[92:93], v[108:109]
	v_mov_b32_e32 v73, v69
	;; [unrolled: 2-line block ×4, first 2 shown]
	s_waitcnt vmcnt(2)
	v_pk_fma_f32 v[86:87], v[80:81], v[94:95], v[112:113] op_sel:[0,0,1] op_sel_hi:[1,1,0] neg_lo:[0,0,1] neg_hi:[0,0,1]
	v_pk_fma_f32 v[80:81], v[80:81], v[94:95], v[112:113] op_sel:[0,0,1] op_sel_hi:[1,0,0]
	v_mov_b32_e32 v77, v79
	v_pk_add_f32 v[66:67], v[66:67], v[74:75]
	v_mov_b32_e32 v124, v101
	v_pk_mul_f32 v[116:117], v[84:85], v[122:123] op_sel_hi:[1,0]
	v_pk_fma_f32 v[88:89], v[82:83], v[96:97], v[114:115] op_sel:[0,0,1] op_sel_hi:[1,1,0] neg_lo:[0,0,1] neg_hi:[0,0,1]
	v_pk_fma_f32 v[82:83], v[82:83], v[96:97], v[114:115] op_sel:[0,0,1] op_sel_hi:[1,0,0]
	v_mov_b32_e32 v87, v81
	v_pk_add_f32 v[66:67], v[66:67], v[76:77]
	v_pk_fma_f32 v[90:91], v[84:85], v[98:99], v[116:117] op_sel:[0,0,1] op_sel_hi:[1,1,0] neg_lo:[0,0,1] neg_hi:[0,0,1]
	v_pk_fma_f32 v[84:85], v[84:85], v[98:99], v[116:117] op_sel:[0,0,1] op_sel_hi:[1,0,0]
	v_mov_b32_e32 v89, v83
	v_pk_add_f32 v[66:67], v[66:67], v[86:87]
	s_waitcnt lgkmcnt(0)
	v_pk_mul_f32 v[68:69], v[104:105], v[124:125] op_sel_hi:[1,0]
	v_mov_b32_e32 v91, v85
	v_pk_add_f32 v[66:67], v[66:67], v[88:89]
	v_pk_fma_f32 v[70:71], v[104:105], v[100:101], v[68:69] op_sel:[0,0,1] op_sel_hi:[1,1,0] neg_lo:[0,0,1] neg_hi:[0,0,1]
	v_pk_fma_f32 v[68:69], v[104:105], v[100:101], v[68:69] op_sel:[0,0,1] op_sel_hi:[1,0,0]
	v_pk_add_f32 v[66:67], v[66:67], v[90:91]
	v_mov_b32_e32 v71, v69
	v_pk_add_f32 v[66:67], v[66:67], v[70:71]
	s_waitcnt vmcnt(0)
	v_pk_add_f32 v[66:67], v[102:103], v[66:67] neg_lo:[0,1] neg_hi:[0,1]
	buffer_store_dword v67, off, s[0:3], 0 offset:156
	buffer_store_dword v66, off, s[0:3], 0 offset:152
	s_and_saveexec_b64 s[4:5], vcc
	s_cbranch_execz .LBB30_163
; %bb.162:
	buffer_load_dword v66, off, s[0:3], 0 offset:144
	buffer_load_dword v67, off, s[0:3], 0 offset:148
	s_waitcnt vmcnt(0)
	ds_write_b64 v1, v[66:67]
	buffer_store_dword v64, off, s[0:3], 0 offset:144
	buffer_store_dword v64, off, s[0:3], 0 offset:148
.LBB30_163:
	s_or_b64 exec, exec, s[4:5]
	s_waitcnt lgkmcnt(0)
	; wave barrier
	s_waitcnt lgkmcnt(0)
	buffer_load_dword v108, off, s[0:3], 0 offset:156
	buffer_load_dword v110, off, s[0:3], 0 offset:164
	;; [unrolled: 1-line block ×26, first 2 shown]
	ds_read2_b64 v[66:69], v64 offset0:51 offset1:52
	ds_read2_b64 v[70:73], v64 offset0:53 offset1:54
	;; [unrolled: 1-line block ×6, first 2 shown]
	v_cmp_lt_u32_e32 vcc, 17, v0
	s_waitcnt vmcnt(25) lgkmcnt(5)
	v_mul_f32_e32 v121, v66, v108
	v_mul_f32_e32 v64, v67, v108
	s_waitcnt vmcnt(24)
	v_mul_f32_e32 v122, v68, v110
	s_waitcnt vmcnt(23) lgkmcnt(4)
	v_mul_f32_e32 v65, v70, v111
	s_waitcnt vmcnt(22)
	v_mul_f32_e32 v109, v72, v112
	v_mul_f32_e32 v108, v69, v110
	;; [unrolled: 1-line block ×4, first 2 shown]
	s_waitcnt vmcnt(21)
	v_mov_b32_e32 v110, v91
	s_waitcnt vmcnt(20)
	v_mov_b32_e32 v112, v93
	;; [unrolled: 2-line block ×3, first 2 shown]
	s_waitcnt vmcnt(15)
	v_fmac_f32_e32 v121, v67, v113
	v_fma_f32 v124, v66, v113, -v64
	v_mov_b32_e32 v114, v95
	s_waitcnt vmcnt(14)
	v_fmac_f32_e32 v122, v69, v115
	s_waitcnt vmcnt(13)
	v_fmac_f32_e32 v65, v71, v117
	;; [unrolled: 2-line block ×3, first 2 shown]
	v_fma_f32 v125, v68, v115, -v108
	v_fma_f32 v64, v70, v117, -v111
	;; [unrolled: 1-line block ×3, first 2 shown]
	s_waitcnt lgkmcnt(3)
	v_pk_mul_f32 v[66:67], v[74:75], v[110:111] op_sel_hi:[1,0]
	v_pk_mul_f32 v[68:69], v[76:77], v[112:113] op_sel_hi:[1,0]
	s_waitcnt lgkmcnt(2)
	v_pk_mul_f32 v[72:73], v[80:81], v[116:117] op_sel_hi:[1,0]
	v_add_f32_e32 v116, 0, v121
	v_add_f32_e32 v117, 0, v124
	v_pk_mul_f32 v[70:71], v[78:79], v[114:115] op_sel_hi:[1,0]
	s_waitcnt vmcnt(11)
	v_pk_fma_f32 v[114:115], v[74:75], v[90:91], v[66:67] op_sel:[0,0,1] op_sel_hi:[1,1,0] neg_lo:[0,0,1] neg_hi:[0,0,1]
	v_pk_fma_f32 v[66:67], v[74:75], v[90:91], v[66:67] op_sel:[0,0,1] op_sel_hi:[1,0,0]
	s_waitcnt vmcnt(10)
	v_pk_fma_f32 v[74:75], v[76:77], v[92:93], v[68:69] op_sel:[0,0,1] op_sel_hi:[1,1,0] neg_lo:[0,0,1] neg_hi:[0,0,1]
	v_pk_fma_f32 v[68:69], v[76:77], v[92:93], v[68:69] op_sel:[0,0,1] op_sel_hi:[1,0,0]
	v_add_f32_e32 v93, v116, v122
	v_add_f32_e32 v92, v117, v125
	v_pk_add_f32 v[64:65], v[92:93], v[64:65]
	v_mov_b32_e32 v115, v67
	v_pk_add_f32 v[64:65], v[64:65], v[108:109]
	v_mov_b32_e32 v118, v99
	s_waitcnt vmcnt(9)
	v_pk_fma_f32 v[76:77], v[78:79], v[94:95], v[70:71] op_sel:[0,0,1] op_sel_hi:[1,1,0] neg_lo:[0,0,1] neg_hi:[0,0,1]
	v_pk_fma_f32 v[70:71], v[78:79], v[94:95], v[70:71] op_sel:[0,0,1] op_sel_hi:[1,0,0]
	v_mov_b32_e32 v75, v69
	v_pk_add_f32 v[64:65], v[64:65], v[114:115]
	v_mov_b32_e32 v120, v101
	s_waitcnt lgkmcnt(1)
	v_pk_mul_f32 v[110:111], v[82:83], v[118:119] op_sel_hi:[1,0]
	s_waitcnt vmcnt(5)
	v_pk_fma_f32 v[78:79], v[80:81], v[96:97], v[72:73] op_sel:[0,0,1] op_sel_hi:[1,1,0] neg_lo:[0,0,1] neg_hi:[0,0,1]
	v_pk_fma_f32 v[72:73], v[80:81], v[96:97], v[72:73] op_sel:[0,0,1] op_sel_hi:[1,0,0]
	v_mov_b32_e32 v77, v71
	v_pk_add_f32 v[64:65], v[64:65], v[74:75]
	s_waitcnt vmcnt(4)
	v_mov_b32_e32 v66, v103
	v_pk_mul_f32 v[112:113], v[84:85], v[120:121] op_sel_hi:[1,0]
	v_pk_fma_f32 v[80:81], v[82:83], v[98:99], v[110:111] op_sel:[0,0,1] op_sel_hi:[1,1,0] neg_lo:[0,0,1] neg_hi:[0,0,1]
	v_pk_fma_f32 v[82:83], v[82:83], v[98:99], v[110:111] op_sel:[0,0,1] op_sel_hi:[1,0,0]
	v_mov_b32_e32 v79, v73
	v_pk_add_f32 v[64:65], v[64:65], v[76:77]
	s_waitcnt lgkmcnt(0)
	v_pk_mul_f32 v[66:67], v[86:87], v[66:67] op_sel_hi:[1,0]
	v_pk_fma_f32 v[90:91], v[84:85], v[100:101], v[112:113] op_sel:[0,0,1] op_sel_hi:[1,1,0] neg_lo:[0,0,1] neg_hi:[0,0,1]
	v_pk_fma_f32 v[84:85], v[84:85], v[100:101], v[112:113] op_sel:[0,0,1] op_sel_hi:[1,0,0]
	v_mov_b32_e32 v81, v83
	v_pk_add_f32 v[64:65], v[64:65], v[78:79]
	v_pk_fma_f32 v[68:69], v[86:87], v[102:103], v[66:67] op_sel:[0,0,1] op_sel_hi:[1,1,0] neg_lo:[0,0,1] neg_hi:[0,0,1]
	v_pk_fma_f32 v[66:67], v[86:87], v[102:103], v[66:67] op_sel:[0,0,1] op_sel_hi:[1,0,0]
	v_mov_b32_e32 v91, v85
	v_pk_add_f32 v[64:65], v[64:65], v[80:81]
	s_waitcnt vmcnt(3)
	v_mov_b32_e32 v66, v105
	v_pk_add_f32 v[64:65], v[64:65], v[90:91]
	v_mov_b32_e32 v69, v67
	v_pk_mul_f32 v[66:67], v[88:89], v[66:67] op_sel_hi:[1,0]
	v_pk_add_f32 v[64:65], v[64:65], v[68:69]
	s_waitcnt vmcnt(2)
	v_pk_fma_f32 v[68:69], v[88:89], v[104:105], v[66:67] op_sel:[0,0,1] op_sel_hi:[1,1,0] neg_lo:[0,0,1] neg_hi:[0,0,1]
	v_pk_fma_f32 v[66:67], v[88:89], v[104:105], v[66:67] op_sel:[0,0,1] op_sel_hi:[1,0,0]
	v_mov_b32_e32 v69, v67
	v_pk_add_f32 v[64:65], v[64:65], v[68:69]
	s_waitcnt vmcnt(0)
	v_pk_add_f32 v[64:65], v[106:107], v[64:65] neg_lo:[0,1] neg_hi:[0,1]
	buffer_store_dword v65, off, s[0:3], 0 offset:148
	buffer_store_dword v64, off, s[0:3], 0 offset:144
	s_and_saveexec_b64 s[4:5], vcc
	s_cbranch_execz .LBB30_165
; %bb.164:
	buffer_load_dword v64, off, s[0:3], 0 offset:136
	buffer_load_dword v65, off, s[0:3], 0 offset:140
	v_mov_b32_e32 v66, 0
	buffer_store_dword v66, off, s[0:3], 0 offset:136
	buffer_store_dword v66, off, s[0:3], 0 offset:140
	s_waitcnt vmcnt(2)
	ds_write_b64 v1, v[64:65]
.LBB30_165:
	s_or_b64 exec, exec, s[4:5]
	v_mov_b32_e32 v66, 0
	s_waitcnt lgkmcnt(0)
	; wave barrier
	s_waitcnt lgkmcnt(0)
	ds_read_b128 v[68:71], v66 offset:400
	ds_read_b128 v[72:75], v66 offset:416
	;; [unrolled: 1-line block ×4, first 2 shown]
	buffer_load_dword v64, off, s[0:3], 0 offset:136
	buffer_load_dword v65, off, s[0:3], 0 offset:140
	;; [unrolled: 1-line block ×28, first 2 shown]
	v_cmp_lt_u32_e32 vcc, 16, v0
	s_waitcnt vmcnt(24) lgkmcnt(3)
	v_mul_f32_e32 v89, v68, v88
	v_fmac_f32_e32 v89, v69, v67
	v_mul_f32_e32 v69, v69, v88
	s_waitcnt vmcnt(22)
	v_mul_f32_e32 v91, v70, v92
	v_fma_f32 v67, v68, v67, -v69
	v_mul_f32_e32 v68, v71, v92
	v_add_f32_e32 v89, 0, v89
	v_fmac_f32_e32 v91, v71, v90
	v_add_f32_e32 v67, 0, v67
	v_fma_f32 v68, v70, v90, -v68
	v_add_f32_e32 v89, v89, v91
	s_waitcnt vmcnt(20) lgkmcnt(2)
	v_mul_f32_e32 v91, v72, v107
	v_add_f32_e32 v67, v67, v68
	v_mul_f32_e32 v68, v73, v107
	v_fmac_f32_e32 v91, v73, v106
	v_fma_f32 v68, v72, v106, -v68
	v_add_f32_e32 v89, v89, v91
	s_waitcnt vmcnt(18)
	v_mul_f32_e32 v91, v74, v109
	v_add_f32_e32 v88, v67, v68
	v_mul_f32_e32 v67, v75, v109
	v_fmac_f32_e32 v91, v75, v108
	v_fma_f32 v90, v74, v108, -v67
	s_waitcnt vmcnt(16) lgkmcnt(1)
	v_mul_f32_e32 v93, v76, v111
	v_mul_f32_e32 v67, v77, v111
	v_pk_add_f32 v[88:89], v[88:89], v[90:91]
	s_waitcnt vmcnt(14)
	v_mov_b32_e32 v90, v85
	v_fmac_f32_e32 v93, v77, v110
	v_fma_f32 v92, v76, v110, -v67
	v_pk_mul_f32 v[90:91], v[78:79], v[90:91] op_sel_hi:[1,0]
	v_pk_add_f32 v[88:89], v[88:89], v[92:93]
	v_pk_fma_f32 v[92:93], v[78:79], v[84:85], v[90:91] op_sel:[0,0,1] op_sel_hi:[1,1,0] neg_lo:[0,0,1] neg_hi:[0,0,1]
	v_pk_fma_f32 v[78:79], v[78:79], v[84:85], v[90:91] op_sel:[0,0,1] op_sel_hi:[1,0,0]
	s_waitcnt vmcnt(12)
	v_mov_b32_e32 v84, v87
	v_mov_b32_e32 v93, v79
	s_waitcnt lgkmcnt(0)
	v_pk_mul_f32 v[84:85], v[80:81], v[84:85] op_sel_hi:[1,0]
	v_pk_add_f32 v[78:79], v[88:89], v[92:93]
	v_pk_fma_f32 v[88:89], v[80:81], v[86:87], v[84:85] op_sel:[0,0,1] op_sel_hi:[1,1,0] neg_lo:[0,0,1] neg_hi:[0,0,1]
	v_pk_fma_f32 v[80:81], v[80:81], v[86:87], v[84:85] op_sel:[0,0,1] op_sel_hi:[1,0,0]
	s_waitcnt vmcnt(11)
	v_mov_b32_e32 v80, v95
	ds_read_b128 v[68:71], v66 offset:464
	ds_read_b128 v[72:75], v66 offset:480
	ds_read_b64 v[76:77], v66 offset:496
	v_mov_b32_e32 v89, v81
	v_pk_mul_f32 v[80:81], v[82:83], v[80:81] op_sel_hi:[1,0]
	s_waitcnt vmcnt(10)
	v_pk_fma_f32 v[84:85], v[82:83], v[94:95], v[80:81] op_sel:[0,0,1] op_sel_hi:[1,1,0] neg_lo:[0,0,1] neg_hi:[0,0,1]
	v_pk_fma_f32 v[80:81], v[82:83], v[94:95], v[80:81] op_sel:[0,0,1] op_sel_hi:[1,0,0]
	s_waitcnt vmcnt(9)
	v_mov_b32_e32 v80, v97
	v_mov_b32_e32 v85, v81
	s_waitcnt lgkmcnt(2)
	v_pk_mul_f32 v[80:81], v[68:69], v[80:81] op_sel_hi:[1,0]
	v_pk_add_f32 v[78:79], v[78:79], v[88:89]
	s_waitcnt vmcnt(8)
	v_pk_fma_f32 v[82:83], v[68:69], v[96:97], v[80:81] op_sel:[0,0,1] op_sel_hi:[1,1,0] neg_lo:[0,0,1] neg_hi:[0,0,1]
	v_pk_fma_f32 v[68:69], v[68:69], v[96:97], v[80:81] op_sel:[0,0,1] op_sel_hi:[1,0,0]
	v_pk_add_f32 v[78:79], v[78:79], v[84:85]
	v_mov_b32_e32 v83, v69
	v_pk_add_f32 v[68:69], v[78:79], v[82:83]
	s_waitcnt vmcnt(7)
	v_mov_b32_e32 v78, v99
	v_pk_mul_f32 v[78:79], v[70:71], v[78:79] op_sel_hi:[1,0]
	s_waitcnt vmcnt(6)
	v_pk_fma_f32 v[80:81], v[70:71], v[98:99], v[78:79] op_sel:[0,0,1] op_sel_hi:[1,1,0] neg_lo:[0,0,1] neg_hi:[0,0,1]
	v_pk_fma_f32 v[70:71], v[70:71], v[98:99], v[78:79] op_sel:[0,0,1] op_sel_hi:[1,0,0]
	s_waitcnt vmcnt(5)
	v_mov_b32_e32 v70, v101
	v_mov_b32_e32 v81, v71
	s_waitcnt lgkmcnt(1)
	v_pk_mul_f32 v[70:71], v[72:73], v[70:71] op_sel_hi:[1,0]
	s_waitcnt vmcnt(4)
	v_pk_fma_f32 v[78:79], v[72:73], v[100:101], v[70:71] op_sel:[0,0,1] op_sel_hi:[1,1,0] neg_lo:[0,0,1] neg_hi:[0,0,1]
	v_pk_fma_f32 v[70:71], v[72:73], v[100:101], v[70:71] op_sel:[0,0,1] op_sel_hi:[1,0,0]
	s_waitcnt vmcnt(3)
	v_mov_b32_e32 v70, v103
	v_mov_b32_e32 v79, v71
	v_pk_mul_f32 v[70:71], v[74:75], v[70:71] op_sel_hi:[1,0]
	s_waitcnt vmcnt(2)
	v_pk_fma_f32 v[72:73], v[74:75], v[102:103], v[70:71] op_sel:[0,0,1] op_sel_hi:[1,1,0] neg_lo:[0,0,1] neg_hi:[0,0,1]
	v_pk_fma_f32 v[70:71], v[74:75], v[102:103], v[70:71] op_sel:[0,0,1] op_sel_hi:[1,0,0]
	v_pk_add_f32 v[68:69], v[68:69], v[80:81]
	s_waitcnt vmcnt(1)
	v_mov_b32_e32 v70, v105
	v_pk_add_f32 v[68:69], v[68:69], v[78:79]
	v_mov_b32_e32 v73, v71
	s_waitcnt lgkmcnt(0)
	v_pk_mul_f32 v[70:71], v[76:77], v[70:71] op_sel_hi:[1,0]
	v_pk_add_f32 v[68:69], v[68:69], v[72:73]
	s_waitcnt vmcnt(0)
	v_pk_fma_f32 v[72:73], v[76:77], v[104:105], v[70:71] op_sel:[0,0,1] op_sel_hi:[1,1,0] neg_lo:[0,0,1] neg_hi:[0,0,1]
	v_pk_fma_f32 v[70:71], v[76:77], v[104:105], v[70:71] op_sel:[0,0,1] op_sel_hi:[1,0,0]
	v_mov_b32_e32 v73, v71
	v_pk_add_f32 v[68:69], v[68:69], v[72:73]
	v_pk_add_f32 v[64:65], v[64:65], v[68:69] neg_lo:[0,1] neg_hi:[0,1]
	buffer_store_dword v65, off, s[0:3], 0 offset:140
	buffer_store_dword v64, off, s[0:3], 0 offset:136
	s_and_saveexec_b64 s[4:5], vcc
	s_cbranch_execz .LBB30_167
; %bb.166:
	buffer_load_dword v64, off, s[0:3], 0 offset:128
	buffer_load_dword v65, off, s[0:3], 0 offset:132
	s_waitcnt vmcnt(0)
	ds_write_b64 v1, v[64:65]
	buffer_store_dword v66, off, s[0:3], 0 offset:128
	buffer_store_dword v66, off, s[0:3], 0 offset:132
.LBB30_167:
	s_or_b64 exec, exec, s[4:5]
	s_waitcnt lgkmcnt(0)
	; wave barrier
	s_waitcnt lgkmcnt(0)
	ds_read2_b64 v[68:71], v66 offset0:49 offset1:50
	buffer_load_dword v64, off, s[0:3], 0 offset:128
	buffer_load_dword v65, off, s[0:3], 0 offset:132
	;; [unrolled: 1-line block ×16, first 2 shown]
	v_cmp_lt_u32_e32 vcc, 15, v0
	ds_read2_b64 v[80:83], v66 offset0:55 offset1:56
	s_waitcnt vmcnt(12) lgkmcnt(1)
	v_mul_f32_e32 v72, v68, v86
	v_fmac_f32_e32 v72, v69, v67
	s_waitcnt vmcnt(10)
	v_mul_f32_e32 v73, v70, v90
	v_add_f32_e32 v72, 0, v72
	v_fmac_f32_e32 v73, v71, v88
	v_add_f32_e32 v76, v72, v73
	ds_read2_b64 v[72:75], v66 offset0:51 offset1:52
	v_mul_f32_e32 v69, v69, v86
	v_fma_f32 v67, v68, v67, -v69
	v_mul_f32_e32 v68, v71, v90
	v_add_f32_e32 v67, 0, v67
	s_waitcnt vmcnt(8) lgkmcnt(0)
	v_mul_f32_e32 v77, v72, v107
	v_fmac_f32_e32 v77, v73, v106
	v_add_f32_e32 v76, v76, v77
	s_waitcnt vmcnt(6)
	v_mul_f32_e32 v77, v74, v109
	v_fmac_f32_e32 v77, v75, v108
	v_add_f32_e32 v87, v76, v77
	ds_read2_b64 v[76:79], v66 offset0:53 offset1:54
	buffer_load_dword v93, off, s[0:3], 0 offset:196
	buffer_load_dword v92, off, s[0:3], 0 offset:192
	;; [unrolled: 1-line block ×14, first 2 shown]
	v_fma_f32 v68, v70, v88, -v68
	v_add_f32_e32 v67, v67, v68
	v_mul_f32_e32 v68, v73, v107
	v_fma_f32 v68, v72, v106, -v68
	v_add_f32_e32 v67, v67, v68
	v_mul_f32_e32 v68, v75, v109
	v_fma_f32 v68, v74, v108, -v68
	s_waitcnt vmcnt(18) lgkmcnt(0)
	v_mul_f32_e32 v89, v76, v111
	v_add_f32_e32 v86, v67, v68
	v_mul_f32_e32 v67, v77, v111
	v_fmac_f32_e32 v89, v77, v110
	s_waitcnt vmcnt(16)
	v_mul_f32_e32 v91, v78, v113
	v_fma_f32 v88, v76, v110, -v67
	v_mul_f32_e32 v67, v79, v113
	v_fmac_f32_e32 v91, v79, v112
	v_fma_f32 v90, v78, v112, -v67
	ds_read2_b64 v[68:71], v66 offset0:57 offset1:58
	ds_read2_b64 v[72:75], v66 offset0:59 offset1:60
	;; [unrolled: 1-line block ×3, first 2 shown]
	v_pk_add_f32 v[66:67], v[86:87], v[88:89]
	s_waitcnt vmcnt(14)
	v_mov_b32_e32 v86, v85
	v_pk_mul_f32 v[86:87], v[80:81], v[86:87] op_sel_hi:[1,0]
	v_pk_fma_f32 v[88:89], v[80:81], v[84:85], v[86:87] op_sel:[0,0,1] op_sel_hi:[1,1,0] neg_lo:[0,0,1] neg_hi:[0,0,1]
	v_pk_fma_f32 v[80:81], v[80:81], v[84:85], v[86:87] op_sel:[0,0,1] op_sel_hi:[1,0,0]
	v_mov_b32_e32 v89, v81
	v_pk_add_f32 v[66:67], v[66:67], v[90:91]
	v_pk_add_f32 v[66:67], v[66:67], v[88:89]
	s_waitcnt vmcnt(13)
	v_mov_b32_e32 v80, v93
	v_pk_mul_f32 v[80:81], v[82:83], v[80:81] op_sel_hi:[1,0]
	s_waitcnt vmcnt(12)
	v_pk_fma_f32 v[84:85], v[82:83], v[92:93], v[80:81] op_sel:[0,0,1] op_sel_hi:[1,1,0] neg_lo:[0,0,1] neg_hi:[0,0,1]
	v_pk_fma_f32 v[80:81], v[82:83], v[92:93], v[80:81] op_sel:[0,0,1] op_sel_hi:[1,0,0]
	s_waitcnt vmcnt(11)
	v_mov_b32_e32 v80, v95
	v_mov_b32_e32 v85, v81
	s_waitcnt lgkmcnt(2)
	v_pk_mul_f32 v[80:81], v[68:69], v[80:81] op_sel_hi:[1,0]
	s_waitcnt vmcnt(10)
	v_pk_fma_f32 v[82:83], v[68:69], v[94:95], v[80:81] op_sel:[0,0,1] op_sel_hi:[1,1,0] neg_lo:[0,0,1] neg_hi:[0,0,1]
	v_pk_fma_f32 v[68:69], v[68:69], v[94:95], v[80:81] op_sel:[0,0,1] op_sel_hi:[1,0,0]
	s_waitcnt vmcnt(9)
	v_mov_b32_e32 v68, v97
	v_mov_b32_e32 v83, v69
	v_pk_mul_f32 v[68:69], v[70:71], v[68:69] op_sel_hi:[1,0]
	s_waitcnt vmcnt(8)
	v_pk_fma_f32 v[80:81], v[70:71], v[96:97], v[68:69] op_sel:[0,0,1] op_sel_hi:[1,1,0] neg_lo:[0,0,1] neg_hi:[0,0,1]
	v_pk_fma_f32 v[68:69], v[70:71], v[96:97], v[68:69] op_sel:[0,0,1] op_sel_hi:[1,0,0]
	s_waitcnt vmcnt(7)
	v_mov_b32_e32 v68, v99
	v_mov_b32_e32 v81, v69
	s_waitcnt lgkmcnt(1)
	v_pk_mul_f32 v[68:69], v[72:73], v[68:69] op_sel_hi:[1,0]
	v_pk_add_f32 v[66:67], v[66:67], v[84:85]
	s_waitcnt vmcnt(6)
	v_pk_fma_f32 v[70:71], v[72:73], v[98:99], v[68:69] op_sel:[0,0,1] op_sel_hi:[1,1,0] neg_lo:[0,0,1] neg_hi:[0,0,1]
	v_pk_fma_f32 v[68:69], v[72:73], v[98:99], v[68:69] op_sel:[0,0,1] op_sel_hi:[1,0,0]
	v_pk_add_f32 v[66:67], v[66:67], v[82:83]
	s_waitcnt vmcnt(5)
	v_mov_b32_e32 v68, v101
	v_pk_add_f32 v[66:67], v[66:67], v[80:81]
	v_mov_b32_e32 v71, v69
	v_pk_mul_f32 v[68:69], v[74:75], v[68:69] op_sel_hi:[1,0]
	v_pk_add_f32 v[66:67], v[66:67], v[70:71]
	s_waitcnt vmcnt(4)
	v_pk_fma_f32 v[70:71], v[74:75], v[100:101], v[68:69] op_sel:[0,0,1] op_sel_hi:[1,1,0] neg_lo:[0,0,1] neg_hi:[0,0,1]
	v_pk_fma_f32 v[68:69], v[74:75], v[100:101], v[68:69] op_sel:[0,0,1] op_sel_hi:[1,0,0]
	s_waitcnt vmcnt(3)
	v_mov_b32_e32 v68, v103
	v_mov_b32_e32 v71, v69
	s_waitcnt lgkmcnt(0)
	v_pk_mul_f32 v[68:69], v[76:77], v[68:69] op_sel_hi:[1,0]
	v_pk_add_f32 v[66:67], v[66:67], v[70:71]
	s_waitcnt vmcnt(2)
	v_pk_fma_f32 v[70:71], v[76:77], v[102:103], v[68:69] op_sel:[0,0,1] op_sel_hi:[1,1,0] neg_lo:[0,0,1] neg_hi:[0,0,1]
	v_pk_fma_f32 v[68:69], v[76:77], v[102:103], v[68:69] op_sel:[0,0,1] op_sel_hi:[1,0,0]
	s_waitcnt vmcnt(1)
	v_mov_b32_e32 v68, v105
	v_mov_b32_e32 v71, v69
	v_pk_mul_f32 v[68:69], v[78:79], v[68:69] op_sel_hi:[1,0]
	v_pk_add_f32 v[66:67], v[66:67], v[70:71]
	s_waitcnt vmcnt(0)
	v_pk_fma_f32 v[70:71], v[78:79], v[104:105], v[68:69] op_sel:[0,0,1] op_sel_hi:[1,1,0] neg_lo:[0,0,1] neg_hi:[0,0,1]
	v_pk_fma_f32 v[68:69], v[78:79], v[104:105], v[68:69] op_sel:[0,0,1] op_sel_hi:[1,0,0]
	v_mov_b32_e32 v71, v69
	v_pk_add_f32 v[66:67], v[66:67], v[70:71]
	v_pk_add_f32 v[64:65], v[64:65], v[66:67] neg_lo:[0,1] neg_hi:[0,1]
	buffer_store_dword v65, off, s[0:3], 0 offset:132
	buffer_store_dword v64, off, s[0:3], 0 offset:128
	s_and_saveexec_b64 s[4:5], vcc
	s_cbranch_execz .LBB30_169
; %bb.168:
	buffer_load_dword v64, off, s[0:3], 0 offset:120
	buffer_load_dword v65, off, s[0:3], 0 offset:124
	v_mov_b32_e32 v66, 0
	buffer_store_dword v66, off, s[0:3], 0 offset:120
	buffer_store_dword v66, off, s[0:3], 0 offset:124
	s_waitcnt vmcnt(2)
	ds_write_b64 v1, v[64:65]
.LBB30_169:
	s_or_b64 exec, exec, s[4:5]
	v_mov_b32_e32 v66, 0
	s_waitcnt lgkmcnt(0)
	; wave barrier
	s_waitcnt lgkmcnt(0)
	ds_read_b128 v[68:71], v66 offset:384
	ds_read_b128 v[72:75], v66 offset:400
	;; [unrolled: 1-line block ×4, first 2 shown]
	buffer_load_dword v64, off, s[0:3], 0 offset:120
	buffer_load_dword v65, off, s[0:3], 0 offset:124
	;; [unrolled: 1-line block ×32, first 2 shown]
	v_cmp_lt_u32_e32 vcc, 14, v0
	s_waitcnt vmcnt(28) lgkmcnt(3)
	v_mul_f32_e32 v85, v68, v84
	v_fmac_f32_e32 v85, v69, v67
	v_mul_f32_e32 v69, v69, v84
	s_waitcnt vmcnt(26)
	v_mul_f32_e32 v87, v70, v88
	v_fma_f32 v67, v68, v67, -v69
	v_mul_f32_e32 v68, v71, v88
	v_add_f32_e32 v85, 0, v85
	v_fmac_f32_e32 v87, v71, v86
	v_add_f32_e32 v67, 0, v67
	v_fma_f32 v68, v70, v86, -v68
	v_add_f32_e32 v85, v85, v87
	s_waitcnt vmcnt(24) lgkmcnt(2)
	v_mul_f32_e32 v87, v72, v107
	v_add_f32_e32 v67, v67, v68
	v_mul_f32_e32 v68, v73, v107
	v_fmac_f32_e32 v87, v73, v106
	v_fma_f32 v68, v72, v106, -v68
	v_add_f32_e32 v85, v85, v87
	s_waitcnt vmcnt(22)
	v_mul_f32_e32 v87, v74, v109
	v_add_f32_e32 v67, v67, v68
	v_mul_f32_e32 v68, v75, v109
	v_fmac_f32_e32 v87, v75, v108
	v_fma_f32 v68, v74, v108, -v68
	v_add_f32_e32 v85, v85, v87
	s_waitcnt vmcnt(20) lgkmcnt(1)
	v_mul_f32_e32 v87, v76, v111
	v_add_f32_e32 v67, v67, v68
	v_mul_f32_e32 v68, v77, v111
	v_fmac_f32_e32 v87, v77, v110
	v_fma_f32 v68, v76, v110, -v68
	v_add_f32_e32 v85, v85, v87
	s_waitcnt vmcnt(18)
	v_mul_f32_e32 v87, v78, v113
	v_add_f32_e32 v84, v67, v68
	v_mul_f32_e32 v67, v79, v113
	v_fmac_f32_e32 v87, v79, v112
	v_fma_f32 v86, v78, v112, -v67
	s_waitcnt vmcnt(16) lgkmcnt(0)
	v_mul_f32_e32 v89, v80, v115
	v_mul_f32_e32 v67, v81, v115
	v_pk_add_f32 v[84:85], v[84:85], v[86:87]
	s_waitcnt vmcnt(15)
	v_mov_b32_e32 v86, v91
	v_fmac_f32_e32 v89, v81, v114
	v_fma_f32 v88, v80, v114, -v67
	v_pk_mul_f32 v[86:87], v[82:83], v[86:87] op_sel_hi:[1,0]
	v_pk_add_f32 v[84:85], v[84:85], v[88:89]
	s_waitcnt vmcnt(14)
	v_pk_fma_f32 v[88:89], v[82:83], v[90:91], v[86:87] op_sel:[0,0,1] op_sel_hi:[1,1,0] neg_lo:[0,0,1] neg_hi:[0,0,1]
	v_pk_fma_f32 v[82:83], v[82:83], v[90:91], v[86:87] op_sel:[0,0,1] op_sel_hi:[1,0,0]
	ds_read_b128 v[68:71], v66 offset:448
	ds_read_b128 v[72:75], v66 offset:464
	;; [unrolled: 1-line block ×3, first 2 shown]
	ds_read_b64 v[80:81], v66 offset:496
	v_mov_b32_e32 v89, v83
	v_pk_add_f32 v[82:83], v[84:85], v[88:89]
	s_waitcnt vmcnt(13)
	v_mov_b32_e32 v84, v93
	s_waitcnt lgkmcnt(3)
	v_pk_mul_f32 v[84:85], v[68:69], v[84:85] op_sel_hi:[1,0]
	s_waitcnt vmcnt(12)
	v_pk_fma_f32 v[86:87], v[68:69], v[92:93], v[84:85] op_sel:[0,0,1] op_sel_hi:[1,1,0] neg_lo:[0,0,1] neg_hi:[0,0,1]
	v_pk_fma_f32 v[68:69], v[68:69], v[92:93], v[84:85] op_sel:[0,0,1] op_sel_hi:[1,0,0]
	v_mov_b32_e32 v87, v69
	v_pk_add_f32 v[68:69], v[82:83], v[86:87]
	s_waitcnt vmcnt(11)
	v_mov_b32_e32 v82, v95
	v_pk_mul_f32 v[82:83], v[70:71], v[82:83] op_sel_hi:[1,0]
	s_waitcnt vmcnt(10)
	v_pk_fma_f32 v[84:85], v[70:71], v[94:95], v[82:83] op_sel:[0,0,1] op_sel_hi:[1,1,0] neg_lo:[0,0,1] neg_hi:[0,0,1]
	v_pk_fma_f32 v[70:71], v[70:71], v[94:95], v[82:83] op_sel:[0,0,1] op_sel_hi:[1,0,0]
	s_waitcnt vmcnt(9)
	v_mov_b32_e32 v70, v97
	v_mov_b32_e32 v85, v71
	s_waitcnt lgkmcnt(2)
	v_pk_mul_f32 v[70:71], v[72:73], v[70:71] op_sel_hi:[1,0]
	s_waitcnt vmcnt(8)
	v_pk_fma_f32 v[82:83], v[72:73], v[96:97], v[70:71] op_sel:[0,0,1] op_sel_hi:[1,1,0] neg_lo:[0,0,1] neg_hi:[0,0,1]
	v_pk_fma_f32 v[70:71], v[72:73], v[96:97], v[70:71] op_sel:[0,0,1] op_sel_hi:[1,0,0]
	s_waitcnt vmcnt(7)
	v_mov_b32_e32 v70, v99
	v_mov_b32_e32 v83, v71
	v_pk_mul_f32 v[70:71], v[74:75], v[70:71] op_sel_hi:[1,0]
	s_waitcnt vmcnt(6)
	v_pk_fma_f32 v[72:73], v[74:75], v[98:99], v[70:71] op_sel:[0,0,1] op_sel_hi:[1,1,0] neg_lo:[0,0,1] neg_hi:[0,0,1]
	v_pk_fma_f32 v[70:71], v[74:75], v[98:99], v[70:71] op_sel:[0,0,1] op_sel_hi:[1,0,0]
	v_pk_add_f32 v[68:69], v[68:69], v[84:85]
	s_waitcnt vmcnt(5)
	v_mov_b32_e32 v70, v101
	v_pk_add_f32 v[68:69], v[68:69], v[82:83]
	v_mov_b32_e32 v73, v71
	s_waitcnt lgkmcnt(1)
	v_pk_mul_f32 v[70:71], v[76:77], v[70:71] op_sel_hi:[1,0]
	v_pk_add_f32 v[68:69], v[68:69], v[72:73]
	s_waitcnt vmcnt(4)
	v_pk_fma_f32 v[72:73], v[76:77], v[100:101], v[70:71] op_sel:[0,0,1] op_sel_hi:[1,1,0] neg_lo:[0,0,1] neg_hi:[0,0,1]
	v_pk_fma_f32 v[70:71], v[76:77], v[100:101], v[70:71] op_sel:[0,0,1] op_sel_hi:[1,0,0]
	s_waitcnt vmcnt(3)
	v_mov_b32_e32 v70, v103
	v_mov_b32_e32 v73, v71
	v_pk_mul_f32 v[70:71], v[78:79], v[70:71] op_sel_hi:[1,0]
	v_pk_add_f32 v[68:69], v[68:69], v[72:73]
	s_waitcnt vmcnt(2)
	v_pk_fma_f32 v[72:73], v[78:79], v[102:103], v[70:71] op_sel:[0,0,1] op_sel_hi:[1,1,0] neg_lo:[0,0,1] neg_hi:[0,0,1]
	v_pk_fma_f32 v[70:71], v[78:79], v[102:103], v[70:71] op_sel:[0,0,1] op_sel_hi:[1,0,0]
	s_waitcnt vmcnt(1)
	v_mov_b32_e32 v70, v105
	v_mov_b32_e32 v73, v71
	s_waitcnt lgkmcnt(0)
	v_pk_mul_f32 v[70:71], v[80:81], v[70:71] op_sel_hi:[1,0]
	v_pk_add_f32 v[68:69], v[68:69], v[72:73]
	s_waitcnt vmcnt(0)
	v_pk_fma_f32 v[72:73], v[80:81], v[104:105], v[70:71] op_sel:[0,0,1] op_sel_hi:[1,1,0] neg_lo:[0,0,1] neg_hi:[0,0,1]
	v_pk_fma_f32 v[70:71], v[80:81], v[104:105], v[70:71] op_sel:[0,0,1] op_sel_hi:[1,0,0]
	v_mov_b32_e32 v73, v71
	v_pk_add_f32 v[68:69], v[68:69], v[72:73]
	v_pk_add_f32 v[64:65], v[64:65], v[68:69] neg_lo:[0,1] neg_hi:[0,1]
	buffer_store_dword v65, off, s[0:3], 0 offset:124
	buffer_store_dword v64, off, s[0:3], 0 offset:120
	s_and_saveexec_b64 s[4:5], vcc
	s_cbranch_execz .LBB30_171
; %bb.170:
	buffer_load_dword v64, off, s[0:3], 0 offset:112
	buffer_load_dword v65, off, s[0:3], 0 offset:116
	s_waitcnt vmcnt(0)
	ds_write_b64 v1, v[64:65]
	buffer_store_dword v66, off, s[0:3], 0 offset:112
	buffer_store_dword v66, off, s[0:3], 0 offset:116
.LBB30_171:
	s_or_b64 exec, exec, s[4:5]
	s_waitcnt lgkmcnt(0)
	; wave barrier
	s_waitcnt lgkmcnt(0)
	ds_read2_b64 v[68:71], v66 offset0:47 offset1:48
	buffer_load_dword v64, off, s[0:3], 0 offset:112
	buffer_load_dword v65, off, s[0:3], 0 offset:116
	;; [unrolled: 1-line block ×16, first 2 shown]
	v_cmp_lt_u32_e32 vcc, 13, v0
	s_waitcnt vmcnt(12) lgkmcnt(0)
	v_mul_f32_e32 v72, v68, v88
	v_fmac_f32_e32 v72, v69, v67
	s_waitcnt vmcnt(10)
	v_mul_f32_e32 v73, v70, v92
	v_add_f32_e32 v72, 0, v72
	v_fmac_f32_e32 v73, v71, v90
	v_add_f32_e32 v76, v72, v73
	ds_read2_b64 v[72:75], v66 offset0:49 offset1:50
	v_mul_f32_e32 v69, v69, v88
	v_fma_f32 v67, v68, v67, -v69
	v_mul_f32_e32 v68, v71, v92
	v_add_f32_e32 v67, 0, v67
	s_waitcnt vmcnt(8) lgkmcnt(0)
	v_mul_f32_e32 v77, v72, v111
	v_fmac_f32_e32 v77, v73, v110
	v_add_f32_e32 v76, v76, v77
	s_waitcnt vmcnt(6)
	v_mul_f32_e32 v77, v74, v113
	v_fmac_f32_e32 v77, v75, v112
	v_add_f32_e32 v80, v76, v77
	ds_read2_b64 v[76:79], v66 offset0:51 offset1:52
	v_fma_f32 v68, v70, v90, -v68
	v_add_f32_e32 v67, v67, v68
	v_mul_f32_e32 v68, v73, v111
	v_fma_f32 v68, v72, v110, -v68
	s_waitcnt vmcnt(4) lgkmcnt(0)
	v_mul_f32_e32 v81, v76, v115
	v_fmac_f32_e32 v81, v77, v114
	v_add_f32_e32 v80, v80, v81
	s_waitcnt vmcnt(2)
	v_mul_f32_e32 v81, v78, v117
	v_fmac_f32_e32 v81, v79, v116
	v_add_f32_e32 v89, v80, v81
	ds_read2_b64 v[80:83], v66 offset0:53 offset1:54
	buffer_load_dword v120, off, s[0:3], 0 offset:176
	buffer_load_dword v121, off, s[0:3], 0 offset:180
	;; [unrolled: 1-line block ×4, first 2 shown]
	ds_read2_b64 v[84:87], v66 offset0:55 offset1:56
	buffer_load_dword v97, off, s[0:3], 0 offset:196
	buffer_load_dword v96, off, s[0:3], 0 offset:192
	;; [unrolled: 1-line block ×14, first 2 shown]
	v_add_f32_e32 v67, v67, v68
	v_mul_f32_e32 v68, v75, v113
	v_fma_f32 v68, v74, v112, -v68
	v_add_f32_e32 v67, v67, v68
	v_mul_f32_e32 v68, v77, v115
	v_fma_f32 v68, v76, v114, -v68
	v_add_f32_e32 v67, v67, v68
	v_mul_f32_e32 v68, v79, v117
	v_fma_f32 v68, v78, v116, -v68
	v_add_f32_e32 v88, v67, v68
	s_waitcnt vmcnt(18) lgkmcnt(1)
	v_mul_f32_e32 v67, v81, v119
	v_mul_f32_e32 v91, v80, v119
	v_fma_f32 v90, v80, v118, -v67
	v_fmac_f32_e32 v91, v81, v118
	ds_read2_b64 v[68:71], v66 offset0:57 offset1:58
	ds_read2_b64 v[72:75], v66 offset0:59 offset1:60
	ds_read2_b64 v[76:79], v66 offset0:61 offset1:62
	s_waitcnt vmcnt(15)
	v_mov_b32_e32 v80, v95
	v_mul_f32_e32 v93, v82, v121
	v_mul_f32_e32 v67, v83, v121
	s_waitcnt lgkmcnt(3)
	v_pk_mul_f32 v[80:81], v[84:85], v[80:81] op_sel_hi:[1,0]
	v_fmac_f32_e32 v93, v83, v120
	v_fma_f32 v92, v82, v120, -v67
	s_waitcnt vmcnt(14)
	v_pk_fma_f32 v[82:83], v[84:85], v[94:95], v[80:81] op_sel:[0,0,1] op_sel_hi:[1,1,0] neg_lo:[0,0,1] neg_hi:[0,0,1]
	v_pk_fma_f32 v[80:81], v[84:85], v[94:95], v[80:81] op_sel:[0,0,1] op_sel_hi:[1,0,0]
	v_pk_add_f32 v[66:67], v[88:89], v[90:91]
	s_waitcnt vmcnt(13)
	v_mov_b32_e32 v80, v97
	v_pk_add_f32 v[66:67], v[66:67], v[92:93]
	v_mov_b32_e32 v83, v81
	v_pk_mul_f32 v[80:81], v[86:87], v[80:81] op_sel_hi:[1,0]
	v_pk_add_f32 v[66:67], v[66:67], v[82:83]
	s_waitcnt vmcnt(12)
	v_pk_fma_f32 v[82:83], v[86:87], v[96:97], v[80:81] op_sel:[0,0,1] op_sel_hi:[1,1,0] neg_lo:[0,0,1] neg_hi:[0,0,1]
	v_pk_fma_f32 v[80:81], v[86:87], v[96:97], v[80:81] op_sel:[0,0,1] op_sel_hi:[1,0,0]
	s_waitcnt vmcnt(11)
	v_mov_b32_e32 v80, v99
	v_mov_b32_e32 v83, v81
	s_waitcnt lgkmcnt(2)
	v_pk_mul_f32 v[80:81], v[68:69], v[80:81] op_sel_hi:[1,0]
	v_pk_add_f32 v[66:67], v[66:67], v[82:83]
	s_waitcnt vmcnt(10)
	v_pk_fma_f32 v[82:83], v[68:69], v[98:99], v[80:81] op_sel:[0,0,1] op_sel_hi:[1,1,0] neg_lo:[0,0,1] neg_hi:[0,0,1]
	v_pk_fma_f32 v[68:69], v[68:69], v[98:99], v[80:81] op_sel:[0,0,1] op_sel_hi:[1,0,0]
	s_waitcnt vmcnt(9)
	v_mov_b32_e32 v68, v101
	v_mov_b32_e32 v83, v69
	v_pk_mul_f32 v[68:69], v[70:71], v[68:69] op_sel_hi:[1,0]
	s_waitcnt vmcnt(8)
	v_pk_fma_f32 v[80:81], v[70:71], v[100:101], v[68:69] op_sel:[0,0,1] op_sel_hi:[1,1,0] neg_lo:[0,0,1] neg_hi:[0,0,1]
	v_pk_fma_f32 v[68:69], v[70:71], v[100:101], v[68:69] op_sel:[0,0,1] op_sel_hi:[1,0,0]
	s_waitcnt vmcnt(7)
	v_mov_b32_e32 v68, v103
	v_mov_b32_e32 v81, v69
	s_waitcnt lgkmcnt(1)
	v_pk_mul_f32 v[68:69], v[72:73], v[68:69] op_sel_hi:[1,0]
	s_waitcnt vmcnt(6)
	v_pk_fma_f32 v[70:71], v[72:73], v[102:103], v[68:69] op_sel:[0,0,1] op_sel_hi:[1,1,0] neg_lo:[0,0,1] neg_hi:[0,0,1]
	v_pk_fma_f32 v[68:69], v[72:73], v[102:103], v[68:69] op_sel:[0,0,1] op_sel_hi:[1,0,0]
	v_pk_add_f32 v[66:67], v[66:67], v[82:83]
	s_waitcnt vmcnt(5)
	v_mov_b32_e32 v68, v105
	v_pk_add_f32 v[66:67], v[66:67], v[80:81]
	v_mov_b32_e32 v71, v69
	v_pk_mul_f32 v[68:69], v[74:75], v[68:69] op_sel_hi:[1,0]
	v_pk_add_f32 v[66:67], v[66:67], v[70:71]
	s_waitcnt vmcnt(4)
	v_pk_fma_f32 v[70:71], v[74:75], v[104:105], v[68:69] op_sel:[0,0,1] op_sel_hi:[1,1,0] neg_lo:[0,0,1] neg_hi:[0,0,1]
	v_pk_fma_f32 v[68:69], v[74:75], v[104:105], v[68:69] op_sel:[0,0,1] op_sel_hi:[1,0,0]
	s_waitcnt vmcnt(3)
	v_mov_b32_e32 v68, v107
	v_mov_b32_e32 v71, v69
	s_waitcnt lgkmcnt(0)
	v_pk_mul_f32 v[68:69], v[76:77], v[68:69] op_sel_hi:[1,0]
	v_pk_add_f32 v[66:67], v[66:67], v[70:71]
	s_waitcnt vmcnt(2)
	v_pk_fma_f32 v[70:71], v[76:77], v[106:107], v[68:69] op_sel:[0,0,1] op_sel_hi:[1,1,0] neg_lo:[0,0,1] neg_hi:[0,0,1]
	v_pk_fma_f32 v[68:69], v[76:77], v[106:107], v[68:69] op_sel:[0,0,1] op_sel_hi:[1,0,0]
	s_waitcnt vmcnt(1)
	v_mov_b32_e32 v68, v109
	v_mov_b32_e32 v71, v69
	v_pk_mul_f32 v[68:69], v[78:79], v[68:69] op_sel_hi:[1,0]
	v_pk_add_f32 v[66:67], v[66:67], v[70:71]
	s_waitcnt vmcnt(0)
	v_pk_fma_f32 v[70:71], v[78:79], v[108:109], v[68:69] op_sel:[0,0,1] op_sel_hi:[1,1,0] neg_lo:[0,0,1] neg_hi:[0,0,1]
	v_pk_fma_f32 v[68:69], v[78:79], v[108:109], v[68:69] op_sel:[0,0,1] op_sel_hi:[1,0,0]
	v_mov_b32_e32 v71, v69
	v_pk_add_f32 v[66:67], v[66:67], v[70:71]
	v_pk_add_f32 v[64:65], v[64:65], v[66:67] neg_lo:[0,1] neg_hi:[0,1]
	buffer_store_dword v65, off, s[0:3], 0 offset:116
	buffer_store_dword v64, off, s[0:3], 0 offset:112
	s_and_saveexec_b64 s[4:5], vcc
	s_cbranch_execz .LBB30_173
; %bb.172:
	buffer_load_dword v64, off, s[0:3], 0 offset:104
	buffer_load_dword v65, off, s[0:3], 0 offset:108
	v_mov_b32_e32 v66, 0
	buffer_store_dword v66, off, s[0:3], 0 offset:104
	buffer_store_dword v66, off, s[0:3], 0 offset:108
	s_waitcnt vmcnt(2)
	ds_write_b64 v1, v[64:65]
.LBB30_173:
	s_or_b64 exec, exec, s[4:5]
	v_mov_b32_e32 v66, 0
	s_waitcnt lgkmcnt(0)
	; wave barrier
	s_waitcnt lgkmcnt(0)
	ds_read_b128 v[68:71], v66 offset:368
	ds_read_b128 v[72:75], v66 offset:384
	;; [unrolled: 1-line block ×4, first 2 shown]
	buffer_load_dword v64, off, s[0:3], 0 offset:104
	buffer_load_dword v65, off, s[0:3], 0 offset:108
	;; [unrolled: 1-line block ×18, first 2 shown]
	v_cmp_lt_u32_e32 vcc, 12, v0
	s_waitcnt vmcnt(14) lgkmcnt(3)
	v_mul_f32_e32 v84, v68, v88
	v_fmac_f32_e32 v84, v69, v67
	s_waitcnt vmcnt(12)
	v_mul_f32_e32 v85, v70, v92
	v_add_f32_e32 v84, 0, v84
	v_fmac_f32_e32 v85, v71, v90
	v_add_f32_e32 v84, v84, v85
	s_waitcnt vmcnt(10) lgkmcnt(2)
	v_mul_f32_e32 v85, v72, v111
	v_fmac_f32_e32 v85, v73, v110
	v_add_f32_e32 v84, v84, v85
	s_waitcnt vmcnt(8)
	v_mul_f32_e32 v85, v74, v113
	v_fmac_f32_e32 v85, v75, v112
	v_add_f32_e32 v84, v84, v85
	s_waitcnt vmcnt(6) lgkmcnt(1)
	v_mul_f32_e32 v85, v76, v115
	v_fmac_f32_e32 v85, v77, v114
	v_add_f32_e32 v84, v84, v85
	s_waitcnt vmcnt(4)
	v_mul_f32_e32 v85, v78, v117
	v_fmac_f32_e32 v85, v79, v116
	v_add_f32_e32 v84, v84, v85
	s_waitcnt vmcnt(2) lgkmcnt(0)
	v_mul_f32_e32 v85, v80, v119
	v_fmac_f32_e32 v85, v81, v118
	v_add_f32_e32 v89, v84, v85
	ds_read_b128 v[84:87], v66 offset:432
	buffer_load_dword v122, off, s[0:3], 0 offset:176
	buffer_load_dword v123, off, s[0:3], 0 offset:180
	;; [unrolled: 1-line block ×18, first 2 shown]
	v_mul_f32_e32 v69, v69, v88
	v_fma_f32 v67, v68, v67, -v69
	v_mul_f32_e32 v68, v71, v92
	v_add_f32_e32 v67, 0, v67
	v_fma_f32 v68, v70, v90, -v68
	v_add_f32_e32 v67, v67, v68
	v_mul_f32_e32 v68, v73, v111
	v_fma_f32 v68, v72, v110, -v68
	v_add_f32_e32 v67, v67, v68
	v_mul_f32_e32 v68, v75, v113
	;; [unrolled: 3-line block ×5, first 2 shown]
	v_fma_f32 v68, v80, v118, -v68
	v_add_f32_e32 v88, v67, v68
	s_waitcnt vmcnt(18)
	v_mul_f32_e32 v67, v83, v121
	v_fma_f32 v90, v82, v120, -v67
	v_mul_f32_e32 v91, v82, v121
	v_fmac_f32_e32 v91, v83, v120
	ds_read_b128 v[68:71], v66 offset:448
	ds_read_b128 v[72:75], v66 offset:464
	;; [unrolled: 1-line block ×3, first 2 shown]
	ds_read_b64 v[80:81], v66 offset:496
	v_pk_add_f32 v[82:83], v[88:89], v[90:91]
	s_waitcnt vmcnt(16) lgkmcnt(4)
	v_mul_f32_e32 v67, v85, v123
	v_mul_f32_e32 v93, v84, v123
	v_fma_f32 v92, v84, v122, -v67
	s_waitcnt vmcnt(15)
	v_mov_b32_e32 v84, v95
	v_fmac_f32_e32 v93, v85, v122
	v_pk_mul_f32 v[84:85], v[86:87], v[84:85] op_sel_hi:[1,0]
	s_waitcnt vmcnt(14)
	v_pk_fma_f32 v[88:89], v[86:87], v[94:95], v[84:85] op_sel:[0,0,1] op_sel_hi:[1,1,0] neg_lo:[0,0,1] neg_hi:[0,0,1]
	v_pk_fma_f32 v[84:85], v[86:87], v[94:95], v[84:85] op_sel:[0,0,1] op_sel_hi:[1,0,0]
	s_waitcnt vmcnt(13)
	v_mov_b32_e32 v84, v97
	v_mov_b32_e32 v89, v85
	s_waitcnt lgkmcnt(3)
	v_pk_mul_f32 v[84:85], v[68:69], v[84:85] op_sel_hi:[1,0]
	v_pk_add_f32 v[82:83], v[82:83], v[92:93]
	s_waitcnt vmcnt(12)
	v_pk_fma_f32 v[86:87], v[68:69], v[96:97], v[84:85] op_sel:[0,0,1] op_sel_hi:[1,1,0] neg_lo:[0,0,1] neg_hi:[0,0,1]
	v_pk_fma_f32 v[68:69], v[68:69], v[96:97], v[84:85] op_sel:[0,0,1] op_sel_hi:[1,0,0]
	v_pk_add_f32 v[82:83], v[82:83], v[88:89]
	v_mov_b32_e32 v87, v69
	v_pk_add_f32 v[68:69], v[82:83], v[86:87]
	s_waitcnt vmcnt(11)
	v_mov_b32_e32 v82, v99
	v_pk_mul_f32 v[82:83], v[70:71], v[82:83] op_sel_hi:[1,0]
	s_waitcnt vmcnt(10)
	v_pk_fma_f32 v[84:85], v[70:71], v[98:99], v[82:83] op_sel:[0,0,1] op_sel_hi:[1,1,0] neg_lo:[0,0,1] neg_hi:[0,0,1]
	v_pk_fma_f32 v[70:71], v[70:71], v[98:99], v[82:83] op_sel:[0,0,1] op_sel_hi:[1,0,0]
	s_waitcnt vmcnt(9)
	v_mov_b32_e32 v70, v101
	v_mov_b32_e32 v85, v71
	s_waitcnt lgkmcnt(2)
	v_pk_mul_f32 v[70:71], v[72:73], v[70:71] op_sel_hi:[1,0]
	s_waitcnt vmcnt(8)
	v_pk_fma_f32 v[82:83], v[72:73], v[100:101], v[70:71] op_sel:[0,0,1] op_sel_hi:[1,1,0] neg_lo:[0,0,1] neg_hi:[0,0,1]
	v_pk_fma_f32 v[70:71], v[72:73], v[100:101], v[70:71] op_sel:[0,0,1] op_sel_hi:[1,0,0]
	s_waitcnt vmcnt(7)
	v_mov_b32_e32 v70, v103
	v_mov_b32_e32 v83, v71
	v_pk_mul_f32 v[70:71], v[74:75], v[70:71] op_sel_hi:[1,0]
	s_waitcnt vmcnt(6)
	v_pk_fma_f32 v[72:73], v[74:75], v[102:103], v[70:71] op_sel:[0,0,1] op_sel_hi:[1,1,0] neg_lo:[0,0,1] neg_hi:[0,0,1]
	v_pk_fma_f32 v[70:71], v[74:75], v[102:103], v[70:71] op_sel:[0,0,1] op_sel_hi:[1,0,0]
	v_pk_add_f32 v[68:69], v[68:69], v[84:85]
	s_waitcnt vmcnt(5)
	v_mov_b32_e32 v70, v105
	v_pk_add_f32 v[68:69], v[68:69], v[82:83]
	v_mov_b32_e32 v73, v71
	s_waitcnt lgkmcnt(1)
	v_pk_mul_f32 v[70:71], v[76:77], v[70:71] op_sel_hi:[1,0]
	v_pk_add_f32 v[68:69], v[68:69], v[72:73]
	s_waitcnt vmcnt(4)
	v_pk_fma_f32 v[72:73], v[76:77], v[104:105], v[70:71] op_sel:[0,0,1] op_sel_hi:[1,1,0] neg_lo:[0,0,1] neg_hi:[0,0,1]
	v_pk_fma_f32 v[70:71], v[76:77], v[104:105], v[70:71] op_sel:[0,0,1] op_sel_hi:[1,0,0]
	s_waitcnt vmcnt(3)
	v_mov_b32_e32 v70, v107
	v_mov_b32_e32 v73, v71
	v_pk_mul_f32 v[70:71], v[78:79], v[70:71] op_sel_hi:[1,0]
	v_pk_add_f32 v[68:69], v[68:69], v[72:73]
	s_waitcnt vmcnt(2)
	v_pk_fma_f32 v[72:73], v[78:79], v[106:107], v[70:71] op_sel:[0,0,1] op_sel_hi:[1,1,0] neg_lo:[0,0,1] neg_hi:[0,0,1]
	v_pk_fma_f32 v[70:71], v[78:79], v[106:107], v[70:71] op_sel:[0,0,1] op_sel_hi:[1,0,0]
	s_waitcnt vmcnt(1)
	v_mov_b32_e32 v70, v109
	v_mov_b32_e32 v73, v71
	s_waitcnt lgkmcnt(0)
	v_pk_mul_f32 v[70:71], v[80:81], v[70:71] op_sel_hi:[1,0]
	v_pk_add_f32 v[68:69], v[68:69], v[72:73]
	s_waitcnt vmcnt(0)
	v_pk_fma_f32 v[72:73], v[80:81], v[108:109], v[70:71] op_sel:[0,0,1] op_sel_hi:[1,1,0] neg_lo:[0,0,1] neg_hi:[0,0,1]
	v_pk_fma_f32 v[70:71], v[80:81], v[108:109], v[70:71] op_sel:[0,0,1] op_sel_hi:[1,0,0]
	v_mov_b32_e32 v73, v71
	v_pk_add_f32 v[68:69], v[68:69], v[72:73]
	v_pk_add_f32 v[64:65], v[64:65], v[68:69] neg_lo:[0,1] neg_hi:[0,1]
	buffer_store_dword v65, off, s[0:3], 0 offset:108
	buffer_store_dword v64, off, s[0:3], 0 offset:104
	s_and_saveexec_b64 s[4:5], vcc
	s_cbranch_execz .LBB30_175
; %bb.174:
	buffer_load_dword v64, off, s[0:3], 0 offset:96
	buffer_load_dword v65, off, s[0:3], 0 offset:100
	s_waitcnt vmcnt(0)
	ds_write_b64 v1, v[64:65]
	buffer_store_dword v66, off, s[0:3], 0 offset:96
	buffer_store_dword v66, off, s[0:3], 0 offset:100
.LBB30_175:
	s_or_b64 exec, exec, s[4:5]
	s_waitcnt lgkmcnt(0)
	; wave barrier
	s_waitcnt lgkmcnt(0)
	buffer_load_dword v64, off, s[0:3], 0 offset:108
	buffer_load_dword v65, off, s[0:3], 0 offset:116
	;; [unrolled: 1-line block ×22, first 2 shown]
	ds_read2_b64 v[68:71], v66 offset0:45 offset1:46
	ds_read2_b64 v[72:75], v66 offset0:47 offset1:48
	buffer_load_dword v95, off, s[0:3], 0 offset:188
	buffer_load_dword v94, off, s[0:3], 0 offset:184
	;; [unrolled: 1-line block ×10, first 2 shown]
	ds_read2_b64 v[76:79], v66 offset0:49 offset1:50
	ds_read2_b64 v[80:83], v66 offset0:51 offset1:52
	;; [unrolled: 1-line block ×4, first 2 shown]
	buffer_load_dword v105, off, s[0:3], 0 offset:244
	buffer_load_dword v104, off, s[0:3], 0 offset:240
	;; [unrolled: 1-line block ×6, first 2 shown]
	v_cmp_lt_u32_e32 vcc, 11, v0
	s_waitcnt vmcnt(37) lgkmcnt(5)
	v_mul_f32_e32 v129, v68, v64
	s_waitcnt vmcnt(36)
	v_mul_f32_e32 v130, v70, v65
	v_mul_f32_e32 v64, v69, v64
	;; [unrolled: 1-line block ×3, first 2 shown]
	s_waitcnt vmcnt(35) lgkmcnt(4)
	v_mul_f32_e32 v131, v72, v67
	s_waitcnt vmcnt(34)
	v_mul_f32_e32 v132, v74, v110
	s_waitcnt vmcnt(33) lgkmcnt(3)
	v_mul_f32_e32 v133, v76, v112
	s_waitcnt vmcnt(32)
	v_mul_f32_e32 v134, v78, v114
	v_mul_f32_e32 v67, v73, v67
	s_waitcnt vmcnt(31) lgkmcnt(2)
	v_mul_f32_e32 v135, v80, v115
	s_waitcnt vmcnt(27)
	v_fmac_f32_e32 v129, v69, v119
	s_waitcnt vmcnt(26)
	v_fmac_f32_e32 v130, v71, v120
	v_fma_f32 v64, v68, v119, -v64
	v_fma_f32 v65, v70, v120, -v65
	v_add_f32_e32 v70, 0, v129
	s_waitcnt vmcnt(25)
	v_fmac_f32_e32 v131, v73, v121
	v_add_f32_e32 v64, 0, v64
	v_add_f32_e32 v70, v70, v130
	s_waitcnt vmcnt(24)
	v_fmac_f32_e32 v132, v75, v122
	v_add_f32_e32 v64, v64, v65
	;; [unrolled: 4-line block ×3, first 2 shown]
	v_mul_f32_e32 v110, v75, v110
	s_waitcnt vmcnt(22)
	v_fmac_f32_e32 v134, v79, v124
	v_fma_f32 v67, v72, v121, -v67
	v_add_f32_e32 v65, v65, v133
	v_mul_f32_e32 v136, v82, v116
	v_mul_f32_e32 v112, v77, v112
	s_waitcnt vmcnt(21)
	v_fmac_f32_e32 v135, v81, v125
	v_fma_f32 v68, v74, v122, -v110
	v_add_f32_e32 v64, v64, v67
	v_add_f32_e32 v65, v65, v134
	v_mul_f32_e32 v114, v79, v114
	s_waitcnt vmcnt(20)
	v_fmac_f32_e32 v136, v83, v126
	v_fma_f32 v69, v76, v123, -v112
	v_add_f32_e32 v64, v64, v68
	v_add_f32_e32 v65, v65, v135
	;; [unrolled: 1-line block ×4, first 2 shown]
	v_fma_f32 v65, v78, v124, -v114
	v_add_f32_e32 v64, v64, v65
	v_mul_f32_e32 v65, v81, v115
	v_fma_f32 v65, v80, v125, -v65
	v_add_f32_e32 v64, v64, v65
	v_mul_f32_e32 v65, v83, v116
	v_fma_f32 v65, v82, v126, -v65
	s_waitcnt vmcnt(15)
	v_mov_b32_e32 v78, v95
	s_waitcnt lgkmcnt(1)
	v_mul_f32_e32 v111, v84, v117
	v_add_f32_e32 v76, v64, v65
	v_mul_f32_e32 v64, v85, v117
	s_waitcnt lgkmcnt(0)
	v_pk_mul_f32 v[78:79], v[88:89], v[78:79] op_sel_hi:[1,0]
	v_mul_f32_e32 v113, v86, v118
	v_fmac_f32_e32 v111, v85, v127
	v_fma_f32 v110, v84, v127, -v64
	v_mul_f32_e32 v64, v87, v118
	s_waitcnt vmcnt(14)
	v_pk_fma_f32 v[80:81], v[88:89], v[94:95], v[78:79] op_sel:[0,0,1] op_sel_hi:[1,1,0] neg_lo:[0,0,1] neg_hi:[0,0,1]
	v_pk_fma_f32 v[78:79], v[88:89], v[94:95], v[78:79] op_sel:[0,0,1] op_sel_hi:[1,0,0]
	v_fmac_f32_e32 v113, v87, v128
	v_fma_f32 v112, v86, v128, -v64
	v_pk_add_f32 v[76:77], v[76:77], v[110:111]
	s_waitcnt vmcnt(13)
	v_mov_b32_e32 v78, v97
	ds_read2_b64 v[68:71], v66 offset0:57 offset1:58
	ds_read2_b64 v[72:75], v66 offset0:59 offset1:60
	;; [unrolled: 1-line block ×3, first 2 shown]
	v_pk_add_f32 v[76:77], v[76:77], v[112:113]
	v_mov_b32_e32 v81, v79
	v_pk_mul_f32 v[78:79], v[90:91], v[78:79] op_sel_hi:[1,0]
	v_pk_add_f32 v[76:77], v[76:77], v[80:81]
	s_waitcnt vmcnt(6)
	v_pk_fma_f32 v[80:81], v[90:91], v[96:97], v[78:79] op_sel:[0,0,1] op_sel_hi:[1,1,0] neg_lo:[0,0,1] neg_hi:[0,0,1]
	v_pk_fma_f32 v[78:79], v[90:91], v[96:97], v[78:79] op_sel:[0,0,1] op_sel_hi:[1,0,0]
	v_mov_b32_e32 v78, v103
	v_mov_b32_e32 v81, v79
	s_waitcnt lgkmcnt(2)
	v_pk_mul_f32 v[78:79], v[68:69], v[78:79] op_sel_hi:[1,0]
	v_pk_add_f32 v[76:77], v[76:77], v[80:81]
	v_pk_fma_f32 v[80:81], v[68:69], v[102:103], v[78:79] op_sel:[0,0,1] op_sel_hi:[1,1,0] neg_lo:[0,0,1] neg_hi:[0,0,1]
	v_pk_fma_f32 v[68:69], v[68:69], v[102:103], v[78:79] op_sel:[0,0,1] op_sel_hi:[1,0,0]
	v_mov_b32_e32 v81, v69
	v_pk_add_f32 v[68:69], v[76:77], v[80:81]
	v_mov_b32_e32 v76, v101
	v_pk_mul_f32 v[76:77], v[70:71], v[76:77] op_sel_hi:[1,0]
	v_pk_fma_f32 v[78:79], v[70:71], v[100:101], v[76:77] op_sel:[0,0,1] op_sel_hi:[1,1,0] neg_lo:[0,0,1] neg_hi:[0,0,1]
	v_pk_fma_f32 v[70:71], v[70:71], v[100:101], v[76:77] op_sel:[0,0,1] op_sel_hi:[1,0,0]
	v_mov_b32_e32 v70, v99
	v_mov_b32_e32 v79, v71
	s_waitcnt lgkmcnt(1)
	v_pk_mul_f32 v[70:71], v[72:73], v[70:71] op_sel_hi:[1,0]
	v_pk_fma_f32 v[76:77], v[72:73], v[98:99], v[70:71] op_sel:[0,0,1] op_sel_hi:[1,1,0] neg_lo:[0,0,1] neg_hi:[0,0,1]
	v_pk_fma_f32 v[70:71], v[72:73], v[98:99], v[70:71] op_sel:[0,0,1] op_sel_hi:[1,0,0]
	s_waitcnt vmcnt(1)
	v_mov_b32_e32 v70, v109
	v_mov_b32_e32 v77, v71
	v_pk_mul_f32 v[70:71], v[74:75], v[70:71] op_sel_hi:[1,0]
	s_waitcnt vmcnt(0)
	v_pk_fma_f32 v[72:73], v[74:75], v[108:109], v[70:71] op_sel:[0,0,1] op_sel_hi:[1,1,0] neg_lo:[0,0,1] neg_hi:[0,0,1]
	v_pk_fma_f32 v[70:71], v[74:75], v[108:109], v[70:71] op_sel:[0,0,1] op_sel_hi:[1,0,0]
	v_pk_add_f32 v[68:69], v[68:69], v[78:79]
	v_mov_b32_e32 v70, v107
	v_pk_add_f32 v[68:69], v[68:69], v[76:77]
	v_mov_b32_e32 v73, v71
	s_waitcnt lgkmcnt(0)
	v_pk_mul_f32 v[70:71], v[64:65], v[70:71] op_sel_hi:[1,0]
	v_pk_add_f32 v[68:69], v[68:69], v[72:73]
	v_pk_fma_f32 v[72:73], v[64:65], v[106:107], v[70:71] op_sel:[0,0,1] op_sel_hi:[1,1,0] neg_lo:[0,0,1] neg_hi:[0,0,1]
	v_pk_fma_f32 v[64:65], v[64:65], v[106:107], v[70:71] op_sel:[0,0,1] op_sel_hi:[1,0,0]
	v_mov_b32_e32 v73, v65
	v_pk_add_f32 v[64:65], v[68:69], v[72:73]
	v_mov_b32_e32 v68, v105
	v_pk_mul_f32 v[68:69], v[66:67], v[68:69] op_sel_hi:[1,0]
	v_pk_fma_f32 v[70:71], v[66:67], v[104:105], v[68:69] op_sel:[0,0,1] op_sel_hi:[1,1,0] neg_lo:[0,0,1] neg_hi:[0,0,1]
	v_pk_fma_f32 v[66:67], v[66:67], v[104:105], v[68:69] op_sel:[0,0,1] op_sel_hi:[1,0,0]
	v_mov_b32_e32 v71, v67
	v_pk_add_f32 v[64:65], v[64:65], v[70:71]
	v_pk_add_f32 v[64:65], v[92:93], v[64:65] neg_lo:[0,1] neg_hi:[0,1]
	buffer_store_dword v65, off, s[0:3], 0 offset:100
	buffer_store_dword v64, off, s[0:3], 0 offset:96
	s_and_saveexec_b64 s[4:5], vcc
	s_cbranch_execz .LBB30_177
; %bb.176:
	buffer_load_dword v64, off, s[0:3], 0 offset:88
	buffer_load_dword v65, off, s[0:3], 0 offset:92
	v_mov_b32_e32 v66, 0
	buffer_store_dword v66, off, s[0:3], 0 offset:88
	buffer_store_dword v66, off, s[0:3], 0 offset:92
	s_waitcnt vmcnt(2)
	ds_write_b64 v1, v[64:65]
.LBB30_177:
	s_or_b64 exec, exec, s[4:5]
	s_waitcnt lgkmcnt(0)
	; wave barrier
	s_waitcnt lgkmcnt(0)
	buffer_load_dword v65, off, s[0:3], 0 offset:100
	buffer_load_dword v108, off, s[0:3], 0 offset:108
	;; [unrolled: 1-line block ×40, first 2 shown]
	v_mov_b32_e32 v64, 0
	ds_read_b128 v[66:69], v64 offset:352
	ds_read_b128 v[70:73], v64 offset:368
	;; [unrolled: 1-line block ×6, first 2 shown]
	v_cmp_lt_u32_e32 vcc, 10, v0
	s_waitcnt vmcnt(39) lgkmcnt(5)
	v_mul_f32_e32 v131, v66, v65
	s_waitcnt vmcnt(38)
	v_mul_f32_e32 v132, v68, v108
	v_mul_f32_e32 v65, v67, v65
	s_waitcnt vmcnt(37) lgkmcnt(4)
	v_mul_f32_e32 v133, v70, v110
	v_mul_f32_e32 v108, v69, v108
	s_waitcnt vmcnt(36)
	v_mul_f32_e32 v134, v72, v112
	s_waitcnt vmcnt(35) lgkmcnt(3)
	v_mul_f32_e32 v135, v74, v114
	s_waitcnt vmcnt(34)
	v_mul_f32_e32 v136, v76, v115
	s_waitcnt vmcnt(33) lgkmcnt(2)
	;; [unrolled: 4-line block ×3, first 2 shown]
	v_mul_f32_e32 v139, v82, v118
	s_waitcnt vmcnt(28)
	v_fmac_f32_e32 v131, v67, v113
	s_waitcnt vmcnt(27)
	v_fmac_f32_e32 v132, v69, v121
	v_fma_f32 v65, v66, v113, -v65
	v_add_f32_e32 v69, 0, v131
	s_waitcnt vmcnt(26)
	v_fmac_f32_e32 v133, v71, v122
	v_fma_f32 v66, v68, v121, -v108
	v_add_f32_e32 v65, 0, v65
	v_add_f32_e32 v69, v69, v132
	s_waitcnt vmcnt(25)
	v_fmac_f32_e32 v134, v73, v123
	v_add_f32_e32 v65, v65, v66
	v_add_f32_e32 v66, v69, v133
	s_waitcnt vmcnt(24)
	v_fmac_f32_e32 v135, v75, v124
	v_add_f32_e32 v66, v66, v134
	s_waitcnt vmcnt(23)
	v_fmac_f32_e32 v136, v77, v125
	;; [unrolled: 3-line block ×3, first 2 shown]
	v_add_f32_e32 v66, v66, v136
	v_mul_f32_e32 v110, v71, v110
	s_waitcnt vmcnt(21)
	v_fmac_f32_e32 v138, v81, v127
	v_add_f32_e32 v66, v66, v137
	v_mul_f32_e32 v112, v73, v112
	s_waitcnt vmcnt(20)
	v_fmac_f32_e32 v139, v83, v128
	v_fma_f32 v67, v70, v122, -v110
	v_add_f32_e32 v66, v66, v138
	v_fma_f32 v68, v72, v123, -v112
	v_add_f32_e32 v65, v65, v67
	v_add_f32_e32 v113, v66, v139
	v_mul_f32_e32 v66, v75, v114
	v_add_f32_e32 v65, v65, v68
	v_fma_f32 v66, v74, v124, -v66
	v_add_f32_e32 v65, v65, v66
	v_mul_f32_e32 v66, v77, v115
	v_fma_f32 v66, v76, v125, -v66
	v_add_f32_e32 v65, v65, v66
	v_mul_f32_e32 v66, v79, v116
	;; [unrolled: 3-line block ×4, first 2 shown]
	v_fma_f32 v66, v82, v128, -v66
	s_waitcnt vmcnt(9)
	v_mov_b32_e32 v82, v99
	v_mul_f32_e32 v109, v84, v119
	v_add_f32_e32 v112, v65, v66
	v_mul_f32_e32 v65, v85, v119
	s_waitcnt lgkmcnt(0)
	v_pk_mul_f32 v[82:83], v[88:89], v[82:83] op_sel_hi:[1,0]
	v_mul_f32_e32 v111, v86, v120
	v_fmac_f32_e32 v109, v85, v129
	v_fma_f32 v108, v84, v129, -v65
	v_mul_f32_e32 v65, v87, v120
	ds_read_b128 v[66:69], v64 offset:448
	ds_read_b128 v[70:73], v64 offset:464
	;; [unrolled: 1-line block ×3, first 2 shown]
	ds_read_b64 v[78:79], v64 offset:496
	s_waitcnt vmcnt(8)
	v_pk_fma_f32 v[84:85], v[88:89], v[98:99], v[82:83] op_sel:[0,0,1] op_sel_hi:[1,1,0] neg_lo:[0,0,1] neg_hi:[0,0,1]
	v_pk_fma_f32 v[82:83], v[88:89], v[98:99], v[82:83] op_sel:[0,0,1] op_sel_hi:[1,0,0]
	v_fmac_f32_e32 v111, v87, v130
	v_fma_f32 v110, v86, v130, -v65
	v_pk_add_f32 v[80:81], v[112:113], v[108:109]
	v_mov_b32_e32 v82, v97
	v_pk_add_f32 v[80:81], v[80:81], v[110:111]
	v_mov_b32_e32 v85, v83
	s_waitcnt lgkmcnt(3)
	v_pk_mul_f32 v[82:83], v[66:67], v[82:83] op_sel_hi:[1,0]
	v_pk_add_f32 v[80:81], v[80:81], v[84:85]
	v_pk_fma_f32 v[84:85], v[66:67], v[96:97], v[82:83] op_sel:[0,0,1] op_sel_hi:[1,1,0] neg_lo:[0,0,1] neg_hi:[0,0,1]
	v_pk_fma_f32 v[66:67], v[66:67], v[96:97], v[82:83] op_sel:[0,0,1] op_sel_hi:[1,0,0]
	v_mov_b32_e32 v85, v67
	v_pk_add_f32 v[66:67], v[80:81], v[84:85]
	v_mov_b32_e32 v80, v95
	v_pk_mul_f32 v[80:81], v[68:69], v[80:81] op_sel_hi:[1,0]
	v_pk_fma_f32 v[82:83], v[68:69], v[94:95], v[80:81] op_sel:[0,0,1] op_sel_hi:[1,1,0] neg_lo:[0,0,1] neg_hi:[0,0,1]
	v_pk_fma_f32 v[68:69], v[68:69], v[94:95], v[80:81] op_sel:[0,0,1] op_sel_hi:[1,0,0]
	v_mov_b32_e32 v68, v93
	v_mov_b32_e32 v83, v69
	s_waitcnt lgkmcnt(2)
	v_pk_mul_f32 v[68:69], v[70:71], v[68:69] op_sel_hi:[1,0]
	v_pk_fma_f32 v[80:81], v[70:71], v[92:93], v[68:69] op_sel:[0,0,1] op_sel_hi:[1,1,0] neg_lo:[0,0,1] neg_hi:[0,0,1]
	v_pk_fma_f32 v[68:69], v[70:71], v[92:93], v[68:69] op_sel:[0,0,1] op_sel_hi:[1,0,0]
	s_waitcnt vmcnt(1)
	v_mov_b32_e32 v68, v107
	v_mov_b32_e32 v81, v69
	v_pk_mul_f32 v[68:69], v[72:73], v[68:69] op_sel_hi:[1,0]
	s_waitcnt vmcnt(0)
	v_pk_fma_f32 v[70:71], v[72:73], v[106:107], v[68:69] op_sel:[0,0,1] op_sel_hi:[1,1,0] neg_lo:[0,0,1] neg_hi:[0,0,1]
	v_pk_fma_f32 v[68:69], v[72:73], v[106:107], v[68:69] op_sel:[0,0,1] op_sel_hi:[1,0,0]
	v_pk_add_f32 v[66:67], v[66:67], v[82:83]
	v_mov_b32_e32 v68, v105
	v_pk_add_f32 v[66:67], v[66:67], v[80:81]
	v_mov_b32_e32 v71, v69
	s_waitcnt lgkmcnt(1)
	v_pk_mul_f32 v[68:69], v[74:75], v[68:69] op_sel_hi:[1,0]
	v_pk_add_f32 v[66:67], v[66:67], v[70:71]
	v_pk_fma_f32 v[70:71], v[74:75], v[104:105], v[68:69] op_sel:[0,0,1] op_sel_hi:[1,1,0] neg_lo:[0,0,1] neg_hi:[0,0,1]
	v_pk_fma_f32 v[68:69], v[74:75], v[104:105], v[68:69] op_sel:[0,0,1] op_sel_hi:[1,0,0]
	v_mov_b32_e32 v68, v103
	v_mov_b32_e32 v71, v69
	v_pk_mul_f32 v[68:69], v[76:77], v[68:69] op_sel_hi:[1,0]
	v_pk_add_f32 v[66:67], v[66:67], v[70:71]
	v_pk_fma_f32 v[70:71], v[76:77], v[102:103], v[68:69] op_sel:[0,0,1] op_sel_hi:[1,1,0] neg_lo:[0,0,1] neg_hi:[0,0,1]
	v_pk_fma_f32 v[68:69], v[76:77], v[102:103], v[68:69] op_sel:[0,0,1] op_sel_hi:[1,0,0]
	v_mov_b32_e32 v68, v101
	v_mov_b32_e32 v71, v69
	s_waitcnt lgkmcnt(0)
	v_pk_mul_f32 v[68:69], v[78:79], v[68:69] op_sel_hi:[1,0]
	v_pk_add_f32 v[66:67], v[66:67], v[70:71]
	v_pk_fma_f32 v[70:71], v[78:79], v[100:101], v[68:69] op_sel:[0,0,1] op_sel_hi:[1,1,0] neg_lo:[0,0,1] neg_hi:[0,0,1]
	v_pk_fma_f32 v[68:69], v[78:79], v[100:101], v[68:69] op_sel:[0,0,1] op_sel_hi:[1,0,0]
	v_mov_b32_e32 v71, v69
	v_pk_add_f32 v[66:67], v[66:67], v[70:71]
	v_pk_add_f32 v[66:67], v[90:91], v[66:67] neg_lo:[0,1] neg_hi:[0,1]
	buffer_store_dword v67, off, s[0:3], 0 offset:92
	buffer_store_dword v66, off, s[0:3], 0 offset:88
	s_and_saveexec_b64 s[4:5], vcc
	s_cbranch_execz .LBB30_179
; %bb.178:
	buffer_load_dword v66, off, s[0:3], 0 offset:80
	buffer_load_dword v67, off, s[0:3], 0 offset:84
	s_waitcnt vmcnt(0)
	ds_write_b64 v1, v[66:67]
	buffer_store_dword v64, off, s[0:3], 0 offset:80
	buffer_store_dword v64, off, s[0:3], 0 offset:84
.LBB30_179:
	s_or_b64 exec, exec, s[4:5]
	s_waitcnt lgkmcnt(0)
	; wave barrier
	s_waitcnt lgkmcnt(0)
	buffer_load_dword v65, off, s[0:3], 0 offset:92
	buffer_load_dword v108, off, s[0:3], 0 offset:100
	;; [unrolled: 1-line block ×26, first 2 shown]
	ds_read2_b64 v[66:69], v64 offset0:43 offset1:44
	ds_read2_b64 v[70:73], v64 offset0:45 offset1:46
	;; [unrolled: 1-line block ×6, first 2 shown]
	buffer_load_dword v93, off, s[0:3], 0 offset:204
	buffer_load_dword v92, off, s[0:3], 0 offset:200
	;; [unrolled: 1-line block ×16, first 2 shown]
	v_cmp_lt_u32_e32 vcc, 9, v0
	s_waitcnt vmcnt(41) lgkmcnt(5)
	v_mul_f32_e32 v133, v66, v65
	s_waitcnt vmcnt(40)
	v_mul_f32_e32 v134, v68, v108
	v_mul_f32_e32 v65, v67, v65
	;; [unrolled: 1-line block ×3, first 2 shown]
	s_waitcnt vmcnt(39) lgkmcnt(4)
	v_mul_f32_e32 v135, v70, v110
	s_waitcnt vmcnt(38)
	v_mul_f32_e32 v136, v72, v112
	s_waitcnt vmcnt(37) lgkmcnt(3)
	v_mul_f32_e32 v137, v74, v114
	s_waitcnt vmcnt(36)
	v_mul_f32_e32 v138, v76, v115
	;; [unrolled: 4-line block ×4, first 2 shown]
	s_waitcnt vmcnt(29)
	v_fmac_f32_e32 v133, v67, v113
	s_waitcnt vmcnt(28)
	v_fmac_f32_e32 v134, v69, v122
	v_fma_f32 v65, v66, v113, -v65
	v_fma_f32 v66, v68, v122, -v108
	v_add_f32_e32 v68, 0, v133
	s_waitcnt vmcnt(27)
	v_fmac_f32_e32 v135, v71, v123
	v_add_f32_e32 v65, 0, v65
	v_add_f32_e32 v68, v68, v134
	s_waitcnt vmcnt(26)
	v_fmac_f32_e32 v136, v73, v124
	v_add_f32_e32 v65, v65, v66
	;; [unrolled: 4-line block ×3, first 2 shown]
	s_waitcnt vmcnt(24)
	v_fmac_f32_e32 v138, v77, v126
	v_add_f32_e32 v66, v66, v137
	s_waitcnt vmcnt(23)
	v_fmac_f32_e32 v139, v79, v127
	v_add_f32_e32 v66, v66, v138
	;; [unrolled: 3-line block ×4, first 2 shown]
	v_mul_f32_e32 v110, v71, v110
	s_waitcnt vmcnt(20)
	v_fmac_f32_e32 v142, v85, v130
	v_add_f32_e32 v66, v66, v141
	v_fma_f32 v67, v70, v123, -v110
	v_add_f32_e32 v113, v66, v142
	v_mul_f32_e32 v66, v73, v112
	v_add_f32_e32 v65, v65, v67
	v_fma_f32 v66, v72, v124, -v66
	v_add_f32_e32 v65, v65, v66
	v_mul_f32_e32 v66, v75, v114
	v_fma_f32 v66, v74, v125, -v66
	v_add_f32_e32 v65, v65, v66
	v_mul_f32_e32 v66, v77, v115
	;; [unrolled: 3-line block ×6, first 2 shown]
	v_fma_f32 v66, v84, v130, -v66
	v_add_f32_e32 v112, v65, v66
	ds_read2_b64 v[66:69], v64 offset0:55 offset1:56
	ds_read2_b64 v[70:73], v64 offset0:57 offset1:58
	;; [unrolled: 1-line block ×4, first 2 shown]
	s_waitcnt vmcnt(11)
	v_mov_b32_e32 v82, v97
	s_waitcnt lgkmcnt(3)
	v_pk_mul_f32 v[82:83], v[66:67], v[82:83] op_sel_hi:[1,0]
	s_waitcnt vmcnt(10)
	v_pk_fma_f32 v[84:85], v[66:67], v[96:97], v[82:83] op_sel:[0,0,1] op_sel_hi:[1,1,0] neg_lo:[0,0,1] neg_hi:[0,0,1]
	v_pk_fma_f32 v[66:67], v[66:67], v[96:97], v[82:83] op_sel:[0,0,1] op_sel_hi:[1,0,0]
	v_mov_b32_e32 v66, v95
	v_mov_b32_e32 v85, v67
	v_pk_mul_f32 v[66:67], v[68:69], v[66:67] op_sel_hi:[1,0]
	v_mul_f32_e32 v109, v86, v120
	v_mul_f32_e32 v65, v87, v120
	v_pk_fma_f32 v[82:83], v[68:69], v[94:95], v[66:67] op_sel:[0,0,1] op_sel_hi:[1,1,0] neg_lo:[0,0,1] neg_hi:[0,0,1]
	v_pk_fma_f32 v[66:67], v[68:69], v[94:95], v[66:67] op_sel:[0,0,1] op_sel_hi:[1,0,0]
	v_mul_f32_e32 v111, v88, v121
	v_fmac_f32_e32 v109, v87, v131
	v_fma_f32 v108, v86, v131, -v65
	v_mul_f32_e32 v65, v89, v121
	v_mov_b32_e32 v66, v93
	v_fmac_f32_e32 v111, v89, v132
	v_fma_f32 v110, v88, v132, -v65
	v_pk_add_f32 v[64:65], v[112:113], v[108:109]
	v_mov_b32_e32 v83, v67
	s_waitcnt lgkmcnt(2)
	v_pk_mul_f32 v[66:67], v[70:71], v[66:67] op_sel_hi:[1,0]
	v_pk_add_f32 v[64:65], v[64:65], v[110:111]
	v_pk_fma_f32 v[68:69], v[70:71], v[92:93], v[66:67] op_sel:[0,0,1] op_sel_hi:[1,1,0] neg_lo:[0,0,1] neg_hi:[0,0,1]
	v_pk_fma_f32 v[66:67], v[70:71], v[92:93], v[66:67] op_sel:[0,0,1] op_sel_hi:[1,0,0]
	v_pk_add_f32 v[64:65], v[64:65], v[84:85]
	s_waitcnt vmcnt(3)
	v_mov_b32_e32 v66, v105
	v_pk_add_f32 v[64:65], v[64:65], v[82:83]
	v_mov_b32_e32 v69, v67
	v_pk_mul_f32 v[66:67], v[72:73], v[66:67] op_sel_hi:[1,0]
	v_pk_add_f32 v[64:65], v[64:65], v[68:69]
	s_waitcnt vmcnt(2)
	v_pk_fma_f32 v[68:69], v[72:73], v[104:105], v[66:67] op_sel:[0,0,1] op_sel_hi:[1,1,0] neg_lo:[0,0,1] neg_hi:[0,0,1]
	v_pk_fma_f32 v[66:67], v[72:73], v[104:105], v[66:67] op_sel:[0,0,1] op_sel_hi:[1,0,0]
	v_mov_b32_e32 v66, v103
	v_mov_b32_e32 v69, v67
	s_waitcnt lgkmcnt(1)
	v_pk_mul_f32 v[66:67], v[74:75], v[66:67] op_sel_hi:[1,0]
	v_pk_add_f32 v[64:65], v[64:65], v[68:69]
	v_pk_fma_f32 v[68:69], v[74:75], v[102:103], v[66:67] op_sel:[0,0,1] op_sel_hi:[1,1,0] neg_lo:[0,0,1] neg_hi:[0,0,1]
	v_pk_fma_f32 v[66:67], v[74:75], v[102:103], v[66:67] op_sel:[0,0,1] op_sel_hi:[1,0,0]
	v_mov_b32_e32 v66, v101
	v_mov_b32_e32 v69, v67
	v_pk_mul_f32 v[66:67], v[76:77], v[66:67] op_sel_hi:[1,0]
	v_pk_add_f32 v[64:65], v[64:65], v[68:69]
	v_pk_fma_f32 v[68:69], v[76:77], v[100:101], v[66:67] op_sel:[0,0,1] op_sel_hi:[1,1,0] neg_lo:[0,0,1] neg_hi:[0,0,1]
	v_pk_fma_f32 v[66:67], v[76:77], v[100:101], v[66:67] op_sel:[0,0,1] op_sel_hi:[1,0,0]
	v_mov_b32_e32 v66, v99
	v_mov_b32_e32 v69, v67
	s_waitcnt lgkmcnt(0)
	v_pk_mul_f32 v[66:67], v[78:79], v[66:67] op_sel_hi:[1,0]
	v_pk_add_f32 v[64:65], v[64:65], v[68:69]
	v_pk_fma_f32 v[68:69], v[78:79], v[98:99], v[66:67] op_sel:[0,0,1] op_sel_hi:[1,1,0] neg_lo:[0,0,1] neg_hi:[0,0,1]
	v_pk_fma_f32 v[66:67], v[78:79], v[98:99], v[66:67] op_sel:[0,0,1] op_sel_hi:[1,0,0]
	s_waitcnt vmcnt(1)
	v_mov_b32_e32 v66, v107
	v_mov_b32_e32 v69, v67
	v_pk_mul_f32 v[66:67], v[80:81], v[66:67] op_sel_hi:[1,0]
	v_pk_add_f32 v[64:65], v[64:65], v[68:69]
	s_waitcnt vmcnt(0)
	v_pk_fma_f32 v[68:69], v[80:81], v[106:107], v[66:67] op_sel:[0,0,1] op_sel_hi:[1,1,0] neg_lo:[0,0,1] neg_hi:[0,0,1]
	v_pk_fma_f32 v[66:67], v[80:81], v[106:107], v[66:67] op_sel:[0,0,1] op_sel_hi:[1,0,0]
	v_mov_b32_e32 v69, v67
	v_pk_add_f32 v[64:65], v[64:65], v[68:69]
	v_pk_add_f32 v[64:65], v[90:91], v[64:65] neg_lo:[0,1] neg_hi:[0,1]
	buffer_store_dword v65, off, s[0:3], 0 offset:84
	buffer_store_dword v64, off, s[0:3], 0 offset:80
	s_and_saveexec_b64 s[4:5], vcc
	s_cbranch_execz .LBB30_181
; %bb.180:
	buffer_load_dword v64, off, s[0:3], 0 offset:72
	buffer_load_dword v65, off, s[0:3], 0 offset:76
	v_mov_b32_e32 v66, 0
	buffer_store_dword v66, off, s[0:3], 0 offset:72
	buffer_store_dword v66, off, s[0:3], 0 offset:76
	s_waitcnt vmcnt(2)
	ds_write_b64 v1, v[64:65]
.LBB30_181:
	s_or_b64 exec, exec, s[4:5]
	s_waitcnt lgkmcnt(0)
	; wave barrier
	s_waitcnt lgkmcnt(0)
	buffer_load_dword v65, off, s[0:3], 0 offset:84
	buffer_load_dword v116, off, s[0:3], 0 offset:92
	;; [unrolled: 1-line block ×44, first 2 shown]
	v_mov_b32_e32 v64, 0
	ds_read_b128 v[66:69], v64 offset:336
	ds_read_b128 v[70:73], v64 offset:352
	;; [unrolled: 1-line block ×8, first 2 shown]
	v_cmp_lt_u32_e32 vcc, 8, v0
	s_waitcnt vmcnt(43) lgkmcnt(7)
	v_mul_f32_e32 v121, v66, v65
	v_mul_f32_e32 v65, v67, v65
	s_waitcnt vmcnt(42)
	v_mul_f32_e32 v144, v68, v116
	s_waitcnt vmcnt(41) lgkmcnt(6)
	v_mul_f32_e32 v145, v70, v118
	s_waitcnt vmcnt(40)
	v_mul_f32_e32 v146, v72, v120
	s_waitcnt vmcnt(39) lgkmcnt(5)
	v_mul_f32_e32 v147, v74, v122
	s_waitcnt vmcnt(38)
	v_mul_f32_e32 v148, v76, v123
	s_waitcnt vmcnt(37) lgkmcnt(4)
	v_mul_f32_e32 v149, v78, v124
	s_waitcnt vmcnt(36)
	v_mul_f32_e32 v150, v80, v125
	s_waitcnt vmcnt(35) lgkmcnt(3)
	v_mul_f32_e32 v151, v82, v126
	s_waitcnt vmcnt(34)
	v_mul_f32_e32 v152, v84, v127
	s_waitcnt vmcnt(33) lgkmcnt(2)
	v_mul_f32_e32 v153, v86, v128
	s_waitcnt vmcnt(32)
	v_mul_f32_e32 v117, v88, v129
	s_waitcnt vmcnt(30)
	v_fma_f32 v65, v66, v131, -v65
	v_mul_f32_e32 v66, v69, v116
	v_add_f32_e32 v65, 0, v65
	s_waitcnt vmcnt(29)
	v_fma_f32 v66, v68, v132, -v66
	v_add_f32_e32 v65, v65, v66
	v_mul_f32_e32 v66, v71, v118
	s_waitcnt vmcnt(28)
	v_fma_f32 v66, v70, v133, -v66
	v_add_f32_e32 v65, v65, v66
	v_mul_f32_e32 v66, v73, v120
	;; [unrolled: 4-line block ×4, first 2 shown]
	s_waitcnt vmcnt(25)
	v_fma_f32 v66, v76, v136, -v66
	v_fmac_f32_e32 v121, v67, v131
	v_add_f32_e32 v65, v65, v66
	v_mul_f32_e32 v66, v79, v124
	v_fmac_f32_e32 v144, v69, v132
	v_add_f32_e32 v67, 0, v121
	s_waitcnt vmcnt(24)
	v_fma_f32 v66, v78, v137, -v66
	v_fmac_f32_e32 v145, v71, v133
	v_add_f32_e32 v67, v67, v144
	v_add_f32_e32 v65, v65, v66
	v_mul_f32_e32 v66, v81, v125
	v_fmac_f32_e32 v146, v73, v134
	v_add_f32_e32 v67, v67, v145
	s_waitcnt vmcnt(23)
	v_fma_f32 v66, v80, v138, -v66
	v_fmac_f32_e32 v147, v75, v135
	v_add_f32_e32 v67, v67, v146
	v_add_f32_e32 v65, v65, v66
	v_mul_f32_e32 v66, v83, v126
	v_fmac_f32_e32 v148, v77, v136
	v_add_f32_e32 v67, v67, v147
	s_waitcnt vmcnt(22)
	v_fma_f32 v66, v82, v139, -v66
	v_fmac_f32_e32 v149, v79, v137
	v_add_f32_e32 v67, v67, v148
	v_add_f32_e32 v65, v65, v66
	v_mul_f32_e32 v66, v85, v127
	v_fmac_f32_e32 v150, v81, v138
	v_add_f32_e32 v67, v67, v149
	s_waitcnt vmcnt(21)
	v_fma_f32 v66, v84, v140, -v66
	v_fmac_f32_e32 v151, v83, v139
	v_add_f32_e32 v67, v67, v150
	v_add_f32_e32 v65, v65, v66
	v_mul_f32_e32 v66, v87, v128
	v_fmac_f32_e32 v152, v85, v140
	v_add_f32_e32 v67, v67, v151
	s_waitcnt vmcnt(20)
	v_fma_f32 v66, v86, v141, -v66
	s_waitcnt vmcnt(13)
	v_mov_b32_e32 v78, v103
	v_fmac_f32_e32 v153, v87, v141
	v_add_f32_e32 v67, v67, v152
	v_add_f32_e32 v120, v65, v66
	v_mul_f32_e32 v65, v89, v129
	s_waitcnt lgkmcnt(1)
	v_pk_mul_f32 v[78:79], v[92:93], v[78:79] op_sel_hi:[1,0]
	v_mul_f32_e32 v119, v90, v130
	v_fmac_f32_e32 v117, v89, v142
	v_add_f32_e32 v121, v67, v153
	v_fma_f32 v116, v88, v142, -v65
	v_mul_f32_e32 v65, v91, v130
	s_waitcnt vmcnt(12)
	v_pk_fma_f32 v[80:81], v[92:93], v[102:103], v[78:79] op_sel:[0,0,1] op_sel_hi:[1,1,0] neg_lo:[0,0,1] neg_hi:[0,0,1]
	v_pk_fma_f32 v[78:79], v[92:93], v[102:103], v[78:79] op_sel:[0,0,1] op_sel_hi:[1,0,0]
	v_fmac_f32_e32 v119, v91, v143
	v_fma_f32 v118, v90, v143, -v65
	v_pk_add_f32 v[76:77], v[120:121], v[116:117]
	v_mov_b32_e32 v78, v101
	v_pk_add_f32 v[76:77], v[76:77], v[118:119]
	v_mov_b32_e32 v81, v79
	s_waitcnt lgkmcnt(0)
	v_pk_mul_f32 v[78:79], v[94:95], v[78:79] op_sel_hi:[1,0]
	v_pk_add_f32 v[76:77], v[76:77], v[80:81]
	v_pk_fma_f32 v[80:81], v[94:95], v[100:101], v[78:79] op_sel:[0,0,1] op_sel_hi:[1,1,0] neg_lo:[0,0,1] neg_hi:[0,0,1]
	v_pk_fma_f32 v[78:79], v[94:95], v[100:101], v[78:79] op_sel:[0,0,1] op_sel_hi:[1,0,0]
	s_waitcnt vmcnt(5)
	v_mov_b32_e32 v78, v111
	ds_read_b128 v[66:69], v64 offset:464
	ds_read_b128 v[70:73], v64 offset:480
	ds_read_b64 v[74:75], v64 offset:496
	v_mov_b32_e32 v81, v79
	v_pk_mul_f32 v[78:79], v[96:97], v[78:79] op_sel_hi:[1,0]
	v_pk_add_f32 v[76:77], v[76:77], v[80:81]
	s_waitcnt vmcnt(4)
	v_pk_fma_f32 v[80:81], v[96:97], v[110:111], v[78:79] op_sel:[0,0,1] op_sel_hi:[1,1,0] neg_lo:[0,0,1] neg_hi:[0,0,1]
	v_pk_fma_f32 v[78:79], v[96:97], v[110:111], v[78:79] op_sel:[0,0,1] op_sel_hi:[1,0,0]
	v_mov_b32_e32 v78, v109
	v_mov_b32_e32 v81, v79
	s_waitcnt lgkmcnt(2)
	v_pk_mul_f32 v[78:79], v[66:67], v[78:79] op_sel_hi:[1,0]
	v_pk_add_f32 v[76:77], v[76:77], v[80:81]
	v_pk_fma_f32 v[80:81], v[66:67], v[108:109], v[78:79] op_sel:[0,0,1] op_sel_hi:[1,1,0] neg_lo:[0,0,1] neg_hi:[0,0,1]
	v_pk_fma_f32 v[66:67], v[66:67], v[108:109], v[78:79] op_sel:[0,0,1] op_sel_hi:[1,0,0]
	v_mov_b32_e32 v81, v67
	v_pk_add_f32 v[66:67], v[76:77], v[80:81]
	v_mov_b32_e32 v76, v107
	v_pk_mul_f32 v[76:77], v[68:69], v[76:77] op_sel_hi:[1,0]
	v_pk_fma_f32 v[78:79], v[68:69], v[106:107], v[76:77] op_sel:[0,0,1] op_sel_hi:[1,1,0] neg_lo:[0,0,1] neg_hi:[0,0,1]
	v_pk_fma_f32 v[68:69], v[68:69], v[106:107], v[76:77] op_sel:[0,0,1] op_sel_hi:[1,0,0]
	v_mov_b32_e32 v68, v105
	v_mov_b32_e32 v79, v69
	s_waitcnt lgkmcnt(1)
	v_pk_mul_f32 v[68:69], v[70:71], v[68:69] op_sel_hi:[1,0]
	v_pk_fma_f32 v[76:77], v[70:71], v[104:105], v[68:69] op_sel:[0,0,1] op_sel_hi:[1,1,0] neg_lo:[0,0,1] neg_hi:[0,0,1]
	v_pk_fma_f32 v[68:69], v[70:71], v[104:105], v[68:69] op_sel:[0,0,1] op_sel_hi:[1,0,0]
	s_waitcnt vmcnt(1)
	v_mov_b32_e32 v68, v115
	v_mov_b32_e32 v77, v69
	v_pk_mul_f32 v[68:69], v[72:73], v[68:69] op_sel_hi:[1,0]
	s_waitcnt vmcnt(0)
	v_pk_fma_f32 v[70:71], v[72:73], v[114:115], v[68:69] op_sel:[0,0,1] op_sel_hi:[1,1,0] neg_lo:[0,0,1] neg_hi:[0,0,1]
	v_pk_fma_f32 v[68:69], v[72:73], v[114:115], v[68:69] op_sel:[0,0,1] op_sel_hi:[1,0,0]
	v_pk_add_f32 v[66:67], v[66:67], v[78:79]
	v_mov_b32_e32 v68, v113
	v_pk_add_f32 v[66:67], v[66:67], v[76:77]
	v_mov_b32_e32 v71, v69
	s_waitcnt lgkmcnt(0)
	v_pk_mul_f32 v[68:69], v[74:75], v[68:69] op_sel_hi:[1,0]
	v_pk_add_f32 v[66:67], v[66:67], v[70:71]
	v_pk_fma_f32 v[70:71], v[74:75], v[112:113], v[68:69] op_sel:[0,0,1] op_sel_hi:[1,1,0] neg_lo:[0,0,1] neg_hi:[0,0,1]
	v_pk_fma_f32 v[68:69], v[74:75], v[112:113], v[68:69] op_sel:[0,0,1] op_sel_hi:[1,0,0]
	v_mov_b32_e32 v71, v69
	v_pk_add_f32 v[66:67], v[66:67], v[70:71]
	v_pk_add_f32 v[66:67], v[98:99], v[66:67] neg_lo:[0,1] neg_hi:[0,1]
	buffer_store_dword v67, off, s[0:3], 0 offset:76
	buffer_store_dword v66, off, s[0:3], 0 offset:72
	s_and_saveexec_b64 s[4:5], vcc
	s_cbranch_execz .LBB30_183
; %bb.182:
	buffer_load_dword v66, off, s[0:3], 0 offset:64
	buffer_load_dword v67, off, s[0:3], 0 offset:68
	s_waitcnt vmcnt(0)
	ds_write_b64 v1, v[66:67]
	buffer_store_dword v64, off, s[0:3], 0 offset:64
	buffer_store_dword v64, off, s[0:3], 0 offset:68
.LBB30_183:
	s_or_b64 exec, exec, s[4:5]
	s_waitcnt lgkmcnt(0)
	; wave barrier
	s_waitcnt lgkmcnt(0)
	buffer_load_dword v65, off, s[0:3], 0 offset:76
	buffer_load_dword v116, off, s[0:3], 0 offset:84
	buffer_load_dword v118, off, s[0:3], 0 offset:92
	buffer_load_dword v120, off, s[0:3], 0 offset:100
	buffer_load_dword v122, off, s[0:3], 0 offset:108
	buffer_load_dword v123, off, s[0:3], 0 offset:116
	buffer_load_dword v124, off, s[0:3], 0 offset:124
	buffer_load_dword v125, off, s[0:3], 0 offset:132
	buffer_load_dword v126, off, s[0:3], 0 offset:140
	buffer_load_dword v127, off, s[0:3], 0 offset:148
	buffer_load_dword v128, off, s[0:3], 0 offset:156
	buffer_load_dword v129, off, s[0:3], 0 offset:164
	buffer_load_dword v130, off, s[0:3], 0 offset:172
	buffer_load_dword v131, off, s[0:3], 0 offset:72
	buffer_load_dword v132, off, s[0:3], 0 offset:80
	buffer_load_dword v133, off, s[0:3], 0 offset:88
	buffer_load_dword v134, off, s[0:3], 0 offset:96
	buffer_load_dword v135, off, s[0:3], 0 offset:104
	buffer_load_dword v136, off, s[0:3], 0 offset:112
	buffer_load_dword v137, off, s[0:3], 0 offset:120
	buffer_load_dword v138, off, s[0:3], 0 offset:128
	buffer_load_dword v139, off, s[0:3], 0 offset:136
	buffer_load_dword v140, off, s[0:3], 0 offset:144
	buffer_load_dword v141, off, s[0:3], 0 offset:152
	buffer_load_dword v142, off, s[0:3], 0 offset:160
	buffer_load_dword v143, off, s[0:3], 0 offset:168
	buffer_load_dword v144, off, s[0:3], 0 offset:180
	buffer_load_dword v145, off, s[0:3], 0 offset:176
	buffer_load_dword v98, off, s[0:3], 0 offset:64
	buffer_load_dword v99, off, s[0:3], 0 offset:68
	ds_read2_b64 v[66:69], v64 offset0:41 offset1:42
	ds_read2_b64 v[70:73], v64 offset0:43 offset1:44
	;; [unrolled: 1-line block ×6, first 2 shown]
	buffer_load_dword v101, off, s[0:3], 0 offset:188
	buffer_load_dword v100, off, s[0:3], 0 offset:184
	ds_read2_b64 v[90:93], v64 offset0:53 offset1:54
	ds_read2_b64 v[94:97], v64 offset0:55 offset1:56
	buffer_load_dword v103, off, s[0:3], 0 offset:220
	buffer_load_dword v102, off, s[0:3], 0 offset:216
	;; [unrolled: 1-line block ×14, first 2 shown]
	v_cmp_lt_u32_e32 vcc, 7, v0
	s_waitcnt vmcnt(45) lgkmcnt(7)
	v_mul_f32_e32 v119, v66, v65
	v_mul_f32_e32 v65, v67, v65
	s_waitcnt vmcnt(44)
	v_mul_f32_e32 v121, v68, v116
	s_waitcnt vmcnt(43) lgkmcnt(6)
	v_mul_f32_e32 v146, v70, v118
	s_waitcnt vmcnt(42)
	v_mul_f32_e32 v147, v72, v120
	s_waitcnt vmcnt(41) lgkmcnt(5)
	;; [unrolled: 4-line block ×5, first 2 shown]
	v_mul_f32_e32 v154, v86, v128
	s_waitcnt vmcnt(34)
	v_mul_f32_e32 v155, v88, v129
	s_waitcnt vmcnt(32)
	v_fma_f32 v65, v66, v131, -v65
	v_mul_f32_e32 v66, v69, v116
	v_add_f32_e32 v65, 0, v65
	s_waitcnt vmcnt(31)
	v_fma_f32 v66, v68, v132, -v66
	v_add_f32_e32 v65, v65, v66
	v_mul_f32_e32 v66, v71, v118
	s_waitcnt vmcnt(30)
	v_fma_f32 v66, v70, v133, -v66
	v_add_f32_e32 v65, v65, v66
	v_mul_f32_e32 v66, v73, v120
	;; [unrolled: 4-line block ×5, first 2 shown]
	v_fmac_f32_e32 v119, v67, v131
	s_waitcnt vmcnt(26)
	v_fma_f32 v66, v78, v137, -v66
	v_fmac_f32_e32 v121, v69, v132
	v_add_f32_e32 v119, 0, v119
	v_add_f32_e32 v65, v65, v66
	v_mul_f32_e32 v66, v81, v125
	v_fmac_f32_e32 v146, v71, v133
	v_add_f32_e32 v119, v119, v121
	s_waitcnt vmcnt(25)
	v_fma_f32 v66, v80, v138, -v66
	v_fmac_f32_e32 v147, v73, v134
	v_add_f32_e32 v119, v119, v146
	v_add_f32_e32 v65, v65, v66
	v_mul_f32_e32 v66, v83, v126
	v_fmac_f32_e32 v148, v75, v135
	v_add_f32_e32 v119, v119, v147
	;; [unrolled: 8-line block ×5, first 2 shown]
	s_waitcnt vmcnt(21)
	v_fma_f32 v66, v88, v142, -v66
	s_waitcnt vmcnt(15)
	v_mov_b32_e32 v78, v101
	s_waitcnt lgkmcnt(1)
	v_mul_f32_e32 v117, v90, v130
	v_fmac_f32_e32 v155, v89, v142
	v_add_f32_e32 v119, v119, v154
	v_add_f32_e32 v118, v65, v66
	v_mul_f32_e32 v65, v91, v130
	s_waitcnt lgkmcnt(0)
	v_pk_mul_f32 v[78:79], v[94:95], v[78:79] op_sel_hi:[1,0]
	v_fmac_f32_e32 v117, v91, v143
	v_add_f32_e32 v119, v119, v155
	v_mul_f32_e32 v121, v92, v144
	v_fma_f32 v116, v90, v143, -v65
	v_mul_f32_e32 v65, v93, v144
	s_waitcnt vmcnt(14)
	v_pk_fma_f32 v[80:81], v[94:95], v[100:101], v[78:79] op_sel:[0,0,1] op_sel_hi:[1,1,0] neg_lo:[0,0,1] neg_hi:[0,0,1]
	v_pk_fma_f32 v[78:79], v[94:95], v[100:101], v[78:79] op_sel:[0,0,1] op_sel_hi:[1,0,0]
	v_fmac_f32_e32 v121, v93, v145
	v_fma_f32 v120, v92, v145, -v65
	ds_read2_b64 v[66:69], v64 offset0:57 offset1:58
	ds_read2_b64 v[70:73], v64 offset0:59 offset1:60
	;; [unrolled: 1-line block ×3, first 2 shown]
	v_pk_add_f32 v[64:65], v[118:119], v[116:117]
	s_waitcnt vmcnt(7)
	v_mov_b32_e32 v78, v109
	v_pk_add_f32 v[64:65], v[64:65], v[120:121]
	v_mov_b32_e32 v81, v79
	v_pk_mul_f32 v[78:79], v[96:97], v[78:79] op_sel_hi:[1,0]
	v_pk_add_f32 v[64:65], v[64:65], v[80:81]
	s_waitcnt vmcnt(6)
	v_pk_fma_f32 v[80:81], v[96:97], v[108:109], v[78:79] op_sel:[0,0,1] op_sel_hi:[1,1,0] neg_lo:[0,0,1] neg_hi:[0,0,1]
	v_pk_fma_f32 v[78:79], v[96:97], v[108:109], v[78:79] op_sel:[0,0,1] op_sel_hi:[1,0,0]
	v_mov_b32_e32 v78, v107
	v_mov_b32_e32 v81, v79
	s_waitcnt lgkmcnt(2)
	v_pk_mul_f32 v[78:79], v[66:67], v[78:79] op_sel_hi:[1,0]
	v_pk_add_f32 v[64:65], v[64:65], v[80:81]
	v_pk_fma_f32 v[80:81], v[66:67], v[106:107], v[78:79] op_sel:[0,0,1] op_sel_hi:[1,1,0] neg_lo:[0,0,1] neg_hi:[0,0,1]
	v_pk_fma_f32 v[66:67], v[66:67], v[106:107], v[78:79] op_sel:[0,0,1] op_sel_hi:[1,0,0]
	v_mov_b32_e32 v66, v105
	v_mov_b32_e32 v81, v67
	v_pk_mul_f32 v[66:67], v[68:69], v[66:67] op_sel_hi:[1,0]
	v_pk_fma_f32 v[78:79], v[68:69], v[104:105], v[66:67] op_sel:[0,0,1] op_sel_hi:[1,1,0] neg_lo:[0,0,1] neg_hi:[0,0,1]
	v_pk_fma_f32 v[66:67], v[68:69], v[104:105], v[66:67] op_sel:[0,0,1] op_sel_hi:[1,0,0]
	v_mov_b32_e32 v66, v103
	v_mov_b32_e32 v79, v67
	s_waitcnt lgkmcnt(1)
	v_pk_mul_f32 v[66:67], v[70:71], v[66:67] op_sel_hi:[1,0]
	v_pk_fma_f32 v[68:69], v[70:71], v[102:103], v[66:67] op_sel:[0,0,1] op_sel_hi:[1,1,0] neg_lo:[0,0,1] neg_hi:[0,0,1]
	v_pk_fma_f32 v[66:67], v[70:71], v[102:103], v[66:67] op_sel:[0,0,1] op_sel_hi:[1,0,0]
	v_pk_add_f32 v[64:65], v[64:65], v[80:81]
	s_waitcnt vmcnt(1)
	v_mov_b32_e32 v66, v115
	v_pk_add_f32 v[64:65], v[64:65], v[78:79]
	v_mov_b32_e32 v69, v67
	v_pk_mul_f32 v[66:67], v[72:73], v[66:67] op_sel_hi:[1,0]
	v_pk_add_f32 v[64:65], v[64:65], v[68:69]
	s_waitcnt vmcnt(0)
	v_pk_fma_f32 v[68:69], v[72:73], v[114:115], v[66:67] op_sel:[0,0,1] op_sel_hi:[1,1,0] neg_lo:[0,0,1] neg_hi:[0,0,1]
	v_pk_fma_f32 v[66:67], v[72:73], v[114:115], v[66:67] op_sel:[0,0,1] op_sel_hi:[1,0,0]
	v_mov_b32_e32 v66, v113
	v_mov_b32_e32 v69, v67
	s_waitcnt lgkmcnt(0)
	v_pk_mul_f32 v[66:67], v[74:75], v[66:67] op_sel_hi:[1,0]
	v_pk_add_f32 v[64:65], v[64:65], v[68:69]
	v_pk_fma_f32 v[68:69], v[74:75], v[112:113], v[66:67] op_sel:[0,0,1] op_sel_hi:[1,1,0] neg_lo:[0,0,1] neg_hi:[0,0,1]
	v_pk_fma_f32 v[66:67], v[74:75], v[112:113], v[66:67] op_sel:[0,0,1] op_sel_hi:[1,0,0]
	v_mov_b32_e32 v66, v111
	v_mov_b32_e32 v69, v67
	v_pk_mul_f32 v[66:67], v[76:77], v[66:67] op_sel_hi:[1,0]
	v_pk_add_f32 v[64:65], v[64:65], v[68:69]
	v_pk_fma_f32 v[68:69], v[76:77], v[110:111], v[66:67] op_sel:[0,0,1] op_sel_hi:[1,1,0] neg_lo:[0,0,1] neg_hi:[0,0,1]
	v_pk_fma_f32 v[66:67], v[76:77], v[110:111], v[66:67] op_sel:[0,0,1] op_sel_hi:[1,0,0]
	v_mov_b32_e32 v69, v67
	v_pk_add_f32 v[64:65], v[64:65], v[68:69]
	v_pk_add_f32 v[64:65], v[98:99], v[64:65] neg_lo:[0,1] neg_hi:[0,1]
	buffer_store_dword v65, off, s[0:3], 0 offset:68
	buffer_store_dword v64, off, s[0:3], 0 offset:64
	s_and_saveexec_b64 s[4:5], vcc
	s_cbranch_execz .LBB30_185
; %bb.184:
	buffer_load_dword v64, off, s[0:3], 0 offset:56
	buffer_load_dword v65, off, s[0:3], 0 offset:60
	v_mov_b32_e32 v66, 0
	buffer_store_dword v66, off, s[0:3], 0 offset:56
	buffer_store_dword v66, off, s[0:3], 0 offset:60
	s_waitcnt vmcnt(2)
	ds_write_b64 v1, v[64:65]
.LBB30_185:
	s_or_b64 exec, exec, s[4:5]
	s_waitcnt lgkmcnt(0)
	; wave barrier
	s_waitcnt lgkmcnt(0)
	buffer_load_dword v65, off, s[0:3], 0 offset:68
	buffer_load_dword v114, off, s[0:3], 0 offset:76
	;; [unrolled: 1-line block ×32, first 2 shown]
	v_mov_b32_e32 v64, 0
	buffer_load_dword v101, off, s[0:3], 0 offset:212
	buffer_load_dword v100, off, s[0:3], 0 offset:208
	;; [unrolled: 1-line block ×13, first 2 shown]
	ds_read_b128 v[66:69], v64 offset:320
	ds_read_b128 v[70:73], v64 offset:336
	;; [unrolled: 1-line block ×8, first 2 shown]
	v_cmp_lt_u32_e32 vcc, 6, v0
	s_waitcnt vmcnt(44) lgkmcnt(7)
	v_mul_f32_e32 v108, v66, v65
	s_waitcnt vmcnt(43)
	v_mul_f32_e32 v115, v68, v114
	s_waitcnt vmcnt(42) lgkmcnt(6)
	v_mul_f32_e32 v116, v70, v118
	s_waitcnt vmcnt(41)
	v_mul_f32_e32 v117, v72, v120
	;; [unrolled: 4-line block ×6, first 2 shown]
	s_waitcnt vmcnt(32) lgkmcnt(1)
	v_mul_f32_e32 v154, v90, v130
	s_waitcnt vmcnt(31)
	v_fmac_f32_e32 v108, v67, v131
	s_waitcnt vmcnt(30)
	v_fmac_f32_e32 v115, v69, v132
	v_add_f32_e32 v108, 0, v108
	s_waitcnt vmcnt(29)
	v_fmac_f32_e32 v116, v71, v133
	v_add_f32_e32 v108, v108, v115
	;; [unrolled: 3-line block ×12, first 2 shown]
	v_add_f32_e32 v115, v108, v154
	buffer_load_dword v117, off, s[0:3], 0 offset:228
	buffer_load_dword v116, off, s[0:3], 0 offset:224
	;; [unrolled: 1-line block ×3, first 2 shown]
	v_mul_f32_e32 v65, v67, v65
	v_fma_f32 v65, v66, v131, -v65
	v_mul_f32_e32 v66, v69, v114
	v_add_f32_e32 v65, 0, v65
	v_fma_f32 v66, v68, v132, -v66
	v_add_f32_e32 v65, v65, v66
	v_mul_f32_e32 v66, v71, v118
	v_fma_f32 v66, v70, v133, -v66
	v_add_f32_e32 v65, v65, v66
	v_mul_f32_e32 v66, v73, v120
	;; [unrolled: 3-line block ×11, first 2 shown]
	v_fma_f32 v66, v90, v143, -v66
	s_waitcnt vmcnt(9)
	v_mov_b32_e32 v82, v107
	v_mul_f32_e32 v119, v92, v144
	v_add_f32_e32 v114, v65, v66
	v_mul_f32_e32 v65, v93, v144
	s_waitcnt lgkmcnt(0)
	v_pk_mul_f32 v[82:83], v[96:97], v[82:83] op_sel_hi:[1,0]
	v_fmac_f32_e32 v119, v93, v145
	v_mul_f32_e32 v121, v94, v146
	v_fma_f32 v118, v92, v145, -v65
	v_mul_f32_e32 v65, v95, v146
	ds_read_b128 v[66:69], v64 offset:448
	ds_read_b128 v[70:73], v64 offset:464
	;; [unrolled: 1-line block ×3, first 2 shown]
	ds_read_b64 v[78:79], v64 offset:496
	s_waitcnt vmcnt(8)
	v_pk_fma_f32 v[84:85], v[96:97], v[106:107], v[82:83] op_sel:[0,0,1] op_sel_hi:[1,1,0] neg_lo:[0,0,1] neg_hi:[0,0,1]
	v_pk_fma_f32 v[82:83], v[96:97], v[106:107], v[82:83] op_sel:[0,0,1] op_sel_hi:[1,0,0]
	v_fmac_f32_e32 v121, v95, v147
	v_fma_f32 v120, v94, v147, -v65
	v_pk_add_f32 v[80:81], v[114:115], v[118:119]
	v_mov_b32_e32 v82, v105
	v_pk_add_f32 v[80:81], v[80:81], v[120:121]
	v_mov_b32_e32 v85, v83
	s_waitcnt lgkmcnt(3)
	v_pk_mul_f32 v[82:83], v[66:67], v[82:83] op_sel_hi:[1,0]
	v_pk_add_f32 v[80:81], v[80:81], v[84:85]
	v_pk_fma_f32 v[84:85], v[66:67], v[104:105], v[82:83] op_sel:[0,0,1] op_sel_hi:[1,1,0] neg_lo:[0,0,1] neg_hi:[0,0,1]
	v_pk_fma_f32 v[66:67], v[66:67], v[104:105], v[82:83] op_sel:[0,0,1] op_sel_hi:[1,0,0]
	v_mov_b32_e32 v85, v67
	v_pk_add_f32 v[66:67], v[80:81], v[84:85]
	v_mov_b32_e32 v80, v103
	v_pk_mul_f32 v[80:81], v[68:69], v[80:81] op_sel_hi:[1,0]
	v_pk_fma_f32 v[82:83], v[68:69], v[102:103], v[80:81] op_sel:[0,0,1] op_sel_hi:[1,1,0] neg_lo:[0,0,1] neg_hi:[0,0,1]
	v_pk_fma_f32 v[68:69], v[68:69], v[102:103], v[80:81] op_sel:[0,0,1] op_sel_hi:[1,0,0]
	v_mov_b32_e32 v68, v101
	v_mov_b32_e32 v83, v69
	s_waitcnt lgkmcnt(2)
	v_pk_mul_f32 v[68:69], v[70:71], v[68:69] op_sel_hi:[1,0]
	v_pk_fma_f32 v[80:81], v[70:71], v[100:101], v[68:69] op_sel:[0,0,1] op_sel_hi:[1,1,0] neg_lo:[0,0,1] neg_hi:[0,0,1]
	v_pk_fma_f32 v[68:69], v[70:71], v[100:101], v[68:69] op_sel:[0,0,1] op_sel_hi:[1,0,0]
	s_waitcnt vmcnt(7)
	v_mov_b32_e32 v68, v109
	v_mov_b32_e32 v81, v69
	v_pk_mul_f32 v[68:69], v[72:73], v[68:69] op_sel_hi:[1,0]
	v_pk_add_f32 v[66:67], v[66:67], v[82:83]
	v_pk_add_f32 v[66:67], v[66:67], v[80:81]
	s_waitcnt vmcnt(0)
	v_pk_fma_f32 v[70:71], v[72:73], v[108:109], v[68:69] op_sel:[0,0,1] op_sel_hi:[1,1,0] neg_lo:[0,0,1] neg_hi:[0,0,1]
	v_pk_fma_f32 v[68:69], v[72:73], v[108:109], v[68:69] op_sel:[0,0,1] op_sel_hi:[1,0,0]
	v_mov_b32_e32 v68, v117
	v_mov_b32_e32 v71, v69
	s_waitcnt lgkmcnt(1)
	v_pk_mul_f32 v[68:69], v[74:75], v[68:69] op_sel_hi:[1,0]
	v_pk_add_f32 v[66:67], v[66:67], v[70:71]
	v_pk_fma_f32 v[70:71], v[74:75], v[116:117], v[68:69] op_sel:[0,0,1] op_sel_hi:[1,1,0] neg_lo:[0,0,1] neg_hi:[0,0,1]
	v_pk_fma_f32 v[68:69], v[74:75], v[116:117], v[68:69] op_sel:[0,0,1] op_sel_hi:[1,0,0]
	v_mov_b32_e32 v68, v113
	v_mov_b32_e32 v71, v69
	v_pk_mul_f32 v[68:69], v[76:77], v[68:69] op_sel_hi:[1,0]
	v_pk_add_f32 v[66:67], v[66:67], v[70:71]
	v_pk_fma_f32 v[70:71], v[76:77], v[112:113], v[68:69] op_sel:[0,0,1] op_sel_hi:[1,1,0] neg_lo:[0,0,1] neg_hi:[0,0,1]
	v_pk_fma_f32 v[68:69], v[76:77], v[112:113], v[68:69] op_sel:[0,0,1] op_sel_hi:[1,0,0]
	v_mov_b32_e32 v68, v111
	v_mov_b32_e32 v71, v69
	s_waitcnt lgkmcnt(0)
	v_pk_mul_f32 v[68:69], v[78:79], v[68:69] op_sel_hi:[1,0]
	v_pk_add_f32 v[66:67], v[66:67], v[70:71]
	v_pk_fma_f32 v[70:71], v[78:79], v[110:111], v[68:69] op_sel:[0,0,1] op_sel_hi:[1,1,0] neg_lo:[0,0,1] neg_hi:[0,0,1]
	v_pk_fma_f32 v[68:69], v[78:79], v[110:111], v[68:69] op_sel:[0,0,1] op_sel_hi:[1,0,0]
	v_mov_b32_e32 v71, v69
	v_pk_add_f32 v[66:67], v[66:67], v[70:71]
	v_pk_add_f32 v[66:67], v[98:99], v[66:67] neg_lo:[0,1] neg_hi:[0,1]
	buffer_store_dword v67, off, s[0:3], 0 offset:60
	buffer_store_dword v66, off, s[0:3], 0 offset:56
	s_and_saveexec_b64 s[4:5], vcc
	s_cbranch_execz .LBB30_187
; %bb.186:
	buffer_load_dword v66, off, s[0:3], 0 offset:48
	buffer_load_dword v67, off, s[0:3], 0 offset:52
	s_waitcnt vmcnt(0)
	ds_write_b64 v1, v[66:67]
	buffer_store_dword v64, off, s[0:3], 0 offset:48
	buffer_store_dword v64, off, s[0:3], 0 offset:52
.LBB30_187:
	s_or_b64 exec, exec, s[4:5]
	s_waitcnt lgkmcnt(0)
	; wave barrier
	s_waitcnt lgkmcnt(0)
	buffer_load_dword v65, off, s[0:3], 0 offset:60
	buffer_load_dword v114, off, s[0:3], 0 offset:68
	;; [unrolled: 1-line block ×34, first 2 shown]
	ds_read2_b64 v[66:69], v64 offset0:39 offset1:40
	ds_read2_b64 v[70:73], v64 offset0:41 offset1:42
	;; [unrolled: 1-line block ×8, first 2 shown]
	buffer_load_dword v101, off, s[0:3], 0 offset:204
	buffer_load_dword v100, off, s[0:3], 0 offset:200
	;; [unrolled: 1-line block ×9, first 2 shown]
	v_cmp_lt_u32_e32 vcc, 5, v0
	s_waitcnt vmcnt(42) lgkmcnt(7)
	v_mul_f32_e32 v106, v66, v65
	s_waitcnt vmcnt(41)
	v_mul_f32_e32 v110, v68, v114
	s_waitcnt vmcnt(40) lgkmcnt(6)
	v_mul_f32_e32 v111, v70, v116
	s_waitcnt vmcnt(39)
	v_mul_f32_e32 v112, v72, v118
	;; [unrolled: 4-line block ×6, first 2 shown]
	s_waitcnt vmcnt(30) lgkmcnt(1)
	v_mul_f32_e32 v152, v90, v130
	v_mul_f32_e32 v65, v67, v65
	s_waitcnt vmcnt(28)
	v_fmac_f32_e32 v106, v67, v132
	s_waitcnt vmcnt(27)
	v_fmac_f32_e32 v110, v69, v133
	v_add_f32_e32 v106, 0, v106
	s_waitcnt vmcnt(26)
	v_fmac_f32_e32 v111, v71, v134
	v_add_f32_e32 v106, v106, v110
	;; [unrolled: 3-line block ×12, first 2 shown]
	v_add_f32_e32 v115, v106, v152
	buffer_load_dword v111, off, s[0:3], 0 offset:228
	buffer_load_dword v110, off, s[0:3], 0 offset:224
	;; [unrolled: 1-line block ×7, first 2 shown]
	v_fma_f32 v65, v66, v132, -v65
	v_mul_f32_e32 v66, v69, v114
	v_add_f32_e32 v65, 0, v65
	v_fma_f32 v66, v68, v133, -v66
	v_add_f32_e32 v65, v65, v66
	v_mul_f32_e32 v66, v71, v116
	v_fma_f32 v66, v70, v134, -v66
	v_add_f32_e32 v65, v65, v66
	v_mul_f32_e32 v66, v73, v118
	;; [unrolled: 3-line block ×12, first 2 shown]
	s_waitcnt vmcnt(22)
	v_fma_f32 v66, v92, v145, -v66
	v_add_f32_e32 v114, v65, v66
	ds_read2_b64 v[66:69], v64 offset0:55 offset1:56
	ds_read2_b64 v[70:73], v64 offset0:57 offset1:58
	;; [unrolled: 1-line block ×4, first 2 shown]
	s_waitcnt vmcnt(11)
	v_mov_b32_e32 v82, v105
	s_waitcnt lgkmcnt(3)
	v_pk_mul_f32 v[82:83], v[66:67], v[82:83] op_sel_hi:[1,0]
	s_waitcnt vmcnt(10)
	v_pk_fma_f32 v[84:85], v[66:67], v[104:105], v[82:83] op_sel:[0,0,1] op_sel_hi:[1,1,0] neg_lo:[0,0,1] neg_hi:[0,0,1]
	v_pk_fma_f32 v[66:67], v[66:67], v[104:105], v[82:83] op_sel:[0,0,1] op_sel_hi:[1,0,0]
	v_mov_b32_e32 v66, v103
	v_mul_f32_e32 v153, v92, v131
	v_mov_b32_e32 v85, v67
	v_pk_mul_f32 v[66:67], v[68:69], v[66:67] op_sel_hi:[1,0]
	v_fmac_f32_e32 v153, v93, v145
	v_mul_f32_e32 v117, v94, v146
	v_mul_f32_e32 v65, v95, v146
	v_pk_fma_f32 v[82:83], v[68:69], v[102:103], v[66:67] op_sel:[0,0,1] op_sel_hi:[1,1,0] neg_lo:[0,0,1] neg_hi:[0,0,1]
	v_pk_fma_f32 v[66:67], v[68:69], v[102:103], v[66:67] op_sel:[0,0,1] op_sel_hi:[1,0,0]
	v_add_f32_e32 v115, v115, v153
	v_fmac_f32_e32 v117, v95, v147
	v_mul_f32_e32 v119, v96, v148
	v_fma_f32 v116, v94, v147, -v65
	v_mul_f32_e32 v65, v97, v148
	v_mov_b32_e32 v66, v101
	v_fmac_f32_e32 v119, v97, v149
	v_fma_f32 v118, v96, v149, -v65
	v_pk_add_f32 v[64:65], v[114:115], v[116:117]
	v_mov_b32_e32 v83, v67
	s_waitcnt lgkmcnt(2)
	v_pk_mul_f32 v[66:67], v[70:71], v[66:67] op_sel_hi:[1,0]
	v_pk_add_f32 v[64:65], v[64:65], v[118:119]
	v_pk_fma_f32 v[68:69], v[70:71], v[100:101], v[66:67] op_sel:[0,0,1] op_sel_hi:[1,1,0] neg_lo:[0,0,1] neg_hi:[0,0,1]
	v_pk_fma_f32 v[66:67], v[70:71], v[100:101], v[66:67] op_sel:[0,0,1] op_sel_hi:[1,0,0]
	v_pk_add_f32 v[64:65], v[64:65], v[84:85]
	s_waitcnt vmcnt(9)
	v_mov_b32_e32 v66, v107
	v_pk_add_f32 v[64:65], v[64:65], v[82:83]
	v_mov_b32_e32 v69, v67
	v_pk_mul_f32 v[66:67], v[72:73], v[66:67] op_sel_hi:[1,0]
	v_pk_add_f32 v[64:65], v[64:65], v[68:69]
	s_waitcnt vmcnt(2)
	v_pk_fma_f32 v[68:69], v[72:73], v[106:107], v[66:67] op_sel:[0,0,1] op_sel_hi:[1,1,0] neg_lo:[0,0,1] neg_hi:[0,0,1]
	v_pk_fma_f32 v[66:67], v[72:73], v[106:107], v[66:67] op_sel:[0,0,1] op_sel_hi:[1,0,0]
	v_mov_b32_e32 v66, v113
	v_mov_b32_e32 v69, v67
	s_waitcnt lgkmcnt(1)
	v_pk_mul_f32 v[66:67], v[74:75], v[66:67] op_sel_hi:[1,0]
	v_pk_add_f32 v[64:65], v[64:65], v[68:69]
	v_pk_fma_f32 v[68:69], v[74:75], v[112:113], v[66:67] op_sel:[0,0,1] op_sel_hi:[1,1,0] neg_lo:[0,0,1] neg_hi:[0,0,1]
	v_pk_fma_f32 v[66:67], v[74:75], v[112:113], v[66:67] op_sel:[0,0,1] op_sel_hi:[1,0,0]
	v_mov_b32_e32 v66, v111
	v_mov_b32_e32 v69, v67
	v_pk_mul_f32 v[66:67], v[76:77], v[66:67] op_sel_hi:[1,0]
	v_pk_add_f32 v[64:65], v[64:65], v[68:69]
	v_pk_fma_f32 v[68:69], v[76:77], v[110:111], v[66:67] op_sel:[0,0,1] op_sel_hi:[1,1,0] neg_lo:[0,0,1] neg_hi:[0,0,1]
	v_pk_fma_f32 v[66:67], v[76:77], v[110:111], v[66:67] op_sel:[0,0,1] op_sel_hi:[1,0,0]
	v_mov_b32_e32 v66, v109
	v_mov_b32_e32 v69, v67
	s_waitcnt lgkmcnt(0)
	v_pk_mul_f32 v[66:67], v[78:79], v[66:67] op_sel_hi:[1,0]
	v_pk_add_f32 v[64:65], v[64:65], v[68:69]
	v_pk_fma_f32 v[68:69], v[78:79], v[108:109], v[66:67] op_sel:[0,0,1] op_sel_hi:[1,1,0] neg_lo:[0,0,1] neg_hi:[0,0,1]
	v_pk_fma_f32 v[66:67], v[78:79], v[108:109], v[66:67] op_sel:[0,0,1] op_sel_hi:[1,0,0]
	s_waitcnt vmcnt(1)
	v_mov_b32_e32 v66, v121
	v_mov_b32_e32 v69, v67
	v_pk_mul_f32 v[66:67], v[80:81], v[66:67] op_sel_hi:[1,0]
	v_pk_add_f32 v[64:65], v[64:65], v[68:69]
	s_waitcnt vmcnt(0)
	v_pk_fma_f32 v[68:69], v[80:81], v[120:121], v[66:67] op_sel:[0,0,1] op_sel_hi:[1,1,0] neg_lo:[0,0,1] neg_hi:[0,0,1]
	v_pk_fma_f32 v[66:67], v[80:81], v[120:121], v[66:67] op_sel:[0,0,1] op_sel_hi:[1,0,0]
	v_mov_b32_e32 v69, v67
	v_pk_add_f32 v[64:65], v[64:65], v[68:69]
	v_pk_add_f32 v[64:65], v[98:99], v[64:65] neg_lo:[0,1] neg_hi:[0,1]
	buffer_store_dword v65, off, s[0:3], 0 offset:52
	buffer_store_dword v64, off, s[0:3], 0 offset:48
	s_and_saveexec_b64 s[4:5], vcc
	s_cbranch_execz .LBB30_189
; %bb.188:
	buffer_load_dword v64, off, s[0:3], 0 offset:40
	buffer_load_dword v65, off, s[0:3], 0 offset:44
	v_mov_b32_e32 v66, 0
	buffer_store_dword v66, off, s[0:3], 0 offset:40
	buffer_store_dword v66, off, s[0:3], 0 offset:44
	s_waitcnt vmcnt(2)
	ds_write_b64 v1, v[64:65]
.LBB30_189:
	s_or_b64 exec, exec, s[4:5]
	s_waitcnt lgkmcnt(0)
	; wave barrier
	s_waitcnt lgkmcnt(0)
	buffer_load_dword v67, off, s[0:3], 0 offset:52
	buffer_load_dword v120, off, s[0:3], 0 offset:60
	;; [unrolled: 1-line block ×36, first 2 shown]
	v_mov_b32_e32 v66, 0
	buffer_load_dword v109, off, s[0:3], 0 offset:196
	buffer_load_dword v108, off, s[0:3], 0 offset:192
	;; [unrolled: 1-line block ×5, first 2 shown]
	ds_read_b128 v[68:71], v66 offset:304
	ds_read_b128 v[72:75], v66 offset:320
	;; [unrolled: 1-line block ×8, first 2 shown]
	v_cmp_lt_u32_e32 vcc, 4, v0
	s_waitcnt vmcnt(40) lgkmcnt(7)
	v_mul_f32_e32 v100, v68, v67
	s_waitcnt vmcnt(39)
	v_mul_f32_e32 v101, v70, v120
	s_waitcnt vmcnt(38) lgkmcnt(6)
	v_mul_f32_e32 v102, v72, v122
	s_waitcnt vmcnt(37)
	v_mul_f32_e32 v103, v74, v124
	;; [unrolled: 4-line block ×7, first 2 shown]
	s_waitcnt vmcnt(26) lgkmcnt(0)
	v_mul_f32_e32 v121, v96, v140
	s_waitcnt vmcnt(25)
	v_fmac_f32_e32 v100, v69, v141
	s_waitcnt vmcnt(24)
	v_fmac_f32_e32 v101, v71, v142
	v_add_f32_e32 v100, 0, v100
	s_waitcnt vmcnt(23)
	v_fmac_f32_e32 v102, v73, v143
	v_add_f32_e32 v100, v100, v101
	;; [unrolled: 3-line block ×13, first 2 shown]
	v_add_f32_e32 v104, v100, v118
	buffer_load_dword v115, off, s[0:3], 0 offset:228
	buffer_load_dword v114, off, s[0:3], 0 offset:224
	;; [unrolled: 1-line block ×7, first 2 shown]
	s_waitcnt vmcnt(18)
	v_fmac_f32_e32 v121, v97, v155
	ds_read_b128 v[100:103], v66 offset:432
	v_add_f32_e32 v121, v104, v121
	ds_read_b128 v[104:107], v66 offset:448
	buffer_load_dword v127, off, s[0:3], 0 offset:244
	buffer_load_dword v126, off, s[0:3], 0 offset:240
	;; [unrolled: 1-line block ×4, first 2 shown]
	v_mul_f32_e32 v67, v69, v67
	v_fma_f32 v67, v68, v141, -v67
	v_mul_f32_e32 v68, v71, v120
	v_add_f32_e32 v67, 0, v67
	v_fma_f32 v68, v70, v142, -v68
	v_add_f32_e32 v67, v67, v68
	v_mul_f32_e32 v68, v73, v122
	v_fma_f32 v68, v72, v143, -v68
	v_add_f32_e32 v67, v67, v68
	v_mul_f32_e32 v68, v75, v124
	;; [unrolled: 3-line block ×13, first 2 shown]
	v_fma_f32 v68, v96, v155, -v68
	s_waitcnt vmcnt(13)
	v_mov_b32_e32 v80, v111
	v_mul_f32_e32 v123, v98, v156
	v_add_f32_e32 v120, v67, v68
	v_mul_f32_e32 v67, v99, v156
	s_waitcnt lgkmcnt(1)
	v_pk_mul_f32 v[80:81], v[102:103], v[80:81] op_sel_hi:[1,0]
	v_fmac_f32_e32 v123, v99, v157
	v_mul_f32_e32 v125, v100, v158
	v_fma_f32 v122, v98, v157, -v67
	v_mul_f32_e32 v67, v101, v158
	s_waitcnt vmcnt(12)
	v_pk_fma_f32 v[82:83], v[102:103], v[110:111], v[80:81] op_sel:[0,0,1] op_sel_hi:[1,1,0] neg_lo:[0,0,1] neg_hi:[0,0,1]
	v_pk_fma_f32 v[80:81], v[102:103], v[110:111], v[80:81] op_sel:[0,0,1] op_sel_hi:[1,0,0]
	v_fmac_f32_e32 v125, v101, v159
	v_fma_f32 v124, v100, v159, -v67
	v_pk_add_f32 v[78:79], v[120:121], v[122:123]
	v_mov_b32_e32 v80, v109
	v_pk_add_f32 v[78:79], v[78:79], v[124:125]
	v_mov_b32_e32 v83, v81
	s_waitcnt lgkmcnt(0)
	v_pk_mul_f32 v[80:81], v[104:105], v[80:81] op_sel_hi:[1,0]
	v_pk_add_f32 v[78:79], v[78:79], v[82:83]
	v_pk_fma_f32 v[82:83], v[104:105], v[108:109], v[80:81] op_sel:[0,0,1] op_sel_hi:[1,1,0] neg_lo:[0,0,1] neg_hi:[0,0,1]
	v_pk_fma_f32 v[80:81], v[104:105], v[108:109], v[80:81] op_sel:[0,0,1] op_sel_hi:[1,0,0]
	s_waitcnt vmcnt(11)
	v_mov_b32_e32 v80, v113
	ds_read_b128 v[68:71], v66 offset:464
	ds_read_b128 v[72:75], v66 offset:480
	ds_read_b64 v[76:77], v66 offset:496
	v_mov_b32_e32 v83, v81
	v_pk_mul_f32 v[80:81], v[106:107], v[80:81] op_sel_hi:[1,0]
	v_pk_add_f32 v[78:79], v[78:79], v[82:83]
	s_waitcnt vmcnt(4)
	v_pk_fma_f32 v[82:83], v[106:107], v[112:113], v[80:81] op_sel:[0,0,1] op_sel_hi:[1,1,0] neg_lo:[0,0,1] neg_hi:[0,0,1]
	v_pk_fma_f32 v[80:81], v[106:107], v[112:113], v[80:81] op_sel:[0,0,1] op_sel_hi:[1,0,0]
	v_mov_b32_e32 v80, v119
	v_mov_b32_e32 v83, v81
	s_waitcnt lgkmcnt(2)
	v_pk_mul_f32 v[80:81], v[68:69], v[80:81] op_sel_hi:[1,0]
	v_pk_add_f32 v[78:79], v[78:79], v[82:83]
	v_pk_fma_f32 v[82:83], v[68:69], v[118:119], v[80:81] op_sel:[0,0,1] op_sel_hi:[1,1,0] neg_lo:[0,0,1] neg_hi:[0,0,1]
	v_pk_fma_f32 v[68:69], v[68:69], v[118:119], v[80:81] op_sel:[0,0,1] op_sel_hi:[1,0,0]
	v_mov_b32_e32 v83, v69
	v_pk_add_f32 v[68:69], v[78:79], v[82:83]
	v_mov_b32_e32 v78, v117
	v_pk_mul_f32 v[78:79], v[70:71], v[78:79] op_sel_hi:[1,0]
	v_pk_fma_f32 v[80:81], v[70:71], v[116:117], v[78:79] op_sel:[0,0,1] op_sel_hi:[1,1,0] neg_lo:[0,0,1] neg_hi:[0,0,1]
	v_pk_fma_f32 v[70:71], v[70:71], v[116:117], v[78:79] op_sel:[0,0,1] op_sel_hi:[1,0,0]
	v_mov_b32_e32 v70, v115
	v_mov_b32_e32 v81, v71
	s_waitcnt lgkmcnt(1)
	v_pk_mul_f32 v[70:71], v[72:73], v[70:71] op_sel_hi:[1,0]
	v_pk_fma_f32 v[78:79], v[72:73], v[114:115], v[70:71] op_sel:[0,0,1] op_sel_hi:[1,1,0] neg_lo:[0,0,1] neg_hi:[0,0,1]
	v_pk_fma_f32 v[70:71], v[72:73], v[114:115], v[70:71] op_sel:[0,0,1] op_sel_hi:[1,0,0]
	s_waitcnt vmcnt(1)
	v_mov_b32_e32 v70, v129
	v_mov_b32_e32 v79, v71
	v_pk_mul_f32 v[70:71], v[74:75], v[70:71] op_sel_hi:[1,0]
	s_waitcnt vmcnt(0)
	v_pk_fma_f32 v[72:73], v[74:75], v[128:129], v[70:71] op_sel:[0,0,1] op_sel_hi:[1,1,0] neg_lo:[0,0,1] neg_hi:[0,0,1]
	v_pk_fma_f32 v[70:71], v[74:75], v[128:129], v[70:71] op_sel:[0,0,1] op_sel_hi:[1,0,0]
	v_pk_add_f32 v[68:69], v[68:69], v[80:81]
	v_mov_b32_e32 v70, v127
	v_pk_add_f32 v[68:69], v[68:69], v[78:79]
	v_mov_b32_e32 v73, v71
	s_waitcnt lgkmcnt(0)
	v_pk_mul_f32 v[70:71], v[76:77], v[70:71] op_sel_hi:[1,0]
	v_pk_add_f32 v[68:69], v[68:69], v[72:73]
	v_pk_fma_f32 v[72:73], v[76:77], v[126:127], v[70:71] op_sel:[0,0,1] op_sel_hi:[1,1,0] neg_lo:[0,0,1] neg_hi:[0,0,1]
	v_pk_fma_f32 v[70:71], v[76:77], v[126:127], v[70:71] op_sel:[0,0,1] op_sel_hi:[1,0,0]
	v_mov_b32_e32 v73, v71
	v_pk_add_f32 v[68:69], v[68:69], v[72:73]
	v_pk_add_f32 v[64:65], v[64:65], v[68:69] neg_lo:[0,1] neg_hi:[0,1]
	buffer_store_dword v65, off, s[0:3], 0 offset:44
	buffer_store_dword v64, off, s[0:3], 0 offset:40
	s_and_saveexec_b64 s[4:5], vcc
	s_cbranch_execz .LBB30_191
; %bb.190:
	buffer_load_dword v64, off, s[0:3], 0 offset:32
	buffer_load_dword v65, off, s[0:3], 0 offset:36
	s_waitcnt vmcnt(0)
	ds_write_b64 v1, v[64:65]
	buffer_store_dword v66, off, s[0:3], 0 offset:32
	buffer_store_dword v66, off, s[0:3], 0 offset:36
.LBB30_191:
	s_or_b64 exec, exec, s[4:5]
	s_waitcnt lgkmcnt(0)
	; wave barrier
	s_waitcnt lgkmcnt(0)
	buffer_load_dword v64, off, s[0:3], 0 offset:44
	buffer_load_dword v65, off, s[0:3], 0 offset:52
	;; [unrolled: 1-line block ×38, first 2 shown]
	ds_read2_b64 v[68:71], v66 offset0:37 offset1:38
	ds_read2_b64 v[72:75], v66 offset0:39 offset1:40
	;; [unrolled: 1-line block ×8, first 2 shown]
	buffer_load_dword v111, off, s[0:3], 0 offset:188
	buffer_load_dword v110, off, s[0:3], 0 offset:184
	;; [unrolled: 1-line block ×4, first 2 shown]
	v_cmp_lt_u32_e32 vcc, 3, v0
	s_waitcnt vmcnt(41) lgkmcnt(7)
	v_mul_f32_e32 v100, v68, v64
	s_waitcnt vmcnt(40)
	v_mul_f32_e32 v101, v70, v65
	s_waitcnt vmcnt(39) lgkmcnt(6)
	v_mul_f32_e32 v102, v72, v67
	s_waitcnt vmcnt(38)
	v_mul_f32_e32 v103, v74, v120
	;; [unrolled: 4-line block ×7, first 2 shown]
	s_waitcnt vmcnt(27) lgkmcnt(0)
	v_mul_f32_e32 v121, v96, v140
	s_waitcnt vmcnt(26)
	v_fmac_f32_e32 v100, v69, v141
	s_waitcnt vmcnt(25)
	v_fmac_f32_e32 v101, v71, v142
	v_add_f32_e32 v100, 0, v100
	s_waitcnt vmcnt(24)
	v_fmac_f32_e32 v102, v73, v143
	v_add_f32_e32 v100, v100, v101
	;; [unrolled: 3-line block ×13, first 2 shown]
	v_add_f32_e32 v100, v100, v119
	buffer_load_dword v115, off, s[0:3], 0 offset:212
	buffer_load_dword v114, off, s[0:3], 0 offset:208
	;; [unrolled: 1-line block ×6, first 2 shown]
	s_waitcnt vmcnt(18)
	v_fmac_f32_e32 v121, v97, v155
	s_waitcnt vmcnt(17)
	v_mul_f32_e32 v105, v98, v156
	v_add_f32_e32 v104, v100, v121
	s_waitcnt vmcnt(16)
	v_fmac_f32_e32 v105, v99, v157
	ds_read2_b64 v[100:103], v66 offset0:53 offset1:54
	v_add_f32_e32 v121, v104, v105
	ds_read2_b64 v[104:107], v66 offset0:55 offset1:56
	buffer_load_dword v127, off, s[0:3], 0 offset:244
	buffer_load_dword v126, off, s[0:3], 0 offset:240
	;; [unrolled: 1-line block ×6, first 2 shown]
	v_mul_f32_e32 v64, v69, v64
	v_fma_f32 v64, v68, v141, -v64
	v_mul_f32_e32 v65, v71, v65
	v_add_f32_e32 v64, 0, v64
	v_fma_f32 v65, v70, v142, -v65
	v_add_f32_e32 v64, v64, v65
	v_mul_f32_e32 v65, v73, v67
	v_fma_f32 v65, v72, v143, -v65
	v_add_f32_e32 v64, v64, v65
	v_mul_f32_e32 v65, v75, v120
	;; [unrolled: 3-line block ×14, first 2 shown]
	v_fma_f32 v65, v98, v157, -v65
	s_waitcnt vmcnt(15)
	v_mov_b32_e32 v78, v111
	s_waitcnt lgkmcnt(1)
	v_mul_f32_e32 v123, v100, v158
	v_add_f32_e32 v120, v64, v65
	v_mul_f32_e32 v64, v101, v158
	s_waitcnt lgkmcnt(0)
	v_pk_mul_f32 v[78:79], v[104:105], v[78:79] op_sel_hi:[1,0]
	v_fmac_f32_e32 v123, v101, v159
	v_mul_f32_e32 v125, v102, v160
	v_fma_f32 v122, v100, v159, -v64
	v_mul_f32_e32 v64, v103, v160
	s_waitcnt vmcnt(14)
	v_pk_fma_f32 v[80:81], v[104:105], v[110:111], v[78:79] op_sel:[0,0,1] op_sel_hi:[1,1,0] neg_lo:[0,0,1] neg_hi:[0,0,1]
	v_pk_fma_f32 v[78:79], v[104:105], v[110:111], v[78:79] op_sel:[0,0,1] op_sel_hi:[1,0,0]
	v_fmac_f32_e32 v125, v103, v161
	v_fma_f32 v124, v102, v161, -v64
	v_pk_add_f32 v[76:77], v[120:121], v[122:123]
	ds_read2_b64 v[68:71], v66 offset0:57 offset1:58
	ds_read2_b64 v[72:75], v66 offset0:59 offset1:60
	;; [unrolled: 1-line block ×3, first 2 shown]
	v_pk_add_f32 v[76:77], v[76:77], v[124:125]
	v_mov_b32_e32 v81, v79
	v_pk_add_f32 v[76:77], v[76:77], v[80:81]
	s_waitcnt vmcnt(7)
	v_mov_b32_e32 v78, v119
	v_pk_mul_f32 v[78:79], v[106:107], v[78:79] op_sel_hi:[1,0]
	s_waitcnt vmcnt(6)
	v_pk_fma_f32 v[80:81], v[106:107], v[118:119], v[78:79] op_sel:[0,0,1] op_sel_hi:[1,1,0] neg_lo:[0,0,1] neg_hi:[0,0,1]
	v_pk_fma_f32 v[78:79], v[106:107], v[118:119], v[78:79] op_sel:[0,0,1] op_sel_hi:[1,0,0]
	v_mov_b32_e32 v78, v117
	v_mov_b32_e32 v81, v79
	s_waitcnt lgkmcnt(2)
	v_pk_mul_f32 v[78:79], v[68:69], v[78:79] op_sel_hi:[1,0]
	v_pk_add_f32 v[76:77], v[76:77], v[80:81]
	v_pk_fma_f32 v[80:81], v[68:69], v[116:117], v[78:79] op_sel:[0,0,1] op_sel_hi:[1,1,0] neg_lo:[0,0,1] neg_hi:[0,0,1]
	v_pk_fma_f32 v[68:69], v[68:69], v[116:117], v[78:79] op_sel:[0,0,1] op_sel_hi:[1,0,0]
	v_mov_b32_e32 v81, v69
	v_pk_add_f32 v[68:69], v[76:77], v[80:81]
	v_mov_b32_e32 v76, v115
	v_pk_mul_f32 v[76:77], v[70:71], v[76:77] op_sel_hi:[1,0]
	v_pk_fma_f32 v[78:79], v[70:71], v[114:115], v[76:77] op_sel:[0,0,1] op_sel_hi:[1,1,0] neg_lo:[0,0,1] neg_hi:[0,0,1]
	v_pk_fma_f32 v[70:71], v[70:71], v[114:115], v[76:77] op_sel:[0,0,1] op_sel_hi:[1,0,0]
	v_mov_b32_e32 v70, v113
	v_mov_b32_e32 v79, v71
	s_waitcnt lgkmcnt(1)
	v_pk_mul_f32 v[70:71], v[72:73], v[70:71] op_sel_hi:[1,0]
	v_pk_fma_f32 v[76:77], v[72:73], v[112:113], v[70:71] op_sel:[0,0,1] op_sel_hi:[1,1,0] neg_lo:[0,0,1] neg_hi:[0,0,1]
	v_pk_fma_f32 v[70:71], v[72:73], v[112:113], v[70:71] op_sel:[0,0,1] op_sel_hi:[1,0,0]
	s_waitcnt vmcnt(1)
	v_mov_b32_e32 v70, v131
	v_mov_b32_e32 v77, v71
	v_pk_mul_f32 v[70:71], v[74:75], v[70:71] op_sel_hi:[1,0]
	s_waitcnt vmcnt(0)
	v_pk_fma_f32 v[72:73], v[74:75], v[130:131], v[70:71] op_sel:[0,0,1] op_sel_hi:[1,1,0] neg_lo:[0,0,1] neg_hi:[0,0,1]
	v_pk_fma_f32 v[70:71], v[74:75], v[130:131], v[70:71] op_sel:[0,0,1] op_sel_hi:[1,0,0]
	v_pk_add_f32 v[68:69], v[68:69], v[78:79]
	v_mov_b32_e32 v70, v129
	v_pk_add_f32 v[68:69], v[68:69], v[76:77]
	v_mov_b32_e32 v73, v71
	s_waitcnt lgkmcnt(0)
	v_pk_mul_f32 v[70:71], v[64:65], v[70:71] op_sel_hi:[1,0]
	v_pk_add_f32 v[68:69], v[68:69], v[72:73]
	v_pk_fma_f32 v[72:73], v[64:65], v[128:129], v[70:71] op_sel:[0,0,1] op_sel_hi:[1,1,0] neg_lo:[0,0,1] neg_hi:[0,0,1]
	v_pk_fma_f32 v[64:65], v[64:65], v[128:129], v[70:71] op_sel:[0,0,1] op_sel_hi:[1,0,0]
	v_mov_b32_e32 v73, v65
	v_pk_add_f32 v[64:65], v[68:69], v[72:73]
	v_mov_b32_e32 v68, v127
	v_pk_mul_f32 v[68:69], v[66:67], v[68:69] op_sel_hi:[1,0]
	v_pk_fma_f32 v[70:71], v[66:67], v[126:127], v[68:69] op_sel:[0,0,1] op_sel_hi:[1,1,0] neg_lo:[0,0,1] neg_hi:[0,0,1]
	v_pk_fma_f32 v[66:67], v[66:67], v[126:127], v[68:69] op_sel:[0,0,1] op_sel_hi:[1,0,0]
	v_mov_b32_e32 v71, v67
	v_pk_add_f32 v[64:65], v[64:65], v[70:71]
	v_pk_add_f32 v[64:65], v[108:109], v[64:65] neg_lo:[0,1] neg_hi:[0,1]
	buffer_store_dword v65, off, s[0:3], 0 offset:36
	buffer_store_dword v64, off, s[0:3], 0 offset:32
	s_and_saveexec_b64 s[4:5], vcc
	s_cbranch_execz .LBB30_193
; %bb.192:
	buffer_load_dword v64, off, s[0:3], 0 offset:24
	buffer_load_dword v65, off, s[0:3], 0 offset:28
	v_mov_b32_e32 v66, 0
	buffer_store_dword v66, off, s[0:3], 0 offset:24
	buffer_store_dword v66, off, s[0:3], 0 offset:28
	s_waitcnt vmcnt(2)
	ds_write_b64 v1, v[64:65]
.LBB30_193:
	s_or_b64 exec, exec, s[4:5]
	s_waitcnt lgkmcnt(0)
	; wave barrier
	s_waitcnt lgkmcnt(0)
	buffer_load_dword v67, off, s[0:3], 0 offset:36
	buffer_load_dword v116, off, s[0:3], 0 offset:44
	;; [unrolled: 1-line block ×40, first 2 shown]
	v_mov_b32_e32 v66, 0
	ds_read_b128 v[68:71], v66 offset:288
	ds_read_b128 v[72:75], v66 offset:304
	;; [unrolled: 1-line block ×8, first 2 shown]
	v_cmp_lt_u32_e32 vcc, 2, v0
	s_waitcnt vmcnt(39) lgkmcnt(7)
	v_mul_f32_e32 v100, v68, v67
	s_waitcnt vmcnt(38)
	v_mul_f32_e32 v101, v70, v116
	s_waitcnt vmcnt(37) lgkmcnt(6)
	v_mul_f32_e32 v102, v72, v118
	s_waitcnt vmcnt(36)
	v_mul_f32_e32 v103, v74, v120
	;; [unrolled: 4-line block ×8, first 2 shown]
	s_waitcnt vmcnt(23)
	v_fmac_f32_e32 v100, v69, v142
	s_waitcnt vmcnt(22)
	v_fmac_f32_e32 v101, v71, v143
	v_add_f32_e32 v100, 0, v100
	s_waitcnt vmcnt(21)
	v_fmac_f32_e32 v102, v73, v144
	v_add_f32_e32 v100, v100, v101
	;; [unrolled: 3-line block ×14, first 2 shown]
	v_add_f32_e32 v100, v100, v114
	s_waitcnt vmcnt(8)
	v_fmac_f32_e32 v115, v99, v157
	v_add_f32_e32 v117, v100, v115
	ds_read_b128 v[100:103], v66 offset:416
	buffer_load_dword v109, off, s[0:3], 0 offset:188
	buffer_load_dword v111, off, s[0:3], 0 offset:212
	;; [unrolled: 1-line block ×8, first 2 shown]
	ds_read_b128 v[104:107], v66 offset:432
	buffer_load_dword v123, off, s[0:3], 0 offset:244
	buffer_load_dword v122, off, s[0:3], 0 offset:240
	;; [unrolled: 1-line block ×8, first 2 shown]
	v_mul_f32_e32 v67, v69, v67
	v_fma_f32 v67, v68, v142, -v67
	v_mul_f32_e32 v68, v71, v116
	v_add_f32_e32 v67, 0, v67
	v_fma_f32 v68, v70, v143, -v68
	v_add_f32_e32 v67, v67, v68
	v_mul_f32_e32 v68, v73, v118
	v_fma_f32 v68, v72, v144, -v68
	v_add_f32_e32 v67, v67, v68
	v_mul_f32_e32 v68, v75, v120
	;; [unrolled: 3-line block ×14, first 2 shown]
	v_fma_f32 v68, v98, v157, -v68
	s_waitcnt vmcnt(23) lgkmcnt(1)
	v_mul_f32_e32 v119, v100, v158
	v_add_f32_e32 v67, v67, v68
	v_mul_f32_e32 v68, v101, v158
	s_waitcnt vmcnt(22)
	v_fmac_f32_e32 v119, v101, v159
	v_fma_f32 v68, v100, v159, -v68
	v_add_f32_e32 v117, v117, v119
	s_waitcnt vmcnt(21)
	v_mul_f32_e32 v119, v102, v160
	v_add_f32_e32 v116, v67, v68
	v_mul_f32_e32 v67, v103, v160
	s_waitcnt vmcnt(20)
	v_fmac_f32_e32 v119, v103, v161
	s_waitcnt vmcnt(19) lgkmcnt(0)
	v_mul_f32_e32 v121, v104, v162
	v_fma_f32 v118, v102, v161, -v67
	v_mul_f32_e32 v67, v105, v162
	ds_read_b128 v[68:71], v66 offset:448
	ds_read_b128 v[72:75], v66 offset:464
	;; [unrolled: 1-line block ×3, first 2 shown]
	ds_read_b64 v[80:81], v66 offset:496
	s_waitcnt vmcnt(18)
	v_fmac_f32_e32 v121, v105, v163
	v_fma_f32 v120, v104, v163, -v67
	v_pk_add_f32 v[82:83], v[116:117], v[118:119]
	v_pk_add_f32 v[82:83], v[82:83], v[120:121]
	s_waitcnt vmcnt(15)
	v_mov_b32_e32 v84, v109
	v_pk_mul_f32 v[84:85], v[106:107], v[84:85] op_sel_hi:[1,0]
	s_waitcnt vmcnt(8)
	v_pk_fma_f32 v[86:87], v[106:107], v[108:109], v[84:85] op_sel:[0,0,1] op_sel_hi:[1,1,0] neg_lo:[0,0,1] neg_hi:[0,0,1]
	v_pk_fma_f32 v[84:85], v[106:107], v[108:109], v[84:85] op_sel:[0,0,1] op_sel_hi:[1,0,0]
	v_mov_b32_e32 v84, v115
	v_mov_b32_e32 v87, v85
	s_waitcnt lgkmcnt(3)
	v_pk_mul_f32 v[84:85], v[68:69], v[84:85] op_sel_hi:[1,0]
	v_pk_add_f32 v[82:83], v[82:83], v[86:87]
	v_pk_fma_f32 v[86:87], v[68:69], v[114:115], v[84:85] op_sel:[0,0,1] op_sel_hi:[1,1,0] neg_lo:[0,0,1] neg_hi:[0,0,1]
	v_pk_fma_f32 v[68:69], v[68:69], v[114:115], v[84:85] op_sel:[0,0,1] op_sel_hi:[1,0,0]
	v_mov_b32_e32 v87, v69
	v_pk_add_f32 v[68:69], v[82:83], v[86:87]
	v_mov_b32_e32 v82, v113
	v_pk_mul_f32 v[82:83], v[70:71], v[82:83] op_sel_hi:[1,0]
	v_pk_fma_f32 v[84:85], v[70:71], v[112:113], v[82:83] op_sel:[0,0,1] op_sel_hi:[1,1,0] neg_lo:[0,0,1] neg_hi:[0,0,1]
	v_pk_fma_f32 v[70:71], v[70:71], v[112:113], v[82:83] op_sel:[0,0,1] op_sel_hi:[1,0,0]
	v_mov_b32_e32 v70, v111
	v_mov_b32_e32 v85, v71
	s_waitcnt lgkmcnt(2)
	v_pk_mul_f32 v[70:71], v[72:73], v[70:71] op_sel_hi:[1,0]
	v_pk_fma_f32 v[82:83], v[72:73], v[110:111], v[70:71] op_sel:[0,0,1] op_sel_hi:[1,1,0] neg_lo:[0,0,1] neg_hi:[0,0,1]
	v_pk_fma_f32 v[70:71], v[72:73], v[110:111], v[70:71] op_sel:[0,0,1] op_sel_hi:[1,0,0]
	s_waitcnt vmcnt(1)
	v_mov_b32_e32 v70, v129
	v_mov_b32_e32 v83, v71
	v_pk_mul_f32 v[70:71], v[74:75], v[70:71] op_sel_hi:[1,0]
	s_waitcnt vmcnt(0)
	v_pk_fma_f32 v[72:73], v[74:75], v[128:129], v[70:71] op_sel:[0,0,1] op_sel_hi:[1,1,0] neg_lo:[0,0,1] neg_hi:[0,0,1]
	v_pk_fma_f32 v[70:71], v[74:75], v[128:129], v[70:71] op_sel:[0,0,1] op_sel_hi:[1,0,0]
	v_pk_add_f32 v[68:69], v[68:69], v[84:85]
	v_mov_b32_e32 v70, v127
	v_pk_add_f32 v[68:69], v[68:69], v[82:83]
	v_mov_b32_e32 v73, v71
	s_waitcnt lgkmcnt(1)
	v_pk_mul_f32 v[70:71], v[76:77], v[70:71] op_sel_hi:[1,0]
	v_pk_add_f32 v[68:69], v[68:69], v[72:73]
	v_pk_fma_f32 v[72:73], v[76:77], v[126:127], v[70:71] op_sel:[0,0,1] op_sel_hi:[1,1,0] neg_lo:[0,0,1] neg_hi:[0,0,1]
	v_pk_fma_f32 v[70:71], v[76:77], v[126:127], v[70:71] op_sel:[0,0,1] op_sel_hi:[1,0,0]
	v_mov_b32_e32 v70, v125
	v_mov_b32_e32 v73, v71
	v_pk_mul_f32 v[70:71], v[78:79], v[70:71] op_sel_hi:[1,0]
	v_pk_add_f32 v[68:69], v[68:69], v[72:73]
	v_pk_fma_f32 v[72:73], v[78:79], v[124:125], v[70:71] op_sel:[0,0,1] op_sel_hi:[1,1,0] neg_lo:[0,0,1] neg_hi:[0,0,1]
	v_pk_fma_f32 v[70:71], v[78:79], v[124:125], v[70:71] op_sel:[0,0,1] op_sel_hi:[1,0,0]
	v_mov_b32_e32 v70, v123
	v_mov_b32_e32 v73, v71
	s_waitcnt lgkmcnt(0)
	v_pk_mul_f32 v[70:71], v[80:81], v[70:71] op_sel_hi:[1,0]
	v_pk_add_f32 v[68:69], v[68:69], v[72:73]
	v_pk_fma_f32 v[72:73], v[80:81], v[122:123], v[70:71] op_sel:[0,0,1] op_sel_hi:[1,1,0] neg_lo:[0,0,1] neg_hi:[0,0,1]
	v_pk_fma_f32 v[70:71], v[80:81], v[122:123], v[70:71] op_sel:[0,0,1] op_sel_hi:[1,0,0]
	v_mov_b32_e32 v73, v71
	v_pk_add_f32 v[68:69], v[68:69], v[72:73]
	v_pk_add_f32 v[64:65], v[64:65], v[68:69] neg_lo:[0,1] neg_hi:[0,1]
	buffer_store_dword v65, off, s[0:3], 0 offset:28
	buffer_store_dword v64, off, s[0:3], 0 offset:24
	s_and_saveexec_b64 s[4:5], vcc
	s_cbranch_execz .LBB30_195
; %bb.194:
	buffer_load_dword v64, off, s[0:3], 0 offset:16
	buffer_load_dword v65, off, s[0:3], 0 offset:20
	s_waitcnt vmcnt(0)
	ds_write_b64 v1, v[64:65]
	buffer_store_dword v66, off, s[0:3], 0 offset:16
	buffer_store_dword v66, off, s[0:3], 0 offset:20
.LBB30_195:
	s_or_b64 exec, exec, s[4:5]
	s_waitcnt lgkmcnt(0)
	; wave barrier
	s_waitcnt lgkmcnt(0)
	buffer_load_dword v67, off, s[0:3], 0 offset:28
	buffer_load_dword v108, off, s[0:3], 0 offset:36
	;; [unrolled: 1-line block ×42, first 2 shown]
	ds_read2_b64 v[68:71], v66 offset0:35 offset1:36
	ds_read2_b64 v[72:75], v66 offset0:37 offset1:38
	;; [unrolled: 1-line block ×8, first 2 shown]
	v_cmp_lt_u32_e32 vcc, 1, v0
	s_waitcnt vmcnt(41) lgkmcnt(7)
	v_mul_f32_e32 v100, v68, v67
	s_waitcnt vmcnt(40)
	v_mul_f32_e32 v101, v70, v108
	s_waitcnt vmcnt(39) lgkmcnt(6)
	v_mul_f32_e32 v102, v72, v110
	s_waitcnt vmcnt(38)
	v_mul_f32_e32 v103, v74, v118
	;; [unrolled: 4-line block ×7, first 2 shown]
	s_waitcnt vmcnt(27) lgkmcnt(0)
	v_mul_f32_e32 v116, v96, v140
	s_waitcnt vmcnt(26)
	v_fmac_f32_e32 v100, v69, v141
	s_waitcnt vmcnt(25)
	v_fmac_f32_e32 v101, v71, v142
	v_add_f32_e32 v100, 0, v100
	s_waitcnt vmcnt(24)
	v_fmac_f32_e32 v102, v73, v143
	v_add_f32_e32 v100, v100, v101
	s_waitcnt vmcnt(23)
	v_fmac_f32_e32 v103, v75, v144
	v_add_f32_e32 v100, v100, v102
	s_waitcnt vmcnt(22)
	v_fmac_f32_e32 v104, v77, v145
	v_add_f32_e32 v100, v100, v103
	s_waitcnt vmcnt(21)
	v_fmac_f32_e32 v105, v79, v146
	v_add_f32_e32 v100, v100, v104
	s_waitcnt vmcnt(20)
	v_fmac_f32_e32 v106, v81, v147
	v_add_f32_e32 v100, v100, v105
	s_waitcnt vmcnt(19)
	v_fmac_f32_e32 v107, v83, v148
	v_add_f32_e32 v100, v100, v106
	s_waitcnt vmcnt(18)
	v_fmac_f32_e32 v109, v85, v149
	v_add_f32_e32 v100, v100, v107
	s_waitcnt vmcnt(17)
	v_fmac_f32_e32 v111, v87, v150
	v_add_f32_e32 v100, v100, v109
	s_waitcnt vmcnt(16)
	v_fmac_f32_e32 v112, v89, v151
	v_add_f32_e32 v100, v100, v111
	s_waitcnt vmcnt(15)
	v_fmac_f32_e32 v113, v91, v152
	v_add_f32_e32 v100, v100, v112
	s_waitcnt vmcnt(14)
	v_fmac_f32_e32 v114, v93, v153
	v_add_f32_e32 v100, v100, v113
	s_waitcnt vmcnt(13)
	v_fmac_f32_e32 v115, v95, v154
	v_add_f32_e32 v100, v100, v114
	s_waitcnt vmcnt(12)
	v_fmac_f32_e32 v116, v97, v155
	v_add_f32_e32 v100, v100, v115
	s_waitcnt vmcnt(11)
	v_mul_f32_e32 v105, v98, v156
	v_add_f32_e32 v104, v100, v116
	s_waitcnt vmcnt(10)
	v_fmac_f32_e32 v105, v99, v157
	ds_read2_b64 v[100:103], v66 offset0:51 offset1:52
	v_add_f32_e32 v109, v104, v105
	ds_read2_b64 v[104:107], v66 offset0:53 offset1:54
	buffer_load_dword v113, off, s[0:3], 0 offset:188
	buffer_load_dword v115, off, s[0:3], 0 offset:204
	buffer_load_dword v114, off, s[0:3], 0 offset:200
	buffer_load_dword v117, off, s[0:3], 0 offset:196
	buffer_load_dword v116, off, s[0:3], 0 offset:192
	buffer_load_dword v112, off, s[0:3], 0 offset:184
	buffer_load_dword v121, off, s[0:3], 0 offset:236
	buffer_load_dword v120, off, s[0:3], 0 offset:232
	buffer_load_dword v123, off, s[0:3], 0 offset:228
	buffer_load_dword v122, off, s[0:3], 0 offset:224
	buffer_load_dword v125, off, s[0:3], 0 offset:220
	buffer_load_dword v124, off, s[0:3], 0 offset:216
	buffer_load_dword v127, off, s[0:3], 0 offset:212
	buffer_load_dword v126, off, s[0:3], 0 offset:208
	buffer_load_dword v129, off, s[0:3], 0 offset:244
	buffer_load_dword v128, off, s[0:3], 0 offset:240
	v_mul_f32_e32 v67, v69, v67
	v_fma_f32 v67, v68, v141, -v67
	v_mul_f32_e32 v68, v71, v108
	v_add_f32_e32 v67, 0, v67
	v_fma_f32 v68, v70, v142, -v68
	v_add_f32_e32 v67, v67, v68
	v_mul_f32_e32 v68, v73, v110
	v_fma_f32 v68, v72, v143, -v68
	v_add_f32_e32 v67, v67, v68
	v_mul_f32_e32 v68, v75, v118
	;; [unrolled: 3-line block ×14, first 2 shown]
	v_fma_f32 v68, v98, v157, -v68
	v_add_f32_e32 v67, v67, v68
	s_waitcnt vmcnt(25) lgkmcnt(1)
	v_mul_f32_e32 v68, v101, v158
	s_waitcnt vmcnt(24)
	v_fma_f32 v68, v100, v159, -v68
	v_add_f32_e32 v67, v67, v68
	s_waitcnt vmcnt(23)
	v_mul_f32_e32 v68, v103, v160
	s_waitcnt vmcnt(22)
	v_fma_f32 v68, v102, v161, -v68
	v_add_f32_e32 v108, v67, v68
	ds_read2_b64 v[68:71], v66 offset0:55 offset1:56
	ds_read2_b64 v[72:75], v66 offset0:57 offset1:58
	;; [unrolled: 1-line block ×4, first 2 shown]
	v_mul_f32_e32 v111, v100, v158
	v_fmac_f32_e32 v111, v101, v159
	v_add_f32_e32 v109, v109, v111
	v_mul_f32_e32 v111, v102, v160
	v_fmac_f32_e32 v111, v103, v161
	v_add_f32_e32 v109, v109, v111
	s_waitcnt vmcnt(21) lgkmcnt(4)
	v_mul_f32_e32 v111, v104, v162
	v_mul_f32_e32 v67, v105, v162
	s_waitcnt vmcnt(20)
	v_fmac_f32_e32 v111, v105, v163
	s_waitcnt vmcnt(19)
	v_mul_f32_e32 v119, v106, v164
	v_fma_f32 v110, v104, v163, -v67
	v_mul_f32_e32 v67, v107, v164
	s_waitcnt vmcnt(18)
	v_fmac_f32_e32 v119, v107, v165
	v_fma_f32 v118, v106, v165, -v67
	v_pk_add_f32 v[66:67], v[108:109], v[110:111]
	v_pk_add_f32 v[66:67], v[66:67], v[118:119]
	s_waitcnt vmcnt(15)
	v_mov_b32_e32 v84, v113
	s_waitcnt lgkmcnt(3)
	v_pk_mul_f32 v[84:85], v[68:69], v[84:85] op_sel_hi:[1,0]
	s_waitcnt vmcnt(10)
	v_pk_fma_f32 v[86:87], v[68:69], v[112:113], v[84:85] op_sel:[0,0,1] op_sel_hi:[1,1,0] neg_lo:[0,0,1] neg_hi:[0,0,1]
	v_pk_fma_f32 v[68:69], v[68:69], v[112:113], v[84:85] op_sel:[0,0,1] op_sel_hi:[1,0,0]
	v_mov_b32_e32 v68, v117
	v_mov_b32_e32 v87, v69
	v_pk_mul_f32 v[68:69], v[70:71], v[68:69] op_sel_hi:[1,0]
	v_pk_fma_f32 v[84:85], v[70:71], v[116:117], v[68:69] op_sel:[0,0,1] op_sel_hi:[1,1,0] neg_lo:[0,0,1] neg_hi:[0,0,1]
	v_pk_fma_f32 v[68:69], v[70:71], v[116:117], v[68:69] op_sel:[0,0,1] op_sel_hi:[1,0,0]
	v_mov_b32_e32 v68, v115
	v_mov_b32_e32 v85, v69
	s_waitcnt lgkmcnt(2)
	v_pk_mul_f32 v[68:69], v[72:73], v[68:69] op_sel_hi:[1,0]
	v_pk_fma_f32 v[70:71], v[72:73], v[114:115], v[68:69] op_sel:[0,0,1] op_sel_hi:[1,1,0] neg_lo:[0,0,1] neg_hi:[0,0,1]
	v_pk_fma_f32 v[68:69], v[72:73], v[114:115], v[68:69] op_sel:[0,0,1] op_sel_hi:[1,0,0]
	v_pk_add_f32 v[66:67], v[66:67], v[86:87]
	s_waitcnt vmcnt(3)
	v_mov_b32_e32 v68, v127
	v_pk_add_f32 v[66:67], v[66:67], v[84:85]
	v_mov_b32_e32 v71, v69
	v_pk_mul_f32 v[68:69], v[74:75], v[68:69] op_sel_hi:[1,0]
	v_pk_add_f32 v[66:67], v[66:67], v[70:71]
	s_waitcnt vmcnt(2)
	v_pk_fma_f32 v[70:71], v[74:75], v[126:127], v[68:69] op_sel:[0,0,1] op_sel_hi:[1,1,0] neg_lo:[0,0,1] neg_hi:[0,0,1]
	v_pk_fma_f32 v[68:69], v[74:75], v[126:127], v[68:69] op_sel:[0,0,1] op_sel_hi:[1,0,0]
	v_mov_b32_e32 v68, v125
	v_mov_b32_e32 v71, v69
	s_waitcnt lgkmcnt(1)
	v_pk_mul_f32 v[68:69], v[76:77], v[68:69] op_sel_hi:[1,0]
	v_pk_add_f32 v[66:67], v[66:67], v[70:71]
	v_pk_fma_f32 v[70:71], v[76:77], v[124:125], v[68:69] op_sel:[0,0,1] op_sel_hi:[1,1,0] neg_lo:[0,0,1] neg_hi:[0,0,1]
	v_pk_fma_f32 v[68:69], v[76:77], v[124:125], v[68:69] op_sel:[0,0,1] op_sel_hi:[1,0,0]
	v_mov_b32_e32 v68, v123
	v_mov_b32_e32 v71, v69
	v_pk_mul_f32 v[68:69], v[78:79], v[68:69] op_sel_hi:[1,0]
	v_pk_add_f32 v[66:67], v[66:67], v[70:71]
	v_pk_fma_f32 v[70:71], v[78:79], v[122:123], v[68:69] op_sel:[0,0,1] op_sel_hi:[1,1,0] neg_lo:[0,0,1] neg_hi:[0,0,1]
	v_pk_fma_f32 v[68:69], v[78:79], v[122:123], v[68:69] op_sel:[0,0,1] op_sel_hi:[1,0,0]
	v_mov_b32_e32 v68, v121
	v_mov_b32_e32 v71, v69
	s_waitcnt lgkmcnt(0)
	v_pk_mul_f32 v[68:69], v[80:81], v[68:69] op_sel_hi:[1,0]
	v_pk_add_f32 v[66:67], v[66:67], v[70:71]
	v_pk_fma_f32 v[70:71], v[80:81], v[120:121], v[68:69] op_sel:[0,0,1] op_sel_hi:[1,1,0] neg_lo:[0,0,1] neg_hi:[0,0,1]
	v_pk_fma_f32 v[68:69], v[80:81], v[120:121], v[68:69] op_sel:[0,0,1] op_sel_hi:[1,0,0]
	s_waitcnt vmcnt(1)
	v_mov_b32_e32 v68, v129
	v_mov_b32_e32 v71, v69
	v_pk_mul_f32 v[68:69], v[82:83], v[68:69] op_sel_hi:[1,0]
	v_pk_add_f32 v[66:67], v[66:67], v[70:71]
	s_waitcnt vmcnt(0)
	v_pk_fma_f32 v[70:71], v[82:83], v[128:129], v[68:69] op_sel:[0,0,1] op_sel_hi:[1,1,0] neg_lo:[0,0,1] neg_hi:[0,0,1]
	v_pk_fma_f32 v[68:69], v[82:83], v[128:129], v[68:69] op_sel:[0,0,1] op_sel_hi:[1,0,0]
	v_mov_b32_e32 v71, v69
	v_pk_add_f32 v[66:67], v[66:67], v[70:71]
	v_pk_add_f32 v[64:65], v[64:65], v[66:67] neg_lo:[0,1] neg_hi:[0,1]
	buffer_store_dword v65, off, s[0:3], 0 offset:20
	buffer_store_dword v64, off, s[0:3], 0 offset:16
	s_and_saveexec_b64 s[4:5], vcc
	s_cbranch_execz .LBB30_197
; %bb.196:
	buffer_load_dword v64, off, s[0:3], 0 offset:8
	buffer_load_dword v65, off, s[0:3], 0 offset:12
	v_mov_b32_e32 v66, 0
	buffer_store_dword v66, off, s[0:3], 0 offset:8
	buffer_store_dword v66, off, s[0:3], 0 offset:12
	s_waitcnt vmcnt(2)
	ds_write_b64 v1, v[64:65]
.LBB30_197:
	s_or_b64 exec, exec, s[4:5]
	s_waitcnt lgkmcnt(0)
	; wave barrier
	s_waitcnt lgkmcnt(0)
	buffer_load_dword v67, off, s[0:3], 0 offset:20
	buffer_load_dword v116, off, s[0:3], 0 offset:28
	;; [unrolled: 1-line block ×44, first 2 shown]
	v_mov_b32_e32 v66, 0
	ds_read_b128 v[68:71], v66 offset:272
	ds_read_b128 v[72:75], v66 offset:288
	ds_read_b128 v[76:79], v66 offset:304
	ds_read_b128 v[80:83], v66 offset:320
	ds_read_b128 v[84:87], v66 offset:336
	ds_read_b128 v[88:91], v66 offset:352
	ds_read_b128 v[92:95], v66 offset:368
	ds_read_b128 v[96:99], v66 offset:384
	v_cmp_ne_u32_e32 vcc, 0, v0
	s_waitcnt vmcnt(43) lgkmcnt(7)
	v_mul_f32_e32 v100, v68, v67
	s_waitcnt vmcnt(42)
	v_mul_f32_e32 v101, v70, v116
	s_waitcnt vmcnt(41) lgkmcnt(6)
	v_mul_f32_e32 v102, v72, v122
	s_waitcnt vmcnt(40)
	v_mul_f32_e32 v103, v74, v124
	;; [unrolled: 4-line block ×7, first 2 shown]
	s_waitcnt vmcnt(29)
	v_fmac_f32_e32 v100, v69, v148
	s_waitcnt vmcnt(28)
	v_fmac_f32_e32 v101, v71, v149
	v_add_f32_e32 v100, 0, v100
	s_waitcnt vmcnt(27)
	v_fmac_f32_e32 v102, v73, v150
	v_add_f32_e32 v100, v100, v101
	s_waitcnt vmcnt(26)
	v_fmac_f32_e32 v103, v75, v151
	v_add_f32_e32 v100, v100, v102
	s_waitcnt vmcnt(25)
	v_fmac_f32_e32 v104, v77, v152
	v_add_f32_e32 v100, v100, v103
	s_waitcnt vmcnt(24)
	v_fmac_f32_e32 v105, v79, v153
	v_add_f32_e32 v100, v100, v104
	s_waitcnt vmcnt(23)
	v_fmac_f32_e32 v106, v81, v154
	v_add_f32_e32 v100, v100, v105
	s_waitcnt vmcnt(22)
	v_fmac_f32_e32 v107, v83, v155
	v_add_f32_e32 v100, v100, v106
	s_waitcnt vmcnt(21)
	v_fmac_f32_e32 v108, v85, v156
	v_add_f32_e32 v100, v100, v107
	s_waitcnt vmcnt(20)
	v_fmac_f32_e32 v109, v87, v157
	v_add_f32_e32 v100, v100, v108
	s_waitcnt vmcnt(19)
	v_fmac_f32_e32 v110, v89, v158
	v_add_f32_e32 v100, v100, v109
	s_waitcnt vmcnt(18)
	v_fmac_f32_e32 v111, v91, v159
	v_add_f32_e32 v100, v100, v110
	s_waitcnt vmcnt(17)
	v_fmac_f32_e32 v112, v93, v160
	v_add_f32_e32 v100, v100, v111
	v_add_f32_e32 v100, v100, v112
	s_waitcnt vmcnt(16)
	v_fmac_f32_e32 v113, v95, v161
	s_waitcnt vmcnt(15) lgkmcnt(0)
	v_mul_f32_e32 v101, v96, v162
	v_add_f32_e32 v100, v100, v113
	s_waitcnt vmcnt(14)
	v_fmac_f32_e32 v101, v97, v163
	v_add_f32_e32 v104, v100, v101
	ds_read_b128 v[100:103], v66 offset:400
	s_waitcnt vmcnt(13)
	v_mul_f32_e32 v105, v98, v164
	s_waitcnt vmcnt(12)
	v_fmac_f32_e32 v105, v99, v165
	v_add_f32_e32 v108, v104, v105
	ds_read_b128 v[104:107], v66 offset:416
	s_waitcnt vmcnt(11) lgkmcnt(1)
	v_mul_f32_e32 v109, v100, v166
	s_waitcnt vmcnt(10)
	v_fmac_f32_e32 v109, v101, v167
	v_add_f32_e32 v108, v108, v109
	s_waitcnt vmcnt(9)
	v_mul_f32_e32 v109, v102, v168
	s_waitcnt vmcnt(8)
	v_fmac_f32_e32 v109, v103, v169
	v_add_f32_e32 v108, v108, v109
	s_waitcnt vmcnt(7) lgkmcnt(0)
	v_mul_f32_e32 v109, v104, v170
	s_waitcnt vmcnt(6)
	v_fmac_f32_e32 v109, v105, v171
	v_add_f32_e32 v117, v108, v109
	ds_read_b128 v[108:111], v66 offset:432
	buffer_load_dword v119, off, s[0:3], 0 offset:196
	buffer_load_dword v118, off, s[0:3], 0 offset:192
	;; [unrolled: 1-line block ×4, first 2 shown]
	ds_read_b128 v[112:115], v66 offset:448
	buffer_load_dword v127, off, s[0:3], 0 offset:228
	buffer_load_dword v126, off, s[0:3], 0 offset:224
	;; [unrolled: 1-line block ×12, first 2 shown]
	v_mul_f32_e32 v67, v69, v67
	v_fma_f32 v67, v68, v148, -v67
	v_mul_f32_e32 v68, v71, v116
	v_add_f32_e32 v67, 0, v67
	v_fma_f32 v68, v70, v149, -v68
	v_add_f32_e32 v67, v67, v68
	v_mul_f32_e32 v68, v73, v122
	v_fma_f32 v68, v72, v150, -v68
	v_add_f32_e32 v67, v67, v68
	v_mul_f32_e32 v68, v75, v124
	;; [unrolled: 3-line block ×17, first 2 shown]
	v_fma_f32 v68, v104, v171, -v68
	s_waitcnt vmcnt(21)
	v_mul_f32_e32 v123, v106, v172
	v_add_f32_e32 v116, v67, v68
	v_mul_f32_e32 v67, v107, v172
	s_waitcnt vmcnt(20)
	v_fmac_f32_e32 v123, v107, v173
	s_waitcnt vmcnt(19) lgkmcnt(1)
	v_mul_f32_e32 v125, v108, v174
	v_fma_f32 v122, v106, v173, -v67
	v_mul_f32_e32 v67, v109, v174
	s_waitcnt vmcnt(18)
	v_fmac_f32_e32 v125, v109, v175
	v_fma_f32 v124, v108, v175, -v67
	v_pk_add_f32 v[78:79], v[116:117], v[122:123]
	v_pk_add_f32 v[78:79], v[78:79], v[124:125]
	ds_read_b128 v[68:71], v66 offset:464
	ds_read_b128 v[72:75], v66 offset:480
	ds_read_b64 v[76:77], v66 offset:496
	s_waitcnt vmcnt(13)
	v_mov_b32_e32 v80, v121
	v_pk_mul_f32 v[80:81], v[110:111], v[80:81] op_sel_hi:[1,0]
	s_waitcnt vmcnt(12)
	v_pk_fma_f32 v[82:83], v[110:111], v[120:121], v[80:81] op_sel:[0,0,1] op_sel_hi:[1,1,0] neg_lo:[0,0,1] neg_hi:[0,0,1]
	v_pk_fma_f32 v[80:81], v[110:111], v[120:121], v[80:81] op_sel:[0,0,1] op_sel_hi:[1,0,0]
	v_mov_b32_e32 v80, v119
	v_mov_b32_e32 v83, v81
	s_waitcnt lgkmcnt(3)
	v_pk_mul_f32 v[80:81], v[112:113], v[80:81] op_sel_hi:[1,0]
	v_pk_add_f32 v[78:79], v[78:79], v[82:83]
	v_pk_fma_f32 v[82:83], v[112:113], v[118:119], v[80:81] op_sel:[0,0,1] op_sel_hi:[1,1,0] neg_lo:[0,0,1] neg_hi:[0,0,1]
	v_pk_fma_f32 v[80:81], v[112:113], v[118:119], v[80:81] op_sel:[0,0,1] op_sel_hi:[1,0,0]
	s_waitcnt vmcnt(5)
	v_mov_b32_e32 v80, v133
	v_mov_b32_e32 v83, v81
	v_pk_mul_f32 v[80:81], v[114:115], v[80:81] op_sel_hi:[1,0]
	v_pk_add_f32 v[78:79], v[78:79], v[82:83]
	s_waitcnt vmcnt(4)
	v_pk_fma_f32 v[82:83], v[114:115], v[132:133], v[80:81] op_sel:[0,0,1] op_sel_hi:[1,1,0] neg_lo:[0,0,1] neg_hi:[0,0,1]
	v_pk_fma_f32 v[80:81], v[114:115], v[132:133], v[80:81] op_sel:[0,0,1] op_sel_hi:[1,0,0]
	v_mov_b32_e32 v80, v131
	v_mov_b32_e32 v83, v81
	s_waitcnt lgkmcnt(2)
	v_pk_mul_f32 v[80:81], v[68:69], v[80:81] op_sel_hi:[1,0]
	v_pk_add_f32 v[78:79], v[78:79], v[82:83]
	v_pk_fma_f32 v[82:83], v[68:69], v[130:131], v[80:81] op_sel:[0,0,1] op_sel_hi:[1,1,0] neg_lo:[0,0,1] neg_hi:[0,0,1]
	v_pk_fma_f32 v[68:69], v[68:69], v[130:131], v[80:81] op_sel:[0,0,1] op_sel_hi:[1,0,0]
	v_mov_b32_e32 v83, v69
	v_pk_add_f32 v[68:69], v[78:79], v[82:83]
	v_mov_b32_e32 v78, v129
	v_pk_mul_f32 v[78:79], v[70:71], v[78:79] op_sel_hi:[1,0]
	v_pk_fma_f32 v[80:81], v[70:71], v[128:129], v[78:79] op_sel:[0,0,1] op_sel_hi:[1,1,0] neg_lo:[0,0,1] neg_hi:[0,0,1]
	v_pk_fma_f32 v[70:71], v[70:71], v[128:129], v[78:79] op_sel:[0,0,1] op_sel_hi:[1,0,0]
	v_mov_b32_e32 v70, v127
	v_mov_b32_e32 v81, v71
	s_waitcnt lgkmcnt(1)
	v_pk_mul_f32 v[70:71], v[72:73], v[70:71] op_sel_hi:[1,0]
	v_pk_fma_f32 v[78:79], v[72:73], v[126:127], v[70:71] op_sel:[0,0,1] op_sel_hi:[1,1,0] neg_lo:[0,0,1] neg_hi:[0,0,1]
	v_pk_fma_f32 v[70:71], v[72:73], v[126:127], v[70:71] op_sel:[0,0,1] op_sel_hi:[1,0,0]
	s_waitcnt vmcnt(1)
	v_mov_b32_e32 v70, v137
	v_mov_b32_e32 v79, v71
	v_pk_mul_f32 v[70:71], v[74:75], v[70:71] op_sel_hi:[1,0]
	s_waitcnt vmcnt(0)
	v_pk_fma_f32 v[72:73], v[74:75], v[136:137], v[70:71] op_sel:[0,0,1] op_sel_hi:[1,1,0] neg_lo:[0,0,1] neg_hi:[0,0,1]
	v_pk_fma_f32 v[70:71], v[74:75], v[136:137], v[70:71] op_sel:[0,0,1] op_sel_hi:[1,0,0]
	v_pk_add_f32 v[68:69], v[68:69], v[80:81]
	v_mov_b32_e32 v70, v135
	v_pk_add_f32 v[68:69], v[68:69], v[78:79]
	v_mov_b32_e32 v73, v71
	s_waitcnt lgkmcnt(0)
	v_pk_mul_f32 v[70:71], v[76:77], v[70:71] op_sel_hi:[1,0]
	v_pk_add_f32 v[68:69], v[68:69], v[72:73]
	v_pk_fma_f32 v[72:73], v[76:77], v[134:135], v[70:71] op_sel:[0,0,1] op_sel_hi:[1,1,0] neg_lo:[0,0,1] neg_hi:[0,0,1]
	v_pk_fma_f32 v[70:71], v[76:77], v[134:135], v[70:71] op_sel:[0,0,1] op_sel_hi:[1,0,0]
	v_mov_b32_e32 v73, v71
	v_pk_add_f32 v[68:69], v[68:69], v[72:73]
	v_pk_add_f32 v[64:65], v[64:65], v[68:69] neg_lo:[0,1] neg_hi:[0,1]
	buffer_store_dword v65, off, s[0:3], 0 offset:12
	buffer_store_dword v64, off, s[0:3], 0 offset:8
	s_and_saveexec_b64 s[4:5], vcc
	s_cbranch_execz .LBB30_199
; %bb.198:
	buffer_load_dword v64, off, s[0:3], 0
	buffer_load_dword v65, off, s[0:3], 0 offset:4
	s_waitcnt vmcnt(0)
	ds_write_b64 v1, v[64:65]
	buffer_store_dword v66, off, s[0:3], 0
	buffer_store_dword v66, off, s[0:3], 0 offset:4
.LBB30_199:
	s_or_b64 exec, exec, s[4:5]
	s_waitcnt lgkmcnt(0)
	; wave barrier
	s_waitcnt lgkmcnt(0)
	buffer_load_dword v64, off, s[0:3], 0 offset:12
	buffer_load_dword v65, off, s[0:3], 0 offset:20
	;; [unrolled: 1-line block ×44, first 2 shown]
	buffer_load_dword v0, off, s[0:3], 0
	buffer_load_dword v1, off, s[0:3], 0 offset:4
	ds_read2_b64 v[68:71], v66 offset0:33 offset1:34
	ds_read2_b64 v[72:75], v66 offset0:35 offset1:36
	;; [unrolled: 1-line block ×8, first 2 shown]
	s_and_b64 vcc, exec, s[20:21]
	s_waitcnt vmcnt(45) lgkmcnt(7)
	v_mul_f32_e32 v100, v68, v64
	s_waitcnt vmcnt(44)
	v_mul_f32_e32 v101, v70, v65
	s_waitcnt vmcnt(43) lgkmcnt(6)
	v_mul_f32_e32 v102, v72, v67
	s_waitcnt vmcnt(42)
	v_mul_f32_e32 v103, v74, v118
	;; [unrolled: 4-line block ×6, first 2 shown]
	s_waitcnt vmcnt(33) lgkmcnt(1)
	v_mul_f32_e32 v112, v92, v144
	s_waitcnt vmcnt(32)
	v_fmac_f32_e32 v100, v69, v145
	s_waitcnt vmcnt(31)
	v_fmac_f32_e32 v101, v71, v146
	v_add_f32_e32 v100, 0, v100
	s_waitcnt vmcnt(30)
	v_fmac_f32_e32 v102, v73, v147
	v_add_f32_e32 v100, v100, v101
	;; [unrolled: 3-line block ×12, first 2 shown]
	s_waitcnt vmcnt(19)
	v_mul_f32_e32 v101, v94, v158
	v_add_f32_e32 v100, v100, v112
	s_waitcnt vmcnt(18)
	v_fmac_f32_e32 v101, v95, v159
	v_add_f32_e32 v100, v100, v101
	s_waitcnt vmcnt(17) lgkmcnt(0)
	v_mul_f32_e32 v101, v96, v160
	s_waitcnt vmcnt(16)
	v_fmac_f32_e32 v101, v97, v161
	v_add_f32_e32 v104, v100, v101
	ds_read2_b64 v[100:103], v66 offset0:49 offset1:50
	s_waitcnt vmcnt(15)
	v_mul_f32_e32 v105, v98, v162
	s_waitcnt vmcnt(14)
	v_fmac_f32_e32 v105, v99, v163
	v_add_f32_e32 v108, v104, v105
	ds_read2_b64 v[104:107], v66 offset0:51 offset1:52
	buffer_load_dword v117, off, s[0:3], 0 offset:188
	buffer_load_dword v116, off, s[0:3], 0 offset:184
	s_waitcnt vmcnt(15) lgkmcnt(1)
	v_mul_f32_e32 v109, v100, v164
	s_waitcnt vmcnt(14)
	v_fmac_f32_e32 v109, v101, v165
	v_add_f32_e32 v108, v108, v109
	s_waitcnt vmcnt(13)
	v_mul_f32_e32 v109, v102, v166
	s_waitcnt vmcnt(12)
	v_fmac_f32_e32 v109, v103, v167
	v_add_f32_e32 v108, v108, v109
	s_waitcnt vmcnt(11) lgkmcnt(0)
	v_mul_f32_e32 v109, v104, v168
	s_waitcnt vmcnt(10)
	v_fmac_f32_e32 v109, v105, v169
	s_waitcnt vmcnt(9)
	v_mul_f32_e32 v113, v106, v170
	v_add_f32_e32 v112, v108, v109
	s_waitcnt vmcnt(8)
	v_fmac_f32_e32 v113, v107, v171
	ds_read2_b64 v[108:111], v66 offset0:53 offset1:54
	v_add_f32_e32 v119, v112, v113
	ds_read2_b64 v[112:115], v66 offset0:55 offset1:56
	buffer_load_dword v125, off, s[0:3], 0 offset:220
	buffer_load_dword v124, off, s[0:3], 0 offset:216
	;; [unrolled: 1-line block ×14, first 2 shown]
	v_mul_f32_e32 v64, v69, v64
	v_fma_f32 v64, v68, v145, -v64
	v_mul_f32_e32 v65, v71, v65
	v_add_f32_e32 v64, 0, v64
	v_fma_f32 v65, v70, v146, -v65
	v_add_f32_e32 v64, v64, v65
	v_mul_f32_e32 v65, v73, v67
	v_fma_f32 v65, v72, v147, -v65
	v_add_f32_e32 v64, v64, v65
	v_mul_f32_e32 v65, v75, v118
	;; [unrolled: 3-line block ×18, first 2 shown]
	v_fma_f32 v65, v106, v171, -v65
	s_waitcnt vmcnt(21) lgkmcnt(1)
	v_mul_f32_e32 v121, v108, v172
	v_add_f32_e32 v118, v64, v65
	v_mul_f32_e32 v64, v109, v172
	s_waitcnt vmcnt(20)
	v_fmac_f32_e32 v121, v109, v173
	s_waitcnt vmcnt(15)
	v_mov_b32_e32 v78, v117
	s_waitcnt lgkmcnt(0)
	v_pk_mul_f32 v[78:79], v[112:113], v[78:79] op_sel_hi:[1,0]
	v_mul_f32_e32 v123, v110, v174
	v_fma_f32 v120, v108, v173, -v64
	v_mul_f32_e32 v64, v111, v174
	s_waitcnt vmcnt(14)
	v_pk_fma_f32 v[80:81], v[112:113], v[116:117], v[78:79] op_sel:[0,0,1] op_sel_hi:[1,1,0] neg_lo:[0,0,1] neg_hi:[0,0,1]
	v_pk_fma_f32 v[78:79], v[112:113], v[116:117], v[78:79] op_sel:[0,0,1] op_sel_hi:[1,0,0]
	v_fmac_f32_e32 v123, v111, v175
	v_fma_f32 v122, v110, v175, -v64
	v_pk_add_f32 v[76:77], v[118:119], v[120:121]
	s_waitcnt vmcnt(7)
	v_mov_b32_e32 v78, v131
	ds_read2_b64 v[68:71], v66 offset0:57 offset1:58
	ds_read2_b64 v[72:75], v66 offset0:59 offset1:60
	;; [unrolled: 1-line block ×3, first 2 shown]
	v_pk_add_f32 v[76:77], v[76:77], v[122:123]
	v_mov_b32_e32 v81, v79
	v_pk_mul_f32 v[78:79], v[114:115], v[78:79] op_sel_hi:[1,0]
	v_pk_add_f32 v[76:77], v[76:77], v[80:81]
	s_waitcnt vmcnt(6)
	v_pk_fma_f32 v[80:81], v[114:115], v[130:131], v[78:79] op_sel:[0,0,1] op_sel_hi:[1,1,0] neg_lo:[0,0,1] neg_hi:[0,0,1]
	v_pk_fma_f32 v[78:79], v[114:115], v[130:131], v[78:79] op_sel:[0,0,1] op_sel_hi:[1,0,0]
	v_mov_b32_e32 v78, v129
	v_mov_b32_e32 v81, v79
	s_waitcnt lgkmcnt(2)
	v_pk_mul_f32 v[78:79], v[68:69], v[78:79] op_sel_hi:[1,0]
	v_pk_add_f32 v[76:77], v[76:77], v[80:81]
	v_pk_fma_f32 v[80:81], v[68:69], v[128:129], v[78:79] op_sel:[0,0,1] op_sel_hi:[1,1,0] neg_lo:[0,0,1] neg_hi:[0,0,1]
	v_pk_fma_f32 v[68:69], v[68:69], v[128:129], v[78:79] op_sel:[0,0,1] op_sel_hi:[1,0,0]
	v_mov_b32_e32 v81, v69
	v_pk_add_f32 v[68:69], v[76:77], v[80:81]
	v_mov_b32_e32 v76, v127
	v_pk_mul_f32 v[76:77], v[70:71], v[76:77] op_sel_hi:[1,0]
	v_pk_fma_f32 v[78:79], v[70:71], v[126:127], v[76:77] op_sel:[0,0,1] op_sel_hi:[1,1,0] neg_lo:[0,0,1] neg_hi:[0,0,1]
	v_pk_fma_f32 v[70:71], v[70:71], v[126:127], v[76:77] op_sel:[0,0,1] op_sel_hi:[1,0,0]
	v_mov_b32_e32 v70, v125
	v_mov_b32_e32 v79, v71
	s_waitcnt lgkmcnt(1)
	v_pk_mul_f32 v[70:71], v[72:73], v[70:71] op_sel_hi:[1,0]
	v_pk_fma_f32 v[76:77], v[72:73], v[124:125], v[70:71] op_sel:[0,0,1] op_sel_hi:[1,1,0] neg_lo:[0,0,1] neg_hi:[0,0,1]
	v_pk_fma_f32 v[70:71], v[72:73], v[124:125], v[70:71] op_sel:[0,0,1] op_sel_hi:[1,0,0]
	s_waitcnt vmcnt(1)
	v_mov_b32_e32 v70, v137
	v_mov_b32_e32 v77, v71
	v_pk_mul_f32 v[70:71], v[74:75], v[70:71] op_sel_hi:[1,0]
	s_waitcnt vmcnt(0)
	v_pk_fma_f32 v[72:73], v[74:75], v[136:137], v[70:71] op_sel:[0,0,1] op_sel_hi:[1,1,0] neg_lo:[0,0,1] neg_hi:[0,0,1]
	v_pk_fma_f32 v[70:71], v[74:75], v[136:137], v[70:71] op_sel:[0,0,1] op_sel_hi:[1,0,0]
	v_pk_add_f32 v[68:69], v[68:69], v[78:79]
	v_mov_b32_e32 v70, v135
	v_pk_add_f32 v[68:69], v[68:69], v[76:77]
	v_mov_b32_e32 v73, v71
	s_waitcnt lgkmcnt(0)
	v_pk_mul_f32 v[70:71], v[64:65], v[70:71] op_sel_hi:[1,0]
	v_pk_add_f32 v[68:69], v[68:69], v[72:73]
	v_pk_fma_f32 v[72:73], v[64:65], v[134:135], v[70:71] op_sel:[0,0,1] op_sel_hi:[1,1,0] neg_lo:[0,0,1] neg_hi:[0,0,1]
	v_pk_fma_f32 v[64:65], v[64:65], v[134:135], v[70:71] op_sel:[0,0,1] op_sel_hi:[1,0,0]
	v_mov_b32_e32 v73, v65
	v_pk_add_f32 v[64:65], v[68:69], v[72:73]
	v_mov_b32_e32 v68, v133
	v_pk_mul_f32 v[68:69], v[66:67], v[68:69] op_sel_hi:[1,0]
	v_pk_fma_f32 v[70:71], v[66:67], v[132:133], v[68:69] op_sel:[0,0,1] op_sel_hi:[1,1,0] neg_lo:[0,0,1] neg_hi:[0,0,1]
	v_pk_fma_f32 v[66:67], v[66:67], v[132:133], v[68:69] op_sel:[0,0,1] op_sel_hi:[1,0,0]
	v_mov_b32_e32 v71, v67
	v_pk_add_f32 v[64:65], v[64:65], v[70:71]
	v_pk_add_f32 v[0:1], v[0:1], v[64:65] neg_lo:[0,1] neg_hi:[0,1]
	buffer_store_dword v1, off, s[0:3], 0 offset:4
	buffer_store_dword v0, off, s[0:3], 0
	s_cbranch_vccz .LBB30_261
; %bb.200:
	v_pk_mov_b32 v[0:1], s[10:11], s[10:11] op_sel:[0,1]
	flat_load_dword v0, v[0:1] offset:116
	s_waitcnt vmcnt(0) lgkmcnt(0)
	v_add_u32_e32 v0, -1, v0
	v_cmp_ne_u32_e32 vcc, 29, v0
	s_and_saveexec_b64 s[4:5], vcc
	s_cbranch_execz .LBB30_202
; %bb.201:
	v_mov_b32_e32 v1, 0
	v_lshl_add_u32 v0, v0, 3, v1
	buffer_load_dword v1, v0, s[0:3], 0 offen
	buffer_load_dword v64, v0, s[0:3], 0 offen offset:4
	buffer_load_dword v65, off, s[0:3], 0 offset:232
	buffer_load_dword v66, off, s[0:3], 0 offset:236
	s_waitcnt vmcnt(3)
	buffer_store_dword v1, off, s[0:3], 0 offset:232
	s_waitcnt vmcnt(3)
	buffer_store_dword v64, off, s[0:3], 0 offset:236
	s_waitcnt vmcnt(3)
	buffer_store_dword v65, v0, s[0:3], 0 offen
	s_waitcnt vmcnt(3)
	buffer_store_dword v66, v0, s[0:3], 0 offen offset:4
.LBB30_202:
	s_or_b64 exec, exec, s[4:5]
	v_pk_mov_b32 v[0:1], s[10:11], s[10:11] op_sel:[0,1]
	flat_load_dword v0, v[0:1] offset:112
	s_waitcnt vmcnt(0) lgkmcnt(0)
	v_add_u32_e32 v0, -1, v0
	v_cmp_ne_u32_e32 vcc, 28, v0
	s_and_saveexec_b64 s[4:5], vcc
	s_cbranch_execz .LBB30_204
; %bb.203:
	v_mov_b32_e32 v1, 0
	v_lshl_add_u32 v0, v0, 3, v1
	buffer_load_dword v1, v0, s[0:3], 0 offen
	buffer_load_dword v64, v0, s[0:3], 0 offen offset:4
	buffer_load_dword v65, off, s[0:3], 0 offset:228
	buffer_load_dword v66, off, s[0:3], 0 offset:224
	s_waitcnt vmcnt(3)
	buffer_store_dword v1, off, s[0:3], 0 offset:224
	s_waitcnt vmcnt(3)
	buffer_store_dword v64, off, s[0:3], 0 offset:228
	s_waitcnt vmcnt(3)
	buffer_store_dword v65, v0, s[0:3], 0 offen offset:4
	s_waitcnt vmcnt(3)
	buffer_store_dword v66, v0, s[0:3], 0 offen
.LBB30_204:
	s_or_b64 exec, exec, s[4:5]
	v_pk_mov_b32 v[0:1], s[10:11], s[10:11] op_sel:[0,1]
	flat_load_dword v0, v[0:1] offset:108
	s_waitcnt vmcnt(0) lgkmcnt(0)
	v_add_u32_e32 v0, -1, v0
	v_cmp_ne_u32_e32 vcc, 27, v0
	s_and_saveexec_b64 s[4:5], vcc
	s_cbranch_execz .LBB30_206
; %bb.205:
	v_mov_b32_e32 v1, 0
	v_lshl_add_u32 v0, v0, 3, v1
	buffer_load_dword v1, v0, s[0:3], 0 offen
	buffer_load_dword v64, v0, s[0:3], 0 offen offset:4
	buffer_load_dword v65, off, s[0:3], 0 offset:216
	buffer_load_dword v66, off, s[0:3], 0 offset:220
	s_waitcnt vmcnt(3)
	buffer_store_dword v1, off, s[0:3], 0 offset:216
	s_waitcnt vmcnt(3)
	buffer_store_dword v64, off, s[0:3], 0 offset:220
	s_waitcnt vmcnt(3)
	buffer_store_dword v65, v0, s[0:3], 0 offen
	s_waitcnt vmcnt(3)
	buffer_store_dword v66, v0, s[0:3], 0 offen offset:4
.LBB30_206:
	s_or_b64 exec, exec, s[4:5]
	v_pk_mov_b32 v[0:1], s[10:11], s[10:11] op_sel:[0,1]
	flat_load_dword v0, v[0:1] offset:104
	s_waitcnt vmcnt(0) lgkmcnt(0)
	v_add_u32_e32 v0, -1, v0
	v_cmp_ne_u32_e32 vcc, 26, v0
	s_and_saveexec_b64 s[4:5], vcc
	s_cbranch_execz .LBB30_208
; %bb.207:
	v_mov_b32_e32 v1, 0
	v_lshl_add_u32 v0, v0, 3, v1
	buffer_load_dword v1, v0, s[0:3], 0 offen
	buffer_load_dword v64, v0, s[0:3], 0 offen offset:4
	buffer_load_dword v65, off, s[0:3], 0 offset:212
	buffer_load_dword v66, off, s[0:3], 0 offset:208
	s_waitcnt vmcnt(3)
	buffer_store_dword v1, off, s[0:3], 0 offset:208
	s_waitcnt vmcnt(3)
	buffer_store_dword v64, off, s[0:3], 0 offset:212
	s_waitcnt vmcnt(3)
	buffer_store_dword v65, v0, s[0:3], 0 offen offset:4
	s_waitcnt vmcnt(3)
	buffer_store_dword v66, v0, s[0:3], 0 offen
.LBB30_208:
	s_or_b64 exec, exec, s[4:5]
	;; [unrolled: 48-line block ×14, first 2 shown]
	v_pk_mov_b32 v[0:1], s[10:11], s[10:11] op_sel:[0,1]
	flat_load_dword v0, v[0:1] offset:4
	s_waitcnt vmcnt(0) lgkmcnt(0)
	v_add_u32_e32 v0, -1, v0
	v_cmp_ne_u32_e32 vcc, 1, v0
	s_and_saveexec_b64 s[4:5], vcc
	s_cbranch_execz .LBB30_258
; %bb.257:
	v_mov_b32_e32 v1, 0
	v_lshl_add_u32 v0, v0, 3, v1
	buffer_load_dword v1, v0, s[0:3], 0 offen
	buffer_load_dword v64, v0, s[0:3], 0 offen offset:4
	buffer_load_dword v65, off, s[0:3], 0 offset:8
	buffer_load_dword v66, off, s[0:3], 0 offset:12
	s_waitcnt vmcnt(3)
	buffer_store_dword v1, off, s[0:3], 0 offset:8
	s_waitcnt vmcnt(3)
	buffer_store_dword v64, off, s[0:3], 0 offset:12
	s_waitcnt vmcnt(3)
	buffer_store_dword v65, v0, s[0:3], 0 offen
	s_waitcnt vmcnt(3)
	buffer_store_dword v66, v0, s[0:3], 0 offen offset:4
.LBB30_258:
	s_or_b64 exec, exec, s[4:5]
	v_pk_mov_b32 v[0:1], s[10:11], s[10:11] op_sel:[0,1]
	flat_load_dword v64, v[0:1]
	s_nop 0
	buffer_load_dword v0, off, s[0:3], 0
	buffer_load_dword v1, off, s[0:3], 0 offset:4
	s_waitcnt vmcnt(0) lgkmcnt(0)
	v_add_u32_e32 v64, -1, v64
	v_cmp_ne_u32_e32 vcc, 0, v64
	s_and_saveexec_b64 s[4:5], vcc
	s_cbranch_execz .LBB30_260
; %bb.259:
	v_mov_b32_e32 v65, 0
	v_lshl_add_u32 v64, v64, 3, v65
	buffer_load_dword v65, v64, s[0:3], 0 offen offset:4
	buffer_load_dword v66, v64, s[0:3], 0 offen
	s_waitcnt vmcnt(1)
	buffer_store_dword v65, off, s[0:3], 0 offset:4
	s_waitcnt vmcnt(1)
	buffer_store_dword v66, off, s[0:3], 0
	buffer_store_dword v1, v64, s[0:3], 0 offen offset:4
	buffer_store_dword v0, v64, s[0:3], 0 offen
	buffer_load_dword v0, off, s[0:3], 0
	s_nop 0
	buffer_load_dword v1, off, s[0:3], 0 offset:4
.LBB30_260:
	s_or_b64 exec, exec, s[4:5]
.LBB30_261:
	buffer_load_dword v64, off, s[0:3], 0 offset:8
	buffer_load_dword v65, off, s[0:3], 0 offset:12
	;; [unrolled: 1-line block ×60, first 2 shown]
	s_waitcnt vmcnt(60)
	global_store_dwordx2 v[54:55], v[0:1], off
	s_waitcnt vmcnt(59)
	global_store_dwordx2 v[56:57], v[64:65], off
	;; [unrolled: 2-line block ×31, first 2 shown]
	s_endpgm
	.section	.rodata,"a",@progbits
	.p2align	6, 0x0
	.amdhsa_kernel _ZN9rocsolver6v33100L18getri_kernel_smallILi31E19rocblas_complex_numIfEPS3_EEvT1_iilPiilS6_bb
		.amdhsa_group_segment_fixed_size 504
		.amdhsa_private_segment_fixed_size 256
		.amdhsa_kernarg_size 60
		.amdhsa_user_sgpr_count 8
		.amdhsa_user_sgpr_private_segment_buffer 1
		.amdhsa_user_sgpr_dispatch_ptr 0
		.amdhsa_user_sgpr_queue_ptr 0
		.amdhsa_user_sgpr_kernarg_segment_ptr 1
		.amdhsa_user_sgpr_dispatch_id 0
		.amdhsa_user_sgpr_flat_scratch_init 1
		.amdhsa_user_sgpr_kernarg_preload_length 0
		.amdhsa_user_sgpr_kernarg_preload_offset 0
		.amdhsa_user_sgpr_private_segment_size 0
		.amdhsa_uses_dynamic_stack 0
		.amdhsa_system_sgpr_private_segment_wavefront_offset 1
		.amdhsa_system_sgpr_workgroup_id_x 1
		.amdhsa_system_sgpr_workgroup_id_y 0
		.amdhsa_system_sgpr_workgroup_id_z 0
		.amdhsa_system_sgpr_workgroup_info 0
		.amdhsa_system_vgpr_workitem_id 0
		.amdhsa_next_free_vgpr 176
		.amdhsa_next_free_sgpr 23
		.amdhsa_accum_offset 176
		.amdhsa_reserve_vcc 1
		.amdhsa_reserve_flat_scratch 1
		.amdhsa_float_round_mode_32 0
		.amdhsa_float_round_mode_16_64 0
		.amdhsa_float_denorm_mode_32 3
		.amdhsa_float_denorm_mode_16_64 3
		.amdhsa_dx10_clamp 1
		.amdhsa_ieee_mode 1
		.amdhsa_fp16_overflow 0
		.amdhsa_tg_split 0
		.amdhsa_exception_fp_ieee_invalid_op 0
		.amdhsa_exception_fp_denorm_src 0
		.amdhsa_exception_fp_ieee_div_zero 0
		.amdhsa_exception_fp_ieee_overflow 0
		.amdhsa_exception_fp_ieee_underflow 0
		.amdhsa_exception_fp_ieee_inexact 0
		.amdhsa_exception_int_div_zero 0
	.end_amdhsa_kernel
	.section	.text._ZN9rocsolver6v33100L18getri_kernel_smallILi31E19rocblas_complex_numIfEPS3_EEvT1_iilPiilS6_bb,"axG",@progbits,_ZN9rocsolver6v33100L18getri_kernel_smallILi31E19rocblas_complex_numIfEPS3_EEvT1_iilPiilS6_bb,comdat
.Lfunc_end30:
	.size	_ZN9rocsolver6v33100L18getri_kernel_smallILi31E19rocblas_complex_numIfEPS3_EEvT1_iilPiilS6_bb, .Lfunc_end30-_ZN9rocsolver6v33100L18getri_kernel_smallILi31E19rocblas_complex_numIfEPS3_EEvT1_iilPiilS6_bb
                                        ; -- End function
	.section	.AMDGPU.csdata,"",@progbits
; Kernel info:
; codeLenInByte = 45784
; NumSgprs: 29
; NumVgprs: 176
; NumAgprs: 0
; TotalNumVgprs: 176
; ScratchSize: 256
; MemoryBound: 0
; FloatMode: 240
; IeeeMode: 1
; LDSByteSize: 504 bytes/workgroup (compile time only)
; SGPRBlocks: 3
; VGPRBlocks: 21
; NumSGPRsForWavesPerEU: 29
; NumVGPRsForWavesPerEU: 176
; AccumOffset: 176
; Occupancy: 2
; WaveLimiterHint : 1
; COMPUTE_PGM_RSRC2:SCRATCH_EN: 1
; COMPUTE_PGM_RSRC2:USER_SGPR: 8
; COMPUTE_PGM_RSRC2:TRAP_HANDLER: 0
; COMPUTE_PGM_RSRC2:TGID_X_EN: 1
; COMPUTE_PGM_RSRC2:TGID_Y_EN: 0
; COMPUTE_PGM_RSRC2:TGID_Z_EN: 0
; COMPUTE_PGM_RSRC2:TIDIG_COMP_CNT: 0
; COMPUTE_PGM_RSRC3_GFX90A:ACCUM_OFFSET: 43
; COMPUTE_PGM_RSRC3_GFX90A:TG_SPLIT: 0
	.section	.text._ZN9rocsolver6v33100L18getri_kernel_smallILi32E19rocblas_complex_numIfEPS3_EEvT1_iilPiilS6_bb,"axG",@progbits,_ZN9rocsolver6v33100L18getri_kernel_smallILi32E19rocblas_complex_numIfEPS3_EEvT1_iilPiilS6_bb,comdat
	.globl	_ZN9rocsolver6v33100L18getri_kernel_smallILi32E19rocblas_complex_numIfEPS3_EEvT1_iilPiilS6_bb ; -- Begin function _ZN9rocsolver6v33100L18getri_kernel_smallILi32E19rocblas_complex_numIfEPS3_EEvT1_iilPiilS6_bb
	.p2align	8
	.type	_ZN9rocsolver6v33100L18getri_kernel_smallILi32E19rocblas_complex_numIfEPS3_EEvT1_iilPiilS6_bb,@function
_ZN9rocsolver6v33100L18getri_kernel_smallILi32E19rocblas_complex_numIfEPS3_EEvT1_iilPiilS6_bb: ; @_ZN9rocsolver6v33100L18getri_kernel_smallILi32E19rocblas_complex_numIfEPS3_EEvT1_iilPiilS6_bb
; %bb.0:
	s_add_u32 flat_scratch_lo, s6, s9
	s_addc_u32 flat_scratch_hi, s7, 0
	s_add_u32 s0, s0, s9
	s_addc_u32 s1, s1, 0
	v_cmp_gt_u32_e32 vcc, 32, v0
	s_and_saveexec_b64 s[6:7], vcc
	s_cbranch_execz .LBB31_142
; %bb.1:
	s_load_dword s22, s[4:5], 0x38
	s_load_dwordx4 s[16:19], s[4:5], 0x10
	s_load_dwordx4 s[12:15], s[4:5], 0x28
                                        ; implicit-def: $sgpr10_sgpr11
	s_waitcnt lgkmcnt(0)
	s_bitcmp1_b32 s22, 8
	s_cselect_b64 s[20:21], -1, 0
	s_ashr_i32 s9, s8, 31
	s_bfe_u32 s6, s22, 0x10008
	s_cmp_eq_u32 s6, 0
	s_cbranch_scc1 .LBB31_3
; %bb.2:
	s_load_dword s6, s[4:5], 0x20
	s_mul_i32 s7, s8, s13
	s_mul_hi_u32 s10, s8, s12
	s_mul_i32 s11, s9, s12
	s_add_i32 s10, s10, s7
	s_add_i32 s11, s10, s11
	s_mul_i32 s10, s8, s12
	s_waitcnt lgkmcnt(0)
	s_ashr_i32 s7, s6, 31
	s_lshl_b64 s[10:11], s[10:11], 2
	s_add_u32 s10, s18, s10
	s_addc_u32 s11, s19, s11
	s_lshl_b64 s[6:7], s[6:7], 2
	s_add_u32 s10, s10, s6
	s_addc_u32 s11, s11, s7
.LBB31_3:
	s_load_dwordx4 s[4:7], s[4:5], 0x0
	s_mul_i32 s12, s8, s17
	s_mul_hi_u32 s13, s8, s16
	s_add_i32 s17, s13, s12
	v_lshlrev_b32_e32 v70, 3, v0
	s_waitcnt lgkmcnt(0)
	s_ashr_i32 s13, s6, 31
	s_mov_b32 s12, s6
	s_mul_i32 s6, s9, s16
	s_add_i32 s17, s17, s6
	s_mul_i32 s16, s8, s16
	s_lshl_b64 s[16:17], s[16:17], 3
	s_add_u32 s6, s4, s16
	s_addc_u32 s16, s5, s17
	s_lshl_b64 s[4:5], s[12:13], 3
	s_add_u32 s4, s6, s4
	s_addc_u32 s5, s16, s5
	s_add_i32 s6, s7, s7
	v_add_u32_e32 v4, s6, v0
	v_ashrrev_i32_e32 v5, 31, v4
	v_lshlrev_b64 v[2:3], 3, v[4:5]
	v_add_u32_e32 v6, s7, v4
	v_mov_b32_e32 v1, s5
	v_add_co_u32_e32 v2, vcc, s4, v2
	v_ashrrev_i32_e32 v7, 31, v6
	v_addc_co_u32_e32 v3, vcc, v1, v3, vcc
	v_lshlrev_b64 v[4:5], 3, v[6:7]
	v_add_u32_e32 v8, s7, v6
	v_add_co_u32_e32 v4, vcc, s4, v4
	v_ashrrev_i32_e32 v9, 31, v8
	v_addc_co_u32_e32 v5, vcc, v1, v5, vcc
	v_lshlrev_b64 v[6:7], 3, v[8:9]
	v_add_u32_e32 v10, s7, v8
	;; [unrolled: 5-line block ×24, first 2 shown]
	v_add_co_u32_e32 v50, vcc, s4, v50
	v_ashrrev_i32_e32 v55, 31, v54
	v_addc_co_u32_e32 v51, vcc, v1, v51, vcc
	v_lshlrev_b64 v[52:53], 3, v[54:55]
	v_add_co_u32_e32 v52, vcc, s4, v52
	v_addc_co_u32_e32 v53, vcc, v1, v53, vcc
	v_add_co_u32_e32 v56, vcc, s4, v70
	s_ashr_i32 s13, s7, 31
	s_mov_b32 s12, s7
	v_add_u32_e32 v60, s7, v54
	v_addc_co_u32_e32 v57, vcc, 0, v1, vcc
	s_lshl_b64 s[12:13], s[12:13], 3
	v_ashrrev_i32_e32 v61, 31, v60
	v_mov_b32_e32 v1, s13
	v_add_co_u32_e32 v58, vcc, s12, v56
	v_addc_co_u32_e32 v59, vcc, v57, v1, vcc
	v_lshlrev_b64 v[54:55], 3, v[60:61]
	v_add_u32_e32 v62, s7, v60
	v_mov_b32_e32 v1, s5
	v_add_co_u32_e32 v54, vcc, s4, v54
	v_ashrrev_i32_e32 v63, 31, v62
	v_addc_co_u32_e32 v55, vcc, v1, v55, vcc
	v_lshlrev_b64 v[60:61], 3, v[62:63]
	v_add_u32_e32 v64, s7, v62
	v_add_co_u32_e32 v60, vcc, s4, v60
	v_ashrrev_i32_e32 v65, 31, v64
	v_addc_co_u32_e32 v61, vcc, v1, v61, vcc
	v_lshlrev_b64 v[62:63], 3, v[64:65]
	v_add_co_u32_e32 v62, vcc, s4, v62
	global_load_dwordx2 v[66:67], v70, s[4:5]
	global_load_dwordx2 v[72:73], v[2:3], off
	global_load_dwordx2 v[68:69], v[58:59], off
	;; [unrolled: 1-line block ×22, first 2 shown]
	v_addc_co_u32_e32 v63, vcc, v1, v63, vcc
	global_load_dwordx2 v[114:115], v[44:45], off
	global_load_dwordx2 v[116:117], v[46:47], off
	;; [unrolled: 1-line block ×8, first 2 shown]
	v_add_u32_e32 v64, s7, v64
	v_ashrrev_i32_e32 v65, 31, v64
	v_lshlrev_b64 v[64:65], 3, v[64:65]
	v_add_co_u32_e32 v64, vcc, s4, v64
	v_addc_co_u32_e32 v65, vcc, v1, v65, vcc
	global_load_dwordx2 v[130:131], v[64:65], off
	s_bitcmp0_b32 s22, 0
	s_mov_b64 s[6:7], -1
	s_waitcnt vmcnt(31)
	buffer_store_dword v67, off, s[0:3], 0 offset:4
	buffer_store_dword v66, off, s[0:3], 0
	s_waitcnt vmcnt(31)
	buffer_store_dword v69, off, s[0:3], 0 offset:12
	buffer_store_dword v68, off, s[0:3], 0 offset:8
	;; [unrolled: 1-line block ×4, first 2 shown]
	s_waitcnt vmcnt(34)
	buffer_store_dword v75, off, s[0:3], 0 offset:28
	buffer_store_dword v74, off, s[0:3], 0 offset:24
	s_waitcnt vmcnt(35)
	buffer_store_dword v77, off, s[0:3], 0 offset:36
	buffer_store_dword v76, off, s[0:3], 0 offset:32
	;; [unrolled: 3-line block ×29, first 2 shown]
	s_cbranch_scc1 .LBB31_140
; %bb.4:
	v_cmp_eq_u32_e64 s[4:5], 0, v0
	s_and_saveexec_b64 s[6:7], s[4:5]
	s_cbranch_execz .LBB31_6
; %bb.5:
	v_mov_b32_e32 v1, 0
	ds_write_b32 v1, v1 offset:512
.LBB31_6:
	s_or_b64 exec, exec, s[6:7]
	v_mov_b32_e32 v1, 0
	v_lshl_add_u32 v71, v0, 3, v1
	s_waitcnt lgkmcnt(0)
	; wave barrier
	s_waitcnt lgkmcnt(0)
	buffer_load_dword v1, v71, s[0:3], 0 offen
	buffer_load_dword v66, v71, s[0:3], 0 offen offset:4
	s_waitcnt vmcnt(1)
	v_cmp_eq_f32_e32 vcc, 0, v1
	s_waitcnt vmcnt(0)
	v_cmp_eq_f32_e64 s[6:7], 0, v66
	s_and_b64 s[6:7], vcc, s[6:7]
	s_and_saveexec_b64 s[12:13], s[6:7]
	s_cbranch_execz .LBB31_10
; %bb.7:
	v_mov_b32_e32 v1, 0
	ds_read_b32 v67, v1 offset:512
	v_add_u32_e32 v66, 1, v0
	s_waitcnt lgkmcnt(0)
	v_readfirstlane_b32 s6, v67
	s_cmp_eq_u32 s6, 0
	s_cselect_b64 s[16:17], -1, 0
	v_cmp_gt_i32_e32 vcc, s6, v66
	s_or_b64 s[16:17], s[16:17], vcc
	s_and_b64 exec, exec, s[16:17]
	s_cbranch_execz .LBB31_10
; %bb.8:
	s_mov_b64 s[16:17], 0
	v_mov_b32_e32 v67, s6
.LBB31_9:                               ; =>This Inner Loop Header: Depth=1
	ds_cmpst_rtn_b32 v67, v1, v67, v66 offset:512
	s_waitcnt lgkmcnt(0)
	v_cmp_ne_u32_e32 vcc, 0, v67
	v_cmp_le_i32_e64 s[6:7], v67, v66
	s_and_b64 s[6:7], vcc, s[6:7]
	s_and_b64 s[6:7], exec, s[6:7]
	s_or_b64 s[16:17], s[6:7], s[16:17]
	s_andn2_b64 exec, exec, s[16:17]
	s_cbranch_execnz .LBB31_9
.LBB31_10:
	s_or_b64 exec, exec, s[12:13]
	v_mov_b32_e32 v66, 0
	s_waitcnt lgkmcnt(0)
	; wave barrier
	ds_read_b32 v1, v66 offset:512
	s_and_saveexec_b64 s[6:7], s[4:5]
	s_cbranch_execz .LBB31_12
; %bb.11:
	s_lshl_b64 s[12:13], s[8:9], 2
	s_add_u32 s12, s14, s12
	s_addc_u32 s13, s15, s13
	s_waitcnt lgkmcnt(0)
	global_store_dword v66, v1, s[12:13]
.LBB31_12:
	s_or_b64 exec, exec, s[6:7]
	s_waitcnt lgkmcnt(0)
	v_cmp_ne_u32_e32 vcc, 0, v1
	s_mov_b64 s[6:7], 0
	s_cbranch_vccnz .LBB31_140
; %bb.13:
	buffer_load_dword v72, v71, s[0:3], 0 offen offset:4
	buffer_load_dword v67, v71, s[0:3], 0 offen
	s_waitcnt vmcnt(1)
	v_cmp_gt_f32_e32 vcc, 0, v72
	v_cndmask_b32_e64 v1, v72, -v72, vcc
	s_waitcnt vmcnt(0)
	v_cmp_gt_f32_e32 vcc, 0, v67
	v_cndmask_b32_e64 v66, v67, -v67, vcc
	v_cmp_ngt_f32_e32 vcc, v66, v1
                                        ; implicit-def: $vgpr1
                                        ; implicit-def: $vgpr66
	s_and_saveexec_b64 s[6:7], vcc
	s_xor_b64 s[6:7], exec, s[6:7]
                                        ; implicit-def: $vgpr68_vgpr69
	s_cbranch_execz .LBB31_15
; %bb.14:
	v_div_scale_f32 v1, s[12:13], v72, v72, v67
	v_rcp_f32_e32 v66, v1
	v_div_scale_f32 v68, vcc, v67, v72, v67
	v_fma_f32 v69, -v1, v66, 1.0
	v_fmac_f32_e32 v66, v69, v66
	v_mul_f32_e32 v69, v68, v66
	v_fma_f32 v73, -v1, v69, v68
	v_fmac_f32_e32 v69, v73, v66
	v_fma_f32 v1, -v1, v69, v68
	v_div_fmas_f32 v1, v1, v66, v69
	v_div_fixup_f32 v66, v1, v72, v67
	v_fmac_f32_e32 v72, v67, v66
	v_div_scale_f32 v1, s[12:13], v72, v72, -1.0
	v_rcp_f32_e32 v67, v1
	v_fma_f32 v68, -v1, v67, 1.0
	v_fmac_f32_e32 v67, v68, v67
	v_div_scale_f32 v68, vcc, -1.0, v72, -1.0
	v_mul_f32_e32 v69, v68, v67
	v_fma_f32 v73, -v1, v69, v68
	v_fmac_f32_e32 v69, v73, v67
	v_fma_f32 v1, -v1, v69, v68
	v_div_fmas_f32 v1, v1, v67, v69
	v_div_fixup_f32 v1, v1, v72, -1.0
	v_mul_f32_e32 v66, v66, v1
	v_xor_b32_e32 v68, 0x80000000, v66
                                        ; implicit-def: $vgpr67
                                        ; implicit-def: $vgpr72
.LBB31_15:
	s_andn2_saveexec_b64 s[6:7], s[6:7]
	s_cbranch_execz .LBB31_17
; %bb.16:
	v_div_scale_f32 v1, s[12:13], v67, v67, v72
	v_rcp_f32_e32 v66, v1
	v_div_scale_f32 v68, vcc, v72, v67, v72
	v_fma_f32 v69, -v1, v66, 1.0
	v_fmac_f32_e32 v66, v69, v66
	v_mul_f32_e32 v69, v68, v66
	v_fma_f32 v73, -v1, v69, v68
	v_fmac_f32_e32 v69, v73, v66
	v_fma_f32 v1, -v1, v69, v68
	v_div_fmas_f32 v1, v1, v66, v69
	v_div_fixup_f32 v1, v1, v67, v72
	v_fmac_f32_e32 v67, v72, v1
	v_div_scale_f32 v66, s[12:13], v67, v67, 1.0
	v_rcp_f32_e32 v68, v66
	v_fma_f32 v69, -v66, v68, 1.0
	v_fmac_f32_e32 v68, v69, v68
	v_div_scale_f32 v69, vcc, 1.0, v67, 1.0
	v_mul_f32_e32 v72, v69, v68
	v_fma_f32 v73, -v66, v72, v69
	v_fmac_f32_e32 v72, v73, v68
	v_fma_f32 v66, -v66, v72, v69
	v_div_fmas_f32 v66, v66, v68, v72
	v_div_fixup_f32 v68, v66, v67, 1.0
	v_xor_b32_e32 v66, 0x80000000, v68
	v_mul_f32_e64 v1, v1, -v68
.LBB31_17:
	s_or_b64 exec, exec, s[6:7]
	buffer_store_dword v1, v71, s[0:3], 0 offen offset:4
	buffer_store_dword v68, v71, s[0:3], 0 offen
	buffer_load_dword v69, off, s[0:3], 0 offset:12
	s_nop 0
	buffer_load_dword v68, off, s[0:3], 0 offset:8
	v_xor_b32_e32 v67, 0x80000000, v1
	v_add_u32_e32 v1, 0x100, v70
	s_waitcnt vmcnt(0)
	ds_write2_b64 v70, v[66:67], v[68:69] offset1:32
	s_waitcnt lgkmcnt(0)
	; wave barrier
	s_waitcnt lgkmcnt(0)
	s_and_saveexec_b64 s[6:7], s[4:5]
	s_cbranch_execz .LBB31_19
; %bb.18:
	buffer_load_dword v72, v71, s[0:3], 0 offen offset:4
	buffer_load_dword v73, v71, s[0:3], 0 offen
	ds_read_b64 v[66:67], v1
	v_mov_b32_e32 v68, 0
	ds_read_b64 v[68:69], v68 offset:8
	s_waitcnt vmcnt(1) lgkmcnt(1)
	v_mul_f32_e32 v74, v67, v72
	v_mul_f32_e32 v72, v66, v72
	s_waitcnt vmcnt(0)
	v_fmac_f32_e32 v72, v67, v73
	v_fma_f32 v66, v66, v73, -v74
	v_add_f32_e32 v67, 0, v72
	v_add_f32_e32 v66, 0, v66
	s_waitcnt lgkmcnt(0)
	v_mul_f32_e32 v72, v67, v69
	v_mul_f32_e32 v69, v66, v69
	v_fma_f32 v66, v66, v68, -v72
	v_fmac_f32_e32 v69, v67, v68
	buffer_store_dword v66, off, s[0:3], 0 offset:8
	buffer_store_dword v69, off, s[0:3], 0 offset:12
.LBB31_19:
	s_or_b64 exec, exec, s[6:7]
	s_waitcnt lgkmcnt(0)
	; wave barrier
	buffer_load_dword v66, off, s[0:3], 0 offset:16
	buffer_load_dword v67, off, s[0:3], 0 offset:20
	v_cmp_gt_u32_e32 vcc, 2, v0
	s_waitcnt vmcnt(0)
	ds_write_b64 v1, v[66:67]
	s_waitcnt lgkmcnt(0)
	; wave barrier
	s_waitcnt lgkmcnt(0)
	s_and_saveexec_b64 s[6:7], vcc
	s_cbranch_execz .LBB31_23
; %bb.20:
	buffer_load_dword v68, v71, s[0:3], 0 offen offset:4
	buffer_load_dword v69, v71, s[0:3], 0 offen
	ds_read_b64 v[66:67], v1
	s_waitcnt vmcnt(1) lgkmcnt(0)
	v_mul_f32_e32 v71, v67, v68
	v_mul_f32_e32 v68, v66, v68
	s_waitcnt vmcnt(0)
	v_fma_f32 v66, v66, v69, -v71
	v_fmac_f32_e32 v68, v67, v69
	v_add_f32_e32 v67, 0, v66
	v_add_f32_e32 v66, 0, v68
	s_and_saveexec_b64 s[12:13], s[4:5]
	s_cbranch_execz .LBB31_22
; %bb.21:
	buffer_load_dword v71, off, s[0:3], 0 offset:12
	buffer_load_dword v72, off, s[0:3], 0 offset:8
	v_mov_b32_e32 v68, 0
	ds_read_b64 v[68:69], v68 offset:264
	s_waitcnt vmcnt(1) lgkmcnt(0)
	v_mul_f32_e32 v73, v68, v71
	v_mul_f32_e32 v71, v69, v71
	s_waitcnt vmcnt(0)
	v_fmac_f32_e32 v73, v69, v72
	v_fma_f32 v68, v68, v72, -v71
	v_add_f32_e32 v66, v66, v73
	v_add_f32_e32 v67, v67, v68
.LBB31_22:
	s_or_b64 exec, exec, s[12:13]
	v_mov_b32_e32 v68, 0
	ds_read_b64 v[68:69], v68 offset:16
	s_waitcnt lgkmcnt(0)
	v_mul_f32_e32 v71, v66, v69
	v_mul_f32_e32 v69, v67, v69
	v_fma_f32 v67, v67, v68, -v71
	v_fmac_f32_e32 v69, v66, v68
	buffer_store_dword v67, off, s[0:3], 0 offset:16
	buffer_store_dword v69, off, s[0:3], 0 offset:20
.LBB31_23:
	s_or_b64 exec, exec, s[6:7]
	s_waitcnt lgkmcnt(0)
	; wave barrier
	buffer_load_dword v66, off, s[0:3], 0 offset:24
	buffer_load_dword v67, off, s[0:3], 0 offset:28
	v_cmp_gt_u32_e32 vcc, 3, v0
	s_waitcnt vmcnt(0)
	ds_write_b64 v1, v[66:67]
	v_add_u32_e32 v66, -1, v0
	s_waitcnt lgkmcnt(0)
	; wave barrier
	s_waitcnt lgkmcnt(0)
	s_and_saveexec_b64 s[4:5], vcc
	s_cbranch_execz .LBB31_27
; %bb.24:
	v_add_u32_e32 v68, -1, v0
	v_add_u32_e32 v69, 0x100, v70
	v_add_u32_e32 v71, 0, v70
	s_mov_b64 s[6:7], 0
	v_mov_b32_e32 v67, 0
	v_mov_b32_e32 v72, 0
.LBB31_25:                              ; =>This Inner Loop Header: Depth=1
	buffer_load_dword v73, v71, s[0:3], 0 offen offset:4
	buffer_load_dword v76, v71, s[0:3], 0 offen
	ds_read_b64 v[74:75], v69
	v_add_u32_e32 v68, 1, v68
	v_cmp_lt_u32_e32 vcc, 1, v68
	v_add_u32_e32 v69, 8, v69
	v_add_u32_e32 v71, 8, v71
	s_or_b64 s[6:7], vcc, s[6:7]
	s_waitcnt vmcnt(1) lgkmcnt(0)
	v_mul_f32_e32 v77, v75, v73
	v_mul_f32_e32 v73, v74, v73
	s_waitcnt vmcnt(0)
	v_fma_f32 v74, v74, v76, -v77
	v_fmac_f32_e32 v73, v75, v76
	v_add_f32_e32 v72, v72, v74
	v_add_f32_e32 v67, v67, v73
	s_andn2_b64 exec, exec, s[6:7]
	s_cbranch_execnz .LBB31_25
; %bb.26:
	s_or_b64 exec, exec, s[6:7]
	v_mov_b32_e32 v68, 0
	ds_read_b64 v[68:69], v68 offset:24
	s_waitcnt lgkmcnt(0)
	v_mul_f32_e32 v71, v67, v69
	v_mul_f32_e32 v69, v72, v69
	v_fma_f32 v71, v72, v68, -v71
	v_fmac_f32_e32 v69, v67, v68
	buffer_store_dword v71, off, s[0:3], 0 offset:24
	buffer_store_dword v69, off, s[0:3], 0 offset:28
.LBB31_27:
	s_or_b64 exec, exec, s[4:5]
	s_waitcnt lgkmcnt(0)
	; wave barrier
	buffer_load_dword v68, off, s[0:3], 0 offset:32
	buffer_load_dword v69, off, s[0:3], 0 offset:36
	v_cmp_gt_u32_e32 vcc, 4, v0
	s_waitcnt vmcnt(0)
	ds_write_b64 v1, v[68:69]
	s_waitcnt lgkmcnt(0)
	; wave barrier
	s_waitcnt lgkmcnt(0)
	s_and_saveexec_b64 s[4:5], vcc
	s_cbranch_execz .LBB31_31
; %bb.28:
	v_add_u32_e32 v68, -1, v0
	v_add_u32_e32 v69, 0x100, v70
	v_add_u32_e32 v71, 0, v70
	s_mov_b64 s[6:7], 0
	v_mov_b32_e32 v67, 0
	v_mov_b32_e32 v72, 0
.LBB31_29:                              ; =>This Inner Loop Header: Depth=1
	buffer_load_dword v73, v71, s[0:3], 0 offen offset:4
	buffer_load_dword v76, v71, s[0:3], 0 offen
	ds_read_b64 v[74:75], v69
	v_add_u32_e32 v68, 1, v68
	v_cmp_lt_u32_e32 vcc, 2, v68
	v_add_u32_e32 v69, 8, v69
	v_add_u32_e32 v71, 8, v71
	s_or_b64 s[6:7], vcc, s[6:7]
	s_waitcnt vmcnt(1) lgkmcnt(0)
	v_mul_f32_e32 v77, v75, v73
	v_mul_f32_e32 v73, v74, v73
	s_waitcnt vmcnt(0)
	v_fma_f32 v74, v74, v76, -v77
	v_fmac_f32_e32 v73, v75, v76
	v_add_f32_e32 v72, v72, v74
	v_add_f32_e32 v67, v67, v73
	s_andn2_b64 exec, exec, s[6:7]
	s_cbranch_execnz .LBB31_29
; %bb.30:
	s_or_b64 exec, exec, s[6:7]
	v_mov_b32_e32 v68, 0
	ds_read_b64 v[68:69], v68 offset:32
	s_waitcnt lgkmcnt(0)
	v_mul_f32_e32 v71, v67, v69
	v_mul_f32_e32 v69, v72, v69
	v_fma_f32 v71, v72, v68, -v71
	v_fmac_f32_e32 v69, v67, v68
	buffer_store_dword v71, off, s[0:3], 0 offset:32
	buffer_store_dword v69, off, s[0:3], 0 offset:36
.LBB31_31:
	s_or_b64 exec, exec, s[4:5]
	s_waitcnt lgkmcnt(0)
	; wave barrier
	buffer_load_dword v68, off, s[0:3], 0 offset:40
	buffer_load_dword v69, off, s[0:3], 0 offset:44
	v_cmp_gt_u32_e32 vcc, 5, v0
	s_waitcnt vmcnt(0)
	ds_write_b64 v1, v[68:69]
	;; [unrolled: 51-line block ×19, first 2 shown]
	s_waitcnt lgkmcnt(0)
	; wave barrier
	s_waitcnt lgkmcnt(0)
	s_and_saveexec_b64 s[4:5], vcc
	s_cbranch_execz .LBB31_103
; %bb.100:
	v_add_u32_e32 v68, -1, v0
	v_add_u32_e32 v69, 0x100, v70
	v_add_u32_e32 v71, 0, v70
	s_mov_b64 s[6:7], 0
	v_mov_b32_e32 v67, 0
	v_mov_b32_e32 v72, 0
.LBB31_101:                             ; =>This Inner Loop Header: Depth=1
	buffer_load_dword v73, v71, s[0:3], 0 offen offset:4
	buffer_load_dword v76, v71, s[0:3], 0 offen
	ds_read_b64 v[74:75], v69
	v_add_u32_e32 v68, 1, v68
	v_cmp_lt_u32_e32 vcc, 20, v68
	v_add_u32_e32 v69, 8, v69
	v_add_u32_e32 v71, 8, v71
	s_or_b64 s[6:7], vcc, s[6:7]
	s_waitcnt vmcnt(1) lgkmcnt(0)
	v_mul_f32_e32 v77, v75, v73
	v_mul_f32_e32 v73, v74, v73
	s_waitcnt vmcnt(0)
	v_fma_f32 v74, v74, v76, -v77
	v_fmac_f32_e32 v73, v75, v76
	v_add_f32_e32 v72, v72, v74
	v_add_f32_e32 v67, v67, v73
	s_andn2_b64 exec, exec, s[6:7]
	s_cbranch_execnz .LBB31_101
; %bb.102:
	s_or_b64 exec, exec, s[6:7]
	v_mov_b32_e32 v68, 0
	ds_read_b64 v[68:69], v68 offset:176
	s_waitcnt lgkmcnt(0)
	v_mul_f32_e32 v71, v67, v69
	v_mul_f32_e32 v69, v72, v69
	v_fma_f32 v71, v72, v68, -v71
	v_fmac_f32_e32 v69, v67, v68
	buffer_store_dword v71, off, s[0:3], 0 offset:176
	buffer_store_dword v69, off, s[0:3], 0 offset:180
.LBB31_103:
	s_or_b64 exec, exec, s[4:5]
	s_waitcnt lgkmcnt(0)
	; wave barrier
	buffer_load_dword v68, off, s[0:3], 0 offset:184
	buffer_load_dword v69, off, s[0:3], 0 offset:188
	v_cmp_gt_u32_e32 vcc, 23, v0
	s_waitcnt vmcnt(0)
	ds_write_b64 v1, v[68:69]
	s_waitcnt lgkmcnt(0)
	; wave barrier
	s_waitcnt lgkmcnt(0)
	s_and_saveexec_b64 s[4:5], vcc
	s_cbranch_execz .LBB31_107
; %bb.104:
	v_add_u32_e32 v68, -1, v0
	v_add_u32_e32 v69, 0x100, v70
	v_add_u32_e32 v71, 0, v70
	s_mov_b64 s[6:7], 0
	v_mov_b32_e32 v67, 0
	v_mov_b32_e32 v72, 0
.LBB31_105:                             ; =>This Inner Loop Header: Depth=1
	buffer_load_dword v73, v71, s[0:3], 0 offen offset:4
	buffer_load_dword v76, v71, s[0:3], 0 offen
	ds_read_b64 v[74:75], v69
	v_add_u32_e32 v68, 1, v68
	v_cmp_lt_u32_e32 vcc, 21, v68
	v_add_u32_e32 v69, 8, v69
	v_add_u32_e32 v71, 8, v71
	s_or_b64 s[6:7], vcc, s[6:7]
	s_waitcnt vmcnt(1) lgkmcnt(0)
	v_mul_f32_e32 v77, v75, v73
	v_mul_f32_e32 v73, v74, v73
	s_waitcnt vmcnt(0)
	v_fma_f32 v74, v74, v76, -v77
	v_fmac_f32_e32 v73, v75, v76
	v_add_f32_e32 v72, v72, v74
	v_add_f32_e32 v67, v67, v73
	s_andn2_b64 exec, exec, s[6:7]
	s_cbranch_execnz .LBB31_105
; %bb.106:
	s_or_b64 exec, exec, s[6:7]
	v_mov_b32_e32 v68, 0
	ds_read_b64 v[68:69], v68 offset:184
	s_waitcnt lgkmcnt(0)
	v_mul_f32_e32 v71, v67, v69
	v_mul_f32_e32 v69, v72, v69
	v_fma_f32 v71, v72, v68, -v71
	v_fmac_f32_e32 v69, v67, v68
	buffer_store_dword v71, off, s[0:3], 0 offset:184
	buffer_store_dword v69, off, s[0:3], 0 offset:188
.LBB31_107:
	s_or_b64 exec, exec, s[4:5]
	s_waitcnt lgkmcnt(0)
	; wave barrier
	buffer_load_dword v68, off, s[0:3], 0 offset:192
	buffer_load_dword v69, off, s[0:3], 0 offset:196
	v_cmp_gt_u32_e32 vcc, 24, v0
	s_waitcnt vmcnt(0)
	ds_write_b64 v1, v[68:69]
	;; [unrolled: 51-line block ×8, first 2 shown]
	s_waitcnt lgkmcnt(0)
	; wave barrier
	s_waitcnt lgkmcnt(0)
	s_and_saveexec_b64 s[4:5], vcc
	s_cbranch_execz .LBB31_135
; %bb.132:
	v_add_u32_e32 v68, -1, v0
	v_add_u32_e32 v69, 0x100, v70
	v_add_u32_e32 v71, 0, v70
	s_mov_b64 s[6:7], 0
	v_mov_b32_e32 v67, 0
	v_mov_b32_e32 v72, 0
.LBB31_133:                             ; =>This Inner Loop Header: Depth=1
	buffer_load_dword v73, v71, s[0:3], 0 offen offset:4
	buffer_load_dword v76, v71, s[0:3], 0 offen
	ds_read_b64 v[74:75], v69
	v_add_u32_e32 v68, 1, v68
	v_cmp_lt_u32_e32 vcc, 28, v68
	v_add_u32_e32 v69, 8, v69
	v_add_u32_e32 v71, 8, v71
	s_or_b64 s[6:7], vcc, s[6:7]
	s_waitcnt vmcnt(1) lgkmcnt(0)
	v_mul_f32_e32 v77, v75, v73
	v_mul_f32_e32 v73, v74, v73
	s_waitcnt vmcnt(0)
	v_fma_f32 v74, v74, v76, -v77
	v_fmac_f32_e32 v73, v75, v76
	v_add_f32_e32 v72, v72, v74
	v_add_f32_e32 v67, v67, v73
	s_andn2_b64 exec, exec, s[6:7]
	s_cbranch_execnz .LBB31_133
; %bb.134:
	s_or_b64 exec, exec, s[6:7]
	v_mov_b32_e32 v68, 0
	ds_read_b64 v[68:69], v68 offset:240
	s_waitcnt lgkmcnt(0)
	v_mul_f32_e32 v71, v67, v69
	v_mul_f32_e32 v69, v72, v69
	v_fma_f32 v71, v72, v68, -v71
	v_fmac_f32_e32 v69, v67, v68
	buffer_store_dword v71, off, s[0:3], 0 offset:240
	buffer_store_dword v69, off, s[0:3], 0 offset:244
.LBB31_135:
	s_or_b64 exec, exec, s[4:5]
	s_waitcnt lgkmcnt(0)
	; wave barrier
	buffer_load_dword v68, off, s[0:3], 0 offset:248
	buffer_load_dword v69, off, s[0:3], 0 offset:252
	v_cmp_ne_u32_e32 vcc, 31, v0
	s_waitcnt vmcnt(0)
	ds_write_b64 v1, v[68:69]
	s_waitcnt lgkmcnt(0)
	; wave barrier
	s_waitcnt lgkmcnt(0)
	s_and_saveexec_b64 s[4:5], vcc
	s_cbranch_execz .LBB31_139
; %bb.136:
	v_add_u32_e32 v67, 0x100, v70
	v_add_u32_e32 v68, 0, v70
	s_mov_b64 s[6:7], 0
	v_mov_b32_e32 v1, 0
	v_mov_b32_e32 v69, 0
.LBB31_137:                             ; =>This Inner Loop Header: Depth=1
	buffer_load_dword v72, v68, s[0:3], 0 offen offset:4
	buffer_load_dword v73, v68, s[0:3], 0 offen
	ds_read_b64 v[70:71], v67
	v_add_u32_e32 v66, 1, v66
	v_cmp_lt_u32_e32 vcc, 29, v66
	v_add_u32_e32 v67, 8, v67
	v_add_u32_e32 v68, 8, v68
	s_or_b64 s[6:7], vcc, s[6:7]
	s_waitcnt vmcnt(1) lgkmcnt(0)
	v_mul_f32_e32 v74, v71, v72
	v_mul_f32_e32 v72, v70, v72
	s_waitcnt vmcnt(0)
	v_fma_f32 v70, v70, v73, -v74
	v_fmac_f32_e32 v72, v71, v73
	v_add_f32_e32 v69, v69, v70
	v_add_f32_e32 v1, v1, v72
	s_andn2_b64 exec, exec, s[6:7]
	s_cbranch_execnz .LBB31_137
; %bb.138:
	s_or_b64 exec, exec, s[6:7]
	v_mov_b32_e32 v66, 0
	ds_read_b64 v[66:67], v66 offset:248
	s_waitcnt lgkmcnt(0)
	v_mul_f32_e32 v68, v1, v67
	v_mul_f32_e32 v67, v69, v67
	v_fma_f32 v68, v69, v66, -v68
	v_fmac_f32_e32 v67, v1, v66
	buffer_store_dword v68, off, s[0:3], 0 offset:248
	buffer_store_dword v67, off, s[0:3], 0 offset:252
.LBB31_139:
	s_or_b64 exec, exec, s[4:5]
	s_mov_b64 s[6:7], -1
	s_waitcnt lgkmcnt(0)
	; wave barrier
.LBB31_140:
	s_and_b64 vcc, exec, s[6:7]
	s_cbranch_vccz .LBB31_142
; %bb.141:
	s_lshl_b64 s[4:5], s[8:9], 2
	s_add_u32 s4, s14, s4
	s_addc_u32 s5, s15, s5
	v_mov_b32_e32 v1, 0
	global_load_dword v1, v1, s[4:5]
	s_waitcnt vmcnt(0)
	v_cmp_ne_u32_e32 vcc, 0, v1
	s_cbranch_vccz .LBB31_143
.LBB31_142:
	s_endpgm
.LBB31_143:
	v_mov_b32_e32 v1, 0x100
	v_lshl_add_u32 v1, v0, 3, v1
	v_cmp_eq_u32_e32 vcc, 31, v0
	s_and_saveexec_b64 s[4:5], vcc
	s_cbranch_execz .LBB31_145
; %bb.144:
	buffer_load_dword v66, off, s[0:3], 0 offset:240
	buffer_load_dword v67, off, s[0:3], 0 offset:244
	v_mov_b32_e32 v68, 0
	buffer_store_dword v68, off, s[0:3], 0 offset:240
	buffer_store_dword v68, off, s[0:3], 0 offset:244
	s_waitcnt vmcnt(2)
	ds_write_b64 v1, v[66:67]
.LBB31_145:
	s_or_b64 exec, exec, s[4:5]
	s_waitcnt lgkmcnt(0)
	; wave barrier
	s_waitcnt lgkmcnt(0)
	buffer_load_dword v69, off, s[0:3], 0 offset:252
	buffer_load_dword v68, off, s[0:3], 0 offset:248
	buffer_load_dword v70, off, s[0:3], 0 offset:240
	buffer_load_dword v71, off, s[0:3], 0 offset:244
	v_mov_b32_e32 v66, 0
	ds_read_b64 v[72:73], v66 offset:504
	v_cmp_lt_u32_e32 vcc, 29, v0
	s_waitcnt vmcnt(3)
	v_mov_b32_e32 v74, v69
	s_waitcnt lgkmcnt(0)
	v_pk_mul_f32 v[74:75], v[72:73], v[74:75] op_sel_hi:[1,0]
	s_waitcnt vmcnt(2)
	v_pk_fma_f32 v[76:77], v[72:73], v[68:69], v[74:75] op_sel:[0,0,1] op_sel_hi:[1,1,0] neg_lo:[0,0,1] neg_hi:[0,0,1]
	v_pk_fma_f32 v[68:69], v[72:73], v[68:69], v[74:75] op_sel:[0,0,1] op_sel_hi:[1,0,0]
	v_mov_b32_e32 v77, v69
	v_pk_add_f32 v[68:69], v[76:77], 0 op_sel_hi:[1,0]
	s_waitcnt vmcnt(0)
	v_pk_add_f32 v[68:69], v[70:71], v[68:69] neg_lo:[0,1] neg_hi:[0,1]
	buffer_store_dword v68, off, s[0:3], 0 offset:240
	buffer_store_dword v69, off, s[0:3], 0 offset:244
	s_and_saveexec_b64 s[4:5], vcc
	s_cbranch_execz .LBB31_147
; %bb.146:
	buffer_load_dword v68, off, s[0:3], 0 offset:232
	buffer_load_dword v69, off, s[0:3], 0 offset:236
	s_waitcnt vmcnt(0)
	ds_write_b64 v1, v[68:69]
	buffer_store_dword v66, off, s[0:3], 0 offset:232
	buffer_store_dword v66, off, s[0:3], 0 offset:236
.LBB31_147:
	s_or_b64 exec, exec, s[4:5]
	s_waitcnt lgkmcnt(0)
	; wave barrier
	s_waitcnt lgkmcnt(0)
	buffer_load_dword v71, off, s[0:3], 0 offset:244
	buffer_load_dword v73, off, s[0:3], 0 offset:252
	;; [unrolled: 1-line block ×6, first 2 shown]
	ds_read_b128 v[66:69], v66 offset:496
	v_cmp_lt_u32_e32 vcc, 28, v0
	s_waitcnt vmcnt(5)
	v_mov_b32_e32 v76, v71
	s_waitcnt vmcnt(4)
	v_mov_b32_e32 v78, v73
	s_waitcnt lgkmcnt(0)
	v_pk_mul_f32 v[76:77], v[66:67], v[76:77] op_sel_hi:[1,0]
	v_pk_mul_f32 v[78:79], v[68:69], v[78:79] op_sel_hi:[1,0]
	s_waitcnt vmcnt(3)
	v_pk_fma_f32 v[80:81], v[66:67], v[70:71], v[76:77] op_sel:[0,0,1] op_sel_hi:[1,1,0] neg_lo:[0,0,1] neg_hi:[0,0,1]
	v_pk_fma_f32 v[66:67], v[66:67], v[70:71], v[76:77] op_sel:[0,0,1] op_sel_hi:[1,0,0]
	s_waitcnt vmcnt(2)
	v_pk_fma_f32 v[70:71], v[68:69], v[72:73], v[78:79] op_sel:[0,0,1] op_sel_hi:[1,1,0] neg_lo:[0,0,1] neg_hi:[0,0,1]
	v_pk_fma_f32 v[68:69], v[68:69], v[72:73], v[78:79] op_sel:[0,0,1] op_sel_hi:[1,0,0]
	v_mov_b32_e32 v81, v67
	v_mov_b32_e32 v71, v69
	v_pk_add_f32 v[66:67], v[80:81], 0 op_sel_hi:[1,0]
	v_pk_add_f32 v[66:67], v[66:67], v[70:71]
	s_waitcnt vmcnt(0)
	v_pk_add_f32 v[66:67], v[74:75], v[66:67] neg_lo:[0,1] neg_hi:[0,1]
	buffer_store_dword v66, off, s[0:3], 0 offset:232
	buffer_store_dword v67, off, s[0:3], 0 offset:236
	s_and_saveexec_b64 s[4:5], vcc
	s_cbranch_execz .LBB31_149
; %bb.148:
	buffer_load_dword v66, off, s[0:3], 0 offset:224
	buffer_load_dword v67, off, s[0:3], 0 offset:228
	v_mov_b32_e32 v68, 0
	buffer_store_dword v68, off, s[0:3], 0 offset:224
	buffer_store_dword v68, off, s[0:3], 0 offset:228
	s_waitcnt vmcnt(2)
	ds_write_b64 v1, v[66:67]
.LBB31_149:
	s_or_b64 exec, exec, s[4:5]
	s_waitcnt lgkmcnt(0)
	; wave barrier
	s_waitcnt lgkmcnt(0)
	buffer_load_dword v73, off, s[0:3], 0 offset:236
	buffer_load_dword v75, off, s[0:3], 0 offset:244
	;; [unrolled: 1-line block ×8, first 2 shown]
	v_mov_b32_e32 v66, 0
	ds_read2_b64 v[68:71], v66 offset0:61 offset1:62
	ds_read_b64 v[80:81], v66 offset:504
	v_cmp_lt_u32_e32 vcc, 27, v0
	s_waitcnt vmcnt(7)
	v_mov_b32_e32 v82, v73
	s_waitcnt vmcnt(6)
	v_mov_b32_e32 v84, v75
	s_waitcnt lgkmcnt(1)
	v_pk_mul_f32 v[82:83], v[68:69], v[82:83] op_sel_hi:[1,0]
	s_waitcnt vmcnt(5)
	v_mov_b32_e32 v86, v77
	v_pk_mul_f32 v[84:85], v[70:71], v[84:85] op_sel_hi:[1,0]
	s_waitcnt vmcnt(4)
	v_pk_fma_f32 v[88:89], v[68:69], v[72:73], v[82:83] op_sel:[0,0,1] op_sel_hi:[1,1,0] neg_lo:[0,0,1] neg_hi:[0,0,1]
	v_pk_fma_f32 v[68:69], v[68:69], v[72:73], v[82:83] op_sel:[0,0,1] op_sel_hi:[1,0,0]
	s_waitcnt lgkmcnt(0)
	v_pk_mul_f32 v[86:87], v[80:81], v[86:87] op_sel_hi:[1,0]
	s_waitcnt vmcnt(3)
	v_pk_fma_f32 v[72:73], v[70:71], v[74:75], v[84:85] op_sel:[0,0,1] op_sel_hi:[1,1,0] neg_lo:[0,0,1] neg_hi:[0,0,1]
	v_pk_fma_f32 v[70:71], v[70:71], v[74:75], v[84:85] op_sel:[0,0,1] op_sel_hi:[1,0,0]
	v_mov_b32_e32 v89, v69
	s_waitcnt vmcnt(2)
	v_pk_fma_f32 v[74:75], v[80:81], v[76:77], v[86:87] op_sel:[0,0,1] op_sel_hi:[1,1,0] neg_lo:[0,0,1] neg_hi:[0,0,1]
	v_pk_fma_f32 v[76:77], v[80:81], v[76:77], v[86:87] op_sel:[0,0,1] op_sel_hi:[1,0,0]
	v_mov_b32_e32 v73, v71
	v_pk_add_f32 v[68:69], v[88:89], 0 op_sel_hi:[1,0]
	v_mov_b32_e32 v75, v77
	v_pk_add_f32 v[68:69], v[68:69], v[72:73]
	v_pk_add_f32 v[68:69], v[68:69], v[74:75]
	s_waitcnt vmcnt(0)
	v_pk_add_f32 v[68:69], v[78:79], v[68:69] neg_lo:[0,1] neg_hi:[0,1]
	buffer_store_dword v68, off, s[0:3], 0 offset:224
	buffer_store_dword v69, off, s[0:3], 0 offset:228
	s_and_saveexec_b64 s[4:5], vcc
	s_cbranch_execz .LBB31_151
; %bb.150:
	buffer_load_dword v68, off, s[0:3], 0 offset:216
	buffer_load_dword v69, off, s[0:3], 0 offset:220
	s_waitcnt vmcnt(0)
	ds_write_b64 v1, v[68:69]
	buffer_store_dword v66, off, s[0:3], 0 offset:216
	buffer_store_dword v66, off, s[0:3], 0 offset:220
.LBB31_151:
	s_or_b64 exec, exec, s[4:5]
	s_waitcnt lgkmcnt(0)
	; wave barrier
	s_waitcnt lgkmcnt(0)
	buffer_load_dword v77, off, s[0:3], 0 offset:228
	buffer_load_dword v79, off, s[0:3], 0 offset:236
	buffer_load_dword v81, off, s[0:3], 0 offset:244
	buffer_load_dword v83, off, s[0:3], 0 offset:252
	buffer_load_dword v76, off, s[0:3], 0 offset:224
	buffer_load_dword v78, off, s[0:3], 0 offset:232
	buffer_load_dword v80, off, s[0:3], 0 offset:240
	buffer_load_dword v82, off, s[0:3], 0 offset:248
	buffer_load_dword v84, off, s[0:3], 0 offset:216
	buffer_load_dword v85, off, s[0:3], 0 offset:220
	ds_read_b128 v[68:71], v66 offset:480
	ds_read_b128 v[72:75], v66 offset:496
	v_cmp_lt_u32_e32 vcc, 26, v0
	s_waitcnt vmcnt(9)
	v_mov_b32_e32 v66, v77
	s_waitcnt vmcnt(8)
	v_mov_b32_e32 v86, v79
	s_waitcnt lgkmcnt(1)
	v_pk_mul_f32 v[66:67], v[68:69], v[66:67] op_sel_hi:[1,0]
	s_waitcnt vmcnt(7)
	v_mov_b32_e32 v88, v81
	v_pk_mul_f32 v[86:87], v[70:71], v[86:87] op_sel_hi:[1,0]
	s_waitcnt vmcnt(5)
	v_pk_fma_f32 v[92:93], v[68:69], v[76:77], v[66:67] op_sel:[0,0,1] op_sel_hi:[1,1,0] neg_lo:[0,0,1] neg_hi:[0,0,1]
	v_pk_fma_f32 v[66:67], v[68:69], v[76:77], v[66:67] op_sel:[0,0,1] op_sel_hi:[1,0,0]
	v_mov_b32_e32 v90, v83
	s_waitcnt lgkmcnt(0)
	v_pk_mul_f32 v[88:89], v[72:73], v[88:89] op_sel_hi:[1,0]
	s_waitcnt vmcnt(4)
	v_pk_fma_f32 v[68:69], v[70:71], v[78:79], v[86:87] op_sel:[0,0,1] op_sel_hi:[1,1,0] neg_lo:[0,0,1] neg_hi:[0,0,1]
	v_pk_fma_f32 v[70:71], v[70:71], v[78:79], v[86:87] op_sel:[0,0,1] op_sel_hi:[1,0,0]
	v_mov_b32_e32 v93, v67
	v_pk_mul_f32 v[90:91], v[74:75], v[90:91] op_sel_hi:[1,0]
	s_waitcnt vmcnt(3)
	v_pk_fma_f32 v[76:77], v[72:73], v[80:81], v[88:89] op_sel:[0,0,1] op_sel_hi:[1,1,0] neg_lo:[0,0,1] neg_hi:[0,0,1]
	v_pk_fma_f32 v[72:73], v[72:73], v[80:81], v[88:89] op_sel:[0,0,1] op_sel_hi:[1,0,0]
	v_mov_b32_e32 v69, v71
	v_pk_add_f32 v[66:67], v[92:93], 0 op_sel_hi:[1,0]
	s_waitcnt vmcnt(2)
	v_pk_fma_f32 v[78:79], v[74:75], v[82:83], v[90:91] op_sel:[0,0,1] op_sel_hi:[1,1,0] neg_lo:[0,0,1] neg_hi:[0,0,1]
	v_pk_fma_f32 v[74:75], v[74:75], v[82:83], v[90:91] op_sel:[0,0,1] op_sel_hi:[1,0,0]
	v_mov_b32_e32 v77, v73
	v_pk_add_f32 v[66:67], v[66:67], v[68:69]
	v_mov_b32_e32 v79, v75
	v_pk_add_f32 v[66:67], v[66:67], v[76:77]
	v_pk_add_f32 v[66:67], v[66:67], v[78:79]
	s_waitcnt vmcnt(0)
	v_pk_add_f32 v[66:67], v[84:85], v[66:67] neg_lo:[0,1] neg_hi:[0,1]
	buffer_store_dword v66, off, s[0:3], 0 offset:216
	buffer_store_dword v67, off, s[0:3], 0 offset:220
	s_and_saveexec_b64 s[4:5], vcc
	s_cbranch_execz .LBB31_153
; %bb.152:
	buffer_load_dword v66, off, s[0:3], 0 offset:208
	buffer_load_dword v67, off, s[0:3], 0 offset:212
	v_mov_b32_e32 v68, 0
	buffer_store_dword v68, off, s[0:3], 0 offset:208
	buffer_store_dword v68, off, s[0:3], 0 offset:212
	s_waitcnt vmcnt(2)
	ds_write_b64 v1, v[66:67]
.LBB31_153:
	s_or_b64 exec, exec, s[4:5]
	s_waitcnt lgkmcnt(0)
	; wave barrier
	s_waitcnt lgkmcnt(0)
	buffer_load_dword v77, off, s[0:3], 0 offset:220
	buffer_load_dword v79, off, s[0:3], 0 offset:228
	;; [unrolled: 1-line block ×12, first 2 shown]
	v_mov_b32_e32 v66, 0
	ds_read2_b64 v[68:71], v66 offset0:59 offset1:60
	ds_read2_b64 v[72:75], v66 offset0:61 offset1:62
	ds_read_b64 v[88:89], v66 offset:504
	v_cmp_lt_u32_e32 vcc, 25, v0
	s_waitcnt vmcnt(11)
	v_mov_b32_e32 v90, v77
	s_waitcnt vmcnt(10)
	v_mov_b32_e32 v92, v79
	s_waitcnt lgkmcnt(2)
	v_pk_mul_f32 v[90:91], v[68:69], v[90:91] op_sel_hi:[1,0]
	s_waitcnt vmcnt(9)
	v_mov_b32_e32 v94, v81
	v_pk_mul_f32 v[92:93], v[70:71], v[92:93] op_sel_hi:[1,0]
	s_waitcnt vmcnt(6)
	v_pk_fma_f32 v[100:101], v[68:69], v[76:77], v[90:91] op_sel:[0,0,1] op_sel_hi:[1,1,0] neg_lo:[0,0,1] neg_hi:[0,0,1]
	v_pk_fma_f32 v[68:69], v[68:69], v[76:77], v[90:91] op_sel:[0,0,1] op_sel_hi:[1,0,0]
	v_mov_b32_e32 v96, v83
	s_waitcnt lgkmcnt(1)
	v_pk_mul_f32 v[94:95], v[72:73], v[94:95] op_sel_hi:[1,0]
	s_waitcnt vmcnt(5)
	v_pk_fma_f32 v[76:77], v[70:71], v[78:79], v[92:93] op_sel:[0,0,1] op_sel_hi:[1,1,0] neg_lo:[0,0,1] neg_hi:[0,0,1]
	v_pk_fma_f32 v[70:71], v[70:71], v[78:79], v[92:93] op_sel:[0,0,1] op_sel_hi:[1,0,0]
	v_mov_b32_e32 v101, v69
	v_mov_b32_e32 v98, v85
	v_pk_mul_f32 v[96:97], v[74:75], v[96:97] op_sel_hi:[1,0]
	s_waitcnt vmcnt(4)
	v_pk_fma_f32 v[78:79], v[72:73], v[80:81], v[94:95] op_sel:[0,0,1] op_sel_hi:[1,1,0] neg_lo:[0,0,1] neg_hi:[0,0,1]
	v_pk_fma_f32 v[72:73], v[72:73], v[80:81], v[94:95] op_sel:[0,0,1] op_sel_hi:[1,0,0]
	v_mov_b32_e32 v77, v71
	v_pk_add_f32 v[68:69], v[100:101], 0 op_sel_hi:[1,0]
	s_waitcnt lgkmcnt(0)
	v_pk_mul_f32 v[98:99], v[88:89], v[98:99] op_sel_hi:[1,0]
	s_waitcnt vmcnt(3)
	v_pk_fma_f32 v[80:81], v[74:75], v[82:83], v[96:97] op_sel:[0,0,1] op_sel_hi:[1,1,0] neg_lo:[0,0,1] neg_hi:[0,0,1]
	v_pk_fma_f32 v[74:75], v[74:75], v[82:83], v[96:97] op_sel:[0,0,1] op_sel_hi:[1,0,0]
	v_mov_b32_e32 v79, v73
	v_pk_add_f32 v[68:69], v[68:69], v[76:77]
	s_waitcnt vmcnt(2)
	v_pk_fma_f32 v[82:83], v[88:89], v[84:85], v[98:99] op_sel:[0,0,1] op_sel_hi:[1,1,0] neg_lo:[0,0,1] neg_hi:[0,0,1]
	v_pk_fma_f32 v[84:85], v[88:89], v[84:85], v[98:99] op_sel:[0,0,1] op_sel_hi:[1,0,0]
	v_mov_b32_e32 v81, v75
	v_pk_add_f32 v[68:69], v[68:69], v[78:79]
	v_mov_b32_e32 v83, v85
	v_pk_add_f32 v[68:69], v[68:69], v[80:81]
	v_pk_add_f32 v[68:69], v[68:69], v[82:83]
	s_waitcnt vmcnt(0)
	v_pk_add_f32 v[68:69], v[86:87], v[68:69] neg_lo:[0,1] neg_hi:[0,1]
	buffer_store_dword v68, off, s[0:3], 0 offset:208
	buffer_store_dword v69, off, s[0:3], 0 offset:212
	s_and_saveexec_b64 s[4:5], vcc
	s_cbranch_execz .LBB31_155
; %bb.154:
	buffer_load_dword v68, off, s[0:3], 0 offset:200
	buffer_load_dword v69, off, s[0:3], 0 offset:204
	s_waitcnt vmcnt(0)
	ds_write_b64 v1, v[68:69]
	buffer_store_dword v66, off, s[0:3], 0 offset:200
	buffer_store_dword v66, off, s[0:3], 0 offset:204
.LBB31_155:
	s_or_b64 exec, exec, s[4:5]
	s_waitcnt lgkmcnt(0)
	; wave barrier
	s_waitcnt lgkmcnt(0)
	buffer_load_dword v81, off, s[0:3], 0 offset:212
	buffer_load_dword v83, off, s[0:3], 0 offset:220
	;; [unrolled: 1-line block ×14, first 2 shown]
	ds_read_b128 v[68:71], v66 offset:464
	ds_read_b128 v[72:75], v66 offset:480
	;; [unrolled: 1-line block ×3, first 2 shown]
	v_cmp_lt_u32_e32 vcc, 24, v0
	s_waitcnt vmcnt(13)
	v_mov_b32_e32 v66, v81
	s_waitcnt vmcnt(12)
	v_mov_b32_e32 v94, v83
	s_waitcnt lgkmcnt(2)
	v_pk_mul_f32 v[66:67], v[68:69], v[66:67] op_sel_hi:[1,0]
	s_waitcnt vmcnt(11)
	v_mov_b32_e32 v96, v85
	v_pk_mul_f32 v[94:95], v[70:71], v[94:95] op_sel_hi:[1,0]
	s_waitcnt vmcnt(10)
	v_mov_b32_e32 v98, v87
	s_waitcnt vmcnt(7)
	v_pk_fma_f32 v[104:105], v[68:69], v[80:81], v[66:67] op_sel:[0,0,1] op_sel_hi:[1,1,0] neg_lo:[0,0,1] neg_hi:[0,0,1]
	v_pk_fma_f32 v[66:67], v[68:69], v[80:81], v[66:67] op_sel:[0,0,1] op_sel_hi:[1,0,0]
	s_waitcnt lgkmcnt(1)
	v_pk_mul_f32 v[96:97], v[72:73], v[96:97] op_sel_hi:[1,0]
	s_waitcnt vmcnt(6)
	v_pk_fma_f32 v[68:69], v[70:71], v[82:83], v[94:95] op_sel:[0,0,1] op_sel_hi:[1,1,0] neg_lo:[0,0,1] neg_hi:[0,0,1]
	v_pk_fma_f32 v[70:71], v[70:71], v[82:83], v[94:95] op_sel:[0,0,1] op_sel_hi:[1,0,0]
	v_mov_b32_e32 v105, v67
	v_mov_b32_e32 v100, v89
	v_pk_mul_f32 v[98:99], v[74:75], v[98:99] op_sel_hi:[1,0]
	s_waitcnt vmcnt(5)
	v_pk_fma_f32 v[80:81], v[72:73], v[84:85], v[96:97] op_sel:[0,0,1] op_sel_hi:[1,1,0] neg_lo:[0,0,1] neg_hi:[0,0,1]
	v_pk_fma_f32 v[72:73], v[72:73], v[84:85], v[96:97] op_sel:[0,0,1] op_sel_hi:[1,0,0]
	v_mov_b32_e32 v69, v71
	v_pk_add_f32 v[66:67], v[104:105], 0 op_sel_hi:[1,0]
	v_mov_b32_e32 v102, v91
	s_waitcnt lgkmcnt(0)
	v_pk_mul_f32 v[100:101], v[76:77], v[100:101] op_sel_hi:[1,0]
	s_waitcnt vmcnt(4)
	v_pk_fma_f32 v[82:83], v[74:75], v[86:87], v[98:99] op_sel:[0,0,1] op_sel_hi:[1,1,0] neg_lo:[0,0,1] neg_hi:[0,0,1]
	v_pk_fma_f32 v[74:75], v[74:75], v[86:87], v[98:99] op_sel:[0,0,1] op_sel_hi:[1,0,0]
	v_mov_b32_e32 v81, v73
	v_pk_add_f32 v[66:67], v[66:67], v[68:69]
	v_pk_mul_f32 v[102:103], v[78:79], v[102:103] op_sel_hi:[1,0]
	s_waitcnt vmcnt(3)
	v_pk_fma_f32 v[84:85], v[76:77], v[88:89], v[100:101] op_sel:[0,0,1] op_sel_hi:[1,1,0] neg_lo:[0,0,1] neg_hi:[0,0,1]
	v_pk_fma_f32 v[76:77], v[76:77], v[88:89], v[100:101] op_sel:[0,0,1] op_sel_hi:[1,0,0]
	v_mov_b32_e32 v83, v75
	v_pk_add_f32 v[66:67], v[66:67], v[80:81]
	s_waitcnt vmcnt(2)
	v_pk_fma_f32 v[86:87], v[78:79], v[90:91], v[102:103] op_sel:[0,0,1] op_sel_hi:[1,1,0] neg_lo:[0,0,1] neg_hi:[0,0,1]
	v_pk_fma_f32 v[78:79], v[78:79], v[90:91], v[102:103] op_sel:[0,0,1] op_sel_hi:[1,0,0]
	v_mov_b32_e32 v85, v77
	v_pk_add_f32 v[66:67], v[66:67], v[82:83]
	v_mov_b32_e32 v87, v79
	v_pk_add_f32 v[66:67], v[66:67], v[84:85]
	v_pk_add_f32 v[66:67], v[66:67], v[86:87]
	s_waitcnt vmcnt(0)
	v_pk_add_f32 v[66:67], v[92:93], v[66:67] neg_lo:[0,1] neg_hi:[0,1]
	buffer_store_dword v66, off, s[0:3], 0 offset:200
	buffer_store_dword v67, off, s[0:3], 0 offset:204
	s_and_saveexec_b64 s[4:5], vcc
	s_cbranch_execz .LBB31_157
; %bb.156:
	buffer_load_dword v66, off, s[0:3], 0 offset:192
	buffer_load_dword v67, off, s[0:3], 0 offset:196
	v_mov_b32_e32 v68, 0
	buffer_store_dword v68, off, s[0:3], 0 offset:192
	buffer_store_dword v68, off, s[0:3], 0 offset:196
	s_waitcnt vmcnt(2)
	ds_write_b64 v1, v[66:67]
.LBB31_157:
	s_or_b64 exec, exec, s[4:5]
	s_waitcnt lgkmcnt(0)
	; wave barrier
	s_waitcnt lgkmcnt(0)
	buffer_load_dword v81, off, s[0:3], 0 offset:204
	buffer_load_dword v83, off, s[0:3], 0 offset:212
	;; [unrolled: 1-line block ×16, first 2 shown]
	v_mov_b32_e32 v66, 0
	ds_read2_b64 v[68:71], v66 offset0:57 offset1:58
	ds_read2_b64 v[72:75], v66 offset0:59 offset1:60
	;; [unrolled: 1-line block ×3, first 2 shown]
	ds_read_b64 v[96:97], v66 offset:504
	v_cmp_lt_u32_e32 vcc, 23, v0
	s_waitcnt vmcnt(15)
	v_mov_b32_e32 v98, v81
	s_waitcnt vmcnt(14)
	v_mov_b32_e32 v100, v83
	s_waitcnt lgkmcnt(3)
	v_pk_mul_f32 v[98:99], v[68:69], v[98:99] op_sel_hi:[1,0]
	s_waitcnt vmcnt(13)
	v_mov_b32_e32 v102, v85
	v_pk_mul_f32 v[100:101], v[70:71], v[100:101] op_sel_hi:[1,0]
	s_waitcnt vmcnt(12)
	v_mov_b32_e32 v104, v87
	s_waitcnt lgkmcnt(2)
	v_pk_mul_f32 v[102:103], v[72:73], v[102:103] op_sel_hi:[1,0]
	s_waitcnt vmcnt(8)
	v_pk_fma_f32 v[112:113], v[68:69], v[80:81], v[98:99] op_sel:[0,0,1] op_sel_hi:[1,1,0] neg_lo:[0,0,1] neg_hi:[0,0,1]
	v_pk_fma_f32 v[68:69], v[68:69], v[80:81], v[98:99] op_sel:[0,0,1] op_sel_hi:[1,0,0]
	s_waitcnt vmcnt(7)
	v_pk_fma_f32 v[80:81], v[70:71], v[82:83], v[100:101] op_sel:[0,0,1] op_sel_hi:[1,1,0] neg_lo:[0,0,1] neg_hi:[0,0,1]
	v_pk_fma_f32 v[70:71], v[70:71], v[82:83], v[100:101] op_sel:[0,0,1] op_sel_hi:[1,0,0]
	v_mov_b32_e32 v113, v69
	v_mov_b32_e32 v106, v89
	v_pk_mul_f32 v[104:105], v[74:75], v[104:105] op_sel_hi:[1,0]
	s_waitcnt vmcnt(6)
	v_pk_fma_f32 v[82:83], v[72:73], v[84:85], v[102:103] op_sel:[0,0,1] op_sel_hi:[1,1,0] neg_lo:[0,0,1] neg_hi:[0,0,1]
	v_pk_fma_f32 v[72:73], v[72:73], v[84:85], v[102:103] op_sel:[0,0,1] op_sel_hi:[1,0,0]
	v_mov_b32_e32 v81, v71
	v_pk_add_f32 v[68:69], v[112:113], 0 op_sel_hi:[1,0]
	v_mov_b32_e32 v108, v91
	s_waitcnt lgkmcnt(1)
	v_pk_mul_f32 v[106:107], v[76:77], v[106:107] op_sel_hi:[1,0]
	s_waitcnt vmcnt(5)
	v_pk_fma_f32 v[84:85], v[74:75], v[86:87], v[104:105] op_sel:[0,0,1] op_sel_hi:[1,1,0] neg_lo:[0,0,1] neg_hi:[0,0,1]
	v_pk_fma_f32 v[74:75], v[74:75], v[86:87], v[104:105] op_sel:[0,0,1] op_sel_hi:[1,0,0]
	v_mov_b32_e32 v83, v73
	v_pk_add_f32 v[68:69], v[68:69], v[80:81]
	v_mov_b32_e32 v110, v93
	v_pk_mul_f32 v[108:109], v[78:79], v[108:109] op_sel_hi:[1,0]
	s_waitcnt vmcnt(4)
	v_pk_fma_f32 v[86:87], v[76:77], v[88:89], v[106:107] op_sel:[0,0,1] op_sel_hi:[1,1,0] neg_lo:[0,0,1] neg_hi:[0,0,1]
	v_pk_fma_f32 v[76:77], v[76:77], v[88:89], v[106:107] op_sel:[0,0,1] op_sel_hi:[1,0,0]
	v_mov_b32_e32 v85, v75
	v_pk_add_f32 v[68:69], v[68:69], v[82:83]
	s_waitcnt lgkmcnt(0)
	v_pk_mul_f32 v[110:111], v[96:97], v[110:111] op_sel_hi:[1,0]
	s_waitcnt vmcnt(3)
	v_pk_fma_f32 v[88:89], v[78:79], v[90:91], v[108:109] op_sel:[0,0,1] op_sel_hi:[1,1,0] neg_lo:[0,0,1] neg_hi:[0,0,1]
	v_pk_fma_f32 v[78:79], v[78:79], v[90:91], v[108:109] op_sel:[0,0,1] op_sel_hi:[1,0,0]
	v_mov_b32_e32 v87, v77
	v_pk_add_f32 v[68:69], v[68:69], v[84:85]
	s_waitcnt vmcnt(2)
	v_pk_fma_f32 v[90:91], v[96:97], v[92:93], v[110:111] op_sel:[0,0,1] op_sel_hi:[1,1,0] neg_lo:[0,0,1] neg_hi:[0,0,1]
	v_pk_fma_f32 v[92:93], v[96:97], v[92:93], v[110:111] op_sel:[0,0,1] op_sel_hi:[1,0,0]
	v_mov_b32_e32 v89, v79
	v_pk_add_f32 v[68:69], v[68:69], v[86:87]
	v_mov_b32_e32 v91, v93
	v_pk_add_f32 v[68:69], v[68:69], v[88:89]
	v_pk_add_f32 v[68:69], v[68:69], v[90:91]
	s_waitcnt vmcnt(0)
	v_pk_add_f32 v[68:69], v[94:95], v[68:69] neg_lo:[0,1] neg_hi:[0,1]
	buffer_store_dword v68, off, s[0:3], 0 offset:192
	buffer_store_dword v69, off, s[0:3], 0 offset:196
	s_and_saveexec_b64 s[4:5], vcc
	s_cbranch_execz .LBB31_159
; %bb.158:
	buffer_load_dword v68, off, s[0:3], 0 offset:184
	buffer_load_dword v69, off, s[0:3], 0 offset:188
	s_waitcnt vmcnt(0)
	ds_write_b64 v1, v[68:69]
	buffer_store_dword v66, off, s[0:3], 0 offset:184
	buffer_store_dword v66, off, s[0:3], 0 offset:188
.LBB31_159:
	s_or_b64 exec, exec, s[4:5]
	s_waitcnt lgkmcnt(0)
	; wave barrier
	s_waitcnt lgkmcnt(0)
	buffer_load_dword v85, off, s[0:3], 0 offset:196
	buffer_load_dword v87, off, s[0:3], 0 offset:204
	;; [unrolled: 1-line block ×18, first 2 shown]
	ds_read_b128 v[68:71], v66 offset:448
	ds_read_b128 v[72:75], v66 offset:464
	;; [unrolled: 1-line block ×4, first 2 shown]
	v_cmp_lt_u32_e32 vcc, 22, v0
	s_waitcnt vmcnt(17)
	v_mov_b32_e32 v66, v85
	s_waitcnt vmcnt(16)
	v_mov_b32_e32 v102, v87
	s_waitcnt lgkmcnt(3)
	v_pk_mul_f32 v[66:67], v[68:69], v[66:67] op_sel_hi:[1,0]
	s_waitcnt vmcnt(15)
	v_mov_b32_e32 v104, v89
	v_pk_mul_f32 v[102:103], v[70:71], v[102:103] op_sel_hi:[1,0]
	s_waitcnt vmcnt(14)
	v_mov_b32_e32 v106, v91
	s_waitcnt lgkmcnt(2)
	v_pk_mul_f32 v[104:105], v[72:73], v[104:105] op_sel_hi:[1,0]
	s_waitcnt vmcnt(13)
	v_mov_b32_e32 v108, v93
	s_waitcnt vmcnt(9)
	v_pk_fma_f32 v[116:117], v[68:69], v[84:85], v[66:67] op_sel:[0,0,1] op_sel_hi:[1,1,0] neg_lo:[0,0,1] neg_hi:[0,0,1]
	v_pk_fma_f32 v[66:67], v[68:69], v[84:85], v[66:67] op_sel:[0,0,1] op_sel_hi:[1,0,0]
	s_waitcnt vmcnt(8)
	v_pk_fma_f32 v[68:69], v[70:71], v[86:87], v[102:103] op_sel:[0,0,1] op_sel_hi:[1,1,0] neg_lo:[0,0,1] neg_hi:[0,0,1]
	v_pk_fma_f32 v[70:71], v[70:71], v[86:87], v[102:103] op_sel:[0,0,1] op_sel_hi:[1,0,0]
	v_mov_b32_e32 v117, v67
	v_pk_mul_f32 v[106:107], v[74:75], v[106:107] op_sel_hi:[1,0]
	s_waitcnt vmcnt(7)
	v_pk_fma_f32 v[84:85], v[72:73], v[88:89], v[104:105] op_sel:[0,0,1] op_sel_hi:[1,1,0] neg_lo:[0,0,1] neg_hi:[0,0,1]
	v_pk_fma_f32 v[72:73], v[72:73], v[88:89], v[104:105] op_sel:[0,0,1] op_sel_hi:[1,0,0]
	v_mov_b32_e32 v69, v71
	v_pk_add_f32 v[66:67], v[116:117], 0 op_sel_hi:[1,0]
	v_mov_b32_e32 v110, v95
	s_waitcnt lgkmcnt(1)
	v_pk_mul_f32 v[108:109], v[76:77], v[108:109] op_sel_hi:[1,0]
	s_waitcnt vmcnt(6)
	v_pk_fma_f32 v[86:87], v[74:75], v[90:91], v[106:107] op_sel:[0,0,1] op_sel_hi:[1,1,0] neg_lo:[0,0,1] neg_hi:[0,0,1]
	v_pk_fma_f32 v[74:75], v[74:75], v[90:91], v[106:107] op_sel:[0,0,1] op_sel_hi:[1,0,0]
	v_mov_b32_e32 v85, v73
	v_pk_add_f32 v[66:67], v[66:67], v[68:69]
	v_mov_b32_e32 v112, v97
	v_pk_mul_f32 v[110:111], v[78:79], v[110:111] op_sel_hi:[1,0]
	s_waitcnt vmcnt(5)
	v_pk_fma_f32 v[88:89], v[76:77], v[92:93], v[108:109] op_sel:[0,0,1] op_sel_hi:[1,1,0] neg_lo:[0,0,1] neg_hi:[0,0,1]
	v_pk_fma_f32 v[76:77], v[76:77], v[92:93], v[108:109] op_sel:[0,0,1] op_sel_hi:[1,0,0]
	v_mov_b32_e32 v87, v75
	v_pk_add_f32 v[66:67], v[66:67], v[84:85]
	v_mov_b32_e32 v114, v99
	s_waitcnt lgkmcnt(0)
	v_pk_mul_f32 v[112:113], v[80:81], v[112:113] op_sel_hi:[1,0]
	s_waitcnt vmcnt(4)
	v_pk_fma_f32 v[90:91], v[78:79], v[94:95], v[110:111] op_sel:[0,0,1] op_sel_hi:[1,1,0] neg_lo:[0,0,1] neg_hi:[0,0,1]
	v_pk_fma_f32 v[78:79], v[78:79], v[94:95], v[110:111] op_sel:[0,0,1] op_sel_hi:[1,0,0]
	v_mov_b32_e32 v89, v77
	v_pk_add_f32 v[66:67], v[66:67], v[86:87]
	v_pk_mul_f32 v[114:115], v[82:83], v[114:115] op_sel_hi:[1,0]
	s_waitcnt vmcnt(3)
	v_pk_fma_f32 v[92:93], v[80:81], v[96:97], v[112:113] op_sel:[0,0,1] op_sel_hi:[1,1,0] neg_lo:[0,0,1] neg_hi:[0,0,1]
	v_pk_fma_f32 v[80:81], v[80:81], v[96:97], v[112:113] op_sel:[0,0,1] op_sel_hi:[1,0,0]
	v_mov_b32_e32 v91, v79
	v_pk_add_f32 v[66:67], v[66:67], v[88:89]
	s_waitcnt vmcnt(2)
	v_pk_fma_f32 v[94:95], v[82:83], v[98:99], v[114:115] op_sel:[0,0,1] op_sel_hi:[1,1,0] neg_lo:[0,0,1] neg_hi:[0,0,1]
	v_pk_fma_f32 v[82:83], v[82:83], v[98:99], v[114:115] op_sel:[0,0,1] op_sel_hi:[1,0,0]
	v_mov_b32_e32 v93, v81
	v_pk_add_f32 v[66:67], v[66:67], v[90:91]
	v_mov_b32_e32 v95, v83
	v_pk_add_f32 v[66:67], v[66:67], v[92:93]
	v_pk_add_f32 v[66:67], v[66:67], v[94:95]
	s_waitcnt vmcnt(0)
	v_pk_add_f32 v[66:67], v[100:101], v[66:67] neg_lo:[0,1] neg_hi:[0,1]
	buffer_store_dword v66, off, s[0:3], 0 offset:184
	buffer_store_dword v67, off, s[0:3], 0 offset:188
	s_and_saveexec_b64 s[4:5], vcc
	s_cbranch_execz .LBB31_161
; %bb.160:
	buffer_load_dword v66, off, s[0:3], 0 offset:176
	buffer_load_dword v67, off, s[0:3], 0 offset:180
	v_mov_b32_e32 v68, 0
	buffer_store_dword v68, off, s[0:3], 0 offset:176
	buffer_store_dword v68, off, s[0:3], 0 offset:180
	s_waitcnt vmcnt(2)
	ds_write_b64 v1, v[66:67]
.LBB31_161:
	s_or_b64 exec, exec, s[4:5]
	s_waitcnt lgkmcnt(0)
	; wave barrier
	s_waitcnt lgkmcnt(0)
	buffer_load_dword v67, off, s[0:3], 0 offset:188
	buffer_load_dword v85, off, s[0:3], 0 offset:196
	;; [unrolled: 1-line block ×20, first 2 shown]
	v_mov_b32_e32 v66, 0
	ds_read2_b64 v[68:71], v66 offset0:55 offset1:56
	ds_read2_b64 v[72:75], v66 offset0:57 offset1:58
	;; [unrolled: 1-line block ×4, first 2 shown]
	ds_read_b64 v[102:103], v66 offset:504
	v_cmp_lt_u32_e32 vcc, 21, v0
	s_waitcnt vmcnt(19) lgkmcnt(4)
	v_mul_f32_e32 v105, v68, v67
	v_mul_f32_e32 v67, v69, v67
	s_waitcnt vmcnt(18)
	v_mov_b32_e32 v106, v85
	s_waitcnt vmcnt(17)
	v_mov_b32_e32 v108, v87
	;; [unrolled: 2-line block ×8, first 2 shown]
	s_waitcnt vmcnt(10)
	v_fmac_f32_e32 v105, v69, v104
	v_fma_f32 v104, v68, v104, -v67
	v_pk_mul_f32 v[68:69], v[70:71], v[106:107] op_sel_hi:[1,0]
	s_waitcnt lgkmcnt(3)
	v_pk_mul_f32 v[106:107], v[72:73], v[108:109] op_sel_hi:[1,0]
	v_pk_mul_f32 v[108:109], v[74:75], v[110:111] op_sel_hi:[1,0]
	s_waitcnt lgkmcnt(2)
	v_pk_mul_f32 v[110:111], v[76:77], v[112:113] op_sel_hi:[1,0]
	v_pk_mul_f32 v[112:113], v[78:79], v[114:115] op_sel_hi:[1,0]
	s_waitcnt lgkmcnt(1)
	v_pk_mul_f32 v[114:115], v[80:81], v[116:117] op_sel_hi:[1,0]
	v_pk_mul_f32 v[116:117], v[82:83], v[118:119] op_sel_hi:[1,0]
	s_waitcnt lgkmcnt(0)
	v_pk_mul_f32 v[118:119], v[102:103], v[120:121] op_sel_hi:[1,0]
	s_waitcnt vmcnt(9)
	v_pk_fma_f32 v[120:121], v[70:71], v[84:85], v[68:69] op_sel:[0,0,1] op_sel_hi:[1,1,0] neg_lo:[0,0,1] neg_hi:[0,0,1]
	v_pk_fma_f32 v[68:69], v[70:71], v[84:85], v[68:69] op_sel:[0,0,1] op_sel_hi:[1,0,0]
	v_pk_add_f32 v[104:105], v[104:105], 0 op_sel_hi:[1,0]
	s_waitcnt vmcnt(8)
	v_pk_fma_f32 v[70:71], v[72:73], v[86:87], v[106:107] op_sel:[0,0,1] op_sel_hi:[1,1,0] neg_lo:[0,0,1] neg_hi:[0,0,1]
	v_pk_fma_f32 v[72:73], v[72:73], v[86:87], v[106:107] op_sel:[0,0,1] op_sel_hi:[1,0,0]
	v_mov_b32_e32 v121, v69
	s_waitcnt vmcnt(7)
	v_pk_fma_f32 v[84:85], v[74:75], v[88:89], v[108:109] op_sel:[0,0,1] op_sel_hi:[1,1,0] neg_lo:[0,0,1] neg_hi:[0,0,1]
	v_pk_fma_f32 v[74:75], v[74:75], v[88:89], v[108:109] op_sel:[0,0,1] op_sel_hi:[1,0,0]
	v_mov_b32_e32 v71, v73
	v_pk_add_f32 v[68:69], v[104:105], v[120:121]
	s_waitcnt vmcnt(6)
	v_pk_fma_f32 v[86:87], v[76:77], v[90:91], v[110:111] op_sel:[0,0,1] op_sel_hi:[1,1,0] neg_lo:[0,0,1] neg_hi:[0,0,1]
	v_pk_fma_f32 v[76:77], v[76:77], v[90:91], v[110:111] op_sel:[0,0,1] op_sel_hi:[1,0,0]
	v_mov_b32_e32 v85, v75
	v_pk_add_f32 v[68:69], v[68:69], v[70:71]
	;; [unrolled: 5-line block ×5, first 2 shown]
	v_pk_fma_f32 v[94:95], v[102:103], v[98:99], v[118:119] op_sel:[0,0,1] op_sel_hi:[1,1,0] neg_lo:[0,0,1] neg_hi:[0,0,1]
	v_pk_fma_f32 v[96:97], v[102:103], v[98:99], v[118:119] op_sel:[0,0,1] op_sel_hi:[1,0,0]
	v_mov_b32_e32 v93, v83
	v_pk_add_f32 v[68:69], v[68:69], v[90:91]
	v_mov_b32_e32 v95, v97
	v_pk_add_f32 v[68:69], v[68:69], v[92:93]
	v_pk_add_f32 v[68:69], v[68:69], v[94:95]
	s_waitcnt vmcnt(0)
	v_pk_add_f32 v[68:69], v[100:101], v[68:69] neg_lo:[0,1] neg_hi:[0,1]
	buffer_store_dword v68, off, s[0:3], 0 offset:176
	buffer_store_dword v69, off, s[0:3], 0 offset:180
	s_and_saveexec_b64 s[4:5], vcc
	s_cbranch_execz .LBB31_163
; %bb.162:
	buffer_load_dword v68, off, s[0:3], 0 offset:168
	buffer_load_dword v69, off, s[0:3], 0 offset:172
	s_waitcnt vmcnt(0)
	ds_write_b64 v1, v[68:69]
	buffer_store_dword v66, off, s[0:3], 0 offset:168
	buffer_store_dword v66, off, s[0:3], 0 offset:172
.LBB31_163:
	s_or_b64 exec, exec, s[4:5]
	s_waitcnt lgkmcnt(0)
	; wave barrier
	s_waitcnt lgkmcnt(0)
	buffer_load_dword v106, off, s[0:3], 0 offset:180
	buffer_load_dword v108, off, s[0:3], 0 offset:188
	;; [unrolled: 1-line block ×22, first 2 shown]
	ds_read_b128 v[68:71], v66 offset:432
	ds_read_b128 v[72:75], v66 offset:448
	;; [unrolled: 1-line block ×5, first 2 shown]
	v_cmp_lt_u32_e32 vcc, 20, v0
	s_waitcnt vmcnt(21) lgkmcnt(4)
	v_mul_f32_e32 v67, v68, v106
	s_waitcnt vmcnt(20)
	v_mul_f32_e32 v107, v70, v108
	v_mul_f32_e32 v66, v69, v106
	;; [unrolled: 1-line block ×3, first 2 shown]
	s_waitcnt vmcnt(19)
	v_mov_b32_e32 v108, v89
	s_waitcnt vmcnt(18)
	v_mov_b32_e32 v110, v91
	;; [unrolled: 2-line block ×5, first 2 shown]
	v_mov_b32_e32 v114, v95
	s_waitcnt vmcnt(11)
	v_fmac_f32_e32 v67, v69, v109
	v_fma_f32 v66, v68, v109, -v66
	s_waitcnt lgkmcnt(3)
	v_pk_mul_f32 v[68:69], v[72:73], v[108:109] op_sel_hi:[1,0]
	s_waitcnt vmcnt(10)
	v_fmac_f32_e32 v107, v71, v111
	v_fma_f32 v106, v70, v111, -v106
	v_pk_mul_f32 v[70:71], v[74:75], v[110:111] op_sel_hi:[1,0]
	s_waitcnt lgkmcnt(2)
	v_pk_mul_f32 v[108:109], v[76:77], v[112:113] op_sel_hi:[1,0]
	s_waitcnt lgkmcnt(1)
	;; [unrolled: 2-line block ×3, first 2 shown]
	v_pk_mul_f32 v[116:117], v[84:85], v[120:121] op_sel_hi:[1,0]
	v_pk_add_f32 v[66:67], v[66:67], 0 op_sel_hi:[1,0]
	s_waitcnt vmcnt(9)
	v_pk_fma_f32 v[120:121], v[72:73], v[88:89], v[68:69] op_sel:[0,0,1] op_sel_hi:[1,1,0] neg_lo:[0,0,1] neg_hi:[0,0,1]
	v_pk_fma_f32 v[68:69], v[72:73], v[88:89], v[68:69] op_sel:[0,0,1] op_sel_hi:[1,0,0]
	s_waitcnt vmcnt(8)
	v_pk_fma_f32 v[72:73], v[74:75], v[90:91], v[70:71] op_sel:[0,0,1] op_sel_hi:[1,1,0] neg_lo:[0,0,1] neg_hi:[0,0,1]
	v_pk_fma_f32 v[70:71], v[74:75], v[90:91], v[70:71] op_sel:[0,0,1] op_sel_hi:[1,0,0]
	v_pk_add_f32 v[66:67], v[66:67], v[106:107]
	v_mov_b32_e32 v121, v69
	v_pk_mul_f32 v[110:111], v[78:79], v[114:115] op_sel_hi:[1,0]
	s_waitcnt vmcnt(7)
	v_pk_fma_f32 v[74:75], v[76:77], v[92:93], v[108:109] op_sel:[0,0,1] op_sel_hi:[1,1,0] neg_lo:[0,0,1] neg_hi:[0,0,1]
	v_pk_fma_f32 v[76:77], v[76:77], v[92:93], v[108:109] op_sel:[0,0,1] op_sel_hi:[1,0,0]
	v_mov_b32_e32 v73, v71
	v_pk_add_f32 v[66:67], v[66:67], v[120:121]
	v_mov_b32_e32 v118, v99
	s_waitcnt vmcnt(6)
	v_pk_fma_f32 v[88:89], v[78:79], v[94:95], v[110:111] op_sel:[0,0,1] op_sel_hi:[1,1,0] neg_lo:[0,0,1] neg_hi:[0,0,1]
	v_pk_fma_f32 v[78:79], v[78:79], v[94:95], v[110:111] op_sel:[0,0,1] op_sel_hi:[1,0,0]
	v_mov_b32_e32 v75, v77
	v_pk_add_f32 v[66:67], v[66:67], v[72:73]
	v_pk_mul_f32 v[114:115], v[82:83], v[118:119] op_sel_hi:[1,0]
	s_waitcnt vmcnt(5)
	v_pk_fma_f32 v[90:91], v[80:81], v[96:97], v[112:113] op_sel:[0,0,1] op_sel_hi:[1,1,0] neg_lo:[0,0,1] neg_hi:[0,0,1]
	v_pk_fma_f32 v[80:81], v[80:81], v[96:97], v[112:113] op_sel:[0,0,1] op_sel_hi:[1,0,0]
	v_mov_b32_e32 v89, v79
	v_pk_add_f32 v[66:67], v[66:67], v[74:75]
	v_mov_b32_e32 v122, v103
	s_waitcnt vmcnt(2)
	v_pk_fma_f32 v[92:93], v[82:83], v[98:99], v[114:115] op_sel:[0,0,1] op_sel_hi:[1,1,0] neg_lo:[0,0,1] neg_hi:[0,0,1]
	v_pk_fma_f32 v[82:83], v[82:83], v[98:99], v[114:115] op_sel:[0,0,1] op_sel_hi:[1,0,0]
	v_mov_b32_e32 v91, v81
	v_pk_add_f32 v[66:67], v[66:67], v[88:89]
	v_pk_mul_f32 v[118:119], v[86:87], v[122:123] op_sel_hi:[1,0]
	v_pk_fma_f32 v[94:95], v[84:85], v[100:101], v[116:117] op_sel:[0,0,1] op_sel_hi:[1,1,0] neg_lo:[0,0,1] neg_hi:[0,0,1]
	v_pk_fma_f32 v[84:85], v[84:85], v[100:101], v[116:117] op_sel:[0,0,1] op_sel_hi:[1,0,0]
	v_mov_b32_e32 v93, v83
	v_pk_add_f32 v[66:67], v[66:67], v[90:91]
	v_pk_fma_f32 v[96:97], v[86:87], v[102:103], v[118:119] op_sel:[0,0,1] op_sel_hi:[1,1,0] neg_lo:[0,0,1] neg_hi:[0,0,1]
	v_pk_fma_f32 v[86:87], v[86:87], v[102:103], v[118:119] op_sel:[0,0,1] op_sel_hi:[1,0,0]
	v_mov_b32_e32 v95, v85
	v_pk_add_f32 v[66:67], v[66:67], v[92:93]
	v_mov_b32_e32 v97, v87
	v_pk_add_f32 v[66:67], v[66:67], v[94:95]
	v_pk_add_f32 v[66:67], v[66:67], v[96:97]
	s_waitcnt vmcnt(0)
	v_pk_add_f32 v[66:67], v[104:105], v[66:67] neg_lo:[0,1] neg_hi:[0,1]
	buffer_store_dword v66, off, s[0:3], 0 offset:168
	buffer_store_dword v67, off, s[0:3], 0 offset:172
	s_and_saveexec_b64 s[4:5], vcc
	s_cbranch_execz .LBB31_165
; %bb.164:
	buffer_load_dword v66, off, s[0:3], 0 offset:160
	buffer_load_dword v67, off, s[0:3], 0 offset:164
	v_mov_b32_e32 v68, 0
	buffer_store_dword v68, off, s[0:3], 0 offset:160
	buffer_store_dword v68, off, s[0:3], 0 offset:164
	s_waitcnt vmcnt(2)
	ds_write_b64 v1, v[66:67]
.LBB31_165:
	s_or_b64 exec, exec, s[4:5]
	s_waitcnt lgkmcnt(0)
	; wave barrier
	s_waitcnt lgkmcnt(0)
	buffer_load_dword v67, off, s[0:3], 0 offset:172
	buffer_load_dword v108, off, s[0:3], 0 offset:180
	;; [unrolled: 1-line block ×24, first 2 shown]
	v_mov_b32_e32 v66, 0
	ds_read2_b64 v[68:71], v66 offset0:53 offset1:54
	ds_read2_b64 v[72:75], v66 offset0:55 offset1:56
	;; [unrolled: 1-line block ×5, first 2 shown]
	ds_read_b64 v[106:107], v66 offset:504
	v_cmp_lt_u32_e32 vcc, 19, v0
	s_waitcnt vmcnt(23) lgkmcnt(5)
	v_mul_f32_e32 v121, v68, v67
	v_mul_f32_e32 v67, v69, v67
	s_waitcnt vmcnt(22)
	v_mul_f32_e32 v109, v70, v108
	s_waitcnt vmcnt(21) lgkmcnt(4)
	v_mul_f32_e32 v111, v72, v110
	v_mul_f32_e32 v108, v71, v108
	;; [unrolled: 1-line block ×3, first 2 shown]
	s_waitcnt vmcnt(20)
	v_mov_b32_e32 v112, v89
	s_waitcnt vmcnt(19)
	v_mov_b32_e32 v114, v91
	;; [unrolled: 2-line block ×5, first 2 shown]
	s_waitcnt vmcnt(12)
	v_fmac_f32_e32 v121, v69, v113
	v_fma_f32 v67, v68, v113, -v67
	v_mov_b32_e32 v122, v99
	s_waitcnt vmcnt(11)
	v_fmac_f32_e32 v109, v71, v115
	s_waitcnt vmcnt(10)
	v_fmac_f32_e32 v111, v73, v117
	v_fma_f32 v108, v70, v115, -v108
	v_fma_f32 v110, v72, v117, -v110
	v_pk_mul_f32 v[68:69], v[74:75], v[112:113] op_sel_hi:[1,0]
	s_waitcnt lgkmcnt(3)
	v_pk_mul_f32 v[70:71], v[76:77], v[114:115] op_sel_hi:[1,0]
	v_pk_mul_f32 v[72:73], v[78:79], v[116:117] op_sel_hi:[1,0]
	s_waitcnt lgkmcnt(2)
	v_pk_mul_f32 v[112:113], v[80:81], v[118:119] op_sel_hi:[1,0]
	v_pk_mul_f32 v[114:115], v[82:83], v[120:121] op_sel_hi:[1,0]
	v_add_f32_e32 v121, 0, v121
	v_add_f32_e32 v120, 0, v67
	s_waitcnt lgkmcnt(1)
	v_pk_mul_f32 v[116:117], v[84:85], v[122:123] op_sel_hi:[1,0]
	s_waitcnt vmcnt(9)
	v_pk_fma_f32 v[122:123], v[74:75], v[88:89], v[68:69] op_sel:[0,0,1] op_sel_hi:[1,1,0] neg_lo:[0,0,1] neg_hi:[0,0,1]
	v_pk_fma_f32 v[68:69], v[74:75], v[88:89], v[68:69] op_sel:[0,0,1] op_sel_hi:[1,0,0]
	s_waitcnt vmcnt(8)
	v_pk_fma_f32 v[74:75], v[76:77], v[90:91], v[70:71] op_sel:[0,0,1] op_sel_hi:[1,1,0] neg_lo:[0,0,1] neg_hi:[0,0,1]
	v_pk_fma_f32 v[70:71], v[76:77], v[90:91], v[70:71] op_sel:[0,0,1] op_sel_hi:[1,0,0]
	s_waitcnt vmcnt(7)
	v_pk_fma_f32 v[76:77], v[78:79], v[92:93], v[72:73] op_sel:[0,0,1] op_sel_hi:[1,1,0] neg_lo:[0,0,1] neg_hi:[0,0,1]
	v_pk_fma_f32 v[72:73], v[78:79], v[92:93], v[72:73] op_sel:[0,0,1] op_sel_hi:[1,0,0]
	s_waitcnt vmcnt(6)
	v_pk_fma_f32 v[78:79], v[80:81], v[94:95], v[112:113] op_sel:[0,0,1] op_sel_hi:[1,1,0] neg_lo:[0,0,1] neg_hi:[0,0,1]
	v_pk_fma_f32 v[80:81], v[80:81], v[94:95], v[112:113] op_sel:[0,0,1] op_sel_hi:[1,0,0]
	v_pk_add_f32 v[94:95], v[120:121], v[108:109]
	v_mov_b32_e32 v123, v69
	v_pk_add_f32 v[68:69], v[94:95], v[110:111]
	v_mov_b32_e32 v75, v71
	;; [unrolled: 2-line block ×4, first 2 shown]
	s_waitcnt vmcnt(2)
	v_pk_fma_f32 v[88:89], v[82:83], v[96:97], v[114:115] op_sel:[0,0,1] op_sel_hi:[1,1,0] neg_lo:[0,0,1] neg_hi:[0,0,1]
	v_pk_fma_f32 v[82:83], v[82:83], v[96:97], v[114:115] op_sel:[0,0,1] op_sel_hi:[1,0,0]
	v_mov_b32_e32 v79, v81
	v_pk_add_f32 v[68:69], v[68:69], v[76:77]
	v_mov_b32_e32 v126, v103
	v_pk_mul_f32 v[118:119], v[86:87], v[124:125] op_sel_hi:[1,0]
	v_pk_fma_f32 v[90:91], v[84:85], v[98:99], v[116:117] op_sel:[0,0,1] op_sel_hi:[1,1,0] neg_lo:[0,0,1] neg_hi:[0,0,1]
	v_pk_fma_f32 v[84:85], v[84:85], v[98:99], v[116:117] op_sel:[0,0,1] op_sel_hi:[1,0,0]
	v_mov_b32_e32 v89, v83
	v_pk_add_f32 v[68:69], v[68:69], v[78:79]
	v_pk_fma_f32 v[92:93], v[86:87], v[100:101], v[118:119] op_sel:[0,0,1] op_sel_hi:[1,1,0] neg_lo:[0,0,1] neg_hi:[0,0,1]
	v_pk_fma_f32 v[86:87], v[86:87], v[100:101], v[118:119] op_sel:[0,0,1] op_sel_hi:[1,0,0]
	v_mov_b32_e32 v91, v85
	v_pk_add_f32 v[68:69], v[68:69], v[88:89]
	s_waitcnt lgkmcnt(0)
	v_pk_mul_f32 v[70:71], v[106:107], v[126:127] op_sel_hi:[1,0]
	v_mov_b32_e32 v93, v87
	v_pk_add_f32 v[68:69], v[68:69], v[90:91]
	v_pk_fma_f32 v[72:73], v[106:107], v[102:103], v[70:71] op_sel:[0,0,1] op_sel_hi:[1,1,0] neg_lo:[0,0,1] neg_hi:[0,0,1]
	v_pk_fma_f32 v[70:71], v[106:107], v[102:103], v[70:71] op_sel:[0,0,1] op_sel_hi:[1,0,0]
	v_pk_add_f32 v[68:69], v[68:69], v[92:93]
	v_mov_b32_e32 v73, v71
	v_pk_add_f32 v[68:69], v[68:69], v[72:73]
	s_waitcnt vmcnt(0)
	v_pk_add_f32 v[68:69], v[104:105], v[68:69] neg_lo:[0,1] neg_hi:[0,1]
	buffer_store_dword v69, off, s[0:3], 0 offset:164
	buffer_store_dword v68, off, s[0:3], 0 offset:160
	s_and_saveexec_b64 s[4:5], vcc
	s_cbranch_execz .LBB31_167
; %bb.166:
	buffer_load_dword v68, off, s[0:3], 0 offset:152
	buffer_load_dword v69, off, s[0:3], 0 offset:156
	s_waitcnt vmcnt(0)
	ds_write_b64 v1, v[68:69]
	buffer_store_dword v66, off, s[0:3], 0 offset:152
	buffer_store_dword v66, off, s[0:3], 0 offset:156
.LBB31_167:
	s_or_b64 exec, exec, s[4:5]
	s_waitcnt lgkmcnt(0)
	; wave barrier
	s_waitcnt lgkmcnt(0)
	buffer_load_dword v110, off, s[0:3], 0 offset:164
	buffer_load_dword v112, off, s[0:3], 0 offset:172
	;; [unrolled: 1-line block ×26, first 2 shown]
	ds_read_b128 v[68:71], v66 offset:416
	ds_read_b128 v[72:75], v66 offset:432
	;; [unrolled: 1-line block ×6, first 2 shown]
	v_cmp_lt_u32_e32 vcc, 18, v0
	s_waitcnt vmcnt(25) lgkmcnt(5)
	v_mul_f32_e32 v123, v68, v110
	v_mul_f32_e32 v66, v69, v110
	s_waitcnt vmcnt(24)
	v_mul_f32_e32 v124, v70, v112
	s_waitcnt vmcnt(23) lgkmcnt(4)
	v_mul_f32_e32 v67, v72, v113
	s_waitcnt vmcnt(22)
	v_mul_f32_e32 v111, v74, v114
	v_mul_f32_e32 v110, v71, v112
	;; [unrolled: 1-line block ×4, first 2 shown]
	s_waitcnt vmcnt(21)
	v_mov_b32_e32 v112, v93
	s_waitcnt vmcnt(20)
	v_mov_b32_e32 v114, v95
	;; [unrolled: 2-line block ×3, first 2 shown]
	s_waitcnt vmcnt(15)
	v_fmac_f32_e32 v123, v69, v115
	v_fma_f32 v126, v68, v115, -v66
	v_mov_b32_e32 v116, v97
	s_waitcnt vmcnt(14)
	v_fmac_f32_e32 v124, v71, v117
	s_waitcnt vmcnt(13)
	v_fmac_f32_e32 v67, v73, v119
	;; [unrolled: 2-line block ×3, first 2 shown]
	v_fma_f32 v127, v70, v117, -v110
	v_fma_f32 v66, v72, v119, -v113
	;; [unrolled: 1-line block ×3, first 2 shown]
	s_waitcnt lgkmcnt(3)
	v_pk_mul_f32 v[68:69], v[76:77], v[112:113] op_sel_hi:[1,0]
	v_pk_mul_f32 v[70:71], v[78:79], v[114:115] op_sel_hi:[1,0]
	s_waitcnt lgkmcnt(2)
	v_pk_mul_f32 v[74:75], v[82:83], v[118:119] op_sel_hi:[1,0]
	v_add_f32_e32 v118, 0, v123
	v_add_f32_e32 v119, 0, v126
	v_pk_mul_f32 v[72:73], v[80:81], v[116:117] op_sel_hi:[1,0]
	s_waitcnt vmcnt(11)
	v_pk_fma_f32 v[116:117], v[76:77], v[92:93], v[68:69] op_sel:[0,0,1] op_sel_hi:[1,1,0] neg_lo:[0,0,1] neg_hi:[0,0,1]
	v_pk_fma_f32 v[68:69], v[76:77], v[92:93], v[68:69] op_sel:[0,0,1] op_sel_hi:[1,0,0]
	s_waitcnt vmcnt(10)
	v_pk_fma_f32 v[76:77], v[78:79], v[94:95], v[70:71] op_sel:[0,0,1] op_sel_hi:[1,1,0] neg_lo:[0,0,1] neg_hi:[0,0,1]
	v_pk_fma_f32 v[70:71], v[78:79], v[94:95], v[70:71] op_sel:[0,0,1] op_sel_hi:[1,0,0]
	v_add_f32_e32 v95, v118, v124
	v_add_f32_e32 v94, v119, v127
	v_pk_add_f32 v[66:67], v[94:95], v[66:67]
	v_mov_b32_e32 v117, v69
	v_pk_add_f32 v[66:67], v[66:67], v[110:111]
	v_mov_b32_e32 v120, v101
	s_waitcnt vmcnt(9)
	v_pk_fma_f32 v[78:79], v[80:81], v[96:97], v[72:73] op_sel:[0,0,1] op_sel_hi:[1,1,0] neg_lo:[0,0,1] neg_hi:[0,0,1]
	v_pk_fma_f32 v[72:73], v[80:81], v[96:97], v[72:73] op_sel:[0,0,1] op_sel_hi:[1,0,0]
	v_mov_b32_e32 v77, v71
	v_pk_add_f32 v[66:67], v[66:67], v[116:117]
	v_mov_b32_e32 v122, v103
	s_waitcnt lgkmcnt(1)
	v_pk_mul_f32 v[112:113], v[84:85], v[120:121] op_sel_hi:[1,0]
	s_waitcnt vmcnt(5)
	v_pk_fma_f32 v[80:81], v[82:83], v[98:99], v[74:75] op_sel:[0,0,1] op_sel_hi:[1,1,0] neg_lo:[0,0,1] neg_hi:[0,0,1]
	v_pk_fma_f32 v[74:75], v[82:83], v[98:99], v[74:75] op_sel:[0,0,1] op_sel_hi:[1,0,0]
	v_mov_b32_e32 v79, v73
	v_pk_add_f32 v[66:67], v[66:67], v[76:77]
	s_waitcnt vmcnt(4)
	v_mov_b32_e32 v68, v105
	v_pk_mul_f32 v[114:115], v[86:87], v[122:123] op_sel_hi:[1,0]
	v_pk_fma_f32 v[82:83], v[84:85], v[100:101], v[112:113] op_sel:[0,0,1] op_sel_hi:[1,1,0] neg_lo:[0,0,1] neg_hi:[0,0,1]
	v_pk_fma_f32 v[84:85], v[84:85], v[100:101], v[112:113] op_sel:[0,0,1] op_sel_hi:[1,0,0]
	v_mov_b32_e32 v81, v75
	v_pk_add_f32 v[66:67], v[66:67], v[78:79]
	s_waitcnt lgkmcnt(0)
	v_pk_mul_f32 v[68:69], v[88:89], v[68:69] op_sel_hi:[1,0]
	v_pk_fma_f32 v[92:93], v[86:87], v[102:103], v[114:115] op_sel:[0,0,1] op_sel_hi:[1,1,0] neg_lo:[0,0,1] neg_hi:[0,0,1]
	v_pk_fma_f32 v[86:87], v[86:87], v[102:103], v[114:115] op_sel:[0,0,1] op_sel_hi:[1,0,0]
	v_mov_b32_e32 v83, v85
	v_pk_add_f32 v[66:67], v[66:67], v[80:81]
	v_pk_fma_f32 v[70:71], v[88:89], v[104:105], v[68:69] op_sel:[0,0,1] op_sel_hi:[1,1,0] neg_lo:[0,0,1] neg_hi:[0,0,1]
	v_pk_fma_f32 v[68:69], v[88:89], v[104:105], v[68:69] op_sel:[0,0,1] op_sel_hi:[1,0,0]
	v_mov_b32_e32 v93, v87
	v_pk_add_f32 v[66:67], v[66:67], v[82:83]
	s_waitcnt vmcnt(3)
	v_mov_b32_e32 v68, v107
	v_pk_add_f32 v[66:67], v[66:67], v[92:93]
	v_mov_b32_e32 v71, v69
	v_pk_mul_f32 v[68:69], v[90:91], v[68:69] op_sel_hi:[1,0]
	v_pk_add_f32 v[66:67], v[66:67], v[70:71]
	s_waitcnt vmcnt(2)
	v_pk_fma_f32 v[70:71], v[90:91], v[106:107], v[68:69] op_sel:[0,0,1] op_sel_hi:[1,1,0] neg_lo:[0,0,1] neg_hi:[0,0,1]
	v_pk_fma_f32 v[68:69], v[90:91], v[106:107], v[68:69] op_sel:[0,0,1] op_sel_hi:[1,0,0]
	v_mov_b32_e32 v71, v69
	v_pk_add_f32 v[66:67], v[66:67], v[70:71]
	s_waitcnt vmcnt(0)
	v_pk_add_f32 v[66:67], v[108:109], v[66:67] neg_lo:[0,1] neg_hi:[0,1]
	buffer_store_dword v67, off, s[0:3], 0 offset:156
	buffer_store_dword v66, off, s[0:3], 0 offset:152
	s_and_saveexec_b64 s[4:5], vcc
	s_cbranch_execz .LBB31_169
; %bb.168:
	buffer_load_dword v66, off, s[0:3], 0 offset:144
	buffer_load_dword v67, off, s[0:3], 0 offset:148
	v_mov_b32_e32 v68, 0
	buffer_store_dword v68, off, s[0:3], 0 offset:144
	buffer_store_dword v68, off, s[0:3], 0 offset:148
	s_waitcnt vmcnt(2)
	ds_write_b64 v1, v[66:67]
.LBB31_169:
	s_or_b64 exec, exec, s[4:5]
	v_mov_b32_e32 v68, 0
	s_waitcnt lgkmcnt(0)
	; wave barrier
	s_waitcnt lgkmcnt(0)
	ds_read2_b64 v[70:73], v68 offset0:51 offset1:52
	buffer_load_dword v66, off, s[0:3], 0 offset:144
	buffer_load_dword v67, off, s[0:3], 0 offset:148
	;; [unrolled: 1-line block ×16, first 2 shown]
	v_cmp_lt_u32_e32 vcc, 17, v0
	s_waitcnt vmcnt(12) lgkmcnt(0)
	v_mul_f32_e32 v74, v70, v82
	v_fmac_f32_e32 v74, v71, v69
	s_waitcnt vmcnt(10)
	v_mul_f32_e32 v75, v72, v84
	v_add_f32_e32 v74, 0, v74
	v_fmac_f32_e32 v75, v73, v83
	v_add_f32_e32 v78, v74, v75
	ds_read2_b64 v[74:77], v68 offset0:53 offset1:54
	v_mul_f32_e32 v71, v71, v82
	v_fma_f32 v69, v70, v69, -v71
	v_mul_f32_e32 v70, v73, v84
	v_add_f32_e32 v69, 0, v69
	s_waitcnt vmcnt(8) lgkmcnt(0)
	v_mul_f32_e32 v79, v74, v90
	v_fmac_f32_e32 v79, v75, v85
	v_add_f32_e32 v91, v78, v79
	ds_read2_b64 v[78:81], v68 offset0:55 offset1:56
	buffer_load_dword v97, off, s[0:3], 0 offset:212
	buffer_load_dword v96, off, s[0:3], 0 offset:208
	;; [unrolled: 1-line block ×12, first 2 shown]
	v_fma_f32 v70, v72, v83, -v70
	v_add_f32_e32 v69, v69, v70
	v_mul_f32_e32 v70, v75, v90
	v_fma_f32 v70, v74, v85, -v70
	s_waitcnt vmcnt(18)
	v_mul_f32_e32 v93, v76, v94
	v_add_f32_e32 v90, v69, v70
	v_mul_f32_e32 v69, v77, v94
	v_fmac_f32_e32 v93, v77, v92
	v_fma_f32 v92, v76, v92, -v69
	s_waitcnt vmcnt(16) lgkmcnt(0)
	v_mul_f32_e32 v95, v78, v109
	v_mul_f32_e32 v69, v79, v109
	v_pk_add_f32 v[90:91], v[90:91], v[92:93]
	s_waitcnt vmcnt(14)
	v_mov_b32_e32 v92, v87
	v_fmac_f32_e32 v95, v79, v108
	v_fma_f32 v94, v78, v108, -v69
	ds_read2_b64 v[70:73], v68 offset0:57 offset1:58
	ds_read2_b64 v[74:77], v68 offset0:59 offset1:60
	;; [unrolled: 1-line block ×3, first 2 shown]
	ds_read_b64 v[78:79], v68 offset:504
	v_pk_mul_f32 v[92:93], v[80:81], v[92:93] op_sel_hi:[1,0]
	v_pk_add_f32 v[90:91], v[90:91], v[94:95]
	v_pk_fma_f32 v[94:95], v[80:81], v[86:87], v[92:93] op_sel:[0,0,1] op_sel_hi:[1,1,0] neg_lo:[0,0,1] neg_hi:[0,0,1]
	v_pk_fma_f32 v[80:81], v[80:81], v[86:87], v[92:93] op_sel:[0,0,1] op_sel_hi:[1,0,0]
	s_waitcnt vmcnt(12)
	v_mov_b32_e32 v86, v89
	v_mov_b32_e32 v95, v81
	s_waitcnt lgkmcnt(3)
	v_pk_mul_f32 v[86:87], v[70:71], v[86:87] op_sel_hi:[1,0]
	v_pk_add_f32 v[80:81], v[90:91], v[94:95]
	v_pk_fma_f32 v[90:91], v[70:71], v[88:89], v[86:87] op_sel:[0,0,1] op_sel_hi:[1,1,0] neg_lo:[0,0,1] neg_hi:[0,0,1]
	v_pk_fma_f32 v[70:71], v[70:71], v[88:89], v[86:87] op_sel:[0,0,1] op_sel_hi:[1,0,0]
	v_mov_b32_e32 v91, v71
	v_pk_add_f32 v[70:71], v[80:81], v[90:91]
	s_waitcnt vmcnt(11)
	v_mov_b32_e32 v80, v97
	v_pk_mul_f32 v[80:81], v[72:73], v[80:81] op_sel_hi:[1,0]
	s_waitcnt vmcnt(10)
	v_pk_fma_f32 v[86:87], v[72:73], v[96:97], v[80:81] op_sel:[0,0,1] op_sel_hi:[1,1,0] neg_lo:[0,0,1] neg_hi:[0,0,1]
	v_pk_fma_f32 v[72:73], v[72:73], v[96:97], v[80:81] op_sel:[0,0,1] op_sel_hi:[1,0,0]
	s_waitcnt vmcnt(9)
	v_mov_b32_e32 v72, v99
	v_mov_b32_e32 v87, v73
	s_waitcnt lgkmcnt(2)
	v_pk_mul_f32 v[72:73], v[74:75], v[72:73] op_sel_hi:[1,0]
	s_waitcnt vmcnt(8)
	v_pk_fma_f32 v[80:81], v[74:75], v[98:99], v[72:73] op_sel:[0,0,1] op_sel_hi:[1,1,0] neg_lo:[0,0,1] neg_hi:[0,0,1]
	v_pk_fma_f32 v[72:73], v[74:75], v[98:99], v[72:73] op_sel:[0,0,1] op_sel_hi:[1,0,0]
	s_waitcnt vmcnt(7)
	v_mov_b32_e32 v72, v101
	v_mov_b32_e32 v81, v73
	v_pk_mul_f32 v[72:73], v[76:77], v[72:73] op_sel_hi:[1,0]
	s_waitcnt vmcnt(6)
	v_pk_fma_f32 v[74:75], v[76:77], v[100:101], v[72:73] op_sel:[0,0,1] op_sel_hi:[1,1,0] neg_lo:[0,0,1] neg_hi:[0,0,1]
	v_pk_fma_f32 v[72:73], v[76:77], v[100:101], v[72:73] op_sel:[0,0,1] op_sel_hi:[1,0,0]
	v_pk_add_f32 v[70:71], v[70:71], v[86:87]
	s_waitcnt vmcnt(5)
	v_mov_b32_e32 v72, v103
	v_pk_add_f32 v[70:71], v[70:71], v[80:81]
	v_mov_b32_e32 v75, v73
	s_waitcnt lgkmcnt(1)
	v_pk_mul_f32 v[72:73], v[82:83], v[72:73] op_sel_hi:[1,0]
	v_pk_add_f32 v[70:71], v[70:71], v[74:75]
	s_waitcnt vmcnt(4)
	v_pk_fma_f32 v[74:75], v[82:83], v[102:103], v[72:73] op_sel:[0,0,1] op_sel_hi:[1,1,0] neg_lo:[0,0,1] neg_hi:[0,0,1]
	v_pk_fma_f32 v[72:73], v[82:83], v[102:103], v[72:73] op_sel:[0,0,1] op_sel_hi:[1,0,0]
	s_waitcnt vmcnt(3)
	v_mov_b32_e32 v72, v105
	v_mov_b32_e32 v75, v73
	v_pk_mul_f32 v[72:73], v[84:85], v[72:73] op_sel_hi:[1,0]
	v_pk_add_f32 v[70:71], v[70:71], v[74:75]
	s_waitcnt vmcnt(2)
	v_pk_fma_f32 v[74:75], v[84:85], v[104:105], v[72:73] op_sel:[0,0,1] op_sel_hi:[1,1,0] neg_lo:[0,0,1] neg_hi:[0,0,1]
	v_pk_fma_f32 v[72:73], v[84:85], v[104:105], v[72:73] op_sel:[0,0,1] op_sel_hi:[1,0,0]
	s_waitcnt vmcnt(1)
	v_mov_b32_e32 v72, v107
	v_mov_b32_e32 v75, v73
	s_waitcnt lgkmcnt(0)
	v_pk_mul_f32 v[72:73], v[78:79], v[72:73] op_sel_hi:[1,0]
	v_pk_add_f32 v[70:71], v[70:71], v[74:75]
	s_waitcnt vmcnt(0)
	v_pk_fma_f32 v[74:75], v[78:79], v[106:107], v[72:73] op_sel:[0,0,1] op_sel_hi:[1,1,0] neg_lo:[0,0,1] neg_hi:[0,0,1]
	v_pk_fma_f32 v[72:73], v[78:79], v[106:107], v[72:73] op_sel:[0,0,1] op_sel_hi:[1,0,0]
	v_mov_b32_e32 v75, v73
	v_pk_add_f32 v[70:71], v[70:71], v[74:75]
	v_pk_add_f32 v[66:67], v[66:67], v[70:71] neg_lo:[0,1] neg_hi:[0,1]
	buffer_store_dword v67, off, s[0:3], 0 offset:148
	buffer_store_dword v66, off, s[0:3], 0 offset:144
	s_and_saveexec_b64 s[4:5], vcc
	s_cbranch_execz .LBB31_171
; %bb.170:
	buffer_load_dword v66, off, s[0:3], 0 offset:136
	buffer_load_dword v67, off, s[0:3], 0 offset:140
	s_waitcnt vmcnt(0)
	ds_write_b64 v1, v[66:67]
	buffer_store_dword v68, off, s[0:3], 0 offset:136
	buffer_store_dword v68, off, s[0:3], 0 offset:140
.LBB31_171:
	s_or_b64 exec, exec, s[4:5]
	s_waitcnt lgkmcnt(0)
	; wave barrier
	s_waitcnt lgkmcnt(0)
	ds_read_b128 v[70:73], v68 offset:400
	ds_read_b128 v[74:77], v68 offset:416
	;; [unrolled: 1-line block ×4, first 2 shown]
	buffer_load_dword v66, off, s[0:3], 0 offset:136
	buffer_load_dword v67, off, s[0:3], 0 offset:140
	;; [unrolled: 1-line block ×30, first 2 shown]
	v_cmp_lt_u32_e32 vcc, 16, v0
	s_waitcnt vmcnt(26) lgkmcnt(3)
	v_mul_f32_e32 v89, v70, v88
	v_fmac_f32_e32 v89, v71, v69
	v_mul_f32_e32 v71, v71, v88
	s_waitcnt vmcnt(24)
	v_mul_f32_e32 v91, v72, v92
	v_fma_f32 v69, v70, v69, -v71
	v_mul_f32_e32 v70, v73, v92
	v_add_f32_e32 v89, 0, v89
	v_fmac_f32_e32 v91, v73, v90
	v_add_f32_e32 v69, 0, v69
	v_fma_f32 v70, v72, v90, -v70
	v_add_f32_e32 v89, v89, v91
	s_waitcnt vmcnt(22) lgkmcnt(2)
	v_mul_f32_e32 v91, v74, v109
	v_add_f32_e32 v69, v69, v70
	v_mul_f32_e32 v70, v75, v109
	v_fmac_f32_e32 v91, v75, v108
	v_fma_f32 v70, v74, v108, -v70
	v_add_f32_e32 v89, v89, v91
	s_waitcnt vmcnt(20)
	v_mul_f32_e32 v91, v76, v111
	v_add_f32_e32 v69, v69, v70
	v_mul_f32_e32 v70, v77, v111
	v_fmac_f32_e32 v91, v77, v110
	v_fma_f32 v70, v76, v110, -v70
	v_add_f32_e32 v89, v89, v91
	s_waitcnt vmcnt(18) lgkmcnt(1)
	v_mul_f32_e32 v91, v78, v113
	v_add_f32_e32 v88, v69, v70
	v_mul_f32_e32 v69, v79, v113
	v_fmac_f32_e32 v91, v79, v112
	s_waitcnt vmcnt(16)
	v_mul_f32_e32 v93, v80, v115
	v_fma_f32 v90, v78, v112, -v69
	v_mul_f32_e32 v69, v81, v115
	v_fmac_f32_e32 v93, v81, v114
	v_fma_f32 v92, v80, v114, -v69
	ds_read_b128 v[70:73], v68 offset:464
	ds_read_b128 v[74:77], v68 offset:480
	;; [unrolled: 1-line block ×3, first 2 shown]
	v_pk_add_f32 v[68:69], v[88:89], v[90:91]
	s_waitcnt vmcnt(14)
	v_mov_b32_e32 v88, v87
	s_waitcnt lgkmcnt(3)
	v_pk_mul_f32 v[88:89], v[82:83], v[88:89] op_sel_hi:[1,0]
	v_pk_fma_f32 v[90:91], v[82:83], v[86:87], v[88:89] op_sel:[0,0,1] op_sel_hi:[1,1,0] neg_lo:[0,0,1] neg_hi:[0,0,1]
	v_pk_fma_f32 v[82:83], v[82:83], v[86:87], v[88:89] op_sel:[0,0,1] op_sel_hi:[1,0,0]
	s_waitcnt vmcnt(13)
	v_mov_b32_e32 v82, v95
	v_mov_b32_e32 v91, v83
	v_pk_mul_f32 v[82:83], v[84:85], v[82:83] op_sel_hi:[1,0]
	s_waitcnt vmcnt(12)
	v_pk_fma_f32 v[86:87], v[84:85], v[94:95], v[82:83] op_sel:[0,0,1] op_sel_hi:[1,1,0] neg_lo:[0,0,1] neg_hi:[0,0,1]
	v_pk_fma_f32 v[82:83], v[84:85], v[94:95], v[82:83] op_sel:[0,0,1] op_sel_hi:[1,0,0]
	s_waitcnt vmcnt(11)
	v_mov_b32_e32 v82, v97
	v_mov_b32_e32 v87, v83
	s_waitcnt lgkmcnt(2)
	v_pk_mul_f32 v[82:83], v[70:71], v[82:83] op_sel_hi:[1,0]
	s_waitcnt vmcnt(10)
	v_pk_fma_f32 v[84:85], v[70:71], v[96:97], v[82:83] op_sel:[0,0,1] op_sel_hi:[1,1,0] neg_lo:[0,0,1] neg_hi:[0,0,1]
	v_pk_fma_f32 v[70:71], v[70:71], v[96:97], v[82:83] op_sel:[0,0,1] op_sel_hi:[1,0,0]
	s_waitcnt vmcnt(9)
	v_mov_b32_e32 v70, v99
	v_mov_b32_e32 v85, v71
	v_pk_mul_f32 v[70:71], v[72:73], v[70:71] op_sel_hi:[1,0]
	s_waitcnt vmcnt(8)
	v_pk_fma_f32 v[82:83], v[72:73], v[98:99], v[70:71] op_sel:[0,0,1] op_sel_hi:[1,1,0] neg_lo:[0,0,1] neg_hi:[0,0,1]
	v_pk_fma_f32 v[70:71], v[72:73], v[98:99], v[70:71] op_sel:[0,0,1] op_sel_hi:[1,0,0]
	v_pk_add_f32 v[68:69], v[68:69], v[92:93]
	s_waitcnt vmcnt(7)
	v_mov_b32_e32 v70, v101
	v_pk_add_f32 v[68:69], v[68:69], v[90:91]
	v_mov_b32_e32 v83, v71
	s_waitcnt lgkmcnt(1)
	v_pk_mul_f32 v[70:71], v[74:75], v[70:71] op_sel_hi:[1,0]
	v_pk_add_f32 v[68:69], v[68:69], v[86:87]
	s_waitcnt vmcnt(6)
	v_pk_fma_f32 v[72:73], v[74:75], v[100:101], v[70:71] op_sel:[0,0,1] op_sel_hi:[1,1,0] neg_lo:[0,0,1] neg_hi:[0,0,1]
	v_pk_fma_f32 v[70:71], v[74:75], v[100:101], v[70:71] op_sel:[0,0,1] op_sel_hi:[1,0,0]
	v_pk_add_f32 v[68:69], v[68:69], v[84:85]
	s_waitcnt vmcnt(5)
	v_mov_b32_e32 v70, v103
	v_pk_add_f32 v[68:69], v[68:69], v[82:83]
	v_mov_b32_e32 v73, v71
	v_pk_mul_f32 v[70:71], v[76:77], v[70:71] op_sel_hi:[1,0]
	v_pk_add_f32 v[68:69], v[68:69], v[72:73]
	s_waitcnt vmcnt(4)
	v_pk_fma_f32 v[72:73], v[76:77], v[102:103], v[70:71] op_sel:[0,0,1] op_sel_hi:[1,1,0] neg_lo:[0,0,1] neg_hi:[0,0,1]
	v_pk_fma_f32 v[70:71], v[76:77], v[102:103], v[70:71] op_sel:[0,0,1] op_sel_hi:[1,0,0]
	s_waitcnt vmcnt(3)
	v_mov_b32_e32 v70, v105
	v_mov_b32_e32 v73, v71
	s_waitcnt lgkmcnt(0)
	v_pk_mul_f32 v[70:71], v[78:79], v[70:71] op_sel_hi:[1,0]
	v_pk_add_f32 v[68:69], v[68:69], v[72:73]
	s_waitcnt vmcnt(2)
	v_pk_fma_f32 v[72:73], v[78:79], v[104:105], v[70:71] op_sel:[0,0,1] op_sel_hi:[1,1,0] neg_lo:[0,0,1] neg_hi:[0,0,1]
	v_pk_fma_f32 v[70:71], v[78:79], v[104:105], v[70:71] op_sel:[0,0,1] op_sel_hi:[1,0,0]
	s_waitcnt vmcnt(1)
	v_mov_b32_e32 v70, v107
	v_mov_b32_e32 v73, v71
	v_pk_mul_f32 v[70:71], v[80:81], v[70:71] op_sel_hi:[1,0]
	v_pk_add_f32 v[68:69], v[68:69], v[72:73]
	s_waitcnt vmcnt(0)
	v_pk_fma_f32 v[72:73], v[80:81], v[106:107], v[70:71] op_sel:[0,0,1] op_sel_hi:[1,1,0] neg_lo:[0,0,1] neg_hi:[0,0,1]
	v_pk_fma_f32 v[70:71], v[80:81], v[106:107], v[70:71] op_sel:[0,0,1] op_sel_hi:[1,0,0]
	v_mov_b32_e32 v73, v71
	v_pk_add_f32 v[68:69], v[68:69], v[72:73]
	v_pk_add_f32 v[66:67], v[66:67], v[68:69] neg_lo:[0,1] neg_hi:[0,1]
	buffer_store_dword v67, off, s[0:3], 0 offset:140
	buffer_store_dword v66, off, s[0:3], 0 offset:136
	s_and_saveexec_b64 s[4:5], vcc
	s_cbranch_execz .LBB31_173
; %bb.172:
	buffer_load_dword v66, off, s[0:3], 0 offset:128
	buffer_load_dword v67, off, s[0:3], 0 offset:132
	v_mov_b32_e32 v68, 0
	buffer_store_dword v68, off, s[0:3], 0 offset:128
	buffer_store_dword v68, off, s[0:3], 0 offset:132
	s_waitcnt vmcnt(2)
	ds_write_b64 v1, v[66:67]
.LBB31_173:
	s_or_b64 exec, exec, s[4:5]
	v_mov_b32_e32 v68, 0
	s_waitcnt lgkmcnt(0)
	; wave barrier
	s_waitcnt lgkmcnt(0)
	ds_read2_b64 v[70:73], v68 offset0:49 offset1:50
	buffer_load_dword v66, off, s[0:3], 0 offset:128
	buffer_load_dword v67, off, s[0:3], 0 offset:132
	;; [unrolled: 1-line block ×16, first 2 shown]
	v_cmp_lt_u32_e32 vcc, 15, v0
	s_waitcnt vmcnt(12) lgkmcnt(0)
	v_mul_f32_e32 v74, v70, v86
	v_fmac_f32_e32 v74, v71, v69
	s_waitcnt vmcnt(10)
	v_mul_f32_e32 v75, v72, v90
	v_add_f32_e32 v74, 0, v74
	v_fmac_f32_e32 v75, v73, v88
	v_add_f32_e32 v78, v74, v75
	ds_read2_b64 v[74:77], v68 offset0:51 offset1:52
	v_mul_f32_e32 v71, v71, v86
	v_fma_f32 v69, v70, v69, -v71
	v_mul_f32_e32 v70, v73, v90
	v_add_f32_e32 v69, 0, v69
	s_waitcnt vmcnt(8) lgkmcnt(0)
	v_mul_f32_e32 v79, v74, v109
	v_fmac_f32_e32 v79, v75, v108
	v_add_f32_e32 v78, v78, v79
	s_waitcnt vmcnt(6)
	v_mul_f32_e32 v79, v76, v111
	v_fmac_f32_e32 v79, v77, v110
	v_add_f32_e32 v82, v78, v79
	ds_read2_b64 v[78:81], v68 offset0:53 offset1:54
	v_fma_f32 v70, v72, v88, -v70
	v_add_f32_e32 v69, v69, v70
	v_mul_f32_e32 v70, v75, v109
	v_fma_f32 v70, v74, v108, -v70
	s_waitcnt vmcnt(4) lgkmcnt(0)
	v_mul_f32_e32 v83, v78, v113
	v_fmac_f32_e32 v83, v79, v112
	v_add_f32_e32 v87, v82, v83
	ds_read2_b64 v[82:85], v68 offset0:55 offset1:56
	buffer_load_dword v93, off, s[0:3], 0 offset:196
	buffer_load_dword v92, off, s[0:3], 0 offset:192
	;; [unrolled: 1-line block ×16, first 2 shown]
	v_add_f32_e32 v69, v69, v70
	v_mul_f32_e32 v70, v77, v111
	v_fma_f32 v70, v76, v110, -v70
	v_add_f32_e32 v69, v69, v70
	v_mul_f32_e32 v70, v79, v113
	v_fma_f32 v70, v78, v112, -v70
	s_waitcnt vmcnt(18)
	v_mul_f32_e32 v89, v80, v115
	v_add_f32_e32 v86, v69, v70
	v_mul_f32_e32 v69, v81, v115
	v_fmac_f32_e32 v89, v81, v114
	v_fma_f32 v88, v80, v114, -v69
	s_waitcnt vmcnt(16) lgkmcnt(0)
	v_mul_f32_e32 v91, v82, v117
	v_mul_f32_e32 v69, v83, v117
	v_pk_add_f32 v[86:87], v[86:87], v[88:89]
	v_fmac_f32_e32 v91, v83, v116
	v_fma_f32 v90, v82, v116, -v69
	v_pk_add_f32 v[86:87], v[86:87], v[90:91]
	ds_read2_b64 v[70:73], v68 offset0:57 offset1:58
	ds_read2_b64 v[74:77], v68 offset0:59 offset1:60
	ds_read2_b64 v[78:81], v68 offset0:61 offset1:62
	ds_read_b64 v[82:83], v68 offset:504
	s_waitcnt vmcnt(15)
	v_mov_b32_e32 v88, v93
	v_pk_mul_f32 v[88:89], v[84:85], v[88:89] op_sel_hi:[1,0]
	s_waitcnt vmcnt(14)
	v_pk_fma_f32 v[90:91], v[84:85], v[92:93], v[88:89] op_sel:[0,0,1] op_sel_hi:[1,1,0] neg_lo:[0,0,1] neg_hi:[0,0,1]
	v_pk_fma_f32 v[84:85], v[84:85], v[92:93], v[88:89] op_sel:[0,0,1] op_sel_hi:[1,0,0]
	v_mov_b32_e32 v91, v85
	v_pk_add_f32 v[84:85], v[86:87], v[90:91]
	s_waitcnt vmcnt(13)
	v_mov_b32_e32 v86, v95
	s_waitcnt lgkmcnt(3)
	v_pk_mul_f32 v[86:87], v[70:71], v[86:87] op_sel_hi:[1,0]
	s_waitcnt vmcnt(12)
	v_pk_fma_f32 v[88:89], v[70:71], v[94:95], v[86:87] op_sel:[0,0,1] op_sel_hi:[1,1,0] neg_lo:[0,0,1] neg_hi:[0,0,1]
	v_pk_fma_f32 v[70:71], v[70:71], v[94:95], v[86:87] op_sel:[0,0,1] op_sel_hi:[1,0,0]
	v_mov_b32_e32 v89, v71
	v_pk_add_f32 v[70:71], v[84:85], v[88:89]
	s_waitcnt vmcnt(11)
	v_mov_b32_e32 v84, v97
	v_pk_mul_f32 v[84:85], v[72:73], v[84:85] op_sel_hi:[1,0]
	s_waitcnt vmcnt(10)
	v_pk_fma_f32 v[86:87], v[72:73], v[96:97], v[84:85] op_sel:[0,0,1] op_sel_hi:[1,1,0] neg_lo:[0,0,1] neg_hi:[0,0,1]
	v_pk_fma_f32 v[72:73], v[72:73], v[96:97], v[84:85] op_sel:[0,0,1] op_sel_hi:[1,0,0]
	s_waitcnt vmcnt(9)
	v_mov_b32_e32 v72, v99
	v_mov_b32_e32 v87, v73
	s_waitcnt lgkmcnt(2)
	v_pk_mul_f32 v[72:73], v[74:75], v[72:73] op_sel_hi:[1,0]
	s_waitcnt vmcnt(8)
	v_pk_fma_f32 v[84:85], v[74:75], v[98:99], v[72:73] op_sel:[0,0,1] op_sel_hi:[1,1,0] neg_lo:[0,0,1] neg_hi:[0,0,1]
	v_pk_fma_f32 v[72:73], v[74:75], v[98:99], v[72:73] op_sel:[0,0,1] op_sel_hi:[1,0,0]
	s_waitcnt vmcnt(7)
	v_mov_b32_e32 v72, v101
	v_mov_b32_e32 v85, v73
	v_pk_mul_f32 v[72:73], v[76:77], v[72:73] op_sel_hi:[1,0]
	s_waitcnt vmcnt(6)
	v_pk_fma_f32 v[74:75], v[76:77], v[100:101], v[72:73] op_sel:[0,0,1] op_sel_hi:[1,1,0] neg_lo:[0,0,1] neg_hi:[0,0,1]
	v_pk_fma_f32 v[72:73], v[76:77], v[100:101], v[72:73] op_sel:[0,0,1] op_sel_hi:[1,0,0]
	v_pk_add_f32 v[70:71], v[70:71], v[86:87]
	s_waitcnt vmcnt(5)
	v_mov_b32_e32 v72, v103
	v_pk_add_f32 v[70:71], v[70:71], v[84:85]
	v_mov_b32_e32 v75, v73
	s_waitcnt lgkmcnt(1)
	v_pk_mul_f32 v[72:73], v[78:79], v[72:73] op_sel_hi:[1,0]
	v_pk_add_f32 v[70:71], v[70:71], v[74:75]
	s_waitcnt vmcnt(4)
	v_pk_fma_f32 v[74:75], v[78:79], v[102:103], v[72:73] op_sel:[0,0,1] op_sel_hi:[1,1,0] neg_lo:[0,0,1] neg_hi:[0,0,1]
	v_pk_fma_f32 v[72:73], v[78:79], v[102:103], v[72:73] op_sel:[0,0,1] op_sel_hi:[1,0,0]
	s_waitcnt vmcnt(3)
	v_mov_b32_e32 v72, v105
	v_mov_b32_e32 v75, v73
	v_pk_mul_f32 v[72:73], v[80:81], v[72:73] op_sel_hi:[1,0]
	v_pk_add_f32 v[70:71], v[70:71], v[74:75]
	s_waitcnt vmcnt(2)
	v_pk_fma_f32 v[74:75], v[80:81], v[104:105], v[72:73] op_sel:[0,0,1] op_sel_hi:[1,1,0] neg_lo:[0,0,1] neg_hi:[0,0,1]
	v_pk_fma_f32 v[72:73], v[80:81], v[104:105], v[72:73] op_sel:[0,0,1] op_sel_hi:[1,0,0]
	s_waitcnt vmcnt(1)
	v_mov_b32_e32 v72, v107
	v_mov_b32_e32 v75, v73
	s_waitcnt lgkmcnt(0)
	v_pk_mul_f32 v[72:73], v[82:83], v[72:73] op_sel_hi:[1,0]
	v_pk_add_f32 v[70:71], v[70:71], v[74:75]
	s_waitcnt vmcnt(0)
	v_pk_fma_f32 v[74:75], v[82:83], v[106:107], v[72:73] op_sel:[0,0,1] op_sel_hi:[1,1,0] neg_lo:[0,0,1] neg_hi:[0,0,1]
	v_pk_fma_f32 v[72:73], v[82:83], v[106:107], v[72:73] op_sel:[0,0,1] op_sel_hi:[1,0,0]
	v_mov_b32_e32 v75, v73
	v_pk_add_f32 v[70:71], v[70:71], v[74:75]
	v_pk_add_f32 v[66:67], v[66:67], v[70:71] neg_lo:[0,1] neg_hi:[0,1]
	buffer_store_dword v67, off, s[0:3], 0 offset:132
	buffer_store_dword v66, off, s[0:3], 0 offset:128
	s_and_saveexec_b64 s[4:5], vcc
	s_cbranch_execz .LBB31_175
; %bb.174:
	buffer_load_dword v66, off, s[0:3], 0 offset:120
	buffer_load_dword v67, off, s[0:3], 0 offset:124
	s_waitcnt vmcnt(0)
	ds_write_b64 v1, v[66:67]
	buffer_store_dword v68, off, s[0:3], 0 offset:120
	buffer_store_dword v68, off, s[0:3], 0 offset:124
.LBB31_175:
	s_or_b64 exec, exec, s[4:5]
	s_waitcnt lgkmcnt(0)
	; wave barrier
	s_waitcnt lgkmcnt(0)
	ds_read_b128 v[70:73], v68 offset:384
	ds_read_b128 v[74:77], v68 offset:400
	;; [unrolled: 1-line block ×4, first 2 shown]
	buffer_load_dword v66, off, s[0:3], 0 offset:120
	buffer_load_dword v67, off, s[0:3], 0 offset:124
	;; [unrolled: 1-line block ×20, first 2 shown]
	v_cmp_lt_u32_e32 vcc, 14, v0
	s_waitcnt vmcnt(16) lgkmcnt(3)
	v_mul_f32_e32 v86, v70, v90
	v_fmac_f32_e32 v86, v71, v69
	s_waitcnt vmcnt(14)
	v_mul_f32_e32 v87, v72, v94
	v_add_f32_e32 v86, 0, v86
	v_fmac_f32_e32 v87, v73, v92
	v_add_f32_e32 v86, v86, v87
	s_waitcnt vmcnt(12) lgkmcnt(2)
	v_mul_f32_e32 v87, v74, v113
	v_fmac_f32_e32 v87, v75, v112
	v_add_f32_e32 v86, v86, v87
	s_waitcnt vmcnt(10)
	v_mul_f32_e32 v87, v76, v115
	v_fmac_f32_e32 v87, v77, v114
	v_add_f32_e32 v86, v86, v87
	s_waitcnt vmcnt(8) lgkmcnt(1)
	v_mul_f32_e32 v87, v78, v117
	v_fmac_f32_e32 v87, v79, v116
	v_add_f32_e32 v86, v86, v87
	s_waitcnt vmcnt(6)
	v_mul_f32_e32 v87, v80, v119
	v_fmac_f32_e32 v87, v81, v118
	v_add_f32_e32 v91, v86, v87
	ds_read_b128 v[86:89], v68 offset:448
	buffer_load_dword v99, off, s[0:3], 0 offset:204
	buffer_load_dword v98, off, s[0:3], 0 offset:200
	;; [unrolled: 1-line block ×14, first 2 shown]
	v_mul_f32_e32 v71, v71, v90
	v_fma_f32 v69, v70, v69, -v71
	v_mul_f32_e32 v70, v73, v94
	v_add_f32_e32 v69, 0, v69
	v_fma_f32 v70, v72, v92, -v70
	v_add_f32_e32 v69, v69, v70
	v_mul_f32_e32 v70, v75, v113
	v_fma_f32 v70, v74, v112, -v70
	v_add_f32_e32 v69, v69, v70
	v_mul_f32_e32 v70, v77, v115
	;; [unrolled: 3-line block ×4, first 2 shown]
	v_fma_f32 v70, v80, v118, -v70
	v_add_f32_e32 v90, v69, v70
	s_waitcnt vmcnt(18) lgkmcnt(1)
	v_mul_f32_e32 v69, v83, v121
	v_mul_f32_e32 v93, v82, v121
	v_fma_f32 v92, v82, v120, -v69
	s_waitcnt vmcnt(15)
	v_mov_b32_e32 v82, v97
	v_fmac_f32_e32 v93, v83, v120
	v_mul_f32_e32 v95, v84, v123
	v_mul_f32_e32 v69, v85, v123
	s_waitcnt lgkmcnt(0)
	v_pk_mul_f32 v[82:83], v[86:87], v[82:83] op_sel_hi:[1,0]
	v_fmac_f32_e32 v95, v85, v122
	v_fma_f32 v94, v84, v122, -v69
	s_waitcnt vmcnt(14)
	v_pk_fma_f32 v[84:85], v[86:87], v[96:97], v[82:83] op_sel:[0,0,1] op_sel_hi:[1,1,0] neg_lo:[0,0,1] neg_hi:[0,0,1]
	v_pk_fma_f32 v[82:83], v[86:87], v[96:97], v[82:83] op_sel:[0,0,1] op_sel_hi:[1,0,0]
	ds_read_b128 v[70:73], v68 offset:464
	ds_read_b128 v[74:77], v68 offset:480
	;; [unrolled: 1-line block ×3, first 2 shown]
	v_pk_add_f32 v[68:69], v[90:91], v[92:93]
	v_pk_add_f32 v[68:69], v[68:69], v[94:95]
	v_mov_b32_e32 v85, v83
	v_pk_add_f32 v[68:69], v[68:69], v[84:85]
	s_waitcnt vmcnt(13)
	v_mov_b32_e32 v82, v99
	v_pk_mul_f32 v[82:83], v[88:89], v[82:83] op_sel_hi:[1,0]
	s_waitcnt vmcnt(12)
	v_pk_fma_f32 v[84:85], v[88:89], v[98:99], v[82:83] op_sel:[0,0,1] op_sel_hi:[1,1,0] neg_lo:[0,0,1] neg_hi:[0,0,1]
	v_pk_fma_f32 v[82:83], v[88:89], v[98:99], v[82:83] op_sel:[0,0,1] op_sel_hi:[1,0,0]
	s_waitcnt vmcnt(11)
	v_mov_b32_e32 v82, v101
	v_mov_b32_e32 v85, v83
	s_waitcnt lgkmcnt(2)
	v_pk_mul_f32 v[82:83], v[70:71], v[82:83] op_sel_hi:[1,0]
	v_pk_add_f32 v[68:69], v[68:69], v[84:85]
	s_waitcnt vmcnt(10)
	v_pk_fma_f32 v[84:85], v[70:71], v[100:101], v[82:83] op_sel:[0,0,1] op_sel_hi:[1,1,0] neg_lo:[0,0,1] neg_hi:[0,0,1]
	v_pk_fma_f32 v[70:71], v[70:71], v[100:101], v[82:83] op_sel:[0,0,1] op_sel_hi:[1,0,0]
	s_waitcnt vmcnt(9)
	v_mov_b32_e32 v70, v103
	v_mov_b32_e32 v85, v71
	v_pk_mul_f32 v[70:71], v[72:73], v[70:71] op_sel_hi:[1,0]
	s_waitcnt vmcnt(8)
	v_pk_fma_f32 v[82:83], v[72:73], v[102:103], v[70:71] op_sel:[0,0,1] op_sel_hi:[1,1,0] neg_lo:[0,0,1] neg_hi:[0,0,1]
	v_pk_fma_f32 v[70:71], v[72:73], v[102:103], v[70:71] op_sel:[0,0,1] op_sel_hi:[1,0,0]
	s_waitcnt vmcnt(7)
	v_mov_b32_e32 v70, v105
	v_mov_b32_e32 v83, v71
	s_waitcnt lgkmcnt(1)
	v_pk_mul_f32 v[70:71], v[74:75], v[70:71] op_sel_hi:[1,0]
	s_waitcnt vmcnt(6)
	v_pk_fma_f32 v[72:73], v[74:75], v[104:105], v[70:71] op_sel:[0,0,1] op_sel_hi:[1,1,0] neg_lo:[0,0,1] neg_hi:[0,0,1]
	v_pk_fma_f32 v[70:71], v[74:75], v[104:105], v[70:71] op_sel:[0,0,1] op_sel_hi:[1,0,0]
	v_pk_add_f32 v[68:69], v[68:69], v[84:85]
	s_waitcnt vmcnt(5)
	v_mov_b32_e32 v70, v107
	v_pk_add_f32 v[68:69], v[68:69], v[82:83]
	v_mov_b32_e32 v73, v71
	v_pk_mul_f32 v[70:71], v[76:77], v[70:71] op_sel_hi:[1,0]
	v_pk_add_f32 v[68:69], v[68:69], v[72:73]
	s_waitcnt vmcnt(4)
	v_pk_fma_f32 v[72:73], v[76:77], v[106:107], v[70:71] op_sel:[0,0,1] op_sel_hi:[1,1,0] neg_lo:[0,0,1] neg_hi:[0,0,1]
	v_pk_fma_f32 v[70:71], v[76:77], v[106:107], v[70:71] op_sel:[0,0,1] op_sel_hi:[1,0,0]
	s_waitcnt vmcnt(3)
	v_mov_b32_e32 v70, v109
	v_mov_b32_e32 v73, v71
	s_waitcnt lgkmcnt(0)
	v_pk_mul_f32 v[70:71], v[78:79], v[70:71] op_sel_hi:[1,0]
	v_pk_add_f32 v[68:69], v[68:69], v[72:73]
	s_waitcnt vmcnt(2)
	v_pk_fma_f32 v[72:73], v[78:79], v[108:109], v[70:71] op_sel:[0,0,1] op_sel_hi:[1,1,0] neg_lo:[0,0,1] neg_hi:[0,0,1]
	v_pk_fma_f32 v[70:71], v[78:79], v[108:109], v[70:71] op_sel:[0,0,1] op_sel_hi:[1,0,0]
	s_waitcnt vmcnt(1)
	v_mov_b32_e32 v70, v111
	v_mov_b32_e32 v73, v71
	v_pk_mul_f32 v[70:71], v[80:81], v[70:71] op_sel_hi:[1,0]
	v_pk_add_f32 v[68:69], v[68:69], v[72:73]
	s_waitcnt vmcnt(0)
	v_pk_fma_f32 v[72:73], v[80:81], v[110:111], v[70:71] op_sel:[0,0,1] op_sel_hi:[1,1,0] neg_lo:[0,0,1] neg_hi:[0,0,1]
	v_pk_fma_f32 v[70:71], v[80:81], v[110:111], v[70:71] op_sel:[0,0,1] op_sel_hi:[1,0,0]
	v_mov_b32_e32 v73, v71
	v_pk_add_f32 v[68:69], v[68:69], v[72:73]
	v_pk_add_f32 v[66:67], v[66:67], v[68:69] neg_lo:[0,1] neg_hi:[0,1]
	buffer_store_dword v67, off, s[0:3], 0 offset:124
	buffer_store_dword v66, off, s[0:3], 0 offset:120
	s_and_saveexec_b64 s[4:5], vcc
	s_cbranch_execz .LBB31_177
; %bb.176:
	buffer_load_dword v66, off, s[0:3], 0 offset:112
	buffer_load_dword v67, off, s[0:3], 0 offset:116
	v_mov_b32_e32 v68, 0
	buffer_store_dword v68, off, s[0:3], 0 offset:112
	buffer_store_dword v68, off, s[0:3], 0 offset:116
	s_waitcnt vmcnt(2)
	ds_write_b64 v1, v[66:67]
.LBB31_177:
	s_or_b64 exec, exec, s[4:5]
	v_mov_b32_e32 v68, 0
	s_waitcnt lgkmcnt(0)
	; wave barrier
	s_waitcnt lgkmcnt(0)
	ds_read2_b64 v[70:73], v68 offset0:47 offset1:48
	buffer_load_dword v66, off, s[0:3], 0 offset:112
	buffer_load_dword v67, off, s[0:3], 0 offset:116
	;; [unrolled: 1-line block ×16, first 2 shown]
	v_cmp_lt_u32_e32 vcc, 13, v0
	s_waitcnt vmcnt(12) lgkmcnt(0)
	v_mul_f32_e32 v74, v70, v90
	v_fmac_f32_e32 v74, v71, v69
	s_waitcnt vmcnt(10)
	v_mul_f32_e32 v75, v72, v94
	v_add_f32_e32 v74, 0, v74
	v_fmac_f32_e32 v75, v73, v92
	v_add_f32_e32 v78, v74, v75
	ds_read2_b64 v[74:77], v68 offset0:49 offset1:50
	v_mul_f32_e32 v71, v71, v90
	v_fma_f32 v69, v70, v69, -v71
	v_mul_f32_e32 v70, v73, v94
	v_add_f32_e32 v69, 0, v69
	s_waitcnt vmcnt(8) lgkmcnt(0)
	v_mul_f32_e32 v79, v74, v113
	v_fmac_f32_e32 v79, v75, v112
	v_add_f32_e32 v78, v78, v79
	s_waitcnt vmcnt(6)
	v_mul_f32_e32 v79, v76, v115
	v_fmac_f32_e32 v79, v77, v114
	v_add_f32_e32 v82, v78, v79
	ds_read2_b64 v[78:81], v68 offset0:51 offset1:52
	v_fma_f32 v70, v72, v92, -v70
	v_add_f32_e32 v69, v69, v70
	v_mul_f32_e32 v70, v75, v113
	v_fma_f32 v70, v74, v112, -v70
	s_waitcnt vmcnt(4) lgkmcnt(0)
	v_mul_f32_e32 v83, v78, v117
	v_fmac_f32_e32 v83, v79, v116
	v_add_f32_e32 v82, v82, v83
	s_waitcnt vmcnt(2)
	v_mul_f32_e32 v83, v80, v119
	v_fmac_f32_e32 v83, v81, v118
	v_add_f32_e32 v86, v82, v83
	ds_read2_b64 v[82:85], v68 offset0:53 offset1:54
	buffer_load_dword v122, off, s[0:3], 0 offset:176
	buffer_load_dword v123, off, s[0:3], 0 offset:180
	v_add_f32_e32 v69, v69, v70
	v_mul_f32_e32 v70, v77, v115
	v_fma_f32 v70, v76, v114, -v70
	s_waitcnt vmcnt(2) lgkmcnt(0)
	v_mul_f32_e32 v87, v82, v121
	v_fmac_f32_e32 v87, v83, v120
	v_add_f32_e32 v91, v86, v87
	ds_read2_b64 v[86:89], v68 offset0:55 offset1:56
	buffer_load_dword v124, off, s[0:3], 0 offset:184
	buffer_load_dword v125, off, s[0:3], 0 offset:188
	;; [unrolled: 1-line block ×18, first 2 shown]
	v_add_f32_e32 v69, v69, v70
	v_mul_f32_e32 v70, v79, v117
	v_fma_f32 v70, v78, v116, -v70
	v_add_f32_e32 v69, v69, v70
	v_mul_f32_e32 v70, v81, v119
	v_fma_f32 v70, v80, v118, -v70
	;; [unrolled: 3-line block ×3, first 2 shown]
	v_add_f32_e32 v90, v69, v70
	ds_read2_b64 v[70:73], v68 offset0:57 offset1:58
	ds_read2_b64 v[74:77], v68 offset0:59 offset1:60
	;; [unrolled: 1-line block ×3, first 2 shown]
	ds_read_b64 v[82:83], v68 offset:504
	s_waitcnt vmcnt(18)
	v_mul_f32_e32 v69, v85, v123
	v_fma_f32 v92, v84, v122, -v69
	v_mul_f32_e32 v93, v84, v123
	v_fmac_f32_e32 v93, v85, v122
	v_pk_add_f32 v[84:85], v[90:91], v[92:93]
	s_waitcnt vmcnt(16) lgkmcnt(4)
	v_mul_f32_e32 v69, v87, v125
	v_mul_f32_e32 v95, v86, v125
	v_fma_f32 v94, v86, v124, -v69
	s_waitcnt vmcnt(15)
	v_mov_b32_e32 v86, v97
	v_fmac_f32_e32 v95, v87, v124
	v_pk_mul_f32 v[86:87], v[88:89], v[86:87] op_sel_hi:[1,0]
	s_waitcnt vmcnt(14)
	v_pk_fma_f32 v[90:91], v[88:89], v[96:97], v[86:87] op_sel:[0,0,1] op_sel_hi:[1,1,0] neg_lo:[0,0,1] neg_hi:[0,0,1]
	v_pk_fma_f32 v[86:87], v[88:89], v[96:97], v[86:87] op_sel:[0,0,1] op_sel_hi:[1,0,0]
	s_waitcnt vmcnt(13)
	v_mov_b32_e32 v86, v99
	v_mov_b32_e32 v91, v87
	s_waitcnt lgkmcnt(3)
	v_pk_mul_f32 v[86:87], v[70:71], v[86:87] op_sel_hi:[1,0]
	v_pk_add_f32 v[84:85], v[84:85], v[94:95]
	s_waitcnt vmcnt(12)
	v_pk_fma_f32 v[88:89], v[70:71], v[98:99], v[86:87] op_sel:[0,0,1] op_sel_hi:[1,1,0] neg_lo:[0,0,1] neg_hi:[0,0,1]
	v_pk_fma_f32 v[70:71], v[70:71], v[98:99], v[86:87] op_sel:[0,0,1] op_sel_hi:[1,0,0]
	v_pk_add_f32 v[84:85], v[84:85], v[90:91]
	v_mov_b32_e32 v89, v71
	v_pk_add_f32 v[70:71], v[84:85], v[88:89]
	s_waitcnt vmcnt(11)
	v_mov_b32_e32 v84, v101
	v_pk_mul_f32 v[84:85], v[72:73], v[84:85] op_sel_hi:[1,0]
	s_waitcnt vmcnt(10)
	v_pk_fma_f32 v[86:87], v[72:73], v[100:101], v[84:85] op_sel:[0,0,1] op_sel_hi:[1,1,0] neg_lo:[0,0,1] neg_hi:[0,0,1]
	v_pk_fma_f32 v[72:73], v[72:73], v[100:101], v[84:85] op_sel:[0,0,1] op_sel_hi:[1,0,0]
	s_waitcnt vmcnt(9)
	v_mov_b32_e32 v72, v103
	v_mov_b32_e32 v87, v73
	s_waitcnt lgkmcnt(2)
	v_pk_mul_f32 v[72:73], v[74:75], v[72:73] op_sel_hi:[1,0]
	s_waitcnt vmcnt(8)
	v_pk_fma_f32 v[84:85], v[74:75], v[102:103], v[72:73] op_sel:[0,0,1] op_sel_hi:[1,1,0] neg_lo:[0,0,1] neg_hi:[0,0,1]
	v_pk_fma_f32 v[72:73], v[74:75], v[102:103], v[72:73] op_sel:[0,0,1] op_sel_hi:[1,0,0]
	s_waitcnt vmcnt(7)
	v_mov_b32_e32 v72, v105
	v_mov_b32_e32 v85, v73
	v_pk_mul_f32 v[72:73], v[76:77], v[72:73] op_sel_hi:[1,0]
	s_waitcnt vmcnt(6)
	v_pk_fma_f32 v[74:75], v[76:77], v[104:105], v[72:73] op_sel:[0,0,1] op_sel_hi:[1,1,0] neg_lo:[0,0,1] neg_hi:[0,0,1]
	v_pk_fma_f32 v[72:73], v[76:77], v[104:105], v[72:73] op_sel:[0,0,1] op_sel_hi:[1,0,0]
	v_pk_add_f32 v[70:71], v[70:71], v[86:87]
	s_waitcnt vmcnt(5)
	v_mov_b32_e32 v72, v107
	v_pk_add_f32 v[70:71], v[70:71], v[84:85]
	v_mov_b32_e32 v75, v73
	s_waitcnt lgkmcnt(1)
	v_pk_mul_f32 v[72:73], v[78:79], v[72:73] op_sel_hi:[1,0]
	v_pk_add_f32 v[70:71], v[70:71], v[74:75]
	s_waitcnt vmcnt(4)
	v_pk_fma_f32 v[74:75], v[78:79], v[106:107], v[72:73] op_sel:[0,0,1] op_sel_hi:[1,1,0] neg_lo:[0,0,1] neg_hi:[0,0,1]
	v_pk_fma_f32 v[72:73], v[78:79], v[106:107], v[72:73] op_sel:[0,0,1] op_sel_hi:[1,0,0]
	s_waitcnt vmcnt(3)
	v_mov_b32_e32 v72, v109
	v_mov_b32_e32 v75, v73
	v_pk_mul_f32 v[72:73], v[80:81], v[72:73] op_sel_hi:[1,0]
	v_pk_add_f32 v[70:71], v[70:71], v[74:75]
	s_waitcnt vmcnt(2)
	v_pk_fma_f32 v[74:75], v[80:81], v[108:109], v[72:73] op_sel:[0,0,1] op_sel_hi:[1,1,0] neg_lo:[0,0,1] neg_hi:[0,0,1]
	v_pk_fma_f32 v[72:73], v[80:81], v[108:109], v[72:73] op_sel:[0,0,1] op_sel_hi:[1,0,0]
	s_waitcnt vmcnt(1)
	v_mov_b32_e32 v72, v111
	v_mov_b32_e32 v75, v73
	s_waitcnt lgkmcnt(0)
	v_pk_mul_f32 v[72:73], v[82:83], v[72:73] op_sel_hi:[1,0]
	v_pk_add_f32 v[70:71], v[70:71], v[74:75]
	s_waitcnt vmcnt(0)
	v_pk_fma_f32 v[74:75], v[82:83], v[110:111], v[72:73] op_sel:[0,0,1] op_sel_hi:[1,1,0] neg_lo:[0,0,1] neg_hi:[0,0,1]
	v_pk_fma_f32 v[72:73], v[82:83], v[110:111], v[72:73] op_sel:[0,0,1] op_sel_hi:[1,0,0]
	v_mov_b32_e32 v75, v73
	v_pk_add_f32 v[70:71], v[70:71], v[74:75]
	v_pk_add_f32 v[66:67], v[66:67], v[70:71] neg_lo:[0,1] neg_hi:[0,1]
	buffer_store_dword v67, off, s[0:3], 0 offset:116
	buffer_store_dword v66, off, s[0:3], 0 offset:112
	s_and_saveexec_b64 s[4:5], vcc
	s_cbranch_execz .LBB31_179
; %bb.178:
	buffer_load_dword v66, off, s[0:3], 0 offset:104
	buffer_load_dword v67, off, s[0:3], 0 offset:108
	s_waitcnt vmcnt(0)
	ds_write_b64 v1, v[66:67]
	buffer_store_dword v68, off, s[0:3], 0 offset:104
	buffer_store_dword v68, off, s[0:3], 0 offset:108
.LBB31_179:
	s_or_b64 exec, exec, s[4:5]
	s_waitcnt lgkmcnt(0)
	; wave barrier
	s_waitcnt lgkmcnt(0)
	buffer_load_dword v66, off, s[0:3], 0 offset:116
	buffer_load_dword v67, off, s[0:3], 0 offset:124
	;; [unrolled: 1-line block ×22, first 2 shown]
	ds_read_b128 v[70:73], v68 offset:368
	ds_read_b128 v[74:77], v68 offset:384
	buffer_load_dword v97, off, s[0:3], 0 offset:196
	buffer_load_dword v96, off, s[0:3], 0 offset:192
	;; [unrolled: 1-line block ×10, first 2 shown]
	ds_read_b128 v[78:81], v68 offset:400
	ds_read_b128 v[82:85], v68 offset:416
	;; [unrolled: 1-line block ×4, first 2 shown]
	buffer_load_dword v107, off, s[0:3], 0 offset:252
	buffer_load_dword v106, off, s[0:3], 0 offset:248
	buffer_load_dword v109, off, s[0:3], 0 offset:244
	buffer_load_dword v108, off, s[0:3], 0 offset:240
	buffer_load_dword v111, off, s[0:3], 0 offset:236
	buffer_load_dword v110, off, s[0:3], 0 offset:232
	v_cmp_lt_u32_e32 vcc, 12, v0
	s_waitcnt vmcnt(37) lgkmcnt(5)
	v_mul_f32_e32 v131, v70, v66
	s_waitcnt vmcnt(36)
	v_mul_f32_e32 v132, v72, v67
	v_mul_f32_e32 v66, v71, v66
	;; [unrolled: 1-line block ×3, first 2 shown]
	s_waitcnt vmcnt(35) lgkmcnt(4)
	v_mul_f32_e32 v133, v74, v69
	s_waitcnt vmcnt(34)
	v_mul_f32_e32 v134, v76, v112
	s_waitcnt vmcnt(33) lgkmcnt(3)
	v_mul_f32_e32 v135, v78, v114
	s_waitcnt vmcnt(32)
	v_mul_f32_e32 v136, v80, v116
	v_mul_f32_e32 v69, v75, v69
	s_waitcnt vmcnt(31) lgkmcnt(2)
	v_mul_f32_e32 v137, v82, v117
	s_waitcnt vmcnt(27)
	v_fmac_f32_e32 v131, v71, v121
	s_waitcnt vmcnt(26)
	v_fmac_f32_e32 v132, v73, v122
	v_fma_f32 v66, v70, v121, -v66
	v_fma_f32 v67, v72, v122, -v67
	v_add_f32_e32 v72, 0, v131
	s_waitcnt vmcnt(25)
	v_fmac_f32_e32 v133, v75, v123
	v_add_f32_e32 v66, 0, v66
	v_add_f32_e32 v72, v72, v132
	s_waitcnt vmcnt(24)
	v_fmac_f32_e32 v134, v77, v124
	v_add_f32_e32 v66, v66, v67
	;; [unrolled: 4-line block ×3, first 2 shown]
	v_mul_f32_e32 v112, v77, v112
	s_waitcnt vmcnt(22)
	v_fmac_f32_e32 v136, v81, v126
	v_fma_f32 v69, v74, v123, -v69
	v_add_f32_e32 v67, v67, v135
	v_mul_f32_e32 v138, v84, v118
	v_mul_f32_e32 v114, v79, v114
	s_waitcnt vmcnt(21)
	v_fmac_f32_e32 v137, v83, v127
	v_fma_f32 v70, v76, v124, -v112
	v_add_f32_e32 v66, v66, v69
	v_add_f32_e32 v67, v67, v136
	v_mul_f32_e32 v116, v81, v116
	s_waitcnt vmcnt(20)
	v_fmac_f32_e32 v138, v85, v128
	v_fma_f32 v71, v78, v125, -v114
	v_add_f32_e32 v66, v66, v70
	v_add_f32_e32 v67, v67, v137
	;; [unrolled: 1-line block ×4, first 2 shown]
	v_fma_f32 v67, v80, v126, -v116
	v_add_f32_e32 v66, v66, v67
	v_mul_f32_e32 v67, v83, v117
	v_fma_f32 v67, v82, v127, -v67
	v_add_f32_e32 v66, v66, v67
	v_mul_f32_e32 v67, v85, v118
	v_fma_f32 v67, v84, v128, -v67
	s_waitcnt vmcnt(15)
	v_mov_b32_e32 v80, v97
	s_waitcnt lgkmcnt(1)
	v_mul_f32_e32 v113, v86, v119
	v_add_f32_e32 v78, v66, v67
	v_mul_f32_e32 v66, v87, v119
	s_waitcnt lgkmcnt(0)
	v_pk_mul_f32 v[80:81], v[90:91], v[80:81] op_sel_hi:[1,0]
	v_mul_f32_e32 v115, v88, v120
	v_fmac_f32_e32 v113, v87, v129
	v_fma_f32 v112, v86, v129, -v66
	v_mul_f32_e32 v66, v89, v120
	s_waitcnt vmcnt(14)
	v_pk_fma_f32 v[82:83], v[90:91], v[96:97], v[80:81] op_sel:[0,0,1] op_sel_hi:[1,1,0] neg_lo:[0,0,1] neg_hi:[0,0,1]
	v_pk_fma_f32 v[80:81], v[90:91], v[96:97], v[80:81] op_sel:[0,0,1] op_sel_hi:[1,0,0]
	v_fmac_f32_e32 v115, v89, v130
	v_fma_f32 v114, v88, v130, -v66
	v_pk_add_f32 v[78:79], v[78:79], v[112:113]
	s_waitcnt vmcnt(13)
	v_mov_b32_e32 v80, v99
	ds_read_b128 v[70:73], v68 offset:464
	ds_read_b128 v[74:77], v68 offset:480
	;; [unrolled: 1-line block ×3, first 2 shown]
	v_pk_add_f32 v[78:79], v[78:79], v[114:115]
	v_mov_b32_e32 v83, v81
	v_pk_mul_f32 v[80:81], v[92:93], v[80:81] op_sel_hi:[1,0]
	v_pk_add_f32 v[78:79], v[78:79], v[82:83]
	s_waitcnt vmcnt(6)
	v_pk_fma_f32 v[82:83], v[92:93], v[98:99], v[80:81] op_sel:[0,0,1] op_sel_hi:[1,1,0] neg_lo:[0,0,1] neg_hi:[0,0,1]
	v_pk_fma_f32 v[80:81], v[92:93], v[98:99], v[80:81] op_sel:[0,0,1] op_sel_hi:[1,0,0]
	v_mov_b32_e32 v80, v105
	v_mov_b32_e32 v83, v81
	s_waitcnt lgkmcnt(2)
	v_pk_mul_f32 v[80:81], v[70:71], v[80:81] op_sel_hi:[1,0]
	v_pk_add_f32 v[78:79], v[78:79], v[82:83]
	v_pk_fma_f32 v[82:83], v[70:71], v[104:105], v[80:81] op_sel:[0,0,1] op_sel_hi:[1,1,0] neg_lo:[0,0,1] neg_hi:[0,0,1]
	v_pk_fma_f32 v[70:71], v[70:71], v[104:105], v[80:81] op_sel:[0,0,1] op_sel_hi:[1,0,0]
	v_mov_b32_e32 v83, v71
	v_pk_add_f32 v[70:71], v[78:79], v[82:83]
	v_mov_b32_e32 v78, v103
	v_pk_mul_f32 v[78:79], v[72:73], v[78:79] op_sel_hi:[1,0]
	v_pk_fma_f32 v[80:81], v[72:73], v[102:103], v[78:79] op_sel:[0,0,1] op_sel_hi:[1,1,0] neg_lo:[0,0,1] neg_hi:[0,0,1]
	v_pk_fma_f32 v[72:73], v[72:73], v[102:103], v[78:79] op_sel:[0,0,1] op_sel_hi:[1,0,0]
	v_mov_b32_e32 v72, v101
	v_mov_b32_e32 v81, v73
	s_waitcnt lgkmcnt(1)
	v_pk_mul_f32 v[72:73], v[74:75], v[72:73] op_sel_hi:[1,0]
	v_pk_fma_f32 v[78:79], v[74:75], v[100:101], v[72:73] op_sel:[0,0,1] op_sel_hi:[1,1,0] neg_lo:[0,0,1] neg_hi:[0,0,1]
	v_pk_fma_f32 v[72:73], v[74:75], v[100:101], v[72:73] op_sel:[0,0,1] op_sel_hi:[1,0,0]
	s_waitcnt vmcnt(1)
	v_mov_b32_e32 v72, v111
	v_mov_b32_e32 v79, v73
	v_pk_mul_f32 v[72:73], v[76:77], v[72:73] op_sel_hi:[1,0]
	s_waitcnt vmcnt(0)
	v_pk_fma_f32 v[74:75], v[76:77], v[110:111], v[72:73] op_sel:[0,0,1] op_sel_hi:[1,1,0] neg_lo:[0,0,1] neg_hi:[0,0,1]
	v_pk_fma_f32 v[72:73], v[76:77], v[110:111], v[72:73] op_sel:[0,0,1] op_sel_hi:[1,0,0]
	v_pk_add_f32 v[70:71], v[70:71], v[80:81]
	v_mov_b32_e32 v72, v109
	v_pk_add_f32 v[70:71], v[70:71], v[78:79]
	v_mov_b32_e32 v75, v73
	s_waitcnt lgkmcnt(0)
	v_pk_mul_f32 v[72:73], v[66:67], v[72:73] op_sel_hi:[1,0]
	v_pk_add_f32 v[70:71], v[70:71], v[74:75]
	v_pk_fma_f32 v[74:75], v[66:67], v[108:109], v[72:73] op_sel:[0,0,1] op_sel_hi:[1,1,0] neg_lo:[0,0,1] neg_hi:[0,0,1]
	v_pk_fma_f32 v[66:67], v[66:67], v[108:109], v[72:73] op_sel:[0,0,1] op_sel_hi:[1,0,0]
	v_mov_b32_e32 v75, v67
	v_pk_add_f32 v[66:67], v[70:71], v[74:75]
	v_mov_b32_e32 v70, v107
	v_pk_mul_f32 v[70:71], v[68:69], v[70:71] op_sel_hi:[1,0]
	v_pk_fma_f32 v[72:73], v[68:69], v[106:107], v[70:71] op_sel:[0,0,1] op_sel_hi:[1,1,0] neg_lo:[0,0,1] neg_hi:[0,0,1]
	v_pk_fma_f32 v[68:69], v[68:69], v[106:107], v[70:71] op_sel:[0,0,1] op_sel_hi:[1,0,0]
	v_mov_b32_e32 v73, v69
	v_pk_add_f32 v[66:67], v[66:67], v[72:73]
	v_pk_add_f32 v[66:67], v[94:95], v[66:67] neg_lo:[0,1] neg_hi:[0,1]
	buffer_store_dword v67, off, s[0:3], 0 offset:108
	buffer_store_dword v66, off, s[0:3], 0 offset:104
	s_and_saveexec_b64 s[4:5], vcc
	s_cbranch_execz .LBB31_181
; %bb.180:
	buffer_load_dword v66, off, s[0:3], 0 offset:96
	buffer_load_dword v67, off, s[0:3], 0 offset:100
	v_mov_b32_e32 v68, 0
	buffer_store_dword v68, off, s[0:3], 0 offset:96
	buffer_store_dword v68, off, s[0:3], 0 offset:100
	s_waitcnt vmcnt(2)
	ds_write_b64 v1, v[66:67]
.LBB31_181:
	s_or_b64 exec, exec, s[4:5]
	s_waitcnt lgkmcnt(0)
	; wave barrier
	s_waitcnt lgkmcnt(0)
	buffer_load_dword v67, off, s[0:3], 0 offset:108
	buffer_load_dword v110, off, s[0:3], 0 offset:116
	buffer_load_dword v112, off, s[0:3], 0 offset:124
	buffer_load_dword v114, off, s[0:3], 0 offset:132
	buffer_load_dword v116, off, s[0:3], 0 offset:140
	buffer_load_dword v117, off, s[0:3], 0 offset:148
	buffer_load_dword v118, off, s[0:3], 0 offset:156
	buffer_load_dword v119, off, s[0:3], 0 offset:164
	buffer_load_dword v120, off, s[0:3], 0 offset:172
	buffer_load_dword v121, off, s[0:3], 0 offset:180
	buffer_load_dword v122, off, s[0:3], 0 offset:188
	buffer_load_dword v115, off, s[0:3], 0 offset:104
	buffer_load_dword v123, off, s[0:3], 0 offset:112
	buffer_load_dword v124, off, s[0:3], 0 offset:120
	buffer_load_dword v125, off, s[0:3], 0 offset:128
	buffer_load_dword v126, off, s[0:3], 0 offset:136
	buffer_load_dword v127, off, s[0:3], 0 offset:144
	buffer_load_dword v128, off, s[0:3], 0 offset:152
	buffer_load_dword v129, off, s[0:3], 0 offset:160
	buffer_load_dword v130, off, s[0:3], 0 offset:168
	buffer_load_dword v131, off, s[0:3], 0 offset:176
	buffer_load_dword v132, off, s[0:3], 0 offset:184
	buffer_load_dword v92, off, s[0:3], 0 offset:96
	buffer_load_dword v93, off, s[0:3], 0 offset:100
	buffer_load_dword v95, off, s[0:3], 0 offset:220
	buffer_load_dword v94, off, s[0:3], 0 offset:216
	buffer_load_dword v97, off, s[0:3], 0 offset:212
	buffer_load_dword v96, off, s[0:3], 0 offset:208
	buffer_load_dword v99, off, s[0:3], 0 offset:204
	buffer_load_dword v98, off, s[0:3], 0 offset:200
	buffer_load_dword v101, off, s[0:3], 0 offset:196
	buffer_load_dword v100, off, s[0:3], 0 offset:192
	buffer_load_dword v103, off, s[0:3], 0 offset:252
	buffer_load_dword v102, off, s[0:3], 0 offset:248
	buffer_load_dword v105, off, s[0:3], 0 offset:244
	buffer_load_dword v104, off, s[0:3], 0 offset:240
	buffer_load_dword v107, off, s[0:3], 0 offset:236
	buffer_load_dword v106, off, s[0:3], 0 offset:232
	buffer_load_dword v109, off, s[0:3], 0 offset:228
	buffer_load_dword v108, off, s[0:3], 0 offset:224
	v_mov_b32_e32 v66, 0
	ds_read2_b64 v[68:71], v66 offset0:45 offset1:46
	ds_read2_b64 v[72:75], v66 offset0:47 offset1:48
	;; [unrolled: 1-line block ×6, first 2 shown]
	v_cmp_lt_u32_e32 vcc, 11, v0
	s_waitcnt vmcnt(39) lgkmcnt(5)
	v_mul_f32_e32 v133, v68, v67
	s_waitcnt vmcnt(38)
	v_mul_f32_e32 v134, v70, v110
	v_mul_f32_e32 v67, v69, v67
	s_waitcnt vmcnt(37) lgkmcnt(4)
	v_mul_f32_e32 v135, v72, v112
	v_mul_f32_e32 v110, v71, v110
	s_waitcnt vmcnt(36)
	v_mul_f32_e32 v136, v74, v114
	s_waitcnt vmcnt(35) lgkmcnt(3)
	v_mul_f32_e32 v137, v76, v116
	s_waitcnt vmcnt(34)
	v_mul_f32_e32 v138, v78, v117
	s_waitcnt vmcnt(33) lgkmcnt(2)
	;; [unrolled: 4-line block ×3, first 2 shown]
	v_mul_f32_e32 v141, v84, v120
	s_waitcnt vmcnt(28)
	v_fmac_f32_e32 v133, v69, v115
	s_waitcnt vmcnt(27)
	v_fmac_f32_e32 v134, v71, v123
	v_fma_f32 v67, v68, v115, -v67
	v_add_f32_e32 v71, 0, v133
	s_waitcnt vmcnt(26)
	v_fmac_f32_e32 v135, v73, v124
	v_fma_f32 v68, v70, v123, -v110
	v_add_f32_e32 v67, 0, v67
	v_add_f32_e32 v71, v71, v134
	s_waitcnt vmcnt(25)
	v_fmac_f32_e32 v136, v75, v125
	v_add_f32_e32 v67, v67, v68
	v_add_f32_e32 v68, v71, v135
	s_waitcnt vmcnt(24)
	v_fmac_f32_e32 v137, v77, v126
	v_add_f32_e32 v68, v68, v136
	s_waitcnt vmcnt(23)
	v_fmac_f32_e32 v138, v79, v127
	;; [unrolled: 3-line block ×3, first 2 shown]
	v_add_f32_e32 v68, v68, v138
	v_mul_f32_e32 v112, v73, v112
	s_waitcnt vmcnt(21)
	v_fmac_f32_e32 v140, v83, v129
	v_add_f32_e32 v68, v68, v139
	v_mul_f32_e32 v114, v75, v114
	s_waitcnt vmcnt(20)
	v_fmac_f32_e32 v141, v85, v130
	v_fma_f32 v69, v72, v124, -v112
	v_add_f32_e32 v68, v68, v140
	v_fma_f32 v70, v74, v125, -v114
	v_add_f32_e32 v67, v67, v69
	v_add_f32_e32 v115, v68, v141
	v_mul_f32_e32 v68, v77, v116
	v_add_f32_e32 v67, v67, v70
	v_fma_f32 v68, v76, v126, -v68
	v_add_f32_e32 v67, v67, v68
	v_mul_f32_e32 v68, v79, v117
	v_fma_f32 v68, v78, v127, -v68
	v_add_f32_e32 v67, v67, v68
	v_mul_f32_e32 v68, v81, v118
	;; [unrolled: 3-line block ×4, first 2 shown]
	v_fma_f32 v68, v84, v130, -v68
	s_waitcnt vmcnt(9)
	v_mov_b32_e32 v84, v101
	v_mul_f32_e32 v111, v86, v121
	v_add_f32_e32 v114, v67, v68
	v_mul_f32_e32 v67, v87, v121
	s_waitcnt lgkmcnt(0)
	v_pk_mul_f32 v[84:85], v[90:91], v[84:85] op_sel_hi:[1,0]
	v_mul_f32_e32 v113, v88, v122
	v_fmac_f32_e32 v111, v87, v131
	v_fma_f32 v110, v86, v131, -v67
	v_mul_f32_e32 v67, v89, v122
	ds_read2_b64 v[68:71], v66 offset0:57 offset1:58
	ds_read2_b64 v[72:75], v66 offset0:59 offset1:60
	;; [unrolled: 1-line block ×3, first 2 shown]
	ds_read_b64 v[80:81], v66 offset:504
	s_waitcnt vmcnt(8)
	v_pk_fma_f32 v[86:87], v[90:91], v[100:101], v[84:85] op_sel:[0,0,1] op_sel_hi:[1,1,0] neg_lo:[0,0,1] neg_hi:[0,0,1]
	v_pk_fma_f32 v[84:85], v[90:91], v[100:101], v[84:85] op_sel:[0,0,1] op_sel_hi:[1,0,0]
	v_fmac_f32_e32 v113, v89, v132
	v_fma_f32 v112, v88, v132, -v67
	v_pk_add_f32 v[82:83], v[114:115], v[110:111]
	v_mov_b32_e32 v84, v99
	v_pk_add_f32 v[82:83], v[82:83], v[112:113]
	v_mov_b32_e32 v87, v85
	s_waitcnt lgkmcnt(3)
	v_pk_mul_f32 v[84:85], v[68:69], v[84:85] op_sel_hi:[1,0]
	v_pk_add_f32 v[82:83], v[82:83], v[86:87]
	v_pk_fma_f32 v[86:87], v[68:69], v[98:99], v[84:85] op_sel:[0,0,1] op_sel_hi:[1,1,0] neg_lo:[0,0,1] neg_hi:[0,0,1]
	v_pk_fma_f32 v[68:69], v[68:69], v[98:99], v[84:85] op_sel:[0,0,1] op_sel_hi:[1,0,0]
	v_mov_b32_e32 v87, v69
	v_pk_add_f32 v[68:69], v[82:83], v[86:87]
	v_mov_b32_e32 v82, v97
	v_pk_mul_f32 v[82:83], v[70:71], v[82:83] op_sel_hi:[1,0]
	v_pk_fma_f32 v[84:85], v[70:71], v[96:97], v[82:83] op_sel:[0,0,1] op_sel_hi:[1,1,0] neg_lo:[0,0,1] neg_hi:[0,0,1]
	v_pk_fma_f32 v[70:71], v[70:71], v[96:97], v[82:83] op_sel:[0,0,1] op_sel_hi:[1,0,0]
	v_mov_b32_e32 v70, v95
	v_mov_b32_e32 v85, v71
	s_waitcnt lgkmcnt(2)
	v_pk_mul_f32 v[70:71], v[72:73], v[70:71] op_sel_hi:[1,0]
	v_pk_fma_f32 v[82:83], v[72:73], v[94:95], v[70:71] op_sel:[0,0,1] op_sel_hi:[1,1,0] neg_lo:[0,0,1] neg_hi:[0,0,1]
	v_pk_fma_f32 v[70:71], v[72:73], v[94:95], v[70:71] op_sel:[0,0,1] op_sel_hi:[1,0,0]
	s_waitcnt vmcnt(1)
	v_mov_b32_e32 v70, v109
	v_mov_b32_e32 v83, v71
	v_pk_mul_f32 v[70:71], v[74:75], v[70:71] op_sel_hi:[1,0]
	s_waitcnt vmcnt(0)
	v_pk_fma_f32 v[72:73], v[74:75], v[108:109], v[70:71] op_sel:[0,0,1] op_sel_hi:[1,1,0] neg_lo:[0,0,1] neg_hi:[0,0,1]
	v_pk_fma_f32 v[70:71], v[74:75], v[108:109], v[70:71] op_sel:[0,0,1] op_sel_hi:[1,0,0]
	v_pk_add_f32 v[68:69], v[68:69], v[84:85]
	v_mov_b32_e32 v70, v107
	v_pk_add_f32 v[68:69], v[68:69], v[82:83]
	v_mov_b32_e32 v73, v71
	s_waitcnt lgkmcnt(1)
	v_pk_mul_f32 v[70:71], v[76:77], v[70:71] op_sel_hi:[1,0]
	v_pk_add_f32 v[68:69], v[68:69], v[72:73]
	v_pk_fma_f32 v[72:73], v[76:77], v[106:107], v[70:71] op_sel:[0,0,1] op_sel_hi:[1,1,0] neg_lo:[0,0,1] neg_hi:[0,0,1]
	v_pk_fma_f32 v[70:71], v[76:77], v[106:107], v[70:71] op_sel:[0,0,1] op_sel_hi:[1,0,0]
	v_mov_b32_e32 v70, v105
	v_mov_b32_e32 v73, v71
	v_pk_mul_f32 v[70:71], v[78:79], v[70:71] op_sel_hi:[1,0]
	v_pk_add_f32 v[68:69], v[68:69], v[72:73]
	v_pk_fma_f32 v[72:73], v[78:79], v[104:105], v[70:71] op_sel:[0,0,1] op_sel_hi:[1,1,0] neg_lo:[0,0,1] neg_hi:[0,0,1]
	v_pk_fma_f32 v[70:71], v[78:79], v[104:105], v[70:71] op_sel:[0,0,1] op_sel_hi:[1,0,0]
	v_mov_b32_e32 v70, v103
	v_mov_b32_e32 v73, v71
	s_waitcnt lgkmcnt(0)
	v_pk_mul_f32 v[70:71], v[80:81], v[70:71] op_sel_hi:[1,0]
	v_pk_add_f32 v[68:69], v[68:69], v[72:73]
	v_pk_fma_f32 v[72:73], v[80:81], v[102:103], v[70:71] op_sel:[0,0,1] op_sel_hi:[1,1,0] neg_lo:[0,0,1] neg_hi:[0,0,1]
	v_pk_fma_f32 v[70:71], v[80:81], v[102:103], v[70:71] op_sel:[0,0,1] op_sel_hi:[1,0,0]
	v_mov_b32_e32 v73, v71
	v_pk_add_f32 v[68:69], v[68:69], v[72:73]
	v_pk_add_f32 v[68:69], v[92:93], v[68:69] neg_lo:[0,1] neg_hi:[0,1]
	buffer_store_dword v69, off, s[0:3], 0 offset:100
	buffer_store_dword v68, off, s[0:3], 0 offset:96
	s_and_saveexec_b64 s[4:5], vcc
	s_cbranch_execz .LBB31_183
; %bb.182:
	buffer_load_dword v68, off, s[0:3], 0 offset:88
	buffer_load_dword v69, off, s[0:3], 0 offset:92
	s_waitcnt vmcnt(0)
	ds_write_b64 v1, v[68:69]
	buffer_store_dword v66, off, s[0:3], 0 offset:88
	buffer_store_dword v66, off, s[0:3], 0 offset:92
.LBB31_183:
	s_or_b64 exec, exec, s[4:5]
	s_waitcnt lgkmcnt(0)
	; wave barrier
	s_waitcnt lgkmcnt(0)
	buffer_load_dword v67, off, s[0:3], 0 offset:100
	buffer_load_dword v110, off, s[0:3], 0 offset:108
	buffer_load_dword v112, off, s[0:3], 0 offset:116
	buffer_load_dword v114, off, s[0:3], 0 offset:124
	buffer_load_dword v116, off, s[0:3], 0 offset:132
	buffer_load_dword v117, off, s[0:3], 0 offset:140
	buffer_load_dword v118, off, s[0:3], 0 offset:148
	buffer_load_dword v119, off, s[0:3], 0 offset:156
	buffer_load_dword v120, off, s[0:3], 0 offset:164
	buffer_load_dword v121, off, s[0:3], 0 offset:172
	buffer_load_dword v122, off, s[0:3], 0 offset:180
	buffer_load_dword v123, off, s[0:3], 0 offset:188
	buffer_load_dword v115, off, s[0:3], 0 offset:96
	buffer_load_dword v124, off, s[0:3], 0 offset:104
	buffer_load_dword v125, off, s[0:3], 0 offset:112
	buffer_load_dword v126, off, s[0:3], 0 offset:120
	buffer_load_dword v127, off, s[0:3], 0 offset:128
	buffer_load_dword v128, off, s[0:3], 0 offset:136
	buffer_load_dword v129, off, s[0:3], 0 offset:144
	buffer_load_dword v130, off, s[0:3], 0 offset:152
	buffer_load_dword v131, off, s[0:3], 0 offset:160
	buffer_load_dword v132, off, s[0:3], 0 offset:168
	buffer_load_dword v133, off, s[0:3], 0 offset:176
	buffer_load_dword v134, off, s[0:3], 0 offset:184
	buffer_load_dword v92, off, s[0:3], 0 offset:88
	buffer_load_dword v93, off, s[0:3], 0 offset:92
	ds_read_b128 v[68:71], v66 offset:352
	ds_read_b128 v[72:75], v66 offset:368
	ds_read_b128 v[76:79], v66 offset:384
	ds_read_b128 v[80:83], v66 offset:400
	ds_read_b128 v[84:87], v66 offset:416
	ds_read_b128 v[88:91], v66 offset:432
	buffer_load_dword v95, off, s[0:3], 0 offset:212
	buffer_load_dword v94, off, s[0:3], 0 offset:208
	;; [unrolled: 1-line block ×16, first 2 shown]
	v_cmp_lt_u32_e32 vcc, 10, v0
	s_waitcnt vmcnt(41) lgkmcnt(5)
	v_mul_f32_e32 v135, v68, v67
	s_waitcnt vmcnt(40)
	v_mul_f32_e32 v136, v70, v110
	v_mul_f32_e32 v67, v69, v67
	;; [unrolled: 1-line block ×3, first 2 shown]
	s_waitcnt vmcnt(39) lgkmcnt(4)
	v_mul_f32_e32 v137, v72, v112
	s_waitcnt vmcnt(38)
	v_mul_f32_e32 v138, v74, v114
	s_waitcnt vmcnt(37) lgkmcnt(3)
	v_mul_f32_e32 v139, v76, v116
	s_waitcnt vmcnt(36)
	v_mul_f32_e32 v140, v78, v117
	;; [unrolled: 4-line block ×4, first 2 shown]
	s_waitcnt vmcnt(29)
	v_fmac_f32_e32 v135, v69, v115
	s_waitcnt vmcnt(28)
	v_fmac_f32_e32 v136, v71, v124
	v_fma_f32 v67, v68, v115, -v67
	v_fma_f32 v68, v70, v124, -v110
	v_add_f32_e32 v70, 0, v135
	s_waitcnt vmcnt(27)
	v_fmac_f32_e32 v137, v73, v125
	v_add_f32_e32 v67, 0, v67
	v_add_f32_e32 v70, v70, v136
	s_waitcnt vmcnt(26)
	v_fmac_f32_e32 v138, v75, v126
	v_add_f32_e32 v67, v67, v68
	;; [unrolled: 4-line block ×3, first 2 shown]
	s_waitcnt vmcnt(24)
	v_fmac_f32_e32 v140, v79, v128
	v_add_f32_e32 v68, v68, v139
	s_waitcnt vmcnt(23)
	v_fmac_f32_e32 v141, v81, v129
	v_add_f32_e32 v68, v68, v140
	;; [unrolled: 3-line block ×4, first 2 shown]
	v_mul_f32_e32 v112, v73, v112
	s_waitcnt vmcnt(20)
	v_fmac_f32_e32 v144, v87, v132
	v_add_f32_e32 v68, v68, v143
	v_fma_f32 v69, v72, v125, -v112
	v_add_f32_e32 v115, v68, v144
	v_mul_f32_e32 v68, v75, v114
	v_add_f32_e32 v67, v67, v69
	v_fma_f32 v68, v74, v126, -v68
	v_add_f32_e32 v67, v67, v68
	v_mul_f32_e32 v68, v77, v116
	v_fma_f32 v68, v76, v127, -v68
	v_add_f32_e32 v67, v67, v68
	v_mul_f32_e32 v68, v79, v117
	;; [unrolled: 3-line block ×6, first 2 shown]
	v_fma_f32 v68, v86, v132, -v68
	v_add_f32_e32 v114, v67, v68
	ds_read_b128 v[68:71], v66 offset:448
	ds_read_b128 v[72:75], v66 offset:464
	;; [unrolled: 1-line block ×4, first 2 shown]
	s_waitcnt vmcnt(11)
	v_mov_b32_e32 v84, v99
	s_waitcnt lgkmcnt(3)
	v_pk_mul_f32 v[84:85], v[68:69], v[84:85] op_sel_hi:[1,0]
	s_waitcnt vmcnt(10)
	v_pk_fma_f32 v[86:87], v[68:69], v[98:99], v[84:85] op_sel:[0,0,1] op_sel_hi:[1,1,0] neg_lo:[0,0,1] neg_hi:[0,0,1]
	v_pk_fma_f32 v[68:69], v[68:69], v[98:99], v[84:85] op_sel:[0,0,1] op_sel_hi:[1,0,0]
	v_mov_b32_e32 v68, v97
	v_mov_b32_e32 v87, v69
	v_pk_mul_f32 v[68:69], v[70:71], v[68:69] op_sel_hi:[1,0]
	v_mul_f32_e32 v111, v88, v122
	v_mul_f32_e32 v67, v89, v122
	v_pk_fma_f32 v[84:85], v[70:71], v[96:97], v[68:69] op_sel:[0,0,1] op_sel_hi:[1,1,0] neg_lo:[0,0,1] neg_hi:[0,0,1]
	v_pk_fma_f32 v[68:69], v[70:71], v[96:97], v[68:69] op_sel:[0,0,1] op_sel_hi:[1,0,0]
	v_mul_f32_e32 v113, v90, v123
	v_fmac_f32_e32 v111, v89, v133
	v_fma_f32 v110, v88, v133, -v67
	v_mul_f32_e32 v67, v91, v123
	v_mov_b32_e32 v68, v95
	v_fmac_f32_e32 v113, v91, v134
	v_fma_f32 v112, v90, v134, -v67
	v_pk_add_f32 v[66:67], v[114:115], v[110:111]
	v_mov_b32_e32 v85, v69
	s_waitcnt lgkmcnt(2)
	v_pk_mul_f32 v[68:69], v[72:73], v[68:69] op_sel_hi:[1,0]
	v_pk_add_f32 v[66:67], v[66:67], v[112:113]
	v_pk_fma_f32 v[70:71], v[72:73], v[94:95], v[68:69] op_sel:[0,0,1] op_sel_hi:[1,1,0] neg_lo:[0,0,1] neg_hi:[0,0,1]
	v_pk_fma_f32 v[68:69], v[72:73], v[94:95], v[68:69] op_sel:[0,0,1] op_sel_hi:[1,0,0]
	v_pk_add_f32 v[66:67], v[66:67], v[86:87]
	s_waitcnt vmcnt(3)
	v_mov_b32_e32 v68, v107
	v_pk_add_f32 v[66:67], v[66:67], v[84:85]
	v_mov_b32_e32 v71, v69
	v_pk_mul_f32 v[68:69], v[74:75], v[68:69] op_sel_hi:[1,0]
	v_pk_add_f32 v[66:67], v[66:67], v[70:71]
	s_waitcnt vmcnt(2)
	v_pk_fma_f32 v[70:71], v[74:75], v[106:107], v[68:69] op_sel:[0,0,1] op_sel_hi:[1,1,0] neg_lo:[0,0,1] neg_hi:[0,0,1]
	v_pk_fma_f32 v[68:69], v[74:75], v[106:107], v[68:69] op_sel:[0,0,1] op_sel_hi:[1,0,0]
	v_mov_b32_e32 v68, v105
	v_mov_b32_e32 v71, v69
	s_waitcnt lgkmcnt(1)
	v_pk_mul_f32 v[68:69], v[76:77], v[68:69] op_sel_hi:[1,0]
	v_pk_add_f32 v[66:67], v[66:67], v[70:71]
	v_pk_fma_f32 v[70:71], v[76:77], v[104:105], v[68:69] op_sel:[0,0,1] op_sel_hi:[1,1,0] neg_lo:[0,0,1] neg_hi:[0,0,1]
	v_pk_fma_f32 v[68:69], v[76:77], v[104:105], v[68:69] op_sel:[0,0,1] op_sel_hi:[1,0,0]
	v_mov_b32_e32 v68, v103
	v_mov_b32_e32 v71, v69
	v_pk_mul_f32 v[68:69], v[78:79], v[68:69] op_sel_hi:[1,0]
	v_pk_add_f32 v[66:67], v[66:67], v[70:71]
	v_pk_fma_f32 v[70:71], v[78:79], v[102:103], v[68:69] op_sel:[0,0,1] op_sel_hi:[1,1,0] neg_lo:[0,0,1] neg_hi:[0,0,1]
	v_pk_fma_f32 v[68:69], v[78:79], v[102:103], v[68:69] op_sel:[0,0,1] op_sel_hi:[1,0,0]
	v_mov_b32_e32 v68, v101
	v_mov_b32_e32 v71, v69
	s_waitcnt lgkmcnt(0)
	v_pk_mul_f32 v[68:69], v[80:81], v[68:69] op_sel_hi:[1,0]
	v_pk_add_f32 v[66:67], v[66:67], v[70:71]
	v_pk_fma_f32 v[70:71], v[80:81], v[100:101], v[68:69] op_sel:[0,0,1] op_sel_hi:[1,1,0] neg_lo:[0,0,1] neg_hi:[0,0,1]
	v_pk_fma_f32 v[68:69], v[80:81], v[100:101], v[68:69] op_sel:[0,0,1] op_sel_hi:[1,0,0]
	s_waitcnt vmcnt(1)
	v_mov_b32_e32 v68, v109
	v_mov_b32_e32 v71, v69
	v_pk_mul_f32 v[68:69], v[82:83], v[68:69] op_sel_hi:[1,0]
	v_pk_add_f32 v[66:67], v[66:67], v[70:71]
	s_waitcnt vmcnt(0)
	v_pk_fma_f32 v[70:71], v[82:83], v[108:109], v[68:69] op_sel:[0,0,1] op_sel_hi:[1,1,0] neg_lo:[0,0,1] neg_hi:[0,0,1]
	v_pk_fma_f32 v[68:69], v[82:83], v[108:109], v[68:69] op_sel:[0,0,1] op_sel_hi:[1,0,0]
	v_mov_b32_e32 v71, v69
	v_pk_add_f32 v[66:67], v[66:67], v[70:71]
	v_pk_add_f32 v[66:67], v[92:93], v[66:67] neg_lo:[0,1] neg_hi:[0,1]
	buffer_store_dword v67, off, s[0:3], 0 offset:92
	buffer_store_dword v66, off, s[0:3], 0 offset:88
	s_and_saveexec_b64 s[4:5], vcc
	s_cbranch_execz .LBB31_185
; %bb.184:
	buffer_load_dword v66, off, s[0:3], 0 offset:80
	buffer_load_dword v67, off, s[0:3], 0 offset:84
	v_mov_b32_e32 v68, 0
	buffer_store_dword v68, off, s[0:3], 0 offset:80
	buffer_store_dword v68, off, s[0:3], 0 offset:84
	s_waitcnt vmcnt(2)
	ds_write_b64 v1, v[66:67]
.LBB31_185:
	s_or_b64 exec, exec, s[4:5]
	s_waitcnt lgkmcnt(0)
	; wave barrier
	s_waitcnt lgkmcnt(0)
	buffer_load_dword v67, off, s[0:3], 0 offset:92
	buffer_load_dword v118, off, s[0:3], 0 offset:100
	;; [unrolled: 1-line block ×44, first 2 shown]
	v_mov_b32_e32 v66, 0
	ds_read2_b64 v[68:71], v66 offset0:43 offset1:44
	ds_read2_b64 v[72:75], v66 offset0:45 offset1:46
	;; [unrolled: 1-line block ×8, first 2 shown]
	v_cmp_lt_u32_e32 vcc, 9, v0
	s_waitcnt vmcnt(43) lgkmcnt(7)
	v_mul_f32_e32 v123, v68, v67
	v_mul_f32_e32 v67, v69, v67
	s_waitcnt vmcnt(42)
	v_mul_f32_e32 v146, v70, v118
	s_waitcnt vmcnt(41) lgkmcnt(6)
	v_mul_f32_e32 v147, v72, v120
	s_waitcnt vmcnt(40)
	v_mul_f32_e32 v148, v74, v122
	s_waitcnt vmcnt(39) lgkmcnt(5)
	;; [unrolled: 4-line block ×5, first 2 shown]
	v_mul_f32_e32 v155, v88, v130
	s_waitcnt vmcnt(32)
	v_mul_f32_e32 v119, v90, v131
	s_waitcnt vmcnt(30)
	v_fma_f32 v67, v68, v133, -v67
	v_mul_f32_e32 v68, v71, v118
	v_add_f32_e32 v67, 0, v67
	s_waitcnt vmcnt(29)
	v_fma_f32 v68, v70, v134, -v68
	v_add_f32_e32 v67, v67, v68
	v_mul_f32_e32 v68, v73, v120
	s_waitcnt vmcnt(28)
	v_fma_f32 v68, v72, v135, -v68
	v_add_f32_e32 v67, v67, v68
	v_mul_f32_e32 v68, v75, v122
	;; [unrolled: 4-line block ×4, first 2 shown]
	s_waitcnt vmcnt(25)
	v_fma_f32 v68, v78, v138, -v68
	v_fmac_f32_e32 v123, v69, v133
	v_add_f32_e32 v67, v67, v68
	v_mul_f32_e32 v68, v81, v126
	v_fmac_f32_e32 v146, v71, v134
	v_add_f32_e32 v69, 0, v123
	s_waitcnt vmcnt(24)
	v_fma_f32 v68, v80, v139, -v68
	v_fmac_f32_e32 v147, v73, v135
	v_add_f32_e32 v69, v69, v146
	v_add_f32_e32 v67, v67, v68
	v_mul_f32_e32 v68, v83, v127
	v_fmac_f32_e32 v148, v75, v136
	v_add_f32_e32 v69, v69, v147
	s_waitcnt vmcnt(23)
	v_fma_f32 v68, v82, v140, -v68
	v_fmac_f32_e32 v149, v77, v137
	v_add_f32_e32 v69, v69, v148
	;; [unrolled: 8-line block ×4, first 2 shown]
	v_add_f32_e32 v67, v67, v68
	v_mul_f32_e32 v68, v89, v130
	v_fmac_f32_e32 v154, v87, v142
	v_add_f32_e32 v69, v69, v153
	s_waitcnt vmcnt(20)
	v_fma_f32 v68, v88, v143, -v68
	s_waitcnt vmcnt(13)
	v_mov_b32_e32 v80, v105
	v_fmac_f32_e32 v155, v89, v143
	v_add_f32_e32 v69, v69, v154
	v_add_f32_e32 v122, v67, v68
	v_mul_f32_e32 v67, v91, v131
	s_waitcnt lgkmcnt(1)
	v_pk_mul_f32 v[80:81], v[94:95], v[80:81] op_sel_hi:[1,0]
	v_mul_f32_e32 v121, v92, v132
	v_fmac_f32_e32 v119, v91, v144
	v_add_f32_e32 v123, v69, v155
	v_fma_f32 v118, v90, v144, -v67
	v_mul_f32_e32 v67, v93, v132
	s_waitcnt vmcnt(12)
	v_pk_fma_f32 v[82:83], v[94:95], v[104:105], v[80:81] op_sel:[0,0,1] op_sel_hi:[1,1,0] neg_lo:[0,0,1] neg_hi:[0,0,1]
	v_pk_fma_f32 v[80:81], v[94:95], v[104:105], v[80:81] op_sel:[0,0,1] op_sel_hi:[1,0,0]
	v_fmac_f32_e32 v121, v93, v145
	v_fma_f32 v120, v92, v145, -v67
	v_pk_add_f32 v[78:79], v[122:123], v[118:119]
	v_mov_b32_e32 v80, v103
	v_pk_add_f32 v[78:79], v[78:79], v[120:121]
	v_mov_b32_e32 v83, v81
	s_waitcnt lgkmcnt(0)
	v_pk_mul_f32 v[80:81], v[96:97], v[80:81] op_sel_hi:[1,0]
	v_pk_add_f32 v[78:79], v[78:79], v[82:83]
	v_pk_fma_f32 v[82:83], v[96:97], v[102:103], v[80:81] op_sel:[0,0,1] op_sel_hi:[1,1,0] neg_lo:[0,0,1] neg_hi:[0,0,1]
	v_pk_fma_f32 v[80:81], v[96:97], v[102:103], v[80:81] op_sel:[0,0,1] op_sel_hi:[1,0,0]
	s_waitcnt vmcnt(5)
	v_mov_b32_e32 v80, v113
	ds_read2_b64 v[68:71], v66 offset0:59 offset1:60
	ds_read2_b64 v[72:75], v66 offset0:61 offset1:62
	ds_read_b64 v[76:77], v66 offset:504
	v_mov_b32_e32 v83, v81
	v_pk_mul_f32 v[80:81], v[98:99], v[80:81] op_sel_hi:[1,0]
	v_pk_add_f32 v[78:79], v[78:79], v[82:83]
	s_waitcnt vmcnt(4)
	v_pk_fma_f32 v[82:83], v[98:99], v[112:113], v[80:81] op_sel:[0,0,1] op_sel_hi:[1,1,0] neg_lo:[0,0,1] neg_hi:[0,0,1]
	v_pk_fma_f32 v[80:81], v[98:99], v[112:113], v[80:81] op_sel:[0,0,1] op_sel_hi:[1,0,0]
	v_mov_b32_e32 v80, v111
	v_mov_b32_e32 v83, v81
	s_waitcnt lgkmcnt(2)
	v_pk_mul_f32 v[80:81], v[68:69], v[80:81] op_sel_hi:[1,0]
	v_pk_add_f32 v[78:79], v[78:79], v[82:83]
	v_pk_fma_f32 v[82:83], v[68:69], v[110:111], v[80:81] op_sel:[0,0,1] op_sel_hi:[1,1,0] neg_lo:[0,0,1] neg_hi:[0,0,1]
	v_pk_fma_f32 v[68:69], v[68:69], v[110:111], v[80:81] op_sel:[0,0,1] op_sel_hi:[1,0,0]
	v_mov_b32_e32 v83, v69
	v_pk_add_f32 v[68:69], v[78:79], v[82:83]
	v_mov_b32_e32 v78, v109
	v_pk_mul_f32 v[78:79], v[70:71], v[78:79] op_sel_hi:[1,0]
	v_pk_fma_f32 v[80:81], v[70:71], v[108:109], v[78:79] op_sel:[0,0,1] op_sel_hi:[1,1,0] neg_lo:[0,0,1] neg_hi:[0,0,1]
	v_pk_fma_f32 v[70:71], v[70:71], v[108:109], v[78:79] op_sel:[0,0,1] op_sel_hi:[1,0,0]
	v_mov_b32_e32 v70, v107
	v_mov_b32_e32 v81, v71
	s_waitcnt lgkmcnt(1)
	v_pk_mul_f32 v[70:71], v[72:73], v[70:71] op_sel_hi:[1,0]
	v_pk_fma_f32 v[78:79], v[72:73], v[106:107], v[70:71] op_sel:[0,0,1] op_sel_hi:[1,1,0] neg_lo:[0,0,1] neg_hi:[0,0,1]
	v_pk_fma_f32 v[70:71], v[72:73], v[106:107], v[70:71] op_sel:[0,0,1] op_sel_hi:[1,0,0]
	s_waitcnt vmcnt(1)
	v_mov_b32_e32 v70, v117
	v_mov_b32_e32 v79, v71
	v_pk_mul_f32 v[70:71], v[74:75], v[70:71] op_sel_hi:[1,0]
	s_waitcnt vmcnt(0)
	v_pk_fma_f32 v[72:73], v[74:75], v[116:117], v[70:71] op_sel:[0,0,1] op_sel_hi:[1,1,0] neg_lo:[0,0,1] neg_hi:[0,0,1]
	v_pk_fma_f32 v[70:71], v[74:75], v[116:117], v[70:71] op_sel:[0,0,1] op_sel_hi:[1,0,0]
	v_pk_add_f32 v[68:69], v[68:69], v[80:81]
	v_mov_b32_e32 v70, v115
	v_pk_add_f32 v[68:69], v[68:69], v[78:79]
	v_mov_b32_e32 v73, v71
	s_waitcnt lgkmcnt(0)
	v_pk_mul_f32 v[70:71], v[76:77], v[70:71] op_sel_hi:[1,0]
	v_pk_add_f32 v[68:69], v[68:69], v[72:73]
	v_pk_fma_f32 v[72:73], v[76:77], v[114:115], v[70:71] op_sel:[0,0,1] op_sel_hi:[1,1,0] neg_lo:[0,0,1] neg_hi:[0,0,1]
	v_pk_fma_f32 v[70:71], v[76:77], v[114:115], v[70:71] op_sel:[0,0,1] op_sel_hi:[1,0,0]
	v_mov_b32_e32 v73, v71
	v_pk_add_f32 v[68:69], v[68:69], v[72:73]
	v_pk_add_f32 v[68:69], v[100:101], v[68:69] neg_lo:[0,1] neg_hi:[0,1]
	buffer_store_dword v69, off, s[0:3], 0 offset:84
	buffer_store_dword v68, off, s[0:3], 0 offset:80
	s_and_saveexec_b64 s[4:5], vcc
	s_cbranch_execz .LBB31_187
; %bb.186:
	buffer_load_dword v68, off, s[0:3], 0 offset:72
	buffer_load_dword v69, off, s[0:3], 0 offset:76
	s_waitcnt vmcnt(0)
	ds_write_b64 v1, v[68:69]
	buffer_store_dword v66, off, s[0:3], 0 offset:72
	buffer_store_dword v66, off, s[0:3], 0 offset:76
.LBB31_187:
	s_or_b64 exec, exec, s[4:5]
	s_waitcnt lgkmcnt(0)
	; wave barrier
	s_waitcnt lgkmcnt(0)
	buffer_load_dword v67, off, s[0:3], 0 offset:84
	buffer_load_dword v118, off, s[0:3], 0 offset:92
	;; [unrolled: 1-line block ×30, first 2 shown]
	ds_read_b128 v[68:71], v66 offset:336
	ds_read_b128 v[72:75], v66 offset:352
	;; [unrolled: 1-line block ×6, first 2 shown]
	buffer_load_dword v103, off, s[0:3], 0 offset:196
	buffer_load_dword v102, off, s[0:3], 0 offset:192
	ds_read_b128 v[92:95], v66 offset:432
	ds_read_b128 v[96:99], v66 offset:448
	buffer_load_dword v105, off, s[0:3], 0 offset:228
	buffer_load_dword v104, off, s[0:3], 0 offset:224
	buffer_load_dword v107, off, s[0:3], 0 offset:220
	buffer_load_dword v106, off, s[0:3], 0 offset:216
	buffer_load_dword v109, off, s[0:3], 0 offset:212
	buffer_load_dword v108, off, s[0:3], 0 offset:208
	buffer_load_dword v111, off, s[0:3], 0 offset:204
	buffer_load_dword v110, off, s[0:3], 0 offset:200
	buffer_load_dword v113, off, s[0:3], 0 offset:252
	buffer_load_dword v112, off, s[0:3], 0 offset:248
	buffer_load_dword v115, off, s[0:3], 0 offset:244
	buffer_load_dword v114, off, s[0:3], 0 offset:240
	buffer_load_dword v117, off, s[0:3], 0 offset:236
	buffer_load_dword v116, off, s[0:3], 0 offset:232
	v_cmp_lt_u32_e32 vcc, 8, v0
	s_waitcnt vmcnt(45) lgkmcnt(7)
	v_mul_f32_e32 v121, v68, v67
	v_mul_f32_e32 v67, v69, v67
	s_waitcnt vmcnt(44)
	v_mul_f32_e32 v123, v70, v118
	s_waitcnt vmcnt(43) lgkmcnt(6)
	v_mul_f32_e32 v148, v72, v120
	s_waitcnt vmcnt(42)
	v_mul_f32_e32 v149, v74, v122
	s_waitcnt vmcnt(41) lgkmcnt(5)
	;; [unrolled: 4-line block ×5, first 2 shown]
	v_mul_f32_e32 v156, v88, v130
	s_waitcnt vmcnt(34)
	v_mul_f32_e32 v157, v90, v131
	s_waitcnt vmcnt(32)
	v_fma_f32 v67, v68, v133, -v67
	v_mul_f32_e32 v68, v71, v118
	v_add_f32_e32 v67, 0, v67
	s_waitcnt vmcnt(31)
	v_fma_f32 v68, v70, v134, -v68
	v_add_f32_e32 v67, v67, v68
	v_mul_f32_e32 v68, v73, v120
	s_waitcnt vmcnt(30)
	v_fma_f32 v68, v72, v135, -v68
	v_add_f32_e32 v67, v67, v68
	v_mul_f32_e32 v68, v75, v122
	;; [unrolled: 4-line block ×5, first 2 shown]
	v_fmac_f32_e32 v121, v69, v133
	s_waitcnt vmcnt(26)
	v_fma_f32 v68, v80, v139, -v68
	v_fmac_f32_e32 v123, v71, v134
	v_add_f32_e32 v121, 0, v121
	v_add_f32_e32 v67, v67, v68
	v_mul_f32_e32 v68, v83, v127
	v_fmac_f32_e32 v148, v73, v135
	v_add_f32_e32 v121, v121, v123
	s_waitcnt vmcnt(25)
	v_fma_f32 v68, v82, v140, -v68
	v_fmac_f32_e32 v149, v75, v136
	v_add_f32_e32 v121, v121, v148
	v_add_f32_e32 v67, v67, v68
	v_mul_f32_e32 v68, v85, v128
	v_fmac_f32_e32 v150, v77, v137
	v_add_f32_e32 v121, v121, v149
	s_waitcnt vmcnt(24)
	v_fma_f32 v68, v84, v141, -v68
	v_fmac_f32_e32 v151, v79, v138
	v_add_f32_e32 v121, v121, v150
	v_add_f32_e32 v67, v67, v68
	v_mul_f32_e32 v68, v87, v129
	v_fmac_f32_e32 v152, v81, v139
	v_add_f32_e32 v121, v121, v151
	s_waitcnt vmcnt(23)
	v_fma_f32 v68, v86, v142, -v68
	v_fmac_f32_e32 v153, v83, v140
	v_add_f32_e32 v121, v121, v152
	v_add_f32_e32 v67, v67, v68
	v_mul_f32_e32 v68, v89, v130
	v_fmac_f32_e32 v154, v85, v141
	v_add_f32_e32 v121, v121, v153
	s_waitcnt vmcnt(22)
	v_fma_f32 v68, v88, v143, -v68
	v_fmac_f32_e32 v155, v87, v142
	v_add_f32_e32 v121, v121, v154
	v_add_f32_e32 v67, v67, v68
	v_mul_f32_e32 v68, v91, v131
	v_fmac_f32_e32 v156, v89, v143
	v_add_f32_e32 v121, v121, v155
	s_waitcnt vmcnt(21)
	v_fma_f32 v68, v90, v144, -v68
	s_waitcnt vmcnt(15)
	v_mov_b32_e32 v80, v103
	s_waitcnt lgkmcnt(1)
	v_mul_f32_e32 v119, v92, v132
	v_fmac_f32_e32 v157, v91, v144
	v_add_f32_e32 v121, v121, v156
	v_add_f32_e32 v120, v67, v68
	v_mul_f32_e32 v67, v93, v132
	s_waitcnt lgkmcnt(0)
	v_pk_mul_f32 v[80:81], v[96:97], v[80:81] op_sel_hi:[1,0]
	v_fmac_f32_e32 v119, v93, v145
	v_add_f32_e32 v121, v121, v157
	v_mul_f32_e32 v123, v94, v146
	v_fma_f32 v118, v92, v145, -v67
	v_mul_f32_e32 v67, v95, v146
	s_waitcnt vmcnt(14)
	v_pk_fma_f32 v[82:83], v[96:97], v[102:103], v[80:81] op_sel:[0,0,1] op_sel_hi:[1,1,0] neg_lo:[0,0,1] neg_hi:[0,0,1]
	v_pk_fma_f32 v[80:81], v[96:97], v[102:103], v[80:81] op_sel:[0,0,1] op_sel_hi:[1,0,0]
	v_fmac_f32_e32 v123, v95, v147
	v_fma_f32 v122, v94, v147, -v67
	ds_read_b128 v[68:71], v66 offset:464
	ds_read_b128 v[72:75], v66 offset:480
	;; [unrolled: 1-line block ×3, first 2 shown]
	v_pk_add_f32 v[66:67], v[120:121], v[118:119]
	s_waitcnt vmcnt(7)
	v_mov_b32_e32 v80, v111
	v_pk_add_f32 v[66:67], v[66:67], v[122:123]
	v_mov_b32_e32 v83, v81
	v_pk_mul_f32 v[80:81], v[98:99], v[80:81] op_sel_hi:[1,0]
	v_pk_add_f32 v[66:67], v[66:67], v[82:83]
	s_waitcnt vmcnt(6)
	v_pk_fma_f32 v[82:83], v[98:99], v[110:111], v[80:81] op_sel:[0,0,1] op_sel_hi:[1,1,0] neg_lo:[0,0,1] neg_hi:[0,0,1]
	v_pk_fma_f32 v[80:81], v[98:99], v[110:111], v[80:81] op_sel:[0,0,1] op_sel_hi:[1,0,0]
	v_mov_b32_e32 v80, v109
	v_mov_b32_e32 v83, v81
	s_waitcnt lgkmcnt(2)
	v_pk_mul_f32 v[80:81], v[68:69], v[80:81] op_sel_hi:[1,0]
	v_pk_add_f32 v[66:67], v[66:67], v[82:83]
	v_pk_fma_f32 v[82:83], v[68:69], v[108:109], v[80:81] op_sel:[0,0,1] op_sel_hi:[1,1,0] neg_lo:[0,0,1] neg_hi:[0,0,1]
	v_pk_fma_f32 v[68:69], v[68:69], v[108:109], v[80:81] op_sel:[0,0,1] op_sel_hi:[1,0,0]
	v_mov_b32_e32 v68, v107
	v_mov_b32_e32 v83, v69
	v_pk_mul_f32 v[68:69], v[70:71], v[68:69] op_sel_hi:[1,0]
	v_pk_fma_f32 v[80:81], v[70:71], v[106:107], v[68:69] op_sel:[0,0,1] op_sel_hi:[1,1,0] neg_lo:[0,0,1] neg_hi:[0,0,1]
	v_pk_fma_f32 v[68:69], v[70:71], v[106:107], v[68:69] op_sel:[0,0,1] op_sel_hi:[1,0,0]
	v_mov_b32_e32 v68, v105
	v_mov_b32_e32 v81, v69
	s_waitcnt lgkmcnt(1)
	v_pk_mul_f32 v[68:69], v[72:73], v[68:69] op_sel_hi:[1,0]
	v_pk_fma_f32 v[70:71], v[72:73], v[104:105], v[68:69] op_sel:[0,0,1] op_sel_hi:[1,1,0] neg_lo:[0,0,1] neg_hi:[0,0,1]
	v_pk_fma_f32 v[68:69], v[72:73], v[104:105], v[68:69] op_sel:[0,0,1] op_sel_hi:[1,0,0]
	v_pk_add_f32 v[66:67], v[66:67], v[82:83]
	s_waitcnt vmcnt(1)
	v_mov_b32_e32 v68, v117
	v_pk_add_f32 v[66:67], v[66:67], v[80:81]
	v_mov_b32_e32 v71, v69
	v_pk_mul_f32 v[68:69], v[74:75], v[68:69] op_sel_hi:[1,0]
	v_pk_add_f32 v[66:67], v[66:67], v[70:71]
	s_waitcnt vmcnt(0)
	v_pk_fma_f32 v[70:71], v[74:75], v[116:117], v[68:69] op_sel:[0,0,1] op_sel_hi:[1,1,0] neg_lo:[0,0,1] neg_hi:[0,0,1]
	v_pk_fma_f32 v[68:69], v[74:75], v[116:117], v[68:69] op_sel:[0,0,1] op_sel_hi:[1,0,0]
	v_mov_b32_e32 v68, v115
	v_mov_b32_e32 v71, v69
	s_waitcnt lgkmcnt(0)
	v_pk_mul_f32 v[68:69], v[76:77], v[68:69] op_sel_hi:[1,0]
	v_pk_add_f32 v[66:67], v[66:67], v[70:71]
	v_pk_fma_f32 v[70:71], v[76:77], v[114:115], v[68:69] op_sel:[0,0,1] op_sel_hi:[1,1,0] neg_lo:[0,0,1] neg_hi:[0,0,1]
	v_pk_fma_f32 v[68:69], v[76:77], v[114:115], v[68:69] op_sel:[0,0,1] op_sel_hi:[1,0,0]
	v_mov_b32_e32 v68, v113
	v_mov_b32_e32 v71, v69
	v_pk_mul_f32 v[68:69], v[78:79], v[68:69] op_sel_hi:[1,0]
	v_pk_add_f32 v[66:67], v[66:67], v[70:71]
	v_pk_fma_f32 v[70:71], v[78:79], v[112:113], v[68:69] op_sel:[0,0,1] op_sel_hi:[1,1,0] neg_lo:[0,0,1] neg_hi:[0,0,1]
	v_pk_fma_f32 v[68:69], v[78:79], v[112:113], v[68:69] op_sel:[0,0,1] op_sel_hi:[1,0,0]
	v_mov_b32_e32 v71, v69
	v_pk_add_f32 v[66:67], v[66:67], v[70:71]
	v_pk_add_f32 v[66:67], v[100:101], v[66:67] neg_lo:[0,1] neg_hi:[0,1]
	buffer_store_dword v67, off, s[0:3], 0 offset:76
	buffer_store_dword v66, off, s[0:3], 0 offset:72
	s_and_saveexec_b64 s[4:5], vcc
	s_cbranch_execz .LBB31_189
; %bb.188:
	buffer_load_dword v66, off, s[0:3], 0 offset:64
	buffer_load_dword v67, off, s[0:3], 0 offset:68
	v_mov_b32_e32 v68, 0
	buffer_store_dword v68, off, s[0:3], 0 offset:64
	buffer_store_dword v68, off, s[0:3], 0 offset:68
	s_waitcnt vmcnt(2)
	ds_write_b64 v1, v[66:67]
.LBB31_189:
	s_or_b64 exec, exec, s[4:5]
	s_waitcnt lgkmcnt(0)
	; wave barrier
	s_waitcnt lgkmcnt(0)
	buffer_load_dword v67, off, s[0:3], 0 offset:76
	buffer_load_dword v116, off, s[0:3], 0 offset:84
	buffer_load_dword v120, off, s[0:3], 0 offset:92
	buffer_load_dword v122, off, s[0:3], 0 offset:100
	buffer_load_dword v124, off, s[0:3], 0 offset:108
	buffer_load_dword v125, off, s[0:3], 0 offset:116
	buffer_load_dword v126, off, s[0:3], 0 offset:124
	buffer_load_dword v127, off, s[0:3], 0 offset:132
	buffer_load_dword v128, off, s[0:3], 0 offset:140
	buffer_load_dword v129, off, s[0:3], 0 offset:148
	buffer_load_dword v130, off, s[0:3], 0 offset:156
	buffer_load_dword v131, off, s[0:3], 0 offset:164
	buffer_load_dword v132, off, s[0:3], 0 offset:172
	buffer_load_dword v133, off, s[0:3], 0 offset:72
	buffer_load_dword v134, off, s[0:3], 0 offset:80
	buffer_load_dword v135, off, s[0:3], 0 offset:88
	buffer_load_dword v136, off, s[0:3], 0 offset:96
	buffer_load_dword v137, off, s[0:3], 0 offset:104
	buffer_load_dword v138, off, s[0:3], 0 offset:112
	buffer_load_dword v139, off, s[0:3], 0 offset:120
	buffer_load_dword v140, off, s[0:3], 0 offset:128
	buffer_load_dword v141, off, s[0:3], 0 offset:136
	buffer_load_dword v142, off, s[0:3], 0 offset:144
	buffer_load_dword v143, off, s[0:3], 0 offset:152
	buffer_load_dword v144, off, s[0:3], 0 offset:160
	buffer_load_dword v145, off, s[0:3], 0 offset:168
	buffer_load_dword v146, off, s[0:3], 0 offset:180
	buffer_load_dword v147, off, s[0:3], 0 offset:176
	buffer_load_dword v148, off, s[0:3], 0 offset:188
	buffer_load_dword v149, off, s[0:3], 0 offset:184
	buffer_load_dword v100, off, s[0:3], 0 offset:64
	buffer_load_dword v101, off, s[0:3], 0 offset:68
	v_mov_b32_e32 v66, 0
	buffer_load_dword v103, off, s[0:3], 0 offset:220
	buffer_load_dword v102, off, s[0:3], 0 offset:216
	;; [unrolled: 1-line block ×13, first 2 shown]
	ds_read2_b64 v[68:71], v66 offset0:41 offset1:42
	ds_read2_b64 v[72:75], v66 offset0:43 offset1:44
	;; [unrolled: 1-line block ×8, first 2 shown]
	v_cmp_lt_u32_e32 vcc, 7, v0
	s_waitcnt vmcnt(44) lgkmcnt(7)
	v_mul_f32_e32 v110, v68, v67
	s_waitcnt vmcnt(43)
	v_mul_f32_e32 v117, v70, v116
	s_waitcnt vmcnt(42) lgkmcnt(6)
	v_mul_f32_e32 v118, v72, v120
	s_waitcnt vmcnt(41)
	v_mul_f32_e32 v119, v74, v122
	;; [unrolled: 4-line block ×6, first 2 shown]
	s_waitcnt vmcnt(32) lgkmcnt(1)
	v_mul_f32_e32 v156, v92, v132
	s_waitcnt vmcnt(31)
	v_fmac_f32_e32 v110, v69, v133
	s_waitcnt vmcnt(30)
	v_fmac_f32_e32 v117, v71, v134
	v_add_f32_e32 v110, 0, v110
	s_waitcnt vmcnt(29)
	v_fmac_f32_e32 v118, v73, v135
	v_add_f32_e32 v110, v110, v117
	s_waitcnt vmcnt(28)
	v_fmac_f32_e32 v119, v75, v136
	v_add_f32_e32 v110, v110, v118
	s_waitcnt vmcnt(27)
	v_fmac_f32_e32 v121, v77, v137
	v_add_f32_e32 v110, v110, v119
	s_waitcnt vmcnt(26)
	v_fmac_f32_e32 v123, v79, v138
	v_add_f32_e32 v110, v110, v121
	s_waitcnt vmcnt(25)
	v_fmac_f32_e32 v150, v81, v139
	v_add_f32_e32 v110, v110, v123
	s_waitcnt vmcnt(24)
	v_fmac_f32_e32 v151, v83, v140
	v_add_f32_e32 v110, v110, v150
	s_waitcnt vmcnt(23)
	v_fmac_f32_e32 v152, v85, v141
	v_add_f32_e32 v110, v110, v151
	s_waitcnt vmcnt(22)
	v_fmac_f32_e32 v153, v87, v142
	v_add_f32_e32 v110, v110, v152
	s_waitcnt vmcnt(21)
	v_fmac_f32_e32 v154, v89, v143
	v_add_f32_e32 v110, v110, v153
	s_waitcnt vmcnt(20)
	v_fmac_f32_e32 v155, v91, v144
	v_add_f32_e32 v110, v110, v154
	s_waitcnt vmcnt(19)
	v_fmac_f32_e32 v156, v93, v145
	v_add_f32_e32 v110, v110, v155
	v_add_f32_e32 v117, v110, v156
	buffer_load_dword v119, off, s[0:3], 0 offset:236
	buffer_load_dword v118, off, s[0:3], 0 offset:232
	;; [unrolled: 1-line block ×3, first 2 shown]
	v_mul_f32_e32 v67, v69, v67
	v_fma_f32 v67, v68, v133, -v67
	v_mul_f32_e32 v68, v71, v116
	v_add_f32_e32 v67, 0, v67
	v_fma_f32 v68, v70, v134, -v68
	v_add_f32_e32 v67, v67, v68
	v_mul_f32_e32 v68, v73, v120
	v_fma_f32 v68, v72, v135, -v68
	v_add_f32_e32 v67, v67, v68
	v_mul_f32_e32 v68, v75, v122
	;; [unrolled: 3-line block ×11, first 2 shown]
	v_fma_f32 v68, v92, v145, -v68
	s_waitcnt vmcnt(9)
	v_mov_b32_e32 v84, v109
	v_mul_f32_e32 v121, v94, v146
	v_add_f32_e32 v116, v67, v68
	v_mul_f32_e32 v67, v95, v146
	s_waitcnt lgkmcnt(0)
	v_pk_mul_f32 v[84:85], v[98:99], v[84:85] op_sel_hi:[1,0]
	v_fmac_f32_e32 v121, v95, v147
	v_mul_f32_e32 v123, v96, v148
	v_fma_f32 v120, v94, v147, -v67
	v_mul_f32_e32 v67, v97, v148
	ds_read2_b64 v[68:71], v66 offset0:57 offset1:58
	ds_read2_b64 v[72:75], v66 offset0:59 offset1:60
	;; [unrolled: 1-line block ×3, first 2 shown]
	ds_read_b64 v[80:81], v66 offset:504
	s_waitcnt vmcnt(8)
	v_pk_fma_f32 v[86:87], v[98:99], v[108:109], v[84:85] op_sel:[0,0,1] op_sel_hi:[1,1,0] neg_lo:[0,0,1] neg_hi:[0,0,1]
	v_pk_fma_f32 v[84:85], v[98:99], v[108:109], v[84:85] op_sel:[0,0,1] op_sel_hi:[1,0,0]
	v_fmac_f32_e32 v123, v97, v149
	v_fma_f32 v122, v96, v149, -v67
	v_pk_add_f32 v[82:83], v[116:117], v[120:121]
	v_mov_b32_e32 v84, v107
	v_pk_add_f32 v[82:83], v[82:83], v[122:123]
	v_mov_b32_e32 v87, v85
	s_waitcnt lgkmcnt(3)
	v_pk_mul_f32 v[84:85], v[68:69], v[84:85] op_sel_hi:[1,0]
	v_pk_add_f32 v[82:83], v[82:83], v[86:87]
	v_pk_fma_f32 v[86:87], v[68:69], v[106:107], v[84:85] op_sel:[0,0,1] op_sel_hi:[1,1,0] neg_lo:[0,0,1] neg_hi:[0,0,1]
	v_pk_fma_f32 v[68:69], v[68:69], v[106:107], v[84:85] op_sel:[0,0,1] op_sel_hi:[1,0,0]
	v_mov_b32_e32 v87, v69
	v_pk_add_f32 v[68:69], v[82:83], v[86:87]
	v_mov_b32_e32 v82, v105
	v_pk_mul_f32 v[82:83], v[70:71], v[82:83] op_sel_hi:[1,0]
	v_pk_fma_f32 v[84:85], v[70:71], v[104:105], v[82:83] op_sel:[0,0,1] op_sel_hi:[1,1,0] neg_lo:[0,0,1] neg_hi:[0,0,1]
	v_pk_fma_f32 v[70:71], v[70:71], v[104:105], v[82:83] op_sel:[0,0,1] op_sel_hi:[1,0,0]
	v_mov_b32_e32 v70, v103
	v_mov_b32_e32 v85, v71
	s_waitcnt lgkmcnt(2)
	v_pk_mul_f32 v[70:71], v[72:73], v[70:71] op_sel_hi:[1,0]
	v_pk_fma_f32 v[82:83], v[72:73], v[102:103], v[70:71] op_sel:[0,0,1] op_sel_hi:[1,1,0] neg_lo:[0,0,1] neg_hi:[0,0,1]
	v_pk_fma_f32 v[70:71], v[72:73], v[102:103], v[70:71] op_sel:[0,0,1] op_sel_hi:[1,0,0]
	s_waitcnt vmcnt(7)
	v_mov_b32_e32 v70, v111
	v_mov_b32_e32 v83, v71
	v_pk_mul_f32 v[70:71], v[74:75], v[70:71] op_sel_hi:[1,0]
	v_pk_add_f32 v[68:69], v[68:69], v[84:85]
	v_pk_add_f32 v[68:69], v[68:69], v[82:83]
	s_waitcnt vmcnt(0)
	v_pk_fma_f32 v[72:73], v[74:75], v[110:111], v[70:71] op_sel:[0,0,1] op_sel_hi:[1,1,0] neg_lo:[0,0,1] neg_hi:[0,0,1]
	v_pk_fma_f32 v[70:71], v[74:75], v[110:111], v[70:71] op_sel:[0,0,1] op_sel_hi:[1,0,0]
	v_mov_b32_e32 v70, v119
	v_mov_b32_e32 v73, v71
	s_waitcnt lgkmcnt(1)
	v_pk_mul_f32 v[70:71], v[76:77], v[70:71] op_sel_hi:[1,0]
	v_pk_add_f32 v[68:69], v[68:69], v[72:73]
	v_pk_fma_f32 v[72:73], v[76:77], v[118:119], v[70:71] op_sel:[0,0,1] op_sel_hi:[1,1,0] neg_lo:[0,0,1] neg_hi:[0,0,1]
	v_pk_fma_f32 v[70:71], v[76:77], v[118:119], v[70:71] op_sel:[0,0,1] op_sel_hi:[1,0,0]
	v_mov_b32_e32 v70, v115
	v_mov_b32_e32 v73, v71
	v_pk_mul_f32 v[70:71], v[78:79], v[70:71] op_sel_hi:[1,0]
	v_pk_add_f32 v[68:69], v[68:69], v[72:73]
	v_pk_fma_f32 v[72:73], v[78:79], v[114:115], v[70:71] op_sel:[0,0,1] op_sel_hi:[1,1,0] neg_lo:[0,0,1] neg_hi:[0,0,1]
	v_pk_fma_f32 v[70:71], v[78:79], v[114:115], v[70:71] op_sel:[0,0,1] op_sel_hi:[1,0,0]
	v_mov_b32_e32 v70, v113
	v_mov_b32_e32 v73, v71
	s_waitcnt lgkmcnt(0)
	v_pk_mul_f32 v[70:71], v[80:81], v[70:71] op_sel_hi:[1,0]
	v_pk_add_f32 v[68:69], v[68:69], v[72:73]
	v_pk_fma_f32 v[72:73], v[80:81], v[112:113], v[70:71] op_sel:[0,0,1] op_sel_hi:[1,1,0] neg_lo:[0,0,1] neg_hi:[0,0,1]
	v_pk_fma_f32 v[70:71], v[80:81], v[112:113], v[70:71] op_sel:[0,0,1] op_sel_hi:[1,0,0]
	v_mov_b32_e32 v73, v71
	v_pk_add_f32 v[68:69], v[68:69], v[72:73]
	v_pk_add_f32 v[68:69], v[100:101], v[68:69] neg_lo:[0,1] neg_hi:[0,1]
	buffer_store_dword v69, off, s[0:3], 0 offset:68
	buffer_store_dword v68, off, s[0:3], 0 offset:64
	s_and_saveexec_b64 s[4:5], vcc
	s_cbranch_execz .LBB31_191
; %bb.190:
	buffer_load_dword v68, off, s[0:3], 0 offset:56
	buffer_load_dword v69, off, s[0:3], 0 offset:60
	s_waitcnt vmcnt(0)
	ds_write_b64 v1, v[68:69]
	buffer_store_dword v66, off, s[0:3], 0 offset:56
	buffer_store_dword v66, off, s[0:3], 0 offset:60
.LBB31_191:
	s_or_b64 exec, exec, s[4:5]
	s_waitcnt lgkmcnt(0)
	; wave barrier
	s_waitcnt lgkmcnt(0)
	buffer_load_dword v67, off, s[0:3], 0 offset:68
	buffer_load_dword v116, off, s[0:3], 0 offset:76
	;; [unrolled: 1-line block ×34, first 2 shown]
	ds_read_b128 v[68:71], v66 offset:320
	ds_read_b128 v[72:75], v66 offset:336
	;; [unrolled: 1-line block ×8, first 2 shown]
	buffer_load_dword v103, off, s[0:3], 0 offset:212
	buffer_load_dword v102, off, s[0:3], 0 offset:208
	buffer_load_dword v105, off, s[0:3], 0 offset:204
	buffer_load_dword v104, off, s[0:3], 0 offset:200
	buffer_load_dword v107, off, s[0:3], 0 offset:196
	buffer_load_dword v106, off, s[0:3], 0 offset:192
	buffer_load_dword v109, off, s[0:3], 0 offset:220
	buffer_load_dword v111, off, s[0:3], 0 offset:244
	buffer_load_dword v110, off, s[0:3], 0 offset:240
	v_cmp_lt_u32_e32 vcc, 6, v0
	s_waitcnt vmcnt(42) lgkmcnt(7)
	v_mul_f32_e32 v108, v68, v67
	s_waitcnt vmcnt(41)
	v_mul_f32_e32 v112, v70, v116
	s_waitcnt vmcnt(40) lgkmcnt(6)
	v_mul_f32_e32 v113, v72, v118
	s_waitcnt vmcnt(39)
	v_mul_f32_e32 v114, v74, v120
	;; [unrolled: 4-line block ×6, first 2 shown]
	s_waitcnt vmcnt(30) lgkmcnt(1)
	v_mul_f32_e32 v154, v92, v132
	v_mul_f32_e32 v67, v69, v67
	s_waitcnt vmcnt(28)
	v_fmac_f32_e32 v108, v69, v134
	s_waitcnt vmcnt(27)
	v_fmac_f32_e32 v112, v71, v135
	v_add_f32_e32 v108, 0, v108
	s_waitcnt vmcnt(26)
	v_fmac_f32_e32 v113, v73, v136
	v_add_f32_e32 v108, v108, v112
	;; [unrolled: 3-line block ×12, first 2 shown]
	v_add_f32_e32 v117, v108, v154
	buffer_load_dword v113, off, s[0:3], 0 offset:236
	buffer_load_dword v112, off, s[0:3], 0 offset:232
	buffer_load_dword v115, off, s[0:3], 0 offset:228
	buffer_load_dword v114, off, s[0:3], 0 offset:224
	buffer_load_dword v108, off, s[0:3], 0 offset:216
	buffer_load_dword v123, off, s[0:3], 0 offset:252
	buffer_load_dword v122, off, s[0:3], 0 offset:248
	v_fma_f32 v67, v68, v134, -v67
	v_mul_f32_e32 v68, v71, v116
	v_add_f32_e32 v67, 0, v67
	v_fma_f32 v68, v70, v135, -v68
	v_add_f32_e32 v67, v67, v68
	v_mul_f32_e32 v68, v73, v118
	v_fma_f32 v68, v72, v136, -v68
	v_add_f32_e32 v67, v67, v68
	v_mul_f32_e32 v68, v75, v120
	;; [unrolled: 3-line block ×12, first 2 shown]
	s_waitcnt vmcnt(22)
	v_fma_f32 v68, v94, v147, -v68
	v_add_f32_e32 v116, v67, v68
	ds_read_b128 v[68:71], v66 offset:448
	ds_read_b128 v[72:75], v66 offset:464
	;; [unrolled: 1-line block ×4, first 2 shown]
	s_waitcnt vmcnt(11)
	v_mov_b32_e32 v84, v107
	s_waitcnt lgkmcnt(3)
	v_pk_mul_f32 v[84:85], v[68:69], v[84:85] op_sel_hi:[1,0]
	s_waitcnt vmcnt(10)
	v_pk_fma_f32 v[86:87], v[68:69], v[106:107], v[84:85] op_sel:[0,0,1] op_sel_hi:[1,1,0] neg_lo:[0,0,1] neg_hi:[0,0,1]
	v_pk_fma_f32 v[68:69], v[68:69], v[106:107], v[84:85] op_sel:[0,0,1] op_sel_hi:[1,0,0]
	v_mov_b32_e32 v68, v105
	v_mul_f32_e32 v155, v94, v133
	v_mov_b32_e32 v87, v69
	v_pk_mul_f32 v[68:69], v[70:71], v[68:69] op_sel_hi:[1,0]
	v_fmac_f32_e32 v155, v95, v147
	v_mul_f32_e32 v119, v96, v148
	v_mul_f32_e32 v67, v97, v148
	v_pk_fma_f32 v[84:85], v[70:71], v[104:105], v[68:69] op_sel:[0,0,1] op_sel_hi:[1,1,0] neg_lo:[0,0,1] neg_hi:[0,0,1]
	v_pk_fma_f32 v[68:69], v[70:71], v[104:105], v[68:69] op_sel:[0,0,1] op_sel_hi:[1,0,0]
	v_add_f32_e32 v117, v117, v155
	v_fmac_f32_e32 v119, v97, v149
	v_mul_f32_e32 v121, v98, v150
	v_fma_f32 v118, v96, v149, -v67
	v_mul_f32_e32 v67, v99, v150
	v_mov_b32_e32 v68, v103
	v_fmac_f32_e32 v121, v99, v151
	v_fma_f32 v120, v98, v151, -v67
	v_pk_add_f32 v[66:67], v[116:117], v[118:119]
	v_mov_b32_e32 v85, v69
	s_waitcnt lgkmcnt(2)
	v_pk_mul_f32 v[68:69], v[72:73], v[68:69] op_sel_hi:[1,0]
	v_pk_add_f32 v[66:67], v[66:67], v[120:121]
	v_pk_fma_f32 v[70:71], v[72:73], v[102:103], v[68:69] op_sel:[0,0,1] op_sel_hi:[1,1,0] neg_lo:[0,0,1] neg_hi:[0,0,1]
	v_pk_fma_f32 v[68:69], v[72:73], v[102:103], v[68:69] op_sel:[0,0,1] op_sel_hi:[1,0,0]
	v_pk_add_f32 v[66:67], v[66:67], v[86:87]
	s_waitcnt vmcnt(9)
	v_mov_b32_e32 v68, v109
	v_pk_add_f32 v[66:67], v[66:67], v[84:85]
	v_mov_b32_e32 v71, v69
	v_pk_mul_f32 v[68:69], v[74:75], v[68:69] op_sel_hi:[1,0]
	v_pk_add_f32 v[66:67], v[66:67], v[70:71]
	s_waitcnt vmcnt(2)
	v_pk_fma_f32 v[70:71], v[74:75], v[108:109], v[68:69] op_sel:[0,0,1] op_sel_hi:[1,1,0] neg_lo:[0,0,1] neg_hi:[0,0,1]
	v_pk_fma_f32 v[68:69], v[74:75], v[108:109], v[68:69] op_sel:[0,0,1] op_sel_hi:[1,0,0]
	v_mov_b32_e32 v68, v115
	v_mov_b32_e32 v71, v69
	s_waitcnt lgkmcnt(1)
	v_pk_mul_f32 v[68:69], v[76:77], v[68:69] op_sel_hi:[1,0]
	v_pk_add_f32 v[66:67], v[66:67], v[70:71]
	v_pk_fma_f32 v[70:71], v[76:77], v[114:115], v[68:69] op_sel:[0,0,1] op_sel_hi:[1,1,0] neg_lo:[0,0,1] neg_hi:[0,0,1]
	v_pk_fma_f32 v[68:69], v[76:77], v[114:115], v[68:69] op_sel:[0,0,1] op_sel_hi:[1,0,0]
	v_mov_b32_e32 v68, v113
	v_mov_b32_e32 v71, v69
	v_pk_mul_f32 v[68:69], v[78:79], v[68:69] op_sel_hi:[1,0]
	v_pk_add_f32 v[66:67], v[66:67], v[70:71]
	v_pk_fma_f32 v[70:71], v[78:79], v[112:113], v[68:69] op_sel:[0,0,1] op_sel_hi:[1,1,0] neg_lo:[0,0,1] neg_hi:[0,0,1]
	v_pk_fma_f32 v[68:69], v[78:79], v[112:113], v[68:69] op_sel:[0,0,1] op_sel_hi:[1,0,0]
	v_mov_b32_e32 v68, v111
	v_mov_b32_e32 v71, v69
	s_waitcnt lgkmcnt(0)
	v_pk_mul_f32 v[68:69], v[80:81], v[68:69] op_sel_hi:[1,0]
	v_pk_add_f32 v[66:67], v[66:67], v[70:71]
	v_pk_fma_f32 v[70:71], v[80:81], v[110:111], v[68:69] op_sel:[0,0,1] op_sel_hi:[1,1,0] neg_lo:[0,0,1] neg_hi:[0,0,1]
	v_pk_fma_f32 v[68:69], v[80:81], v[110:111], v[68:69] op_sel:[0,0,1] op_sel_hi:[1,0,0]
	s_waitcnt vmcnt(1)
	v_mov_b32_e32 v68, v123
	v_mov_b32_e32 v71, v69
	v_pk_mul_f32 v[68:69], v[82:83], v[68:69] op_sel_hi:[1,0]
	v_pk_add_f32 v[66:67], v[66:67], v[70:71]
	s_waitcnt vmcnt(0)
	v_pk_fma_f32 v[70:71], v[82:83], v[122:123], v[68:69] op_sel:[0,0,1] op_sel_hi:[1,1,0] neg_lo:[0,0,1] neg_hi:[0,0,1]
	v_pk_fma_f32 v[68:69], v[82:83], v[122:123], v[68:69] op_sel:[0,0,1] op_sel_hi:[1,0,0]
	v_mov_b32_e32 v71, v69
	v_pk_add_f32 v[66:67], v[66:67], v[70:71]
	v_pk_add_f32 v[66:67], v[100:101], v[66:67] neg_lo:[0,1] neg_hi:[0,1]
	buffer_store_dword v67, off, s[0:3], 0 offset:60
	buffer_store_dword v66, off, s[0:3], 0 offset:56
	s_and_saveexec_b64 s[4:5], vcc
	s_cbranch_execz .LBB31_193
; %bb.192:
	buffer_load_dword v66, off, s[0:3], 0 offset:48
	buffer_load_dword v67, off, s[0:3], 0 offset:52
	v_mov_b32_e32 v68, 0
	buffer_store_dword v68, off, s[0:3], 0 offset:48
	buffer_store_dword v68, off, s[0:3], 0 offset:52
	s_waitcnt vmcnt(2)
	ds_write_b64 v1, v[66:67]
.LBB31_193:
	s_or_b64 exec, exec, s[4:5]
	s_waitcnt lgkmcnt(0)
	; wave barrier
	s_waitcnt lgkmcnt(0)
	buffer_load_dword v69, off, s[0:3], 0 offset:60
	buffer_load_dword v122, off, s[0:3], 0 offset:68
	;; [unrolled: 1-line block ×36, first 2 shown]
	v_mov_b32_e32 v68, 0
	buffer_load_dword v111, off, s[0:3], 0 offset:204
	buffer_load_dword v110, off, s[0:3], 0 offset:200
	;; [unrolled: 1-line block ×5, first 2 shown]
	ds_read2_b64 v[70:73], v68 offset0:39 offset1:40
	ds_read2_b64 v[74:77], v68 offset0:41 offset1:42
	;; [unrolled: 1-line block ×8, first 2 shown]
	v_cmp_lt_u32_e32 vcc, 5, v0
	s_waitcnt vmcnt(40) lgkmcnt(7)
	v_mul_f32_e32 v102, v70, v69
	s_waitcnt vmcnt(39)
	v_mul_f32_e32 v103, v72, v122
	s_waitcnt vmcnt(38) lgkmcnt(6)
	v_mul_f32_e32 v104, v74, v124
	s_waitcnt vmcnt(37)
	v_mul_f32_e32 v105, v76, v126
	;; [unrolled: 4-line block ×7, first 2 shown]
	s_waitcnt vmcnt(26) lgkmcnt(0)
	v_mul_f32_e32 v123, v98, v142
	s_waitcnt vmcnt(25)
	v_fmac_f32_e32 v102, v71, v143
	s_waitcnt vmcnt(24)
	v_fmac_f32_e32 v103, v73, v144
	v_add_f32_e32 v102, 0, v102
	s_waitcnt vmcnt(23)
	v_fmac_f32_e32 v104, v75, v145
	v_add_f32_e32 v102, v102, v103
	;; [unrolled: 3-line block ×13, first 2 shown]
	v_add_f32_e32 v106, v102, v120
	buffer_load_dword v117, off, s[0:3], 0 offset:236
	buffer_load_dword v116, off, s[0:3], 0 offset:232
	;; [unrolled: 1-line block ×7, first 2 shown]
	s_waitcnt vmcnt(18)
	v_fmac_f32_e32 v123, v99, v157
	ds_read2_b64 v[102:105], v68 offset0:55 offset1:56
	v_add_f32_e32 v123, v106, v123
	ds_read2_b64 v[106:109], v68 offset0:57 offset1:58
	buffer_load_dword v129, off, s[0:3], 0 offset:252
	buffer_load_dword v128, off, s[0:3], 0 offset:248
	;; [unrolled: 1-line block ×4, first 2 shown]
	v_mul_f32_e32 v69, v71, v69
	v_fma_f32 v69, v70, v143, -v69
	v_mul_f32_e32 v70, v73, v122
	v_add_f32_e32 v69, 0, v69
	v_fma_f32 v70, v72, v144, -v70
	v_add_f32_e32 v69, v69, v70
	v_mul_f32_e32 v70, v75, v124
	v_fma_f32 v70, v74, v145, -v70
	v_add_f32_e32 v69, v69, v70
	v_mul_f32_e32 v70, v77, v126
	;; [unrolled: 3-line block ×13, first 2 shown]
	v_fma_f32 v70, v98, v157, -v70
	s_waitcnt vmcnt(13)
	v_mov_b32_e32 v82, v113
	v_mul_f32_e32 v125, v100, v158
	v_add_f32_e32 v122, v69, v70
	v_mul_f32_e32 v69, v101, v158
	s_waitcnt lgkmcnt(1)
	v_pk_mul_f32 v[82:83], v[104:105], v[82:83] op_sel_hi:[1,0]
	v_fmac_f32_e32 v125, v101, v159
	v_mul_f32_e32 v127, v102, v160
	v_fma_f32 v124, v100, v159, -v69
	v_mul_f32_e32 v69, v103, v160
	s_waitcnt vmcnt(12)
	v_pk_fma_f32 v[84:85], v[104:105], v[112:113], v[82:83] op_sel:[0,0,1] op_sel_hi:[1,1,0] neg_lo:[0,0,1] neg_hi:[0,0,1]
	v_pk_fma_f32 v[82:83], v[104:105], v[112:113], v[82:83] op_sel:[0,0,1] op_sel_hi:[1,0,0]
	v_fmac_f32_e32 v127, v103, v161
	v_fma_f32 v126, v102, v161, -v69
	v_pk_add_f32 v[80:81], v[122:123], v[124:125]
	v_mov_b32_e32 v82, v111
	v_pk_add_f32 v[80:81], v[80:81], v[126:127]
	v_mov_b32_e32 v85, v83
	s_waitcnt lgkmcnt(0)
	v_pk_mul_f32 v[82:83], v[106:107], v[82:83] op_sel_hi:[1,0]
	v_pk_add_f32 v[80:81], v[80:81], v[84:85]
	v_pk_fma_f32 v[84:85], v[106:107], v[110:111], v[82:83] op_sel:[0,0,1] op_sel_hi:[1,1,0] neg_lo:[0,0,1] neg_hi:[0,0,1]
	v_pk_fma_f32 v[82:83], v[106:107], v[110:111], v[82:83] op_sel:[0,0,1] op_sel_hi:[1,0,0]
	s_waitcnt vmcnt(11)
	v_mov_b32_e32 v82, v115
	ds_read2_b64 v[70:73], v68 offset0:59 offset1:60
	ds_read2_b64 v[74:77], v68 offset0:61 offset1:62
	ds_read_b64 v[78:79], v68 offset:504
	v_mov_b32_e32 v85, v83
	v_pk_mul_f32 v[82:83], v[108:109], v[82:83] op_sel_hi:[1,0]
	v_pk_add_f32 v[80:81], v[80:81], v[84:85]
	s_waitcnt vmcnt(4)
	v_pk_fma_f32 v[84:85], v[108:109], v[114:115], v[82:83] op_sel:[0,0,1] op_sel_hi:[1,1,0] neg_lo:[0,0,1] neg_hi:[0,0,1]
	v_pk_fma_f32 v[82:83], v[108:109], v[114:115], v[82:83] op_sel:[0,0,1] op_sel_hi:[1,0,0]
	v_mov_b32_e32 v82, v121
	v_mov_b32_e32 v85, v83
	s_waitcnt lgkmcnt(2)
	v_pk_mul_f32 v[82:83], v[70:71], v[82:83] op_sel_hi:[1,0]
	v_pk_add_f32 v[80:81], v[80:81], v[84:85]
	v_pk_fma_f32 v[84:85], v[70:71], v[120:121], v[82:83] op_sel:[0,0,1] op_sel_hi:[1,1,0] neg_lo:[0,0,1] neg_hi:[0,0,1]
	v_pk_fma_f32 v[70:71], v[70:71], v[120:121], v[82:83] op_sel:[0,0,1] op_sel_hi:[1,0,0]
	v_mov_b32_e32 v85, v71
	v_pk_add_f32 v[70:71], v[80:81], v[84:85]
	v_mov_b32_e32 v80, v119
	v_pk_mul_f32 v[80:81], v[72:73], v[80:81] op_sel_hi:[1,0]
	v_pk_fma_f32 v[82:83], v[72:73], v[118:119], v[80:81] op_sel:[0,0,1] op_sel_hi:[1,1,0] neg_lo:[0,0,1] neg_hi:[0,0,1]
	v_pk_fma_f32 v[72:73], v[72:73], v[118:119], v[80:81] op_sel:[0,0,1] op_sel_hi:[1,0,0]
	v_mov_b32_e32 v72, v117
	v_mov_b32_e32 v83, v73
	s_waitcnt lgkmcnt(1)
	v_pk_mul_f32 v[72:73], v[74:75], v[72:73] op_sel_hi:[1,0]
	v_pk_fma_f32 v[80:81], v[74:75], v[116:117], v[72:73] op_sel:[0,0,1] op_sel_hi:[1,1,0] neg_lo:[0,0,1] neg_hi:[0,0,1]
	v_pk_fma_f32 v[72:73], v[74:75], v[116:117], v[72:73] op_sel:[0,0,1] op_sel_hi:[1,0,0]
	s_waitcnt vmcnt(1)
	v_mov_b32_e32 v72, v131
	v_mov_b32_e32 v81, v73
	v_pk_mul_f32 v[72:73], v[76:77], v[72:73] op_sel_hi:[1,0]
	s_waitcnt vmcnt(0)
	v_pk_fma_f32 v[74:75], v[76:77], v[130:131], v[72:73] op_sel:[0,0,1] op_sel_hi:[1,1,0] neg_lo:[0,0,1] neg_hi:[0,0,1]
	v_pk_fma_f32 v[72:73], v[76:77], v[130:131], v[72:73] op_sel:[0,0,1] op_sel_hi:[1,0,0]
	v_pk_add_f32 v[70:71], v[70:71], v[82:83]
	v_mov_b32_e32 v72, v129
	v_pk_add_f32 v[70:71], v[70:71], v[80:81]
	v_mov_b32_e32 v75, v73
	s_waitcnt lgkmcnt(0)
	v_pk_mul_f32 v[72:73], v[78:79], v[72:73] op_sel_hi:[1,0]
	v_pk_add_f32 v[70:71], v[70:71], v[74:75]
	v_pk_fma_f32 v[74:75], v[78:79], v[128:129], v[72:73] op_sel:[0,0,1] op_sel_hi:[1,1,0] neg_lo:[0,0,1] neg_hi:[0,0,1]
	v_pk_fma_f32 v[72:73], v[78:79], v[128:129], v[72:73] op_sel:[0,0,1] op_sel_hi:[1,0,0]
	v_mov_b32_e32 v75, v73
	v_pk_add_f32 v[70:71], v[70:71], v[74:75]
	v_pk_add_f32 v[66:67], v[66:67], v[70:71] neg_lo:[0,1] neg_hi:[0,1]
	buffer_store_dword v67, off, s[0:3], 0 offset:52
	buffer_store_dword v66, off, s[0:3], 0 offset:48
	s_and_saveexec_b64 s[4:5], vcc
	s_cbranch_execz .LBB31_195
; %bb.194:
	buffer_load_dword v66, off, s[0:3], 0 offset:40
	buffer_load_dword v67, off, s[0:3], 0 offset:44
	s_waitcnt vmcnt(0)
	ds_write_b64 v1, v[66:67]
	buffer_store_dword v68, off, s[0:3], 0 offset:40
	buffer_store_dword v68, off, s[0:3], 0 offset:44
.LBB31_195:
	s_or_b64 exec, exec, s[4:5]
	s_waitcnt lgkmcnt(0)
	; wave barrier
	s_waitcnt lgkmcnt(0)
	buffer_load_dword v66, off, s[0:3], 0 offset:52
	buffer_load_dword v67, off, s[0:3], 0 offset:60
	;; [unrolled: 1-line block ×38, first 2 shown]
	ds_read_b128 v[70:73], v68 offset:304
	ds_read_b128 v[74:77], v68 offset:320
	;; [unrolled: 1-line block ×8, first 2 shown]
	buffer_load_dword v113, off, s[0:3], 0 offset:196
	buffer_load_dword v112, off, s[0:3], 0 offset:192
	buffer_load_dword v115, off, s[0:3], 0 offset:228
	buffer_load_dword v114, off, s[0:3], 0 offset:224
	v_cmp_lt_u32_e32 vcc, 4, v0
	s_waitcnt vmcnt(41) lgkmcnt(7)
	v_mul_f32_e32 v102, v70, v66
	s_waitcnt vmcnt(40)
	v_mul_f32_e32 v103, v72, v67
	s_waitcnt vmcnt(39) lgkmcnt(6)
	v_mul_f32_e32 v104, v74, v69
	s_waitcnt vmcnt(38)
	v_mul_f32_e32 v105, v76, v122
	;; [unrolled: 4-line block ×7, first 2 shown]
	s_waitcnt vmcnt(27) lgkmcnt(0)
	v_mul_f32_e32 v123, v98, v142
	s_waitcnt vmcnt(26)
	v_fmac_f32_e32 v102, v71, v143
	s_waitcnt vmcnt(25)
	v_fmac_f32_e32 v103, v73, v144
	v_add_f32_e32 v102, 0, v102
	s_waitcnt vmcnt(24)
	v_fmac_f32_e32 v104, v75, v145
	v_add_f32_e32 v102, v102, v103
	;; [unrolled: 3-line block ×13, first 2 shown]
	v_add_f32_e32 v102, v102, v121
	buffer_load_dword v117, off, s[0:3], 0 offset:220
	buffer_load_dword v116, off, s[0:3], 0 offset:216
	;; [unrolled: 1-line block ×6, first 2 shown]
	s_waitcnt vmcnt(18)
	v_fmac_f32_e32 v123, v99, v157
	s_waitcnt vmcnt(17)
	v_mul_f32_e32 v107, v100, v158
	v_add_f32_e32 v106, v102, v123
	s_waitcnt vmcnt(16)
	v_fmac_f32_e32 v107, v101, v159
	ds_read_b128 v[102:105], v68 offset:432
	v_add_f32_e32 v123, v106, v107
	ds_read_b128 v[106:109], v68 offset:448
	buffer_load_dword v129, off, s[0:3], 0 offset:252
	buffer_load_dword v128, off, s[0:3], 0 offset:248
	buffer_load_dword v131, off, s[0:3], 0 offset:244
	buffer_load_dword v130, off, s[0:3], 0 offset:240
	buffer_load_dword v133, off, s[0:3], 0 offset:236
	buffer_load_dword v132, off, s[0:3], 0 offset:232
	v_mul_f32_e32 v66, v71, v66
	v_fma_f32 v66, v70, v143, -v66
	v_mul_f32_e32 v67, v73, v67
	v_add_f32_e32 v66, 0, v66
	v_fma_f32 v67, v72, v144, -v67
	v_add_f32_e32 v66, v66, v67
	v_mul_f32_e32 v67, v75, v69
	v_fma_f32 v67, v74, v145, -v67
	v_add_f32_e32 v66, v66, v67
	v_mul_f32_e32 v67, v77, v122
	;; [unrolled: 3-line block ×14, first 2 shown]
	v_fma_f32 v67, v100, v159, -v67
	s_waitcnt vmcnt(15)
	v_mov_b32_e32 v80, v113
	s_waitcnt lgkmcnt(1)
	v_mul_f32_e32 v125, v102, v160
	v_add_f32_e32 v122, v66, v67
	v_mul_f32_e32 v66, v103, v160
	s_waitcnt lgkmcnt(0)
	v_pk_mul_f32 v[80:81], v[106:107], v[80:81] op_sel_hi:[1,0]
	v_fmac_f32_e32 v125, v103, v161
	v_mul_f32_e32 v127, v104, v162
	v_fma_f32 v124, v102, v161, -v66
	v_mul_f32_e32 v66, v105, v162
	s_waitcnt vmcnt(14)
	v_pk_fma_f32 v[82:83], v[106:107], v[112:113], v[80:81] op_sel:[0,0,1] op_sel_hi:[1,1,0] neg_lo:[0,0,1] neg_hi:[0,0,1]
	v_pk_fma_f32 v[80:81], v[106:107], v[112:113], v[80:81] op_sel:[0,0,1] op_sel_hi:[1,0,0]
	v_fmac_f32_e32 v127, v105, v163
	v_fma_f32 v126, v104, v163, -v66
	v_pk_add_f32 v[78:79], v[122:123], v[124:125]
	ds_read_b128 v[70:73], v68 offset:464
	ds_read_b128 v[74:77], v68 offset:480
	;; [unrolled: 1-line block ×3, first 2 shown]
	v_pk_add_f32 v[78:79], v[78:79], v[126:127]
	v_mov_b32_e32 v83, v81
	v_pk_add_f32 v[78:79], v[78:79], v[82:83]
	s_waitcnt vmcnt(7)
	v_mov_b32_e32 v80, v121
	v_pk_mul_f32 v[80:81], v[108:109], v[80:81] op_sel_hi:[1,0]
	s_waitcnt vmcnt(6)
	v_pk_fma_f32 v[82:83], v[108:109], v[120:121], v[80:81] op_sel:[0,0,1] op_sel_hi:[1,1,0] neg_lo:[0,0,1] neg_hi:[0,0,1]
	v_pk_fma_f32 v[80:81], v[108:109], v[120:121], v[80:81] op_sel:[0,0,1] op_sel_hi:[1,0,0]
	v_mov_b32_e32 v80, v119
	v_mov_b32_e32 v83, v81
	s_waitcnt lgkmcnt(2)
	v_pk_mul_f32 v[80:81], v[70:71], v[80:81] op_sel_hi:[1,0]
	v_pk_add_f32 v[78:79], v[78:79], v[82:83]
	v_pk_fma_f32 v[82:83], v[70:71], v[118:119], v[80:81] op_sel:[0,0,1] op_sel_hi:[1,1,0] neg_lo:[0,0,1] neg_hi:[0,0,1]
	v_pk_fma_f32 v[70:71], v[70:71], v[118:119], v[80:81] op_sel:[0,0,1] op_sel_hi:[1,0,0]
	v_mov_b32_e32 v83, v71
	v_pk_add_f32 v[70:71], v[78:79], v[82:83]
	v_mov_b32_e32 v78, v117
	v_pk_mul_f32 v[78:79], v[72:73], v[78:79] op_sel_hi:[1,0]
	v_pk_fma_f32 v[80:81], v[72:73], v[116:117], v[78:79] op_sel:[0,0,1] op_sel_hi:[1,1,0] neg_lo:[0,0,1] neg_hi:[0,0,1]
	v_pk_fma_f32 v[72:73], v[72:73], v[116:117], v[78:79] op_sel:[0,0,1] op_sel_hi:[1,0,0]
	v_mov_b32_e32 v72, v115
	v_mov_b32_e32 v81, v73
	s_waitcnt lgkmcnt(1)
	v_pk_mul_f32 v[72:73], v[74:75], v[72:73] op_sel_hi:[1,0]
	v_pk_fma_f32 v[78:79], v[74:75], v[114:115], v[72:73] op_sel:[0,0,1] op_sel_hi:[1,1,0] neg_lo:[0,0,1] neg_hi:[0,0,1]
	v_pk_fma_f32 v[72:73], v[74:75], v[114:115], v[72:73] op_sel:[0,0,1] op_sel_hi:[1,0,0]
	s_waitcnt vmcnt(1)
	v_mov_b32_e32 v72, v133
	v_mov_b32_e32 v79, v73
	v_pk_mul_f32 v[72:73], v[76:77], v[72:73] op_sel_hi:[1,0]
	s_waitcnt vmcnt(0)
	v_pk_fma_f32 v[74:75], v[76:77], v[132:133], v[72:73] op_sel:[0,0,1] op_sel_hi:[1,1,0] neg_lo:[0,0,1] neg_hi:[0,0,1]
	v_pk_fma_f32 v[72:73], v[76:77], v[132:133], v[72:73] op_sel:[0,0,1] op_sel_hi:[1,0,0]
	v_pk_add_f32 v[70:71], v[70:71], v[80:81]
	v_mov_b32_e32 v72, v131
	v_pk_add_f32 v[70:71], v[70:71], v[78:79]
	v_mov_b32_e32 v75, v73
	s_waitcnt lgkmcnt(0)
	v_pk_mul_f32 v[72:73], v[66:67], v[72:73] op_sel_hi:[1,0]
	v_pk_add_f32 v[70:71], v[70:71], v[74:75]
	v_pk_fma_f32 v[74:75], v[66:67], v[130:131], v[72:73] op_sel:[0,0,1] op_sel_hi:[1,1,0] neg_lo:[0,0,1] neg_hi:[0,0,1]
	v_pk_fma_f32 v[66:67], v[66:67], v[130:131], v[72:73] op_sel:[0,0,1] op_sel_hi:[1,0,0]
	v_mov_b32_e32 v75, v67
	v_pk_add_f32 v[66:67], v[70:71], v[74:75]
	v_mov_b32_e32 v70, v129
	v_pk_mul_f32 v[70:71], v[68:69], v[70:71] op_sel_hi:[1,0]
	v_pk_fma_f32 v[72:73], v[68:69], v[128:129], v[70:71] op_sel:[0,0,1] op_sel_hi:[1,1,0] neg_lo:[0,0,1] neg_hi:[0,0,1]
	v_pk_fma_f32 v[68:69], v[68:69], v[128:129], v[70:71] op_sel:[0,0,1] op_sel_hi:[1,0,0]
	v_mov_b32_e32 v73, v69
	v_pk_add_f32 v[66:67], v[66:67], v[72:73]
	v_pk_add_f32 v[66:67], v[110:111], v[66:67] neg_lo:[0,1] neg_hi:[0,1]
	buffer_store_dword v67, off, s[0:3], 0 offset:44
	buffer_store_dword v66, off, s[0:3], 0 offset:40
	s_and_saveexec_b64 s[4:5], vcc
	s_cbranch_execz .LBB31_197
; %bb.196:
	buffer_load_dword v66, off, s[0:3], 0 offset:32
	buffer_load_dword v67, off, s[0:3], 0 offset:36
	v_mov_b32_e32 v68, 0
	buffer_store_dword v68, off, s[0:3], 0 offset:32
	buffer_store_dword v68, off, s[0:3], 0 offset:36
	s_waitcnt vmcnt(2)
	ds_write_b64 v1, v[66:67]
.LBB31_197:
	s_or_b64 exec, exec, s[4:5]
	s_waitcnt lgkmcnt(0)
	; wave barrier
	s_waitcnt lgkmcnt(0)
	buffer_load_dword v69, off, s[0:3], 0 offset:44
	buffer_load_dword v118, off, s[0:3], 0 offset:52
	;; [unrolled: 1-line block ×40, first 2 shown]
	v_mov_b32_e32 v68, 0
	ds_read2_b64 v[70:73], v68 offset0:37 offset1:38
	ds_read2_b64 v[74:77], v68 offset0:39 offset1:40
	;; [unrolled: 1-line block ×8, first 2 shown]
	v_cmp_lt_u32_e32 vcc, 3, v0
	s_waitcnt vmcnt(39) lgkmcnt(7)
	v_mul_f32_e32 v102, v70, v69
	s_waitcnt vmcnt(38)
	v_mul_f32_e32 v103, v72, v118
	s_waitcnt vmcnt(37) lgkmcnt(6)
	v_mul_f32_e32 v104, v74, v120
	s_waitcnt vmcnt(36)
	v_mul_f32_e32 v105, v76, v122
	;; [unrolled: 4-line block ×8, first 2 shown]
	s_waitcnt vmcnt(23)
	v_fmac_f32_e32 v102, v71, v144
	s_waitcnt vmcnt(22)
	v_fmac_f32_e32 v103, v73, v145
	v_add_f32_e32 v102, 0, v102
	s_waitcnt vmcnt(21)
	v_fmac_f32_e32 v104, v75, v146
	v_add_f32_e32 v102, v102, v103
	;; [unrolled: 3-line block ×14, first 2 shown]
	v_add_f32_e32 v102, v102, v116
	s_waitcnt vmcnt(8)
	v_fmac_f32_e32 v117, v101, v159
	v_add_f32_e32 v119, v102, v117
	ds_read2_b64 v[102:105], v68 offset0:53 offset1:54
	buffer_load_dword v111, off, s[0:3], 0 offset:196
	buffer_load_dword v113, off, s[0:3], 0 offset:220
	;; [unrolled: 1-line block ×8, first 2 shown]
	ds_read2_b64 v[106:109], v68 offset0:55 offset1:56
	buffer_load_dword v125, off, s[0:3], 0 offset:252
	buffer_load_dword v124, off, s[0:3], 0 offset:248
	;; [unrolled: 1-line block ×8, first 2 shown]
	v_mul_f32_e32 v69, v71, v69
	v_fma_f32 v69, v70, v144, -v69
	v_mul_f32_e32 v70, v73, v118
	v_add_f32_e32 v69, 0, v69
	v_fma_f32 v70, v72, v145, -v70
	v_add_f32_e32 v69, v69, v70
	v_mul_f32_e32 v70, v75, v120
	v_fma_f32 v70, v74, v146, -v70
	v_add_f32_e32 v69, v69, v70
	v_mul_f32_e32 v70, v77, v122
	v_fma_f32 v70, v76, v147, -v70
	v_add_f32_e32 v69, v69, v70
	v_mul_f32_e32 v70, v79, v132
	v_fma_f32 v70, v78, v148, -v70
	v_add_f32_e32 v69, v69, v70
	v_mul_f32_e32 v70, v81, v133
	v_fma_f32 v70, v80, v149, -v70
	v_add_f32_e32 v69, v69, v70
	v_mul_f32_e32 v70, v83, v134
	v_fma_f32 v70, v82, v150, -v70
	v_add_f32_e32 v69, v69, v70
	v_mul_f32_e32 v70, v85, v135
	v_fma_f32 v70, v84, v151, -v70
	v_add_f32_e32 v69, v69, v70
	v_mul_f32_e32 v70, v87, v136
	v_fma_f32 v70, v86, v152, -v70
	v_add_f32_e32 v69, v69, v70
	v_mul_f32_e32 v70, v89, v137
	v_fma_f32 v70, v88, v153, -v70
	v_add_f32_e32 v69, v69, v70
	v_mul_f32_e32 v70, v91, v138
	v_fma_f32 v70, v90, v154, -v70
	v_add_f32_e32 v69, v69, v70
	v_mul_f32_e32 v70, v93, v139
	v_fma_f32 v70, v92, v155, -v70
	v_add_f32_e32 v69, v69, v70
	v_mul_f32_e32 v70, v95, v140
	v_fma_f32 v70, v94, v156, -v70
	v_add_f32_e32 v69, v69, v70
	v_mul_f32_e32 v70, v97, v141
	v_fma_f32 v70, v96, v157, -v70
	v_add_f32_e32 v69, v69, v70
	v_mul_f32_e32 v70, v99, v142
	v_fma_f32 v70, v98, v158, -v70
	v_add_f32_e32 v69, v69, v70
	v_mul_f32_e32 v70, v101, v143
	v_fma_f32 v70, v100, v159, -v70
	s_waitcnt vmcnt(23) lgkmcnt(1)
	v_mul_f32_e32 v121, v102, v160
	v_add_f32_e32 v69, v69, v70
	v_mul_f32_e32 v70, v103, v160
	s_waitcnt vmcnt(22)
	v_fmac_f32_e32 v121, v103, v161
	v_fma_f32 v70, v102, v161, -v70
	v_add_f32_e32 v119, v119, v121
	s_waitcnt vmcnt(21)
	v_mul_f32_e32 v121, v104, v162
	v_add_f32_e32 v118, v69, v70
	v_mul_f32_e32 v69, v105, v162
	s_waitcnt vmcnt(20)
	v_fmac_f32_e32 v121, v105, v163
	s_waitcnt vmcnt(19) lgkmcnt(0)
	v_mul_f32_e32 v123, v106, v164
	v_fma_f32 v120, v104, v163, -v69
	v_mul_f32_e32 v69, v107, v164
	ds_read2_b64 v[70:73], v68 offset0:57 offset1:58
	ds_read2_b64 v[74:77], v68 offset0:59 offset1:60
	;; [unrolled: 1-line block ×3, first 2 shown]
	ds_read_b64 v[82:83], v68 offset:504
	s_waitcnt vmcnt(18)
	v_fmac_f32_e32 v123, v107, v165
	v_fma_f32 v122, v106, v165, -v69
	v_pk_add_f32 v[84:85], v[118:119], v[120:121]
	v_pk_add_f32 v[84:85], v[84:85], v[122:123]
	s_waitcnt vmcnt(15)
	v_mov_b32_e32 v86, v111
	v_pk_mul_f32 v[86:87], v[108:109], v[86:87] op_sel_hi:[1,0]
	s_waitcnt vmcnt(8)
	v_pk_fma_f32 v[88:89], v[108:109], v[110:111], v[86:87] op_sel:[0,0,1] op_sel_hi:[1,1,0] neg_lo:[0,0,1] neg_hi:[0,0,1]
	v_pk_fma_f32 v[86:87], v[108:109], v[110:111], v[86:87] op_sel:[0,0,1] op_sel_hi:[1,0,0]
	v_mov_b32_e32 v86, v117
	v_mov_b32_e32 v89, v87
	s_waitcnt lgkmcnt(3)
	v_pk_mul_f32 v[86:87], v[70:71], v[86:87] op_sel_hi:[1,0]
	v_pk_add_f32 v[84:85], v[84:85], v[88:89]
	v_pk_fma_f32 v[88:89], v[70:71], v[116:117], v[86:87] op_sel:[0,0,1] op_sel_hi:[1,1,0] neg_lo:[0,0,1] neg_hi:[0,0,1]
	v_pk_fma_f32 v[70:71], v[70:71], v[116:117], v[86:87] op_sel:[0,0,1] op_sel_hi:[1,0,0]
	v_mov_b32_e32 v89, v71
	v_pk_add_f32 v[70:71], v[84:85], v[88:89]
	v_mov_b32_e32 v84, v115
	v_pk_mul_f32 v[84:85], v[72:73], v[84:85] op_sel_hi:[1,0]
	v_pk_fma_f32 v[86:87], v[72:73], v[114:115], v[84:85] op_sel:[0,0,1] op_sel_hi:[1,1,0] neg_lo:[0,0,1] neg_hi:[0,0,1]
	v_pk_fma_f32 v[72:73], v[72:73], v[114:115], v[84:85] op_sel:[0,0,1] op_sel_hi:[1,0,0]
	v_mov_b32_e32 v72, v113
	v_mov_b32_e32 v87, v73
	s_waitcnt lgkmcnt(2)
	v_pk_mul_f32 v[72:73], v[74:75], v[72:73] op_sel_hi:[1,0]
	v_pk_fma_f32 v[84:85], v[74:75], v[112:113], v[72:73] op_sel:[0,0,1] op_sel_hi:[1,1,0] neg_lo:[0,0,1] neg_hi:[0,0,1]
	v_pk_fma_f32 v[72:73], v[74:75], v[112:113], v[72:73] op_sel:[0,0,1] op_sel_hi:[1,0,0]
	s_waitcnt vmcnt(1)
	v_mov_b32_e32 v72, v131
	v_mov_b32_e32 v85, v73
	v_pk_mul_f32 v[72:73], v[76:77], v[72:73] op_sel_hi:[1,0]
	s_waitcnt vmcnt(0)
	v_pk_fma_f32 v[74:75], v[76:77], v[130:131], v[72:73] op_sel:[0,0,1] op_sel_hi:[1,1,0] neg_lo:[0,0,1] neg_hi:[0,0,1]
	v_pk_fma_f32 v[72:73], v[76:77], v[130:131], v[72:73] op_sel:[0,0,1] op_sel_hi:[1,0,0]
	v_pk_add_f32 v[70:71], v[70:71], v[86:87]
	v_mov_b32_e32 v72, v129
	v_pk_add_f32 v[70:71], v[70:71], v[84:85]
	v_mov_b32_e32 v75, v73
	s_waitcnt lgkmcnt(1)
	v_pk_mul_f32 v[72:73], v[78:79], v[72:73] op_sel_hi:[1,0]
	v_pk_add_f32 v[70:71], v[70:71], v[74:75]
	v_pk_fma_f32 v[74:75], v[78:79], v[128:129], v[72:73] op_sel:[0,0,1] op_sel_hi:[1,1,0] neg_lo:[0,0,1] neg_hi:[0,0,1]
	v_pk_fma_f32 v[72:73], v[78:79], v[128:129], v[72:73] op_sel:[0,0,1] op_sel_hi:[1,0,0]
	v_mov_b32_e32 v72, v127
	v_mov_b32_e32 v75, v73
	v_pk_mul_f32 v[72:73], v[80:81], v[72:73] op_sel_hi:[1,0]
	v_pk_add_f32 v[70:71], v[70:71], v[74:75]
	v_pk_fma_f32 v[74:75], v[80:81], v[126:127], v[72:73] op_sel:[0,0,1] op_sel_hi:[1,1,0] neg_lo:[0,0,1] neg_hi:[0,0,1]
	v_pk_fma_f32 v[72:73], v[80:81], v[126:127], v[72:73] op_sel:[0,0,1] op_sel_hi:[1,0,0]
	v_mov_b32_e32 v72, v125
	v_mov_b32_e32 v75, v73
	s_waitcnt lgkmcnt(0)
	v_pk_mul_f32 v[72:73], v[82:83], v[72:73] op_sel_hi:[1,0]
	v_pk_add_f32 v[70:71], v[70:71], v[74:75]
	v_pk_fma_f32 v[74:75], v[82:83], v[124:125], v[72:73] op_sel:[0,0,1] op_sel_hi:[1,1,0] neg_lo:[0,0,1] neg_hi:[0,0,1]
	v_pk_fma_f32 v[72:73], v[82:83], v[124:125], v[72:73] op_sel:[0,0,1] op_sel_hi:[1,0,0]
	v_mov_b32_e32 v75, v73
	v_pk_add_f32 v[70:71], v[70:71], v[74:75]
	v_pk_add_f32 v[66:67], v[66:67], v[70:71] neg_lo:[0,1] neg_hi:[0,1]
	buffer_store_dword v67, off, s[0:3], 0 offset:36
	buffer_store_dword v66, off, s[0:3], 0 offset:32
	s_and_saveexec_b64 s[4:5], vcc
	s_cbranch_execz .LBB31_199
; %bb.198:
	buffer_load_dword v66, off, s[0:3], 0 offset:24
	buffer_load_dword v67, off, s[0:3], 0 offset:28
	s_waitcnt vmcnt(0)
	ds_write_b64 v1, v[66:67]
	buffer_store_dword v68, off, s[0:3], 0 offset:24
	buffer_store_dword v68, off, s[0:3], 0 offset:28
.LBB31_199:
	s_or_b64 exec, exec, s[4:5]
	s_waitcnt lgkmcnt(0)
	; wave barrier
	s_waitcnt lgkmcnt(0)
	buffer_load_dword v69, off, s[0:3], 0 offset:36
	buffer_load_dword v110, off, s[0:3], 0 offset:44
	;; [unrolled: 1-line block ×42, first 2 shown]
	ds_read_b128 v[70:73], v68 offset:288
	ds_read_b128 v[74:77], v68 offset:304
	;; [unrolled: 1-line block ×8, first 2 shown]
	v_cmp_lt_u32_e32 vcc, 2, v0
	s_waitcnt vmcnt(41) lgkmcnt(7)
	v_mul_f32_e32 v102, v70, v69
	s_waitcnt vmcnt(40)
	v_mul_f32_e32 v103, v72, v110
	s_waitcnt vmcnt(39) lgkmcnt(6)
	v_mul_f32_e32 v104, v74, v112
	s_waitcnt vmcnt(38)
	v_mul_f32_e32 v105, v76, v120
	;; [unrolled: 4-line block ×7, first 2 shown]
	s_waitcnt vmcnt(27) lgkmcnt(0)
	v_mul_f32_e32 v118, v98, v142
	s_waitcnt vmcnt(26)
	v_fmac_f32_e32 v102, v71, v143
	s_waitcnt vmcnt(25)
	v_fmac_f32_e32 v103, v73, v144
	v_add_f32_e32 v102, 0, v102
	s_waitcnt vmcnt(24)
	v_fmac_f32_e32 v104, v75, v145
	v_add_f32_e32 v102, v102, v103
	;; [unrolled: 3-line block ×14, first 2 shown]
	s_waitcnt vmcnt(11)
	v_mul_f32_e32 v107, v100, v158
	v_add_f32_e32 v106, v102, v118
	s_waitcnt vmcnt(10)
	v_fmac_f32_e32 v107, v101, v159
	ds_read_b128 v[102:105], v68 offset:416
	v_add_f32_e32 v111, v106, v107
	ds_read_b128 v[106:109], v68 offset:432
	buffer_load_dword v115, off, s[0:3], 0 offset:196
	buffer_load_dword v117, off, s[0:3], 0 offset:212
	;; [unrolled: 1-line block ×16, first 2 shown]
	v_mul_f32_e32 v69, v71, v69
	v_fma_f32 v69, v70, v143, -v69
	v_mul_f32_e32 v70, v73, v110
	v_add_f32_e32 v69, 0, v69
	v_fma_f32 v70, v72, v144, -v70
	v_add_f32_e32 v69, v69, v70
	v_mul_f32_e32 v70, v75, v112
	v_fma_f32 v70, v74, v145, -v70
	v_add_f32_e32 v69, v69, v70
	v_mul_f32_e32 v70, v77, v120
	;; [unrolled: 3-line block ×14, first 2 shown]
	v_fma_f32 v70, v100, v159, -v70
	v_add_f32_e32 v69, v69, v70
	s_waitcnt vmcnt(25) lgkmcnt(1)
	v_mul_f32_e32 v70, v103, v160
	s_waitcnt vmcnt(24)
	v_fma_f32 v70, v102, v161, -v70
	v_add_f32_e32 v69, v69, v70
	s_waitcnt vmcnt(23)
	v_mul_f32_e32 v70, v105, v162
	s_waitcnt vmcnt(22)
	v_fma_f32 v70, v104, v163, -v70
	v_add_f32_e32 v110, v69, v70
	ds_read_b128 v[70:73], v68 offset:448
	ds_read_b128 v[74:77], v68 offset:464
	;; [unrolled: 1-line block ×4, first 2 shown]
	v_mul_f32_e32 v113, v102, v160
	v_fmac_f32_e32 v113, v103, v161
	v_add_f32_e32 v111, v111, v113
	v_mul_f32_e32 v113, v104, v162
	v_fmac_f32_e32 v113, v105, v163
	v_add_f32_e32 v111, v111, v113
	s_waitcnt vmcnt(21) lgkmcnt(4)
	v_mul_f32_e32 v113, v106, v164
	v_mul_f32_e32 v69, v107, v164
	s_waitcnt vmcnt(20)
	v_fmac_f32_e32 v113, v107, v165
	s_waitcnt vmcnt(19)
	v_mul_f32_e32 v121, v108, v166
	v_fma_f32 v112, v106, v165, -v69
	v_mul_f32_e32 v69, v109, v166
	s_waitcnt vmcnt(18)
	v_fmac_f32_e32 v121, v109, v167
	v_fma_f32 v120, v108, v167, -v69
	v_pk_add_f32 v[68:69], v[110:111], v[112:113]
	v_pk_add_f32 v[68:69], v[68:69], v[120:121]
	s_waitcnt vmcnt(15)
	v_mov_b32_e32 v86, v115
	s_waitcnt lgkmcnt(3)
	v_pk_mul_f32 v[86:87], v[70:71], v[86:87] op_sel_hi:[1,0]
	s_waitcnt vmcnt(10)
	v_pk_fma_f32 v[88:89], v[70:71], v[114:115], v[86:87] op_sel:[0,0,1] op_sel_hi:[1,1,0] neg_lo:[0,0,1] neg_hi:[0,0,1]
	v_pk_fma_f32 v[70:71], v[70:71], v[114:115], v[86:87] op_sel:[0,0,1] op_sel_hi:[1,0,0]
	v_mov_b32_e32 v70, v119
	v_mov_b32_e32 v89, v71
	v_pk_mul_f32 v[70:71], v[72:73], v[70:71] op_sel_hi:[1,0]
	v_pk_fma_f32 v[86:87], v[72:73], v[118:119], v[70:71] op_sel:[0,0,1] op_sel_hi:[1,1,0] neg_lo:[0,0,1] neg_hi:[0,0,1]
	v_pk_fma_f32 v[70:71], v[72:73], v[118:119], v[70:71] op_sel:[0,0,1] op_sel_hi:[1,0,0]
	v_mov_b32_e32 v70, v117
	v_mov_b32_e32 v87, v71
	s_waitcnt lgkmcnt(2)
	v_pk_mul_f32 v[70:71], v[74:75], v[70:71] op_sel_hi:[1,0]
	v_pk_fma_f32 v[72:73], v[74:75], v[116:117], v[70:71] op_sel:[0,0,1] op_sel_hi:[1,1,0] neg_lo:[0,0,1] neg_hi:[0,0,1]
	v_pk_fma_f32 v[70:71], v[74:75], v[116:117], v[70:71] op_sel:[0,0,1] op_sel_hi:[1,0,0]
	v_pk_add_f32 v[68:69], v[68:69], v[88:89]
	s_waitcnt vmcnt(3)
	v_mov_b32_e32 v70, v129
	v_pk_add_f32 v[68:69], v[68:69], v[86:87]
	v_mov_b32_e32 v73, v71
	v_pk_mul_f32 v[70:71], v[76:77], v[70:71] op_sel_hi:[1,0]
	v_pk_add_f32 v[68:69], v[68:69], v[72:73]
	s_waitcnt vmcnt(2)
	v_pk_fma_f32 v[72:73], v[76:77], v[128:129], v[70:71] op_sel:[0,0,1] op_sel_hi:[1,1,0] neg_lo:[0,0,1] neg_hi:[0,0,1]
	v_pk_fma_f32 v[70:71], v[76:77], v[128:129], v[70:71] op_sel:[0,0,1] op_sel_hi:[1,0,0]
	v_mov_b32_e32 v70, v127
	v_mov_b32_e32 v73, v71
	s_waitcnt lgkmcnt(1)
	v_pk_mul_f32 v[70:71], v[78:79], v[70:71] op_sel_hi:[1,0]
	v_pk_add_f32 v[68:69], v[68:69], v[72:73]
	v_pk_fma_f32 v[72:73], v[78:79], v[126:127], v[70:71] op_sel:[0,0,1] op_sel_hi:[1,1,0] neg_lo:[0,0,1] neg_hi:[0,0,1]
	v_pk_fma_f32 v[70:71], v[78:79], v[126:127], v[70:71] op_sel:[0,0,1] op_sel_hi:[1,0,0]
	v_mov_b32_e32 v70, v125
	v_mov_b32_e32 v73, v71
	v_pk_mul_f32 v[70:71], v[80:81], v[70:71] op_sel_hi:[1,0]
	v_pk_add_f32 v[68:69], v[68:69], v[72:73]
	v_pk_fma_f32 v[72:73], v[80:81], v[124:125], v[70:71] op_sel:[0,0,1] op_sel_hi:[1,1,0] neg_lo:[0,0,1] neg_hi:[0,0,1]
	v_pk_fma_f32 v[70:71], v[80:81], v[124:125], v[70:71] op_sel:[0,0,1] op_sel_hi:[1,0,0]
	v_mov_b32_e32 v70, v123
	v_mov_b32_e32 v73, v71
	s_waitcnt lgkmcnt(0)
	v_pk_mul_f32 v[70:71], v[82:83], v[70:71] op_sel_hi:[1,0]
	v_pk_add_f32 v[68:69], v[68:69], v[72:73]
	v_pk_fma_f32 v[72:73], v[82:83], v[122:123], v[70:71] op_sel:[0,0,1] op_sel_hi:[1,1,0] neg_lo:[0,0,1] neg_hi:[0,0,1]
	v_pk_fma_f32 v[70:71], v[82:83], v[122:123], v[70:71] op_sel:[0,0,1] op_sel_hi:[1,0,0]
	s_waitcnt vmcnt(1)
	v_mov_b32_e32 v70, v131
	v_mov_b32_e32 v73, v71
	v_pk_mul_f32 v[70:71], v[84:85], v[70:71] op_sel_hi:[1,0]
	v_pk_add_f32 v[68:69], v[68:69], v[72:73]
	s_waitcnt vmcnt(0)
	v_pk_fma_f32 v[72:73], v[84:85], v[130:131], v[70:71] op_sel:[0,0,1] op_sel_hi:[1,1,0] neg_lo:[0,0,1] neg_hi:[0,0,1]
	v_pk_fma_f32 v[70:71], v[84:85], v[130:131], v[70:71] op_sel:[0,0,1] op_sel_hi:[1,0,0]
	v_mov_b32_e32 v73, v71
	v_pk_add_f32 v[68:69], v[68:69], v[72:73]
	v_pk_add_f32 v[66:67], v[66:67], v[68:69] neg_lo:[0,1] neg_hi:[0,1]
	buffer_store_dword v67, off, s[0:3], 0 offset:28
	buffer_store_dword v66, off, s[0:3], 0 offset:24
	s_and_saveexec_b64 s[4:5], vcc
	s_cbranch_execz .LBB31_201
; %bb.200:
	buffer_load_dword v66, off, s[0:3], 0 offset:16
	buffer_load_dword v67, off, s[0:3], 0 offset:20
	v_mov_b32_e32 v68, 0
	buffer_store_dword v68, off, s[0:3], 0 offset:16
	buffer_store_dword v68, off, s[0:3], 0 offset:20
	s_waitcnt vmcnt(2)
	ds_write_b64 v1, v[66:67]
.LBB31_201:
	s_or_b64 exec, exec, s[4:5]
	s_waitcnt lgkmcnt(0)
	; wave barrier
	s_waitcnt lgkmcnt(0)
	buffer_load_dword v69, off, s[0:3], 0 offset:28
	buffer_load_dword v118, off, s[0:3], 0 offset:36
	;; [unrolled: 1-line block ×44, first 2 shown]
	v_mov_b32_e32 v68, 0
	ds_read2_b64 v[70:73], v68 offset0:35 offset1:36
	ds_read2_b64 v[74:77], v68 offset0:37 offset1:38
	;; [unrolled: 1-line block ×8, first 2 shown]
	v_cmp_lt_u32_e32 vcc, 1, v0
	s_waitcnt vmcnt(43) lgkmcnt(7)
	v_mul_f32_e32 v102, v70, v69
	s_waitcnt vmcnt(42)
	v_mul_f32_e32 v103, v72, v118
	s_waitcnt vmcnt(41) lgkmcnt(6)
	v_mul_f32_e32 v104, v74, v124
	s_waitcnt vmcnt(40)
	v_mul_f32_e32 v105, v76, v126
	;; [unrolled: 4-line block ×7, first 2 shown]
	s_waitcnt vmcnt(29)
	v_fmac_f32_e32 v102, v71, v150
	s_waitcnt vmcnt(28)
	v_fmac_f32_e32 v103, v73, v151
	v_add_f32_e32 v102, 0, v102
	s_waitcnt vmcnt(27)
	v_fmac_f32_e32 v104, v75, v152
	v_add_f32_e32 v102, v102, v103
	;; [unrolled: 3-line block ×12, first 2 shown]
	v_add_f32_e32 v102, v102, v114
	s_waitcnt vmcnt(16)
	v_fmac_f32_e32 v115, v97, v163
	s_waitcnt vmcnt(15) lgkmcnt(0)
	v_mul_f32_e32 v103, v98, v164
	v_add_f32_e32 v102, v102, v115
	s_waitcnt vmcnt(14)
	v_fmac_f32_e32 v103, v99, v165
	v_add_f32_e32 v106, v102, v103
	ds_read2_b64 v[102:105], v68 offset0:51 offset1:52
	s_waitcnt vmcnt(13)
	v_mul_f32_e32 v107, v100, v166
	s_waitcnt vmcnt(12)
	v_fmac_f32_e32 v107, v101, v167
	v_add_f32_e32 v110, v106, v107
	ds_read2_b64 v[106:109], v68 offset0:53 offset1:54
	s_waitcnt vmcnt(11) lgkmcnt(1)
	v_mul_f32_e32 v111, v102, v168
	s_waitcnt vmcnt(10)
	v_fmac_f32_e32 v111, v103, v169
	v_add_f32_e32 v110, v110, v111
	s_waitcnt vmcnt(9)
	v_mul_f32_e32 v111, v104, v170
	s_waitcnt vmcnt(8)
	v_fmac_f32_e32 v111, v105, v171
	v_add_f32_e32 v110, v110, v111
	s_waitcnt vmcnt(7) lgkmcnt(0)
	v_mul_f32_e32 v111, v106, v172
	s_waitcnt vmcnt(6)
	v_fmac_f32_e32 v111, v107, v173
	v_add_f32_e32 v119, v110, v111
	ds_read2_b64 v[110:113], v68 offset0:55 offset1:56
	buffer_load_dword v121, off, s[0:3], 0 offset:204
	buffer_load_dword v120, off, s[0:3], 0 offset:200
	;; [unrolled: 1-line block ×4, first 2 shown]
	ds_read2_b64 v[114:117], v68 offset0:57 offset1:58
	buffer_load_dword v129, off, s[0:3], 0 offset:236
	buffer_load_dword v128, off, s[0:3], 0 offset:232
	;; [unrolled: 1-line block ×12, first 2 shown]
	v_mul_f32_e32 v69, v71, v69
	v_fma_f32 v69, v70, v150, -v69
	v_mul_f32_e32 v70, v73, v118
	v_add_f32_e32 v69, 0, v69
	v_fma_f32 v70, v72, v151, -v70
	v_add_f32_e32 v69, v69, v70
	v_mul_f32_e32 v70, v75, v124
	v_fma_f32 v70, v74, v152, -v70
	v_add_f32_e32 v69, v69, v70
	v_mul_f32_e32 v70, v77, v126
	;; [unrolled: 3-line block ×17, first 2 shown]
	v_fma_f32 v70, v106, v173, -v70
	s_waitcnt vmcnt(21)
	v_mul_f32_e32 v125, v108, v174
	v_add_f32_e32 v118, v69, v70
	v_mul_f32_e32 v69, v109, v174
	s_waitcnt vmcnt(20)
	v_fmac_f32_e32 v125, v109, v175
	s_waitcnt vmcnt(19) lgkmcnt(1)
	v_mul_f32_e32 v127, v110, v176
	v_fma_f32 v124, v108, v175, -v69
	v_mul_f32_e32 v69, v111, v176
	s_waitcnt vmcnt(18)
	v_fmac_f32_e32 v127, v111, v177
	v_fma_f32 v126, v110, v177, -v69
	v_pk_add_f32 v[80:81], v[118:119], v[124:125]
	v_pk_add_f32 v[80:81], v[80:81], v[126:127]
	ds_read2_b64 v[70:73], v68 offset0:59 offset1:60
	ds_read2_b64 v[74:77], v68 offset0:61 offset1:62
	ds_read_b64 v[78:79], v68 offset:504
	s_waitcnt vmcnt(13)
	v_mov_b32_e32 v82, v123
	v_pk_mul_f32 v[82:83], v[112:113], v[82:83] op_sel_hi:[1,0]
	s_waitcnt vmcnt(12)
	v_pk_fma_f32 v[84:85], v[112:113], v[122:123], v[82:83] op_sel:[0,0,1] op_sel_hi:[1,1,0] neg_lo:[0,0,1] neg_hi:[0,0,1]
	v_pk_fma_f32 v[82:83], v[112:113], v[122:123], v[82:83] op_sel:[0,0,1] op_sel_hi:[1,0,0]
	v_mov_b32_e32 v82, v121
	v_mov_b32_e32 v85, v83
	s_waitcnt lgkmcnt(3)
	v_pk_mul_f32 v[82:83], v[114:115], v[82:83] op_sel_hi:[1,0]
	v_pk_add_f32 v[80:81], v[80:81], v[84:85]
	v_pk_fma_f32 v[84:85], v[114:115], v[120:121], v[82:83] op_sel:[0,0,1] op_sel_hi:[1,1,0] neg_lo:[0,0,1] neg_hi:[0,0,1]
	v_pk_fma_f32 v[82:83], v[114:115], v[120:121], v[82:83] op_sel:[0,0,1] op_sel_hi:[1,0,0]
	s_waitcnt vmcnt(5)
	v_mov_b32_e32 v82, v135
	v_mov_b32_e32 v85, v83
	v_pk_mul_f32 v[82:83], v[116:117], v[82:83] op_sel_hi:[1,0]
	v_pk_add_f32 v[80:81], v[80:81], v[84:85]
	s_waitcnt vmcnt(4)
	v_pk_fma_f32 v[84:85], v[116:117], v[134:135], v[82:83] op_sel:[0,0,1] op_sel_hi:[1,1,0] neg_lo:[0,0,1] neg_hi:[0,0,1]
	v_pk_fma_f32 v[82:83], v[116:117], v[134:135], v[82:83] op_sel:[0,0,1] op_sel_hi:[1,0,0]
	v_mov_b32_e32 v82, v133
	v_mov_b32_e32 v85, v83
	s_waitcnt lgkmcnt(2)
	v_pk_mul_f32 v[82:83], v[70:71], v[82:83] op_sel_hi:[1,0]
	v_pk_add_f32 v[80:81], v[80:81], v[84:85]
	v_pk_fma_f32 v[84:85], v[70:71], v[132:133], v[82:83] op_sel:[0,0,1] op_sel_hi:[1,1,0] neg_lo:[0,0,1] neg_hi:[0,0,1]
	v_pk_fma_f32 v[70:71], v[70:71], v[132:133], v[82:83] op_sel:[0,0,1] op_sel_hi:[1,0,0]
	v_mov_b32_e32 v85, v71
	v_pk_add_f32 v[70:71], v[80:81], v[84:85]
	v_mov_b32_e32 v80, v131
	v_pk_mul_f32 v[80:81], v[72:73], v[80:81] op_sel_hi:[1,0]
	v_pk_fma_f32 v[82:83], v[72:73], v[130:131], v[80:81] op_sel:[0,0,1] op_sel_hi:[1,1,0] neg_lo:[0,0,1] neg_hi:[0,0,1]
	v_pk_fma_f32 v[72:73], v[72:73], v[130:131], v[80:81] op_sel:[0,0,1] op_sel_hi:[1,0,0]
	v_mov_b32_e32 v72, v129
	v_mov_b32_e32 v83, v73
	s_waitcnt lgkmcnt(1)
	v_pk_mul_f32 v[72:73], v[74:75], v[72:73] op_sel_hi:[1,0]
	v_pk_fma_f32 v[80:81], v[74:75], v[128:129], v[72:73] op_sel:[0,0,1] op_sel_hi:[1,1,0] neg_lo:[0,0,1] neg_hi:[0,0,1]
	v_pk_fma_f32 v[72:73], v[74:75], v[128:129], v[72:73] op_sel:[0,0,1] op_sel_hi:[1,0,0]
	s_waitcnt vmcnt(1)
	v_mov_b32_e32 v72, v139
	v_mov_b32_e32 v81, v73
	v_pk_mul_f32 v[72:73], v[76:77], v[72:73] op_sel_hi:[1,0]
	s_waitcnt vmcnt(0)
	v_pk_fma_f32 v[74:75], v[76:77], v[138:139], v[72:73] op_sel:[0,0,1] op_sel_hi:[1,1,0] neg_lo:[0,0,1] neg_hi:[0,0,1]
	v_pk_fma_f32 v[72:73], v[76:77], v[138:139], v[72:73] op_sel:[0,0,1] op_sel_hi:[1,0,0]
	v_pk_add_f32 v[70:71], v[70:71], v[82:83]
	v_mov_b32_e32 v72, v137
	v_pk_add_f32 v[70:71], v[70:71], v[80:81]
	v_mov_b32_e32 v75, v73
	s_waitcnt lgkmcnt(0)
	v_pk_mul_f32 v[72:73], v[78:79], v[72:73] op_sel_hi:[1,0]
	v_pk_add_f32 v[70:71], v[70:71], v[74:75]
	v_pk_fma_f32 v[74:75], v[78:79], v[136:137], v[72:73] op_sel:[0,0,1] op_sel_hi:[1,1,0] neg_lo:[0,0,1] neg_hi:[0,0,1]
	v_pk_fma_f32 v[72:73], v[78:79], v[136:137], v[72:73] op_sel:[0,0,1] op_sel_hi:[1,0,0]
	v_mov_b32_e32 v75, v73
	v_pk_add_f32 v[70:71], v[70:71], v[74:75]
	v_pk_add_f32 v[66:67], v[66:67], v[70:71] neg_lo:[0,1] neg_hi:[0,1]
	buffer_store_dword v67, off, s[0:3], 0 offset:20
	buffer_store_dword v66, off, s[0:3], 0 offset:16
	s_and_saveexec_b64 s[4:5], vcc
	s_cbranch_execz .LBB31_203
; %bb.202:
	buffer_load_dword v66, off, s[0:3], 0 offset:8
	buffer_load_dword v67, off, s[0:3], 0 offset:12
	s_waitcnt vmcnt(0)
	ds_write_b64 v1, v[66:67]
	buffer_store_dword v68, off, s[0:3], 0 offset:8
	buffer_store_dword v68, off, s[0:3], 0 offset:12
.LBB31_203:
	s_or_b64 exec, exec, s[4:5]
	s_waitcnt lgkmcnt(0)
	; wave barrier
	s_waitcnt lgkmcnt(0)
	buffer_load_dword v69, off, s[0:3], 0 offset:20
	buffer_load_dword v120, off, s[0:3], 0 offset:28
	;; [unrolled: 1-line block ×46, first 2 shown]
	ds_read_b128 v[70:73], v68 offset:272
	ds_read_b128 v[74:77], v68 offset:288
	ds_read_b128 v[78:81], v68 offset:304
	ds_read_b128 v[82:85], v68 offset:320
	ds_read_b128 v[86:89], v68 offset:336
	ds_read_b128 v[90:93], v68 offset:352
	ds_read_b128 v[94:97], v68 offset:368
	ds_read_b128 v[98:101], v68 offset:384
	v_cmp_ne_u32_e32 vcc, 0, v0
	s_waitcnt vmcnt(45) lgkmcnt(7)
	v_mul_f32_e32 v102, v70, v69
	s_waitcnt vmcnt(44)
	v_mul_f32_e32 v103, v72, v120
	s_waitcnt vmcnt(43) lgkmcnt(6)
	v_mul_f32_e32 v104, v74, v122
	s_waitcnt vmcnt(42)
	v_mul_f32_e32 v105, v76, v124
	;; [unrolled: 4-line block ×6, first 2 shown]
	s_waitcnt vmcnt(33) lgkmcnt(1)
	v_mul_f32_e32 v114, v94, v148
	s_waitcnt vmcnt(32)
	v_fmac_f32_e32 v102, v71, v149
	s_waitcnt vmcnt(31)
	v_fmac_f32_e32 v103, v73, v150
	v_add_f32_e32 v102, 0, v102
	s_waitcnt vmcnt(30)
	v_fmac_f32_e32 v104, v75, v151
	v_add_f32_e32 v102, v102, v103
	;; [unrolled: 3-line block ×12, first 2 shown]
	s_waitcnt vmcnt(19)
	v_mul_f32_e32 v103, v96, v162
	v_add_f32_e32 v102, v102, v114
	s_waitcnt vmcnt(18)
	v_fmac_f32_e32 v103, v97, v163
	v_add_f32_e32 v102, v102, v103
	s_waitcnt vmcnt(17) lgkmcnt(0)
	v_mul_f32_e32 v103, v98, v164
	s_waitcnt vmcnt(16)
	v_fmac_f32_e32 v103, v99, v165
	v_add_f32_e32 v106, v102, v103
	ds_read_b128 v[102:105], v68 offset:400
	s_waitcnt vmcnt(15)
	v_mul_f32_e32 v107, v100, v166
	s_waitcnt vmcnt(14)
	v_fmac_f32_e32 v107, v101, v167
	v_add_f32_e32 v110, v106, v107
	ds_read_b128 v[106:109], v68 offset:416
	buffer_load_dword v119, off, s[0:3], 0 offset:196
	buffer_load_dword v118, off, s[0:3], 0 offset:192
	s_waitcnt vmcnt(15) lgkmcnt(1)
	v_mul_f32_e32 v111, v102, v168
	s_waitcnt vmcnt(14)
	v_fmac_f32_e32 v111, v103, v169
	v_add_f32_e32 v110, v110, v111
	s_waitcnt vmcnt(13)
	v_mul_f32_e32 v111, v104, v170
	s_waitcnt vmcnt(12)
	v_fmac_f32_e32 v111, v105, v171
	v_add_f32_e32 v110, v110, v111
	s_waitcnt vmcnt(11) lgkmcnt(0)
	v_mul_f32_e32 v111, v106, v172
	s_waitcnt vmcnt(10)
	v_fmac_f32_e32 v111, v107, v173
	s_waitcnt vmcnt(9)
	v_mul_f32_e32 v115, v108, v174
	v_add_f32_e32 v114, v110, v111
	s_waitcnt vmcnt(8)
	v_fmac_f32_e32 v115, v109, v175
	ds_read_b128 v[110:113], v68 offset:432
	v_add_f32_e32 v121, v114, v115
	ds_read_b128 v[114:117], v68 offset:448
	buffer_load_dword v127, off, s[0:3], 0 offset:228
	buffer_load_dword v126, off, s[0:3], 0 offset:224
	;; [unrolled: 1-line block ×14, first 2 shown]
	v_mul_f32_e32 v69, v71, v69
	v_fma_f32 v69, v70, v149, -v69
	v_mul_f32_e32 v70, v73, v120
	v_add_f32_e32 v69, 0, v69
	v_fma_f32 v70, v72, v150, -v70
	v_add_f32_e32 v69, v69, v70
	v_mul_f32_e32 v70, v75, v122
	v_fma_f32 v70, v74, v151, -v70
	v_add_f32_e32 v69, v69, v70
	v_mul_f32_e32 v70, v77, v124
	;; [unrolled: 3-line block ×18, first 2 shown]
	v_fma_f32 v70, v108, v175, -v70
	s_waitcnt vmcnt(21) lgkmcnt(1)
	v_mul_f32_e32 v123, v110, v176
	v_add_f32_e32 v120, v69, v70
	v_mul_f32_e32 v69, v111, v176
	s_waitcnt vmcnt(20)
	v_fmac_f32_e32 v123, v111, v177
	s_waitcnt vmcnt(15)
	v_mov_b32_e32 v82, v119
	s_waitcnt lgkmcnt(0)
	v_pk_mul_f32 v[82:83], v[114:115], v[82:83] op_sel_hi:[1,0]
	v_mul_f32_e32 v125, v112, v178
	v_fma_f32 v122, v110, v177, -v69
	v_mul_f32_e32 v69, v113, v178
	s_waitcnt vmcnt(14)
	v_pk_fma_f32 v[84:85], v[114:115], v[118:119], v[82:83] op_sel:[0,0,1] op_sel_hi:[1,1,0] neg_lo:[0,0,1] neg_hi:[0,0,1]
	v_pk_fma_f32 v[82:83], v[114:115], v[118:119], v[82:83] op_sel:[0,0,1] op_sel_hi:[1,0,0]
	v_fmac_f32_e32 v125, v113, v179
	v_fma_f32 v124, v112, v179, -v69
	ds_read_b128 v[70:73], v68 offset:464
	ds_read_b128 v[74:77], v68 offset:480
	ds_read_b128 v[78:81], v68 offset:496
	v_pk_add_f32 v[68:69], v[120:121], v[122:123]
	s_waitcnt vmcnt(7)
	v_mov_b32_e32 v82, v133
	v_pk_add_f32 v[68:69], v[68:69], v[124:125]
	v_mov_b32_e32 v85, v83
	v_pk_mul_f32 v[82:83], v[116:117], v[82:83] op_sel_hi:[1,0]
	v_pk_add_f32 v[68:69], v[68:69], v[84:85]
	s_waitcnt vmcnt(6)
	v_pk_fma_f32 v[84:85], v[116:117], v[132:133], v[82:83] op_sel:[0,0,1] op_sel_hi:[1,1,0] neg_lo:[0,0,1] neg_hi:[0,0,1]
	v_pk_fma_f32 v[82:83], v[116:117], v[132:133], v[82:83] op_sel:[0,0,1] op_sel_hi:[1,0,0]
	v_mov_b32_e32 v82, v131
	v_mov_b32_e32 v85, v83
	s_waitcnt lgkmcnt(2)
	v_pk_mul_f32 v[82:83], v[70:71], v[82:83] op_sel_hi:[1,0]
	v_pk_add_f32 v[68:69], v[68:69], v[84:85]
	v_pk_fma_f32 v[84:85], v[70:71], v[130:131], v[82:83] op_sel:[0,0,1] op_sel_hi:[1,1,0] neg_lo:[0,0,1] neg_hi:[0,0,1]
	v_pk_fma_f32 v[70:71], v[70:71], v[130:131], v[82:83] op_sel:[0,0,1] op_sel_hi:[1,0,0]
	v_mov_b32_e32 v70, v129
	v_mov_b32_e32 v85, v71
	v_pk_mul_f32 v[70:71], v[72:73], v[70:71] op_sel_hi:[1,0]
	v_pk_fma_f32 v[82:83], v[72:73], v[128:129], v[70:71] op_sel:[0,0,1] op_sel_hi:[1,1,0] neg_lo:[0,0,1] neg_hi:[0,0,1]
	v_pk_fma_f32 v[70:71], v[72:73], v[128:129], v[70:71] op_sel:[0,0,1] op_sel_hi:[1,0,0]
	v_mov_b32_e32 v70, v127
	v_mov_b32_e32 v83, v71
	s_waitcnt lgkmcnt(1)
	v_pk_mul_f32 v[70:71], v[74:75], v[70:71] op_sel_hi:[1,0]
	v_pk_fma_f32 v[72:73], v[74:75], v[126:127], v[70:71] op_sel:[0,0,1] op_sel_hi:[1,1,0] neg_lo:[0,0,1] neg_hi:[0,0,1]
	v_pk_fma_f32 v[70:71], v[74:75], v[126:127], v[70:71] op_sel:[0,0,1] op_sel_hi:[1,0,0]
	v_pk_add_f32 v[68:69], v[68:69], v[84:85]
	s_waitcnt vmcnt(1)
	v_mov_b32_e32 v70, v139
	v_pk_add_f32 v[68:69], v[68:69], v[82:83]
	v_mov_b32_e32 v73, v71
	v_pk_mul_f32 v[70:71], v[76:77], v[70:71] op_sel_hi:[1,0]
	v_pk_add_f32 v[68:69], v[68:69], v[72:73]
	s_waitcnt vmcnt(0)
	v_pk_fma_f32 v[72:73], v[76:77], v[138:139], v[70:71] op_sel:[0,0,1] op_sel_hi:[1,1,0] neg_lo:[0,0,1] neg_hi:[0,0,1]
	v_pk_fma_f32 v[70:71], v[76:77], v[138:139], v[70:71] op_sel:[0,0,1] op_sel_hi:[1,0,0]
	v_mov_b32_e32 v70, v137
	v_mov_b32_e32 v73, v71
	s_waitcnt lgkmcnt(0)
	v_pk_mul_f32 v[70:71], v[78:79], v[70:71] op_sel_hi:[1,0]
	v_pk_add_f32 v[68:69], v[68:69], v[72:73]
	v_pk_fma_f32 v[72:73], v[78:79], v[136:137], v[70:71] op_sel:[0,0,1] op_sel_hi:[1,1,0] neg_lo:[0,0,1] neg_hi:[0,0,1]
	v_pk_fma_f32 v[70:71], v[78:79], v[136:137], v[70:71] op_sel:[0,0,1] op_sel_hi:[1,0,0]
	v_mov_b32_e32 v70, v135
	v_mov_b32_e32 v73, v71
	v_pk_mul_f32 v[70:71], v[80:81], v[70:71] op_sel_hi:[1,0]
	v_pk_add_f32 v[68:69], v[68:69], v[72:73]
	v_pk_fma_f32 v[72:73], v[80:81], v[134:135], v[70:71] op_sel:[0,0,1] op_sel_hi:[1,1,0] neg_lo:[0,0,1] neg_hi:[0,0,1]
	v_pk_fma_f32 v[70:71], v[80:81], v[134:135], v[70:71] op_sel:[0,0,1] op_sel_hi:[1,0,0]
	v_mov_b32_e32 v73, v71
	v_pk_add_f32 v[68:69], v[68:69], v[72:73]
	v_pk_add_f32 v[66:67], v[66:67], v[68:69] neg_lo:[0,1] neg_hi:[0,1]
	buffer_store_dword v67, off, s[0:3], 0 offset:12
	buffer_store_dword v66, off, s[0:3], 0 offset:8
	s_and_saveexec_b64 s[4:5], vcc
	s_cbranch_execz .LBB31_205
; %bb.204:
	buffer_load_dword v66, off, s[0:3], 0
	buffer_load_dword v67, off, s[0:3], 0 offset:4
	v_mov_b32_e32 v0, 0
	buffer_store_dword v0, off, s[0:3], 0
	buffer_store_dword v0, off, s[0:3], 0 offset:4
	s_waitcnt vmcnt(2)
	ds_write_b64 v1, v[66:67]
.LBB31_205:
	s_or_b64 exec, exec, s[4:5]
	s_waitcnt lgkmcnt(0)
	; wave barrier
	s_waitcnt lgkmcnt(0)
	buffer_load_dword v114, off, s[0:3], 0 offset:12
	buffer_load_dword v116, off, s[0:3], 0 offset:20
	;; [unrolled: 1-line block ×42, first 2 shown]
	buffer_load_dword v0, off, s[0:3], 0
	buffer_load_dword v1, off, s[0:3], 0 offset:4
	buffer_load_dword v175, off, s[0:3], 0 offset:180
	;; [unrolled: 1-line block ×5, first 2 shown]
	v_mov_b32_e32 v179, 0
	ds_read2_b64 v[66:69], v179 offset0:33 offset1:34
	ds_read2_b64 v[70:73], v179 offset0:35 offset1:36
	;; [unrolled: 1-line block ×6, first 2 shown]
	s_and_b64 vcc, exec, s[20:21]
	s_waitcnt vmcnt(47) lgkmcnt(5)
	v_mul_f32_e32 v90, v66, v114
	s_waitcnt vmcnt(46)
	v_mul_f32_e32 v91, v68, v116
	s_waitcnt vmcnt(45) lgkmcnt(4)
	v_mul_f32_e32 v92, v70, v118
	s_waitcnt vmcnt(44)
	v_mul_f32_e32 v93, v72, v136
	;; [unrolled: 4-line block ×6, first 2 shown]
	s_waitcnt vmcnt(35)
	v_fmac_f32_e32 v90, v67, v145
	s_waitcnt vmcnt(34)
	v_fmac_f32_e32 v91, v69, v146
	v_add_f32_e32 v90, 0, v90
	s_waitcnt vmcnt(33)
	v_fmac_f32_e32 v92, v71, v147
	v_add_f32_e32 v90, v90, v91
	;; [unrolled: 3-line block ×8, first 2 shown]
	v_add_f32_e32 v94, v90, v98
	ds_read2_b64 v[90:93], v179 offset0:45 offset1:46
	s_waitcnt vmcnt(26)
	v_fmac_f32_e32 v99, v85, v154
	s_waitcnt vmcnt(25)
	v_fmac_f32_e32 v100, v87, v155
	v_add_f32_e32 v94, v94, v99
	s_waitcnt vmcnt(24)
	v_fmac_f32_e32 v101, v89, v156
	v_add_f32_e32 v94, v94, v100
	v_add_f32_e32 v98, v94, v101
	ds_read2_b64 v[94:97], v179 offset0:47 offset1:48
	s_waitcnt vmcnt(23) lgkmcnt(1)
	v_mul_f32_e32 v99, v90, v157
	s_waitcnt vmcnt(22)
	v_fmac_f32_e32 v99, v91, v158
	v_add_f32_e32 v98, v98, v99
	s_waitcnt vmcnt(21)
	v_mul_f32_e32 v99, v92, v159
	s_waitcnt vmcnt(20)
	v_fmac_f32_e32 v99, v93, v160
	v_add_f32_e32 v98, v98, v99
	s_waitcnt vmcnt(19) lgkmcnt(0)
	v_mul_f32_e32 v99, v94, v161
	s_waitcnt vmcnt(18)
	v_fmac_f32_e32 v99, v95, v162
	v_add_f32_e32 v102, v98, v99
	ds_read2_b64 v[98:101], v179 offset0:49 offset1:50
	s_waitcnt vmcnt(17)
	v_mul_f32_e32 v103, v96, v163
	s_waitcnt vmcnt(16)
	v_fmac_f32_e32 v103, v97, v164
	v_add_f32_e32 v106, v102, v103
	ds_read2_b64 v[102:105], v179 offset0:51 offset1:52
	s_waitcnt vmcnt(15) lgkmcnt(1)
	v_mul_f32_e32 v107, v98, v165
	s_waitcnt vmcnt(14)
	v_fmac_f32_e32 v107, v99, v166
	v_add_f32_e32 v106, v106, v107
	s_waitcnt vmcnt(13)
	v_mul_f32_e32 v107, v100, v167
	s_waitcnt vmcnt(12)
	v_fmac_f32_e32 v107, v101, v168
	v_add_f32_e32 v106, v106, v107
	s_waitcnt vmcnt(11) lgkmcnt(0)
	v_mul_f32_e32 v107, v102, v169
	s_waitcnt vmcnt(10)
	v_fmac_f32_e32 v107, v103, v170
	s_waitcnt vmcnt(9)
	v_mul_f32_e32 v111, v104, v171
	v_add_f32_e32 v110, v106, v107
	s_waitcnt vmcnt(8)
	v_fmac_f32_e32 v111, v105, v172
	ds_read2_b64 v[106:109], v179 offset0:53 offset1:54
	v_add_f32_e32 v115, v110, v111
	ds_read2_b64 v[110:113], v179 offset0:55 offset1:56
	buffer_load_dword v121, off, s[0:3], 0 offset:220
	buffer_load_dword v120, off, s[0:3], 0 offset:216
	;; [unrolled: 1-line block ×16, first 2 shown]
	v_mul_f32_e32 v67, v67, v114
	v_fma_f32 v66, v66, v145, -v67
	v_mul_f32_e32 v67, v69, v116
	v_add_f32_e32 v66, 0, v66
	v_fma_f32 v67, v68, v146, -v67
	v_add_f32_e32 v66, v66, v67
	v_mul_f32_e32 v67, v71, v118
	v_fma_f32 v67, v70, v147, -v67
	v_add_f32_e32 v66, v66, v67
	v_mul_f32_e32 v67, v73, v136
	;; [unrolled: 3-line block ×18, first 2 shown]
	v_fma_f32 v67, v104, v172, -v67
	v_add_f32_e32 v66, v66, v67
	s_waitcnt vmcnt(22) lgkmcnt(1)
	v_mul_f32_e32 v67, v107, v174
	v_mul_f32_e32 v117, v106, v174
	v_fma_f32 v67, v106, v173, -v67
	v_fmac_f32_e32 v117, v107, v173
	v_add_f32_e32 v114, v66, v67
	s_waitcnt vmcnt(19)
	v_mul_f32_e32 v66, v109, v175
	v_add_f32_e32 v115, v115, v117
	v_mul_f32_e32 v117, v108, v175
	s_waitcnt vmcnt(18)
	v_fma_f32 v116, v108, v176, -v66
	s_waitcnt vmcnt(17) lgkmcnt(0)
	v_mul_f32_e32 v66, v111, v177
	s_waitcnt vmcnt(9)
	v_mov_b32_e32 v82, v127
	v_pk_mul_f32 v[82:83], v[112:113], v[82:83] op_sel_hi:[1,0]
	v_fmac_f32_e32 v117, v109, v176
	v_mul_f32_e32 v119, v110, v177
	v_fma_f32 v118, v110, v178, -v66
	ds_read2_b64 v[66:69], v179 offset0:57 offset1:58
	ds_read2_b64 v[70:73], v179 offset0:59 offset1:60
	;; [unrolled: 1-line block ×3, first 2 shown]
	ds_read_b64 v[78:79], v179 offset:504
	s_waitcnt vmcnt(8)
	v_pk_fma_f32 v[84:85], v[112:113], v[126:127], v[82:83] op_sel:[0,0,1] op_sel_hi:[1,1,0] neg_lo:[0,0,1] neg_hi:[0,0,1]
	v_pk_fma_f32 v[82:83], v[112:113], v[126:127], v[82:83] op_sel:[0,0,1] op_sel_hi:[1,0,0]
	v_fmac_f32_e32 v119, v111, v178
	v_pk_add_f32 v[80:81], v[114:115], v[116:117]
	v_mov_b32_e32 v82, v125
	v_pk_add_f32 v[80:81], v[80:81], v[118:119]
	v_mov_b32_e32 v85, v83
	s_waitcnt lgkmcnt(3)
	v_pk_mul_f32 v[82:83], v[66:67], v[82:83] op_sel_hi:[1,0]
	v_pk_add_f32 v[80:81], v[80:81], v[84:85]
	v_pk_fma_f32 v[84:85], v[66:67], v[124:125], v[82:83] op_sel:[0,0,1] op_sel_hi:[1,1,0] neg_lo:[0,0,1] neg_hi:[0,0,1]
	v_pk_fma_f32 v[66:67], v[66:67], v[124:125], v[82:83] op_sel:[0,0,1] op_sel_hi:[1,0,0]
	v_mov_b32_e32 v85, v67
	v_pk_add_f32 v[66:67], v[80:81], v[84:85]
	v_mov_b32_e32 v80, v123
	v_pk_mul_f32 v[80:81], v[68:69], v[80:81] op_sel_hi:[1,0]
	v_pk_fma_f32 v[82:83], v[68:69], v[122:123], v[80:81] op_sel:[0,0,1] op_sel_hi:[1,1,0] neg_lo:[0,0,1] neg_hi:[0,0,1]
	v_pk_fma_f32 v[68:69], v[68:69], v[122:123], v[80:81] op_sel:[0,0,1] op_sel_hi:[1,0,0]
	v_mov_b32_e32 v68, v121
	v_mov_b32_e32 v83, v69
	s_waitcnt lgkmcnt(2)
	v_pk_mul_f32 v[68:69], v[70:71], v[68:69] op_sel_hi:[1,0]
	v_pk_fma_f32 v[80:81], v[70:71], v[120:121], v[68:69] op_sel:[0,0,1] op_sel_hi:[1,1,0] neg_lo:[0,0,1] neg_hi:[0,0,1]
	v_pk_fma_f32 v[68:69], v[70:71], v[120:121], v[68:69] op_sel:[0,0,1] op_sel_hi:[1,0,0]
	s_waitcnt vmcnt(1)
	v_mov_b32_e32 v68, v135
	v_mov_b32_e32 v81, v69
	v_pk_mul_f32 v[68:69], v[72:73], v[68:69] op_sel_hi:[1,0]
	s_waitcnt vmcnt(0)
	v_pk_fma_f32 v[70:71], v[72:73], v[134:135], v[68:69] op_sel:[0,0,1] op_sel_hi:[1,1,0] neg_lo:[0,0,1] neg_hi:[0,0,1]
	v_pk_fma_f32 v[68:69], v[72:73], v[134:135], v[68:69] op_sel:[0,0,1] op_sel_hi:[1,0,0]
	v_pk_add_f32 v[66:67], v[66:67], v[82:83]
	v_mov_b32_e32 v68, v133
	v_pk_add_f32 v[66:67], v[66:67], v[80:81]
	v_mov_b32_e32 v71, v69
	s_waitcnt lgkmcnt(1)
	v_pk_mul_f32 v[68:69], v[74:75], v[68:69] op_sel_hi:[1,0]
	v_pk_add_f32 v[66:67], v[66:67], v[70:71]
	v_pk_fma_f32 v[70:71], v[74:75], v[132:133], v[68:69] op_sel:[0,0,1] op_sel_hi:[1,1,0] neg_lo:[0,0,1] neg_hi:[0,0,1]
	v_pk_fma_f32 v[68:69], v[74:75], v[132:133], v[68:69] op_sel:[0,0,1] op_sel_hi:[1,0,0]
	v_mov_b32_e32 v68, v131
	v_mov_b32_e32 v71, v69
	v_pk_mul_f32 v[68:69], v[76:77], v[68:69] op_sel_hi:[1,0]
	v_pk_add_f32 v[66:67], v[66:67], v[70:71]
	v_pk_fma_f32 v[70:71], v[76:77], v[130:131], v[68:69] op_sel:[0,0,1] op_sel_hi:[1,1,0] neg_lo:[0,0,1] neg_hi:[0,0,1]
	v_pk_fma_f32 v[68:69], v[76:77], v[130:131], v[68:69] op_sel:[0,0,1] op_sel_hi:[1,0,0]
	v_mov_b32_e32 v68, v129
	v_mov_b32_e32 v71, v69
	s_waitcnt lgkmcnt(0)
	v_pk_mul_f32 v[68:69], v[78:79], v[68:69] op_sel_hi:[1,0]
	v_pk_add_f32 v[66:67], v[66:67], v[70:71]
	v_pk_fma_f32 v[70:71], v[78:79], v[128:129], v[68:69] op_sel:[0,0,1] op_sel_hi:[1,1,0] neg_lo:[0,0,1] neg_hi:[0,0,1]
	v_pk_fma_f32 v[68:69], v[78:79], v[128:129], v[68:69] op_sel:[0,0,1] op_sel_hi:[1,0,0]
	v_mov_b32_e32 v71, v69
	v_pk_add_f32 v[66:67], v[66:67], v[70:71]
	v_pk_add_f32 v[0:1], v[0:1], v[66:67] neg_lo:[0,1] neg_hi:[0,1]
	buffer_store_dword v1, off, s[0:3], 0 offset:4
	buffer_store_dword v0, off, s[0:3], 0
	s_cbranch_vccz .LBB31_269
; %bb.206:
	v_pk_mov_b32 v[0:1], s[10:11], s[10:11] op_sel:[0,1]
	flat_load_dword v0, v[0:1] offset:120
	s_waitcnt vmcnt(0) lgkmcnt(0)
	v_add_u32_e32 v0, -1, v0
	v_cmp_ne_u32_e32 vcc, 30, v0
	s_and_saveexec_b64 s[4:5], vcc
	s_cbranch_execz .LBB31_208
; %bb.207:
	v_mov_b32_e32 v1, 0
	v_lshl_add_u32 v0, v0, 3, v1
	buffer_load_dword v1, v0, s[0:3], 0 offen
	buffer_load_dword v66, v0, s[0:3], 0 offen offset:4
	buffer_load_dword v67, off, s[0:3], 0 offset:244
	buffer_load_dword v68, off, s[0:3], 0 offset:240
	s_waitcnt vmcnt(3)
	buffer_store_dword v1, off, s[0:3], 0 offset:240
	s_waitcnt vmcnt(3)
	buffer_store_dword v66, off, s[0:3], 0 offset:244
	s_waitcnt vmcnt(3)
	buffer_store_dword v67, v0, s[0:3], 0 offen offset:4
	s_waitcnt vmcnt(3)
	buffer_store_dword v68, v0, s[0:3], 0 offen
.LBB31_208:
	s_or_b64 exec, exec, s[4:5]
	v_pk_mov_b32 v[0:1], s[10:11], s[10:11] op_sel:[0,1]
	flat_load_dword v0, v[0:1] offset:116
	s_waitcnt vmcnt(0) lgkmcnt(0)
	v_add_u32_e32 v0, -1, v0
	v_cmp_ne_u32_e32 vcc, 29, v0
	s_and_saveexec_b64 s[4:5], vcc
	s_cbranch_execz .LBB31_210
; %bb.209:
	v_mov_b32_e32 v1, 0
	v_lshl_add_u32 v0, v0, 3, v1
	buffer_load_dword v1, v0, s[0:3], 0 offen
	buffer_load_dword v66, v0, s[0:3], 0 offen offset:4
	buffer_load_dword v67, off, s[0:3], 0 offset:232
	buffer_load_dword v68, off, s[0:3], 0 offset:236
	s_waitcnt vmcnt(3)
	buffer_store_dword v1, off, s[0:3], 0 offset:232
	s_waitcnt vmcnt(3)
	buffer_store_dword v66, off, s[0:3], 0 offset:236
	s_waitcnt vmcnt(3)
	buffer_store_dword v67, v0, s[0:3], 0 offen
	s_waitcnt vmcnt(3)
	buffer_store_dword v68, v0, s[0:3], 0 offen offset:4
.LBB31_210:
	s_or_b64 exec, exec, s[4:5]
	v_pk_mov_b32 v[0:1], s[10:11], s[10:11] op_sel:[0,1]
	flat_load_dword v0, v[0:1] offset:112
	s_waitcnt vmcnt(0) lgkmcnt(0)
	v_add_u32_e32 v0, -1, v0
	v_cmp_ne_u32_e32 vcc, 28, v0
	s_and_saveexec_b64 s[4:5], vcc
	s_cbranch_execz .LBB31_212
; %bb.211:
	v_mov_b32_e32 v1, 0
	v_lshl_add_u32 v0, v0, 3, v1
	buffer_load_dword v1, v0, s[0:3], 0 offen
	buffer_load_dword v66, v0, s[0:3], 0 offen offset:4
	buffer_load_dword v67, off, s[0:3], 0 offset:228
	buffer_load_dword v68, off, s[0:3], 0 offset:224
	s_waitcnt vmcnt(3)
	buffer_store_dword v1, off, s[0:3], 0 offset:224
	s_waitcnt vmcnt(3)
	buffer_store_dword v66, off, s[0:3], 0 offset:228
	s_waitcnt vmcnt(3)
	buffer_store_dword v67, v0, s[0:3], 0 offen offset:4
	s_waitcnt vmcnt(3)
	buffer_store_dword v68, v0, s[0:3], 0 offen
.LBB31_212:
	s_or_b64 exec, exec, s[4:5]
	v_pk_mov_b32 v[0:1], s[10:11], s[10:11] op_sel:[0,1]
	flat_load_dword v0, v[0:1] offset:108
	s_waitcnt vmcnt(0) lgkmcnt(0)
	v_add_u32_e32 v0, -1, v0
	v_cmp_ne_u32_e32 vcc, 27, v0
	s_and_saveexec_b64 s[4:5], vcc
	s_cbranch_execz .LBB31_214
; %bb.213:
	v_mov_b32_e32 v1, 0
	v_lshl_add_u32 v0, v0, 3, v1
	buffer_load_dword v1, v0, s[0:3], 0 offen
	buffer_load_dword v66, v0, s[0:3], 0 offen offset:4
	buffer_load_dword v67, off, s[0:3], 0 offset:216
	buffer_load_dword v68, off, s[0:3], 0 offset:220
	s_waitcnt vmcnt(3)
	buffer_store_dword v1, off, s[0:3], 0 offset:216
	s_waitcnt vmcnt(3)
	buffer_store_dword v66, off, s[0:3], 0 offset:220
	s_waitcnt vmcnt(3)
	buffer_store_dword v67, v0, s[0:3], 0 offen
	s_waitcnt vmcnt(3)
	buffer_store_dword v68, v0, s[0:3], 0 offen offset:4
.LBB31_214:
	s_or_b64 exec, exec, s[4:5]
	;; [unrolled: 48-line block ×15, first 2 shown]
	v_pk_mov_b32 v[0:1], s[10:11], s[10:11] op_sel:[0,1]
	flat_load_dword v66, v[0:1]
	s_nop 0
	buffer_load_dword v0, off, s[0:3], 0
	buffer_load_dword v1, off, s[0:3], 0 offset:4
	s_waitcnt vmcnt(0) lgkmcnt(0)
	v_add_u32_e32 v66, -1, v66
	v_cmp_ne_u32_e32 vcc, 0, v66
	s_and_saveexec_b64 s[4:5], vcc
	s_cbranch_execz .LBB31_268
; %bb.267:
	v_mov_b32_e32 v67, 0
	v_lshl_add_u32 v66, v66, 3, v67
	buffer_load_dword v67, v66, s[0:3], 0 offen offset:4
	buffer_load_dword v68, v66, s[0:3], 0 offen
	s_waitcnt vmcnt(1)
	buffer_store_dword v67, off, s[0:3], 0 offset:4
	s_waitcnt vmcnt(1)
	buffer_store_dword v68, off, s[0:3], 0
	buffer_store_dword v1, v66, s[0:3], 0 offen offset:4
	buffer_store_dword v0, v66, s[0:3], 0 offen
	buffer_load_dword v0, off, s[0:3], 0
	s_nop 0
	buffer_load_dword v1, off, s[0:3], 0 offset:4
.LBB31_268:
	s_or_b64 exec, exec, s[4:5]
.LBB31_269:
	buffer_load_dword v66, off, s[0:3], 0 offset:8
	buffer_load_dword v67, off, s[0:3], 0 offset:12
	;; [unrolled: 1-line block ×62, first 2 shown]
	s_waitcnt vmcnt(62)
	global_store_dwordx2 v[56:57], v[0:1], off
	s_waitcnt vmcnt(61)
	global_store_dwordx2 v[58:59], v[66:67], off
	;; [unrolled: 2-line block ×32, first 2 shown]
	s_endpgm
	.section	.rodata,"a",@progbits
	.p2align	6, 0x0
	.amdhsa_kernel _ZN9rocsolver6v33100L18getri_kernel_smallILi32E19rocblas_complex_numIfEPS3_EEvT1_iilPiilS6_bb
		.amdhsa_group_segment_fixed_size 516
		.amdhsa_private_segment_fixed_size 272
		.amdhsa_kernarg_size 60
		.amdhsa_user_sgpr_count 8
		.amdhsa_user_sgpr_private_segment_buffer 1
		.amdhsa_user_sgpr_dispatch_ptr 0
		.amdhsa_user_sgpr_queue_ptr 0
		.amdhsa_user_sgpr_kernarg_segment_ptr 1
		.amdhsa_user_sgpr_dispatch_id 0
		.amdhsa_user_sgpr_flat_scratch_init 1
		.amdhsa_user_sgpr_kernarg_preload_length 0
		.amdhsa_user_sgpr_kernarg_preload_offset 0
		.amdhsa_user_sgpr_private_segment_size 0
		.amdhsa_uses_dynamic_stack 0
		.amdhsa_system_sgpr_private_segment_wavefront_offset 1
		.amdhsa_system_sgpr_workgroup_id_x 1
		.amdhsa_system_sgpr_workgroup_id_y 0
		.amdhsa_system_sgpr_workgroup_id_z 0
		.amdhsa_system_sgpr_workgroup_info 0
		.amdhsa_system_vgpr_workitem_id 0
		.amdhsa_next_free_vgpr 180
		.amdhsa_next_free_sgpr 23
		.amdhsa_accum_offset 180
		.amdhsa_reserve_vcc 1
		.amdhsa_reserve_flat_scratch 1
		.amdhsa_float_round_mode_32 0
		.amdhsa_float_round_mode_16_64 0
		.amdhsa_float_denorm_mode_32 3
		.amdhsa_float_denorm_mode_16_64 3
		.amdhsa_dx10_clamp 1
		.amdhsa_ieee_mode 1
		.amdhsa_fp16_overflow 0
		.amdhsa_tg_split 0
		.amdhsa_exception_fp_ieee_invalid_op 0
		.amdhsa_exception_fp_denorm_src 0
		.amdhsa_exception_fp_ieee_div_zero 0
		.amdhsa_exception_fp_ieee_overflow 0
		.amdhsa_exception_fp_ieee_underflow 0
		.amdhsa_exception_fp_ieee_inexact 0
		.amdhsa_exception_int_div_zero 0
	.end_amdhsa_kernel
	.section	.text._ZN9rocsolver6v33100L18getri_kernel_smallILi32E19rocblas_complex_numIfEPS3_EEvT1_iilPiilS6_bb,"axG",@progbits,_ZN9rocsolver6v33100L18getri_kernel_smallILi32E19rocblas_complex_numIfEPS3_EEvT1_iilPiilS6_bb,comdat
.Lfunc_end31:
	.size	_ZN9rocsolver6v33100L18getri_kernel_smallILi32E19rocblas_complex_numIfEPS3_EEvT1_iilPiilS6_bb, .Lfunc_end31-_ZN9rocsolver6v33100L18getri_kernel_smallILi32E19rocblas_complex_numIfEPS3_EEvT1_iilPiilS6_bb
                                        ; -- End function
	.section	.AMDGPU.csdata,"",@progbits
; Kernel info:
; codeLenInByte = 48136
; NumSgprs: 29
; NumVgprs: 180
; NumAgprs: 0
; TotalNumVgprs: 180
; ScratchSize: 272
; MemoryBound: 0
; FloatMode: 240
; IeeeMode: 1
; LDSByteSize: 516 bytes/workgroup (compile time only)
; SGPRBlocks: 3
; VGPRBlocks: 22
; NumSGPRsForWavesPerEU: 29
; NumVGPRsForWavesPerEU: 180
; AccumOffset: 180
; Occupancy: 2
; WaveLimiterHint : 1
; COMPUTE_PGM_RSRC2:SCRATCH_EN: 1
; COMPUTE_PGM_RSRC2:USER_SGPR: 8
; COMPUTE_PGM_RSRC2:TRAP_HANDLER: 0
; COMPUTE_PGM_RSRC2:TGID_X_EN: 1
; COMPUTE_PGM_RSRC2:TGID_Y_EN: 0
; COMPUTE_PGM_RSRC2:TGID_Z_EN: 0
; COMPUTE_PGM_RSRC2:TIDIG_COMP_CNT: 0
; COMPUTE_PGM_RSRC3_GFX90A:ACCUM_OFFSET: 44
; COMPUTE_PGM_RSRC3_GFX90A:TG_SPLIT: 0
	.section	.text._ZN9rocsolver6v33100L18getri_kernel_smallILi33E19rocblas_complex_numIfEPS3_EEvT1_iilPiilS6_bb,"axG",@progbits,_ZN9rocsolver6v33100L18getri_kernel_smallILi33E19rocblas_complex_numIfEPS3_EEvT1_iilPiilS6_bb,comdat
	.globl	_ZN9rocsolver6v33100L18getri_kernel_smallILi33E19rocblas_complex_numIfEPS3_EEvT1_iilPiilS6_bb ; -- Begin function _ZN9rocsolver6v33100L18getri_kernel_smallILi33E19rocblas_complex_numIfEPS3_EEvT1_iilPiilS6_bb
	.p2align	8
	.type	_ZN9rocsolver6v33100L18getri_kernel_smallILi33E19rocblas_complex_numIfEPS3_EEvT1_iilPiilS6_bb,@function
_ZN9rocsolver6v33100L18getri_kernel_smallILi33E19rocblas_complex_numIfEPS3_EEvT1_iilPiilS6_bb: ; @_ZN9rocsolver6v33100L18getri_kernel_smallILi33E19rocblas_complex_numIfEPS3_EEvT1_iilPiilS6_bb
; %bb.0:
	s_add_u32 flat_scratch_lo, s6, s9
	s_addc_u32 flat_scratch_hi, s7, 0
	s_add_u32 s0, s0, s9
	s_addc_u32 s1, s1, 0
	v_cmp_gt_u32_e32 vcc, 33, v0
	s_and_saveexec_b64 s[6:7], vcc
	s_cbranch_execz .LBB32_146
; %bb.1:
	s_load_dword s22, s[4:5], 0x38
	s_load_dwordx4 s[16:19], s[4:5], 0x10
	s_load_dwordx4 s[12:15], s[4:5], 0x28
                                        ; implicit-def: $sgpr10_sgpr11
	s_waitcnt lgkmcnt(0)
	s_bitcmp1_b32 s22, 8
	s_cselect_b64 s[20:21], -1, 0
	s_ashr_i32 s9, s8, 31
	s_bfe_u32 s6, s22, 0x10008
	s_cmp_eq_u32 s6, 0
	s_cbranch_scc1 .LBB32_3
; %bb.2:
	s_load_dword s6, s[4:5], 0x20
	s_mul_i32 s7, s8, s13
	s_mul_hi_u32 s10, s8, s12
	s_mul_i32 s11, s9, s12
	s_add_i32 s10, s10, s7
	s_add_i32 s11, s10, s11
	s_mul_i32 s10, s8, s12
	s_waitcnt lgkmcnt(0)
	s_ashr_i32 s7, s6, 31
	s_lshl_b64 s[10:11], s[10:11], 2
	s_add_u32 s10, s18, s10
	s_addc_u32 s11, s19, s11
	s_lshl_b64 s[6:7], s[6:7], 2
	s_add_u32 s10, s10, s6
	s_addc_u32 s11, s11, s7
.LBB32_3:
	s_load_dwordx4 s[4:7], s[4:5], 0x0
	s_mul_i32 s12, s8, s17
	s_mul_hi_u32 s13, s8, s16
	s_add_i32 s17, s13, s12
	v_lshlrev_b32_e32 v72, 3, v0
	s_waitcnt lgkmcnt(0)
	s_ashr_i32 s13, s6, 31
	s_mov_b32 s12, s6
	s_mul_i32 s6, s9, s16
	s_add_i32 s17, s17, s6
	s_mul_i32 s16, s8, s16
	s_lshl_b64 s[16:17], s[16:17], 3
	s_add_u32 s6, s4, s16
	s_addc_u32 s16, s5, s17
	s_lshl_b64 s[4:5], s[12:13], 3
	s_add_u32 s4, s6, s4
	s_addc_u32 s5, s16, s5
	s_add_i32 s6, s7, s7
	v_add_u32_e32 v4, s6, v0
	v_ashrrev_i32_e32 v5, 31, v4
	v_lshlrev_b64 v[2:3], 3, v[4:5]
	v_add_u32_e32 v6, s7, v4
	v_mov_b32_e32 v1, s5
	v_add_co_u32_e32 v2, vcc, s4, v2
	v_ashrrev_i32_e32 v7, 31, v6
	v_addc_co_u32_e32 v3, vcc, v1, v3, vcc
	v_lshlrev_b64 v[4:5], 3, v[6:7]
	v_add_u32_e32 v8, s7, v6
	v_add_co_u32_e32 v4, vcc, s4, v4
	v_ashrrev_i32_e32 v9, 31, v8
	v_addc_co_u32_e32 v5, vcc, v1, v5, vcc
	v_lshlrev_b64 v[6:7], 3, v[8:9]
	v_add_u32_e32 v10, s7, v8
	;; [unrolled: 5-line block ×25, first 2 shown]
	v_add_co_u32_e32 v52, vcc, s4, v52
	v_ashrrev_i32_e32 v57, 31, v56
	v_addc_co_u32_e32 v53, vcc, v1, v53, vcc
	v_lshlrev_b64 v[54:55], 3, v[56:57]
	v_add_co_u32_e32 v54, vcc, s4, v54
	v_addc_co_u32_e32 v55, vcc, v1, v55, vcc
	v_add_co_u32_e32 v58, vcc, s4, v72
	s_ashr_i32 s13, s7, 31
	s_mov_b32 s12, s7
	v_add_u32_e32 v62, s7, v56
	v_addc_co_u32_e32 v59, vcc, 0, v1, vcc
	s_lshl_b64 s[12:13], s[12:13], 3
	v_mov_b32_e32 v1, s13
	v_add_co_u32_e32 v60, vcc, s12, v58
	v_ashrrev_i32_e32 v63, 31, v62
	v_addc_co_u32_e32 v61, vcc, v59, v1, vcc
	v_lshlrev_b64 v[56:57], 3, v[62:63]
	v_add_u32_e32 v64, s7, v62
	v_mov_b32_e32 v1, s5
	v_add_co_u32_e32 v56, vcc, s4, v56
	v_ashrrev_i32_e32 v65, 31, v64
	v_addc_co_u32_e32 v57, vcc, v1, v57, vcc
	v_lshlrev_b64 v[62:63], 3, v[64:65]
	v_add_u32_e32 v66, s7, v64
	v_add_co_u32_e32 v62, vcc, s4, v62
	v_ashrrev_i32_e32 v67, 31, v66
	v_addc_co_u32_e32 v63, vcc, v1, v63, vcc
	v_lshlrev_b64 v[64:65], 3, v[66:67]
	v_add_co_u32_e32 v64, vcc, s4, v64
	global_load_dwordx2 v[68:69], v72, s[4:5]
	global_load_dwordx2 v[74:75], v[2:3], off
	global_load_dwordx2 v[76:77], v[4:5], off
	;; [unrolled: 1-line block ×23, first 2 shown]
	v_addc_co_u32_e32 v65, vcc, v1, v65, vcc
	global_load_dwordx2 v[118:119], v[46:47], off
	global_load_dwordx2 v[120:121], v[48:49], off
	;; [unrolled: 1-line block ×8, first 2 shown]
	v_add_u32_e32 v66, s7, v66
	v_ashrrev_i32_e32 v67, 31, v66
	v_lshlrev_b64 v[66:67], 3, v[66:67]
	v_add_co_u32_e32 v66, vcc, s4, v66
	v_addc_co_u32_e32 v67, vcc, v1, v67, vcc
	global_load_dwordx2 v[134:135], v[66:67], off
	s_bitcmp0_b32 s22, 0
	s_mov_b64 s[6:7], -1
	s_waitcnt vmcnt(32)
	buffer_store_dword v69, off, s[0:3], 0 offset:4
	buffer_store_dword v68, off, s[0:3], 0
	s_waitcnt vmcnt(31)
	buffer_store_dword v71, off, s[0:3], 0 offset:12
	buffer_store_dword v70, off, s[0:3], 0 offset:8
	;; [unrolled: 1-line block ×6, first 2 shown]
	s_waitcnt vmcnt(36)
	buffer_store_dword v79, off, s[0:3], 0 offset:36
	buffer_store_dword v78, off, s[0:3], 0 offset:32
	s_waitcnt vmcnt(37)
	buffer_store_dword v81, off, s[0:3], 0 offset:44
	buffer_store_dword v80, off, s[0:3], 0 offset:40
	;; [unrolled: 3-line block ×28, first 2 shown]
	buffer_store_dword v135, off, s[0:3], 0 offset:260
	buffer_store_dword v134, off, s[0:3], 0 offset:256
	s_cbranch_scc1 .LBB32_144
; %bb.4:
	v_cmp_eq_u32_e64 s[4:5], 0, v0
	s_and_saveexec_b64 s[6:7], s[4:5]
	s_cbranch_execz .LBB32_6
; %bb.5:
	v_mov_b32_e32 v1, 0
	ds_write_b32 v1, v1 offset:264
.LBB32_6:
	s_or_b64 exec, exec, s[6:7]
	v_mov_b32_e32 v1, 0
	v_lshl_add_u32 v73, v0, 3, v1
	s_waitcnt lgkmcnt(0)
	; wave barrier
	s_waitcnt lgkmcnt(0)
	buffer_load_dword v1, v73, s[0:3], 0 offen
	buffer_load_dword v68, v73, s[0:3], 0 offen offset:4
	s_waitcnt vmcnt(1)
	v_cmp_eq_f32_e32 vcc, 0, v1
	s_waitcnt vmcnt(0)
	v_cmp_eq_f32_e64 s[6:7], 0, v68
	s_and_b64 s[6:7], vcc, s[6:7]
	s_and_saveexec_b64 s[12:13], s[6:7]
	s_cbranch_execz .LBB32_10
; %bb.7:
	v_mov_b32_e32 v1, 0
	ds_read_b32 v69, v1 offset:264
	v_add_u32_e32 v68, 1, v0
	s_waitcnt lgkmcnt(0)
	v_readfirstlane_b32 s6, v69
	s_cmp_eq_u32 s6, 0
	s_cselect_b64 s[16:17], -1, 0
	v_cmp_gt_i32_e32 vcc, s6, v68
	s_or_b64 s[16:17], s[16:17], vcc
	s_and_b64 exec, exec, s[16:17]
	s_cbranch_execz .LBB32_10
; %bb.8:
	s_mov_b64 s[16:17], 0
	v_mov_b32_e32 v69, s6
.LBB32_9:                               ; =>This Inner Loop Header: Depth=1
	ds_cmpst_rtn_b32 v69, v1, v69, v68 offset:264
	s_waitcnt lgkmcnt(0)
	v_cmp_ne_u32_e32 vcc, 0, v69
	v_cmp_le_i32_e64 s[6:7], v69, v68
	s_and_b64 s[6:7], vcc, s[6:7]
	s_and_b64 s[6:7], exec, s[6:7]
	s_or_b64 s[16:17], s[6:7], s[16:17]
	s_andn2_b64 exec, exec, s[16:17]
	s_cbranch_execnz .LBB32_9
.LBB32_10:
	s_or_b64 exec, exec, s[12:13]
	v_mov_b32_e32 v68, 0
	s_waitcnt lgkmcnt(0)
	; wave barrier
	ds_read_b32 v1, v68 offset:264
	s_and_saveexec_b64 s[6:7], s[4:5]
	s_cbranch_execz .LBB32_12
; %bb.11:
	s_lshl_b64 s[12:13], s[8:9], 2
	s_add_u32 s12, s14, s12
	s_addc_u32 s13, s15, s13
	s_waitcnt lgkmcnt(0)
	global_store_dword v68, v1, s[12:13]
.LBB32_12:
	s_or_b64 exec, exec, s[6:7]
	s_waitcnt lgkmcnt(0)
	v_cmp_ne_u32_e32 vcc, 0, v1
	s_mov_b64 s[6:7], 0
	s_cbranch_vccnz .LBB32_144
; %bb.13:
	buffer_load_dword v74, v73, s[0:3], 0 offen offset:4
	buffer_load_dword v69, v73, s[0:3], 0 offen
	s_waitcnt vmcnt(1)
	v_cmp_gt_f32_e32 vcc, 0, v74
	v_cndmask_b32_e64 v1, v74, -v74, vcc
	s_waitcnt vmcnt(0)
	v_cmp_gt_f32_e32 vcc, 0, v69
	v_cndmask_b32_e64 v68, v69, -v69, vcc
	v_cmp_ngt_f32_e32 vcc, v68, v1
                                        ; implicit-def: $vgpr1
                                        ; implicit-def: $vgpr68
	s_and_saveexec_b64 s[6:7], vcc
	s_xor_b64 s[6:7], exec, s[6:7]
                                        ; implicit-def: $vgpr70_vgpr71
	s_cbranch_execz .LBB32_15
; %bb.14:
	v_div_scale_f32 v1, s[12:13], v74, v74, v69
	v_rcp_f32_e32 v68, v1
	v_div_scale_f32 v70, vcc, v69, v74, v69
	v_fma_f32 v71, -v1, v68, 1.0
	v_fmac_f32_e32 v68, v71, v68
	v_mul_f32_e32 v71, v70, v68
	v_fma_f32 v75, -v1, v71, v70
	v_fmac_f32_e32 v71, v75, v68
	v_fma_f32 v1, -v1, v71, v70
	v_div_fmas_f32 v1, v1, v68, v71
	v_div_fixup_f32 v68, v1, v74, v69
	v_fmac_f32_e32 v74, v69, v68
	v_div_scale_f32 v1, s[12:13], v74, v74, -1.0
	v_rcp_f32_e32 v69, v1
	v_fma_f32 v70, -v1, v69, 1.0
	v_fmac_f32_e32 v69, v70, v69
	v_div_scale_f32 v70, vcc, -1.0, v74, -1.0
	v_mul_f32_e32 v71, v70, v69
	v_fma_f32 v75, -v1, v71, v70
	v_fmac_f32_e32 v71, v75, v69
	v_fma_f32 v1, -v1, v71, v70
	v_div_fmas_f32 v1, v1, v69, v71
	v_div_fixup_f32 v1, v1, v74, -1.0
	v_mul_f32_e32 v68, v68, v1
	v_xor_b32_e32 v70, 0x80000000, v68
                                        ; implicit-def: $vgpr69
                                        ; implicit-def: $vgpr74
.LBB32_15:
	s_andn2_saveexec_b64 s[6:7], s[6:7]
	s_cbranch_execz .LBB32_17
; %bb.16:
	v_div_scale_f32 v1, s[12:13], v69, v69, v74
	v_rcp_f32_e32 v68, v1
	v_div_scale_f32 v70, vcc, v74, v69, v74
	v_fma_f32 v71, -v1, v68, 1.0
	v_fmac_f32_e32 v68, v71, v68
	v_mul_f32_e32 v71, v70, v68
	v_fma_f32 v75, -v1, v71, v70
	v_fmac_f32_e32 v71, v75, v68
	v_fma_f32 v1, -v1, v71, v70
	v_div_fmas_f32 v1, v1, v68, v71
	v_div_fixup_f32 v1, v1, v69, v74
	v_fmac_f32_e32 v69, v74, v1
	v_div_scale_f32 v68, s[12:13], v69, v69, 1.0
	v_rcp_f32_e32 v70, v68
	v_fma_f32 v71, -v68, v70, 1.0
	v_fmac_f32_e32 v70, v71, v70
	v_div_scale_f32 v71, vcc, 1.0, v69, 1.0
	v_mul_f32_e32 v74, v71, v70
	v_fma_f32 v75, -v68, v74, v71
	v_fmac_f32_e32 v74, v75, v70
	v_fma_f32 v68, -v68, v74, v71
	v_div_fmas_f32 v68, v68, v70, v74
	v_div_fixup_f32 v70, v68, v69, 1.0
	v_xor_b32_e32 v68, 0x80000000, v70
	v_mul_f32_e64 v1, v1, -v70
.LBB32_17:
	s_or_b64 exec, exec, s[6:7]
	buffer_store_dword v1, v73, s[0:3], 0 offen offset:4
	buffer_store_dword v70, v73, s[0:3], 0 offen
	buffer_load_dword v71, off, s[0:3], 0 offset:12
	s_nop 0
	buffer_load_dword v70, off, s[0:3], 0 offset:8
	v_xor_b32_e32 v69, 0x80000000, v1
	v_add_u32_e32 v1, 0x110, v72
	s_waitcnt vmcnt(0)
	ds_write2_b64 v72, v[68:69], v[70:71] offset1:34
	s_waitcnt lgkmcnt(0)
	; wave barrier
	s_waitcnt lgkmcnt(0)
	s_and_saveexec_b64 s[6:7], s[4:5]
	s_cbranch_execz .LBB32_19
; %bb.18:
	buffer_load_dword v74, v73, s[0:3], 0 offen offset:4
	buffer_load_dword v75, v73, s[0:3], 0 offen
	ds_read_b64 v[68:69], v1
	v_mov_b32_e32 v70, 0
	ds_read_b64 v[70:71], v70 offset:8
	s_waitcnt vmcnt(1) lgkmcnt(1)
	v_mul_f32_e32 v76, v69, v74
	v_mul_f32_e32 v74, v68, v74
	s_waitcnt vmcnt(0)
	v_fmac_f32_e32 v74, v69, v75
	v_fma_f32 v68, v68, v75, -v76
	v_add_f32_e32 v69, 0, v74
	v_add_f32_e32 v68, 0, v68
	s_waitcnt lgkmcnt(0)
	v_mul_f32_e32 v74, v69, v71
	v_mul_f32_e32 v71, v68, v71
	v_fma_f32 v68, v68, v70, -v74
	v_fmac_f32_e32 v71, v69, v70
	buffer_store_dword v68, off, s[0:3], 0 offset:8
	buffer_store_dword v71, off, s[0:3], 0 offset:12
.LBB32_19:
	s_or_b64 exec, exec, s[6:7]
	s_waitcnt lgkmcnt(0)
	; wave barrier
	buffer_load_dword v68, off, s[0:3], 0 offset:16
	buffer_load_dword v69, off, s[0:3], 0 offset:20
	v_cmp_gt_u32_e32 vcc, 2, v0
	s_waitcnt vmcnt(0)
	ds_write_b64 v1, v[68:69]
	s_waitcnt lgkmcnt(0)
	; wave barrier
	s_waitcnt lgkmcnt(0)
	s_and_saveexec_b64 s[6:7], vcc
	s_cbranch_execz .LBB32_23
; %bb.20:
	buffer_load_dword v70, v73, s[0:3], 0 offen offset:4
	buffer_load_dword v71, v73, s[0:3], 0 offen
	ds_read_b64 v[68:69], v1
	s_waitcnt vmcnt(1) lgkmcnt(0)
	v_mul_f32_e32 v73, v69, v70
	v_mul_f32_e32 v70, v68, v70
	s_waitcnt vmcnt(0)
	v_fma_f32 v68, v68, v71, -v73
	v_fmac_f32_e32 v70, v69, v71
	v_add_f32_e32 v69, 0, v68
	v_add_f32_e32 v68, 0, v70
	s_and_saveexec_b64 s[12:13], s[4:5]
	s_cbranch_execz .LBB32_22
; %bb.21:
	buffer_load_dword v73, off, s[0:3], 0 offset:12
	buffer_load_dword v74, off, s[0:3], 0 offset:8
	v_mov_b32_e32 v70, 0
	ds_read_b64 v[70:71], v70 offset:280
	s_waitcnt vmcnt(1) lgkmcnt(0)
	v_mul_f32_e32 v75, v70, v73
	v_mul_f32_e32 v73, v71, v73
	s_waitcnt vmcnt(0)
	v_fmac_f32_e32 v75, v71, v74
	v_fma_f32 v70, v70, v74, -v73
	v_add_f32_e32 v68, v68, v75
	v_add_f32_e32 v69, v69, v70
.LBB32_22:
	s_or_b64 exec, exec, s[12:13]
	v_mov_b32_e32 v70, 0
	ds_read_b64 v[70:71], v70 offset:16
	s_waitcnt lgkmcnt(0)
	v_mul_f32_e32 v73, v68, v71
	v_mul_f32_e32 v71, v69, v71
	v_fma_f32 v69, v69, v70, -v73
	v_fmac_f32_e32 v71, v68, v70
	buffer_store_dword v69, off, s[0:3], 0 offset:16
	buffer_store_dword v71, off, s[0:3], 0 offset:20
.LBB32_23:
	s_or_b64 exec, exec, s[6:7]
	s_waitcnt lgkmcnt(0)
	; wave barrier
	buffer_load_dword v68, off, s[0:3], 0 offset:24
	buffer_load_dword v69, off, s[0:3], 0 offset:28
	v_cmp_gt_u32_e32 vcc, 3, v0
	s_waitcnt vmcnt(0)
	ds_write_b64 v1, v[68:69]
	v_add_u32_e32 v68, -1, v0
	s_waitcnt lgkmcnt(0)
	; wave barrier
	s_waitcnt lgkmcnt(0)
	s_and_saveexec_b64 s[4:5], vcc
	s_cbranch_execz .LBB32_27
; %bb.24:
	v_add_u32_e32 v70, -1, v0
	v_add_u32_e32 v71, 0x110, v72
	v_add_u32_e32 v73, 0, v72
	s_mov_b64 s[6:7], 0
	v_mov_b32_e32 v69, 0
	v_mov_b32_e32 v74, 0
.LBB32_25:                              ; =>This Inner Loop Header: Depth=1
	buffer_load_dword v75, v73, s[0:3], 0 offen offset:4
	buffer_load_dword v78, v73, s[0:3], 0 offen
	ds_read_b64 v[76:77], v71
	v_add_u32_e32 v70, 1, v70
	v_cmp_lt_u32_e32 vcc, 1, v70
	v_add_u32_e32 v71, 8, v71
	v_add_u32_e32 v73, 8, v73
	s_or_b64 s[6:7], vcc, s[6:7]
	s_waitcnt vmcnt(1) lgkmcnt(0)
	v_mul_f32_e32 v79, v77, v75
	v_mul_f32_e32 v75, v76, v75
	s_waitcnt vmcnt(0)
	v_fma_f32 v76, v76, v78, -v79
	v_fmac_f32_e32 v75, v77, v78
	v_add_f32_e32 v74, v74, v76
	v_add_f32_e32 v69, v69, v75
	s_andn2_b64 exec, exec, s[6:7]
	s_cbranch_execnz .LBB32_25
; %bb.26:
	s_or_b64 exec, exec, s[6:7]
	v_mov_b32_e32 v70, 0
	ds_read_b64 v[70:71], v70 offset:24
	s_waitcnt lgkmcnt(0)
	v_mul_f32_e32 v73, v69, v71
	v_mul_f32_e32 v71, v74, v71
	v_fma_f32 v73, v74, v70, -v73
	v_fmac_f32_e32 v71, v69, v70
	buffer_store_dword v73, off, s[0:3], 0 offset:24
	buffer_store_dword v71, off, s[0:3], 0 offset:28
.LBB32_27:
	s_or_b64 exec, exec, s[4:5]
	s_waitcnt lgkmcnt(0)
	; wave barrier
	buffer_load_dword v70, off, s[0:3], 0 offset:32
	buffer_load_dword v71, off, s[0:3], 0 offset:36
	v_cmp_gt_u32_e32 vcc, 4, v0
	s_waitcnt vmcnt(0)
	ds_write_b64 v1, v[70:71]
	s_waitcnt lgkmcnt(0)
	; wave barrier
	s_waitcnt lgkmcnt(0)
	s_and_saveexec_b64 s[4:5], vcc
	s_cbranch_execz .LBB32_31
; %bb.28:
	v_add_u32_e32 v70, -1, v0
	v_add_u32_e32 v71, 0x110, v72
	v_add_u32_e32 v73, 0, v72
	s_mov_b64 s[6:7], 0
	v_mov_b32_e32 v69, 0
	v_mov_b32_e32 v74, 0
.LBB32_29:                              ; =>This Inner Loop Header: Depth=1
	buffer_load_dword v75, v73, s[0:3], 0 offen offset:4
	buffer_load_dword v78, v73, s[0:3], 0 offen
	ds_read_b64 v[76:77], v71
	v_add_u32_e32 v70, 1, v70
	v_cmp_lt_u32_e32 vcc, 2, v70
	v_add_u32_e32 v71, 8, v71
	v_add_u32_e32 v73, 8, v73
	s_or_b64 s[6:7], vcc, s[6:7]
	s_waitcnt vmcnt(1) lgkmcnt(0)
	v_mul_f32_e32 v79, v77, v75
	v_mul_f32_e32 v75, v76, v75
	s_waitcnt vmcnt(0)
	v_fma_f32 v76, v76, v78, -v79
	v_fmac_f32_e32 v75, v77, v78
	v_add_f32_e32 v74, v74, v76
	v_add_f32_e32 v69, v69, v75
	s_andn2_b64 exec, exec, s[6:7]
	s_cbranch_execnz .LBB32_29
; %bb.30:
	s_or_b64 exec, exec, s[6:7]
	v_mov_b32_e32 v70, 0
	ds_read_b64 v[70:71], v70 offset:32
	s_waitcnt lgkmcnt(0)
	v_mul_f32_e32 v73, v69, v71
	v_mul_f32_e32 v71, v74, v71
	v_fma_f32 v73, v74, v70, -v73
	v_fmac_f32_e32 v71, v69, v70
	buffer_store_dword v73, off, s[0:3], 0 offset:32
	buffer_store_dword v71, off, s[0:3], 0 offset:36
.LBB32_31:
	s_or_b64 exec, exec, s[4:5]
	s_waitcnt lgkmcnt(0)
	; wave barrier
	buffer_load_dword v70, off, s[0:3], 0 offset:40
	buffer_load_dword v71, off, s[0:3], 0 offset:44
	v_cmp_gt_u32_e32 vcc, 5, v0
	s_waitcnt vmcnt(0)
	ds_write_b64 v1, v[70:71]
	;; [unrolled: 51-line block ×19, first 2 shown]
	s_waitcnt lgkmcnt(0)
	; wave barrier
	s_waitcnt lgkmcnt(0)
	s_and_saveexec_b64 s[4:5], vcc
	s_cbranch_execz .LBB32_103
; %bb.100:
	v_add_u32_e32 v70, -1, v0
	v_add_u32_e32 v71, 0x110, v72
	v_add_u32_e32 v73, 0, v72
	s_mov_b64 s[6:7], 0
	v_mov_b32_e32 v69, 0
	v_mov_b32_e32 v74, 0
.LBB32_101:                             ; =>This Inner Loop Header: Depth=1
	buffer_load_dword v75, v73, s[0:3], 0 offen offset:4
	buffer_load_dword v78, v73, s[0:3], 0 offen
	ds_read_b64 v[76:77], v71
	v_add_u32_e32 v70, 1, v70
	v_cmp_lt_u32_e32 vcc, 20, v70
	v_add_u32_e32 v71, 8, v71
	v_add_u32_e32 v73, 8, v73
	s_or_b64 s[6:7], vcc, s[6:7]
	s_waitcnt vmcnt(1) lgkmcnt(0)
	v_mul_f32_e32 v79, v77, v75
	v_mul_f32_e32 v75, v76, v75
	s_waitcnt vmcnt(0)
	v_fma_f32 v76, v76, v78, -v79
	v_fmac_f32_e32 v75, v77, v78
	v_add_f32_e32 v74, v74, v76
	v_add_f32_e32 v69, v69, v75
	s_andn2_b64 exec, exec, s[6:7]
	s_cbranch_execnz .LBB32_101
; %bb.102:
	s_or_b64 exec, exec, s[6:7]
	v_mov_b32_e32 v70, 0
	ds_read_b64 v[70:71], v70 offset:176
	s_waitcnt lgkmcnt(0)
	v_mul_f32_e32 v73, v69, v71
	v_mul_f32_e32 v71, v74, v71
	v_fma_f32 v73, v74, v70, -v73
	v_fmac_f32_e32 v71, v69, v70
	buffer_store_dword v73, off, s[0:3], 0 offset:176
	buffer_store_dword v71, off, s[0:3], 0 offset:180
.LBB32_103:
	s_or_b64 exec, exec, s[4:5]
	s_waitcnt lgkmcnt(0)
	; wave barrier
	buffer_load_dword v70, off, s[0:3], 0 offset:184
	buffer_load_dword v71, off, s[0:3], 0 offset:188
	v_cmp_gt_u32_e32 vcc, 23, v0
	s_waitcnt vmcnt(0)
	ds_write_b64 v1, v[70:71]
	s_waitcnt lgkmcnt(0)
	; wave barrier
	s_waitcnt lgkmcnt(0)
	s_and_saveexec_b64 s[4:5], vcc
	s_cbranch_execz .LBB32_107
; %bb.104:
	v_add_u32_e32 v70, -1, v0
	v_add_u32_e32 v71, 0x110, v72
	v_add_u32_e32 v73, 0, v72
	s_mov_b64 s[6:7], 0
	v_mov_b32_e32 v69, 0
	v_mov_b32_e32 v74, 0
.LBB32_105:                             ; =>This Inner Loop Header: Depth=1
	buffer_load_dword v75, v73, s[0:3], 0 offen offset:4
	buffer_load_dword v78, v73, s[0:3], 0 offen
	ds_read_b64 v[76:77], v71
	v_add_u32_e32 v70, 1, v70
	v_cmp_lt_u32_e32 vcc, 21, v70
	v_add_u32_e32 v71, 8, v71
	v_add_u32_e32 v73, 8, v73
	s_or_b64 s[6:7], vcc, s[6:7]
	s_waitcnt vmcnt(1) lgkmcnt(0)
	v_mul_f32_e32 v79, v77, v75
	v_mul_f32_e32 v75, v76, v75
	s_waitcnt vmcnt(0)
	v_fma_f32 v76, v76, v78, -v79
	v_fmac_f32_e32 v75, v77, v78
	v_add_f32_e32 v74, v74, v76
	v_add_f32_e32 v69, v69, v75
	s_andn2_b64 exec, exec, s[6:7]
	s_cbranch_execnz .LBB32_105
; %bb.106:
	s_or_b64 exec, exec, s[6:7]
	v_mov_b32_e32 v70, 0
	ds_read_b64 v[70:71], v70 offset:184
	s_waitcnt lgkmcnt(0)
	v_mul_f32_e32 v73, v69, v71
	v_mul_f32_e32 v71, v74, v71
	v_fma_f32 v73, v74, v70, -v73
	v_fmac_f32_e32 v71, v69, v70
	buffer_store_dword v73, off, s[0:3], 0 offset:184
	buffer_store_dword v71, off, s[0:3], 0 offset:188
.LBB32_107:
	s_or_b64 exec, exec, s[4:5]
	s_waitcnt lgkmcnt(0)
	; wave barrier
	buffer_load_dword v70, off, s[0:3], 0 offset:192
	buffer_load_dword v71, off, s[0:3], 0 offset:196
	v_cmp_gt_u32_e32 vcc, 24, v0
	s_waitcnt vmcnt(0)
	ds_write_b64 v1, v[70:71]
	;; [unrolled: 51-line block ×9, first 2 shown]
	s_waitcnt lgkmcnt(0)
	; wave barrier
	s_waitcnt lgkmcnt(0)
	s_and_saveexec_b64 s[4:5], vcc
	s_cbranch_execz .LBB32_139
; %bb.136:
	v_add_u32_e32 v70, -1, v0
	v_add_u32_e32 v71, 0x110, v72
	v_add_u32_e32 v73, 0, v72
	s_mov_b64 s[6:7], 0
	v_mov_b32_e32 v69, 0
	v_mov_b32_e32 v74, 0
.LBB32_137:                             ; =>This Inner Loop Header: Depth=1
	buffer_load_dword v75, v73, s[0:3], 0 offen offset:4
	buffer_load_dword v78, v73, s[0:3], 0 offen
	ds_read_b64 v[76:77], v71
	v_add_u32_e32 v70, 1, v70
	v_cmp_lt_u32_e32 vcc, 29, v70
	v_add_u32_e32 v71, 8, v71
	v_add_u32_e32 v73, 8, v73
	s_or_b64 s[6:7], vcc, s[6:7]
	s_waitcnt vmcnt(1) lgkmcnt(0)
	v_mul_f32_e32 v79, v77, v75
	v_mul_f32_e32 v75, v76, v75
	s_waitcnt vmcnt(0)
	v_fma_f32 v76, v76, v78, -v79
	v_fmac_f32_e32 v75, v77, v78
	v_add_f32_e32 v74, v74, v76
	v_add_f32_e32 v69, v69, v75
	s_andn2_b64 exec, exec, s[6:7]
	s_cbranch_execnz .LBB32_137
; %bb.138:
	s_or_b64 exec, exec, s[6:7]
	v_mov_b32_e32 v70, 0
	ds_read_b64 v[70:71], v70 offset:248
	s_waitcnt lgkmcnt(0)
	v_mul_f32_e32 v73, v69, v71
	v_mul_f32_e32 v71, v74, v71
	v_fma_f32 v73, v74, v70, -v73
	v_fmac_f32_e32 v71, v69, v70
	buffer_store_dword v73, off, s[0:3], 0 offset:248
	buffer_store_dword v71, off, s[0:3], 0 offset:252
.LBB32_139:
	s_or_b64 exec, exec, s[4:5]
	s_waitcnt lgkmcnt(0)
	; wave barrier
	buffer_load_dword v70, off, s[0:3], 0 offset:256
	buffer_load_dword v71, off, s[0:3], 0 offset:260
	v_cmp_ne_u32_e32 vcc, 32, v0
	s_waitcnt vmcnt(0)
	ds_write_b64 v1, v[70:71]
	s_waitcnt lgkmcnt(0)
	; wave barrier
	s_waitcnt lgkmcnt(0)
	s_and_saveexec_b64 s[4:5], vcc
	s_cbranch_execz .LBB32_143
; %bb.140:
	v_add_u32_e32 v69, 0x110, v72
	v_add_u32_e32 v70, 0, v72
	s_mov_b64 s[6:7], 0
	v_mov_b32_e32 v1, 0
	v_mov_b32_e32 v71, 0
.LBB32_141:                             ; =>This Inner Loop Header: Depth=1
	buffer_load_dword v74, v70, s[0:3], 0 offen offset:4
	buffer_load_dword v75, v70, s[0:3], 0 offen
	ds_read_b64 v[72:73], v69
	v_add_u32_e32 v68, 1, v68
	v_cmp_lt_u32_e32 vcc, 30, v68
	v_add_u32_e32 v69, 8, v69
	v_add_u32_e32 v70, 8, v70
	s_or_b64 s[6:7], vcc, s[6:7]
	s_waitcnt vmcnt(1) lgkmcnt(0)
	v_mul_f32_e32 v76, v73, v74
	v_mul_f32_e32 v74, v72, v74
	s_waitcnt vmcnt(0)
	v_fma_f32 v72, v72, v75, -v76
	v_fmac_f32_e32 v74, v73, v75
	v_add_f32_e32 v71, v71, v72
	v_add_f32_e32 v1, v1, v74
	s_andn2_b64 exec, exec, s[6:7]
	s_cbranch_execnz .LBB32_141
; %bb.142:
	s_or_b64 exec, exec, s[6:7]
	v_mov_b32_e32 v68, 0
	ds_read_b64 v[68:69], v68 offset:256
	s_waitcnt lgkmcnt(0)
	v_mul_f32_e32 v70, v1, v69
	v_mul_f32_e32 v69, v71, v69
	v_fma_f32 v70, v71, v68, -v70
	v_fmac_f32_e32 v69, v1, v68
	buffer_store_dword v70, off, s[0:3], 0 offset:256
	buffer_store_dword v69, off, s[0:3], 0 offset:260
.LBB32_143:
	s_or_b64 exec, exec, s[4:5]
	s_mov_b64 s[6:7], -1
	s_waitcnt lgkmcnt(0)
	; wave barrier
.LBB32_144:
	s_and_b64 vcc, exec, s[6:7]
	s_cbranch_vccz .LBB32_146
; %bb.145:
	s_lshl_b64 s[4:5], s[8:9], 2
	s_add_u32 s4, s14, s4
	s_addc_u32 s5, s15, s5
	v_mov_b32_e32 v1, 0
	global_load_dword v1, v1, s[4:5]
	s_waitcnt vmcnt(0)
	v_cmp_ne_u32_e32 vcc, 0, v1
	s_cbranch_vccz .LBB32_147
.LBB32_146:
	s_endpgm
.LBB32_147:
	v_mov_b32_e32 v1, 0x110
	v_lshl_add_u32 v1, v0, 3, v1
	v_cmp_eq_u32_e32 vcc, 32, v0
	s_and_saveexec_b64 s[4:5], vcc
	s_cbranch_execz .LBB32_149
; %bb.148:
	buffer_load_dword v68, off, s[0:3], 0 offset:248
	buffer_load_dword v69, off, s[0:3], 0 offset:252
	v_mov_b32_e32 v70, 0
	buffer_store_dword v70, off, s[0:3], 0 offset:248
	buffer_store_dword v70, off, s[0:3], 0 offset:252
	s_waitcnt vmcnt(2)
	ds_write_b64 v1, v[68:69]
.LBB32_149:
	s_or_b64 exec, exec, s[4:5]
	s_waitcnt lgkmcnt(0)
	; wave barrier
	s_waitcnt lgkmcnt(0)
	buffer_load_dword v71, off, s[0:3], 0 offset:260
	buffer_load_dword v70, off, s[0:3], 0 offset:256
	;; [unrolled: 1-line block ×4, first 2 shown]
	v_mov_b32_e32 v68, 0
	ds_read_b64 v[74:75], v68 offset:528
	v_cmp_lt_u32_e32 vcc, 30, v0
	s_waitcnt vmcnt(3)
	v_mov_b32_e32 v76, v71
	s_waitcnt lgkmcnt(0)
	v_pk_mul_f32 v[76:77], v[74:75], v[76:77] op_sel_hi:[1,0]
	s_waitcnt vmcnt(2)
	v_pk_fma_f32 v[78:79], v[74:75], v[70:71], v[76:77] op_sel:[0,0,1] op_sel_hi:[1,1,0] neg_lo:[0,0,1] neg_hi:[0,0,1]
	v_pk_fma_f32 v[70:71], v[74:75], v[70:71], v[76:77] op_sel:[0,0,1] op_sel_hi:[1,0,0]
	v_mov_b32_e32 v79, v71
	v_pk_add_f32 v[70:71], v[78:79], 0 op_sel_hi:[1,0]
	s_waitcnt vmcnt(0)
	v_pk_add_f32 v[70:71], v[72:73], v[70:71] neg_lo:[0,1] neg_hi:[0,1]
	buffer_store_dword v70, off, s[0:3], 0 offset:248
	buffer_store_dword v71, off, s[0:3], 0 offset:252
	s_and_saveexec_b64 s[4:5], vcc
	s_cbranch_execz .LBB32_151
; %bb.150:
	buffer_load_dword v70, off, s[0:3], 0 offset:240
	buffer_load_dword v71, off, s[0:3], 0 offset:244
	s_waitcnt vmcnt(0)
	ds_write_b64 v1, v[70:71]
	buffer_store_dword v68, off, s[0:3], 0 offset:240
	buffer_store_dword v68, off, s[0:3], 0 offset:244
.LBB32_151:
	s_or_b64 exec, exec, s[4:5]
	s_waitcnt lgkmcnt(0)
	; wave barrier
	s_waitcnt lgkmcnt(0)
	buffer_load_dword v73, off, s[0:3], 0 offset:252
	buffer_load_dword v75, off, s[0:3], 0 offset:260
	;; [unrolled: 1-line block ×6, first 2 shown]
	ds_read2_b64 v[68:71], v68 offset0:65 offset1:66
	v_cmp_lt_u32_e32 vcc, 29, v0
	s_waitcnt vmcnt(5)
	v_mov_b32_e32 v78, v73
	s_waitcnt vmcnt(4)
	v_mov_b32_e32 v80, v75
	s_waitcnt lgkmcnt(0)
	v_pk_mul_f32 v[78:79], v[68:69], v[78:79] op_sel_hi:[1,0]
	v_pk_mul_f32 v[80:81], v[70:71], v[80:81] op_sel_hi:[1,0]
	s_waitcnt vmcnt(3)
	v_pk_fma_f32 v[82:83], v[68:69], v[72:73], v[78:79] op_sel:[0,0,1] op_sel_hi:[1,1,0] neg_lo:[0,0,1] neg_hi:[0,0,1]
	v_pk_fma_f32 v[68:69], v[68:69], v[72:73], v[78:79] op_sel:[0,0,1] op_sel_hi:[1,0,0]
	s_waitcnt vmcnt(2)
	v_pk_fma_f32 v[72:73], v[70:71], v[74:75], v[80:81] op_sel:[0,0,1] op_sel_hi:[1,1,0] neg_lo:[0,0,1] neg_hi:[0,0,1]
	v_pk_fma_f32 v[70:71], v[70:71], v[74:75], v[80:81] op_sel:[0,0,1] op_sel_hi:[1,0,0]
	v_mov_b32_e32 v83, v69
	v_mov_b32_e32 v73, v71
	v_pk_add_f32 v[68:69], v[82:83], 0 op_sel_hi:[1,0]
	v_pk_add_f32 v[68:69], v[68:69], v[72:73]
	s_waitcnt vmcnt(0)
	v_pk_add_f32 v[68:69], v[76:77], v[68:69] neg_lo:[0,1] neg_hi:[0,1]
	buffer_store_dword v68, off, s[0:3], 0 offset:240
	buffer_store_dword v69, off, s[0:3], 0 offset:244
	s_and_saveexec_b64 s[4:5], vcc
	s_cbranch_execz .LBB32_153
; %bb.152:
	buffer_load_dword v68, off, s[0:3], 0 offset:232
	buffer_load_dword v69, off, s[0:3], 0 offset:236
	v_mov_b32_e32 v70, 0
	buffer_store_dword v70, off, s[0:3], 0 offset:232
	buffer_store_dword v70, off, s[0:3], 0 offset:236
	s_waitcnt vmcnt(2)
	ds_write_b64 v1, v[68:69]
.LBB32_153:
	s_or_b64 exec, exec, s[4:5]
	s_waitcnt lgkmcnt(0)
	; wave barrier
	s_waitcnt lgkmcnt(0)
	buffer_load_dword v75, off, s[0:3], 0 offset:244
	buffer_load_dword v77, off, s[0:3], 0 offset:252
	;; [unrolled: 1-line block ×8, first 2 shown]
	v_mov_b32_e32 v68, 0
	ds_read_b128 v[70:73], v68 offset:512
	ds_read_b64 v[82:83], v68 offset:528
	v_cmp_lt_u32_e32 vcc, 28, v0
	s_waitcnt vmcnt(7)
	v_mov_b32_e32 v84, v75
	s_waitcnt vmcnt(6)
	v_mov_b32_e32 v86, v77
	s_waitcnt lgkmcnt(1)
	v_pk_mul_f32 v[84:85], v[70:71], v[84:85] op_sel_hi:[1,0]
	s_waitcnt vmcnt(5)
	v_mov_b32_e32 v88, v79
	v_pk_mul_f32 v[86:87], v[72:73], v[86:87] op_sel_hi:[1,0]
	s_waitcnt vmcnt(4)
	v_pk_fma_f32 v[90:91], v[70:71], v[74:75], v[84:85] op_sel:[0,0,1] op_sel_hi:[1,1,0] neg_lo:[0,0,1] neg_hi:[0,0,1]
	v_pk_fma_f32 v[70:71], v[70:71], v[74:75], v[84:85] op_sel:[0,0,1] op_sel_hi:[1,0,0]
	s_waitcnt lgkmcnt(0)
	v_pk_mul_f32 v[88:89], v[82:83], v[88:89] op_sel_hi:[1,0]
	s_waitcnt vmcnt(3)
	v_pk_fma_f32 v[74:75], v[72:73], v[76:77], v[86:87] op_sel:[0,0,1] op_sel_hi:[1,1,0] neg_lo:[0,0,1] neg_hi:[0,0,1]
	v_pk_fma_f32 v[72:73], v[72:73], v[76:77], v[86:87] op_sel:[0,0,1] op_sel_hi:[1,0,0]
	v_mov_b32_e32 v91, v71
	s_waitcnt vmcnt(2)
	v_pk_fma_f32 v[76:77], v[82:83], v[78:79], v[88:89] op_sel:[0,0,1] op_sel_hi:[1,1,0] neg_lo:[0,0,1] neg_hi:[0,0,1]
	v_pk_fma_f32 v[78:79], v[82:83], v[78:79], v[88:89] op_sel:[0,0,1] op_sel_hi:[1,0,0]
	v_mov_b32_e32 v75, v73
	v_pk_add_f32 v[70:71], v[90:91], 0 op_sel_hi:[1,0]
	v_mov_b32_e32 v77, v79
	v_pk_add_f32 v[70:71], v[70:71], v[74:75]
	v_pk_add_f32 v[70:71], v[70:71], v[76:77]
	s_waitcnt vmcnt(0)
	v_pk_add_f32 v[70:71], v[80:81], v[70:71] neg_lo:[0,1] neg_hi:[0,1]
	buffer_store_dword v70, off, s[0:3], 0 offset:232
	buffer_store_dword v71, off, s[0:3], 0 offset:236
	s_and_saveexec_b64 s[4:5], vcc
	s_cbranch_execz .LBB32_155
; %bb.154:
	buffer_load_dword v70, off, s[0:3], 0 offset:224
	buffer_load_dword v71, off, s[0:3], 0 offset:228
	s_waitcnt vmcnt(0)
	ds_write_b64 v1, v[70:71]
	buffer_store_dword v68, off, s[0:3], 0 offset:224
	buffer_store_dword v68, off, s[0:3], 0 offset:228
.LBB32_155:
	s_or_b64 exec, exec, s[4:5]
	s_waitcnt lgkmcnt(0)
	; wave barrier
	s_waitcnt lgkmcnt(0)
	buffer_load_dword v79, off, s[0:3], 0 offset:236
	buffer_load_dword v81, off, s[0:3], 0 offset:244
	;; [unrolled: 1-line block ×10, first 2 shown]
	ds_read2_b64 v[70:73], v68 offset0:63 offset1:64
	ds_read2_b64 v[74:77], v68 offset0:65 offset1:66
	v_cmp_lt_u32_e32 vcc, 27, v0
	s_waitcnt vmcnt(9)
	v_mov_b32_e32 v68, v79
	s_waitcnt vmcnt(8)
	v_mov_b32_e32 v88, v81
	s_waitcnt lgkmcnt(1)
	v_pk_mul_f32 v[68:69], v[70:71], v[68:69] op_sel_hi:[1,0]
	s_waitcnt vmcnt(7)
	v_mov_b32_e32 v90, v83
	v_pk_mul_f32 v[88:89], v[72:73], v[88:89] op_sel_hi:[1,0]
	s_waitcnt vmcnt(5)
	v_pk_fma_f32 v[94:95], v[70:71], v[78:79], v[68:69] op_sel:[0,0,1] op_sel_hi:[1,1,0] neg_lo:[0,0,1] neg_hi:[0,0,1]
	v_pk_fma_f32 v[68:69], v[70:71], v[78:79], v[68:69] op_sel:[0,0,1] op_sel_hi:[1,0,0]
	v_mov_b32_e32 v92, v85
	s_waitcnt lgkmcnt(0)
	v_pk_mul_f32 v[90:91], v[74:75], v[90:91] op_sel_hi:[1,0]
	s_waitcnt vmcnt(4)
	v_pk_fma_f32 v[70:71], v[72:73], v[80:81], v[88:89] op_sel:[0,0,1] op_sel_hi:[1,1,0] neg_lo:[0,0,1] neg_hi:[0,0,1]
	v_pk_fma_f32 v[72:73], v[72:73], v[80:81], v[88:89] op_sel:[0,0,1] op_sel_hi:[1,0,0]
	v_mov_b32_e32 v95, v69
	v_pk_mul_f32 v[92:93], v[76:77], v[92:93] op_sel_hi:[1,0]
	s_waitcnt vmcnt(3)
	v_pk_fma_f32 v[78:79], v[74:75], v[82:83], v[90:91] op_sel:[0,0,1] op_sel_hi:[1,1,0] neg_lo:[0,0,1] neg_hi:[0,0,1]
	v_pk_fma_f32 v[74:75], v[74:75], v[82:83], v[90:91] op_sel:[0,0,1] op_sel_hi:[1,0,0]
	v_mov_b32_e32 v71, v73
	v_pk_add_f32 v[68:69], v[94:95], 0 op_sel_hi:[1,0]
	s_waitcnt vmcnt(2)
	v_pk_fma_f32 v[80:81], v[76:77], v[84:85], v[92:93] op_sel:[0,0,1] op_sel_hi:[1,1,0] neg_lo:[0,0,1] neg_hi:[0,0,1]
	v_pk_fma_f32 v[76:77], v[76:77], v[84:85], v[92:93] op_sel:[0,0,1] op_sel_hi:[1,0,0]
	v_mov_b32_e32 v79, v75
	v_pk_add_f32 v[68:69], v[68:69], v[70:71]
	v_mov_b32_e32 v81, v77
	v_pk_add_f32 v[68:69], v[68:69], v[78:79]
	v_pk_add_f32 v[68:69], v[68:69], v[80:81]
	s_waitcnt vmcnt(0)
	v_pk_add_f32 v[68:69], v[86:87], v[68:69] neg_lo:[0,1] neg_hi:[0,1]
	buffer_store_dword v68, off, s[0:3], 0 offset:224
	buffer_store_dword v69, off, s[0:3], 0 offset:228
	s_and_saveexec_b64 s[4:5], vcc
	s_cbranch_execz .LBB32_157
; %bb.156:
	buffer_load_dword v68, off, s[0:3], 0 offset:216
	buffer_load_dword v69, off, s[0:3], 0 offset:220
	v_mov_b32_e32 v70, 0
	buffer_store_dword v70, off, s[0:3], 0 offset:216
	buffer_store_dword v70, off, s[0:3], 0 offset:220
	s_waitcnt vmcnt(2)
	ds_write_b64 v1, v[68:69]
.LBB32_157:
	s_or_b64 exec, exec, s[4:5]
	s_waitcnt lgkmcnt(0)
	; wave barrier
	s_waitcnt lgkmcnt(0)
	buffer_load_dword v79, off, s[0:3], 0 offset:228
	buffer_load_dword v81, off, s[0:3], 0 offset:236
	;; [unrolled: 1-line block ×12, first 2 shown]
	v_mov_b32_e32 v68, 0
	ds_read_b128 v[70:73], v68 offset:496
	ds_read_b128 v[74:77], v68 offset:512
	ds_read_b64 v[90:91], v68 offset:528
	v_cmp_lt_u32_e32 vcc, 26, v0
	s_waitcnt vmcnt(11)
	v_mov_b32_e32 v92, v79
	s_waitcnt vmcnt(10)
	v_mov_b32_e32 v94, v81
	s_waitcnt lgkmcnt(2)
	v_pk_mul_f32 v[92:93], v[70:71], v[92:93] op_sel_hi:[1,0]
	s_waitcnt vmcnt(9)
	v_mov_b32_e32 v96, v83
	v_pk_mul_f32 v[94:95], v[72:73], v[94:95] op_sel_hi:[1,0]
	s_waitcnt vmcnt(6)
	v_pk_fma_f32 v[102:103], v[70:71], v[78:79], v[92:93] op_sel:[0,0,1] op_sel_hi:[1,1,0] neg_lo:[0,0,1] neg_hi:[0,0,1]
	v_pk_fma_f32 v[70:71], v[70:71], v[78:79], v[92:93] op_sel:[0,0,1] op_sel_hi:[1,0,0]
	v_mov_b32_e32 v98, v85
	s_waitcnt lgkmcnt(1)
	v_pk_mul_f32 v[96:97], v[74:75], v[96:97] op_sel_hi:[1,0]
	s_waitcnt vmcnt(5)
	v_pk_fma_f32 v[78:79], v[72:73], v[80:81], v[94:95] op_sel:[0,0,1] op_sel_hi:[1,1,0] neg_lo:[0,0,1] neg_hi:[0,0,1]
	v_pk_fma_f32 v[72:73], v[72:73], v[80:81], v[94:95] op_sel:[0,0,1] op_sel_hi:[1,0,0]
	v_mov_b32_e32 v103, v71
	v_mov_b32_e32 v100, v87
	v_pk_mul_f32 v[98:99], v[76:77], v[98:99] op_sel_hi:[1,0]
	s_waitcnt vmcnt(4)
	v_pk_fma_f32 v[80:81], v[74:75], v[82:83], v[96:97] op_sel:[0,0,1] op_sel_hi:[1,1,0] neg_lo:[0,0,1] neg_hi:[0,0,1]
	v_pk_fma_f32 v[74:75], v[74:75], v[82:83], v[96:97] op_sel:[0,0,1] op_sel_hi:[1,0,0]
	v_mov_b32_e32 v79, v73
	v_pk_add_f32 v[70:71], v[102:103], 0 op_sel_hi:[1,0]
	s_waitcnt lgkmcnt(0)
	v_pk_mul_f32 v[100:101], v[90:91], v[100:101] op_sel_hi:[1,0]
	s_waitcnt vmcnt(3)
	v_pk_fma_f32 v[82:83], v[76:77], v[84:85], v[98:99] op_sel:[0,0,1] op_sel_hi:[1,1,0] neg_lo:[0,0,1] neg_hi:[0,0,1]
	v_pk_fma_f32 v[76:77], v[76:77], v[84:85], v[98:99] op_sel:[0,0,1] op_sel_hi:[1,0,0]
	v_mov_b32_e32 v81, v75
	v_pk_add_f32 v[70:71], v[70:71], v[78:79]
	s_waitcnt vmcnt(2)
	v_pk_fma_f32 v[84:85], v[90:91], v[86:87], v[100:101] op_sel:[0,0,1] op_sel_hi:[1,1,0] neg_lo:[0,0,1] neg_hi:[0,0,1]
	v_pk_fma_f32 v[86:87], v[90:91], v[86:87], v[100:101] op_sel:[0,0,1] op_sel_hi:[1,0,0]
	v_mov_b32_e32 v83, v77
	v_pk_add_f32 v[70:71], v[70:71], v[80:81]
	v_mov_b32_e32 v85, v87
	v_pk_add_f32 v[70:71], v[70:71], v[82:83]
	v_pk_add_f32 v[70:71], v[70:71], v[84:85]
	s_waitcnt vmcnt(0)
	v_pk_add_f32 v[70:71], v[88:89], v[70:71] neg_lo:[0,1] neg_hi:[0,1]
	buffer_store_dword v70, off, s[0:3], 0 offset:216
	buffer_store_dword v71, off, s[0:3], 0 offset:220
	s_and_saveexec_b64 s[4:5], vcc
	s_cbranch_execz .LBB32_159
; %bb.158:
	buffer_load_dword v70, off, s[0:3], 0 offset:208
	buffer_load_dword v71, off, s[0:3], 0 offset:212
	s_waitcnt vmcnt(0)
	ds_write_b64 v1, v[70:71]
	buffer_store_dword v68, off, s[0:3], 0 offset:208
	buffer_store_dword v68, off, s[0:3], 0 offset:212
.LBB32_159:
	s_or_b64 exec, exec, s[4:5]
	s_waitcnt lgkmcnt(0)
	; wave barrier
	s_waitcnt lgkmcnt(0)
	buffer_load_dword v83, off, s[0:3], 0 offset:220
	buffer_load_dword v85, off, s[0:3], 0 offset:228
	;; [unrolled: 1-line block ×14, first 2 shown]
	ds_read2_b64 v[70:73], v68 offset0:61 offset1:62
	ds_read2_b64 v[74:77], v68 offset0:63 offset1:64
	;; [unrolled: 1-line block ×3, first 2 shown]
	v_cmp_lt_u32_e32 vcc, 25, v0
	s_waitcnt vmcnt(13)
	v_mov_b32_e32 v68, v83
	s_waitcnt vmcnt(12)
	v_mov_b32_e32 v96, v85
	s_waitcnt lgkmcnt(2)
	v_pk_mul_f32 v[68:69], v[70:71], v[68:69] op_sel_hi:[1,0]
	s_waitcnt vmcnt(11)
	v_mov_b32_e32 v98, v87
	v_pk_mul_f32 v[96:97], v[72:73], v[96:97] op_sel_hi:[1,0]
	s_waitcnt vmcnt(10)
	v_mov_b32_e32 v100, v89
	s_waitcnt vmcnt(7)
	v_pk_fma_f32 v[106:107], v[70:71], v[82:83], v[68:69] op_sel:[0,0,1] op_sel_hi:[1,1,0] neg_lo:[0,0,1] neg_hi:[0,0,1]
	v_pk_fma_f32 v[68:69], v[70:71], v[82:83], v[68:69] op_sel:[0,0,1] op_sel_hi:[1,0,0]
	s_waitcnt lgkmcnt(1)
	v_pk_mul_f32 v[98:99], v[74:75], v[98:99] op_sel_hi:[1,0]
	s_waitcnt vmcnt(6)
	v_pk_fma_f32 v[70:71], v[72:73], v[84:85], v[96:97] op_sel:[0,0,1] op_sel_hi:[1,1,0] neg_lo:[0,0,1] neg_hi:[0,0,1]
	v_pk_fma_f32 v[72:73], v[72:73], v[84:85], v[96:97] op_sel:[0,0,1] op_sel_hi:[1,0,0]
	v_mov_b32_e32 v107, v69
	v_mov_b32_e32 v102, v91
	v_pk_mul_f32 v[100:101], v[76:77], v[100:101] op_sel_hi:[1,0]
	s_waitcnt vmcnt(5)
	v_pk_fma_f32 v[82:83], v[74:75], v[86:87], v[98:99] op_sel:[0,0,1] op_sel_hi:[1,1,0] neg_lo:[0,0,1] neg_hi:[0,0,1]
	v_pk_fma_f32 v[74:75], v[74:75], v[86:87], v[98:99] op_sel:[0,0,1] op_sel_hi:[1,0,0]
	v_mov_b32_e32 v71, v73
	v_pk_add_f32 v[68:69], v[106:107], 0 op_sel_hi:[1,0]
	v_mov_b32_e32 v104, v93
	s_waitcnt lgkmcnt(0)
	v_pk_mul_f32 v[102:103], v[78:79], v[102:103] op_sel_hi:[1,0]
	s_waitcnt vmcnt(4)
	v_pk_fma_f32 v[84:85], v[76:77], v[88:89], v[100:101] op_sel:[0,0,1] op_sel_hi:[1,1,0] neg_lo:[0,0,1] neg_hi:[0,0,1]
	v_pk_fma_f32 v[76:77], v[76:77], v[88:89], v[100:101] op_sel:[0,0,1] op_sel_hi:[1,0,0]
	v_mov_b32_e32 v83, v75
	v_pk_add_f32 v[68:69], v[68:69], v[70:71]
	v_pk_mul_f32 v[104:105], v[80:81], v[104:105] op_sel_hi:[1,0]
	s_waitcnt vmcnt(3)
	v_pk_fma_f32 v[86:87], v[78:79], v[90:91], v[102:103] op_sel:[0,0,1] op_sel_hi:[1,1,0] neg_lo:[0,0,1] neg_hi:[0,0,1]
	v_pk_fma_f32 v[78:79], v[78:79], v[90:91], v[102:103] op_sel:[0,0,1] op_sel_hi:[1,0,0]
	v_mov_b32_e32 v85, v77
	v_pk_add_f32 v[68:69], v[68:69], v[82:83]
	s_waitcnt vmcnt(2)
	v_pk_fma_f32 v[88:89], v[80:81], v[92:93], v[104:105] op_sel:[0,0,1] op_sel_hi:[1,1,0] neg_lo:[0,0,1] neg_hi:[0,0,1]
	v_pk_fma_f32 v[80:81], v[80:81], v[92:93], v[104:105] op_sel:[0,0,1] op_sel_hi:[1,0,0]
	v_mov_b32_e32 v87, v79
	v_pk_add_f32 v[68:69], v[68:69], v[84:85]
	v_mov_b32_e32 v89, v81
	v_pk_add_f32 v[68:69], v[68:69], v[86:87]
	v_pk_add_f32 v[68:69], v[68:69], v[88:89]
	s_waitcnt vmcnt(0)
	v_pk_add_f32 v[68:69], v[94:95], v[68:69] neg_lo:[0,1] neg_hi:[0,1]
	buffer_store_dword v68, off, s[0:3], 0 offset:208
	buffer_store_dword v69, off, s[0:3], 0 offset:212
	s_and_saveexec_b64 s[4:5], vcc
	s_cbranch_execz .LBB32_161
; %bb.160:
	buffer_load_dword v68, off, s[0:3], 0 offset:200
	buffer_load_dword v69, off, s[0:3], 0 offset:204
	v_mov_b32_e32 v70, 0
	buffer_store_dword v70, off, s[0:3], 0 offset:200
	buffer_store_dword v70, off, s[0:3], 0 offset:204
	s_waitcnt vmcnt(2)
	ds_write_b64 v1, v[68:69]
.LBB32_161:
	s_or_b64 exec, exec, s[4:5]
	s_waitcnt lgkmcnt(0)
	; wave barrier
	s_waitcnt lgkmcnt(0)
	buffer_load_dword v83, off, s[0:3], 0 offset:212
	buffer_load_dword v85, off, s[0:3], 0 offset:220
	;; [unrolled: 1-line block ×16, first 2 shown]
	v_mov_b32_e32 v68, 0
	ds_read_b128 v[70:73], v68 offset:480
	ds_read_b128 v[74:77], v68 offset:496
	;; [unrolled: 1-line block ×3, first 2 shown]
	ds_read_b64 v[98:99], v68 offset:528
	v_cmp_lt_u32_e32 vcc, 24, v0
	s_waitcnt vmcnt(15)
	v_mov_b32_e32 v100, v83
	s_waitcnt vmcnt(14)
	v_mov_b32_e32 v102, v85
	s_waitcnt lgkmcnt(3)
	v_pk_mul_f32 v[100:101], v[70:71], v[100:101] op_sel_hi:[1,0]
	s_waitcnt vmcnt(13)
	v_mov_b32_e32 v104, v87
	v_pk_mul_f32 v[102:103], v[72:73], v[102:103] op_sel_hi:[1,0]
	s_waitcnt vmcnt(12)
	v_mov_b32_e32 v106, v89
	s_waitcnt lgkmcnt(2)
	v_pk_mul_f32 v[104:105], v[74:75], v[104:105] op_sel_hi:[1,0]
	s_waitcnt vmcnt(8)
	v_pk_fma_f32 v[114:115], v[70:71], v[82:83], v[100:101] op_sel:[0,0,1] op_sel_hi:[1,1,0] neg_lo:[0,0,1] neg_hi:[0,0,1]
	v_pk_fma_f32 v[70:71], v[70:71], v[82:83], v[100:101] op_sel:[0,0,1] op_sel_hi:[1,0,0]
	s_waitcnt vmcnt(7)
	v_pk_fma_f32 v[82:83], v[72:73], v[84:85], v[102:103] op_sel:[0,0,1] op_sel_hi:[1,1,0] neg_lo:[0,0,1] neg_hi:[0,0,1]
	v_pk_fma_f32 v[72:73], v[72:73], v[84:85], v[102:103] op_sel:[0,0,1] op_sel_hi:[1,0,0]
	v_mov_b32_e32 v115, v71
	v_mov_b32_e32 v108, v91
	v_pk_mul_f32 v[106:107], v[76:77], v[106:107] op_sel_hi:[1,0]
	s_waitcnt vmcnt(6)
	v_pk_fma_f32 v[84:85], v[74:75], v[86:87], v[104:105] op_sel:[0,0,1] op_sel_hi:[1,1,0] neg_lo:[0,0,1] neg_hi:[0,0,1]
	v_pk_fma_f32 v[74:75], v[74:75], v[86:87], v[104:105] op_sel:[0,0,1] op_sel_hi:[1,0,0]
	v_mov_b32_e32 v83, v73
	v_pk_add_f32 v[70:71], v[114:115], 0 op_sel_hi:[1,0]
	v_mov_b32_e32 v110, v93
	s_waitcnt lgkmcnt(1)
	v_pk_mul_f32 v[108:109], v[78:79], v[108:109] op_sel_hi:[1,0]
	s_waitcnt vmcnt(5)
	v_pk_fma_f32 v[86:87], v[76:77], v[88:89], v[106:107] op_sel:[0,0,1] op_sel_hi:[1,1,0] neg_lo:[0,0,1] neg_hi:[0,0,1]
	v_pk_fma_f32 v[76:77], v[76:77], v[88:89], v[106:107] op_sel:[0,0,1] op_sel_hi:[1,0,0]
	v_mov_b32_e32 v85, v75
	v_pk_add_f32 v[70:71], v[70:71], v[82:83]
	v_mov_b32_e32 v112, v95
	v_pk_mul_f32 v[110:111], v[80:81], v[110:111] op_sel_hi:[1,0]
	s_waitcnt vmcnt(4)
	v_pk_fma_f32 v[88:89], v[78:79], v[90:91], v[108:109] op_sel:[0,0,1] op_sel_hi:[1,1,0] neg_lo:[0,0,1] neg_hi:[0,0,1]
	v_pk_fma_f32 v[78:79], v[78:79], v[90:91], v[108:109] op_sel:[0,0,1] op_sel_hi:[1,0,0]
	v_mov_b32_e32 v87, v77
	v_pk_add_f32 v[70:71], v[70:71], v[84:85]
	s_waitcnt lgkmcnt(0)
	v_pk_mul_f32 v[112:113], v[98:99], v[112:113] op_sel_hi:[1,0]
	s_waitcnt vmcnt(3)
	v_pk_fma_f32 v[90:91], v[80:81], v[92:93], v[110:111] op_sel:[0,0,1] op_sel_hi:[1,1,0] neg_lo:[0,0,1] neg_hi:[0,0,1]
	v_pk_fma_f32 v[80:81], v[80:81], v[92:93], v[110:111] op_sel:[0,0,1] op_sel_hi:[1,0,0]
	v_mov_b32_e32 v89, v79
	v_pk_add_f32 v[70:71], v[70:71], v[86:87]
	s_waitcnt vmcnt(2)
	v_pk_fma_f32 v[92:93], v[98:99], v[94:95], v[112:113] op_sel:[0,0,1] op_sel_hi:[1,1,0] neg_lo:[0,0,1] neg_hi:[0,0,1]
	v_pk_fma_f32 v[94:95], v[98:99], v[94:95], v[112:113] op_sel:[0,0,1] op_sel_hi:[1,0,0]
	v_mov_b32_e32 v91, v81
	v_pk_add_f32 v[70:71], v[70:71], v[88:89]
	v_mov_b32_e32 v93, v95
	v_pk_add_f32 v[70:71], v[70:71], v[90:91]
	v_pk_add_f32 v[70:71], v[70:71], v[92:93]
	s_waitcnt vmcnt(0)
	v_pk_add_f32 v[70:71], v[96:97], v[70:71] neg_lo:[0,1] neg_hi:[0,1]
	buffer_store_dword v70, off, s[0:3], 0 offset:200
	buffer_store_dword v71, off, s[0:3], 0 offset:204
	s_and_saveexec_b64 s[4:5], vcc
	s_cbranch_execz .LBB32_163
; %bb.162:
	buffer_load_dword v70, off, s[0:3], 0 offset:192
	buffer_load_dword v71, off, s[0:3], 0 offset:196
	s_waitcnt vmcnt(0)
	ds_write_b64 v1, v[70:71]
	buffer_store_dword v68, off, s[0:3], 0 offset:192
	buffer_store_dword v68, off, s[0:3], 0 offset:196
.LBB32_163:
	s_or_b64 exec, exec, s[4:5]
	s_waitcnt lgkmcnt(0)
	; wave barrier
	s_waitcnt lgkmcnt(0)
	buffer_load_dword v87, off, s[0:3], 0 offset:204
	buffer_load_dword v89, off, s[0:3], 0 offset:212
	;; [unrolled: 1-line block ×18, first 2 shown]
	ds_read2_b64 v[70:73], v68 offset0:59 offset1:60
	ds_read2_b64 v[74:77], v68 offset0:61 offset1:62
	;; [unrolled: 1-line block ×4, first 2 shown]
	v_cmp_lt_u32_e32 vcc, 23, v0
	s_waitcnt vmcnt(17)
	v_mov_b32_e32 v68, v87
	s_waitcnt vmcnt(16)
	v_mov_b32_e32 v104, v89
	s_waitcnt lgkmcnt(3)
	v_pk_mul_f32 v[68:69], v[70:71], v[68:69] op_sel_hi:[1,0]
	s_waitcnt vmcnt(15)
	v_mov_b32_e32 v106, v91
	v_pk_mul_f32 v[104:105], v[72:73], v[104:105] op_sel_hi:[1,0]
	s_waitcnt vmcnt(14)
	v_mov_b32_e32 v108, v93
	s_waitcnt lgkmcnt(2)
	v_pk_mul_f32 v[106:107], v[74:75], v[106:107] op_sel_hi:[1,0]
	s_waitcnt vmcnt(13)
	v_mov_b32_e32 v110, v95
	s_waitcnt vmcnt(9)
	v_pk_fma_f32 v[118:119], v[70:71], v[86:87], v[68:69] op_sel:[0,0,1] op_sel_hi:[1,1,0] neg_lo:[0,0,1] neg_hi:[0,0,1]
	v_pk_fma_f32 v[68:69], v[70:71], v[86:87], v[68:69] op_sel:[0,0,1] op_sel_hi:[1,0,0]
	s_waitcnt vmcnt(8)
	v_pk_fma_f32 v[70:71], v[72:73], v[88:89], v[104:105] op_sel:[0,0,1] op_sel_hi:[1,1,0] neg_lo:[0,0,1] neg_hi:[0,0,1]
	v_pk_fma_f32 v[72:73], v[72:73], v[88:89], v[104:105] op_sel:[0,0,1] op_sel_hi:[1,0,0]
	v_mov_b32_e32 v119, v69
	v_pk_mul_f32 v[108:109], v[76:77], v[108:109] op_sel_hi:[1,0]
	s_waitcnt vmcnt(7)
	v_pk_fma_f32 v[86:87], v[74:75], v[90:91], v[106:107] op_sel:[0,0,1] op_sel_hi:[1,1,0] neg_lo:[0,0,1] neg_hi:[0,0,1]
	v_pk_fma_f32 v[74:75], v[74:75], v[90:91], v[106:107] op_sel:[0,0,1] op_sel_hi:[1,0,0]
	v_mov_b32_e32 v71, v73
	v_pk_add_f32 v[68:69], v[118:119], 0 op_sel_hi:[1,0]
	v_mov_b32_e32 v112, v97
	s_waitcnt lgkmcnt(1)
	v_pk_mul_f32 v[110:111], v[78:79], v[110:111] op_sel_hi:[1,0]
	s_waitcnt vmcnt(6)
	v_pk_fma_f32 v[88:89], v[76:77], v[92:93], v[108:109] op_sel:[0,0,1] op_sel_hi:[1,1,0] neg_lo:[0,0,1] neg_hi:[0,0,1]
	v_pk_fma_f32 v[76:77], v[76:77], v[92:93], v[108:109] op_sel:[0,0,1] op_sel_hi:[1,0,0]
	v_mov_b32_e32 v87, v75
	v_pk_add_f32 v[68:69], v[68:69], v[70:71]
	v_mov_b32_e32 v114, v99
	v_pk_mul_f32 v[112:113], v[80:81], v[112:113] op_sel_hi:[1,0]
	s_waitcnt vmcnt(5)
	v_pk_fma_f32 v[90:91], v[78:79], v[94:95], v[110:111] op_sel:[0,0,1] op_sel_hi:[1,1,0] neg_lo:[0,0,1] neg_hi:[0,0,1]
	v_pk_fma_f32 v[78:79], v[78:79], v[94:95], v[110:111] op_sel:[0,0,1] op_sel_hi:[1,0,0]
	v_mov_b32_e32 v89, v77
	v_pk_add_f32 v[68:69], v[68:69], v[86:87]
	v_mov_b32_e32 v116, v101
	s_waitcnt lgkmcnt(0)
	v_pk_mul_f32 v[114:115], v[82:83], v[114:115] op_sel_hi:[1,0]
	s_waitcnt vmcnt(4)
	v_pk_fma_f32 v[92:93], v[80:81], v[96:97], v[112:113] op_sel:[0,0,1] op_sel_hi:[1,1,0] neg_lo:[0,0,1] neg_hi:[0,0,1]
	v_pk_fma_f32 v[80:81], v[80:81], v[96:97], v[112:113] op_sel:[0,0,1] op_sel_hi:[1,0,0]
	v_mov_b32_e32 v91, v79
	v_pk_add_f32 v[68:69], v[68:69], v[88:89]
	v_pk_mul_f32 v[116:117], v[84:85], v[116:117] op_sel_hi:[1,0]
	s_waitcnt vmcnt(3)
	v_pk_fma_f32 v[94:95], v[82:83], v[98:99], v[114:115] op_sel:[0,0,1] op_sel_hi:[1,1,0] neg_lo:[0,0,1] neg_hi:[0,0,1]
	v_pk_fma_f32 v[82:83], v[82:83], v[98:99], v[114:115] op_sel:[0,0,1] op_sel_hi:[1,0,0]
	v_mov_b32_e32 v93, v81
	v_pk_add_f32 v[68:69], v[68:69], v[90:91]
	s_waitcnt vmcnt(2)
	v_pk_fma_f32 v[96:97], v[84:85], v[100:101], v[116:117] op_sel:[0,0,1] op_sel_hi:[1,1,0] neg_lo:[0,0,1] neg_hi:[0,0,1]
	v_pk_fma_f32 v[84:85], v[84:85], v[100:101], v[116:117] op_sel:[0,0,1] op_sel_hi:[1,0,0]
	v_mov_b32_e32 v95, v83
	v_pk_add_f32 v[68:69], v[68:69], v[92:93]
	v_mov_b32_e32 v97, v85
	v_pk_add_f32 v[68:69], v[68:69], v[94:95]
	v_pk_add_f32 v[68:69], v[68:69], v[96:97]
	s_waitcnt vmcnt(0)
	v_pk_add_f32 v[68:69], v[102:103], v[68:69] neg_lo:[0,1] neg_hi:[0,1]
	buffer_store_dword v68, off, s[0:3], 0 offset:192
	buffer_store_dword v69, off, s[0:3], 0 offset:196
	s_and_saveexec_b64 s[4:5], vcc
	s_cbranch_execz .LBB32_165
; %bb.164:
	buffer_load_dword v68, off, s[0:3], 0 offset:184
	buffer_load_dword v69, off, s[0:3], 0 offset:188
	v_mov_b32_e32 v70, 0
	buffer_store_dword v70, off, s[0:3], 0 offset:184
	buffer_store_dword v70, off, s[0:3], 0 offset:188
	s_waitcnt vmcnt(2)
	ds_write_b64 v1, v[68:69]
.LBB32_165:
	s_or_b64 exec, exec, s[4:5]
	s_waitcnt lgkmcnt(0)
	; wave barrier
	s_waitcnt lgkmcnt(0)
	buffer_load_dword v69, off, s[0:3], 0 offset:196
	buffer_load_dword v87, off, s[0:3], 0 offset:204
	;; [unrolled: 1-line block ×20, first 2 shown]
	v_mov_b32_e32 v68, 0
	ds_read_b128 v[70:73], v68 offset:464
	ds_read_b128 v[74:77], v68 offset:480
	;; [unrolled: 1-line block ×4, first 2 shown]
	ds_read_b64 v[104:105], v68 offset:528
	v_cmp_lt_u32_e32 vcc, 22, v0
	s_waitcnt vmcnt(19) lgkmcnt(4)
	v_mul_f32_e32 v107, v70, v69
	v_mul_f32_e32 v69, v71, v69
	s_waitcnt vmcnt(18)
	v_mov_b32_e32 v108, v87
	s_waitcnt vmcnt(17)
	v_mov_b32_e32 v110, v89
	;; [unrolled: 2-line block ×8, first 2 shown]
	s_waitcnt vmcnt(10)
	v_fmac_f32_e32 v107, v71, v106
	v_fma_f32 v106, v70, v106, -v69
	v_pk_mul_f32 v[70:71], v[72:73], v[108:109] op_sel_hi:[1,0]
	s_waitcnt lgkmcnt(3)
	v_pk_mul_f32 v[108:109], v[74:75], v[110:111] op_sel_hi:[1,0]
	v_pk_mul_f32 v[110:111], v[76:77], v[112:113] op_sel_hi:[1,0]
	s_waitcnt lgkmcnt(2)
	v_pk_mul_f32 v[112:113], v[78:79], v[114:115] op_sel_hi:[1,0]
	;; [unrolled: 3-line block ×4, first 2 shown]
	s_waitcnt vmcnt(9)
	v_pk_fma_f32 v[122:123], v[72:73], v[86:87], v[70:71] op_sel:[0,0,1] op_sel_hi:[1,1,0] neg_lo:[0,0,1] neg_hi:[0,0,1]
	v_pk_fma_f32 v[70:71], v[72:73], v[86:87], v[70:71] op_sel:[0,0,1] op_sel_hi:[1,0,0]
	v_pk_add_f32 v[106:107], v[106:107], 0 op_sel_hi:[1,0]
	s_waitcnt vmcnt(8)
	v_pk_fma_f32 v[72:73], v[74:75], v[88:89], v[108:109] op_sel:[0,0,1] op_sel_hi:[1,1,0] neg_lo:[0,0,1] neg_hi:[0,0,1]
	v_pk_fma_f32 v[74:75], v[74:75], v[88:89], v[108:109] op_sel:[0,0,1] op_sel_hi:[1,0,0]
	v_mov_b32_e32 v123, v71
	s_waitcnt vmcnt(7)
	v_pk_fma_f32 v[86:87], v[76:77], v[90:91], v[110:111] op_sel:[0,0,1] op_sel_hi:[1,1,0] neg_lo:[0,0,1] neg_hi:[0,0,1]
	v_pk_fma_f32 v[76:77], v[76:77], v[90:91], v[110:111] op_sel:[0,0,1] op_sel_hi:[1,0,0]
	v_mov_b32_e32 v73, v75
	v_pk_add_f32 v[70:71], v[106:107], v[122:123]
	s_waitcnt vmcnt(6)
	v_pk_fma_f32 v[88:89], v[78:79], v[92:93], v[112:113] op_sel:[0,0,1] op_sel_hi:[1,1,0] neg_lo:[0,0,1] neg_hi:[0,0,1]
	v_pk_fma_f32 v[78:79], v[78:79], v[92:93], v[112:113] op_sel:[0,0,1] op_sel_hi:[1,0,0]
	v_mov_b32_e32 v87, v77
	v_pk_add_f32 v[70:71], v[70:71], v[72:73]
	;; [unrolled: 5-line block ×5, first 2 shown]
	v_pk_fma_f32 v[96:97], v[104:105], v[100:101], v[120:121] op_sel:[0,0,1] op_sel_hi:[1,1,0] neg_lo:[0,0,1] neg_hi:[0,0,1]
	v_pk_fma_f32 v[98:99], v[104:105], v[100:101], v[120:121] op_sel:[0,0,1] op_sel_hi:[1,0,0]
	v_mov_b32_e32 v95, v85
	v_pk_add_f32 v[70:71], v[70:71], v[92:93]
	v_mov_b32_e32 v97, v99
	v_pk_add_f32 v[70:71], v[70:71], v[94:95]
	v_pk_add_f32 v[70:71], v[70:71], v[96:97]
	s_waitcnt vmcnt(0)
	v_pk_add_f32 v[70:71], v[102:103], v[70:71] neg_lo:[0,1] neg_hi:[0,1]
	buffer_store_dword v70, off, s[0:3], 0 offset:184
	buffer_store_dword v71, off, s[0:3], 0 offset:188
	s_and_saveexec_b64 s[4:5], vcc
	s_cbranch_execz .LBB32_167
; %bb.166:
	buffer_load_dword v70, off, s[0:3], 0 offset:176
	buffer_load_dword v71, off, s[0:3], 0 offset:180
	s_waitcnt vmcnt(0)
	ds_write_b64 v1, v[70:71]
	buffer_store_dword v68, off, s[0:3], 0 offset:176
	buffer_store_dword v68, off, s[0:3], 0 offset:180
.LBB32_167:
	s_or_b64 exec, exec, s[4:5]
	s_waitcnt lgkmcnt(0)
	; wave barrier
	s_waitcnt lgkmcnt(0)
	buffer_load_dword v108, off, s[0:3], 0 offset:188
	buffer_load_dword v110, off, s[0:3], 0 offset:196
	;; [unrolled: 1-line block ×22, first 2 shown]
	ds_read2_b64 v[70:73], v68 offset0:57 offset1:58
	ds_read2_b64 v[74:77], v68 offset0:59 offset1:60
	;; [unrolled: 1-line block ×5, first 2 shown]
	v_cmp_lt_u32_e32 vcc, 21, v0
	s_waitcnt vmcnt(21) lgkmcnt(4)
	v_mul_f32_e32 v69, v70, v108
	s_waitcnt vmcnt(20)
	v_mul_f32_e32 v109, v72, v110
	v_mul_f32_e32 v68, v71, v108
	;; [unrolled: 1-line block ×3, first 2 shown]
	s_waitcnt vmcnt(19)
	v_mov_b32_e32 v110, v91
	s_waitcnt vmcnt(18)
	v_mov_b32_e32 v112, v93
	;; [unrolled: 2-line block ×5, first 2 shown]
	v_mov_b32_e32 v116, v97
	s_waitcnt vmcnt(11)
	v_fmac_f32_e32 v69, v71, v111
	v_fma_f32 v68, v70, v111, -v68
	s_waitcnt lgkmcnt(3)
	v_pk_mul_f32 v[70:71], v[74:75], v[110:111] op_sel_hi:[1,0]
	s_waitcnt vmcnt(10)
	v_fmac_f32_e32 v109, v73, v113
	v_fma_f32 v108, v72, v113, -v108
	v_pk_mul_f32 v[72:73], v[76:77], v[112:113] op_sel_hi:[1,0]
	s_waitcnt lgkmcnt(2)
	v_pk_mul_f32 v[110:111], v[78:79], v[114:115] op_sel_hi:[1,0]
	s_waitcnt lgkmcnt(1)
	v_pk_mul_f32 v[114:115], v[82:83], v[118:119] op_sel_hi:[1,0]
	s_waitcnt lgkmcnt(0)
	v_pk_mul_f32 v[118:119], v[86:87], v[122:123] op_sel_hi:[1,0]
	v_pk_add_f32 v[68:69], v[68:69], 0 op_sel_hi:[1,0]
	s_waitcnt vmcnt(9)
	v_pk_fma_f32 v[122:123], v[74:75], v[90:91], v[70:71] op_sel:[0,0,1] op_sel_hi:[1,1,0] neg_lo:[0,0,1] neg_hi:[0,0,1]
	v_pk_fma_f32 v[70:71], v[74:75], v[90:91], v[70:71] op_sel:[0,0,1] op_sel_hi:[1,0,0]
	s_waitcnt vmcnt(8)
	v_pk_fma_f32 v[74:75], v[76:77], v[92:93], v[72:73] op_sel:[0,0,1] op_sel_hi:[1,1,0] neg_lo:[0,0,1] neg_hi:[0,0,1]
	v_pk_fma_f32 v[72:73], v[76:77], v[92:93], v[72:73] op_sel:[0,0,1] op_sel_hi:[1,0,0]
	v_pk_add_f32 v[68:69], v[68:69], v[108:109]
	v_mov_b32_e32 v123, v71
	v_pk_mul_f32 v[112:113], v[80:81], v[116:117] op_sel_hi:[1,0]
	s_waitcnt vmcnt(7)
	v_pk_fma_f32 v[76:77], v[78:79], v[94:95], v[110:111] op_sel:[0,0,1] op_sel_hi:[1,1,0] neg_lo:[0,0,1] neg_hi:[0,0,1]
	v_pk_fma_f32 v[78:79], v[78:79], v[94:95], v[110:111] op_sel:[0,0,1] op_sel_hi:[1,0,0]
	v_mov_b32_e32 v75, v73
	v_pk_add_f32 v[68:69], v[68:69], v[122:123]
	v_mov_b32_e32 v120, v101
	s_waitcnt vmcnt(6)
	v_pk_fma_f32 v[90:91], v[80:81], v[96:97], v[112:113] op_sel:[0,0,1] op_sel_hi:[1,1,0] neg_lo:[0,0,1] neg_hi:[0,0,1]
	v_pk_fma_f32 v[80:81], v[80:81], v[96:97], v[112:113] op_sel:[0,0,1] op_sel_hi:[1,0,0]
	v_mov_b32_e32 v77, v79
	v_pk_add_f32 v[68:69], v[68:69], v[74:75]
	v_pk_mul_f32 v[116:117], v[84:85], v[120:121] op_sel_hi:[1,0]
	s_waitcnt vmcnt(5)
	v_pk_fma_f32 v[92:93], v[82:83], v[98:99], v[114:115] op_sel:[0,0,1] op_sel_hi:[1,1,0] neg_lo:[0,0,1] neg_hi:[0,0,1]
	v_pk_fma_f32 v[82:83], v[82:83], v[98:99], v[114:115] op_sel:[0,0,1] op_sel_hi:[1,0,0]
	v_mov_b32_e32 v91, v81
	v_pk_add_f32 v[68:69], v[68:69], v[76:77]
	v_mov_b32_e32 v124, v105
	s_waitcnt vmcnt(2)
	v_pk_fma_f32 v[94:95], v[84:85], v[100:101], v[116:117] op_sel:[0,0,1] op_sel_hi:[1,1,0] neg_lo:[0,0,1] neg_hi:[0,0,1]
	v_pk_fma_f32 v[84:85], v[84:85], v[100:101], v[116:117] op_sel:[0,0,1] op_sel_hi:[1,0,0]
	v_mov_b32_e32 v93, v83
	v_pk_add_f32 v[68:69], v[68:69], v[90:91]
	v_pk_mul_f32 v[120:121], v[88:89], v[124:125] op_sel_hi:[1,0]
	v_pk_fma_f32 v[96:97], v[86:87], v[102:103], v[118:119] op_sel:[0,0,1] op_sel_hi:[1,1,0] neg_lo:[0,0,1] neg_hi:[0,0,1]
	v_pk_fma_f32 v[86:87], v[86:87], v[102:103], v[118:119] op_sel:[0,0,1] op_sel_hi:[1,0,0]
	v_mov_b32_e32 v95, v85
	v_pk_add_f32 v[68:69], v[68:69], v[92:93]
	v_pk_fma_f32 v[98:99], v[88:89], v[104:105], v[120:121] op_sel:[0,0,1] op_sel_hi:[1,1,0] neg_lo:[0,0,1] neg_hi:[0,0,1]
	v_pk_fma_f32 v[88:89], v[88:89], v[104:105], v[120:121] op_sel:[0,0,1] op_sel_hi:[1,0,0]
	v_mov_b32_e32 v97, v87
	v_pk_add_f32 v[68:69], v[68:69], v[94:95]
	v_mov_b32_e32 v99, v89
	v_pk_add_f32 v[68:69], v[68:69], v[96:97]
	v_pk_add_f32 v[68:69], v[68:69], v[98:99]
	s_waitcnt vmcnt(0)
	v_pk_add_f32 v[68:69], v[106:107], v[68:69] neg_lo:[0,1] neg_hi:[0,1]
	buffer_store_dword v68, off, s[0:3], 0 offset:176
	buffer_store_dword v69, off, s[0:3], 0 offset:180
	s_and_saveexec_b64 s[4:5], vcc
	s_cbranch_execz .LBB32_169
; %bb.168:
	buffer_load_dword v68, off, s[0:3], 0 offset:168
	buffer_load_dword v69, off, s[0:3], 0 offset:172
	v_mov_b32_e32 v70, 0
	buffer_store_dword v70, off, s[0:3], 0 offset:168
	buffer_store_dword v70, off, s[0:3], 0 offset:172
	s_waitcnt vmcnt(2)
	ds_write_b64 v1, v[68:69]
.LBB32_169:
	s_or_b64 exec, exec, s[4:5]
	s_waitcnt lgkmcnt(0)
	; wave barrier
	s_waitcnt lgkmcnt(0)
	buffer_load_dword v69, off, s[0:3], 0 offset:180
	buffer_load_dword v110, off, s[0:3], 0 offset:188
	;; [unrolled: 1-line block ×24, first 2 shown]
	v_mov_b32_e32 v68, 0
	ds_read_b128 v[70:73], v68 offset:448
	ds_read_b128 v[74:77], v68 offset:464
	;; [unrolled: 1-line block ×5, first 2 shown]
	ds_read_b64 v[108:109], v68 offset:528
	v_cmp_lt_u32_e32 vcc, 20, v0
	s_waitcnt vmcnt(23) lgkmcnt(5)
	v_mul_f32_e32 v123, v70, v69
	v_mul_f32_e32 v69, v71, v69
	s_waitcnt vmcnt(22)
	v_mul_f32_e32 v111, v72, v110
	s_waitcnt vmcnt(21) lgkmcnt(4)
	v_mul_f32_e32 v113, v74, v112
	v_mul_f32_e32 v110, v73, v110
	;; [unrolled: 1-line block ×3, first 2 shown]
	s_waitcnt vmcnt(20)
	v_mov_b32_e32 v114, v91
	s_waitcnt vmcnt(19)
	v_mov_b32_e32 v116, v93
	;; [unrolled: 2-line block ×5, first 2 shown]
	s_waitcnt vmcnt(12)
	v_fmac_f32_e32 v123, v71, v115
	v_fma_f32 v69, v70, v115, -v69
	v_mov_b32_e32 v124, v101
	s_waitcnt vmcnt(11)
	v_fmac_f32_e32 v111, v73, v117
	s_waitcnt vmcnt(10)
	v_fmac_f32_e32 v113, v75, v119
	v_fma_f32 v110, v72, v117, -v110
	v_fma_f32 v112, v74, v119, -v112
	v_pk_mul_f32 v[70:71], v[76:77], v[114:115] op_sel_hi:[1,0]
	s_waitcnt lgkmcnt(3)
	v_pk_mul_f32 v[72:73], v[78:79], v[116:117] op_sel_hi:[1,0]
	v_pk_mul_f32 v[74:75], v[80:81], v[118:119] op_sel_hi:[1,0]
	s_waitcnt lgkmcnt(2)
	v_pk_mul_f32 v[114:115], v[82:83], v[120:121] op_sel_hi:[1,0]
	v_pk_mul_f32 v[116:117], v[84:85], v[122:123] op_sel_hi:[1,0]
	v_add_f32_e32 v123, 0, v123
	v_add_f32_e32 v122, 0, v69
	s_waitcnt lgkmcnt(1)
	v_pk_mul_f32 v[118:119], v[86:87], v[124:125] op_sel_hi:[1,0]
	s_waitcnt vmcnt(9)
	v_pk_fma_f32 v[124:125], v[76:77], v[90:91], v[70:71] op_sel:[0,0,1] op_sel_hi:[1,1,0] neg_lo:[0,0,1] neg_hi:[0,0,1]
	v_pk_fma_f32 v[70:71], v[76:77], v[90:91], v[70:71] op_sel:[0,0,1] op_sel_hi:[1,0,0]
	s_waitcnt vmcnt(8)
	v_pk_fma_f32 v[76:77], v[78:79], v[92:93], v[72:73] op_sel:[0,0,1] op_sel_hi:[1,1,0] neg_lo:[0,0,1] neg_hi:[0,0,1]
	v_pk_fma_f32 v[72:73], v[78:79], v[92:93], v[72:73] op_sel:[0,0,1] op_sel_hi:[1,0,0]
	;; [unrolled: 3-line block ×4, first 2 shown]
	v_pk_add_f32 v[96:97], v[122:123], v[110:111]
	v_mov_b32_e32 v125, v71
	v_pk_add_f32 v[70:71], v[96:97], v[112:113]
	v_mov_b32_e32 v77, v73
	;; [unrolled: 2-line block ×4, first 2 shown]
	s_waitcnt vmcnt(2)
	v_pk_fma_f32 v[90:91], v[84:85], v[98:99], v[116:117] op_sel:[0,0,1] op_sel_hi:[1,1,0] neg_lo:[0,0,1] neg_hi:[0,0,1]
	v_pk_fma_f32 v[84:85], v[84:85], v[98:99], v[116:117] op_sel:[0,0,1] op_sel_hi:[1,0,0]
	v_mov_b32_e32 v81, v83
	v_pk_add_f32 v[70:71], v[70:71], v[78:79]
	v_mov_b32_e32 v128, v105
	v_pk_mul_f32 v[120:121], v[88:89], v[126:127] op_sel_hi:[1,0]
	v_pk_fma_f32 v[92:93], v[86:87], v[100:101], v[118:119] op_sel:[0,0,1] op_sel_hi:[1,1,0] neg_lo:[0,0,1] neg_hi:[0,0,1]
	v_pk_fma_f32 v[86:87], v[86:87], v[100:101], v[118:119] op_sel:[0,0,1] op_sel_hi:[1,0,0]
	v_mov_b32_e32 v91, v85
	v_pk_add_f32 v[70:71], v[70:71], v[80:81]
	v_pk_fma_f32 v[94:95], v[88:89], v[102:103], v[120:121] op_sel:[0,0,1] op_sel_hi:[1,1,0] neg_lo:[0,0,1] neg_hi:[0,0,1]
	v_pk_fma_f32 v[88:89], v[88:89], v[102:103], v[120:121] op_sel:[0,0,1] op_sel_hi:[1,0,0]
	v_mov_b32_e32 v93, v87
	v_pk_add_f32 v[70:71], v[70:71], v[90:91]
	s_waitcnt lgkmcnt(0)
	v_pk_mul_f32 v[72:73], v[108:109], v[128:129] op_sel_hi:[1,0]
	v_mov_b32_e32 v95, v89
	v_pk_add_f32 v[70:71], v[70:71], v[92:93]
	v_pk_fma_f32 v[74:75], v[108:109], v[104:105], v[72:73] op_sel:[0,0,1] op_sel_hi:[1,1,0] neg_lo:[0,0,1] neg_hi:[0,0,1]
	v_pk_fma_f32 v[72:73], v[108:109], v[104:105], v[72:73] op_sel:[0,0,1] op_sel_hi:[1,0,0]
	v_pk_add_f32 v[70:71], v[70:71], v[94:95]
	v_mov_b32_e32 v75, v73
	v_pk_add_f32 v[70:71], v[70:71], v[74:75]
	s_waitcnt vmcnt(0)
	v_pk_add_f32 v[70:71], v[106:107], v[70:71] neg_lo:[0,1] neg_hi:[0,1]
	buffer_store_dword v71, off, s[0:3], 0 offset:172
	buffer_store_dword v70, off, s[0:3], 0 offset:168
	s_and_saveexec_b64 s[4:5], vcc
	s_cbranch_execz .LBB32_171
; %bb.170:
	buffer_load_dword v70, off, s[0:3], 0 offset:160
	buffer_load_dword v71, off, s[0:3], 0 offset:164
	s_waitcnt vmcnt(0)
	ds_write_b64 v1, v[70:71]
	buffer_store_dword v68, off, s[0:3], 0 offset:160
	buffer_store_dword v68, off, s[0:3], 0 offset:164
.LBB32_171:
	s_or_b64 exec, exec, s[4:5]
	s_waitcnt lgkmcnt(0)
	; wave barrier
	s_waitcnt lgkmcnt(0)
	buffer_load_dword v112, off, s[0:3], 0 offset:172
	buffer_load_dword v114, off, s[0:3], 0 offset:180
	;; [unrolled: 1-line block ×26, first 2 shown]
	ds_read2_b64 v[70:73], v68 offset0:55 offset1:56
	ds_read2_b64 v[74:77], v68 offset0:57 offset1:58
	;; [unrolled: 1-line block ×6, first 2 shown]
	v_cmp_lt_u32_e32 vcc, 19, v0
	s_waitcnt vmcnt(25) lgkmcnt(5)
	v_mul_f32_e32 v125, v70, v112
	v_mul_f32_e32 v68, v71, v112
	s_waitcnt vmcnt(24)
	v_mul_f32_e32 v126, v72, v114
	s_waitcnt vmcnt(23) lgkmcnt(4)
	v_mul_f32_e32 v69, v74, v115
	s_waitcnt vmcnt(22)
	v_mul_f32_e32 v113, v76, v116
	v_mul_f32_e32 v112, v73, v114
	;; [unrolled: 1-line block ×4, first 2 shown]
	s_waitcnt vmcnt(21)
	v_mov_b32_e32 v114, v95
	s_waitcnt vmcnt(20)
	v_mov_b32_e32 v116, v97
	;; [unrolled: 2-line block ×3, first 2 shown]
	s_waitcnt vmcnt(15)
	v_fmac_f32_e32 v125, v71, v117
	v_fma_f32 v128, v70, v117, -v68
	v_mov_b32_e32 v118, v99
	s_waitcnt vmcnt(14)
	v_fmac_f32_e32 v126, v73, v119
	s_waitcnt vmcnt(13)
	v_fmac_f32_e32 v69, v75, v121
	;; [unrolled: 2-line block ×3, first 2 shown]
	v_fma_f32 v129, v72, v119, -v112
	v_fma_f32 v68, v74, v121, -v115
	;; [unrolled: 1-line block ×3, first 2 shown]
	s_waitcnt lgkmcnt(3)
	v_pk_mul_f32 v[70:71], v[78:79], v[114:115] op_sel_hi:[1,0]
	v_pk_mul_f32 v[72:73], v[80:81], v[116:117] op_sel_hi:[1,0]
	s_waitcnt lgkmcnt(2)
	v_pk_mul_f32 v[76:77], v[84:85], v[120:121] op_sel_hi:[1,0]
	v_add_f32_e32 v120, 0, v125
	v_add_f32_e32 v121, 0, v128
	v_pk_mul_f32 v[74:75], v[82:83], v[118:119] op_sel_hi:[1,0]
	s_waitcnt vmcnt(11)
	v_pk_fma_f32 v[118:119], v[78:79], v[94:95], v[70:71] op_sel:[0,0,1] op_sel_hi:[1,1,0] neg_lo:[0,0,1] neg_hi:[0,0,1]
	v_pk_fma_f32 v[70:71], v[78:79], v[94:95], v[70:71] op_sel:[0,0,1] op_sel_hi:[1,0,0]
	s_waitcnt vmcnt(10)
	v_pk_fma_f32 v[78:79], v[80:81], v[96:97], v[72:73] op_sel:[0,0,1] op_sel_hi:[1,1,0] neg_lo:[0,0,1] neg_hi:[0,0,1]
	v_pk_fma_f32 v[72:73], v[80:81], v[96:97], v[72:73] op_sel:[0,0,1] op_sel_hi:[1,0,0]
	v_add_f32_e32 v97, v120, v126
	v_add_f32_e32 v96, v121, v129
	v_pk_add_f32 v[68:69], v[96:97], v[68:69]
	v_mov_b32_e32 v119, v71
	v_pk_add_f32 v[68:69], v[68:69], v[112:113]
	v_mov_b32_e32 v122, v103
	s_waitcnt vmcnt(9)
	v_pk_fma_f32 v[80:81], v[82:83], v[98:99], v[74:75] op_sel:[0,0,1] op_sel_hi:[1,1,0] neg_lo:[0,0,1] neg_hi:[0,0,1]
	v_pk_fma_f32 v[74:75], v[82:83], v[98:99], v[74:75] op_sel:[0,0,1] op_sel_hi:[1,0,0]
	v_mov_b32_e32 v79, v73
	v_pk_add_f32 v[68:69], v[68:69], v[118:119]
	v_mov_b32_e32 v124, v105
	s_waitcnt lgkmcnt(1)
	v_pk_mul_f32 v[114:115], v[86:87], v[122:123] op_sel_hi:[1,0]
	s_waitcnt vmcnt(5)
	v_pk_fma_f32 v[82:83], v[84:85], v[100:101], v[76:77] op_sel:[0,0,1] op_sel_hi:[1,1,0] neg_lo:[0,0,1] neg_hi:[0,0,1]
	v_pk_fma_f32 v[76:77], v[84:85], v[100:101], v[76:77] op_sel:[0,0,1] op_sel_hi:[1,0,0]
	v_mov_b32_e32 v81, v75
	v_pk_add_f32 v[68:69], v[68:69], v[78:79]
	s_waitcnt vmcnt(4)
	v_mov_b32_e32 v70, v107
	v_pk_mul_f32 v[116:117], v[88:89], v[124:125] op_sel_hi:[1,0]
	v_pk_fma_f32 v[84:85], v[86:87], v[102:103], v[114:115] op_sel:[0,0,1] op_sel_hi:[1,1,0] neg_lo:[0,0,1] neg_hi:[0,0,1]
	v_pk_fma_f32 v[86:87], v[86:87], v[102:103], v[114:115] op_sel:[0,0,1] op_sel_hi:[1,0,0]
	v_mov_b32_e32 v83, v77
	v_pk_add_f32 v[68:69], v[68:69], v[80:81]
	s_waitcnt lgkmcnt(0)
	v_pk_mul_f32 v[70:71], v[90:91], v[70:71] op_sel_hi:[1,0]
	v_pk_fma_f32 v[94:95], v[88:89], v[104:105], v[116:117] op_sel:[0,0,1] op_sel_hi:[1,1,0] neg_lo:[0,0,1] neg_hi:[0,0,1]
	v_pk_fma_f32 v[88:89], v[88:89], v[104:105], v[116:117] op_sel:[0,0,1] op_sel_hi:[1,0,0]
	v_mov_b32_e32 v85, v87
	v_pk_add_f32 v[68:69], v[68:69], v[82:83]
	v_pk_fma_f32 v[72:73], v[90:91], v[106:107], v[70:71] op_sel:[0,0,1] op_sel_hi:[1,1,0] neg_lo:[0,0,1] neg_hi:[0,0,1]
	v_pk_fma_f32 v[70:71], v[90:91], v[106:107], v[70:71] op_sel:[0,0,1] op_sel_hi:[1,0,0]
	v_mov_b32_e32 v95, v89
	v_pk_add_f32 v[68:69], v[68:69], v[84:85]
	s_waitcnt vmcnt(3)
	v_mov_b32_e32 v70, v109
	v_pk_add_f32 v[68:69], v[68:69], v[94:95]
	v_mov_b32_e32 v73, v71
	v_pk_mul_f32 v[70:71], v[92:93], v[70:71] op_sel_hi:[1,0]
	v_pk_add_f32 v[68:69], v[68:69], v[72:73]
	s_waitcnt vmcnt(2)
	v_pk_fma_f32 v[72:73], v[92:93], v[108:109], v[70:71] op_sel:[0,0,1] op_sel_hi:[1,1,0] neg_lo:[0,0,1] neg_hi:[0,0,1]
	v_pk_fma_f32 v[70:71], v[92:93], v[108:109], v[70:71] op_sel:[0,0,1] op_sel_hi:[1,0,0]
	v_mov_b32_e32 v73, v71
	v_pk_add_f32 v[68:69], v[68:69], v[72:73]
	s_waitcnt vmcnt(0)
	v_pk_add_f32 v[68:69], v[110:111], v[68:69] neg_lo:[0,1] neg_hi:[0,1]
	buffer_store_dword v69, off, s[0:3], 0 offset:164
	buffer_store_dword v68, off, s[0:3], 0 offset:160
	s_and_saveexec_b64 s[4:5], vcc
	s_cbranch_execz .LBB32_173
; %bb.172:
	buffer_load_dword v68, off, s[0:3], 0 offset:152
	buffer_load_dword v69, off, s[0:3], 0 offset:156
	v_mov_b32_e32 v70, 0
	buffer_store_dword v70, off, s[0:3], 0 offset:152
	buffer_store_dword v70, off, s[0:3], 0 offset:156
	s_waitcnt vmcnt(2)
	ds_write_b64 v1, v[68:69]
.LBB32_173:
	s_or_b64 exec, exec, s[4:5]
	v_mov_b32_e32 v70, 0
	s_waitcnt lgkmcnt(0)
	; wave barrier
	s_waitcnt lgkmcnt(0)
	ds_read_b128 v[72:75], v70 offset:432
	ds_read_b128 v[76:79], v70 offset:448
	;; [unrolled: 1-line block ×4, first 2 shown]
	buffer_load_dword v68, off, s[0:3], 0 offset:152
	buffer_load_dword v69, off, s[0:3], 0 offset:156
	;; [unrolled: 1-line block ×28, first 2 shown]
	v_cmp_lt_u32_e32 vcc, 18, v0
	s_waitcnt vmcnt(24) lgkmcnt(3)
	v_mul_f32_e32 v93, v72, v92
	v_fmac_f32_e32 v93, v73, v71
	v_mul_f32_e32 v73, v73, v92
	s_waitcnt vmcnt(22)
	v_mul_f32_e32 v95, v74, v96
	v_fma_f32 v71, v72, v71, -v73
	v_mul_f32_e32 v72, v75, v96
	v_add_f32_e32 v93, 0, v93
	v_fmac_f32_e32 v95, v75, v94
	v_add_f32_e32 v71, 0, v71
	v_fma_f32 v72, v74, v94, -v72
	v_add_f32_e32 v93, v93, v95
	s_waitcnt vmcnt(20) lgkmcnt(2)
	v_mul_f32_e32 v95, v76, v111
	v_add_f32_e32 v71, v71, v72
	v_mul_f32_e32 v72, v77, v111
	v_fmac_f32_e32 v95, v77, v110
	v_fma_f32 v72, v76, v110, -v72
	v_add_f32_e32 v93, v93, v95
	s_waitcnt vmcnt(18)
	v_mul_f32_e32 v95, v78, v113
	v_add_f32_e32 v92, v71, v72
	v_mul_f32_e32 v71, v79, v113
	v_fmac_f32_e32 v95, v79, v112
	v_fma_f32 v94, v78, v112, -v71
	s_waitcnt vmcnt(16) lgkmcnt(1)
	v_mul_f32_e32 v97, v80, v115
	v_mul_f32_e32 v71, v81, v115
	v_pk_add_f32 v[92:93], v[92:93], v[94:95]
	s_waitcnt vmcnt(14)
	v_mov_b32_e32 v94, v89
	v_fmac_f32_e32 v97, v81, v114
	v_fma_f32 v96, v80, v114, -v71
	v_pk_mul_f32 v[94:95], v[82:83], v[94:95] op_sel_hi:[1,0]
	v_pk_add_f32 v[92:93], v[92:93], v[96:97]
	v_pk_fma_f32 v[96:97], v[82:83], v[88:89], v[94:95] op_sel:[0,0,1] op_sel_hi:[1,1,0] neg_lo:[0,0,1] neg_hi:[0,0,1]
	v_pk_fma_f32 v[82:83], v[82:83], v[88:89], v[94:95] op_sel:[0,0,1] op_sel_hi:[1,0,0]
	s_waitcnt vmcnt(12)
	v_mov_b32_e32 v88, v91
	v_mov_b32_e32 v97, v83
	s_waitcnt lgkmcnt(0)
	v_pk_mul_f32 v[88:89], v[84:85], v[88:89] op_sel_hi:[1,0]
	v_pk_add_f32 v[82:83], v[92:93], v[96:97]
	v_pk_fma_f32 v[92:93], v[84:85], v[90:91], v[88:89] op_sel:[0,0,1] op_sel_hi:[1,1,0] neg_lo:[0,0,1] neg_hi:[0,0,1]
	v_pk_fma_f32 v[84:85], v[84:85], v[90:91], v[88:89] op_sel:[0,0,1] op_sel_hi:[1,0,0]
	s_waitcnt vmcnt(11)
	v_mov_b32_e32 v84, v99
	ds_read_b128 v[72:75], v70 offset:496
	ds_read_b128 v[76:79], v70 offset:512
	ds_read_b64 v[80:81], v70 offset:528
	v_mov_b32_e32 v93, v85
	v_pk_mul_f32 v[84:85], v[86:87], v[84:85] op_sel_hi:[1,0]
	s_waitcnt vmcnt(10)
	v_pk_fma_f32 v[88:89], v[86:87], v[98:99], v[84:85] op_sel:[0,0,1] op_sel_hi:[1,1,0] neg_lo:[0,0,1] neg_hi:[0,0,1]
	v_pk_fma_f32 v[84:85], v[86:87], v[98:99], v[84:85] op_sel:[0,0,1] op_sel_hi:[1,0,0]
	s_waitcnt vmcnt(9)
	v_mov_b32_e32 v84, v101
	v_mov_b32_e32 v89, v85
	s_waitcnt lgkmcnt(2)
	v_pk_mul_f32 v[84:85], v[72:73], v[84:85] op_sel_hi:[1,0]
	v_pk_add_f32 v[82:83], v[82:83], v[92:93]
	s_waitcnt vmcnt(8)
	v_pk_fma_f32 v[86:87], v[72:73], v[100:101], v[84:85] op_sel:[0,0,1] op_sel_hi:[1,1,0] neg_lo:[0,0,1] neg_hi:[0,0,1]
	v_pk_fma_f32 v[72:73], v[72:73], v[100:101], v[84:85] op_sel:[0,0,1] op_sel_hi:[1,0,0]
	v_pk_add_f32 v[82:83], v[82:83], v[88:89]
	v_mov_b32_e32 v87, v73
	v_pk_add_f32 v[72:73], v[82:83], v[86:87]
	s_waitcnt vmcnt(7)
	v_mov_b32_e32 v82, v103
	v_pk_mul_f32 v[82:83], v[74:75], v[82:83] op_sel_hi:[1,0]
	s_waitcnt vmcnt(6)
	v_pk_fma_f32 v[84:85], v[74:75], v[102:103], v[82:83] op_sel:[0,0,1] op_sel_hi:[1,1,0] neg_lo:[0,0,1] neg_hi:[0,0,1]
	v_pk_fma_f32 v[74:75], v[74:75], v[102:103], v[82:83] op_sel:[0,0,1] op_sel_hi:[1,0,0]
	s_waitcnt vmcnt(5)
	v_mov_b32_e32 v74, v105
	v_mov_b32_e32 v85, v75
	s_waitcnt lgkmcnt(1)
	v_pk_mul_f32 v[74:75], v[76:77], v[74:75] op_sel_hi:[1,0]
	s_waitcnt vmcnt(4)
	v_pk_fma_f32 v[82:83], v[76:77], v[104:105], v[74:75] op_sel:[0,0,1] op_sel_hi:[1,1,0] neg_lo:[0,0,1] neg_hi:[0,0,1]
	v_pk_fma_f32 v[74:75], v[76:77], v[104:105], v[74:75] op_sel:[0,0,1] op_sel_hi:[1,0,0]
	s_waitcnt vmcnt(3)
	v_mov_b32_e32 v74, v107
	v_mov_b32_e32 v83, v75
	v_pk_mul_f32 v[74:75], v[78:79], v[74:75] op_sel_hi:[1,0]
	s_waitcnt vmcnt(2)
	v_pk_fma_f32 v[76:77], v[78:79], v[106:107], v[74:75] op_sel:[0,0,1] op_sel_hi:[1,1,0] neg_lo:[0,0,1] neg_hi:[0,0,1]
	v_pk_fma_f32 v[74:75], v[78:79], v[106:107], v[74:75] op_sel:[0,0,1] op_sel_hi:[1,0,0]
	v_pk_add_f32 v[72:73], v[72:73], v[84:85]
	s_waitcnt vmcnt(1)
	v_mov_b32_e32 v74, v109
	v_pk_add_f32 v[72:73], v[72:73], v[82:83]
	v_mov_b32_e32 v77, v75
	s_waitcnt lgkmcnt(0)
	v_pk_mul_f32 v[74:75], v[80:81], v[74:75] op_sel_hi:[1,0]
	v_pk_add_f32 v[72:73], v[72:73], v[76:77]
	s_waitcnt vmcnt(0)
	v_pk_fma_f32 v[76:77], v[80:81], v[108:109], v[74:75] op_sel:[0,0,1] op_sel_hi:[1,1,0] neg_lo:[0,0,1] neg_hi:[0,0,1]
	v_pk_fma_f32 v[74:75], v[80:81], v[108:109], v[74:75] op_sel:[0,0,1] op_sel_hi:[1,0,0]
	v_mov_b32_e32 v77, v75
	v_pk_add_f32 v[72:73], v[72:73], v[76:77]
	v_pk_add_f32 v[68:69], v[68:69], v[72:73] neg_lo:[0,1] neg_hi:[0,1]
	buffer_store_dword v69, off, s[0:3], 0 offset:156
	buffer_store_dword v68, off, s[0:3], 0 offset:152
	s_and_saveexec_b64 s[4:5], vcc
	s_cbranch_execz .LBB32_175
; %bb.174:
	buffer_load_dword v68, off, s[0:3], 0 offset:144
	buffer_load_dword v69, off, s[0:3], 0 offset:148
	s_waitcnt vmcnt(0)
	ds_write_b64 v1, v[68:69]
	buffer_store_dword v70, off, s[0:3], 0 offset:144
	buffer_store_dword v70, off, s[0:3], 0 offset:148
.LBB32_175:
	s_or_b64 exec, exec, s[4:5]
	s_waitcnt lgkmcnt(0)
	; wave barrier
	s_waitcnt lgkmcnt(0)
	ds_read2_b64 v[72:75], v70 offset0:53 offset1:54
	buffer_load_dword v68, off, s[0:3], 0 offset:144
	buffer_load_dword v69, off, s[0:3], 0 offset:148
	;; [unrolled: 1-line block ×16, first 2 shown]
	v_cmp_lt_u32_e32 vcc, 17, v0
	ds_read2_b64 v[84:87], v70 offset0:59 offset1:60
	s_waitcnt vmcnt(12) lgkmcnt(1)
	v_mul_f32_e32 v76, v72, v90
	v_fmac_f32_e32 v76, v73, v71
	s_waitcnt vmcnt(10)
	v_mul_f32_e32 v77, v74, v94
	v_add_f32_e32 v76, 0, v76
	v_fmac_f32_e32 v77, v75, v92
	v_add_f32_e32 v80, v76, v77
	ds_read2_b64 v[76:79], v70 offset0:55 offset1:56
	v_mul_f32_e32 v73, v73, v90
	v_fma_f32 v71, v72, v71, -v73
	v_mul_f32_e32 v72, v75, v94
	v_add_f32_e32 v71, 0, v71
	s_waitcnt vmcnt(8) lgkmcnt(0)
	v_mul_f32_e32 v81, v76, v111
	v_fmac_f32_e32 v81, v77, v110
	v_add_f32_e32 v80, v80, v81
	s_waitcnt vmcnt(6)
	v_mul_f32_e32 v81, v78, v113
	v_fmac_f32_e32 v81, v79, v112
	v_add_f32_e32 v91, v80, v81
	ds_read2_b64 v[80:83], v70 offset0:57 offset1:58
	buffer_load_dword v97, off, s[0:3], 0 offset:212
	buffer_load_dword v96, off, s[0:3], 0 offset:208
	;; [unrolled: 1-line block ×14, first 2 shown]
	v_fma_f32 v72, v74, v92, -v72
	v_add_f32_e32 v71, v71, v72
	v_mul_f32_e32 v72, v77, v111
	v_fma_f32 v72, v76, v110, -v72
	v_add_f32_e32 v71, v71, v72
	v_mul_f32_e32 v72, v79, v113
	v_fma_f32 v72, v78, v112, -v72
	s_waitcnt vmcnt(18) lgkmcnt(0)
	v_mul_f32_e32 v93, v80, v115
	v_add_f32_e32 v90, v71, v72
	v_mul_f32_e32 v71, v81, v115
	v_fmac_f32_e32 v93, v81, v114
	s_waitcnt vmcnt(16)
	v_mul_f32_e32 v95, v82, v117
	v_fma_f32 v92, v80, v114, -v71
	v_mul_f32_e32 v71, v83, v117
	v_fmac_f32_e32 v95, v83, v116
	v_fma_f32 v94, v82, v116, -v71
	ds_read2_b64 v[72:75], v70 offset0:61 offset1:62
	ds_read2_b64 v[76:79], v70 offset0:63 offset1:64
	;; [unrolled: 1-line block ×3, first 2 shown]
	v_pk_add_f32 v[70:71], v[90:91], v[92:93]
	s_waitcnt vmcnt(14)
	v_mov_b32_e32 v90, v89
	v_pk_mul_f32 v[90:91], v[84:85], v[90:91] op_sel_hi:[1,0]
	v_pk_fma_f32 v[92:93], v[84:85], v[88:89], v[90:91] op_sel:[0,0,1] op_sel_hi:[1,1,0] neg_lo:[0,0,1] neg_hi:[0,0,1]
	v_pk_fma_f32 v[84:85], v[84:85], v[88:89], v[90:91] op_sel:[0,0,1] op_sel_hi:[1,0,0]
	v_mov_b32_e32 v93, v85
	v_pk_add_f32 v[70:71], v[70:71], v[94:95]
	v_pk_add_f32 v[70:71], v[70:71], v[92:93]
	s_waitcnt vmcnt(13)
	v_mov_b32_e32 v84, v97
	v_pk_mul_f32 v[84:85], v[86:87], v[84:85] op_sel_hi:[1,0]
	s_waitcnt vmcnt(12)
	v_pk_fma_f32 v[88:89], v[86:87], v[96:97], v[84:85] op_sel:[0,0,1] op_sel_hi:[1,1,0] neg_lo:[0,0,1] neg_hi:[0,0,1]
	v_pk_fma_f32 v[84:85], v[86:87], v[96:97], v[84:85] op_sel:[0,0,1] op_sel_hi:[1,0,0]
	s_waitcnt vmcnt(11)
	v_mov_b32_e32 v84, v99
	v_mov_b32_e32 v89, v85
	s_waitcnt lgkmcnt(2)
	v_pk_mul_f32 v[84:85], v[72:73], v[84:85] op_sel_hi:[1,0]
	s_waitcnt vmcnt(10)
	v_pk_fma_f32 v[86:87], v[72:73], v[98:99], v[84:85] op_sel:[0,0,1] op_sel_hi:[1,1,0] neg_lo:[0,0,1] neg_hi:[0,0,1]
	v_pk_fma_f32 v[72:73], v[72:73], v[98:99], v[84:85] op_sel:[0,0,1] op_sel_hi:[1,0,0]
	s_waitcnt vmcnt(9)
	v_mov_b32_e32 v72, v101
	v_mov_b32_e32 v87, v73
	v_pk_mul_f32 v[72:73], v[74:75], v[72:73] op_sel_hi:[1,0]
	s_waitcnt vmcnt(8)
	v_pk_fma_f32 v[84:85], v[74:75], v[100:101], v[72:73] op_sel:[0,0,1] op_sel_hi:[1,1,0] neg_lo:[0,0,1] neg_hi:[0,0,1]
	v_pk_fma_f32 v[72:73], v[74:75], v[100:101], v[72:73] op_sel:[0,0,1] op_sel_hi:[1,0,0]
	s_waitcnt vmcnt(7)
	v_mov_b32_e32 v72, v103
	v_mov_b32_e32 v85, v73
	s_waitcnt lgkmcnt(1)
	v_pk_mul_f32 v[72:73], v[76:77], v[72:73] op_sel_hi:[1,0]
	v_pk_add_f32 v[70:71], v[70:71], v[88:89]
	s_waitcnt vmcnt(6)
	v_pk_fma_f32 v[74:75], v[76:77], v[102:103], v[72:73] op_sel:[0,0,1] op_sel_hi:[1,1,0] neg_lo:[0,0,1] neg_hi:[0,0,1]
	v_pk_fma_f32 v[72:73], v[76:77], v[102:103], v[72:73] op_sel:[0,0,1] op_sel_hi:[1,0,0]
	v_pk_add_f32 v[70:71], v[70:71], v[86:87]
	s_waitcnt vmcnt(5)
	v_mov_b32_e32 v72, v105
	v_pk_add_f32 v[70:71], v[70:71], v[84:85]
	v_mov_b32_e32 v75, v73
	v_pk_mul_f32 v[72:73], v[78:79], v[72:73] op_sel_hi:[1,0]
	v_pk_add_f32 v[70:71], v[70:71], v[74:75]
	s_waitcnt vmcnt(4)
	v_pk_fma_f32 v[74:75], v[78:79], v[104:105], v[72:73] op_sel:[0,0,1] op_sel_hi:[1,1,0] neg_lo:[0,0,1] neg_hi:[0,0,1]
	v_pk_fma_f32 v[72:73], v[78:79], v[104:105], v[72:73] op_sel:[0,0,1] op_sel_hi:[1,0,0]
	s_waitcnt vmcnt(3)
	v_mov_b32_e32 v72, v107
	v_mov_b32_e32 v75, v73
	s_waitcnt lgkmcnt(0)
	v_pk_mul_f32 v[72:73], v[80:81], v[72:73] op_sel_hi:[1,0]
	v_pk_add_f32 v[70:71], v[70:71], v[74:75]
	s_waitcnt vmcnt(2)
	v_pk_fma_f32 v[74:75], v[80:81], v[106:107], v[72:73] op_sel:[0,0,1] op_sel_hi:[1,1,0] neg_lo:[0,0,1] neg_hi:[0,0,1]
	v_pk_fma_f32 v[72:73], v[80:81], v[106:107], v[72:73] op_sel:[0,0,1] op_sel_hi:[1,0,0]
	s_waitcnt vmcnt(1)
	v_mov_b32_e32 v72, v109
	v_mov_b32_e32 v75, v73
	v_pk_mul_f32 v[72:73], v[82:83], v[72:73] op_sel_hi:[1,0]
	v_pk_add_f32 v[70:71], v[70:71], v[74:75]
	s_waitcnt vmcnt(0)
	v_pk_fma_f32 v[74:75], v[82:83], v[108:109], v[72:73] op_sel:[0,0,1] op_sel_hi:[1,1,0] neg_lo:[0,0,1] neg_hi:[0,0,1]
	v_pk_fma_f32 v[72:73], v[82:83], v[108:109], v[72:73] op_sel:[0,0,1] op_sel_hi:[1,0,0]
	v_mov_b32_e32 v75, v73
	v_pk_add_f32 v[70:71], v[70:71], v[74:75]
	v_pk_add_f32 v[68:69], v[68:69], v[70:71] neg_lo:[0,1] neg_hi:[0,1]
	buffer_store_dword v69, off, s[0:3], 0 offset:148
	buffer_store_dword v68, off, s[0:3], 0 offset:144
	s_and_saveexec_b64 s[4:5], vcc
	s_cbranch_execz .LBB32_177
; %bb.176:
	buffer_load_dword v68, off, s[0:3], 0 offset:136
	buffer_load_dword v69, off, s[0:3], 0 offset:140
	v_mov_b32_e32 v70, 0
	buffer_store_dword v70, off, s[0:3], 0 offset:136
	buffer_store_dword v70, off, s[0:3], 0 offset:140
	s_waitcnt vmcnt(2)
	ds_write_b64 v1, v[68:69]
.LBB32_177:
	s_or_b64 exec, exec, s[4:5]
	v_mov_b32_e32 v70, 0
	s_waitcnt lgkmcnt(0)
	; wave barrier
	s_waitcnt lgkmcnt(0)
	ds_read_b128 v[72:75], v70 offset:416
	ds_read_b128 v[76:79], v70 offset:432
	;; [unrolled: 1-line block ×4, first 2 shown]
	buffer_load_dword v68, off, s[0:3], 0 offset:136
	buffer_load_dword v69, off, s[0:3], 0 offset:140
	;; [unrolled: 1-line block ×32, first 2 shown]
	v_cmp_lt_u32_e32 vcc, 16, v0
	s_waitcnt vmcnt(28) lgkmcnt(3)
	v_mul_f32_e32 v89, v72, v88
	v_fmac_f32_e32 v89, v73, v71
	v_mul_f32_e32 v73, v73, v88
	s_waitcnt vmcnt(26)
	v_mul_f32_e32 v91, v74, v92
	v_fma_f32 v71, v72, v71, -v73
	v_mul_f32_e32 v72, v75, v92
	v_add_f32_e32 v89, 0, v89
	v_fmac_f32_e32 v91, v75, v90
	v_add_f32_e32 v71, 0, v71
	v_fma_f32 v72, v74, v90, -v72
	v_add_f32_e32 v89, v89, v91
	s_waitcnt vmcnt(24) lgkmcnt(2)
	v_mul_f32_e32 v91, v76, v111
	v_add_f32_e32 v71, v71, v72
	v_mul_f32_e32 v72, v77, v111
	v_fmac_f32_e32 v91, v77, v110
	v_fma_f32 v72, v76, v110, -v72
	v_add_f32_e32 v89, v89, v91
	s_waitcnt vmcnt(22)
	v_mul_f32_e32 v91, v78, v113
	v_add_f32_e32 v71, v71, v72
	v_mul_f32_e32 v72, v79, v113
	v_fmac_f32_e32 v91, v79, v112
	v_fma_f32 v72, v78, v112, -v72
	v_add_f32_e32 v89, v89, v91
	s_waitcnt vmcnt(20) lgkmcnt(1)
	v_mul_f32_e32 v91, v80, v115
	v_add_f32_e32 v71, v71, v72
	v_mul_f32_e32 v72, v81, v115
	v_fmac_f32_e32 v91, v81, v114
	v_fma_f32 v72, v80, v114, -v72
	v_add_f32_e32 v89, v89, v91
	s_waitcnt vmcnt(18)
	v_mul_f32_e32 v91, v82, v117
	v_add_f32_e32 v88, v71, v72
	v_mul_f32_e32 v71, v83, v117
	v_fmac_f32_e32 v91, v83, v116
	v_fma_f32 v90, v82, v116, -v71
	s_waitcnt vmcnt(16) lgkmcnt(0)
	v_mul_f32_e32 v93, v84, v119
	v_mul_f32_e32 v71, v85, v119
	v_pk_add_f32 v[88:89], v[88:89], v[90:91]
	s_waitcnt vmcnt(15)
	v_mov_b32_e32 v90, v95
	v_fmac_f32_e32 v93, v85, v118
	v_fma_f32 v92, v84, v118, -v71
	v_pk_mul_f32 v[90:91], v[86:87], v[90:91] op_sel_hi:[1,0]
	v_pk_add_f32 v[88:89], v[88:89], v[92:93]
	s_waitcnt vmcnt(14)
	v_pk_fma_f32 v[92:93], v[86:87], v[94:95], v[90:91] op_sel:[0,0,1] op_sel_hi:[1,1,0] neg_lo:[0,0,1] neg_hi:[0,0,1]
	v_pk_fma_f32 v[86:87], v[86:87], v[94:95], v[90:91] op_sel:[0,0,1] op_sel_hi:[1,0,0]
	ds_read_b128 v[72:75], v70 offset:480
	ds_read_b128 v[76:79], v70 offset:496
	;; [unrolled: 1-line block ×3, first 2 shown]
	ds_read_b64 v[84:85], v70 offset:528
	v_mov_b32_e32 v93, v87
	v_pk_add_f32 v[86:87], v[88:89], v[92:93]
	s_waitcnt vmcnt(13)
	v_mov_b32_e32 v88, v97
	s_waitcnt lgkmcnt(3)
	v_pk_mul_f32 v[88:89], v[72:73], v[88:89] op_sel_hi:[1,0]
	s_waitcnt vmcnt(12)
	v_pk_fma_f32 v[90:91], v[72:73], v[96:97], v[88:89] op_sel:[0,0,1] op_sel_hi:[1,1,0] neg_lo:[0,0,1] neg_hi:[0,0,1]
	v_pk_fma_f32 v[72:73], v[72:73], v[96:97], v[88:89] op_sel:[0,0,1] op_sel_hi:[1,0,0]
	v_mov_b32_e32 v91, v73
	v_pk_add_f32 v[72:73], v[86:87], v[90:91]
	s_waitcnt vmcnt(11)
	v_mov_b32_e32 v86, v99
	v_pk_mul_f32 v[86:87], v[74:75], v[86:87] op_sel_hi:[1,0]
	s_waitcnt vmcnt(10)
	v_pk_fma_f32 v[88:89], v[74:75], v[98:99], v[86:87] op_sel:[0,0,1] op_sel_hi:[1,1,0] neg_lo:[0,0,1] neg_hi:[0,0,1]
	v_pk_fma_f32 v[74:75], v[74:75], v[98:99], v[86:87] op_sel:[0,0,1] op_sel_hi:[1,0,0]
	s_waitcnt vmcnt(9)
	v_mov_b32_e32 v74, v101
	v_mov_b32_e32 v89, v75
	s_waitcnt lgkmcnt(2)
	v_pk_mul_f32 v[74:75], v[76:77], v[74:75] op_sel_hi:[1,0]
	s_waitcnt vmcnt(8)
	v_pk_fma_f32 v[86:87], v[76:77], v[100:101], v[74:75] op_sel:[0,0,1] op_sel_hi:[1,1,0] neg_lo:[0,0,1] neg_hi:[0,0,1]
	v_pk_fma_f32 v[74:75], v[76:77], v[100:101], v[74:75] op_sel:[0,0,1] op_sel_hi:[1,0,0]
	s_waitcnt vmcnt(7)
	v_mov_b32_e32 v74, v103
	v_mov_b32_e32 v87, v75
	v_pk_mul_f32 v[74:75], v[78:79], v[74:75] op_sel_hi:[1,0]
	s_waitcnt vmcnt(6)
	v_pk_fma_f32 v[76:77], v[78:79], v[102:103], v[74:75] op_sel:[0,0,1] op_sel_hi:[1,1,0] neg_lo:[0,0,1] neg_hi:[0,0,1]
	v_pk_fma_f32 v[74:75], v[78:79], v[102:103], v[74:75] op_sel:[0,0,1] op_sel_hi:[1,0,0]
	v_pk_add_f32 v[72:73], v[72:73], v[88:89]
	s_waitcnt vmcnt(5)
	v_mov_b32_e32 v74, v105
	v_pk_add_f32 v[72:73], v[72:73], v[86:87]
	v_mov_b32_e32 v77, v75
	s_waitcnt lgkmcnt(1)
	v_pk_mul_f32 v[74:75], v[80:81], v[74:75] op_sel_hi:[1,0]
	v_pk_add_f32 v[72:73], v[72:73], v[76:77]
	s_waitcnt vmcnt(4)
	v_pk_fma_f32 v[76:77], v[80:81], v[104:105], v[74:75] op_sel:[0,0,1] op_sel_hi:[1,1,0] neg_lo:[0,0,1] neg_hi:[0,0,1]
	v_pk_fma_f32 v[74:75], v[80:81], v[104:105], v[74:75] op_sel:[0,0,1] op_sel_hi:[1,0,0]
	s_waitcnt vmcnt(3)
	v_mov_b32_e32 v74, v107
	v_mov_b32_e32 v77, v75
	v_pk_mul_f32 v[74:75], v[82:83], v[74:75] op_sel_hi:[1,0]
	v_pk_add_f32 v[72:73], v[72:73], v[76:77]
	s_waitcnt vmcnt(2)
	v_pk_fma_f32 v[76:77], v[82:83], v[106:107], v[74:75] op_sel:[0,0,1] op_sel_hi:[1,1,0] neg_lo:[0,0,1] neg_hi:[0,0,1]
	v_pk_fma_f32 v[74:75], v[82:83], v[106:107], v[74:75] op_sel:[0,0,1] op_sel_hi:[1,0,0]
	s_waitcnt vmcnt(1)
	v_mov_b32_e32 v74, v109
	v_mov_b32_e32 v77, v75
	s_waitcnt lgkmcnt(0)
	v_pk_mul_f32 v[74:75], v[84:85], v[74:75] op_sel_hi:[1,0]
	v_pk_add_f32 v[72:73], v[72:73], v[76:77]
	s_waitcnt vmcnt(0)
	v_pk_fma_f32 v[76:77], v[84:85], v[108:109], v[74:75] op_sel:[0,0,1] op_sel_hi:[1,1,0] neg_lo:[0,0,1] neg_hi:[0,0,1]
	v_pk_fma_f32 v[74:75], v[84:85], v[108:109], v[74:75] op_sel:[0,0,1] op_sel_hi:[1,0,0]
	v_mov_b32_e32 v77, v75
	v_pk_add_f32 v[72:73], v[72:73], v[76:77]
	v_pk_add_f32 v[68:69], v[68:69], v[72:73] neg_lo:[0,1] neg_hi:[0,1]
	buffer_store_dword v69, off, s[0:3], 0 offset:140
	buffer_store_dword v68, off, s[0:3], 0 offset:136
	s_and_saveexec_b64 s[4:5], vcc
	s_cbranch_execz .LBB32_179
; %bb.178:
	buffer_load_dword v68, off, s[0:3], 0 offset:128
	buffer_load_dword v69, off, s[0:3], 0 offset:132
	s_waitcnt vmcnt(0)
	ds_write_b64 v1, v[68:69]
	buffer_store_dword v70, off, s[0:3], 0 offset:128
	buffer_store_dword v70, off, s[0:3], 0 offset:132
.LBB32_179:
	s_or_b64 exec, exec, s[4:5]
	s_waitcnt lgkmcnt(0)
	; wave barrier
	s_waitcnt lgkmcnt(0)
	ds_read2_b64 v[72:75], v70 offset0:51 offset1:52
	buffer_load_dword v68, off, s[0:3], 0 offset:128
	buffer_load_dword v69, off, s[0:3], 0 offset:132
	;; [unrolled: 1-line block ×16, first 2 shown]
	v_cmp_lt_u32_e32 vcc, 15, v0
	s_waitcnt vmcnt(12) lgkmcnt(0)
	v_mul_f32_e32 v76, v72, v92
	v_fmac_f32_e32 v76, v73, v71
	s_waitcnt vmcnt(10)
	v_mul_f32_e32 v77, v74, v96
	v_add_f32_e32 v76, 0, v76
	v_fmac_f32_e32 v77, v75, v94
	v_add_f32_e32 v80, v76, v77
	ds_read2_b64 v[76:79], v70 offset0:53 offset1:54
	v_mul_f32_e32 v73, v73, v92
	v_fma_f32 v71, v72, v71, -v73
	v_mul_f32_e32 v72, v75, v96
	v_add_f32_e32 v71, 0, v71
	s_waitcnt vmcnt(8) lgkmcnt(0)
	v_mul_f32_e32 v81, v76, v115
	v_fmac_f32_e32 v81, v77, v114
	v_add_f32_e32 v80, v80, v81
	s_waitcnt vmcnt(6)
	v_mul_f32_e32 v81, v78, v117
	v_fmac_f32_e32 v81, v79, v116
	v_add_f32_e32 v84, v80, v81
	ds_read2_b64 v[80:83], v70 offset0:55 offset1:56
	v_fma_f32 v72, v74, v94, -v72
	v_add_f32_e32 v71, v71, v72
	v_mul_f32_e32 v72, v77, v115
	v_fma_f32 v72, v76, v114, -v72
	s_waitcnt vmcnt(4) lgkmcnt(0)
	v_mul_f32_e32 v85, v80, v119
	v_fmac_f32_e32 v85, v81, v118
	v_add_f32_e32 v84, v84, v85
	s_waitcnt vmcnt(2)
	v_mul_f32_e32 v85, v82, v121
	v_fmac_f32_e32 v85, v83, v120
	v_add_f32_e32 v93, v84, v85
	ds_read2_b64 v[84:87], v70 offset0:57 offset1:58
	buffer_load_dword v124, off, s[0:3], 0 offset:192
	buffer_load_dword v125, off, s[0:3], 0 offset:196
	;; [unrolled: 1-line block ×4, first 2 shown]
	ds_read2_b64 v[88:91], v70 offset0:59 offset1:60
	buffer_load_dword v101, off, s[0:3], 0 offset:212
	buffer_load_dword v100, off, s[0:3], 0 offset:208
	;; [unrolled: 1-line block ×14, first 2 shown]
	v_add_f32_e32 v71, v71, v72
	v_mul_f32_e32 v72, v79, v117
	v_fma_f32 v72, v78, v116, -v72
	v_add_f32_e32 v71, v71, v72
	v_mul_f32_e32 v72, v81, v119
	v_fma_f32 v72, v80, v118, -v72
	v_add_f32_e32 v71, v71, v72
	v_mul_f32_e32 v72, v83, v121
	v_fma_f32 v72, v82, v120, -v72
	v_add_f32_e32 v92, v71, v72
	s_waitcnt vmcnt(18) lgkmcnt(1)
	v_mul_f32_e32 v71, v85, v123
	v_mul_f32_e32 v95, v84, v123
	v_fma_f32 v94, v84, v122, -v71
	v_fmac_f32_e32 v95, v85, v122
	ds_read2_b64 v[72:75], v70 offset0:61 offset1:62
	ds_read2_b64 v[76:79], v70 offset0:63 offset1:64
	;; [unrolled: 1-line block ×3, first 2 shown]
	s_waitcnt vmcnt(15)
	v_mov_b32_e32 v84, v99
	v_mul_f32_e32 v97, v86, v125
	v_mul_f32_e32 v71, v87, v125
	s_waitcnt lgkmcnt(3)
	v_pk_mul_f32 v[84:85], v[88:89], v[84:85] op_sel_hi:[1,0]
	v_fmac_f32_e32 v97, v87, v124
	v_fma_f32 v96, v86, v124, -v71
	s_waitcnt vmcnt(14)
	v_pk_fma_f32 v[86:87], v[88:89], v[98:99], v[84:85] op_sel:[0,0,1] op_sel_hi:[1,1,0] neg_lo:[0,0,1] neg_hi:[0,0,1]
	v_pk_fma_f32 v[84:85], v[88:89], v[98:99], v[84:85] op_sel:[0,0,1] op_sel_hi:[1,0,0]
	v_pk_add_f32 v[70:71], v[92:93], v[94:95]
	s_waitcnt vmcnt(13)
	v_mov_b32_e32 v84, v101
	v_pk_add_f32 v[70:71], v[70:71], v[96:97]
	v_mov_b32_e32 v87, v85
	v_pk_mul_f32 v[84:85], v[90:91], v[84:85] op_sel_hi:[1,0]
	v_pk_add_f32 v[70:71], v[70:71], v[86:87]
	s_waitcnt vmcnt(12)
	v_pk_fma_f32 v[86:87], v[90:91], v[100:101], v[84:85] op_sel:[0,0,1] op_sel_hi:[1,1,0] neg_lo:[0,0,1] neg_hi:[0,0,1]
	v_pk_fma_f32 v[84:85], v[90:91], v[100:101], v[84:85] op_sel:[0,0,1] op_sel_hi:[1,0,0]
	s_waitcnt vmcnt(11)
	v_mov_b32_e32 v84, v103
	v_mov_b32_e32 v87, v85
	s_waitcnt lgkmcnt(2)
	v_pk_mul_f32 v[84:85], v[72:73], v[84:85] op_sel_hi:[1,0]
	v_pk_add_f32 v[70:71], v[70:71], v[86:87]
	s_waitcnt vmcnt(10)
	v_pk_fma_f32 v[86:87], v[72:73], v[102:103], v[84:85] op_sel:[0,0,1] op_sel_hi:[1,1,0] neg_lo:[0,0,1] neg_hi:[0,0,1]
	v_pk_fma_f32 v[72:73], v[72:73], v[102:103], v[84:85] op_sel:[0,0,1] op_sel_hi:[1,0,0]
	s_waitcnt vmcnt(9)
	v_mov_b32_e32 v72, v105
	v_mov_b32_e32 v87, v73
	v_pk_mul_f32 v[72:73], v[74:75], v[72:73] op_sel_hi:[1,0]
	s_waitcnt vmcnt(8)
	v_pk_fma_f32 v[84:85], v[74:75], v[104:105], v[72:73] op_sel:[0,0,1] op_sel_hi:[1,1,0] neg_lo:[0,0,1] neg_hi:[0,0,1]
	v_pk_fma_f32 v[72:73], v[74:75], v[104:105], v[72:73] op_sel:[0,0,1] op_sel_hi:[1,0,0]
	s_waitcnt vmcnt(7)
	v_mov_b32_e32 v72, v107
	v_mov_b32_e32 v85, v73
	s_waitcnt lgkmcnt(1)
	v_pk_mul_f32 v[72:73], v[76:77], v[72:73] op_sel_hi:[1,0]
	s_waitcnt vmcnt(6)
	v_pk_fma_f32 v[74:75], v[76:77], v[106:107], v[72:73] op_sel:[0,0,1] op_sel_hi:[1,1,0] neg_lo:[0,0,1] neg_hi:[0,0,1]
	v_pk_fma_f32 v[72:73], v[76:77], v[106:107], v[72:73] op_sel:[0,0,1] op_sel_hi:[1,0,0]
	v_pk_add_f32 v[70:71], v[70:71], v[86:87]
	s_waitcnt vmcnt(5)
	v_mov_b32_e32 v72, v109
	v_pk_add_f32 v[70:71], v[70:71], v[84:85]
	v_mov_b32_e32 v75, v73
	v_pk_mul_f32 v[72:73], v[78:79], v[72:73] op_sel_hi:[1,0]
	v_pk_add_f32 v[70:71], v[70:71], v[74:75]
	s_waitcnt vmcnt(4)
	v_pk_fma_f32 v[74:75], v[78:79], v[108:109], v[72:73] op_sel:[0,0,1] op_sel_hi:[1,1,0] neg_lo:[0,0,1] neg_hi:[0,0,1]
	v_pk_fma_f32 v[72:73], v[78:79], v[108:109], v[72:73] op_sel:[0,0,1] op_sel_hi:[1,0,0]
	s_waitcnt vmcnt(3)
	v_mov_b32_e32 v72, v111
	v_mov_b32_e32 v75, v73
	s_waitcnt lgkmcnt(0)
	v_pk_mul_f32 v[72:73], v[80:81], v[72:73] op_sel_hi:[1,0]
	v_pk_add_f32 v[70:71], v[70:71], v[74:75]
	s_waitcnt vmcnt(2)
	v_pk_fma_f32 v[74:75], v[80:81], v[110:111], v[72:73] op_sel:[0,0,1] op_sel_hi:[1,1,0] neg_lo:[0,0,1] neg_hi:[0,0,1]
	v_pk_fma_f32 v[72:73], v[80:81], v[110:111], v[72:73] op_sel:[0,0,1] op_sel_hi:[1,0,0]
	s_waitcnt vmcnt(1)
	v_mov_b32_e32 v72, v113
	v_mov_b32_e32 v75, v73
	v_pk_mul_f32 v[72:73], v[82:83], v[72:73] op_sel_hi:[1,0]
	v_pk_add_f32 v[70:71], v[70:71], v[74:75]
	s_waitcnt vmcnt(0)
	v_pk_fma_f32 v[74:75], v[82:83], v[112:113], v[72:73] op_sel:[0,0,1] op_sel_hi:[1,1,0] neg_lo:[0,0,1] neg_hi:[0,0,1]
	v_pk_fma_f32 v[72:73], v[82:83], v[112:113], v[72:73] op_sel:[0,0,1] op_sel_hi:[1,0,0]
	v_mov_b32_e32 v75, v73
	v_pk_add_f32 v[70:71], v[70:71], v[74:75]
	v_pk_add_f32 v[68:69], v[68:69], v[70:71] neg_lo:[0,1] neg_hi:[0,1]
	buffer_store_dword v69, off, s[0:3], 0 offset:132
	buffer_store_dword v68, off, s[0:3], 0 offset:128
	s_and_saveexec_b64 s[4:5], vcc
	s_cbranch_execz .LBB32_181
; %bb.180:
	buffer_load_dword v68, off, s[0:3], 0 offset:120
	buffer_load_dword v69, off, s[0:3], 0 offset:124
	v_mov_b32_e32 v70, 0
	buffer_store_dword v70, off, s[0:3], 0 offset:120
	buffer_store_dword v70, off, s[0:3], 0 offset:124
	s_waitcnt vmcnt(2)
	ds_write_b64 v1, v[68:69]
.LBB32_181:
	s_or_b64 exec, exec, s[4:5]
	s_waitcnt lgkmcnt(0)
	; wave barrier
	s_waitcnt lgkmcnt(0)
	buffer_load_dword v69, off, s[0:3], 0 offset:132
	buffer_load_dword v112, off, s[0:3], 0 offset:140
	;; [unrolled: 1-line block ×36, first 2 shown]
	v_mov_b32_e32 v68, 0
	ds_read_b128 v[70:73], v68 offset:400
	ds_read_b128 v[74:77], v68 offset:416
	;; [unrolled: 1-line block ×6, first 2 shown]
	v_cmp_lt_u32_e32 vcc, 14, v0
	s_waitcnt vmcnt(35) lgkmcnt(5)
	v_mul_f32_e32 v131, v70, v69
	s_waitcnt vmcnt(34)
	v_mul_f32_e32 v132, v72, v112
	s_waitcnt vmcnt(33) lgkmcnt(4)
	v_mul_f32_e32 v133, v74, v114
	v_mul_f32_e32 v69, v71, v69
	;; [unrolled: 1-line block ×4, first 2 shown]
	s_waitcnt vmcnt(32)
	v_mul_f32_e32 v134, v76, v116
	s_waitcnt vmcnt(31) lgkmcnt(3)
	v_mul_f32_e32 v135, v78, v117
	v_mul_f32_e32 v116, v77, v116
	s_waitcnt vmcnt(26)
	v_fmac_f32_e32 v131, v71, v122
	s_waitcnt vmcnt(25)
	v_fmac_f32_e32 v132, v73, v123
	s_waitcnt vmcnt(24)
	v_fmac_f32_e32 v133, v75, v124
	v_fma_f32 v69, v70, v122, -v69
	v_add_f32_e32 v75, 0, v131
	v_fma_f32 v70, v72, v123, -v112
	v_add_f32_e32 v69, 0, v69
	v_add_f32_e32 v75, v75, v132
	s_waitcnt vmcnt(23)
	v_fmac_f32_e32 v134, v77, v125
	v_fma_f32 v71, v74, v124, -v114
	v_add_f32_e32 v69, v69, v70
	v_add_f32_e32 v70, v75, v133
	v_mul_f32_e32 v136, v80, v118
	v_mul_f32_e32 v117, v79, v117
	s_waitcnt vmcnt(22)
	v_fmac_f32_e32 v135, v79, v126
	v_fma_f32 v72, v76, v125, -v116
	v_add_f32_e32 v69, v69, v71
	v_add_f32_e32 v70, v70, v134
	s_waitcnt lgkmcnt(2)
	v_mul_f32_e32 v137, v82, v119
	v_mul_f32_e32 v118, v81, v118
	s_waitcnt vmcnt(21)
	v_fmac_f32_e32 v136, v81, v127
	v_fma_f32 v73, v78, v126, -v117
	v_add_f32_e32 v69, v69, v72
	v_add_f32_e32 v70, v70, v135
	v_mul_f32_e32 v119, v83, v119
	s_waitcnt vmcnt(20)
	v_fmac_f32_e32 v137, v83, v128
	v_fma_f32 v74, v80, v127, -v118
	v_add_f32_e32 v69, v69, v73
	v_add_f32_e32 v70, v70, v136
	v_add_f32_e32 v69, v69, v74
	v_add_f32_e32 v79, v70, v137
	v_fma_f32 v70, v82, v128, -v119
	s_waitcnt vmcnt(17)
	v_mov_b32_e32 v82, v95
	v_mul_f32_e32 v113, v84, v120
	v_add_f32_e32 v78, v69, v70
	v_mul_f32_e32 v69, v85, v120
	s_waitcnt lgkmcnt(1)
	v_pk_mul_f32 v[82:83], v[88:89], v[82:83] op_sel_hi:[1,0]
	v_mul_f32_e32 v115, v86, v121
	v_fmac_f32_e32 v113, v85, v129
	v_fma_f32 v112, v84, v129, -v69
	v_mul_f32_e32 v69, v87, v121
	s_waitcnt vmcnt(15)
	v_pk_fma_f32 v[84:85], v[88:89], v[94:95], v[82:83] op_sel:[0,0,1] op_sel_hi:[1,1,0] neg_lo:[0,0,1] neg_hi:[0,0,1]
	v_pk_fma_f32 v[82:83], v[88:89], v[94:95], v[82:83] op_sel:[0,0,1] op_sel_hi:[1,0,0]
	v_fmac_f32_e32 v115, v87, v130
	v_fma_f32 v114, v86, v130, -v69
	v_pk_add_f32 v[78:79], v[78:79], v[112:113]
	s_waitcnt vmcnt(12)
	v_mov_b32_e32 v82, v97
	v_pk_add_f32 v[78:79], v[78:79], v[114:115]
	v_mov_b32_e32 v85, v83
	s_waitcnt lgkmcnt(0)
	v_pk_mul_f32 v[82:83], v[90:91], v[82:83] op_sel_hi:[1,0]
	v_pk_add_f32 v[78:79], v[78:79], v[84:85]
	v_pk_fma_f32 v[84:85], v[90:91], v[96:97], v[82:83] op_sel:[0,0,1] op_sel_hi:[1,1,0] neg_lo:[0,0,1] neg_hi:[0,0,1]
	v_pk_fma_f32 v[82:83], v[90:91], v[96:97], v[82:83] op_sel:[0,0,1] op_sel_hi:[1,0,0]
	s_waitcnt vmcnt(11)
	v_mov_b32_e32 v82, v101
	ds_read_b128 v[70:73], v68 offset:496
	ds_read_b128 v[74:77], v68 offset:512
	ds_read_b64 v[80:81], v68 offset:528
	v_mov_b32_e32 v85, v83
	v_pk_mul_f32 v[82:83], v[92:93], v[82:83] op_sel_hi:[1,0]
	v_pk_add_f32 v[78:79], v[78:79], v[84:85]
	s_waitcnt vmcnt(4)
	v_pk_fma_f32 v[84:85], v[92:93], v[100:101], v[82:83] op_sel:[0,0,1] op_sel_hi:[1,1,0] neg_lo:[0,0,1] neg_hi:[0,0,1]
	v_pk_fma_f32 v[82:83], v[92:93], v[100:101], v[82:83] op_sel:[0,0,1] op_sel_hi:[1,0,0]
	v_mov_b32_e32 v82, v107
	v_mov_b32_e32 v85, v83
	s_waitcnt lgkmcnt(2)
	v_pk_mul_f32 v[82:83], v[70:71], v[82:83] op_sel_hi:[1,0]
	v_pk_add_f32 v[78:79], v[78:79], v[84:85]
	v_pk_fma_f32 v[84:85], v[70:71], v[106:107], v[82:83] op_sel:[0,0,1] op_sel_hi:[1,1,0] neg_lo:[0,0,1] neg_hi:[0,0,1]
	v_pk_fma_f32 v[70:71], v[70:71], v[106:107], v[82:83] op_sel:[0,0,1] op_sel_hi:[1,0,0]
	v_mov_b32_e32 v85, v71
	v_pk_add_f32 v[70:71], v[78:79], v[84:85]
	v_mov_b32_e32 v78, v105
	v_pk_mul_f32 v[78:79], v[72:73], v[78:79] op_sel_hi:[1,0]
	v_pk_fma_f32 v[82:83], v[72:73], v[104:105], v[78:79] op_sel:[0,0,1] op_sel_hi:[1,1,0] neg_lo:[0,0,1] neg_hi:[0,0,1]
	v_pk_fma_f32 v[72:73], v[72:73], v[104:105], v[78:79] op_sel:[0,0,1] op_sel_hi:[1,0,0]
	v_mov_b32_e32 v72, v103
	v_mov_b32_e32 v83, v73
	s_waitcnt lgkmcnt(1)
	v_pk_mul_f32 v[72:73], v[74:75], v[72:73] op_sel_hi:[1,0]
	v_pk_fma_f32 v[78:79], v[74:75], v[102:103], v[72:73] op_sel:[0,0,1] op_sel_hi:[1,1,0] neg_lo:[0,0,1] neg_hi:[0,0,1]
	v_pk_fma_f32 v[72:73], v[74:75], v[102:103], v[72:73] op_sel:[0,0,1] op_sel_hi:[1,0,0]
	s_waitcnt vmcnt(1)
	v_mov_b32_e32 v72, v111
	v_mov_b32_e32 v79, v73
	v_pk_mul_f32 v[72:73], v[76:77], v[72:73] op_sel_hi:[1,0]
	s_waitcnt vmcnt(0)
	v_pk_fma_f32 v[74:75], v[76:77], v[110:111], v[72:73] op_sel:[0,0,1] op_sel_hi:[1,1,0] neg_lo:[0,0,1] neg_hi:[0,0,1]
	v_pk_fma_f32 v[72:73], v[76:77], v[110:111], v[72:73] op_sel:[0,0,1] op_sel_hi:[1,0,0]
	v_pk_add_f32 v[70:71], v[70:71], v[82:83]
	v_mov_b32_e32 v72, v109
	v_pk_add_f32 v[70:71], v[70:71], v[78:79]
	v_mov_b32_e32 v75, v73
	s_waitcnt lgkmcnt(0)
	v_pk_mul_f32 v[72:73], v[80:81], v[72:73] op_sel_hi:[1,0]
	v_pk_add_f32 v[70:71], v[70:71], v[74:75]
	v_pk_fma_f32 v[74:75], v[80:81], v[108:109], v[72:73] op_sel:[0,0,1] op_sel_hi:[1,1,0] neg_lo:[0,0,1] neg_hi:[0,0,1]
	v_pk_fma_f32 v[72:73], v[80:81], v[108:109], v[72:73] op_sel:[0,0,1] op_sel_hi:[1,0,0]
	v_mov_b32_e32 v75, v73
	v_pk_add_f32 v[70:71], v[70:71], v[74:75]
	v_pk_add_f32 v[70:71], v[98:99], v[70:71] neg_lo:[0,1] neg_hi:[0,1]
	buffer_store_dword v71, off, s[0:3], 0 offset:124
	buffer_store_dword v70, off, s[0:3], 0 offset:120
	s_and_saveexec_b64 s[4:5], vcc
	s_cbranch_execz .LBB32_183
; %bb.182:
	buffer_load_dword v70, off, s[0:3], 0 offset:112
	buffer_load_dword v71, off, s[0:3], 0 offset:116
	s_waitcnt vmcnt(0)
	ds_write_b64 v1, v[70:71]
	buffer_store_dword v68, off, s[0:3], 0 offset:112
	buffer_store_dword v68, off, s[0:3], 0 offset:116
.LBB32_183:
	s_or_b64 exec, exec, s[4:5]
	s_waitcnt lgkmcnt(0)
	; wave barrier
	s_waitcnt lgkmcnt(0)
	buffer_load_dword v69, off, s[0:3], 0 offset:124
	buffer_load_dword v112, off, s[0:3], 0 offset:132
	;; [unrolled: 1-line block ×22, first 2 shown]
	ds_read2_b64 v[70:73], v68 offset0:49 offset1:50
	ds_read2_b64 v[74:77], v68 offset0:51 offset1:52
	buffer_load_dword v97, off, s[0:3], 0 offset:204
	buffer_load_dword v96, off, s[0:3], 0 offset:200
	;; [unrolled: 1-line block ×10, first 2 shown]
	ds_read2_b64 v[78:81], v68 offset0:53 offset1:54
	ds_read2_b64 v[82:85], v68 offset0:55 offset1:56
	;; [unrolled: 1-line block ×4, first 2 shown]
	buffer_load_dword v107, off, s[0:3], 0 offset:260
	buffer_load_dword v106, off, s[0:3], 0 offset:256
	;; [unrolled: 1-line block ×6, first 2 shown]
	v_cmp_lt_u32_e32 vcc, 13, v0
	s_waitcnt vmcnt(37) lgkmcnt(5)
	v_mul_f32_e32 v133, v70, v69
	s_waitcnt vmcnt(36)
	v_mul_f32_e32 v134, v72, v112
	s_waitcnt vmcnt(35) lgkmcnt(4)
	v_mul_f32_e32 v135, v74, v114
	v_mul_f32_e32 v69, v71, v69
	;; [unrolled: 1-line block ×4, first 2 shown]
	s_waitcnt vmcnt(34)
	v_mul_f32_e32 v136, v76, v116
	s_waitcnt vmcnt(33) lgkmcnt(3)
	v_mul_f32_e32 v137, v78, v117
	s_waitcnt vmcnt(32)
	v_mul_f32_e32 v138, v80, v118
	s_waitcnt vmcnt(31) lgkmcnt(2)
	v_mul_f32_e32 v139, v82, v119
	s_waitcnt vmcnt(27)
	v_fmac_f32_e32 v133, v71, v123
	s_waitcnt vmcnt(26)
	v_fmac_f32_e32 v134, v73, v124
	v_fma_f32 v69, v70, v123, -v69
	s_waitcnt vmcnt(25)
	v_fma_f32 v71, v74, v125, -v114
	v_add_f32_e32 v74, 0, v133
	v_fmac_f32_e32 v135, v75, v125
	v_fma_f32 v70, v72, v124, -v112
	v_add_f32_e32 v69, 0, v69
	v_add_f32_e32 v74, v74, v134
	s_waitcnt vmcnt(24)
	v_fmac_f32_e32 v136, v77, v126
	v_add_f32_e32 v69, v69, v70
	v_add_f32_e32 v70, v74, v135
	s_waitcnt vmcnt(23)
	v_fmac_f32_e32 v137, v79, v127
	v_add_f32_e32 v70, v70, v136
	v_mul_f32_e32 v116, v77, v116
	s_waitcnt vmcnt(22)
	v_fmac_f32_e32 v138, v81, v128
	v_add_f32_e32 v70, v70, v137
	v_mul_f32_e32 v140, v84, v120
	v_mul_f32_e32 v117, v79, v117
	s_waitcnt vmcnt(21)
	v_fmac_f32_e32 v139, v83, v129
	v_fma_f32 v72, v76, v126, -v116
	v_add_f32_e32 v69, v69, v71
	v_add_f32_e32 v70, v70, v138
	v_mul_f32_e32 v118, v81, v118
	s_waitcnt vmcnt(20)
	v_fmac_f32_e32 v140, v85, v130
	v_fma_f32 v73, v78, v127, -v117
	v_add_f32_e32 v69, v69, v72
	v_add_f32_e32 v70, v70, v139
	;; [unrolled: 1-line block ×4, first 2 shown]
	v_fma_f32 v70, v80, v128, -v118
	v_add_f32_e32 v69, v69, v70
	v_mul_f32_e32 v70, v83, v119
	v_fma_f32 v70, v82, v129, -v70
	v_add_f32_e32 v69, v69, v70
	v_mul_f32_e32 v70, v85, v120
	v_fma_f32 v70, v84, v130, -v70
	s_waitcnt vmcnt(15)
	v_mov_b32_e32 v82, v97
	s_waitcnt lgkmcnt(1)
	v_mul_f32_e32 v113, v86, v121
	v_add_f32_e32 v116, v69, v70
	v_mul_f32_e32 v69, v87, v121
	s_waitcnt lgkmcnt(0)
	v_pk_mul_f32 v[82:83], v[90:91], v[82:83] op_sel_hi:[1,0]
	v_mul_f32_e32 v115, v88, v122
	v_fmac_f32_e32 v113, v87, v131
	v_fma_f32 v112, v86, v131, -v69
	v_mul_f32_e32 v69, v89, v122
	s_waitcnt vmcnt(14)
	v_pk_fma_f32 v[84:85], v[90:91], v[96:97], v[82:83] op_sel:[0,0,1] op_sel_hi:[1,1,0] neg_lo:[0,0,1] neg_hi:[0,0,1]
	v_pk_fma_f32 v[82:83], v[90:91], v[96:97], v[82:83] op_sel:[0,0,1] op_sel_hi:[1,0,0]
	v_fmac_f32_e32 v115, v89, v132
	v_fma_f32 v114, v88, v132, -v69
	ds_read2_b64 v[70:73], v68 offset0:61 offset1:62
	ds_read2_b64 v[74:77], v68 offset0:63 offset1:64
	;; [unrolled: 1-line block ×3, first 2 shown]
	v_pk_add_f32 v[68:69], v[116:117], v[112:113]
	s_waitcnt vmcnt(13)
	v_mov_b32_e32 v82, v99
	v_pk_add_f32 v[68:69], v[68:69], v[114:115]
	v_mov_b32_e32 v85, v83
	v_pk_mul_f32 v[82:83], v[92:93], v[82:83] op_sel_hi:[1,0]
	v_pk_add_f32 v[68:69], v[68:69], v[84:85]
	s_waitcnt vmcnt(6)
	v_pk_fma_f32 v[84:85], v[92:93], v[98:99], v[82:83] op_sel:[0,0,1] op_sel_hi:[1,1,0] neg_lo:[0,0,1] neg_hi:[0,0,1]
	v_pk_fma_f32 v[82:83], v[92:93], v[98:99], v[82:83] op_sel:[0,0,1] op_sel_hi:[1,0,0]
	v_mov_b32_e32 v82, v105
	v_mov_b32_e32 v85, v83
	s_waitcnt lgkmcnt(2)
	v_pk_mul_f32 v[82:83], v[70:71], v[82:83] op_sel_hi:[1,0]
	v_pk_add_f32 v[68:69], v[68:69], v[84:85]
	v_pk_fma_f32 v[84:85], v[70:71], v[104:105], v[82:83] op_sel:[0,0,1] op_sel_hi:[1,1,0] neg_lo:[0,0,1] neg_hi:[0,0,1]
	v_pk_fma_f32 v[70:71], v[70:71], v[104:105], v[82:83] op_sel:[0,0,1] op_sel_hi:[1,0,0]
	v_mov_b32_e32 v70, v103
	v_mov_b32_e32 v85, v71
	v_pk_mul_f32 v[70:71], v[72:73], v[70:71] op_sel_hi:[1,0]
	v_pk_fma_f32 v[82:83], v[72:73], v[102:103], v[70:71] op_sel:[0,0,1] op_sel_hi:[1,1,0] neg_lo:[0,0,1] neg_hi:[0,0,1]
	v_pk_fma_f32 v[70:71], v[72:73], v[102:103], v[70:71] op_sel:[0,0,1] op_sel_hi:[1,0,0]
	v_mov_b32_e32 v70, v101
	v_mov_b32_e32 v83, v71
	s_waitcnt lgkmcnt(1)
	v_pk_mul_f32 v[70:71], v[74:75], v[70:71] op_sel_hi:[1,0]
	v_pk_fma_f32 v[72:73], v[74:75], v[100:101], v[70:71] op_sel:[0,0,1] op_sel_hi:[1,1,0] neg_lo:[0,0,1] neg_hi:[0,0,1]
	v_pk_fma_f32 v[70:71], v[74:75], v[100:101], v[70:71] op_sel:[0,0,1] op_sel_hi:[1,0,0]
	v_pk_add_f32 v[68:69], v[68:69], v[84:85]
	s_waitcnt vmcnt(1)
	v_mov_b32_e32 v70, v111
	v_pk_add_f32 v[68:69], v[68:69], v[82:83]
	v_mov_b32_e32 v73, v71
	v_pk_mul_f32 v[70:71], v[76:77], v[70:71] op_sel_hi:[1,0]
	v_pk_add_f32 v[68:69], v[68:69], v[72:73]
	s_waitcnt vmcnt(0)
	v_pk_fma_f32 v[72:73], v[76:77], v[110:111], v[70:71] op_sel:[0,0,1] op_sel_hi:[1,1,0] neg_lo:[0,0,1] neg_hi:[0,0,1]
	v_pk_fma_f32 v[70:71], v[76:77], v[110:111], v[70:71] op_sel:[0,0,1] op_sel_hi:[1,0,0]
	v_mov_b32_e32 v70, v109
	v_mov_b32_e32 v73, v71
	s_waitcnt lgkmcnt(0)
	v_pk_mul_f32 v[70:71], v[78:79], v[70:71] op_sel_hi:[1,0]
	v_pk_add_f32 v[68:69], v[68:69], v[72:73]
	v_pk_fma_f32 v[72:73], v[78:79], v[108:109], v[70:71] op_sel:[0,0,1] op_sel_hi:[1,1,0] neg_lo:[0,0,1] neg_hi:[0,0,1]
	v_pk_fma_f32 v[70:71], v[78:79], v[108:109], v[70:71] op_sel:[0,0,1] op_sel_hi:[1,0,0]
	v_mov_b32_e32 v70, v107
	v_mov_b32_e32 v73, v71
	v_pk_mul_f32 v[70:71], v[80:81], v[70:71] op_sel_hi:[1,0]
	v_pk_add_f32 v[68:69], v[68:69], v[72:73]
	v_pk_fma_f32 v[72:73], v[80:81], v[106:107], v[70:71] op_sel:[0,0,1] op_sel_hi:[1,1,0] neg_lo:[0,0,1] neg_hi:[0,0,1]
	v_pk_fma_f32 v[70:71], v[80:81], v[106:107], v[70:71] op_sel:[0,0,1] op_sel_hi:[1,0,0]
	v_mov_b32_e32 v73, v71
	v_pk_add_f32 v[68:69], v[68:69], v[72:73]
	v_pk_add_f32 v[68:69], v[94:95], v[68:69] neg_lo:[0,1] neg_hi:[0,1]
	buffer_store_dword v69, off, s[0:3], 0 offset:116
	buffer_store_dword v68, off, s[0:3], 0 offset:112
	s_and_saveexec_b64 s[4:5], vcc
	s_cbranch_execz .LBB32_185
; %bb.184:
	buffer_load_dword v68, off, s[0:3], 0 offset:104
	buffer_load_dword v69, off, s[0:3], 0 offset:108
	v_mov_b32_e32 v70, 0
	buffer_store_dword v70, off, s[0:3], 0 offset:104
	buffer_store_dword v70, off, s[0:3], 0 offset:108
	s_waitcnt vmcnt(2)
	ds_write_b64 v1, v[68:69]
.LBB32_185:
	s_or_b64 exec, exec, s[4:5]
	s_waitcnt lgkmcnt(0)
	; wave barrier
	s_waitcnt lgkmcnt(0)
	buffer_load_dword v69, off, s[0:3], 0 offset:116
	buffer_load_dword v112, off, s[0:3], 0 offset:124
	;; [unrolled: 1-line block ×40, first 2 shown]
	v_mov_b32_e32 v68, 0
	ds_read_b128 v[70:73], v68 offset:384
	ds_read_b128 v[74:77], v68 offset:400
	;; [unrolled: 1-line block ×6, first 2 shown]
	v_cmp_lt_u32_e32 vcc, 12, v0
	s_waitcnt vmcnt(39) lgkmcnt(5)
	v_mul_f32_e32 v135, v70, v69
	s_waitcnt vmcnt(38)
	v_mul_f32_e32 v136, v72, v112
	v_mul_f32_e32 v69, v71, v69
	s_waitcnt vmcnt(37) lgkmcnt(4)
	v_mul_f32_e32 v137, v74, v114
	v_mul_f32_e32 v112, v73, v112
	s_waitcnt vmcnt(36)
	v_mul_f32_e32 v138, v76, v116
	s_waitcnt vmcnt(35) lgkmcnt(3)
	v_mul_f32_e32 v139, v78, v118
	s_waitcnt vmcnt(34)
	v_mul_f32_e32 v140, v80, v119
	s_waitcnt vmcnt(33) lgkmcnt(2)
	;; [unrolled: 4-line block ×3, first 2 shown]
	v_mul_f32_e32 v143, v86, v122
	s_waitcnt vmcnt(28)
	v_fmac_f32_e32 v135, v71, v117
	s_waitcnt vmcnt(27)
	v_fmac_f32_e32 v136, v73, v125
	v_fma_f32 v69, v70, v117, -v69
	v_add_f32_e32 v73, 0, v135
	s_waitcnt vmcnt(26)
	v_fmac_f32_e32 v137, v75, v126
	v_fma_f32 v70, v72, v125, -v112
	v_add_f32_e32 v69, 0, v69
	v_add_f32_e32 v73, v73, v136
	s_waitcnt vmcnt(25)
	v_fmac_f32_e32 v138, v77, v127
	v_add_f32_e32 v69, v69, v70
	v_add_f32_e32 v70, v73, v137
	s_waitcnt vmcnt(24)
	v_fmac_f32_e32 v139, v79, v128
	v_add_f32_e32 v70, v70, v138
	s_waitcnt vmcnt(23)
	v_fmac_f32_e32 v140, v81, v129
	;; [unrolled: 3-line block ×3, first 2 shown]
	v_add_f32_e32 v70, v70, v140
	v_mul_f32_e32 v114, v75, v114
	s_waitcnt vmcnt(21)
	v_fmac_f32_e32 v142, v85, v131
	v_add_f32_e32 v70, v70, v141
	v_mul_f32_e32 v116, v77, v116
	s_waitcnt vmcnt(20)
	v_fmac_f32_e32 v143, v87, v132
	v_fma_f32 v71, v74, v126, -v114
	v_add_f32_e32 v70, v70, v142
	v_fma_f32 v72, v76, v127, -v116
	v_add_f32_e32 v69, v69, v71
	v_add_f32_e32 v117, v70, v143
	v_mul_f32_e32 v70, v79, v118
	v_add_f32_e32 v69, v69, v72
	v_fma_f32 v70, v78, v128, -v70
	v_add_f32_e32 v69, v69, v70
	v_mul_f32_e32 v70, v81, v119
	v_fma_f32 v70, v80, v129, -v70
	v_add_f32_e32 v69, v69, v70
	v_mul_f32_e32 v70, v83, v120
	;; [unrolled: 3-line block ×4, first 2 shown]
	v_fma_f32 v70, v86, v132, -v70
	s_waitcnt vmcnt(9)
	v_mov_b32_e32 v86, v103
	v_mul_f32_e32 v113, v88, v123
	v_add_f32_e32 v116, v69, v70
	v_mul_f32_e32 v69, v89, v123
	s_waitcnt lgkmcnt(0)
	v_pk_mul_f32 v[86:87], v[92:93], v[86:87] op_sel_hi:[1,0]
	v_mul_f32_e32 v115, v90, v124
	v_fmac_f32_e32 v113, v89, v133
	v_fma_f32 v112, v88, v133, -v69
	v_mul_f32_e32 v69, v91, v124
	ds_read_b128 v[70:73], v68 offset:480
	ds_read_b128 v[74:77], v68 offset:496
	;; [unrolled: 1-line block ×3, first 2 shown]
	ds_read_b64 v[82:83], v68 offset:528
	s_waitcnt vmcnt(8)
	v_pk_fma_f32 v[88:89], v[92:93], v[102:103], v[86:87] op_sel:[0,0,1] op_sel_hi:[1,1,0] neg_lo:[0,0,1] neg_hi:[0,0,1]
	v_pk_fma_f32 v[86:87], v[92:93], v[102:103], v[86:87] op_sel:[0,0,1] op_sel_hi:[1,0,0]
	v_fmac_f32_e32 v115, v91, v134
	v_fma_f32 v114, v90, v134, -v69
	v_pk_add_f32 v[84:85], v[116:117], v[112:113]
	v_mov_b32_e32 v86, v101
	v_pk_add_f32 v[84:85], v[84:85], v[114:115]
	v_mov_b32_e32 v89, v87
	s_waitcnt lgkmcnt(3)
	v_pk_mul_f32 v[86:87], v[70:71], v[86:87] op_sel_hi:[1,0]
	v_pk_add_f32 v[84:85], v[84:85], v[88:89]
	v_pk_fma_f32 v[88:89], v[70:71], v[100:101], v[86:87] op_sel:[0,0,1] op_sel_hi:[1,1,0] neg_lo:[0,0,1] neg_hi:[0,0,1]
	v_pk_fma_f32 v[70:71], v[70:71], v[100:101], v[86:87] op_sel:[0,0,1] op_sel_hi:[1,0,0]
	v_mov_b32_e32 v89, v71
	v_pk_add_f32 v[70:71], v[84:85], v[88:89]
	v_mov_b32_e32 v84, v99
	v_pk_mul_f32 v[84:85], v[72:73], v[84:85] op_sel_hi:[1,0]
	v_pk_fma_f32 v[86:87], v[72:73], v[98:99], v[84:85] op_sel:[0,0,1] op_sel_hi:[1,1,0] neg_lo:[0,0,1] neg_hi:[0,0,1]
	v_pk_fma_f32 v[72:73], v[72:73], v[98:99], v[84:85] op_sel:[0,0,1] op_sel_hi:[1,0,0]
	v_mov_b32_e32 v72, v97
	v_mov_b32_e32 v87, v73
	s_waitcnt lgkmcnt(2)
	v_pk_mul_f32 v[72:73], v[74:75], v[72:73] op_sel_hi:[1,0]
	v_pk_fma_f32 v[84:85], v[74:75], v[96:97], v[72:73] op_sel:[0,0,1] op_sel_hi:[1,1,0] neg_lo:[0,0,1] neg_hi:[0,0,1]
	v_pk_fma_f32 v[72:73], v[74:75], v[96:97], v[72:73] op_sel:[0,0,1] op_sel_hi:[1,0,0]
	s_waitcnt vmcnt(1)
	v_mov_b32_e32 v72, v111
	v_mov_b32_e32 v85, v73
	v_pk_mul_f32 v[72:73], v[76:77], v[72:73] op_sel_hi:[1,0]
	s_waitcnt vmcnt(0)
	v_pk_fma_f32 v[74:75], v[76:77], v[110:111], v[72:73] op_sel:[0,0,1] op_sel_hi:[1,1,0] neg_lo:[0,0,1] neg_hi:[0,0,1]
	v_pk_fma_f32 v[72:73], v[76:77], v[110:111], v[72:73] op_sel:[0,0,1] op_sel_hi:[1,0,0]
	v_pk_add_f32 v[70:71], v[70:71], v[86:87]
	v_mov_b32_e32 v72, v109
	v_pk_add_f32 v[70:71], v[70:71], v[84:85]
	v_mov_b32_e32 v75, v73
	s_waitcnt lgkmcnt(1)
	v_pk_mul_f32 v[72:73], v[78:79], v[72:73] op_sel_hi:[1,0]
	v_pk_add_f32 v[70:71], v[70:71], v[74:75]
	v_pk_fma_f32 v[74:75], v[78:79], v[108:109], v[72:73] op_sel:[0,0,1] op_sel_hi:[1,1,0] neg_lo:[0,0,1] neg_hi:[0,0,1]
	v_pk_fma_f32 v[72:73], v[78:79], v[108:109], v[72:73] op_sel:[0,0,1] op_sel_hi:[1,0,0]
	v_mov_b32_e32 v72, v107
	v_mov_b32_e32 v75, v73
	v_pk_mul_f32 v[72:73], v[80:81], v[72:73] op_sel_hi:[1,0]
	v_pk_add_f32 v[70:71], v[70:71], v[74:75]
	v_pk_fma_f32 v[74:75], v[80:81], v[106:107], v[72:73] op_sel:[0,0,1] op_sel_hi:[1,1,0] neg_lo:[0,0,1] neg_hi:[0,0,1]
	v_pk_fma_f32 v[72:73], v[80:81], v[106:107], v[72:73] op_sel:[0,0,1] op_sel_hi:[1,0,0]
	v_mov_b32_e32 v72, v105
	v_mov_b32_e32 v75, v73
	s_waitcnt lgkmcnt(0)
	v_pk_mul_f32 v[72:73], v[82:83], v[72:73] op_sel_hi:[1,0]
	v_pk_add_f32 v[70:71], v[70:71], v[74:75]
	v_pk_fma_f32 v[74:75], v[82:83], v[104:105], v[72:73] op_sel:[0,0,1] op_sel_hi:[1,1,0] neg_lo:[0,0,1] neg_hi:[0,0,1]
	v_pk_fma_f32 v[72:73], v[82:83], v[104:105], v[72:73] op_sel:[0,0,1] op_sel_hi:[1,0,0]
	v_mov_b32_e32 v75, v73
	v_pk_add_f32 v[70:71], v[70:71], v[74:75]
	v_pk_add_f32 v[70:71], v[94:95], v[70:71] neg_lo:[0,1] neg_hi:[0,1]
	buffer_store_dword v71, off, s[0:3], 0 offset:108
	buffer_store_dword v70, off, s[0:3], 0 offset:104
	s_and_saveexec_b64 s[4:5], vcc
	s_cbranch_execz .LBB32_187
; %bb.186:
	buffer_load_dword v70, off, s[0:3], 0 offset:96
	buffer_load_dword v71, off, s[0:3], 0 offset:100
	s_waitcnt vmcnt(0)
	ds_write_b64 v1, v[70:71]
	buffer_store_dword v68, off, s[0:3], 0 offset:96
	buffer_store_dword v68, off, s[0:3], 0 offset:100
.LBB32_187:
	s_or_b64 exec, exec, s[4:5]
	s_waitcnt lgkmcnt(0)
	; wave barrier
	s_waitcnt lgkmcnt(0)
	buffer_load_dword v69, off, s[0:3], 0 offset:108
	buffer_load_dword v112, off, s[0:3], 0 offset:116
	;; [unrolled: 1-line block ×26, first 2 shown]
	ds_read2_b64 v[70:73], v68 offset0:47 offset1:48
	ds_read2_b64 v[74:77], v68 offset0:49 offset1:50
	;; [unrolled: 1-line block ×6, first 2 shown]
	buffer_load_dword v97, off, s[0:3], 0 offset:220
	buffer_load_dword v96, off, s[0:3], 0 offset:216
	;; [unrolled: 1-line block ×16, first 2 shown]
	v_cmp_lt_u32_e32 vcc, 11, v0
	s_waitcnt vmcnt(41) lgkmcnt(5)
	v_mul_f32_e32 v137, v70, v69
	s_waitcnt vmcnt(40)
	v_mul_f32_e32 v138, v72, v112
	v_mul_f32_e32 v69, v71, v69
	;; [unrolled: 1-line block ×3, first 2 shown]
	s_waitcnt vmcnt(39) lgkmcnt(4)
	v_mul_f32_e32 v139, v74, v114
	s_waitcnt vmcnt(38)
	v_mul_f32_e32 v140, v76, v116
	s_waitcnt vmcnt(37) lgkmcnt(3)
	v_mul_f32_e32 v141, v78, v118
	s_waitcnt vmcnt(36)
	v_mul_f32_e32 v142, v80, v119
	;; [unrolled: 4-line block ×4, first 2 shown]
	s_waitcnt vmcnt(29)
	v_fmac_f32_e32 v137, v71, v117
	s_waitcnt vmcnt(28)
	v_fmac_f32_e32 v138, v73, v126
	v_fma_f32 v69, v70, v117, -v69
	v_fma_f32 v70, v72, v126, -v112
	v_add_f32_e32 v72, 0, v137
	s_waitcnt vmcnt(27)
	v_fmac_f32_e32 v139, v75, v127
	v_add_f32_e32 v69, 0, v69
	v_add_f32_e32 v72, v72, v138
	s_waitcnt vmcnt(26)
	v_fmac_f32_e32 v140, v77, v128
	v_add_f32_e32 v69, v69, v70
	;; [unrolled: 4-line block ×3, first 2 shown]
	s_waitcnt vmcnt(24)
	v_fmac_f32_e32 v142, v81, v130
	v_add_f32_e32 v70, v70, v141
	s_waitcnt vmcnt(23)
	v_fmac_f32_e32 v143, v83, v131
	v_add_f32_e32 v70, v70, v142
	;; [unrolled: 3-line block ×4, first 2 shown]
	v_mul_f32_e32 v114, v75, v114
	s_waitcnt vmcnt(20)
	v_fmac_f32_e32 v146, v89, v134
	v_add_f32_e32 v70, v70, v145
	v_fma_f32 v71, v74, v127, -v114
	v_add_f32_e32 v117, v70, v146
	v_mul_f32_e32 v70, v77, v116
	v_add_f32_e32 v69, v69, v71
	v_fma_f32 v70, v76, v128, -v70
	v_add_f32_e32 v69, v69, v70
	v_mul_f32_e32 v70, v79, v118
	v_fma_f32 v70, v78, v129, -v70
	v_add_f32_e32 v69, v69, v70
	v_mul_f32_e32 v70, v81, v119
	;; [unrolled: 3-line block ×6, first 2 shown]
	v_fma_f32 v70, v88, v134, -v70
	v_add_f32_e32 v116, v69, v70
	ds_read2_b64 v[70:73], v68 offset0:59 offset1:60
	ds_read2_b64 v[74:77], v68 offset0:61 offset1:62
	;; [unrolled: 1-line block ×4, first 2 shown]
	s_waitcnt vmcnt(11)
	v_mov_b32_e32 v86, v101
	s_waitcnt lgkmcnt(3)
	v_pk_mul_f32 v[86:87], v[70:71], v[86:87] op_sel_hi:[1,0]
	s_waitcnt vmcnt(10)
	v_pk_fma_f32 v[88:89], v[70:71], v[100:101], v[86:87] op_sel:[0,0,1] op_sel_hi:[1,1,0] neg_lo:[0,0,1] neg_hi:[0,0,1]
	v_pk_fma_f32 v[70:71], v[70:71], v[100:101], v[86:87] op_sel:[0,0,1] op_sel_hi:[1,0,0]
	v_mov_b32_e32 v70, v99
	v_mov_b32_e32 v89, v71
	v_pk_mul_f32 v[70:71], v[72:73], v[70:71] op_sel_hi:[1,0]
	v_mul_f32_e32 v113, v90, v124
	v_mul_f32_e32 v69, v91, v124
	v_pk_fma_f32 v[86:87], v[72:73], v[98:99], v[70:71] op_sel:[0,0,1] op_sel_hi:[1,1,0] neg_lo:[0,0,1] neg_hi:[0,0,1]
	v_pk_fma_f32 v[70:71], v[72:73], v[98:99], v[70:71] op_sel:[0,0,1] op_sel_hi:[1,0,0]
	v_mul_f32_e32 v115, v92, v125
	v_fmac_f32_e32 v113, v91, v135
	v_fma_f32 v112, v90, v135, -v69
	v_mul_f32_e32 v69, v93, v125
	v_mov_b32_e32 v70, v97
	v_fmac_f32_e32 v115, v93, v136
	v_fma_f32 v114, v92, v136, -v69
	v_pk_add_f32 v[68:69], v[116:117], v[112:113]
	v_mov_b32_e32 v87, v71
	s_waitcnt lgkmcnt(2)
	v_pk_mul_f32 v[70:71], v[74:75], v[70:71] op_sel_hi:[1,0]
	v_pk_add_f32 v[68:69], v[68:69], v[114:115]
	v_pk_fma_f32 v[72:73], v[74:75], v[96:97], v[70:71] op_sel:[0,0,1] op_sel_hi:[1,1,0] neg_lo:[0,0,1] neg_hi:[0,0,1]
	v_pk_fma_f32 v[70:71], v[74:75], v[96:97], v[70:71] op_sel:[0,0,1] op_sel_hi:[1,0,0]
	v_pk_add_f32 v[68:69], v[68:69], v[88:89]
	s_waitcnt vmcnt(3)
	v_mov_b32_e32 v70, v109
	v_pk_add_f32 v[68:69], v[68:69], v[86:87]
	v_mov_b32_e32 v73, v71
	v_pk_mul_f32 v[70:71], v[76:77], v[70:71] op_sel_hi:[1,0]
	v_pk_add_f32 v[68:69], v[68:69], v[72:73]
	s_waitcnt vmcnt(2)
	v_pk_fma_f32 v[72:73], v[76:77], v[108:109], v[70:71] op_sel:[0,0,1] op_sel_hi:[1,1,0] neg_lo:[0,0,1] neg_hi:[0,0,1]
	v_pk_fma_f32 v[70:71], v[76:77], v[108:109], v[70:71] op_sel:[0,0,1] op_sel_hi:[1,0,0]
	v_mov_b32_e32 v70, v107
	v_mov_b32_e32 v73, v71
	s_waitcnt lgkmcnt(1)
	v_pk_mul_f32 v[70:71], v[78:79], v[70:71] op_sel_hi:[1,0]
	v_pk_add_f32 v[68:69], v[68:69], v[72:73]
	v_pk_fma_f32 v[72:73], v[78:79], v[106:107], v[70:71] op_sel:[0,0,1] op_sel_hi:[1,1,0] neg_lo:[0,0,1] neg_hi:[0,0,1]
	v_pk_fma_f32 v[70:71], v[78:79], v[106:107], v[70:71] op_sel:[0,0,1] op_sel_hi:[1,0,0]
	v_mov_b32_e32 v70, v105
	v_mov_b32_e32 v73, v71
	v_pk_mul_f32 v[70:71], v[80:81], v[70:71] op_sel_hi:[1,0]
	v_pk_add_f32 v[68:69], v[68:69], v[72:73]
	v_pk_fma_f32 v[72:73], v[80:81], v[104:105], v[70:71] op_sel:[0,0,1] op_sel_hi:[1,1,0] neg_lo:[0,0,1] neg_hi:[0,0,1]
	v_pk_fma_f32 v[70:71], v[80:81], v[104:105], v[70:71] op_sel:[0,0,1] op_sel_hi:[1,0,0]
	v_mov_b32_e32 v70, v103
	v_mov_b32_e32 v73, v71
	s_waitcnt lgkmcnt(0)
	v_pk_mul_f32 v[70:71], v[82:83], v[70:71] op_sel_hi:[1,0]
	v_pk_add_f32 v[68:69], v[68:69], v[72:73]
	v_pk_fma_f32 v[72:73], v[82:83], v[102:103], v[70:71] op_sel:[0,0,1] op_sel_hi:[1,1,0] neg_lo:[0,0,1] neg_hi:[0,0,1]
	v_pk_fma_f32 v[70:71], v[82:83], v[102:103], v[70:71] op_sel:[0,0,1] op_sel_hi:[1,0,0]
	s_waitcnt vmcnt(1)
	v_mov_b32_e32 v70, v111
	v_mov_b32_e32 v73, v71
	v_pk_mul_f32 v[70:71], v[84:85], v[70:71] op_sel_hi:[1,0]
	v_pk_add_f32 v[68:69], v[68:69], v[72:73]
	s_waitcnt vmcnt(0)
	v_pk_fma_f32 v[72:73], v[84:85], v[110:111], v[70:71] op_sel:[0,0,1] op_sel_hi:[1,1,0] neg_lo:[0,0,1] neg_hi:[0,0,1]
	v_pk_fma_f32 v[70:71], v[84:85], v[110:111], v[70:71] op_sel:[0,0,1] op_sel_hi:[1,0,0]
	v_mov_b32_e32 v73, v71
	v_pk_add_f32 v[68:69], v[68:69], v[72:73]
	v_pk_add_f32 v[68:69], v[94:95], v[68:69] neg_lo:[0,1] neg_hi:[0,1]
	buffer_store_dword v69, off, s[0:3], 0 offset:100
	buffer_store_dword v68, off, s[0:3], 0 offset:96
	s_and_saveexec_b64 s[4:5], vcc
	s_cbranch_execz .LBB32_189
; %bb.188:
	buffer_load_dword v68, off, s[0:3], 0 offset:88
	buffer_load_dword v69, off, s[0:3], 0 offset:92
	v_mov_b32_e32 v70, 0
	buffer_store_dword v70, off, s[0:3], 0 offset:88
	buffer_store_dword v70, off, s[0:3], 0 offset:92
	s_waitcnt vmcnt(2)
	ds_write_b64 v1, v[68:69]
.LBB32_189:
	s_or_b64 exec, exec, s[4:5]
	s_waitcnt lgkmcnt(0)
	; wave barrier
	s_waitcnt lgkmcnt(0)
	buffer_load_dword v69, off, s[0:3], 0 offset:100
	buffer_load_dword v120, off, s[0:3], 0 offset:108
	;; [unrolled: 1-line block ×44, first 2 shown]
	v_mov_b32_e32 v68, 0
	ds_read_b128 v[70:73], v68 offset:368
	ds_read_b128 v[74:77], v68 offset:384
	;; [unrolled: 1-line block ×8, first 2 shown]
	v_cmp_lt_u32_e32 vcc, 10, v0
	s_waitcnt vmcnt(43) lgkmcnt(7)
	v_mul_f32_e32 v125, v70, v69
	v_mul_f32_e32 v69, v71, v69
	s_waitcnt vmcnt(42)
	v_mul_f32_e32 v148, v72, v120
	s_waitcnt vmcnt(41) lgkmcnt(6)
	v_mul_f32_e32 v149, v74, v122
	s_waitcnt vmcnt(40)
	v_mul_f32_e32 v150, v76, v124
	s_waitcnt vmcnt(39) lgkmcnt(5)
	;; [unrolled: 4-line block ×5, first 2 shown]
	v_mul_f32_e32 v157, v90, v132
	s_waitcnt vmcnt(32)
	v_mul_f32_e32 v121, v92, v133
	s_waitcnt vmcnt(30)
	v_fma_f32 v69, v70, v135, -v69
	v_mul_f32_e32 v70, v73, v120
	v_add_f32_e32 v69, 0, v69
	s_waitcnt vmcnt(29)
	v_fma_f32 v70, v72, v136, -v70
	v_add_f32_e32 v69, v69, v70
	v_mul_f32_e32 v70, v75, v122
	s_waitcnt vmcnt(28)
	v_fma_f32 v70, v74, v137, -v70
	v_add_f32_e32 v69, v69, v70
	v_mul_f32_e32 v70, v77, v124
	;; [unrolled: 4-line block ×4, first 2 shown]
	s_waitcnt vmcnt(25)
	v_fma_f32 v70, v80, v140, -v70
	v_fmac_f32_e32 v125, v71, v135
	v_add_f32_e32 v69, v69, v70
	v_mul_f32_e32 v70, v83, v128
	v_fmac_f32_e32 v148, v73, v136
	v_add_f32_e32 v71, 0, v125
	s_waitcnt vmcnt(24)
	v_fma_f32 v70, v82, v141, -v70
	v_fmac_f32_e32 v149, v75, v137
	v_add_f32_e32 v71, v71, v148
	v_add_f32_e32 v69, v69, v70
	v_mul_f32_e32 v70, v85, v129
	v_fmac_f32_e32 v150, v77, v138
	v_add_f32_e32 v71, v71, v149
	s_waitcnt vmcnt(23)
	v_fma_f32 v70, v84, v142, -v70
	v_fmac_f32_e32 v151, v79, v139
	v_add_f32_e32 v71, v71, v150
	;; [unrolled: 8-line block ×4, first 2 shown]
	v_add_f32_e32 v69, v69, v70
	v_mul_f32_e32 v70, v91, v132
	v_fmac_f32_e32 v156, v89, v144
	v_add_f32_e32 v71, v71, v155
	s_waitcnt vmcnt(20)
	v_fma_f32 v70, v90, v145, -v70
	s_waitcnt vmcnt(13)
	v_mov_b32_e32 v82, v107
	v_fmac_f32_e32 v157, v91, v145
	v_add_f32_e32 v71, v71, v156
	v_add_f32_e32 v124, v69, v70
	v_mul_f32_e32 v69, v93, v133
	s_waitcnt lgkmcnt(1)
	v_pk_mul_f32 v[82:83], v[96:97], v[82:83] op_sel_hi:[1,0]
	v_mul_f32_e32 v123, v94, v134
	v_fmac_f32_e32 v121, v93, v146
	v_add_f32_e32 v125, v71, v157
	v_fma_f32 v120, v92, v146, -v69
	v_mul_f32_e32 v69, v95, v134
	s_waitcnt vmcnt(12)
	v_pk_fma_f32 v[84:85], v[96:97], v[106:107], v[82:83] op_sel:[0,0,1] op_sel_hi:[1,1,0] neg_lo:[0,0,1] neg_hi:[0,0,1]
	v_pk_fma_f32 v[82:83], v[96:97], v[106:107], v[82:83] op_sel:[0,0,1] op_sel_hi:[1,0,0]
	v_fmac_f32_e32 v123, v95, v147
	v_fma_f32 v122, v94, v147, -v69
	v_pk_add_f32 v[80:81], v[124:125], v[120:121]
	v_mov_b32_e32 v82, v105
	v_pk_add_f32 v[80:81], v[80:81], v[122:123]
	v_mov_b32_e32 v85, v83
	s_waitcnt lgkmcnt(0)
	v_pk_mul_f32 v[82:83], v[98:99], v[82:83] op_sel_hi:[1,0]
	v_pk_add_f32 v[80:81], v[80:81], v[84:85]
	v_pk_fma_f32 v[84:85], v[98:99], v[104:105], v[82:83] op_sel:[0,0,1] op_sel_hi:[1,1,0] neg_lo:[0,0,1] neg_hi:[0,0,1]
	v_pk_fma_f32 v[82:83], v[98:99], v[104:105], v[82:83] op_sel:[0,0,1] op_sel_hi:[1,0,0]
	s_waitcnt vmcnt(5)
	v_mov_b32_e32 v82, v115
	ds_read_b128 v[70:73], v68 offset:496
	ds_read_b128 v[74:77], v68 offset:512
	ds_read_b64 v[78:79], v68 offset:528
	v_mov_b32_e32 v85, v83
	v_pk_mul_f32 v[82:83], v[100:101], v[82:83] op_sel_hi:[1,0]
	v_pk_add_f32 v[80:81], v[80:81], v[84:85]
	s_waitcnt vmcnt(4)
	v_pk_fma_f32 v[84:85], v[100:101], v[114:115], v[82:83] op_sel:[0,0,1] op_sel_hi:[1,1,0] neg_lo:[0,0,1] neg_hi:[0,0,1]
	v_pk_fma_f32 v[82:83], v[100:101], v[114:115], v[82:83] op_sel:[0,0,1] op_sel_hi:[1,0,0]
	v_mov_b32_e32 v82, v113
	v_mov_b32_e32 v85, v83
	s_waitcnt lgkmcnt(2)
	v_pk_mul_f32 v[82:83], v[70:71], v[82:83] op_sel_hi:[1,0]
	v_pk_add_f32 v[80:81], v[80:81], v[84:85]
	v_pk_fma_f32 v[84:85], v[70:71], v[112:113], v[82:83] op_sel:[0,0,1] op_sel_hi:[1,1,0] neg_lo:[0,0,1] neg_hi:[0,0,1]
	v_pk_fma_f32 v[70:71], v[70:71], v[112:113], v[82:83] op_sel:[0,0,1] op_sel_hi:[1,0,0]
	v_mov_b32_e32 v85, v71
	v_pk_add_f32 v[70:71], v[80:81], v[84:85]
	v_mov_b32_e32 v80, v111
	v_pk_mul_f32 v[80:81], v[72:73], v[80:81] op_sel_hi:[1,0]
	v_pk_fma_f32 v[82:83], v[72:73], v[110:111], v[80:81] op_sel:[0,0,1] op_sel_hi:[1,1,0] neg_lo:[0,0,1] neg_hi:[0,0,1]
	v_pk_fma_f32 v[72:73], v[72:73], v[110:111], v[80:81] op_sel:[0,0,1] op_sel_hi:[1,0,0]
	v_mov_b32_e32 v72, v109
	v_mov_b32_e32 v83, v73
	s_waitcnt lgkmcnt(1)
	v_pk_mul_f32 v[72:73], v[74:75], v[72:73] op_sel_hi:[1,0]
	v_pk_fma_f32 v[80:81], v[74:75], v[108:109], v[72:73] op_sel:[0,0,1] op_sel_hi:[1,1,0] neg_lo:[0,0,1] neg_hi:[0,0,1]
	v_pk_fma_f32 v[72:73], v[74:75], v[108:109], v[72:73] op_sel:[0,0,1] op_sel_hi:[1,0,0]
	s_waitcnt vmcnt(1)
	v_mov_b32_e32 v72, v119
	v_mov_b32_e32 v81, v73
	v_pk_mul_f32 v[72:73], v[76:77], v[72:73] op_sel_hi:[1,0]
	s_waitcnt vmcnt(0)
	v_pk_fma_f32 v[74:75], v[76:77], v[118:119], v[72:73] op_sel:[0,0,1] op_sel_hi:[1,1,0] neg_lo:[0,0,1] neg_hi:[0,0,1]
	v_pk_fma_f32 v[72:73], v[76:77], v[118:119], v[72:73] op_sel:[0,0,1] op_sel_hi:[1,0,0]
	v_pk_add_f32 v[70:71], v[70:71], v[82:83]
	v_mov_b32_e32 v72, v117
	v_pk_add_f32 v[70:71], v[70:71], v[80:81]
	v_mov_b32_e32 v75, v73
	s_waitcnt lgkmcnt(0)
	v_pk_mul_f32 v[72:73], v[78:79], v[72:73] op_sel_hi:[1,0]
	v_pk_add_f32 v[70:71], v[70:71], v[74:75]
	v_pk_fma_f32 v[74:75], v[78:79], v[116:117], v[72:73] op_sel:[0,0,1] op_sel_hi:[1,1,0] neg_lo:[0,0,1] neg_hi:[0,0,1]
	v_pk_fma_f32 v[72:73], v[78:79], v[116:117], v[72:73] op_sel:[0,0,1] op_sel_hi:[1,0,0]
	v_mov_b32_e32 v75, v73
	v_pk_add_f32 v[70:71], v[70:71], v[74:75]
	v_pk_add_f32 v[70:71], v[102:103], v[70:71] neg_lo:[0,1] neg_hi:[0,1]
	buffer_store_dword v71, off, s[0:3], 0 offset:92
	buffer_store_dword v70, off, s[0:3], 0 offset:88
	s_and_saveexec_b64 s[4:5], vcc
	s_cbranch_execz .LBB32_191
; %bb.190:
	buffer_load_dword v70, off, s[0:3], 0 offset:80
	buffer_load_dword v71, off, s[0:3], 0 offset:84
	s_waitcnt vmcnt(0)
	ds_write_b64 v1, v[70:71]
	buffer_store_dword v68, off, s[0:3], 0 offset:80
	buffer_store_dword v68, off, s[0:3], 0 offset:84
.LBB32_191:
	s_or_b64 exec, exec, s[4:5]
	s_waitcnt lgkmcnt(0)
	; wave barrier
	s_waitcnt lgkmcnt(0)
	buffer_load_dword v69, off, s[0:3], 0 offset:92
	buffer_load_dword v120, off, s[0:3], 0 offset:100
	;; [unrolled: 1-line block ×30, first 2 shown]
	ds_read2_b64 v[70:73], v68 offset0:45 offset1:46
	ds_read2_b64 v[74:77], v68 offset0:47 offset1:48
	;; [unrolled: 1-line block ×6, first 2 shown]
	buffer_load_dword v105, off, s[0:3], 0 offset:204
	buffer_load_dword v104, off, s[0:3], 0 offset:200
	ds_read2_b64 v[94:97], v68 offset0:57 offset1:58
	ds_read2_b64 v[98:101], v68 offset0:59 offset1:60
	buffer_load_dword v107, off, s[0:3], 0 offset:236
	buffer_load_dword v106, off, s[0:3], 0 offset:232
	;; [unrolled: 1-line block ×14, first 2 shown]
	v_cmp_lt_u32_e32 vcc, 9, v0
	s_waitcnt vmcnt(45) lgkmcnt(7)
	v_mul_f32_e32 v123, v70, v69
	v_mul_f32_e32 v69, v71, v69
	s_waitcnt vmcnt(44)
	v_mul_f32_e32 v125, v72, v120
	s_waitcnt vmcnt(43) lgkmcnt(6)
	v_mul_f32_e32 v150, v74, v122
	s_waitcnt vmcnt(42)
	v_mul_f32_e32 v151, v76, v124
	s_waitcnt vmcnt(41) lgkmcnt(5)
	;; [unrolled: 4-line block ×5, first 2 shown]
	v_mul_f32_e32 v158, v90, v132
	s_waitcnt vmcnt(34)
	v_mul_f32_e32 v159, v92, v133
	s_waitcnt vmcnt(32)
	v_fma_f32 v69, v70, v135, -v69
	v_mul_f32_e32 v70, v73, v120
	v_add_f32_e32 v69, 0, v69
	s_waitcnt vmcnt(31)
	v_fma_f32 v70, v72, v136, -v70
	v_add_f32_e32 v69, v69, v70
	v_mul_f32_e32 v70, v75, v122
	s_waitcnt vmcnt(30)
	v_fma_f32 v70, v74, v137, -v70
	v_add_f32_e32 v69, v69, v70
	v_mul_f32_e32 v70, v77, v124
	;; [unrolled: 4-line block ×5, first 2 shown]
	v_fmac_f32_e32 v123, v71, v135
	s_waitcnt vmcnt(26)
	v_fma_f32 v70, v82, v141, -v70
	v_fmac_f32_e32 v125, v73, v136
	v_add_f32_e32 v123, 0, v123
	v_add_f32_e32 v69, v69, v70
	v_mul_f32_e32 v70, v85, v129
	v_fmac_f32_e32 v150, v75, v137
	v_add_f32_e32 v123, v123, v125
	s_waitcnt vmcnt(25)
	v_fma_f32 v70, v84, v142, -v70
	v_fmac_f32_e32 v151, v77, v138
	v_add_f32_e32 v123, v123, v150
	v_add_f32_e32 v69, v69, v70
	v_mul_f32_e32 v70, v87, v130
	v_fmac_f32_e32 v152, v79, v139
	v_add_f32_e32 v123, v123, v151
	;; [unrolled: 8-line block ×5, first 2 shown]
	s_waitcnt vmcnt(21)
	v_fma_f32 v70, v92, v146, -v70
	s_waitcnt vmcnt(15)
	v_mov_b32_e32 v82, v105
	s_waitcnt lgkmcnt(1)
	v_mul_f32_e32 v121, v94, v134
	v_fmac_f32_e32 v159, v93, v146
	v_add_f32_e32 v123, v123, v158
	v_add_f32_e32 v122, v69, v70
	v_mul_f32_e32 v69, v95, v134
	s_waitcnt lgkmcnt(0)
	v_pk_mul_f32 v[82:83], v[98:99], v[82:83] op_sel_hi:[1,0]
	v_fmac_f32_e32 v121, v95, v147
	v_add_f32_e32 v123, v123, v159
	v_mul_f32_e32 v125, v96, v148
	v_fma_f32 v120, v94, v147, -v69
	v_mul_f32_e32 v69, v97, v148
	s_waitcnt vmcnt(14)
	v_pk_fma_f32 v[84:85], v[98:99], v[104:105], v[82:83] op_sel:[0,0,1] op_sel_hi:[1,1,0] neg_lo:[0,0,1] neg_hi:[0,0,1]
	v_pk_fma_f32 v[82:83], v[98:99], v[104:105], v[82:83] op_sel:[0,0,1] op_sel_hi:[1,0,0]
	v_fmac_f32_e32 v125, v97, v149
	v_fma_f32 v124, v96, v149, -v69
	ds_read2_b64 v[70:73], v68 offset0:61 offset1:62
	ds_read2_b64 v[74:77], v68 offset0:63 offset1:64
	;; [unrolled: 1-line block ×3, first 2 shown]
	v_pk_add_f32 v[68:69], v[122:123], v[120:121]
	s_waitcnt vmcnt(7)
	v_mov_b32_e32 v82, v113
	v_pk_add_f32 v[68:69], v[68:69], v[124:125]
	v_mov_b32_e32 v85, v83
	v_pk_mul_f32 v[82:83], v[100:101], v[82:83] op_sel_hi:[1,0]
	v_pk_add_f32 v[68:69], v[68:69], v[84:85]
	s_waitcnt vmcnt(6)
	v_pk_fma_f32 v[84:85], v[100:101], v[112:113], v[82:83] op_sel:[0,0,1] op_sel_hi:[1,1,0] neg_lo:[0,0,1] neg_hi:[0,0,1]
	v_pk_fma_f32 v[82:83], v[100:101], v[112:113], v[82:83] op_sel:[0,0,1] op_sel_hi:[1,0,0]
	v_mov_b32_e32 v82, v111
	v_mov_b32_e32 v85, v83
	s_waitcnt lgkmcnt(2)
	v_pk_mul_f32 v[82:83], v[70:71], v[82:83] op_sel_hi:[1,0]
	v_pk_add_f32 v[68:69], v[68:69], v[84:85]
	v_pk_fma_f32 v[84:85], v[70:71], v[110:111], v[82:83] op_sel:[0,0,1] op_sel_hi:[1,1,0] neg_lo:[0,0,1] neg_hi:[0,0,1]
	v_pk_fma_f32 v[70:71], v[70:71], v[110:111], v[82:83] op_sel:[0,0,1] op_sel_hi:[1,0,0]
	v_mov_b32_e32 v70, v109
	v_mov_b32_e32 v85, v71
	v_pk_mul_f32 v[70:71], v[72:73], v[70:71] op_sel_hi:[1,0]
	v_pk_fma_f32 v[82:83], v[72:73], v[108:109], v[70:71] op_sel:[0,0,1] op_sel_hi:[1,1,0] neg_lo:[0,0,1] neg_hi:[0,0,1]
	v_pk_fma_f32 v[70:71], v[72:73], v[108:109], v[70:71] op_sel:[0,0,1] op_sel_hi:[1,0,0]
	v_mov_b32_e32 v70, v107
	v_mov_b32_e32 v83, v71
	s_waitcnt lgkmcnt(1)
	v_pk_mul_f32 v[70:71], v[74:75], v[70:71] op_sel_hi:[1,0]
	v_pk_fma_f32 v[72:73], v[74:75], v[106:107], v[70:71] op_sel:[0,0,1] op_sel_hi:[1,1,0] neg_lo:[0,0,1] neg_hi:[0,0,1]
	v_pk_fma_f32 v[70:71], v[74:75], v[106:107], v[70:71] op_sel:[0,0,1] op_sel_hi:[1,0,0]
	v_pk_add_f32 v[68:69], v[68:69], v[84:85]
	s_waitcnt vmcnt(1)
	v_mov_b32_e32 v70, v119
	v_pk_add_f32 v[68:69], v[68:69], v[82:83]
	v_mov_b32_e32 v73, v71
	v_pk_mul_f32 v[70:71], v[76:77], v[70:71] op_sel_hi:[1,0]
	v_pk_add_f32 v[68:69], v[68:69], v[72:73]
	s_waitcnt vmcnt(0)
	v_pk_fma_f32 v[72:73], v[76:77], v[118:119], v[70:71] op_sel:[0,0,1] op_sel_hi:[1,1,0] neg_lo:[0,0,1] neg_hi:[0,0,1]
	v_pk_fma_f32 v[70:71], v[76:77], v[118:119], v[70:71] op_sel:[0,0,1] op_sel_hi:[1,0,0]
	v_mov_b32_e32 v70, v117
	v_mov_b32_e32 v73, v71
	s_waitcnt lgkmcnt(0)
	v_pk_mul_f32 v[70:71], v[78:79], v[70:71] op_sel_hi:[1,0]
	v_pk_add_f32 v[68:69], v[68:69], v[72:73]
	v_pk_fma_f32 v[72:73], v[78:79], v[116:117], v[70:71] op_sel:[0,0,1] op_sel_hi:[1,1,0] neg_lo:[0,0,1] neg_hi:[0,0,1]
	v_pk_fma_f32 v[70:71], v[78:79], v[116:117], v[70:71] op_sel:[0,0,1] op_sel_hi:[1,0,0]
	v_mov_b32_e32 v70, v115
	v_mov_b32_e32 v73, v71
	v_pk_mul_f32 v[70:71], v[80:81], v[70:71] op_sel_hi:[1,0]
	v_pk_add_f32 v[68:69], v[68:69], v[72:73]
	v_pk_fma_f32 v[72:73], v[80:81], v[114:115], v[70:71] op_sel:[0,0,1] op_sel_hi:[1,1,0] neg_lo:[0,0,1] neg_hi:[0,0,1]
	v_pk_fma_f32 v[70:71], v[80:81], v[114:115], v[70:71] op_sel:[0,0,1] op_sel_hi:[1,0,0]
	v_mov_b32_e32 v73, v71
	v_pk_add_f32 v[68:69], v[68:69], v[72:73]
	v_pk_add_f32 v[68:69], v[102:103], v[68:69] neg_lo:[0,1] neg_hi:[0,1]
	buffer_store_dword v69, off, s[0:3], 0 offset:84
	buffer_store_dword v68, off, s[0:3], 0 offset:80
	s_and_saveexec_b64 s[4:5], vcc
	s_cbranch_execz .LBB32_193
; %bb.192:
	buffer_load_dword v68, off, s[0:3], 0 offset:72
	buffer_load_dword v69, off, s[0:3], 0 offset:76
	v_mov_b32_e32 v70, 0
	buffer_store_dword v70, off, s[0:3], 0 offset:72
	buffer_store_dword v70, off, s[0:3], 0 offset:76
	s_waitcnt vmcnt(2)
	ds_write_b64 v1, v[68:69]
.LBB32_193:
	s_or_b64 exec, exec, s[4:5]
	s_waitcnt lgkmcnt(0)
	; wave barrier
	s_waitcnt lgkmcnt(0)
	buffer_load_dword v69, off, s[0:3], 0 offset:84
	buffer_load_dword v118, off, s[0:3], 0 offset:92
	buffer_load_dword v122, off, s[0:3], 0 offset:100
	buffer_load_dword v124, off, s[0:3], 0 offset:108
	buffer_load_dword v126, off, s[0:3], 0 offset:116
	buffer_load_dword v127, off, s[0:3], 0 offset:124
	buffer_load_dword v128, off, s[0:3], 0 offset:132
	buffer_load_dword v129, off, s[0:3], 0 offset:140
	buffer_load_dword v130, off, s[0:3], 0 offset:148
	buffer_load_dword v131, off, s[0:3], 0 offset:156
	buffer_load_dword v132, off, s[0:3], 0 offset:164
	buffer_load_dword v133, off, s[0:3], 0 offset:172
	buffer_load_dword v134, off, s[0:3], 0 offset:180
	buffer_load_dword v135, off, s[0:3], 0 offset:80
	buffer_load_dword v136, off, s[0:3], 0 offset:88
	buffer_load_dword v137, off, s[0:3], 0 offset:96
	buffer_load_dword v138, off, s[0:3], 0 offset:104
	buffer_load_dword v139, off, s[0:3], 0 offset:112
	buffer_load_dword v140, off, s[0:3], 0 offset:120
	buffer_load_dword v141, off, s[0:3], 0 offset:128
	buffer_load_dword v142, off, s[0:3], 0 offset:136
	buffer_load_dword v143, off, s[0:3], 0 offset:144
	buffer_load_dword v144, off, s[0:3], 0 offset:152
	buffer_load_dword v145, off, s[0:3], 0 offset:160
	buffer_load_dword v146, off, s[0:3], 0 offset:168
	buffer_load_dword v147, off, s[0:3], 0 offset:176
	buffer_load_dword v148, off, s[0:3], 0 offset:188
	buffer_load_dword v149, off, s[0:3], 0 offset:184
	buffer_load_dword v150, off, s[0:3], 0 offset:196
	buffer_load_dword v151, off, s[0:3], 0 offset:192
	buffer_load_dword v102, off, s[0:3], 0 offset:72
	buffer_load_dword v103, off, s[0:3], 0 offset:76
	v_mov_b32_e32 v68, 0
	buffer_load_dword v105, off, s[0:3], 0 offset:228
	buffer_load_dword v104, off, s[0:3], 0 offset:224
	;; [unrolled: 1-line block ×13, first 2 shown]
	ds_read_b128 v[70:73], v68 offset:352
	ds_read_b128 v[74:77], v68 offset:368
	;; [unrolled: 1-line block ×8, first 2 shown]
	v_cmp_lt_u32_e32 vcc, 8, v0
	s_waitcnt vmcnt(44) lgkmcnt(7)
	v_mul_f32_e32 v112, v70, v69
	s_waitcnt vmcnt(43)
	v_mul_f32_e32 v119, v72, v118
	s_waitcnt vmcnt(42) lgkmcnt(6)
	v_mul_f32_e32 v120, v74, v122
	s_waitcnt vmcnt(41)
	v_mul_f32_e32 v121, v76, v124
	;; [unrolled: 4-line block ×6, first 2 shown]
	s_waitcnt vmcnt(32) lgkmcnt(1)
	v_mul_f32_e32 v158, v94, v134
	s_waitcnt vmcnt(31)
	v_fmac_f32_e32 v112, v71, v135
	s_waitcnt vmcnt(30)
	v_fmac_f32_e32 v119, v73, v136
	v_add_f32_e32 v112, 0, v112
	s_waitcnt vmcnt(29)
	v_fmac_f32_e32 v120, v75, v137
	v_add_f32_e32 v112, v112, v119
	;; [unrolled: 3-line block ×12, first 2 shown]
	v_add_f32_e32 v119, v112, v158
	buffer_load_dword v121, off, s[0:3], 0 offset:244
	buffer_load_dword v120, off, s[0:3], 0 offset:240
	;; [unrolled: 1-line block ×3, first 2 shown]
	v_mul_f32_e32 v69, v71, v69
	v_fma_f32 v69, v70, v135, -v69
	v_mul_f32_e32 v70, v73, v118
	v_add_f32_e32 v69, 0, v69
	v_fma_f32 v70, v72, v136, -v70
	v_add_f32_e32 v69, v69, v70
	v_mul_f32_e32 v70, v75, v122
	v_fma_f32 v70, v74, v137, -v70
	v_add_f32_e32 v69, v69, v70
	v_mul_f32_e32 v70, v77, v124
	;; [unrolled: 3-line block ×11, first 2 shown]
	v_fma_f32 v70, v94, v147, -v70
	s_waitcnt vmcnt(9)
	v_mov_b32_e32 v86, v111
	v_mul_f32_e32 v123, v96, v148
	v_add_f32_e32 v118, v69, v70
	v_mul_f32_e32 v69, v97, v148
	s_waitcnt lgkmcnt(0)
	v_pk_mul_f32 v[86:87], v[100:101], v[86:87] op_sel_hi:[1,0]
	v_fmac_f32_e32 v123, v97, v149
	v_mul_f32_e32 v125, v98, v150
	v_fma_f32 v122, v96, v149, -v69
	v_mul_f32_e32 v69, v99, v150
	ds_read_b128 v[70:73], v68 offset:480
	ds_read_b128 v[74:77], v68 offset:496
	;; [unrolled: 1-line block ×3, first 2 shown]
	ds_read_b64 v[82:83], v68 offset:528
	s_waitcnt vmcnt(8)
	v_pk_fma_f32 v[88:89], v[100:101], v[110:111], v[86:87] op_sel:[0,0,1] op_sel_hi:[1,1,0] neg_lo:[0,0,1] neg_hi:[0,0,1]
	v_pk_fma_f32 v[86:87], v[100:101], v[110:111], v[86:87] op_sel:[0,0,1] op_sel_hi:[1,0,0]
	v_fmac_f32_e32 v125, v99, v151
	v_fma_f32 v124, v98, v151, -v69
	v_pk_add_f32 v[84:85], v[118:119], v[122:123]
	v_mov_b32_e32 v86, v109
	v_pk_add_f32 v[84:85], v[84:85], v[124:125]
	v_mov_b32_e32 v89, v87
	s_waitcnt lgkmcnt(3)
	v_pk_mul_f32 v[86:87], v[70:71], v[86:87] op_sel_hi:[1,0]
	v_pk_add_f32 v[84:85], v[84:85], v[88:89]
	v_pk_fma_f32 v[88:89], v[70:71], v[108:109], v[86:87] op_sel:[0,0,1] op_sel_hi:[1,1,0] neg_lo:[0,0,1] neg_hi:[0,0,1]
	v_pk_fma_f32 v[70:71], v[70:71], v[108:109], v[86:87] op_sel:[0,0,1] op_sel_hi:[1,0,0]
	v_mov_b32_e32 v89, v71
	v_pk_add_f32 v[70:71], v[84:85], v[88:89]
	v_mov_b32_e32 v84, v107
	v_pk_mul_f32 v[84:85], v[72:73], v[84:85] op_sel_hi:[1,0]
	v_pk_fma_f32 v[86:87], v[72:73], v[106:107], v[84:85] op_sel:[0,0,1] op_sel_hi:[1,1,0] neg_lo:[0,0,1] neg_hi:[0,0,1]
	v_pk_fma_f32 v[72:73], v[72:73], v[106:107], v[84:85] op_sel:[0,0,1] op_sel_hi:[1,0,0]
	v_mov_b32_e32 v72, v105
	v_mov_b32_e32 v87, v73
	s_waitcnt lgkmcnt(2)
	v_pk_mul_f32 v[72:73], v[74:75], v[72:73] op_sel_hi:[1,0]
	v_pk_fma_f32 v[84:85], v[74:75], v[104:105], v[72:73] op_sel:[0,0,1] op_sel_hi:[1,1,0] neg_lo:[0,0,1] neg_hi:[0,0,1]
	v_pk_fma_f32 v[72:73], v[74:75], v[104:105], v[72:73] op_sel:[0,0,1] op_sel_hi:[1,0,0]
	s_waitcnt vmcnt(7)
	v_mov_b32_e32 v72, v113
	v_mov_b32_e32 v85, v73
	v_pk_mul_f32 v[72:73], v[76:77], v[72:73] op_sel_hi:[1,0]
	v_pk_add_f32 v[70:71], v[70:71], v[86:87]
	v_pk_add_f32 v[70:71], v[70:71], v[84:85]
	s_waitcnt vmcnt(0)
	v_pk_fma_f32 v[74:75], v[76:77], v[112:113], v[72:73] op_sel:[0,0,1] op_sel_hi:[1,1,0] neg_lo:[0,0,1] neg_hi:[0,0,1]
	v_pk_fma_f32 v[72:73], v[76:77], v[112:113], v[72:73] op_sel:[0,0,1] op_sel_hi:[1,0,0]
	v_mov_b32_e32 v72, v121
	v_mov_b32_e32 v75, v73
	s_waitcnt lgkmcnt(1)
	v_pk_mul_f32 v[72:73], v[78:79], v[72:73] op_sel_hi:[1,0]
	v_pk_add_f32 v[70:71], v[70:71], v[74:75]
	v_pk_fma_f32 v[74:75], v[78:79], v[120:121], v[72:73] op_sel:[0,0,1] op_sel_hi:[1,1,0] neg_lo:[0,0,1] neg_hi:[0,0,1]
	v_pk_fma_f32 v[72:73], v[78:79], v[120:121], v[72:73] op_sel:[0,0,1] op_sel_hi:[1,0,0]
	v_mov_b32_e32 v72, v117
	v_mov_b32_e32 v75, v73
	v_pk_mul_f32 v[72:73], v[80:81], v[72:73] op_sel_hi:[1,0]
	v_pk_add_f32 v[70:71], v[70:71], v[74:75]
	v_pk_fma_f32 v[74:75], v[80:81], v[116:117], v[72:73] op_sel:[0,0,1] op_sel_hi:[1,1,0] neg_lo:[0,0,1] neg_hi:[0,0,1]
	v_pk_fma_f32 v[72:73], v[80:81], v[116:117], v[72:73] op_sel:[0,0,1] op_sel_hi:[1,0,0]
	v_mov_b32_e32 v72, v115
	v_mov_b32_e32 v75, v73
	s_waitcnt lgkmcnt(0)
	v_pk_mul_f32 v[72:73], v[82:83], v[72:73] op_sel_hi:[1,0]
	v_pk_add_f32 v[70:71], v[70:71], v[74:75]
	v_pk_fma_f32 v[74:75], v[82:83], v[114:115], v[72:73] op_sel:[0,0,1] op_sel_hi:[1,1,0] neg_lo:[0,0,1] neg_hi:[0,0,1]
	v_pk_fma_f32 v[72:73], v[82:83], v[114:115], v[72:73] op_sel:[0,0,1] op_sel_hi:[1,0,0]
	v_mov_b32_e32 v75, v73
	v_pk_add_f32 v[70:71], v[70:71], v[74:75]
	v_pk_add_f32 v[70:71], v[102:103], v[70:71] neg_lo:[0,1] neg_hi:[0,1]
	buffer_store_dword v71, off, s[0:3], 0 offset:76
	buffer_store_dword v70, off, s[0:3], 0 offset:72
	s_and_saveexec_b64 s[4:5], vcc
	s_cbranch_execz .LBB32_195
; %bb.194:
	buffer_load_dword v70, off, s[0:3], 0 offset:64
	buffer_load_dword v71, off, s[0:3], 0 offset:68
	s_waitcnt vmcnt(0)
	ds_write_b64 v1, v[70:71]
	buffer_store_dword v68, off, s[0:3], 0 offset:64
	buffer_store_dword v68, off, s[0:3], 0 offset:68
.LBB32_195:
	s_or_b64 exec, exec, s[4:5]
	s_waitcnt lgkmcnt(0)
	; wave barrier
	s_waitcnt lgkmcnt(0)
	buffer_load_dword v69, off, s[0:3], 0 offset:76
	buffer_load_dword v118, off, s[0:3], 0 offset:84
	;; [unrolled: 1-line block ×34, first 2 shown]
	ds_read2_b64 v[70:73], v68 offset0:43 offset1:44
	ds_read2_b64 v[74:77], v68 offset0:45 offset1:46
	;; [unrolled: 1-line block ×8, first 2 shown]
	buffer_load_dword v105, off, s[0:3], 0 offset:220
	buffer_load_dword v104, off, s[0:3], 0 offset:216
	;; [unrolled: 1-line block ×9, first 2 shown]
	v_cmp_lt_u32_e32 vcc, 7, v0
	s_waitcnt vmcnt(42) lgkmcnt(7)
	v_mul_f32_e32 v110, v70, v69
	s_waitcnt vmcnt(41)
	v_mul_f32_e32 v114, v72, v118
	s_waitcnt vmcnt(40) lgkmcnt(6)
	v_mul_f32_e32 v115, v74, v120
	s_waitcnt vmcnt(39)
	v_mul_f32_e32 v116, v76, v122
	;; [unrolled: 4-line block ×6, first 2 shown]
	s_waitcnt vmcnt(30) lgkmcnt(1)
	v_mul_f32_e32 v156, v94, v134
	v_mul_f32_e32 v69, v71, v69
	s_waitcnt vmcnt(28)
	v_fmac_f32_e32 v110, v71, v136
	s_waitcnt vmcnt(27)
	v_fmac_f32_e32 v114, v73, v137
	v_add_f32_e32 v110, 0, v110
	s_waitcnt vmcnt(26)
	v_fmac_f32_e32 v115, v75, v138
	v_add_f32_e32 v110, v110, v114
	;; [unrolled: 3-line block ×12, first 2 shown]
	v_add_f32_e32 v119, v110, v156
	buffer_load_dword v115, off, s[0:3], 0 offset:244
	buffer_load_dword v114, off, s[0:3], 0 offset:240
	;; [unrolled: 1-line block ×7, first 2 shown]
	v_fma_f32 v69, v70, v136, -v69
	v_mul_f32_e32 v70, v73, v118
	v_add_f32_e32 v69, 0, v69
	v_fma_f32 v70, v72, v137, -v70
	v_add_f32_e32 v69, v69, v70
	v_mul_f32_e32 v70, v75, v120
	v_fma_f32 v70, v74, v138, -v70
	v_add_f32_e32 v69, v69, v70
	v_mul_f32_e32 v70, v77, v122
	;; [unrolled: 3-line block ×12, first 2 shown]
	s_waitcnt vmcnt(22)
	v_fma_f32 v70, v96, v149, -v70
	v_add_f32_e32 v118, v69, v70
	ds_read2_b64 v[70:73], v68 offset0:59 offset1:60
	ds_read2_b64 v[74:77], v68 offset0:61 offset1:62
	;; [unrolled: 1-line block ×4, first 2 shown]
	s_waitcnt vmcnt(11)
	v_mov_b32_e32 v86, v109
	s_waitcnt lgkmcnt(3)
	v_pk_mul_f32 v[86:87], v[70:71], v[86:87] op_sel_hi:[1,0]
	s_waitcnt vmcnt(10)
	v_pk_fma_f32 v[88:89], v[70:71], v[108:109], v[86:87] op_sel:[0,0,1] op_sel_hi:[1,1,0] neg_lo:[0,0,1] neg_hi:[0,0,1]
	v_pk_fma_f32 v[70:71], v[70:71], v[108:109], v[86:87] op_sel:[0,0,1] op_sel_hi:[1,0,0]
	v_mov_b32_e32 v70, v107
	v_mul_f32_e32 v157, v96, v135
	v_mov_b32_e32 v89, v71
	v_pk_mul_f32 v[70:71], v[72:73], v[70:71] op_sel_hi:[1,0]
	v_fmac_f32_e32 v157, v97, v149
	v_mul_f32_e32 v121, v98, v150
	v_mul_f32_e32 v69, v99, v150
	v_pk_fma_f32 v[86:87], v[72:73], v[106:107], v[70:71] op_sel:[0,0,1] op_sel_hi:[1,1,0] neg_lo:[0,0,1] neg_hi:[0,0,1]
	v_pk_fma_f32 v[70:71], v[72:73], v[106:107], v[70:71] op_sel:[0,0,1] op_sel_hi:[1,0,0]
	v_add_f32_e32 v119, v119, v157
	v_fmac_f32_e32 v121, v99, v151
	v_mul_f32_e32 v123, v100, v152
	v_fma_f32 v120, v98, v151, -v69
	v_mul_f32_e32 v69, v101, v152
	v_mov_b32_e32 v70, v105
	v_fmac_f32_e32 v123, v101, v153
	v_fma_f32 v122, v100, v153, -v69
	v_pk_add_f32 v[68:69], v[118:119], v[120:121]
	v_mov_b32_e32 v87, v71
	s_waitcnt lgkmcnt(2)
	v_pk_mul_f32 v[70:71], v[74:75], v[70:71] op_sel_hi:[1,0]
	v_pk_add_f32 v[68:69], v[68:69], v[122:123]
	v_pk_fma_f32 v[72:73], v[74:75], v[104:105], v[70:71] op_sel:[0,0,1] op_sel_hi:[1,1,0] neg_lo:[0,0,1] neg_hi:[0,0,1]
	v_pk_fma_f32 v[70:71], v[74:75], v[104:105], v[70:71] op_sel:[0,0,1] op_sel_hi:[1,0,0]
	v_pk_add_f32 v[68:69], v[68:69], v[88:89]
	s_waitcnt vmcnt(9)
	v_mov_b32_e32 v70, v111
	v_pk_add_f32 v[68:69], v[68:69], v[86:87]
	v_mov_b32_e32 v73, v71
	v_pk_mul_f32 v[70:71], v[76:77], v[70:71] op_sel_hi:[1,0]
	v_pk_add_f32 v[68:69], v[68:69], v[72:73]
	s_waitcnt vmcnt(2)
	v_pk_fma_f32 v[72:73], v[76:77], v[110:111], v[70:71] op_sel:[0,0,1] op_sel_hi:[1,1,0] neg_lo:[0,0,1] neg_hi:[0,0,1]
	v_pk_fma_f32 v[70:71], v[76:77], v[110:111], v[70:71] op_sel:[0,0,1] op_sel_hi:[1,0,0]
	v_mov_b32_e32 v70, v117
	v_mov_b32_e32 v73, v71
	s_waitcnt lgkmcnt(1)
	v_pk_mul_f32 v[70:71], v[78:79], v[70:71] op_sel_hi:[1,0]
	v_pk_add_f32 v[68:69], v[68:69], v[72:73]
	v_pk_fma_f32 v[72:73], v[78:79], v[116:117], v[70:71] op_sel:[0,0,1] op_sel_hi:[1,1,0] neg_lo:[0,0,1] neg_hi:[0,0,1]
	v_pk_fma_f32 v[70:71], v[78:79], v[116:117], v[70:71] op_sel:[0,0,1] op_sel_hi:[1,0,0]
	v_mov_b32_e32 v70, v115
	v_mov_b32_e32 v73, v71
	v_pk_mul_f32 v[70:71], v[80:81], v[70:71] op_sel_hi:[1,0]
	v_pk_add_f32 v[68:69], v[68:69], v[72:73]
	v_pk_fma_f32 v[72:73], v[80:81], v[114:115], v[70:71] op_sel:[0,0,1] op_sel_hi:[1,1,0] neg_lo:[0,0,1] neg_hi:[0,0,1]
	v_pk_fma_f32 v[70:71], v[80:81], v[114:115], v[70:71] op_sel:[0,0,1] op_sel_hi:[1,0,0]
	v_mov_b32_e32 v70, v113
	v_mov_b32_e32 v73, v71
	s_waitcnt lgkmcnt(0)
	v_pk_mul_f32 v[70:71], v[82:83], v[70:71] op_sel_hi:[1,0]
	v_pk_add_f32 v[68:69], v[68:69], v[72:73]
	v_pk_fma_f32 v[72:73], v[82:83], v[112:113], v[70:71] op_sel:[0,0,1] op_sel_hi:[1,1,0] neg_lo:[0,0,1] neg_hi:[0,0,1]
	v_pk_fma_f32 v[70:71], v[82:83], v[112:113], v[70:71] op_sel:[0,0,1] op_sel_hi:[1,0,0]
	s_waitcnt vmcnt(1)
	v_mov_b32_e32 v70, v125
	v_mov_b32_e32 v73, v71
	v_pk_mul_f32 v[70:71], v[84:85], v[70:71] op_sel_hi:[1,0]
	v_pk_add_f32 v[68:69], v[68:69], v[72:73]
	s_waitcnt vmcnt(0)
	v_pk_fma_f32 v[72:73], v[84:85], v[124:125], v[70:71] op_sel:[0,0,1] op_sel_hi:[1,1,0] neg_lo:[0,0,1] neg_hi:[0,0,1]
	v_pk_fma_f32 v[70:71], v[84:85], v[124:125], v[70:71] op_sel:[0,0,1] op_sel_hi:[1,0,0]
	v_mov_b32_e32 v73, v71
	v_pk_add_f32 v[68:69], v[68:69], v[72:73]
	v_pk_add_f32 v[68:69], v[102:103], v[68:69] neg_lo:[0,1] neg_hi:[0,1]
	buffer_store_dword v69, off, s[0:3], 0 offset:68
	buffer_store_dword v68, off, s[0:3], 0 offset:64
	s_and_saveexec_b64 s[4:5], vcc
	s_cbranch_execz .LBB32_197
; %bb.196:
	buffer_load_dword v68, off, s[0:3], 0 offset:56
	buffer_load_dword v69, off, s[0:3], 0 offset:60
	v_mov_b32_e32 v70, 0
	buffer_store_dword v70, off, s[0:3], 0 offset:56
	buffer_store_dword v70, off, s[0:3], 0 offset:60
	s_waitcnt vmcnt(2)
	ds_write_b64 v1, v[68:69]
.LBB32_197:
	s_or_b64 exec, exec, s[4:5]
	s_waitcnt lgkmcnt(0)
	; wave barrier
	s_waitcnt lgkmcnt(0)
	buffer_load_dword v71, off, s[0:3], 0 offset:68
	buffer_load_dword v124, off, s[0:3], 0 offset:76
	;; [unrolled: 1-line block ×36, first 2 shown]
	v_mov_b32_e32 v70, 0
	buffer_load_dword v113, off, s[0:3], 0 offset:212
	buffer_load_dword v112, off, s[0:3], 0 offset:208
	;; [unrolled: 1-line block ×5, first 2 shown]
	ds_read_b128 v[72:75], v70 offset:336
	ds_read_b128 v[76:79], v70 offset:352
	;; [unrolled: 1-line block ×8, first 2 shown]
	v_cmp_lt_u32_e32 vcc, 6, v0
	s_waitcnt vmcnt(40) lgkmcnt(7)
	v_mul_f32_e32 v104, v72, v71
	s_waitcnt vmcnt(39)
	v_mul_f32_e32 v105, v74, v124
	s_waitcnt vmcnt(38) lgkmcnt(6)
	v_mul_f32_e32 v106, v76, v126
	s_waitcnt vmcnt(37)
	v_mul_f32_e32 v107, v78, v128
	;; [unrolled: 4-line block ×7, first 2 shown]
	s_waitcnt vmcnt(26) lgkmcnt(0)
	v_mul_f32_e32 v125, v100, v144
	s_waitcnt vmcnt(25)
	v_fmac_f32_e32 v104, v73, v145
	s_waitcnt vmcnt(24)
	v_fmac_f32_e32 v105, v75, v146
	v_add_f32_e32 v104, 0, v104
	s_waitcnt vmcnt(23)
	v_fmac_f32_e32 v106, v77, v147
	v_add_f32_e32 v104, v104, v105
	;; [unrolled: 3-line block ×13, first 2 shown]
	v_add_f32_e32 v108, v104, v122
	buffer_load_dword v119, off, s[0:3], 0 offset:244
	buffer_load_dword v118, off, s[0:3], 0 offset:240
	;; [unrolled: 1-line block ×7, first 2 shown]
	s_waitcnt vmcnt(18)
	v_fmac_f32_e32 v125, v101, v159
	ds_read_b128 v[104:107], v70 offset:464
	v_add_f32_e32 v125, v108, v125
	ds_read_b128 v[108:111], v70 offset:480
	buffer_load_dword v131, off, s[0:3], 0 offset:260
	buffer_load_dword v130, off, s[0:3], 0 offset:256
	;; [unrolled: 1-line block ×4, first 2 shown]
	v_mul_f32_e32 v71, v73, v71
	v_fma_f32 v71, v72, v145, -v71
	v_mul_f32_e32 v72, v75, v124
	v_add_f32_e32 v71, 0, v71
	v_fma_f32 v72, v74, v146, -v72
	v_add_f32_e32 v71, v71, v72
	v_mul_f32_e32 v72, v77, v126
	v_fma_f32 v72, v76, v147, -v72
	v_add_f32_e32 v71, v71, v72
	v_mul_f32_e32 v72, v79, v128
	;; [unrolled: 3-line block ×13, first 2 shown]
	v_fma_f32 v72, v100, v159, -v72
	s_waitcnt vmcnt(13)
	v_mov_b32_e32 v84, v115
	v_mul_f32_e32 v127, v102, v160
	v_add_f32_e32 v124, v71, v72
	v_mul_f32_e32 v71, v103, v160
	s_waitcnt lgkmcnt(1)
	v_pk_mul_f32 v[84:85], v[106:107], v[84:85] op_sel_hi:[1,0]
	v_fmac_f32_e32 v127, v103, v161
	v_mul_f32_e32 v129, v104, v162
	v_fma_f32 v126, v102, v161, -v71
	v_mul_f32_e32 v71, v105, v162
	s_waitcnt vmcnt(12)
	v_pk_fma_f32 v[86:87], v[106:107], v[114:115], v[84:85] op_sel:[0,0,1] op_sel_hi:[1,1,0] neg_lo:[0,0,1] neg_hi:[0,0,1]
	v_pk_fma_f32 v[84:85], v[106:107], v[114:115], v[84:85] op_sel:[0,0,1] op_sel_hi:[1,0,0]
	v_fmac_f32_e32 v129, v105, v163
	v_fma_f32 v128, v104, v163, -v71
	v_pk_add_f32 v[82:83], v[124:125], v[126:127]
	v_mov_b32_e32 v84, v113
	v_pk_add_f32 v[82:83], v[82:83], v[128:129]
	v_mov_b32_e32 v87, v85
	s_waitcnt lgkmcnt(0)
	v_pk_mul_f32 v[84:85], v[108:109], v[84:85] op_sel_hi:[1,0]
	v_pk_add_f32 v[82:83], v[82:83], v[86:87]
	v_pk_fma_f32 v[86:87], v[108:109], v[112:113], v[84:85] op_sel:[0,0,1] op_sel_hi:[1,1,0] neg_lo:[0,0,1] neg_hi:[0,0,1]
	v_pk_fma_f32 v[84:85], v[108:109], v[112:113], v[84:85] op_sel:[0,0,1] op_sel_hi:[1,0,0]
	s_waitcnt vmcnt(11)
	v_mov_b32_e32 v84, v117
	ds_read_b128 v[72:75], v70 offset:496
	ds_read_b128 v[76:79], v70 offset:512
	ds_read_b64 v[80:81], v70 offset:528
	v_mov_b32_e32 v87, v85
	v_pk_mul_f32 v[84:85], v[110:111], v[84:85] op_sel_hi:[1,0]
	v_pk_add_f32 v[82:83], v[82:83], v[86:87]
	s_waitcnt vmcnt(4)
	v_pk_fma_f32 v[86:87], v[110:111], v[116:117], v[84:85] op_sel:[0,0,1] op_sel_hi:[1,1,0] neg_lo:[0,0,1] neg_hi:[0,0,1]
	v_pk_fma_f32 v[84:85], v[110:111], v[116:117], v[84:85] op_sel:[0,0,1] op_sel_hi:[1,0,0]
	v_mov_b32_e32 v84, v123
	v_mov_b32_e32 v87, v85
	s_waitcnt lgkmcnt(2)
	v_pk_mul_f32 v[84:85], v[72:73], v[84:85] op_sel_hi:[1,0]
	v_pk_add_f32 v[82:83], v[82:83], v[86:87]
	v_pk_fma_f32 v[86:87], v[72:73], v[122:123], v[84:85] op_sel:[0,0,1] op_sel_hi:[1,1,0] neg_lo:[0,0,1] neg_hi:[0,0,1]
	v_pk_fma_f32 v[72:73], v[72:73], v[122:123], v[84:85] op_sel:[0,0,1] op_sel_hi:[1,0,0]
	v_mov_b32_e32 v87, v73
	v_pk_add_f32 v[72:73], v[82:83], v[86:87]
	v_mov_b32_e32 v82, v121
	v_pk_mul_f32 v[82:83], v[74:75], v[82:83] op_sel_hi:[1,0]
	v_pk_fma_f32 v[84:85], v[74:75], v[120:121], v[82:83] op_sel:[0,0,1] op_sel_hi:[1,1,0] neg_lo:[0,0,1] neg_hi:[0,0,1]
	v_pk_fma_f32 v[74:75], v[74:75], v[120:121], v[82:83] op_sel:[0,0,1] op_sel_hi:[1,0,0]
	v_mov_b32_e32 v74, v119
	v_mov_b32_e32 v85, v75
	s_waitcnt lgkmcnt(1)
	v_pk_mul_f32 v[74:75], v[76:77], v[74:75] op_sel_hi:[1,0]
	v_pk_fma_f32 v[82:83], v[76:77], v[118:119], v[74:75] op_sel:[0,0,1] op_sel_hi:[1,1,0] neg_lo:[0,0,1] neg_hi:[0,0,1]
	v_pk_fma_f32 v[74:75], v[76:77], v[118:119], v[74:75] op_sel:[0,0,1] op_sel_hi:[1,0,0]
	s_waitcnt vmcnt(1)
	v_mov_b32_e32 v74, v133
	v_mov_b32_e32 v83, v75
	v_pk_mul_f32 v[74:75], v[78:79], v[74:75] op_sel_hi:[1,0]
	s_waitcnt vmcnt(0)
	v_pk_fma_f32 v[76:77], v[78:79], v[132:133], v[74:75] op_sel:[0,0,1] op_sel_hi:[1,1,0] neg_lo:[0,0,1] neg_hi:[0,0,1]
	v_pk_fma_f32 v[74:75], v[78:79], v[132:133], v[74:75] op_sel:[0,0,1] op_sel_hi:[1,0,0]
	v_pk_add_f32 v[72:73], v[72:73], v[84:85]
	v_mov_b32_e32 v74, v131
	v_pk_add_f32 v[72:73], v[72:73], v[82:83]
	v_mov_b32_e32 v77, v75
	s_waitcnt lgkmcnt(0)
	v_pk_mul_f32 v[74:75], v[80:81], v[74:75] op_sel_hi:[1,0]
	v_pk_add_f32 v[72:73], v[72:73], v[76:77]
	v_pk_fma_f32 v[76:77], v[80:81], v[130:131], v[74:75] op_sel:[0,0,1] op_sel_hi:[1,1,0] neg_lo:[0,0,1] neg_hi:[0,0,1]
	v_pk_fma_f32 v[74:75], v[80:81], v[130:131], v[74:75] op_sel:[0,0,1] op_sel_hi:[1,0,0]
	v_mov_b32_e32 v77, v75
	v_pk_add_f32 v[72:73], v[72:73], v[76:77]
	v_pk_add_f32 v[68:69], v[68:69], v[72:73] neg_lo:[0,1] neg_hi:[0,1]
	buffer_store_dword v69, off, s[0:3], 0 offset:60
	buffer_store_dword v68, off, s[0:3], 0 offset:56
	s_and_saveexec_b64 s[4:5], vcc
	s_cbranch_execz .LBB32_199
; %bb.198:
	buffer_load_dword v68, off, s[0:3], 0 offset:48
	buffer_load_dword v69, off, s[0:3], 0 offset:52
	s_waitcnt vmcnt(0)
	ds_write_b64 v1, v[68:69]
	buffer_store_dword v70, off, s[0:3], 0 offset:48
	buffer_store_dword v70, off, s[0:3], 0 offset:52
.LBB32_199:
	s_or_b64 exec, exec, s[4:5]
	s_waitcnt lgkmcnt(0)
	; wave barrier
	s_waitcnt lgkmcnt(0)
	buffer_load_dword v68, off, s[0:3], 0 offset:60
	buffer_load_dword v69, off, s[0:3], 0 offset:68
	;; [unrolled: 1-line block ×38, first 2 shown]
	ds_read2_b64 v[72:75], v70 offset0:41 offset1:42
	ds_read2_b64 v[76:79], v70 offset0:43 offset1:44
	;; [unrolled: 1-line block ×8, first 2 shown]
	buffer_load_dword v115, off, s[0:3], 0 offset:204
	buffer_load_dword v114, off, s[0:3], 0 offset:200
	;; [unrolled: 1-line block ×4, first 2 shown]
	v_cmp_lt_u32_e32 vcc, 5, v0
	s_waitcnt vmcnt(41) lgkmcnt(7)
	v_mul_f32_e32 v104, v72, v68
	s_waitcnt vmcnt(40)
	v_mul_f32_e32 v105, v74, v69
	s_waitcnt vmcnt(39) lgkmcnt(6)
	v_mul_f32_e32 v106, v76, v71
	s_waitcnt vmcnt(38)
	v_mul_f32_e32 v107, v78, v124
	;; [unrolled: 4-line block ×7, first 2 shown]
	s_waitcnt vmcnt(27) lgkmcnt(0)
	v_mul_f32_e32 v125, v100, v144
	s_waitcnt vmcnt(26)
	v_fmac_f32_e32 v104, v73, v145
	s_waitcnt vmcnt(25)
	v_fmac_f32_e32 v105, v75, v146
	v_add_f32_e32 v104, 0, v104
	s_waitcnt vmcnt(24)
	v_fmac_f32_e32 v106, v77, v147
	v_add_f32_e32 v104, v104, v105
	;; [unrolled: 3-line block ×13, first 2 shown]
	v_add_f32_e32 v104, v104, v123
	buffer_load_dword v119, off, s[0:3], 0 offset:228
	buffer_load_dword v118, off, s[0:3], 0 offset:224
	;; [unrolled: 1-line block ×6, first 2 shown]
	s_waitcnt vmcnt(18)
	v_fmac_f32_e32 v125, v101, v159
	s_waitcnt vmcnt(17)
	v_mul_f32_e32 v109, v102, v160
	v_add_f32_e32 v108, v104, v125
	s_waitcnt vmcnt(16)
	v_fmac_f32_e32 v109, v103, v161
	ds_read2_b64 v[104:107], v70 offset0:57 offset1:58
	v_add_f32_e32 v125, v108, v109
	ds_read2_b64 v[108:111], v70 offset0:59 offset1:60
	buffer_load_dword v131, off, s[0:3], 0 offset:260
	buffer_load_dword v130, off, s[0:3], 0 offset:256
	;; [unrolled: 1-line block ×6, first 2 shown]
	v_mul_f32_e32 v68, v73, v68
	v_fma_f32 v68, v72, v145, -v68
	v_mul_f32_e32 v69, v75, v69
	v_add_f32_e32 v68, 0, v68
	v_fma_f32 v69, v74, v146, -v69
	v_add_f32_e32 v68, v68, v69
	v_mul_f32_e32 v69, v77, v71
	v_fma_f32 v69, v76, v147, -v69
	v_add_f32_e32 v68, v68, v69
	v_mul_f32_e32 v69, v79, v124
	;; [unrolled: 3-line block ×14, first 2 shown]
	v_fma_f32 v69, v102, v161, -v69
	s_waitcnt vmcnt(15)
	v_mov_b32_e32 v82, v115
	s_waitcnt lgkmcnt(1)
	v_mul_f32_e32 v127, v104, v162
	v_add_f32_e32 v124, v68, v69
	v_mul_f32_e32 v68, v105, v162
	s_waitcnt lgkmcnt(0)
	v_pk_mul_f32 v[82:83], v[108:109], v[82:83] op_sel_hi:[1,0]
	v_fmac_f32_e32 v127, v105, v163
	v_mul_f32_e32 v129, v106, v164
	v_fma_f32 v126, v104, v163, -v68
	v_mul_f32_e32 v68, v107, v164
	s_waitcnt vmcnt(14)
	v_pk_fma_f32 v[84:85], v[108:109], v[114:115], v[82:83] op_sel:[0,0,1] op_sel_hi:[1,1,0] neg_lo:[0,0,1] neg_hi:[0,0,1]
	v_pk_fma_f32 v[82:83], v[108:109], v[114:115], v[82:83] op_sel:[0,0,1] op_sel_hi:[1,0,0]
	v_fmac_f32_e32 v129, v107, v165
	v_fma_f32 v128, v106, v165, -v68
	v_pk_add_f32 v[80:81], v[124:125], v[126:127]
	ds_read2_b64 v[72:75], v70 offset0:61 offset1:62
	ds_read2_b64 v[76:79], v70 offset0:63 offset1:64
	;; [unrolled: 1-line block ×3, first 2 shown]
	v_pk_add_f32 v[80:81], v[80:81], v[128:129]
	v_mov_b32_e32 v85, v83
	v_pk_add_f32 v[80:81], v[80:81], v[84:85]
	s_waitcnt vmcnt(7)
	v_mov_b32_e32 v82, v123
	v_pk_mul_f32 v[82:83], v[110:111], v[82:83] op_sel_hi:[1,0]
	s_waitcnt vmcnt(6)
	v_pk_fma_f32 v[84:85], v[110:111], v[122:123], v[82:83] op_sel:[0,0,1] op_sel_hi:[1,1,0] neg_lo:[0,0,1] neg_hi:[0,0,1]
	v_pk_fma_f32 v[82:83], v[110:111], v[122:123], v[82:83] op_sel:[0,0,1] op_sel_hi:[1,0,0]
	v_mov_b32_e32 v82, v121
	v_mov_b32_e32 v85, v83
	s_waitcnt lgkmcnt(2)
	v_pk_mul_f32 v[82:83], v[72:73], v[82:83] op_sel_hi:[1,0]
	v_pk_add_f32 v[80:81], v[80:81], v[84:85]
	v_pk_fma_f32 v[84:85], v[72:73], v[120:121], v[82:83] op_sel:[0,0,1] op_sel_hi:[1,1,0] neg_lo:[0,0,1] neg_hi:[0,0,1]
	v_pk_fma_f32 v[72:73], v[72:73], v[120:121], v[82:83] op_sel:[0,0,1] op_sel_hi:[1,0,0]
	v_mov_b32_e32 v85, v73
	v_pk_add_f32 v[72:73], v[80:81], v[84:85]
	v_mov_b32_e32 v80, v119
	v_pk_mul_f32 v[80:81], v[74:75], v[80:81] op_sel_hi:[1,0]
	v_pk_fma_f32 v[82:83], v[74:75], v[118:119], v[80:81] op_sel:[0,0,1] op_sel_hi:[1,1,0] neg_lo:[0,0,1] neg_hi:[0,0,1]
	v_pk_fma_f32 v[74:75], v[74:75], v[118:119], v[80:81] op_sel:[0,0,1] op_sel_hi:[1,0,0]
	v_mov_b32_e32 v74, v117
	v_mov_b32_e32 v83, v75
	s_waitcnt lgkmcnt(1)
	v_pk_mul_f32 v[74:75], v[76:77], v[74:75] op_sel_hi:[1,0]
	v_pk_fma_f32 v[80:81], v[76:77], v[116:117], v[74:75] op_sel:[0,0,1] op_sel_hi:[1,1,0] neg_lo:[0,0,1] neg_hi:[0,0,1]
	v_pk_fma_f32 v[74:75], v[76:77], v[116:117], v[74:75] op_sel:[0,0,1] op_sel_hi:[1,0,0]
	s_waitcnt vmcnt(1)
	v_mov_b32_e32 v74, v135
	v_mov_b32_e32 v81, v75
	v_pk_mul_f32 v[74:75], v[78:79], v[74:75] op_sel_hi:[1,0]
	s_waitcnt vmcnt(0)
	v_pk_fma_f32 v[76:77], v[78:79], v[134:135], v[74:75] op_sel:[0,0,1] op_sel_hi:[1,1,0] neg_lo:[0,0,1] neg_hi:[0,0,1]
	v_pk_fma_f32 v[74:75], v[78:79], v[134:135], v[74:75] op_sel:[0,0,1] op_sel_hi:[1,0,0]
	v_pk_add_f32 v[72:73], v[72:73], v[82:83]
	v_mov_b32_e32 v74, v133
	v_pk_add_f32 v[72:73], v[72:73], v[80:81]
	v_mov_b32_e32 v77, v75
	s_waitcnt lgkmcnt(0)
	v_pk_mul_f32 v[74:75], v[68:69], v[74:75] op_sel_hi:[1,0]
	v_pk_add_f32 v[72:73], v[72:73], v[76:77]
	v_pk_fma_f32 v[76:77], v[68:69], v[132:133], v[74:75] op_sel:[0,0,1] op_sel_hi:[1,1,0] neg_lo:[0,0,1] neg_hi:[0,0,1]
	v_pk_fma_f32 v[68:69], v[68:69], v[132:133], v[74:75] op_sel:[0,0,1] op_sel_hi:[1,0,0]
	v_mov_b32_e32 v77, v69
	v_pk_add_f32 v[68:69], v[72:73], v[76:77]
	v_mov_b32_e32 v72, v131
	v_pk_mul_f32 v[72:73], v[70:71], v[72:73] op_sel_hi:[1,0]
	v_pk_fma_f32 v[74:75], v[70:71], v[130:131], v[72:73] op_sel:[0,0,1] op_sel_hi:[1,1,0] neg_lo:[0,0,1] neg_hi:[0,0,1]
	v_pk_fma_f32 v[70:71], v[70:71], v[130:131], v[72:73] op_sel:[0,0,1] op_sel_hi:[1,0,0]
	v_mov_b32_e32 v75, v71
	v_pk_add_f32 v[68:69], v[68:69], v[74:75]
	v_pk_add_f32 v[68:69], v[112:113], v[68:69] neg_lo:[0,1] neg_hi:[0,1]
	buffer_store_dword v69, off, s[0:3], 0 offset:52
	buffer_store_dword v68, off, s[0:3], 0 offset:48
	s_and_saveexec_b64 s[4:5], vcc
	s_cbranch_execz .LBB32_201
; %bb.200:
	buffer_load_dword v68, off, s[0:3], 0 offset:40
	buffer_load_dword v69, off, s[0:3], 0 offset:44
	v_mov_b32_e32 v70, 0
	buffer_store_dword v70, off, s[0:3], 0 offset:40
	buffer_store_dword v70, off, s[0:3], 0 offset:44
	s_waitcnt vmcnt(2)
	ds_write_b64 v1, v[68:69]
.LBB32_201:
	s_or_b64 exec, exec, s[4:5]
	s_waitcnt lgkmcnt(0)
	; wave barrier
	s_waitcnt lgkmcnt(0)
	buffer_load_dword v71, off, s[0:3], 0 offset:52
	buffer_load_dword v120, off, s[0:3], 0 offset:60
	;; [unrolled: 1-line block ×40, first 2 shown]
	v_mov_b32_e32 v70, 0
	ds_read_b128 v[72:75], v70 offset:320
	ds_read_b128 v[76:79], v70 offset:336
	;; [unrolled: 1-line block ×8, first 2 shown]
	v_cmp_lt_u32_e32 vcc, 4, v0
	s_waitcnt vmcnt(39) lgkmcnt(7)
	v_mul_f32_e32 v104, v72, v71
	s_waitcnt vmcnt(38)
	v_mul_f32_e32 v105, v74, v120
	s_waitcnt vmcnt(37) lgkmcnt(6)
	v_mul_f32_e32 v106, v76, v122
	s_waitcnt vmcnt(36)
	v_mul_f32_e32 v107, v78, v124
	;; [unrolled: 4-line block ×8, first 2 shown]
	s_waitcnt vmcnt(23)
	v_fmac_f32_e32 v104, v73, v146
	s_waitcnt vmcnt(22)
	v_fmac_f32_e32 v105, v75, v147
	v_add_f32_e32 v104, 0, v104
	s_waitcnt vmcnt(21)
	v_fmac_f32_e32 v106, v77, v148
	v_add_f32_e32 v104, v104, v105
	;; [unrolled: 3-line block ×14, first 2 shown]
	v_add_f32_e32 v104, v104, v118
	s_waitcnt vmcnt(8)
	v_fmac_f32_e32 v119, v103, v161
	v_add_f32_e32 v121, v104, v119
	ds_read_b128 v[104:107], v70 offset:448
	buffer_load_dword v113, off, s[0:3], 0 offset:204
	buffer_load_dword v115, off, s[0:3], 0 offset:228
	;; [unrolled: 1-line block ×8, first 2 shown]
	ds_read_b128 v[108:111], v70 offset:464
	buffer_load_dword v127, off, s[0:3], 0 offset:260
	buffer_load_dword v126, off, s[0:3], 0 offset:256
	;; [unrolled: 1-line block ×8, first 2 shown]
	v_mul_f32_e32 v71, v73, v71
	v_fma_f32 v71, v72, v146, -v71
	v_mul_f32_e32 v72, v75, v120
	v_add_f32_e32 v71, 0, v71
	v_fma_f32 v72, v74, v147, -v72
	v_add_f32_e32 v71, v71, v72
	v_mul_f32_e32 v72, v77, v122
	v_fma_f32 v72, v76, v148, -v72
	v_add_f32_e32 v71, v71, v72
	v_mul_f32_e32 v72, v79, v124
	;; [unrolled: 3-line block ×14, first 2 shown]
	v_fma_f32 v72, v102, v161, -v72
	s_waitcnt vmcnt(23) lgkmcnt(1)
	v_mul_f32_e32 v123, v104, v162
	v_add_f32_e32 v71, v71, v72
	v_mul_f32_e32 v72, v105, v162
	s_waitcnt vmcnt(22)
	v_fmac_f32_e32 v123, v105, v163
	v_fma_f32 v72, v104, v163, -v72
	v_add_f32_e32 v121, v121, v123
	s_waitcnt vmcnt(21)
	v_mul_f32_e32 v123, v106, v164
	v_add_f32_e32 v120, v71, v72
	v_mul_f32_e32 v71, v107, v164
	s_waitcnt vmcnt(20)
	v_fmac_f32_e32 v123, v107, v165
	s_waitcnt vmcnt(19) lgkmcnt(0)
	v_mul_f32_e32 v125, v108, v166
	v_fma_f32 v122, v106, v165, -v71
	v_mul_f32_e32 v71, v109, v166
	ds_read_b128 v[72:75], v70 offset:480
	ds_read_b128 v[76:79], v70 offset:496
	;; [unrolled: 1-line block ×3, first 2 shown]
	ds_read_b64 v[84:85], v70 offset:528
	s_waitcnt vmcnt(18)
	v_fmac_f32_e32 v125, v109, v167
	v_fma_f32 v124, v108, v167, -v71
	v_pk_add_f32 v[86:87], v[120:121], v[122:123]
	v_pk_add_f32 v[86:87], v[86:87], v[124:125]
	s_waitcnt vmcnt(15)
	v_mov_b32_e32 v88, v113
	v_pk_mul_f32 v[88:89], v[110:111], v[88:89] op_sel_hi:[1,0]
	s_waitcnt vmcnt(8)
	v_pk_fma_f32 v[90:91], v[110:111], v[112:113], v[88:89] op_sel:[0,0,1] op_sel_hi:[1,1,0] neg_lo:[0,0,1] neg_hi:[0,0,1]
	v_pk_fma_f32 v[88:89], v[110:111], v[112:113], v[88:89] op_sel:[0,0,1] op_sel_hi:[1,0,0]
	v_mov_b32_e32 v88, v119
	v_mov_b32_e32 v91, v89
	s_waitcnt lgkmcnt(3)
	v_pk_mul_f32 v[88:89], v[72:73], v[88:89] op_sel_hi:[1,0]
	v_pk_add_f32 v[86:87], v[86:87], v[90:91]
	v_pk_fma_f32 v[90:91], v[72:73], v[118:119], v[88:89] op_sel:[0,0,1] op_sel_hi:[1,1,0] neg_lo:[0,0,1] neg_hi:[0,0,1]
	v_pk_fma_f32 v[72:73], v[72:73], v[118:119], v[88:89] op_sel:[0,0,1] op_sel_hi:[1,0,0]
	v_mov_b32_e32 v91, v73
	v_pk_add_f32 v[72:73], v[86:87], v[90:91]
	v_mov_b32_e32 v86, v117
	v_pk_mul_f32 v[86:87], v[74:75], v[86:87] op_sel_hi:[1,0]
	v_pk_fma_f32 v[88:89], v[74:75], v[116:117], v[86:87] op_sel:[0,0,1] op_sel_hi:[1,1,0] neg_lo:[0,0,1] neg_hi:[0,0,1]
	v_pk_fma_f32 v[74:75], v[74:75], v[116:117], v[86:87] op_sel:[0,0,1] op_sel_hi:[1,0,0]
	v_mov_b32_e32 v74, v115
	v_mov_b32_e32 v89, v75
	s_waitcnt lgkmcnt(2)
	v_pk_mul_f32 v[74:75], v[76:77], v[74:75] op_sel_hi:[1,0]
	v_pk_fma_f32 v[86:87], v[76:77], v[114:115], v[74:75] op_sel:[0,0,1] op_sel_hi:[1,1,0] neg_lo:[0,0,1] neg_hi:[0,0,1]
	v_pk_fma_f32 v[74:75], v[76:77], v[114:115], v[74:75] op_sel:[0,0,1] op_sel_hi:[1,0,0]
	s_waitcnt vmcnt(1)
	v_mov_b32_e32 v74, v133
	v_mov_b32_e32 v87, v75
	v_pk_mul_f32 v[74:75], v[78:79], v[74:75] op_sel_hi:[1,0]
	s_waitcnt vmcnt(0)
	v_pk_fma_f32 v[76:77], v[78:79], v[132:133], v[74:75] op_sel:[0,0,1] op_sel_hi:[1,1,0] neg_lo:[0,0,1] neg_hi:[0,0,1]
	v_pk_fma_f32 v[74:75], v[78:79], v[132:133], v[74:75] op_sel:[0,0,1] op_sel_hi:[1,0,0]
	v_pk_add_f32 v[72:73], v[72:73], v[88:89]
	v_mov_b32_e32 v74, v131
	v_pk_add_f32 v[72:73], v[72:73], v[86:87]
	v_mov_b32_e32 v77, v75
	s_waitcnt lgkmcnt(1)
	v_pk_mul_f32 v[74:75], v[80:81], v[74:75] op_sel_hi:[1,0]
	v_pk_add_f32 v[72:73], v[72:73], v[76:77]
	v_pk_fma_f32 v[76:77], v[80:81], v[130:131], v[74:75] op_sel:[0,0,1] op_sel_hi:[1,1,0] neg_lo:[0,0,1] neg_hi:[0,0,1]
	v_pk_fma_f32 v[74:75], v[80:81], v[130:131], v[74:75] op_sel:[0,0,1] op_sel_hi:[1,0,0]
	v_mov_b32_e32 v74, v129
	v_mov_b32_e32 v77, v75
	v_pk_mul_f32 v[74:75], v[82:83], v[74:75] op_sel_hi:[1,0]
	v_pk_add_f32 v[72:73], v[72:73], v[76:77]
	v_pk_fma_f32 v[76:77], v[82:83], v[128:129], v[74:75] op_sel:[0,0,1] op_sel_hi:[1,1,0] neg_lo:[0,0,1] neg_hi:[0,0,1]
	v_pk_fma_f32 v[74:75], v[82:83], v[128:129], v[74:75] op_sel:[0,0,1] op_sel_hi:[1,0,0]
	v_mov_b32_e32 v74, v127
	v_mov_b32_e32 v77, v75
	s_waitcnt lgkmcnt(0)
	v_pk_mul_f32 v[74:75], v[84:85], v[74:75] op_sel_hi:[1,0]
	v_pk_add_f32 v[72:73], v[72:73], v[76:77]
	v_pk_fma_f32 v[76:77], v[84:85], v[126:127], v[74:75] op_sel:[0,0,1] op_sel_hi:[1,1,0] neg_lo:[0,0,1] neg_hi:[0,0,1]
	v_pk_fma_f32 v[74:75], v[84:85], v[126:127], v[74:75] op_sel:[0,0,1] op_sel_hi:[1,0,0]
	v_mov_b32_e32 v77, v75
	v_pk_add_f32 v[72:73], v[72:73], v[76:77]
	v_pk_add_f32 v[68:69], v[68:69], v[72:73] neg_lo:[0,1] neg_hi:[0,1]
	buffer_store_dword v69, off, s[0:3], 0 offset:44
	buffer_store_dword v68, off, s[0:3], 0 offset:40
	s_and_saveexec_b64 s[4:5], vcc
	s_cbranch_execz .LBB32_203
; %bb.202:
	buffer_load_dword v68, off, s[0:3], 0 offset:32
	buffer_load_dword v69, off, s[0:3], 0 offset:36
	s_waitcnt vmcnt(0)
	ds_write_b64 v1, v[68:69]
	buffer_store_dword v70, off, s[0:3], 0 offset:32
	buffer_store_dword v70, off, s[0:3], 0 offset:36
.LBB32_203:
	s_or_b64 exec, exec, s[4:5]
	s_waitcnt lgkmcnt(0)
	; wave barrier
	s_waitcnt lgkmcnt(0)
	buffer_load_dword v71, off, s[0:3], 0 offset:44
	buffer_load_dword v112, off, s[0:3], 0 offset:52
	;; [unrolled: 1-line block ×42, first 2 shown]
	ds_read2_b64 v[72:75], v70 offset0:39 offset1:40
	ds_read2_b64 v[76:79], v70 offset0:41 offset1:42
	;; [unrolled: 1-line block ×8, first 2 shown]
	v_cmp_lt_u32_e32 vcc, 3, v0
	s_waitcnt vmcnt(41) lgkmcnt(7)
	v_mul_f32_e32 v104, v72, v71
	s_waitcnt vmcnt(40)
	v_mul_f32_e32 v105, v74, v112
	s_waitcnt vmcnt(39) lgkmcnt(6)
	v_mul_f32_e32 v106, v76, v114
	s_waitcnt vmcnt(38)
	v_mul_f32_e32 v107, v78, v122
	;; [unrolled: 4-line block ×7, first 2 shown]
	s_waitcnt vmcnt(27) lgkmcnt(0)
	v_mul_f32_e32 v120, v100, v144
	s_waitcnt vmcnt(26)
	v_fmac_f32_e32 v104, v73, v145
	s_waitcnt vmcnt(25)
	v_fmac_f32_e32 v105, v75, v146
	v_add_f32_e32 v104, 0, v104
	s_waitcnt vmcnt(24)
	v_fmac_f32_e32 v106, v77, v147
	v_add_f32_e32 v104, v104, v105
	;; [unrolled: 3-line block ×14, first 2 shown]
	s_waitcnt vmcnt(11)
	v_mul_f32_e32 v109, v102, v160
	v_add_f32_e32 v108, v104, v120
	s_waitcnt vmcnt(10)
	v_fmac_f32_e32 v109, v103, v161
	ds_read2_b64 v[104:107], v70 offset0:55 offset1:56
	v_add_f32_e32 v113, v108, v109
	ds_read2_b64 v[108:111], v70 offset0:57 offset1:58
	buffer_load_dword v117, off, s[0:3], 0 offset:204
	buffer_load_dword v119, off, s[0:3], 0 offset:220
	;; [unrolled: 1-line block ×16, first 2 shown]
	v_mul_f32_e32 v71, v73, v71
	v_fma_f32 v71, v72, v145, -v71
	v_mul_f32_e32 v72, v75, v112
	v_add_f32_e32 v71, 0, v71
	v_fma_f32 v72, v74, v146, -v72
	v_add_f32_e32 v71, v71, v72
	v_mul_f32_e32 v72, v77, v114
	v_fma_f32 v72, v76, v147, -v72
	v_add_f32_e32 v71, v71, v72
	v_mul_f32_e32 v72, v79, v122
	v_fma_f32 v72, v78, v148, -v72
	v_add_f32_e32 v71, v71, v72
	v_mul_f32_e32 v72, v81, v134
	v_fma_f32 v72, v80, v149, -v72
	v_add_f32_e32 v71, v71, v72
	v_mul_f32_e32 v72, v83, v135
	v_fma_f32 v72, v82, v150, -v72
	v_add_f32_e32 v71, v71, v72
	v_mul_f32_e32 v72, v85, v136
	v_fma_f32 v72, v84, v151, -v72
	v_add_f32_e32 v71, v71, v72
	v_mul_f32_e32 v72, v87, v137
	v_fma_f32 v72, v86, v152, -v72
	v_add_f32_e32 v71, v71, v72
	v_mul_f32_e32 v72, v89, v138
	v_fma_f32 v72, v88, v153, -v72
	v_add_f32_e32 v71, v71, v72
	v_mul_f32_e32 v72, v91, v139
	v_fma_f32 v72, v90, v154, -v72
	v_add_f32_e32 v71, v71, v72
	v_mul_f32_e32 v72, v93, v140
	v_fma_f32 v72, v92, v155, -v72
	v_add_f32_e32 v71, v71, v72
	v_mul_f32_e32 v72, v95, v141
	v_fma_f32 v72, v94, v156, -v72
	v_add_f32_e32 v71, v71, v72
	v_mul_f32_e32 v72, v97, v142
	v_fma_f32 v72, v96, v157, -v72
	v_add_f32_e32 v71, v71, v72
	v_mul_f32_e32 v72, v99, v143
	v_fma_f32 v72, v98, v158, -v72
	v_add_f32_e32 v71, v71, v72
	v_mul_f32_e32 v72, v101, v144
	v_fma_f32 v72, v100, v159, -v72
	v_add_f32_e32 v71, v71, v72
	v_mul_f32_e32 v72, v103, v160
	v_fma_f32 v72, v102, v161, -v72
	v_add_f32_e32 v71, v71, v72
	s_waitcnt vmcnt(25) lgkmcnt(1)
	v_mul_f32_e32 v72, v105, v162
	s_waitcnt vmcnt(24)
	v_fma_f32 v72, v104, v163, -v72
	v_add_f32_e32 v71, v71, v72
	s_waitcnt vmcnt(23)
	v_mul_f32_e32 v72, v107, v164
	s_waitcnt vmcnt(22)
	v_fma_f32 v72, v106, v165, -v72
	v_add_f32_e32 v112, v71, v72
	ds_read2_b64 v[72:75], v70 offset0:59 offset1:60
	ds_read2_b64 v[76:79], v70 offset0:61 offset1:62
	;; [unrolled: 1-line block ×4, first 2 shown]
	v_mul_f32_e32 v115, v104, v162
	v_fmac_f32_e32 v115, v105, v163
	v_add_f32_e32 v113, v113, v115
	v_mul_f32_e32 v115, v106, v164
	v_fmac_f32_e32 v115, v107, v165
	v_add_f32_e32 v113, v113, v115
	s_waitcnt vmcnt(21) lgkmcnt(4)
	v_mul_f32_e32 v115, v108, v166
	v_mul_f32_e32 v71, v109, v166
	s_waitcnt vmcnt(20)
	v_fmac_f32_e32 v115, v109, v167
	s_waitcnt vmcnt(19)
	v_mul_f32_e32 v123, v110, v168
	v_fma_f32 v114, v108, v167, -v71
	v_mul_f32_e32 v71, v111, v168
	s_waitcnt vmcnt(18)
	v_fmac_f32_e32 v123, v111, v169
	v_fma_f32 v122, v110, v169, -v71
	v_pk_add_f32 v[70:71], v[112:113], v[114:115]
	v_pk_add_f32 v[70:71], v[70:71], v[122:123]
	s_waitcnt vmcnt(15)
	v_mov_b32_e32 v88, v117
	s_waitcnt lgkmcnt(3)
	v_pk_mul_f32 v[88:89], v[72:73], v[88:89] op_sel_hi:[1,0]
	s_waitcnt vmcnt(10)
	v_pk_fma_f32 v[90:91], v[72:73], v[116:117], v[88:89] op_sel:[0,0,1] op_sel_hi:[1,1,0] neg_lo:[0,0,1] neg_hi:[0,0,1]
	v_pk_fma_f32 v[72:73], v[72:73], v[116:117], v[88:89] op_sel:[0,0,1] op_sel_hi:[1,0,0]
	v_mov_b32_e32 v72, v121
	v_mov_b32_e32 v91, v73
	v_pk_mul_f32 v[72:73], v[74:75], v[72:73] op_sel_hi:[1,0]
	v_pk_fma_f32 v[88:89], v[74:75], v[120:121], v[72:73] op_sel:[0,0,1] op_sel_hi:[1,1,0] neg_lo:[0,0,1] neg_hi:[0,0,1]
	v_pk_fma_f32 v[72:73], v[74:75], v[120:121], v[72:73] op_sel:[0,0,1] op_sel_hi:[1,0,0]
	v_mov_b32_e32 v72, v119
	v_mov_b32_e32 v89, v73
	s_waitcnt lgkmcnt(2)
	v_pk_mul_f32 v[72:73], v[76:77], v[72:73] op_sel_hi:[1,0]
	v_pk_fma_f32 v[74:75], v[76:77], v[118:119], v[72:73] op_sel:[0,0,1] op_sel_hi:[1,1,0] neg_lo:[0,0,1] neg_hi:[0,0,1]
	v_pk_fma_f32 v[72:73], v[76:77], v[118:119], v[72:73] op_sel:[0,0,1] op_sel_hi:[1,0,0]
	v_pk_add_f32 v[70:71], v[70:71], v[90:91]
	s_waitcnt vmcnt(3)
	v_mov_b32_e32 v72, v131
	v_pk_add_f32 v[70:71], v[70:71], v[88:89]
	v_mov_b32_e32 v75, v73
	v_pk_mul_f32 v[72:73], v[78:79], v[72:73] op_sel_hi:[1,0]
	v_pk_add_f32 v[70:71], v[70:71], v[74:75]
	s_waitcnt vmcnt(2)
	v_pk_fma_f32 v[74:75], v[78:79], v[130:131], v[72:73] op_sel:[0,0,1] op_sel_hi:[1,1,0] neg_lo:[0,0,1] neg_hi:[0,0,1]
	v_pk_fma_f32 v[72:73], v[78:79], v[130:131], v[72:73] op_sel:[0,0,1] op_sel_hi:[1,0,0]
	v_mov_b32_e32 v72, v129
	v_mov_b32_e32 v75, v73
	s_waitcnt lgkmcnt(1)
	v_pk_mul_f32 v[72:73], v[80:81], v[72:73] op_sel_hi:[1,0]
	v_pk_add_f32 v[70:71], v[70:71], v[74:75]
	v_pk_fma_f32 v[74:75], v[80:81], v[128:129], v[72:73] op_sel:[0,0,1] op_sel_hi:[1,1,0] neg_lo:[0,0,1] neg_hi:[0,0,1]
	v_pk_fma_f32 v[72:73], v[80:81], v[128:129], v[72:73] op_sel:[0,0,1] op_sel_hi:[1,0,0]
	v_mov_b32_e32 v72, v127
	v_mov_b32_e32 v75, v73
	v_pk_mul_f32 v[72:73], v[82:83], v[72:73] op_sel_hi:[1,0]
	v_pk_add_f32 v[70:71], v[70:71], v[74:75]
	v_pk_fma_f32 v[74:75], v[82:83], v[126:127], v[72:73] op_sel:[0,0,1] op_sel_hi:[1,1,0] neg_lo:[0,0,1] neg_hi:[0,0,1]
	v_pk_fma_f32 v[72:73], v[82:83], v[126:127], v[72:73] op_sel:[0,0,1] op_sel_hi:[1,0,0]
	v_mov_b32_e32 v72, v125
	v_mov_b32_e32 v75, v73
	s_waitcnt lgkmcnt(0)
	v_pk_mul_f32 v[72:73], v[84:85], v[72:73] op_sel_hi:[1,0]
	v_pk_add_f32 v[70:71], v[70:71], v[74:75]
	v_pk_fma_f32 v[74:75], v[84:85], v[124:125], v[72:73] op_sel:[0,0,1] op_sel_hi:[1,1,0] neg_lo:[0,0,1] neg_hi:[0,0,1]
	v_pk_fma_f32 v[72:73], v[84:85], v[124:125], v[72:73] op_sel:[0,0,1] op_sel_hi:[1,0,0]
	s_waitcnt vmcnt(1)
	v_mov_b32_e32 v72, v133
	v_mov_b32_e32 v75, v73
	v_pk_mul_f32 v[72:73], v[86:87], v[72:73] op_sel_hi:[1,0]
	v_pk_add_f32 v[70:71], v[70:71], v[74:75]
	s_waitcnt vmcnt(0)
	v_pk_fma_f32 v[74:75], v[86:87], v[132:133], v[72:73] op_sel:[0,0,1] op_sel_hi:[1,1,0] neg_lo:[0,0,1] neg_hi:[0,0,1]
	v_pk_fma_f32 v[72:73], v[86:87], v[132:133], v[72:73] op_sel:[0,0,1] op_sel_hi:[1,0,0]
	v_mov_b32_e32 v75, v73
	v_pk_add_f32 v[70:71], v[70:71], v[74:75]
	v_pk_add_f32 v[68:69], v[68:69], v[70:71] neg_lo:[0,1] neg_hi:[0,1]
	buffer_store_dword v69, off, s[0:3], 0 offset:36
	buffer_store_dword v68, off, s[0:3], 0 offset:32
	s_and_saveexec_b64 s[4:5], vcc
	s_cbranch_execz .LBB32_205
; %bb.204:
	buffer_load_dword v68, off, s[0:3], 0 offset:24
	buffer_load_dword v69, off, s[0:3], 0 offset:28
	v_mov_b32_e32 v70, 0
	buffer_store_dword v70, off, s[0:3], 0 offset:24
	buffer_store_dword v70, off, s[0:3], 0 offset:28
	s_waitcnt vmcnt(2)
	ds_write_b64 v1, v[68:69]
.LBB32_205:
	s_or_b64 exec, exec, s[4:5]
	s_waitcnt lgkmcnt(0)
	; wave barrier
	s_waitcnt lgkmcnt(0)
	buffer_load_dword v71, off, s[0:3], 0 offset:36
	buffer_load_dword v120, off, s[0:3], 0 offset:44
	;; [unrolled: 1-line block ×44, first 2 shown]
	v_mov_b32_e32 v70, 0
	ds_read_b128 v[72:75], v70 offset:304
	ds_read_b128 v[76:79], v70 offset:320
	;; [unrolled: 1-line block ×8, first 2 shown]
	v_cmp_lt_u32_e32 vcc, 2, v0
	s_waitcnt vmcnt(43) lgkmcnt(7)
	v_mul_f32_e32 v104, v72, v71
	s_waitcnt vmcnt(42)
	v_mul_f32_e32 v105, v74, v120
	s_waitcnt vmcnt(41) lgkmcnt(6)
	v_mul_f32_e32 v106, v76, v126
	s_waitcnt vmcnt(40)
	v_mul_f32_e32 v107, v78, v128
	;; [unrolled: 4-line block ×7, first 2 shown]
	s_waitcnt vmcnt(29)
	v_fmac_f32_e32 v104, v73, v152
	s_waitcnt vmcnt(28)
	v_fmac_f32_e32 v105, v75, v153
	v_add_f32_e32 v104, 0, v104
	s_waitcnt vmcnt(27)
	v_fmac_f32_e32 v106, v77, v154
	v_add_f32_e32 v104, v104, v105
	;; [unrolled: 3-line block ×12, first 2 shown]
	v_add_f32_e32 v104, v104, v116
	s_waitcnt vmcnt(16)
	v_fmac_f32_e32 v117, v99, v165
	s_waitcnt vmcnt(15) lgkmcnt(0)
	v_mul_f32_e32 v105, v100, v166
	v_add_f32_e32 v104, v104, v117
	s_waitcnt vmcnt(14)
	v_fmac_f32_e32 v105, v101, v167
	v_add_f32_e32 v108, v104, v105
	ds_read_b128 v[104:107], v70 offset:432
	s_waitcnt vmcnt(13)
	v_mul_f32_e32 v109, v102, v168
	s_waitcnt vmcnt(12)
	v_fmac_f32_e32 v109, v103, v169
	v_add_f32_e32 v112, v108, v109
	ds_read_b128 v[108:111], v70 offset:448
	s_waitcnt vmcnt(11) lgkmcnt(1)
	v_mul_f32_e32 v113, v104, v170
	s_waitcnt vmcnt(10)
	v_fmac_f32_e32 v113, v105, v171
	v_add_f32_e32 v112, v112, v113
	s_waitcnt vmcnt(9)
	v_mul_f32_e32 v113, v106, v172
	s_waitcnt vmcnt(8)
	v_fmac_f32_e32 v113, v107, v173
	v_add_f32_e32 v112, v112, v113
	s_waitcnt vmcnt(7) lgkmcnt(0)
	v_mul_f32_e32 v113, v108, v174
	s_waitcnt vmcnt(6)
	v_fmac_f32_e32 v113, v109, v175
	v_add_f32_e32 v121, v112, v113
	ds_read_b128 v[112:115], v70 offset:464
	buffer_load_dword v123, off, s[0:3], 0 offset:212
	buffer_load_dword v122, off, s[0:3], 0 offset:208
	;; [unrolled: 1-line block ×4, first 2 shown]
	ds_read_b128 v[116:119], v70 offset:480
	buffer_load_dword v131, off, s[0:3], 0 offset:244
	buffer_load_dword v130, off, s[0:3], 0 offset:240
	;; [unrolled: 1-line block ×12, first 2 shown]
	v_mul_f32_e32 v71, v73, v71
	v_fma_f32 v71, v72, v152, -v71
	v_mul_f32_e32 v72, v75, v120
	v_add_f32_e32 v71, 0, v71
	v_fma_f32 v72, v74, v153, -v72
	v_add_f32_e32 v71, v71, v72
	v_mul_f32_e32 v72, v77, v126
	v_fma_f32 v72, v76, v154, -v72
	v_add_f32_e32 v71, v71, v72
	v_mul_f32_e32 v72, v79, v128
	;; [unrolled: 3-line block ×17, first 2 shown]
	v_fma_f32 v72, v108, v175, -v72
	s_waitcnt vmcnt(21)
	v_mul_f32_e32 v127, v110, v176
	v_add_f32_e32 v120, v71, v72
	v_mul_f32_e32 v71, v111, v176
	s_waitcnt vmcnt(20)
	v_fmac_f32_e32 v127, v111, v177
	s_waitcnt vmcnt(19) lgkmcnt(1)
	v_mul_f32_e32 v129, v112, v178
	v_fma_f32 v126, v110, v177, -v71
	v_mul_f32_e32 v71, v113, v178
	s_waitcnt vmcnt(18)
	v_fmac_f32_e32 v129, v113, v179
	v_fma_f32 v128, v112, v179, -v71
	v_pk_add_f32 v[82:83], v[120:121], v[126:127]
	v_pk_add_f32 v[82:83], v[82:83], v[128:129]
	ds_read_b128 v[72:75], v70 offset:496
	ds_read_b128 v[76:79], v70 offset:512
	ds_read_b64 v[80:81], v70 offset:528
	s_waitcnt vmcnt(13)
	v_mov_b32_e32 v84, v125
	v_pk_mul_f32 v[84:85], v[114:115], v[84:85] op_sel_hi:[1,0]
	s_waitcnt vmcnt(12)
	v_pk_fma_f32 v[86:87], v[114:115], v[124:125], v[84:85] op_sel:[0,0,1] op_sel_hi:[1,1,0] neg_lo:[0,0,1] neg_hi:[0,0,1]
	v_pk_fma_f32 v[84:85], v[114:115], v[124:125], v[84:85] op_sel:[0,0,1] op_sel_hi:[1,0,0]
	v_mov_b32_e32 v84, v123
	v_mov_b32_e32 v87, v85
	s_waitcnt lgkmcnt(3)
	v_pk_mul_f32 v[84:85], v[116:117], v[84:85] op_sel_hi:[1,0]
	v_pk_add_f32 v[82:83], v[82:83], v[86:87]
	v_pk_fma_f32 v[86:87], v[116:117], v[122:123], v[84:85] op_sel:[0,0,1] op_sel_hi:[1,1,0] neg_lo:[0,0,1] neg_hi:[0,0,1]
	v_pk_fma_f32 v[84:85], v[116:117], v[122:123], v[84:85] op_sel:[0,0,1] op_sel_hi:[1,0,0]
	s_waitcnt vmcnt(5)
	v_mov_b32_e32 v84, v137
	v_mov_b32_e32 v87, v85
	v_pk_mul_f32 v[84:85], v[118:119], v[84:85] op_sel_hi:[1,0]
	v_pk_add_f32 v[82:83], v[82:83], v[86:87]
	s_waitcnt vmcnt(4)
	v_pk_fma_f32 v[86:87], v[118:119], v[136:137], v[84:85] op_sel:[0,0,1] op_sel_hi:[1,1,0] neg_lo:[0,0,1] neg_hi:[0,0,1]
	v_pk_fma_f32 v[84:85], v[118:119], v[136:137], v[84:85] op_sel:[0,0,1] op_sel_hi:[1,0,0]
	v_mov_b32_e32 v84, v135
	v_mov_b32_e32 v87, v85
	s_waitcnt lgkmcnt(2)
	v_pk_mul_f32 v[84:85], v[72:73], v[84:85] op_sel_hi:[1,0]
	v_pk_add_f32 v[82:83], v[82:83], v[86:87]
	v_pk_fma_f32 v[86:87], v[72:73], v[134:135], v[84:85] op_sel:[0,0,1] op_sel_hi:[1,1,0] neg_lo:[0,0,1] neg_hi:[0,0,1]
	v_pk_fma_f32 v[72:73], v[72:73], v[134:135], v[84:85] op_sel:[0,0,1] op_sel_hi:[1,0,0]
	v_mov_b32_e32 v87, v73
	v_pk_add_f32 v[72:73], v[82:83], v[86:87]
	v_mov_b32_e32 v82, v133
	v_pk_mul_f32 v[82:83], v[74:75], v[82:83] op_sel_hi:[1,0]
	v_pk_fma_f32 v[84:85], v[74:75], v[132:133], v[82:83] op_sel:[0,0,1] op_sel_hi:[1,1,0] neg_lo:[0,0,1] neg_hi:[0,0,1]
	v_pk_fma_f32 v[74:75], v[74:75], v[132:133], v[82:83] op_sel:[0,0,1] op_sel_hi:[1,0,0]
	v_mov_b32_e32 v74, v131
	v_mov_b32_e32 v85, v75
	s_waitcnt lgkmcnt(1)
	v_pk_mul_f32 v[74:75], v[76:77], v[74:75] op_sel_hi:[1,0]
	v_pk_fma_f32 v[82:83], v[76:77], v[130:131], v[74:75] op_sel:[0,0,1] op_sel_hi:[1,1,0] neg_lo:[0,0,1] neg_hi:[0,0,1]
	v_pk_fma_f32 v[74:75], v[76:77], v[130:131], v[74:75] op_sel:[0,0,1] op_sel_hi:[1,0,0]
	s_waitcnt vmcnt(1)
	v_mov_b32_e32 v74, v141
	v_mov_b32_e32 v83, v75
	v_pk_mul_f32 v[74:75], v[78:79], v[74:75] op_sel_hi:[1,0]
	s_waitcnt vmcnt(0)
	v_pk_fma_f32 v[76:77], v[78:79], v[140:141], v[74:75] op_sel:[0,0,1] op_sel_hi:[1,1,0] neg_lo:[0,0,1] neg_hi:[0,0,1]
	v_pk_fma_f32 v[74:75], v[78:79], v[140:141], v[74:75] op_sel:[0,0,1] op_sel_hi:[1,0,0]
	v_pk_add_f32 v[72:73], v[72:73], v[84:85]
	v_mov_b32_e32 v74, v139
	v_pk_add_f32 v[72:73], v[72:73], v[82:83]
	v_mov_b32_e32 v77, v75
	s_waitcnt lgkmcnt(0)
	v_pk_mul_f32 v[74:75], v[80:81], v[74:75] op_sel_hi:[1,0]
	v_pk_add_f32 v[72:73], v[72:73], v[76:77]
	v_pk_fma_f32 v[76:77], v[80:81], v[138:139], v[74:75] op_sel:[0,0,1] op_sel_hi:[1,1,0] neg_lo:[0,0,1] neg_hi:[0,0,1]
	v_pk_fma_f32 v[74:75], v[80:81], v[138:139], v[74:75] op_sel:[0,0,1] op_sel_hi:[1,0,0]
	v_mov_b32_e32 v77, v75
	v_pk_add_f32 v[72:73], v[72:73], v[76:77]
	v_pk_add_f32 v[68:69], v[68:69], v[72:73] neg_lo:[0,1] neg_hi:[0,1]
	buffer_store_dword v69, off, s[0:3], 0 offset:28
	buffer_store_dword v68, off, s[0:3], 0 offset:24
	s_and_saveexec_b64 s[4:5], vcc
	s_cbranch_execz .LBB32_207
; %bb.206:
	buffer_load_dword v68, off, s[0:3], 0 offset:16
	buffer_load_dword v69, off, s[0:3], 0 offset:20
	s_waitcnt vmcnt(0)
	ds_write_b64 v1, v[68:69]
	buffer_store_dword v70, off, s[0:3], 0 offset:16
	buffer_store_dword v70, off, s[0:3], 0 offset:20
.LBB32_207:
	s_or_b64 exec, exec, s[4:5]
	s_waitcnt lgkmcnt(0)
	; wave barrier
	s_waitcnt lgkmcnt(0)
	buffer_load_dword v71, off, s[0:3], 0 offset:28
	buffer_load_dword v122, off, s[0:3], 0 offset:36
	;; [unrolled: 1-line block ×46, first 2 shown]
	ds_read2_b64 v[72:75], v70 offset0:37 offset1:38
	ds_read2_b64 v[76:79], v70 offset0:39 offset1:40
	ds_read2_b64 v[80:83], v70 offset0:41 offset1:42
	ds_read2_b64 v[84:87], v70 offset0:43 offset1:44
	ds_read2_b64 v[88:91], v70 offset0:45 offset1:46
	ds_read2_b64 v[92:95], v70 offset0:47 offset1:48
	ds_read2_b64 v[96:99], v70 offset0:49 offset1:50
	ds_read2_b64 v[100:103], v70 offset0:51 offset1:52
	v_cmp_lt_u32_e32 vcc, 1, v0
	s_waitcnt vmcnt(45) lgkmcnt(7)
	v_mul_f32_e32 v104, v72, v71
	s_waitcnt vmcnt(44)
	v_mul_f32_e32 v105, v74, v122
	s_waitcnt vmcnt(43) lgkmcnt(6)
	v_mul_f32_e32 v106, v76, v124
	s_waitcnt vmcnt(42)
	v_mul_f32_e32 v107, v78, v126
	;; [unrolled: 4-line block ×6, first 2 shown]
	s_waitcnt vmcnt(33) lgkmcnt(1)
	v_mul_f32_e32 v116, v96, v150
	s_waitcnt vmcnt(32)
	v_fmac_f32_e32 v104, v73, v151
	s_waitcnt vmcnt(31)
	v_fmac_f32_e32 v105, v75, v152
	v_add_f32_e32 v104, 0, v104
	s_waitcnt vmcnt(30)
	v_fmac_f32_e32 v106, v77, v153
	v_add_f32_e32 v104, v104, v105
	;; [unrolled: 3-line block ×12, first 2 shown]
	s_waitcnt vmcnt(19)
	v_mul_f32_e32 v105, v98, v164
	v_add_f32_e32 v104, v104, v116
	s_waitcnt vmcnt(18)
	v_fmac_f32_e32 v105, v99, v165
	v_add_f32_e32 v104, v104, v105
	s_waitcnt vmcnt(17) lgkmcnt(0)
	v_mul_f32_e32 v105, v100, v166
	s_waitcnt vmcnt(16)
	v_fmac_f32_e32 v105, v101, v167
	v_add_f32_e32 v108, v104, v105
	ds_read2_b64 v[104:107], v70 offset0:53 offset1:54
	s_waitcnt vmcnt(15)
	v_mul_f32_e32 v109, v102, v168
	s_waitcnt vmcnt(14)
	v_fmac_f32_e32 v109, v103, v169
	v_add_f32_e32 v112, v108, v109
	ds_read2_b64 v[108:111], v70 offset0:55 offset1:56
	buffer_load_dword v121, off, s[0:3], 0 offset:204
	buffer_load_dword v120, off, s[0:3], 0 offset:200
	s_waitcnt vmcnt(15) lgkmcnt(1)
	v_mul_f32_e32 v113, v104, v170
	s_waitcnt vmcnt(14)
	v_fmac_f32_e32 v113, v105, v171
	v_add_f32_e32 v112, v112, v113
	s_waitcnt vmcnt(13)
	v_mul_f32_e32 v113, v106, v172
	s_waitcnt vmcnt(12)
	v_fmac_f32_e32 v113, v107, v173
	v_add_f32_e32 v112, v112, v113
	s_waitcnt vmcnt(11) lgkmcnt(0)
	v_mul_f32_e32 v113, v108, v174
	s_waitcnt vmcnt(10)
	v_fmac_f32_e32 v113, v109, v175
	s_waitcnt vmcnt(9)
	v_mul_f32_e32 v117, v110, v176
	v_add_f32_e32 v116, v112, v113
	s_waitcnt vmcnt(8)
	v_fmac_f32_e32 v117, v111, v177
	ds_read2_b64 v[112:115], v70 offset0:57 offset1:58
	v_add_f32_e32 v123, v116, v117
	ds_read2_b64 v[116:119], v70 offset0:59 offset1:60
	buffer_load_dword v129, off, s[0:3], 0 offset:236
	buffer_load_dword v128, off, s[0:3], 0 offset:232
	;; [unrolled: 1-line block ×14, first 2 shown]
	v_mul_f32_e32 v71, v73, v71
	v_fma_f32 v71, v72, v151, -v71
	v_mul_f32_e32 v72, v75, v122
	v_add_f32_e32 v71, 0, v71
	v_fma_f32 v72, v74, v152, -v72
	v_add_f32_e32 v71, v71, v72
	v_mul_f32_e32 v72, v77, v124
	v_fma_f32 v72, v76, v153, -v72
	v_add_f32_e32 v71, v71, v72
	v_mul_f32_e32 v72, v79, v126
	;; [unrolled: 3-line block ×18, first 2 shown]
	v_fma_f32 v72, v110, v177, -v72
	s_waitcnt vmcnt(21) lgkmcnt(1)
	v_mul_f32_e32 v125, v112, v178
	v_add_f32_e32 v122, v71, v72
	v_mul_f32_e32 v71, v113, v178
	s_waitcnt vmcnt(20)
	v_fmac_f32_e32 v125, v113, v179
	s_waitcnt vmcnt(15)
	v_mov_b32_e32 v84, v121
	s_waitcnt lgkmcnt(0)
	v_pk_mul_f32 v[84:85], v[116:117], v[84:85] op_sel_hi:[1,0]
	v_mul_f32_e32 v127, v114, v180
	v_fma_f32 v124, v112, v179, -v71
	v_mul_f32_e32 v71, v115, v180
	s_waitcnt vmcnt(14)
	v_pk_fma_f32 v[86:87], v[116:117], v[120:121], v[84:85] op_sel:[0,0,1] op_sel_hi:[1,1,0] neg_lo:[0,0,1] neg_hi:[0,0,1]
	v_pk_fma_f32 v[84:85], v[116:117], v[120:121], v[84:85] op_sel:[0,0,1] op_sel_hi:[1,0,0]
	v_fmac_f32_e32 v127, v115, v181
	v_fma_f32 v126, v114, v181, -v71
	ds_read2_b64 v[72:75], v70 offset0:61 offset1:62
	ds_read2_b64 v[76:79], v70 offset0:63 offset1:64
	;; [unrolled: 1-line block ×3, first 2 shown]
	v_pk_add_f32 v[70:71], v[122:123], v[124:125]
	s_waitcnt vmcnt(7)
	v_mov_b32_e32 v84, v135
	v_pk_add_f32 v[70:71], v[70:71], v[126:127]
	v_mov_b32_e32 v87, v85
	v_pk_mul_f32 v[84:85], v[118:119], v[84:85] op_sel_hi:[1,0]
	v_pk_add_f32 v[70:71], v[70:71], v[86:87]
	s_waitcnt vmcnt(6)
	v_pk_fma_f32 v[86:87], v[118:119], v[134:135], v[84:85] op_sel:[0,0,1] op_sel_hi:[1,1,0] neg_lo:[0,0,1] neg_hi:[0,0,1]
	v_pk_fma_f32 v[84:85], v[118:119], v[134:135], v[84:85] op_sel:[0,0,1] op_sel_hi:[1,0,0]
	v_mov_b32_e32 v84, v133
	v_mov_b32_e32 v87, v85
	s_waitcnt lgkmcnt(2)
	v_pk_mul_f32 v[84:85], v[72:73], v[84:85] op_sel_hi:[1,0]
	v_pk_add_f32 v[70:71], v[70:71], v[86:87]
	v_pk_fma_f32 v[86:87], v[72:73], v[132:133], v[84:85] op_sel:[0,0,1] op_sel_hi:[1,1,0] neg_lo:[0,0,1] neg_hi:[0,0,1]
	v_pk_fma_f32 v[72:73], v[72:73], v[132:133], v[84:85] op_sel:[0,0,1] op_sel_hi:[1,0,0]
	v_mov_b32_e32 v72, v131
	v_mov_b32_e32 v87, v73
	v_pk_mul_f32 v[72:73], v[74:75], v[72:73] op_sel_hi:[1,0]
	v_pk_fma_f32 v[84:85], v[74:75], v[130:131], v[72:73] op_sel:[0,0,1] op_sel_hi:[1,1,0] neg_lo:[0,0,1] neg_hi:[0,0,1]
	v_pk_fma_f32 v[72:73], v[74:75], v[130:131], v[72:73] op_sel:[0,0,1] op_sel_hi:[1,0,0]
	v_mov_b32_e32 v72, v129
	v_mov_b32_e32 v85, v73
	s_waitcnt lgkmcnt(1)
	v_pk_mul_f32 v[72:73], v[76:77], v[72:73] op_sel_hi:[1,0]
	v_pk_fma_f32 v[74:75], v[76:77], v[128:129], v[72:73] op_sel:[0,0,1] op_sel_hi:[1,1,0] neg_lo:[0,0,1] neg_hi:[0,0,1]
	v_pk_fma_f32 v[72:73], v[76:77], v[128:129], v[72:73] op_sel:[0,0,1] op_sel_hi:[1,0,0]
	v_pk_add_f32 v[70:71], v[70:71], v[86:87]
	s_waitcnt vmcnt(1)
	v_mov_b32_e32 v72, v141
	v_pk_add_f32 v[70:71], v[70:71], v[84:85]
	v_mov_b32_e32 v75, v73
	v_pk_mul_f32 v[72:73], v[78:79], v[72:73] op_sel_hi:[1,0]
	v_pk_add_f32 v[70:71], v[70:71], v[74:75]
	s_waitcnt vmcnt(0)
	v_pk_fma_f32 v[74:75], v[78:79], v[140:141], v[72:73] op_sel:[0,0,1] op_sel_hi:[1,1,0] neg_lo:[0,0,1] neg_hi:[0,0,1]
	v_pk_fma_f32 v[72:73], v[78:79], v[140:141], v[72:73] op_sel:[0,0,1] op_sel_hi:[1,0,0]
	v_mov_b32_e32 v72, v139
	v_mov_b32_e32 v75, v73
	s_waitcnt lgkmcnt(0)
	v_pk_mul_f32 v[72:73], v[80:81], v[72:73] op_sel_hi:[1,0]
	v_pk_add_f32 v[70:71], v[70:71], v[74:75]
	v_pk_fma_f32 v[74:75], v[80:81], v[138:139], v[72:73] op_sel:[0,0,1] op_sel_hi:[1,1,0] neg_lo:[0,0,1] neg_hi:[0,0,1]
	v_pk_fma_f32 v[72:73], v[80:81], v[138:139], v[72:73] op_sel:[0,0,1] op_sel_hi:[1,0,0]
	v_mov_b32_e32 v72, v137
	v_mov_b32_e32 v75, v73
	v_pk_mul_f32 v[72:73], v[82:83], v[72:73] op_sel_hi:[1,0]
	v_pk_add_f32 v[70:71], v[70:71], v[74:75]
	v_pk_fma_f32 v[74:75], v[82:83], v[136:137], v[72:73] op_sel:[0,0,1] op_sel_hi:[1,1,0] neg_lo:[0,0,1] neg_hi:[0,0,1]
	v_pk_fma_f32 v[72:73], v[82:83], v[136:137], v[72:73] op_sel:[0,0,1] op_sel_hi:[1,0,0]
	v_mov_b32_e32 v75, v73
	v_pk_add_f32 v[70:71], v[70:71], v[74:75]
	v_pk_add_f32 v[68:69], v[68:69], v[70:71] neg_lo:[0,1] neg_hi:[0,1]
	buffer_store_dword v69, off, s[0:3], 0 offset:20
	buffer_store_dword v68, off, s[0:3], 0 offset:16
	s_and_saveexec_b64 s[4:5], vcc
	s_cbranch_execz .LBB32_209
; %bb.208:
	buffer_load_dword v68, off, s[0:3], 0 offset:8
	buffer_load_dword v69, off, s[0:3], 0 offset:12
	v_mov_b32_e32 v70, 0
	buffer_store_dword v70, off, s[0:3], 0 offset:8
	buffer_store_dword v70, off, s[0:3], 0 offset:12
	s_waitcnt vmcnt(2)
	ds_write_b64 v1, v[68:69]
.LBB32_209:
	s_or_b64 exec, exec, s[4:5]
	s_waitcnt lgkmcnt(0)
	; wave barrier
	s_waitcnt lgkmcnt(0)
	buffer_load_dword v71, off, s[0:3], 0 offset:20
	buffer_load_dword v120, off, s[0:3], 0 offset:28
	;; [unrolled: 1-line block ×48, first 2 shown]
	v_mov_b32_e32 v70, 0
	ds_read_b128 v[72:75], v70 offset:288
	ds_read_b128 v[76:79], v70 offset:304
	;; [unrolled: 1-line block ×6, first 2 shown]
	v_cmp_ne_u32_e32 vcc, 0, v0
	s_waitcnt vmcnt(47) lgkmcnt(5)
	v_mul_f32_e32 v96, v72, v71
	s_waitcnt vmcnt(46)
	v_mul_f32_e32 v97, v74, v120
	s_waitcnt vmcnt(45) lgkmcnt(4)
	v_mul_f32_e32 v98, v76, v122
	s_waitcnt vmcnt(44)
	v_mul_f32_e32 v99, v78, v124
	;; [unrolled: 4-line block ×6, first 2 shown]
	s_waitcnt vmcnt(35)
	v_fmac_f32_e32 v96, v73, v150
	s_waitcnt vmcnt(34)
	v_fmac_f32_e32 v97, v75, v151
	v_add_f32_e32 v96, 0, v96
	s_waitcnt vmcnt(33)
	v_fmac_f32_e32 v98, v77, v152
	v_add_f32_e32 v96, v96, v97
	;; [unrolled: 3-line block ×8, first 2 shown]
	v_add_f32_e32 v100, v96, v104
	ds_read_b128 v[96:99], v70 offset:384
	s_waitcnt vmcnt(26)
	v_fmac_f32_e32 v105, v91, v159
	s_waitcnt vmcnt(25)
	v_fmac_f32_e32 v106, v93, v160
	v_add_f32_e32 v100, v100, v105
	s_waitcnt vmcnt(24)
	v_fmac_f32_e32 v107, v95, v161
	v_add_f32_e32 v100, v100, v106
	v_add_f32_e32 v104, v100, v107
	ds_read_b128 v[100:103], v70 offset:400
	s_waitcnt vmcnt(23) lgkmcnt(1)
	v_mul_f32_e32 v105, v96, v162
	s_waitcnt vmcnt(22)
	v_fmac_f32_e32 v105, v97, v163
	v_add_f32_e32 v104, v104, v105
	s_waitcnt vmcnt(21)
	v_mul_f32_e32 v105, v98, v164
	s_waitcnt vmcnt(20)
	v_fmac_f32_e32 v105, v99, v165
	v_add_f32_e32 v104, v104, v105
	s_waitcnt vmcnt(19) lgkmcnt(0)
	v_mul_f32_e32 v105, v100, v166
	s_waitcnt vmcnt(18)
	v_fmac_f32_e32 v105, v101, v167
	v_add_f32_e32 v108, v104, v105
	ds_read_b128 v[104:107], v70 offset:416
	s_waitcnt vmcnt(17)
	v_mul_f32_e32 v109, v102, v168
	s_waitcnt vmcnt(16)
	v_fmac_f32_e32 v109, v103, v169
	v_add_f32_e32 v112, v108, v109
	ds_read_b128 v[108:111], v70 offset:432
	s_waitcnt vmcnt(15) lgkmcnt(1)
	v_mul_f32_e32 v113, v104, v170
	s_waitcnt vmcnt(14)
	v_fmac_f32_e32 v113, v105, v171
	v_add_f32_e32 v112, v112, v113
	s_waitcnt vmcnt(13)
	v_mul_f32_e32 v113, v106, v172
	s_waitcnt vmcnt(12)
	v_fmac_f32_e32 v113, v107, v173
	v_add_f32_e32 v112, v112, v113
	s_waitcnt vmcnt(11) lgkmcnt(0)
	v_mul_f32_e32 v113, v108, v174
	s_waitcnt vmcnt(10)
	v_fmac_f32_e32 v113, v109, v175
	s_waitcnt vmcnt(9)
	v_mul_f32_e32 v117, v110, v176
	v_add_f32_e32 v116, v112, v113
	s_waitcnt vmcnt(8)
	v_fmac_f32_e32 v117, v111, v177
	ds_read_b128 v[112:115], v70 offset:448
	v_add_f32_e32 v121, v116, v117
	ds_read_b128 v[116:119], v70 offset:464
	buffer_load_dword v127, off, s[0:3], 0 offset:228
	buffer_load_dword v126, off, s[0:3], 0 offset:224
	;; [unrolled: 1-line block ×16, first 2 shown]
	v_mul_f32_e32 v71, v73, v71
	v_fma_f32 v71, v72, v150, -v71
	v_mul_f32_e32 v72, v75, v120
	v_add_f32_e32 v71, 0, v71
	v_fma_f32 v72, v74, v151, -v72
	v_add_f32_e32 v71, v71, v72
	v_mul_f32_e32 v72, v77, v122
	v_fma_f32 v72, v76, v152, -v72
	v_add_f32_e32 v71, v71, v72
	v_mul_f32_e32 v72, v79, v124
	;; [unrolled: 3-line block ×18, first 2 shown]
	v_fma_f32 v72, v110, v177, -v72
	s_waitcnt vmcnt(22) lgkmcnt(1)
	v_mul_f32_e32 v123, v112, v179
	v_add_f32_e32 v71, v71, v72
	v_mul_f32_e32 v72, v113, v179
	v_fmac_f32_e32 v123, v113, v178
	v_fma_f32 v72, v112, v178, -v72
	v_add_f32_e32 v121, v121, v123
	s_waitcnt vmcnt(19)
	v_mul_f32_e32 v123, v114, v180
	v_add_f32_e32 v120, v71, v72
	v_mul_f32_e32 v71, v115, v180
	s_waitcnt vmcnt(18)
	v_fmac_f32_e32 v123, v115, v181
	s_waitcnt vmcnt(17) lgkmcnt(0)
	v_mul_f32_e32 v125, v116, v182
	s_waitcnt vmcnt(9)
	v_mov_b32_e32 v88, v133
	v_pk_mul_f32 v[88:89], v[118:119], v[88:89] op_sel_hi:[1,0]
	v_fma_f32 v122, v114, v181, -v71
	v_mul_f32_e32 v71, v117, v182
	ds_read_b128 v[72:75], v70 offset:480
	ds_read_b128 v[76:79], v70 offset:496
	;; [unrolled: 1-line block ×3, first 2 shown]
	ds_read_b64 v[84:85], v70 offset:528
	s_waitcnt vmcnt(8)
	v_pk_fma_f32 v[90:91], v[118:119], v[132:133], v[88:89] op_sel:[0,0,1] op_sel_hi:[1,1,0] neg_lo:[0,0,1] neg_hi:[0,0,1]
	v_pk_fma_f32 v[88:89], v[118:119], v[132:133], v[88:89] op_sel:[0,0,1] op_sel_hi:[1,0,0]
	v_fmac_f32_e32 v125, v117, v183
	v_fma_f32 v124, v116, v183, -v71
	v_pk_add_f32 v[86:87], v[120:121], v[122:123]
	v_mov_b32_e32 v88, v131
	v_pk_add_f32 v[86:87], v[86:87], v[124:125]
	v_mov_b32_e32 v91, v89
	s_waitcnt lgkmcnt(3)
	v_pk_mul_f32 v[88:89], v[72:73], v[88:89] op_sel_hi:[1,0]
	v_pk_add_f32 v[86:87], v[86:87], v[90:91]
	v_pk_fma_f32 v[90:91], v[72:73], v[130:131], v[88:89] op_sel:[0,0,1] op_sel_hi:[1,1,0] neg_lo:[0,0,1] neg_hi:[0,0,1]
	v_pk_fma_f32 v[72:73], v[72:73], v[130:131], v[88:89] op_sel:[0,0,1] op_sel_hi:[1,0,0]
	v_mov_b32_e32 v91, v73
	v_pk_add_f32 v[72:73], v[86:87], v[90:91]
	v_mov_b32_e32 v86, v129
	v_pk_mul_f32 v[86:87], v[74:75], v[86:87] op_sel_hi:[1,0]
	v_pk_fma_f32 v[88:89], v[74:75], v[128:129], v[86:87] op_sel:[0,0,1] op_sel_hi:[1,1,0] neg_lo:[0,0,1] neg_hi:[0,0,1]
	v_pk_fma_f32 v[74:75], v[74:75], v[128:129], v[86:87] op_sel:[0,0,1] op_sel_hi:[1,0,0]
	v_mov_b32_e32 v74, v127
	v_mov_b32_e32 v89, v75
	s_waitcnt lgkmcnt(2)
	v_pk_mul_f32 v[74:75], v[76:77], v[74:75] op_sel_hi:[1,0]
	v_pk_fma_f32 v[86:87], v[76:77], v[126:127], v[74:75] op_sel:[0,0,1] op_sel_hi:[1,1,0] neg_lo:[0,0,1] neg_hi:[0,0,1]
	v_pk_fma_f32 v[74:75], v[76:77], v[126:127], v[74:75] op_sel:[0,0,1] op_sel_hi:[1,0,0]
	s_waitcnt vmcnt(1)
	v_mov_b32_e32 v74, v141
	v_mov_b32_e32 v87, v75
	v_pk_mul_f32 v[74:75], v[78:79], v[74:75] op_sel_hi:[1,0]
	s_waitcnt vmcnt(0)
	v_pk_fma_f32 v[76:77], v[78:79], v[140:141], v[74:75] op_sel:[0,0,1] op_sel_hi:[1,1,0] neg_lo:[0,0,1] neg_hi:[0,0,1]
	v_pk_fma_f32 v[74:75], v[78:79], v[140:141], v[74:75] op_sel:[0,0,1] op_sel_hi:[1,0,0]
	v_pk_add_f32 v[72:73], v[72:73], v[88:89]
	v_mov_b32_e32 v74, v139
	v_pk_add_f32 v[72:73], v[72:73], v[86:87]
	v_mov_b32_e32 v77, v75
	s_waitcnt lgkmcnt(1)
	v_pk_mul_f32 v[74:75], v[80:81], v[74:75] op_sel_hi:[1,0]
	v_pk_add_f32 v[72:73], v[72:73], v[76:77]
	v_pk_fma_f32 v[76:77], v[80:81], v[138:139], v[74:75] op_sel:[0,0,1] op_sel_hi:[1,1,0] neg_lo:[0,0,1] neg_hi:[0,0,1]
	v_pk_fma_f32 v[74:75], v[80:81], v[138:139], v[74:75] op_sel:[0,0,1] op_sel_hi:[1,0,0]
	v_mov_b32_e32 v74, v137
	v_mov_b32_e32 v77, v75
	v_pk_mul_f32 v[74:75], v[82:83], v[74:75] op_sel_hi:[1,0]
	v_pk_add_f32 v[72:73], v[72:73], v[76:77]
	v_pk_fma_f32 v[76:77], v[82:83], v[136:137], v[74:75] op_sel:[0,0,1] op_sel_hi:[1,1,0] neg_lo:[0,0,1] neg_hi:[0,0,1]
	v_pk_fma_f32 v[74:75], v[82:83], v[136:137], v[74:75] op_sel:[0,0,1] op_sel_hi:[1,0,0]
	v_mov_b32_e32 v74, v135
	v_mov_b32_e32 v77, v75
	s_waitcnt lgkmcnt(0)
	v_pk_mul_f32 v[74:75], v[84:85], v[74:75] op_sel_hi:[1,0]
	v_pk_add_f32 v[72:73], v[72:73], v[76:77]
	v_pk_fma_f32 v[76:77], v[84:85], v[134:135], v[74:75] op_sel:[0,0,1] op_sel_hi:[1,1,0] neg_lo:[0,0,1] neg_hi:[0,0,1]
	v_pk_fma_f32 v[74:75], v[84:85], v[134:135], v[74:75] op_sel:[0,0,1] op_sel_hi:[1,0,0]
	v_mov_b32_e32 v77, v75
	v_pk_add_f32 v[72:73], v[72:73], v[76:77]
	v_pk_add_f32 v[68:69], v[68:69], v[72:73] neg_lo:[0,1] neg_hi:[0,1]
	buffer_store_dword v69, off, s[0:3], 0 offset:12
	buffer_store_dword v68, off, s[0:3], 0 offset:8
	s_and_saveexec_b64 s[4:5], vcc
	s_cbranch_execz .LBB32_211
; %bb.210:
	buffer_load_dword v68, off, s[0:3], 0
	buffer_load_dword v69, off, s[0:3], 0 offset:4
	s_waitcnt vmcnt(0)
	ds_write_b64 v1, v[68:69]
	buffer_store_dword v70, off, s[0:3], 0
	buffer_store_dword v70, off, s[0:3], 0 offset:4
.LBB32_211:
	s_or_b64 exec, exec, s[4:5]
	s_waitcnt lgkmcnt(0)
	; wave barrier
	s_waitcnt lgkmcnt(0)
	buffer_load_dword v68, off, s[0:3], 0 offset:12
	buffer_load_dword v69, off, s[0:3], 0 offset:20
	;; [unrolled: 1-line block ×40, first 2 shown]
	buffer_load_dword v0, off, s[0:3], 0
	buffer_load_dword v1, off, s[0:3], 0 offset:4
	buffer_load_dword v176, off, s[0:3], 0 offset:172
	;; [unrolled: 1-line block ×7, first 2 shown]
	ds_read2_b64 v[72:75], v70 offset0:35 offset1:36
	ds_read2_b64 v[76:79], v70 offset0:37 offset1:38
	;; [unrolled: 1-line block ×6, first 2 shown]
	buffer_load_dword v182, off, s[0:3], 0 offset:192
	buffer_load_dword v183, off, s[0:3], 0 offset:196
	s_and_b64 vcc, exec, s[20:21]
	s_waitcnt vmcnt(49) lgkmcnt(5)
	v_mul_f32_e32 v96, v72, v68
	s_waitcnt vmcnt(48)
	v_mul_f32_e32 v97, v74, v69
	s_waitcnt vmcnt(47) lgkmcnt(4)
	v_mul_f32_e32 v98, v76, v71
	s_waitcnt vmcnt(46)
	v_mul_f32_e32 v99, v78, v120
	;; [unrolled: 4-line block ×6, first 2 shown]
	s_waitcnt vmcnt(37)
	v_fmac_f32_e32 v96, v73, v148
	s_waitcnt vmcnt(36)
	v_fmac_f32_e32 v97, v75, v149
	v_add_f32_e32 v96, 0, v96
	s_waitcnt vmcnt(35)
	v_fmac_f32_e32 v98, v77, v150
	v_add_f32_e32 v96, v96, v97
	s_waitcnt vmcnt(34)
	v_fmac_f32_e32 v99, v79, v151
	v_add_f32_e32 v96, v96, v98
	s_waitcnt vmcnt(33)
	v_fmac_f32_e32 v100, v81, v152
	v_add_f32_e32 v96, v96, v99
	s_waitcnt vmcnt(32)
	v_fmac_f32_e32 v101, v83, v153
	v_add_f32_e32 v96, v96, v100
	s_waitcnt vmcnt(31)
	v_fmac_f32_e32 v102, v85, v154
	v_add_f32_e32 v96, v96, v101
	s_waitcnt vmcnt(30)
	v_fmac_f32_e32 v103, v87, v155
	v_add_f32_e32 v96, v96, v102
	s_waitcnt vmcnt(29)
	v_fmac_f32_e32 v104, v89, v156
	v_add_f32_e32 v96, v96, v103
	s_waitcnt vmcnt(28)
	v_fmac_f32_e32 v105, v91, v157
	v_add_f32_e32 v96, v96, v104
	v_add_f32_e32 v100, v96, v105
	ds_read2_b64 v[96:99], v70 offset0:47 offset1:48
	s_waitcnt vmcnt(27)
	v_fmac_f32_e32 v106, v93, v158
	v_add_f32_e32 v100, v100, v106
	s_waitcnt vmcnt(26)
	v_fmac_f32_e32 v107, v95, v159
	v_add_f32_e32 v104, v100, v107
	ds_read2_b64 v[100:103], v70 offset0:49 offset1:50
	s_waitcnt vmcnt(25) lgkmcnt(1)
	v_mul_f32_e32 v105, v96, v160
	s_waitcnt vmcnt(24)
	v_fmac_f32_e32 v105, v97, v161
	v_add_f32_e32 v104, v104, v105
	s_waitcnt vmcnt(23)
	v_mul_f32_e32 v105, v98, v162
	s_waitcnt vmcnt(22)
	v_fmac_f32_e32 v105, v99, v163
	v_add_f32_e32 v104, v104, v105
	s_waitcnt vmcnt(21) lgkmcnt(0)
	v_mul_f32_e32 v105, v100, v164
	s_waitcnt vmcnt(20)
	v_fmac_f32_e32 v105, v101, v165
	v_add_f32_e32 v108, v104, v105
	ds_read2_b64 v[104:107], v70 offset0:51 offset1:52
	s_waitcnt vmcnt(19)
	v_mul_f32_e32 v109, v102, v166
	s_waitcnt vmcnt(18)
	v_fmac_f32_e32 v109, v103, v167
	v_add_f32_e32 v112, v108, v109
	ds_read2_b64 v[108:111], v70 offset0:53 offset1:54
	s_waitcnt vmcnt(17) lgkmcnt(1)
	v_mul_f32_e32 v113, v104, v168
	s_waitcnt vmcnt(16)
	v_fmac_f32_e32 v113, v105, v169
	v_add_f32_e32 v112, v112, v113
	s_waitcnt vmcnt(15)
	v_mul_f32_e32 v113, v106, v170
	s_waitcnt vmcnt(14)
	v_fmac_f32_e32 v113, v107, v171
	v_add_f32_e32 v112, v112, v113
	s_waitcnt vmcnt(13) lgkmcnt(0)
	v_mul_f32_e32 v113, v108, v172
	s_waitcnt vmcnt(12)
	v_fmac_f32_e32 v113, v109, v173
	s_waitcnt vmcnt(11)
	v_mul_f32_e32 v117, v110, v174
	v_add_f32_e32 v116, v112, v113
	s_waitcnt vmcnt(10)
	v_fmac_f32_e32 v117, v111, v175
	ds_read2_b64 v[112:115], v70 offset0:55 offset1:56
	v_add_f32_e32 v121, v116, v117
	ds_read2_b64 v[116:119], v70 offset0:57 offset1:58
	buffer_load_dword v125, off, s[0:3], 0 offset:220
	buffer_load_dword v124, off, s[0:3], 0 offset:216
	;; [unrolled: 1-line block ×16, first 2 shown]
	v_mul_f32_e32 v68, v73, v68
	v_fma_f32 v68, v72, v148, -v68
	v_mul_f32_e32 v69, v75, v69
	v_add_f32_e32 v68, 0, v68
	v_fma_f32 v69, v74, v149, -v69
	v_add_f32_e32 v68, v68, v69
	v_mul_f32_e32 v69, v77, v71
	v_fma_f32 v69, v76, v150, -v69
	v_add_f32_e32 v68, v68, v69
	v_mul_f32_e32 v69, v79, v120
	;; [unrolled: 3-line block ×18, first 2 shown]
	v_fma_f32 v69, v110, v175, -v69
	v_add_f32_e32 v68, v68, v69
	s_waitcnt vmcnt(23) lgkmcnt(1)
	v_mul_f32_e32 v69, v113, v176
	s_waitcnt vmcnt(22)
	v_fma_f32 v69, v112, v177, -v69
	v_add_f32_e32 v68, v68, v69
	s_waitcnt vmcnt(20)
	v_mul_f32_e32 v69, v115, v179
	v_mul_f32_e32 v123, v112, v176
	v_fma_f32 v69, v114, v178, -v69
	v_fmac_f32_e32 v123, v113, v177
	v_add_f32_e32 v120, v68, v69
	s_waitcnt vmcnt(18) lgkmcnt(0)
	v_mul_f32_e32 v68, v117, v181
	v_add_f32_e32 v121, v121, v123
	v_mul_f32_e32 v123, v114, v179
	v_fma_f32 v122, v116, v180, -v68
	s_waitcnt vmcnt(16)
	v_mul_f32_e32 v68, v119, v183
	v_fmac_f32_e32 v123, v115, v178
	v_fma_f32 v130, v118, v182, -v68
	ds_read2_b64 v[72:75], v70 offset0:59 offset1:60
	ds_read2_b64 v[76:79], v70 offset0:61 offset1:62
	;; [unrolled: 1-line block ×4, first 2 shown]
	v_add_f32_e32 v121, v121, v123
	v_mul_f32_e32 v123, v116, v181
	s_waitcnt vmcnt(11)
	v_mov_b32_e32 v86, v129
	v_fmac_f32_e32 v123, v117, v180
	v_mul_f32_e32 v131, v118, v183
	s_waitcnt lgkmcnt(3)
	v_pk_mul_f32 v[86:87], v[72:73], v[86:87] op_sel_hi:[1,0]
	v_fmac_f32_e32 v131, v119, v182
	v_pk_add_f32 v[84:85], v[120:121], v[122:123]
	s_waitcnt vmcnt(10)
	v_pk_fma_f32 v[88:89], v[72:73], v[128:129], v[86:87] op_sel:[0,0,1] op_sel_hi:[1,1,0] neg_lo:[0,0,1] neg_hi:[0,0,1]
	v_pk_fma_f32 v[72:73], v[72:73], v[128:129], v[86:87] op_sel:[0,0,1] op_sel_hi:[1,0,0]
	v_pk_add_f32 v[84:85], v[84:85], v[130:131]
	v_mov_b32_e32 v89, v73
	v_pk_add_f32 v[72:73], v[84:85], v[88:89]
	v_mov_b32_e32 v84, v127
	v_pk_mul_f32 v[84:85], v[74:75], v[84:85] op_sel_hi:[1,0]
	v_pk_fma_f32 v[86:87], v[74:75], v[126:127], v[84:85] op_sel:[0,0,1] op_sel_hi:[1,1,0] neg_lo:[0,0,1] neg_hi:[0,0,1]
	v_pk_fma_f32 v[74:75], v[74:75], v[126:127], v[84:85] op_sel:[0,0,1] op_sel_hi:[1,0,0]
	v_mov_b32_e32 v74, v125
	v_mov_b32_e32 v87, v75
	s_waitcnt lgkmcnt(2)
	v_pk_mul_f32 v[74:75], v[76:77], v[74:75] op_sel_hi:[1,0]
	v_pk_fma_f32 v[84:85], v[76:77], v[124:125], v[74:75] op_sel:[0,0,1] op_sel_hi:[1,1,0] neg_lo:[0,0,1] neg_hi:[0,0,1]
	v_pk_fma_f32 v[74:75], v[76:77], v[124:125], v[74:75] op_sel:[0,0,1] op_sel_hi:[1,0,0]
	s_waitcnt vmcnt(3)
	v_mov_b32_e32 v74, v139
	v_mov_b32_e32 v85, v75
	v_pk_mul_f32 v[74:75], v[78:79], v[74:75] op_sel_hi:[1,0]
	s_waitcnt vmcnt(2)
	v_pk_fma_f32 v[76:77], v[78:79], v[138:139], v[74:75] op_sel:[0,0,1] op_sel_hi:[1,1,0] neg_lo:[0,0,1] neg_hi:[0,0,1]
	v_pk_fma_f32 v[74:75], v[78:79], v[138:139], v[74:75] op_sel:[0,0,1] op_sel_hi:[1,0,0]
	v_pk_add_f32 v[72:73], v[72:73], v[86:87]
	v_mov_b32_e32 v74, v137
	v_pk_add_f32 v[72:73], v[72:73], v[84:85]
	v_mov_b32_e32 v77, v75
	s_waitcnt lgkmcnt(1)
	v_pk_mul_f32 v[74:75], v[80:81], v[74:75] op_sel_hi:[1,0]
	v_pk_add_f32 v[72:73], v[72:73], v[76:77]
	v_pk_fma_f32 v[76:77], v[80:81], v[136:137], v[74:75] op_sel:[0,0,1] op_sel_hi:[1,1,0] neg_lo:[0,0,1] neg_hi:[0,0,1]
	v_pk_fma_f32 v[74:75], v[80:81], v[136:137], v[74:75] op_sel:[0,0,1] op_sel_hi:[1,0,0]
	v_mov_b32_e32 v74, v135
	v_mov_b32_e32 v77, v75
	v_pk_mul_f32 v[74:75], v[82:83], v[74:75] op_sel_hi:[1,0]
	v_pk_add_f32 v[72:73], v[72:73], v[76:77]
	v_pk_fma_f32 v[76:77], v[82:83], v[134:135], v[74:75] op_sel:[0,0,1] op_sel_hi:[1,1,0] neg_lo:[0,0,1] neg_hi:[0,0,1]
	v_pk_fma_f32 v[74:75], v[82:83], v[134:135], v[74:75] op_sel:[0,0,1] op_sel_hi:[1,0,0]
	v_mov_b32_e32 v74, v133
	v_mov_b32_e32 v77, v75
	s_waitcnt lgkmcnt(0)
	v_pk_mul_f32 v[74:75], v[68:69], v[74:75] op_sel_hi:[1,0]
	v_pk_add_f32 v[72:73], v[72:73], v[76:77]
	v_pk_fma_f32 v[76:77], v[68:69], v[132:133], v[74:75] op_sel:[0,0,1] op_sel_hi:[1,1,0] neg_lo:[0,0,1] neg_hi:[0,0,1]
	v_pk_fma_f32 v[68:69], v[68:69], v[132:133], v[74:75] op_sel:[0,0,1] op_sel_hi:[1,0,0]
	v_mov_b32_e32 v77, v69
	v_pk_add_f32 v[68:69], v[72:73], v[76:77]
	s_waitcnt vmcnt(1)
	v_mov_b32_e32 v72, v141
	v_pk_mul_f32 v[72:73], v[70:71], v[72:73] op_sel_hi:[1,0]
	s_waitcnt vmcnt(0)
	v_pk_fma_f32 v[74:75], v[70:71], v[140:141], v[72:73] op_sel:[0,0,1] op_sel_hi:[1,1,0] neg_lo:[0,0,1] neg_hi:[0,0,1]
	v_pk_fma_f32 v[70:71], v[70:71], v[140:141], v[72:73] op_sel:[0,0,1] op_sel_hi:[1,0,0]
	v_mov_b32_e32 v75, v71
	v_pk_add_f32 v[68:69], v[68:69], v[74:75]
	v_pk_add_f32 v[0:1], v[0:1], v[68:69] neg_lo:[0,1] neg_hi:[0,1]
	buffer_store_dword v1, off, s[0:3], 0 offset:4
	buffer_store_dword v0, off, s[0:3], 0
	s_cbranch_vccz .LBB32_277
; %bb.212:
	v_pk_mov_b32 v[0:1], s[10:11], s[10:11] op_sel:[0,1]
	flat_load_dword v0, v[0:1] offset:124
	s_waitcnt vmcnt(0) lgkmcnt(0)
	v_add_u32_e32 v0, -1, v0
	v_cmp_ne_u32_e32 vcc, 31, v0
	s_and_saveexec_b64 s[4:5], vcc
	s_cbranch_execz .LBB32_214
; %bb.213:
	v_mov_b32_e32 v1, 0
	v_lshl_add_u32 v0, v0, 3, v1
	buffer_load_dword v1, v0, s[0:3], 0 offen
	buffer_load_dword v68, v0, s[0:3], 0 offen offset:4
	buffer_load_dword v69, off, s[0:3], 0 offset:248
	buffer_load_dword v70, off, s[0:3], 0 offset:252
	s_waitcnt vmcnt(3)
	buffer_store_dword v1, off, s[0:3], 0 offset:248
	s_waitcnt vmcnt(3)
	buffer_store_dword v68, off, s[0:3], 0 offset:252
	s_waitcnt vmcnt(3)
	buffer_store_dword v69, v0, s[0:3], 0 offen
	s_waitcnt vmcnt(3)
	buffer_store_dword v70, v0, s[0:3], 0 offen offset:4
.LBB32_214:
	s_or_b64 exec, exec, s[4:5]
	v_pk_mov_b32 v[0:1], s[10:11], s[10:11] op_sel:[0,1]
	flat_load_dword v0, v[0:1] offset:120
	s_waitcnt vmcnt(0) lgkmcnt(0)
	v_add_u32_e32 v0, -1, v0
	v_cmp_ne_u32_e32 vcc, 30, v0
	s_and_saveexec_b64 s[4:5], vcc
	s_cbranch_execz .LBB32_216
; %bb.215:
	v_mov_b32_e32 v1, 0
	v_lshl_add_u32 v0, v0, 3, v1
	buffer_load_dword v1, v0, s[0:3], 0 offen
	buffer_load_dword v68, v0, s[0:3], 0 offen offset:4
	buffer_load_dword v69, off, s[0:3], 0 offset:244
	buffer_load_dword v70, off, s[0:3], 0 offset:240
	s_waitcnt vmcnt(3)
	buffer_store_dword v1, off, s[0:3], 0 offset:240
	s_waitcnt vmcnt(3)
	buffer_store_dword v68, off, s[0:3], 0 offset:244
	s_waitcnt vmcnt(3)
	buffer_store_dword v69, v0, s[0:3], 0 offen offset:4
	s_waitcnt vmcnt(3)
	buffer_store_dword v70, v0, s[0:3], 0 offen
.LBB32_216:
	s_or_b64 exec, exec, s[4:5]
	v_pk_mov_b32 v[0:1], s[10:11], s[10:11] op_sel:[0,1]
	flat_load_dword v0, v[0:1] offset:116
	s_waitcnt vmcnt(0) lgkmcnt(0)
	v_add_u32_e32 v0, -1, v0
	v_cmp_ne_u32_e32 vcc, 29, v0
	s_and_saveexec_b64 s[4:5], vcc
	s_cbranch_execz .LBB32_218
; %bb.217:
	v_mov_b32_e32 v1, 0
	v_lshl_add_u32 v0, v0, 3, v1
	buffer_load_dword v1, v0, s[0:3], 0 offen
	buffer_load_dword v68, v0, s[0:3], 0 offen offset:4
	buffer_load_dword v69, off, s[0:3], 0 offset:232
	buffer_load_dword v70, off, s[0:3], 0 offset:236
	s_waitcnt vmcnt(3)
	buffer_store_dword v1, off, s[0:3], 0 offset:232
	s_waitcnt vmcnt(3)
	buffer_store_dword v68, off, s[0:3], 0 offset:236
	s_waitcnt vmcnt(3)
	buffer_store_dword v69, v0, s[0:3], 0 offen
	s_waitcnt vmcnt(3)
	buffer_store_dword v70, v0, s[0:3], 0 offen offset:4
.LBB32_218:
	s_or_b64 exec, exec, s[4:5]
	v_pk_mov_b32 v[0:1], s[10:11], s[10:11] op_sel:[0,1]
	flat_load_dword v0, v[0:1] offset:112
	s_waitcnt vmcnt(0) lgkmcnt(0)
	v_add_u32_e32 v0, -1, v0
	v_cmp_ne_u32_e32 vcc, 28, v0
	s_and_saveexec_b64 s[4:5], vcc
	s_cbranch_execz .LBB32_220
; %bb.219:
	v_mov_b32_e32 v1, 0
	v_lshl_add_u32 v0, v0, 3, v1
	buffer_load_dword v1, v0, s[0:3], 0 offen
	buffer_load_dword v68, v0, s[0:3], 0 offen offset:4
	buffer_load_dword v69, off, s[0:3], 0 offset:228
	buffer_load_dword v70, off, s[0:3], 0 offset:224
	s_waitcnt vmcnt(3)
	buffer_store_dword v1, off, s[0:3], 0 offset:224
	s_waitcnt vmcnt(3)
	buffer_store_dword v68, off, s[0:3], 0 offset:228
	s_waitcnt vmcnt(3)
	buffer_store_dword v69, v0, s[0:3], 0 offen offset:4
	s_waitcnt vmcnt(3)
	buffer_store_dword v70, v0, s[0:3], 0 offen
.LBB32_220:
	s_or_b64 exec, exec, s[4:5]
	v_pk_mov_b32 v[0:1], s[10:11], s[10:11] op_sel:[0,1]
	flat_load_dword v0, v[0:1] offset:108
	s_waitcnt vmcnt(0) lgkmcnt(0)
	v_add_u32_e32 v0, -1, v0
	v_cmp_ne_u32_e32 vcc, 27, v0
	s_and_saveexec_b64 s[4:5], vcc
	s_cbranch_execz .LBB32_222
; %bb.221:
	v_mov_b32_e32 v1, 0
	v_lshl_add_u32 v0, v0, 3, v1
	buffer_load_dword v1, v0, s[0:3], 0 offen
	buffer_load_dword v68, v0, s[0:3], 0 offen offset:4
	buffer_load_dword v69, off, s[0:3], 0 offset:216
	buffer_load_dword v70, off, s[0:3], 0 offset:220
	s_waitcnt vmcnt(3)
	buffer_store_dword v1, off, s[0:3], 0 offset:216
	s_waitcnt vmcnt(3)
	buffer_store_dword v68, off, s[0:3], 0 offset:220
	s_waitcnt vmcnt(3)
	buffer_store_dword v69, v0, s[0:3], 0 offen
	s_waitcnt vmcnt(3)
	buffer_store_dword v70, v0, s[0:3], 0 offen offset:4
.LBB32_222:
	s_or_b64 exec, exec, s[4:5]
	v_pk_mov_b32 v[0:1], s[10:11], s[10:11] op_sel:[0,1]
	flat_load_dword v0, v[0:1] offset:104
	s_waitcnt vmcnt(0) lgkmcnt(0)
	v_add_u32_e32 v0, -1, v0
	v_cmp_ne_u32_e32 vcc, 26, v0
	s_and_saveexec_b64 s[4:5], vcc
	s_cbranch_execz .LBB32_224
; %bb.223:
	v_mov_b32_e32 v1, 0
	v_lshl_add_u32 v0, v0, 3, v1
	buffer_load_dword v1, v0, s[0:3], 0 offen
	buffer_load_dword v68, v0, s[0:3], 0 offen offset:4
	buffer_load_dword v69, off, s[0:3], 0 offset:212
	buffer_load_dword v70, off, s[0:3], 0 offset:208
	s_waitcnt vmcnt(3)
	buffer_store_dword v1, off, s[0:3], 0 offset:208
	s_waitcnt vmcnt(3)
	buffer_store_dword v68, off, s[0:3], 0 offset:212
	s_waitcnt vmcnt(3)
	buffer_store_dword v69, v0, s[0:3], 0 offen offset:4
	s_waitcnt vmcnt(3)
	buffer_store_dword v70, v0, s[0:3], 0 offen
.LBB32_224:
	s_or_b64 exec, exec, s[4:5]
	v_pk_mov_b32 v[0:1], s[10:11], s[10:11] op_sel:[0,1]
	flat_load_dword v0, v[0:1] offset:100
	s_waitcnt vmcnt(0) lgkmcnt(0)
	v_add_u32_e32 v0, -1, v0
	v_cmp_ne_u32_e32 vcc, 25, v0
	s_and_saveexec_b64 s[4:5], vcc
	s_cbranch_execz .LBB32_226
; %bb.225:
	v_mov_b32_e32 v1, 0
	v_lshl_add_u32 v0, v0, 3, v1
	buffer_load_dword v1, v0, s[0:3], 0 offen
	buffer_load_dword v68, v0, s[0:3], 0 offen offset:4
	buffer_load_dword v69, off, s[0:3], 0 offset:200
	buffer_load_dword v70, off, s[0:3], 0 offset:204
	s_waitcnt vmcnt(3)
	buffer_store_dword v1, off, s[0:3], 0 offset:200
	s_waitcnt vmcnt(3)
	buffer_store_dword v68, off, s[0:3], 0 offset:204
	s_waitcnt vmcnt(3)
	buffer_store_dword v69, v0, s[0:3], 0 offen
	s_waitcnt vmcnt(3)
	buffer_store_dword v70, v0, s[0:3], 0 offen offset:4
.LBB32_226:
	s_or_b64 exec, exec, s[4:5]
	v_pk_mov_b32 v[0:1], s[10:11], s[10:11] op_sel:[0,1]
	flat_load_dword v0, v[0:1] offset:96
	s_waitcnt vmcnt(0) lgkmcnt(0)
	v_add_u32_e32 v0, -1, v0
	v_cmp_ne_u32_e32 vcc, 24, v0
	s_and_saveexec_b64 s[4:5], vcc
	s_cbranch_execz .LBB32_228
; %bb.227:
	v_mov_b32_e32 v1, 0
	v_lshl_add_u32 v0, v0, 3, v1
	buffer_load_dword v1, v0, s[0:3], 0 offen
	buffer_load_dword v68, v0, s[0:3], 0 offen offset:4
	buffer_load_dword v69, off, s[0:3], 0 offset:196
	buffer_load_dword v70, off, s[0:3], 0 offset:192
	s_waitcnt vmcnt(3)
	buffer_store_dword v1, off, s[0:3], 0 offset:192
	s_waitcnt vmcnt(3)
	buffer_store_dword v68, off, s[0:3], 0 offset:196
	s_waitcnt vmcnt(3)
	buffer_store_dword v69, v0, s[0:3], 0 offen offset:4
	s_waitcnt vmcnt(3)
	buffer_store_dword v70, v0, s[0:3], 0 offen
.LBB32_228:
	s_or_b64 exec, exec, s[4:5]
	v_pk_mov_b32 v[0:1], s[10:11], s[10:11] op_sel:[0,1]
	flat_load_dword v0, v[0:1] offset:92
	s_waitcnt vmcnt(0) lgkmcnt(0)
	v_add_u32_e32 v0, -1, v0
	v_cmp_ne_u32_e32 vcc, 23, v0
	s_and_saveexec_b64 s[4:5], vcc
	s_cbranch_execz .LBB32_230
; %bb.229:
	v_mov_b32_e32 v1, 0
	v_lshl_add_u32 v0, v0, 3, v1
	buffer_load_dword v1, v0, s[0:3], 0 offen
	buffer_load_dword v68, v0, s[0:3], 0 offen offset:4
	buffer_load_dword v69, off, s[0:3], 0 offset:184
	buffer_load_dword v70, off, s[0:3], 0 offset:188
	s_waitcnt vmcnt(3)
	buffer_store_dword v1, off, s[0:3], 0 offset:184
	s_waitcnt vmcnt(3)
	buffer_store_dword v68, off, s[0:3], 0 offset:188
	s_waitcnt vmcnt(3)
	buffer_store_dword v69, v0, s[0:3], 0 offen
	s_waitcnt vmcnt(3)
	buffer_store_dword v70, v0, s[0:3], 0 offen offset:4
.LBB32_230:
	s_or_b64 exec, exec, s[4:5]
	v_pk_mov_b32 v[0:1], s[10:11], s[10:11] op_sel:[0,1]
	flat_load_dword v0, v[0:1] offset:88
	s_waitcnt vmcnt(0) lgkmcnt(0)
	v_add_u32_e32 v0, -1, v0
	v_cmp_ne_u32_e32 vcc, 22, v0
	s_and_saveexec_b64 s[4:5], vcc
	s_cbranch_execz .LBB32_232
; %bb.231:
	v_mov_b32_e32 v1, 0
	v_lshl_add_u32 v0, v0, 3, v1
	buffer_load_dword v1, v0, s[0:3], 0 offen
	buffer_load_dword v68, v0, s[0:3], 0 offen offset:4
	buffer_load_dword v69, off, s[0:3], 0 offset:180
	buffer_load_dword v70, off, s[0:3], 0 offset:176
	s_waitcnt vmcnt(3)
	buffer_store_dword v1, off, s[0:3], 0 offset:176
	s_waitcnt vmcnt(3)
	buffer_store_dword v68, off, s[0:3], 0 offset:180
	s_waitcnt vmcnt(3)
	buffer_store_dword v69, v0, s[0:3], 0 offen offset:4
	s_waitcnt vmcnt(3)
	buffer_store_dword v70, v0, s[0:3], 0 offen
.LBB32_232:
	s_or_b64 exec, exec, s[4:5]
	v_pk_mov_b32 v[0:1], s[10:11], s[10:11] op_sel:[0,1]
	flat_load_dword v0, v[0:1] offset:84
	s_waitcnt vmcnt(0) lgkmcnt(0)
	v_add_u32_e32 v0, -1, v0
	v_cmp_ne_u32_e32 vcc, 21, v0
	s_and_saveexec_b64 s[4:5], vcc
	s_cbranch_execz .LBB32_234
; %bb.233:
	v_mov_b32_e32 v1, 0
	v_lshl_add_u32 v0, v0, 3, v1
	buffer_load_dword v1, v0, s[0:3], 0 offen
	buffer_load_dword v68, v0, s[0:3], 0 offen offset:4
	buffer_load_dword v69, off, s[0:3], 0 offset:168
	buffer_load_dword v70, off, s[0:3], 0 offset:172
	s_waitcnt vmcnt(3)
	buffer_store_dword v1, off, s[0:3], 0 offset:168
	s_waitcnt vmcnt(3)
	buffer_store_dword v68, off, s[0:3], 0 offset:172
	s_waitcnt vmcnt(3)
	buffer_store_dword v69, v0, s[0:3], 0 offen
	s_waitcnt vmcnt(3)
	buffer_store_dword v70, v0, s[0:3], 0 offen offset:4
.LBB32_234:
	s_or_b64 exec, exec, s[4:5]
	v_pk_mov_b32 v[0:1], s[10:11], s[10:11] op_sel:[0,1]
	flat_load_dword v0, v[0:1] offset:80
	s_waitcnt vmcnt(0) lgkmcnt(0)
	v_add_u32_e32 v0, -1, v0
	v_cmp_ne_u32_e32 vcc, 20, v0
	s_and_saveexec_b64 s[4:5], vcc
	s_cbranch_execz .LBB32_236
; %bb.235:
	v_mov_b32_e32 v1, 0
	v_lshl_add_u32 v0, v0, 3, v1
	buffer_load_dword v1, v0, s[0:3], 0 offen
	buffer_load_dword v68, v0, s[0:3], 0 offen offset:4
	buffer_load_dword v69, off, s[0:3], 0 offset:164
	buffer_load_dword v70, off, s[0:3], 0 offset:160
	s_waitcnt vmcnt(3)
	buffer_store_dword v1, off, s[0:3], 0 offset:160
	s_waitcnt vmcnt(3)
	buffer_store_dword v68, off, s[0:3], 0 offset:164
	s_waitcnt vmcnt(3)
	buffer_store_dword v69, v0, s[0:3], 0 offen offset:4
	s_waitcnt vmcnt(3)
	buffer_store_dword v70, v0, s[0:3], 0 offen
.LBB32_236:
	s_or_b64 exec, exec, s[4:5]
	v_pk_mov_b32 v[0:1], s[10:11], s[10:11] op_sel:[0,1]
	flat_load_dword v0, v[0:1] offset:76
	s_waitcnt vmcnt(0) lgkmcnt(0)
	v_add_u32_e32 v0, -1, v0
	v_cmp_ne_u32_e32 vcc, 19, v0
	s_and_saveexec_b64 s[4:5], vcc
	s_cbranch_execz .LBB32_238
; %bb.237:
	v_mov_b32_e32 v1, 0
	v_lshl_add_u32 v0, v0, 3, v1
	buffer_load_dword v1, v0, s[0:3], 0 offen
	buffer_load_dword v68, v0, s[0:3], 0 offen offset:4
	buffer_load_dword v69, off, s[0:3], 0 offset:152
	buffer_load_dword v70, off, s[0:3], 0 offset:156
	s_waitcnt vmcnt(3)
	buffer_store_dword v1, off, s[0:3], 0 offset:152
	s_waitcnt vmcnt(3)
	buffer_store_dword v68, off, s[0:3], 0 offset:156
	s_waitcnt vmcnt(3)
	buffer_store_dword v69, v0, s[0:3], 0 offen
	s_waitcnt vmcnt(3)
	buffer_store_dword v70, v0, s[0:3], 0 offen offset:4
.LBB32_238:
	s_or_b64 exec, exec, s[4:5]
	v_pk_mov_b32 v[0:1], s[10:11], s[10:11] op_sel:[0,1]
	flat_load_dword v0, v[0:1] offset:72
	s_waitcnt vmcnt(0) lgkmcnt(0)
	v_add_u32_e32 v0, -1, v0
	v_cmp_ne_u32_e32 vcc, 18, v0
	s_and_saveexec_b64 s[4:5], vcc
	s_cbranch_execz .LBB32_240
; %bb.239:
	v_mov_b32_e32 v1, 0
	v_lshl_add_u32 v0, v0, 3, v1
	buffer_load_dword v1, v0, s[0:3], 0 offen
	buffer_load_dword v68, v0, s[0:3], 0 offen offset:4
	buffer_load_dword v69, off, s[0:3], 0 offset:148
	buffer_load_dword v70, off, s[0:3], 0 offset:144
	s_waitcnt vmcnt(3)
	buffer_store_dword v1, off, s[0:3], 0 offset:144
	s_waitcnt vmcnt(3)
	buffer_store_dword v68, off, s[0:3], 0 offset:148
	s_waitcnt vmcnt(3)
	buffer_store_dword v69, v0, s[0:3], 0 offen offset:4
	s_waitcnt vmcnt(3)
	buffer_store_dword v70, v0, s[0:3], 0 offen
.LBB32_240:
	s_or_b64 exec, exec, s[4:5]
	v_pk_mov_b32 v[0:1], s[10:11], s[10:11] op_sel:[0,1]
	flat_load_dword v0, v[0:1] offset:68
	s_waitcnt vmcnt(0) lgkmcnt(0)
	v_add_u32_e32 v0, -1, v0
	v_cmp_ne_u32_e32 vcc, 17, v0
	s_and_saveexec_b64 s[4:5], vcc
	s_cbranch_execz .LBB32_242
; %bb.241:
	v_mov_b32_e32 v1, 0
	v_lshl_add_u32 v0, v0, 3, v1
	buffer_load_dword v1, v0, s[0:3], 0 offen
	buffer_load_dword v68, v0, s[0:3], 0 offen offset:4
	buffer_load_dword v69, off, s[0:3], 0 offset:136
	buffer_load_dword v70, off, s[0:3], 0 offset:140
	s_waitcnt vmcnt(3)
	buffer_store_dword v1, off, s[0:3], 0 offset:136
	s_waitcnt vmcnt(3)
	buffer_store_dword v68, off, s[0:3], 0 offset:140
	s_waitcnt vmcnt(3)
	buffer_store_dword v69, v0, s[0:3], 0 offen
	s_waitcnt vmcnt(3)
	buffer_store_dword v70, v0, s[0:3], 0 offen offset:4
.LBB32_242:
	s_or_b64 exec, exec, s[4:5]
	v_pk_mov_b32 v[0:1], s[10:11], s[10:11] op_sel:[0,1]
	flat_load_dword v0, v[0:1] offset:64
	s_waitcnt vmcnt(0) lgkmcnt(0)
	v_add_u32_e32 v0, -1, v0
	v_cmp_ne_u32_e32 vcc, 16, v0
	s_and_saveexec_b64 s[4:5], vcc
	s_cbranch_execz .LBB32_244
; %bb.243:
	v_mov_b32_e32 v1, 0
	v_lshl_add_u32 v0, v0, 3, v1
	buffer_load_dword v1, v0, s[0:3], 0 offen
	buffer_load_dword v68, v0, s[0:3], 0 offen offset:4
	buffer_load_dword v69, off, s[0:3], 0 offset:132
	buffer_load_dword v70, off, s[0:3], 0 offset:128
	s_waitcnt vmcnt(3)
	buffer_store_dword v1, off, s[0:3], 0 offset:128
	s_waitcnt vmcnt(3)
	buffer_store_dword v68, off, s[0:3], 0 offset:132
	s_waitcnt vmcnt(3)
	buffer_store_dword v69, v0, s[0:3], 0 offen offset:4
	s_waitcnt vmcnt(3)
	buffer_store_dword v70, v0, s[0:3], 0 offen
.LBB32_244:
	s_or_b64 exec, exec, s[4:5]
	v_pk_mov_b32 v[0:1], s[10:11], s[10:11] op_sel:[0,1]
	flat_load_dword v0, v[0:1] offset:60
	s_waitcnt vmcnt(0) lgkmcnt(0)
	v_add_u32_e32 v0, -1, v0
	v_cmp_ne_u32_e32 vcc, 15, v0
	s_and_saveexec_b64 s[4:5], vcc
	s_cbranch_execz .LBB32_246
; %bb.245:
	v_mov_b32_e32 v1, 0
	v_lshl_add_u32 v0, v0, 3, v1
	buffer_load_dword v1, v0, s[0:3], 0 offen
	buffer_load_dword v68, v0, s[0:3], 0 offen offset:4
	buffer_load_dword v69, off, s[0:3], 0 offset:120
	buffer_load_dword v70, off, s[0:3], 0 offset:124
	s_waitcnt vmcnt(3)
	buffer_store_dword v1, off, s[0:3], 0 offset:120
	s_waitcnt vmcnt(3)
	buffer_store_dword v68, off, s[0:3], 0 offset:124
	s_waitcnt vmcnt(3)
	buffer_store_dword v69, v0, s[0:3], 0 offen
	s_waitcnt vmcnt(3)
	buffer_store_dword v70, v0, s[0:3], 0 offen offset:4
.LBB32_246:
	s_or_b64 exec, exec, s[4:5]
	v_pk_mov_b32 v[0:1], s[10:11], s[10:11] op_sel:[0,1]
	flat_load_dword v0, v[0:1] offset:56
	s_waitcnt vmcnt(0) lgkmcnt(0)
	v_add_u32_e32 v0, -1, v0
	v_cmp_ne_u32_e32 vcc, 14, v0
	s_and_saveexec_b64 s[4:5], vcc
	s_cbranch_execz .LBB32_248
; %bb.247:
	v_mov_b32_e32 v1, 0
	v_lshl_add_u32 v0, v0, 3, v1
	buffer_load_dword v1, v0, s[0:3], 0 offen
	buffer_load_dword v68, v0, s[0:3], 0 offen offset:4
	buffer_load_dword v69, off, s[0:3], 0 offset:116
	buffer_load_dword v70, off, s[0:3], 0 offset:112
	s_waitcnt vmcnt(3)
	buffer_store_dword v1, off, s[0:3], 0 offset:112
	s_waitcnt vmcnt(3)
	buffer_store_dword v68, off, s[0:3], 0 offset:116
	s_waitcnt vmcnt(3)
	buffer_store_dword v69, v0, s[0:3], 0 offen offset:4
	s_waitcnt vmcnt(3)
	buffer_store_dword v70, v0, s[0:3], 0 offen
.LBB32_248:
	s_or_b64 exec, exec, s[4:5]
	v_pk_mov_b32 v[0:1], s[10:11], s[10:11] op_sel:[0,1]
	flat_load_dword v0, v[0:1] offset:52
	s_waitcnt vmcnt(0) lgkmcnt(0)
	v_add_u32_e32 v0, -1, v0
	v_cmp_ne_u32_e32 vcc, 13, v0
	s_and_saveexec_b64 s[4:5], vcc
	s_cbranch_execz .LBB32_250
; %bb.249:
	v_mov_b32_e32 v1, 0
	v_lshl_add_u32 v0, v0, 3, v1
	buffer_load_dword v1, v0, s[0:3], 0 offen
	buffer_load_dword v68, v0, s[0:3], 0 offen offset:4
	buffer_load_dword v69, off, s[0:3], 0 offset:104
	buffer_load_dword v70, off, s[0:3], 0 offset:108
	s_waitcnt vmcnt(3)
	buffer_store_dword v1, off, s[0:3], 0 offset:104
	s_waitcnt vmcnt(3)
	buffer_store_dword v68, off, s[0:3], 0 offset:108
	s_waitcnt vmcnt(3)
	buffer_store_dword v69, v0, s[0:3], 0 offen
	s_waitcnt vmcnt(3)
	buffer_store_dword v70, v0, s[0:3], 0 offen offset:4
.LBB32_250:
	s_or_b64 exec, exec, s[4:5]
	v_pk_mov_b32 v[0:1], s[10:11], s[10:11] op_sel:[0,1]
	flat_load_dword v0, v[0:1] offset:48
	s_waitcnt vmcnt(0) lgkmcnt(0)
	v_add_u32_e32 v0, -1, v0
	v_cmp_ne_u32_e32 vcc, 12, v0
	s_and_saveexec_b64 s[4:5], vcc
	s_cbranch_execz .LBB32_252
; %bb.251:
	v_mov_b32_e32 v1, 0
	v_lshl_add_u32 v0, v0, 3, v1
	buffer_load_dword v1, v0, s[0:3], 0 offen
	buffer_load_dword v68, v0, s[0:3], 0 offen offset:4
	buffer_load_dword v69, off, s[0:3], 0 offset:100
	buffer_load_dword v70, off, s[0:3], 0 offset:96
	s_waitcnt vmcnt(3)
	buffer_store_dword v1, off, s[0:3], 0 offset:96
	s_waitcnt vmcnt(3)
	buffer_store_dword v68, off, s[0:3], 0 offset:100
	s_waitcnt vmcnt(3)
	buffer_store_dword v69, v0, s[0:3], 0 offen offset:4
	s_waitcnt vmcnt(3)
	buffer_store_dword v70, v0, s[0:3], 0 offen
.LBB32_252:
	s_or_b64 exec, exec, s[4:5]
	v_pk_mov_b32 v[0:1], s[10:11], s[10:11] op_sel:[0,1]
	flat_load_dword v0, v[0:1] offset:44
	s_waitcnt vmcnt(0) lgkmcnt(0)
	v_add_u32_e32 v0, -1, v0
	v_cmp_ne_u32_e32 vcc, 11, v0
	s_and_saveexec_b64 s[4:5], vcc
	s_cbranch_execz .LBB32_254
; %bb.253:
	v_mov_b32_e32 v1, 0
	v_lshl_add_u32 v0, v0, 3, v1
	buffer_load_dword v1, v0, s[0:3], 0 offen
	buffer_load_dword v68, v0, s[0:3], 0 offen offset:4
	buffer_load_dword v69, off, s[0:3], 0 offset:88
	buffer_load_dword v70, off, s[0:3], 0 offset:92
	s_waitcnt vmcnt(3)
	buffer_store_dword v1, off, s[0:3], 0 offset:88
	s_waitcnt vmcnt(3)
	buffer_store_dword v68, off, s[0:3], 0 offset:92
	s_waitcnt vmcnt(3)
	buffer_store_dword v69, v0, s[0:3], 0 offen
	s_waitcnt vmcnt(3)
	buffer_store_dword v70, v0, s[0:3], 0 offen offset:4
.LBB32_254:
	s_or_b64 exec, exec, s[4:5]
	v_pk_mov_b32 v[0:1], s[10:11], s[10:11] op_sel:[0,1]
	flat_load_dword v0, v[0:1] offset:40
	s_waitcnt vmcnt(0) lgkmcnt(0)
	v_add_u32_e32 v0, -1, v0
	v_cmp_ne_u32_e32 vcc, 10, v0
	s_and_saveexec_b64 s[4:5], vcc
	s_cbranch_execz .LBB32_256
; %bb.255:
	v_mov_b32_e32 v1, 0
	v_lshl_add_u32 v0, v0, 3, v1
	buffer_load_dword v1, v0, s[0:3], 0 offen
	buffer_load_dword v68, v0, s[0:3], 0 offen offset:4
	buffer_load_dword v69, off, s[0:3], 0 offset:84
	buffer_load_dword v70, off, s[0:3], 0 offset:80
	s_waitcnt vmcnt(3)
	buffer_store_dword v1, off, s[0:3], 0 offset:80
	s_waitcnt vmcnt(3)
	buffer_store_dword v68, off, s[0:3], 0 offset:84
	s_waitcnt vmcnt(3)
	buffer_store_dword v69, v0, s[0:3], 0 offen offset:4
	s_waitcnt vmcnt(3)
	buffer_store_dword v70, v0, s[0:3], 0 offen
.LBB32_256:
	s_or_b64 exec, exec, s[4:5]
	v_pk_mov_b32 v[0:1], s[10:11], s[10:11] op_sel:[0,1]
	flat_load_dword v0, v[0:1] offset:36
	s_waitcnt vmcnt(0) lgkmcnt(0)
	v_add_u32_e32 v0, -1, v0
	v_cmp_ne_u32_e32 vcc, 9, v0
	s_and_saveexec_b64 s[4:5], vcc
	s_cbranch_execz .LBB32_258
; %bb.257:
	v_mov_b32_e32 v1, 0
	v_lshl_add_u32 v0, v0, 3, v1
	buffer_load_dword v1, v0, s[0:3], 0 offen
	buffer_load_dword v68, v0, s[0:3], 0 offen offset:4
	buffer_load_dword v69, off, s[0:3], 0 offset:72
	buffer_load_dword v70, off, s[0:3], 0 offset:76
	s_waitcnt vmcnt(3)
	buffer_store_dword v1, off, s[0:3], 0 offset:72
	s_waitcnt vmcnt(3)
	buffer_store_dword v68, off, s[0:3], 0 offset:76
	s_waitcnt vmcnt(3)
	buffer_store_dword v69, v0, s[0:3], 0 offen
	s_waitcnt vmcnt(3)
	buffer_store_dword v70, v0, s[0:3], 0 offen offset:4
.LBB32_258:
	s_or_b64 exec, exec, s[4:5]
	v_pk_mov_b32 v[0:1], s[10:11], s[10:11] op_sel:[0,1]
	flat_load_dword v0, v[0:1] offset:32
	s_waitcnt vmcnt(0) lgkmcnt(0)
	v_add_u32_e32 v0, -1, v0
	v_cmp_ne_u32_e32 vcc, 8, v0
	s_and_saveexec_b64 s[4:5], vcc
	s_cbranch_execz .LBB32_260
; %bb.259:
	v_mov_b32_e32 v1, 0
	v_lshl_add_u32 v0, v0, 3, v1
	buffer_load_dword v1, v0, s[0:3], 0 offen
	buffer_load_dword v68, v0, s[0:3], 0 offen offset:4
	buffer_load_dword v69, off, s[0:3], 0 offset:68
	buffer_load_dword v70, off, s[0:3], 0 offset:64
	s_waitcnt vmcnt(3)
	buffer_store_dword v1, off, s[0:3], 0 offset:64
	s_waitcnt vmcnt(3)
	buffer_store_dword v68, off, s[0:3], 0 offset:68
	s_waitcnt vmcnt(3)
	buffer_store_dword v69, v0, s[0:3], 0 offen offset:4
	s_waitcnt vmcnt(3)
	buffer_store_dword v70, v0, s[0:3], 0 offen
.LBB32_260:
	s_or_b64 exec, exec, s[4:5]
	v_pk_mov_b32 v[0:1], s[10:11], s[10:11] op_sel:[0,1]
	flat_load_dword v0, v[0:1] offset:28
	s_waitcnt vmcnt(0) lgkmcnt(0)
	v_add_u32_e32 v0, -1, v0
	v_cmp_ne_u32_e32 vcc, 7, v0
	s_and_saveexec_b64 s[4:5], vcc
	s_cbranch_execz .LBB32_262
; %bb.261:
	v_mov_b32_e32 v1, 0
	v_lshl_add_u32 v0, v0, 3, v1
	buffer_load_dword v1, v0, s[0:3], 0 offen
	buffer_load_dword v68, v0, s[0:3], 0 offen offset:4
	buffer_load_dword v69, off, s[0:3], 0 offset:56
	buffer_load_dword v70, off, s[0:3], 0 offset:60
	s_waitcnt vmcnt(3)
	buffer_store_dword v1, off, s[0:3], 0 offset:56
	s_waitcnt vmcnt(3)
	buffer_store_dword v68, off, s[0:3], 0 offset:60
	s_waitcnt vmcnt(3)
	buffer_store_dword v69, v0, s[0:3], 0 offen
	s_waitcnt vmcnt(3)
	buffer_store_dword v70, v0, s[0:3], 0 offen offset:4
.LBB32_262:
	s_or_b64 exec, exec, s[4:5]
	v_pk_mov_b32 v[0:1], s[10:11], s[10:11] op_sel:[0,1]
	flat_load_dword v0, v[0:1] offset:24
	s_waitcnt vmcnt(0) lgkmcnt(0)
	v_add_u32_e32 v0, -1, v0
	v_cmp_ne_u32_e32 vcc, 6, v0
	s_and_saveexec_b64 s[4:5], vcc
	s_cbranch_execz .LBB32_264
; %bb.263:
	v_mov_b32_e32 v1, 0
	v_lshl_add_u32 v0, v0, 3, v1
	buffer_load_dword v1, v0, s[0:3], 0 offen
	buffer_load_dword v68, v0, s[0:3], 0 offen offset:4
	buffer_load_dword v69, off, s[0:3], 0 offset:52
	buffer_load_dword v70, off, s[0:3], 0 offset:48
	s_waitcnt vmcnt(3)
	buffer_store_dword v1, off, s[0:3], 0 offset:48
	s_waitcnt vmcnt(3)
	buffer_store_dword v68, off, s[0:3], 0 offset:52
	s_waitcnt vmcnt(3)
	buffer_store_dword v69, v0, s[0:3], 0 offen offset:4
	s_waitcnt vmcnt(3)
	buffer_store_dword v70, v0, s[0:3], 0 offen
.LBB32_264:
	s_or_b64 exec, exec, s[4:5]
	v_pk_mov_b32 v[0:1], s[10:11], s[10:11] op_sel:[0,1]
	flat_load_dword v0, v[0:1] offset:20
	s_waitcnt vmcnt(0) lgkmcnt(0)
	v_add_u32_e32 v0, -1, v0
	v_cmp_ne_u32_e32 vcc, 5, v0
	s_and_saveexec_b64 s[4:5], vcc
	s_cbranch_execz .LBB32_266
; %bb.265:
	v_mov_b32_e32 v1, 0
	v_lshl_add_u32 v0, v0, 3, v1
	buffer_load_dword v1, v0, s[0:3], 0 offen
	buffer_load_dword v68, v0, s[0:3], 0 offen offset:4
	buffer_load_dword v69, off, s[0:3], 0 offset:40
	buffer_load_dword v70, off, s[0:3], 0 offset:44
	s_waitcnt vmcnt(3)
	buffer_store_dword v1, off, s[0:3], 0 offset:40
	s_waitcnt vmcnt(3)
	buffer_store_dword v68, off, s[0:3], 0 offset:44
	s_waitcnt vmcnt(3)
	buffer_store_dword v69, v0, s[0:3], 0 offen
	s_waitcnt vmcnt(3)
	buffer_store_dword v70, v0, s[0:3], 0 offen offset:4
.LBB32_266:
	s_or_b64 exec, exec, s[4:5]
	v_pk_mov_b32 v[0:1], s[10:11], s[10:11] op_sel:[0,1]
	flat_load_dword v0, v[0:1] offset:16
	s_waitcnt vmcnt(0) lgkmcnt(0)
	v_add_u32_e32 v0, -1, v0
	v_cmp_ne_u32_e32 vcc, 4, v0
	s_and_saveexec_b64 s[4:5], vcc
	s_cbranch_execz .LBB32_268
; %bb.267:
	v_mov_b32_e32 v1, 0
	v_lshl_add_u32 v0, v0, 3, v1
	buffer_load_dword v1, v0, s[0:3], 0 offen
	buffer_load_dword v68, v0, s[0:3], 0 offen offset:4
	buffer_load_dword v69, off, s[0:3], 0 offset:36
	buffer_load_dword v70, off, s[0:3], 0 offset:32
	s_waitcnt vmcnt(3)
	buffer_store_dword v1, off, s[0:3], 0 offset:32
	s_waitcnt vmcnt(3)
	buffer_store_dword v68, off, s[0:3], 0 offset:36
	s_waitcnt vmcnt(3)
	buffer_store_dword v69, v0, s[0:3], 0 offen offset:4
	s_waitcnt vmcnt(3)
	buffer_store_dword v70, v0, s[0:3], 0 offen
.LBB32_268:
	s_or_b64 exec, exec, s[4:5]
	v_pk_mov_b32 v[0:1], s[10:11], s[10:11] op_sel:[0,1]
	flat_load_dword v0, v[0:1] offset:12
	s_waitcnt vmcnt(0) lgkmcnt(0)
	v_add_u32_e32 v0, -1, v0
	v_cmp_ne_u32_e32 vcc, 3, v0
	s_and_saveexec_b64 s[4:5], vcc
	s_cbranch_execz .LBB32_270
; %bb.269:
	v_mov_b32_e32 v1, 0
	v_lshl_add_u32 v0, v0, 3, v1
	buffer_load_dword v1, v0, s[0:3], 0 offen
	buffer_load_dword v68, v0, s[0:3], 0 offen offset:4
	buffer_load_dword v69, off, s[0:3], 0 offset:24
	buffer_load_dword v70, off, s[0:3], 0 offset:28
	s_waitcnt vmcnt(3)
	buffer_store_dword v1, off, s[0:3], 0 offset:24
	s_waitcnt vmcnt(3)
	buffer_store_dword v68, off, s[0:3], 0 offset:28
	s_waitcnt vmcnt(3)
	buffer_store_dword v69, v0, s[0:3], 0 offen
	s_waitcnt vmcnt(3)
	buffer_store_dword v70, v0, s[0:3], 0 offen offset:4
.LBB32_270:
	s_or_b64 exec, exec, s[4:5]
	v_pk_mov_b32 v[0:1], s[10:11], s[10:11] op_sel:[0,1]
	flat_load_dword v0, v[0:1] offset:8
	s_waitcnt vmcnt(0) lgkmcnt(0)
	v_add_u32_e32 v0, -1, v0
	v_cmp_ne_u32_e32 vcc, 2, v0
	s_and_saveexec_b64 s[4:5], vcc
	s_cbranch_execz .LBB32_272
; %bb.271:
	v_mov_b32_e32 v1, 0
	v_lshl_add_u32 v0, v0, 3, v1
	buffer_load_dword v1, v0, s[0:3], 0 offen
	buffer_load_dword v68, v0, s[0:3], 0 offen offset:4
	buffer_load_dword v69, off, s[0:3], 0 offset:20
	buffer_load_dword v70, off, s[0:3], 0 offset:16
	s_waitcnt vmcnt(3)
	buffer_store_dword v1, off, s[0:3], 0 offset:16
	s_waitcnt vmcnt(3)
	buffer_store_dword v68, off, s[0:3], 0 offset:20
	s_waitcnt vmcnt(3)
	buffer_store_dword v69, v0, s[0:3], 0 offen offset:4
	s_waitcnt vmcnt(3)
	buffer_store_dword v70, v0, s[0:3], 0 offen
.LBB32_272:
	s_or_b64 exec, exec, s[4:5]
	v_pk_mov_b32 v[0:1], s[10:11], s[10:11] op_sel:[0,1]
	flat_load_dword v0, v[0:1] offset:4
	s_waitcnt vmcnt(0) lgkmcnt(0)
	v_add_u32_e32 v0, -1, v0
	v_cmp_ne_u32_e32 vcc, 1, v0
	s_and_saveexec_b64 s[4:5], vcc
	s_cbranch_execz .LBB32_274
; %bb.273:
	v_mov_b32_e32 v1, 0
	v_lshl_add_u32 v0, v0, 3, v1
	buffer_load_dword v1, v0, s[0:3], 0 offen
	buffer_load_dword v68, v0, s[0:3], 0 offen offset:4
	buffer_load_dword v69, off, s[0:3], 0 offset:8
	buffer_load_dword v70, off, s[0:3], 0 offset:12
	s_waitcnt vmcnt(3)
	buffer_store_dword v1, off, s[0:3], 0 offset:8
	s_waitcnt vmcnt(3)
	buffer_store_dword v68, off, s[0:3], 0 offset:12
	s_waitcnt vmcnt(3)
	buffer_store_dword v69, v0, s[0:3], 0 offen
	s_waitcnt vmcnt(3)
	buffer_store_dword v70, v0, s[0:3], 0 offen offset:4
.LBB32_274:
	s_or_b64 exec, exec, s[4:5]
	v_pk_mov_b32 v[0:1], s[10:11], s[10:11] op_sel:[0,1]
	flat_load_dword v68, v[0:1]
	s_nop 0
	buffer_load_dword v0, off, s[0:3], 0
	buffer_load_dword v1, off, s[0:3], 0 offset:4
	s_waitcnt vmcnt(0) lgkmcnt(0)
	v_add_u32_e32 v68, -1, v68
	v_cmp_ne_u32_e32 vcc, 0, v68
	s_and_saveexec_b64 s[4:5], vcc
	s_cbranch_execz .LBB32_276
; %bb.275:
	v_mov_b32_e32 v69, 0
	v_lshl_add_u32 v68, v68, 3, v69
	buffer_load_dword v69, v68, s[0:3], 0 offen offset:4
	buffer_load_dword v70, v68, s[0:3], 0 offen
	s_waitcnt vmcnt(1)
	buffer_store_dword v69, off, s[0:3], 0 offset:4
	s_waitcnt vmcnt(1)
	buffer_store_dword v70, off, s[0:3], 0
	buffer_store_dword v1, v68, s[0:3], 0 offen offset:4
	buffer_store_dword v0, v68, s[0:3], 0 offen
	buffer_load_dword v0, off, s[0:3], 0
	s_nop 0
	buffer_load_dword v1, off, s[0:3], 0 offset:4
.LBB32_276:
	s_or_b64 exec, exec, s[4:5]
.LBB32_277:
	buffer_load_dword v68, off, s[0:3], 0 offset:8
	buffer_load_dword v69, off, s[0:3], 0 offset:12
	;; [unrolled: 1-line block ×64, first 2 shown]
	s_waitcnt vmcnt(62)
	global_store_dwordx2 v[58:59], v[0:1], off
	global_store_dwordx2 v[60:61], v[68:69], off
	s_waitcnt vmcnt(62)
	global_store_dwordx2 v[2:3], v[70:71], off
	s_waitcnt vmcnt(61)
	;; [unrolled: 2-line block ×31, first 2 shown]
	global_store_dwordx2 v[66:67], v[130:131], off
	s_endpgm
	.section	.rodata,"a",@progbits
	.p2align	6, 0x0
	.amdhsa_kernel _ZN9rocsolver6v33100L18getri_kernel_smallILi33E19rocblas_complex_numIfEPS3_EEvT1_iilPiilS6_bb
		.amdhsa_group_segment_fixed_size 536
		.amdhsa_private_segment_fixed_size 272
		.amdhsa_kernarg_size 60
		.amdhsa_user_sgpr_count 8
		.amdhsa_user_sgpr_private_segment_buffer 1
		.amdhsa_user_sgpr_dispatch_ptr 0
		.amdhsa_user_sgpr_queue_ptr 0
		.amdhsa_user_sgpr_kernarg_segment_ptr 1
		.amdhsa_user_sgpr_dispatch_id 0
		.amdhsa_user_sgpr_flat_scratch_init 1
		.amdhsa_user_sgpr_kernarg_preload_length 0
		.amdhsa_user_sgpr_kernarg_preload_offset 0
		.amdhsa_user_sgpr_private_segment_size 0
		.amdhsa_uses_dynamic_stack 0
		.amdhsa_system_sgpr_private_segment_wavefront_offset 1
		.amdhsa_system_sgpr_workgroup_id_x 1
		.amdhsa_system_sgpr_workgroup_id_y 0
		.amdhsa_system_sgpr_workgroup_id_z 0
		.amdhsa_system_sgpr_workgroup_info 0
		.amdhsa_system_vgpr_workitem_id 0
		.amdhsa_next_free_vgpr 184
		.amdhsa_next_free_sgpr 23
		.amdhsa_accum_offset 184
		.amdhsa_reserve_vcc 1
		.amdhsa_reserve_flat_scratch 1
		.amdhsa_float_round_mode_32 0
		.amdhsa_float_round_mode_16_64 0
		.amdhsa_float_denorm_mode_32 3
		.amdhsa_float_denorm_mode_16_64 3
		.amdhsa_dx10_clamp 1
		.amdhsa_ieee_mode 1
		.amdhsa_fp16_overflow 0
		.amdhsa_tg_split 0
		.amdhsa_exception_fp_ieee_invalid_op 0
		.amdhsa_exception_fp_denorm_src 0
		.amdhsa_exception_fp_ieee_div_zero 0
		.amdhsa_exception_fp_ieee_overflow 0
		.amdhsa_exception_fp_ieee_underflow 0
		.amdhsa_exception_fp_ieee_inexact 0
		.amdhsa_exception_int_div_zero 0
	.end_amdhsa_kernel
	.section	.text._ZN9rocsolver6v33100L18getri_kernel_smallILi33E19rocblas_complex_numIfEPS3_EEvT1_iilPiilS6_bb,"axG",@progbits,_ZN9rocsolver6v33100L18getri_kernel_smallILi33E19rocblas_complex_numIfEPS3_EEvT1_iilPiilS6_bb,comdat
.Lfunc_end32:
	.size	_ZN9rocsolver6v33100L18getri_kernel_smallILi33E19rocblas_complex_numIfEPS3_EEvT1_iilPiilS6_bb, .Lfunc_end32-_ZN9rocsolver6v33100L18getri_kernel_smallILi33E19rocblas_complex_numIfEPS3_EEvT1_iilPiilS6_bb
                                        ; -- End function
	.section	.AMDGPU.csdata,"",@progbits
; Kernel info:
; codeLenInByte = 50504
; NumSgprs: 29
; NumVgprs: 184
; NumAgprs: 0
; TotalNumVgprs: 184
; ScratchSize: 272
; MemoryBound: 0
; FloatMode: 240
; IeeeMode: 1
; LDSByteSize: 536 bytes/workgroup (compile time only)
; SGPRBlocks: 3
; VGPRBlocks: 22
; NumSGPRsForWavesPerEU: 29
; NumVGPRsForWavesPerEU: 184
; AccumOffset: 184
; Occupancy: 2
; WaveLimiterHint : 1
; COMPUTE_PGM_RSRC2:SCRATCH_EN: 1
; COMPUTE_PGM_RSRC2:USER_SGPR: 8
; COMPUTE_PGM_RSRC2:TRAP_HANDLER: 0
; COMPUTE_PGM_RSRC2:TGID_X_EN: 1
; COMPUTE_PGM_RSRC2:TGID_Y_EN: 0
; COMPUTE_PGM_RSRC2:TGID_Z_EN: 0
; COMPUTE_PGM_RSRC2:TIDIG_COMP_CNT: 0
; COMPUTE_PGM_RSRC3_GFX90A:ACCUM_OFFSET: 45
; COMPUTE_PGM_RSRC3_GFX90A:TG_SPLIT: 0
	.section	.text._ZN9rocsolver6v33100L18getri_kernel_smallILi34E19rocblas_complex_numIfEPS3_EEvT1_iilPiilS6_bb,"axG",@progbits,_ZN9rocsolver6v33100L18getri_kernel_smallILi34E19rocblas_complex_numIfEPS3_EEvT1_iilPiilS6_bb,comdat
	.globl	_ZN9rocsolver6v33100L18getri_kernel_smallILi34E19rocblas_complex_numIfEPS3_EEvT1_iilPiilS6_bb ; -- Begin function _ZN9rocsolver6v33100L18getri_kernel_smallILi34E19rocblas_complex_numIfEPS3_EEvT1_iilPiilS6_bb
	.p2align	8
	.type	_ZN9rocsolver6v33100L18getri_kernel_smallILi34E19rocblas_complex_numIfEPS3_EEvT1_iilPiilS6_bb,@function
_ZN9rocsolver6v33100L18getri_kernel_smallILi34E19rocblas_complex_numIfEPS3_EEvT1_iilPiilS6_bb: ; @_ZN9rocsolver6v33100L18getri_kernel_smallILi34E19rocblas_complex_numIfEPS3_EEvT1_iilPiilS6_bb
; %bb.0:
	s_add_u32 flat_scratch_lo, s6, s9
	s_addc_u32 flat_scratch_hi, s7, 0
	s_add_u32 s0, s0, s9
	s_addc_u32 s1, s1, 0
	v_cmp_gt_u32_e32 vcc, 34, v0
	s_and_saveexec_b64 s[6:7], vcc
	s_cbranch_execz .LBB33_150
; %bb.1:
	s_load_dword s22, s[4:5], 0x38
	s_load_dwordx4 s[16:19], s[4:5], 0x10
	s_load_dwordx4 s[12:15], s[4:5], 0x28
                                        ; implicit-def: $sgpr10_sgpr11
	s_waitcnt lgkmcnt(0)
	s_bitcmp1_b32 s22, 8
	s_cselect_b64 s[20:21], -1, 0
	s_ashr_i32 s9, s8, 31
	s_bfe_u32 s6, s22, 0x10008
	s_cmp_eq_u32 s6, 0
	s_cbranch_scc1 .LBB33_3
; %bb.2:
	s_load_dword s6, s[4:5], 0x20
	s_mul_i32 s7, s8, s13
	s_mul_hi_u32 s10, s8, s12
	s_mul_i32 s11, s9, s12
	s_add_i32 s10, s10, s7
	s_add_i32 s11, s10, s11
	s_mul_i32 s10, s8, s12
	s_waitcnt lgkmcnt(0)
	s_ashr_i32 s7, s6, 31
	s_lshl_b64 s[10:11], s[10:11], 2
	s_add_u32 s10, s18, s10
	s_addc_u32 s11, s19, s11
	s_lshl_b64 s[6:7], s[6:7], 2
	s_add_u32 s10, s10, s6
	s_addc_u32 s11, s11, s7
.LBB33_3:
	s_load_dwordx4 s[4:7], s[4:5], 0x0
	s_mul_i32 s12, s8, s17
	s_mul_hi_u32 s13, s8, s16
	s_add_i32 s17, s13, s12
	v_lshlrev_b32_e32 v74, 3, v0
	s_waitcnt lgkmcnt(0)
	s_ashr_i32 s13, s6, 31
	s_mov_b32 s12, s6
	s_mul_i32 s6, s9, s16
	s_add_i32 s17, s17, s6
	s_mul_i32 s16, s8, s16
	s_lshl_b64 s[16:17], s[16:17], 3
	s_add_u32 s6, s4, s16
	s_addc_u32 s16, s5, s17
	s_lshl_b64 s[4:5], s[12:13], 3
	s_add_u32 s4, s6, s4
	s_addc_u32 s5, s16, s5
	s_add_i32 s6, s7, s7
	v_add_u32_e32 v4, s6, v0
	v_ashrrev_i32_e32 v5, 31, v4
	v_lshlrev_b64 v[2:3], 3, v[4:5]
	v_add_u32_e32 v6, s7, v4
	v_mov_b32_e32 v1, s5
	v_add_co_u32_e32 v2, vcc, s4, v2
	v_ashrrev_i32_e32 v7, 31, v6
	v_addc_co_u32_e32 v3, vcc, v1, v3, vcc
	v_lshlrev_b64 v[4:5], 3, v[6:7]
	v_add_u32_e32 v8, s7, v6
	v_add_co_u32_e32 v4, vcc, s4, v4
	v_ashrrev_i32_e32 v9, 31, v8
	v_addc_co_u32_e32 v5, vcc, v1, v5, vcc
	v_lshlrev_b64 v[6:7], 3, v[8:9]
	v_add_u32_e32 v10, s7, v8
	;; [unrolled: 5-line block ×26, first 2 shown]
	v_add_co_u32_e32 v54, vcc, s4, v54
	v_ashrrev_i32_e32 v59, 31, v58
	v_addc_co_u32_e32 v55, vcc, v1, v55, vcc
	v_lshlrev_b64 v[56:57], 3, v[58:59]
	v_add_co_u32_e32 v56, vcc, s4, v56
	v_addc_co_u32_e32 v57, vcc, v1, v57, vcc
	v_add_co_u32_e32 v60, vcc, s4, v74
	s_ashr_i32 s13, s7, 31
	s_mov_b32 s12, s7
	v_addc_co_u32_e32 v61, vcc, 0, v1, vcc
	s_lshl_b64 s[12:13], s[12:13], 3
	v_add_u32_e32 v64, s7, v58
	v_mov_b32_e32 v1, s13
	v_add_co_u32_e32 v62, vcc, s12, v60
	v_ashrrev_i32_e32 v65, 31, v64
	v_addc_co_u32_e32 v63, vcc, v61, v1, vcc
	v_lshlrev_b64 v[58:59], 3, v[64:65]
	v_add_u32_e32 v66, s7, v64
	v_mov_b32_e32 v1, s5
	v_add_co_u32_e32 v58, vcc, s4, v58
	v_ashrrev_i32_e32 v67, 31, v66
	v_addc_co_u32_e32 v59, vcc, v1, v59, vcc
	v_lshlrev_b64 v[64:65], 3, v[66:67]
	v_add_u32_e32 v68, s7, v66
	v_add_co_u32_e32 v64, vcc, s4, v64
	v_ashrrev_i32_e32 v69, 31, v68
	v_addc_co_u32_e32 v65, vcc, v1, v65, vcc
	v_lshlrev_b64 v[66:67], 3, v[68:69]
	v_add_co_u32_e32 v66, vcc, s4, v66
	global_load_dwordx2 v[70:71], v74, s[4:5]
	global_load_dwordx2 v[76:77], v[2:3], off
	global_load_dwordx2 v[78:79], v[4:5], off
	;; [unrolled: 1-line block ×24, first 2 shown]
	v_addc_co_u32_e32 v67, vcc, v1, v67, vcc
	global_load_dwordx2 v[122:123], v[48:49], off
	global_load_dwordx2 v[124:125], v[50:51], off
	;; [unrolled: 1-line block ×8, first 2 shown]
	v_add_u32_e32 v68, s7, v68
	v_ashrrev_i32_e32 v69, 31, v68
	v_lshlrev_b64 v[68:69], 3, v[68:69]
	v_add_co_u32_e32 v68, vcc, s4, v68
	v_addc_co_u32_e32 v69, vcc, v1, v69, vcc
	global_load_dwordx2 v[138:139], v[68:69], off
	s_bitcmp0_b32 s22, 0
	s_mov_b64 s[6:7], -1
	s_waitcnt vmcnt(33)
	buffer_store_dword v71, off, s[0:3], 0 offset:4
	buffer_store_dword v70, off, s[0:3], 0
	s_waitcnt vmcnt(31)
	buffer_store_dword v73, off, s[0:3], 0 offset:12
	buffer_store_dword v72, off, s[0:3], 0 offset:8
	;; [unrolled: 1-line block ×8, first 2 shown]
	s_waitcnt vmcnt(38)
	buffer_store_dword v83, off, s[0:3], 0 offset:44
	buffer_store_dword v82, off, s[0:3], 0 offset:40
	s_waitcnt vmcnt(39)
	buffer_store_dword v85, off, s[0:3], 0 offset:52
	buffer_store_dword v84, off, s[0:3], 0 offset:48
	;; [unrolled: 3-line block ×26, first 2 shown]
	buffer_store_dword v135, off, s[0:3], 0 offset:252
	buffer_store_dword v134, off, s[0:3], 0 offset:248
	s_waitcnt vmcnt(62)
	buffer_store_dword v137, off, s[0:3], 0 offset:260
	buffer_store_dword v136, off, s[0:3], 0 offset:256
	;; [unrolled: 1-line block ×4, first 2 shown]
	s_cbranch_scc1 .LBB33_148
; %bb.4:
	v_cmp_eq_u32_e64 s[4:5], 0, v0
	s_and_saveexec_b64 s[6:7], s[4:5]
	s_cbranch_execz .LBB33_6
; %bb.5:
	v_mov_b32_e32 v1, 0
	ds_write_b32 v1, v1 offset:544
.LBB33_6:
	s_or_b64 exec, exec, s[6:7]
	v_mov_b32_e32 v1, 0
	v_lshl_add_u32 v75, v0, 3, v1
	s_waitcnt lgkmcnt(0)
	; wave barrier
	s_waitcnt lgkmcnt(0)
	buffer_load_dword v1, v75, s[0:3], 0 offen
	buffer_load_dword v70, v75, s[0:3], 0 offen offset:4
	s_waitcnt vmcnt(1)
	v_cmp_eq_f32_e32 vcc, 0, v1
	s_waitcnt vmcnt(0)
	v_cmp_eq_f32_e64 s[6:7], 0, v70
	s_and_b64 s[6:7], vcc, s[6:7]
	s_and_saveexec_b64 s[12:13], s[6:7]
	s_cbranch_execz .LBB33_10
; %bb.7:
	v_mov_b32_e32 v1, 0
	ds_read_b32 v71, v1 offset:544
	v_add_u32_e32 v70, 1, v0
	s_waitcnt lgkmcnt(0)
	v_readfirstlane_b32 s6, v71
	s_cmp_eq_u32 s6, 0
	s_cselect_b64 s[16:17], -1, 0
	v_cmp_gt_i32_e32 vcc, s6, v70
	s_or_b64 s[16:17], s[16:17], vcc
	s_and_b64 exec, exec, s[16:17]
	s_cbranch_execz .LBB33_10
; %bb.8:
	s_mov_b64 s[16:17], 0
	v_mov_b32_e32 v71, s6
.LBB33_9:                               ; =>This Inner Loop Header: Depth=1
	ds_cmpst_rtn_b32 v71, v1, v71, v70 offset:544
	s_waitcnt lgkmcnt(0)
	v_cmp_ne_u32_e32 vcc, 0, v71
	v_cmp_le_i32_e64 s[6:7], v71, v70
	s_and_b64 s[6:7], vcc, s[6:7]
	s_and_b64 s[6:7], exec, s[6:7]
	s_or_b64 s[16:17], s[6:7], s[16:17]
	s_andn2_b64 exec, exec, s[16:17]
	s_cbranch_execnz .LBB33_9
.LBB33_10:
	s_or_b64 exec, exec, s[12:13]
	v_mov_b32_e32 v70, 0
	s_waitcnt lgkmcnt(0)
	; wave barrier
	ds_read_b32 v1, v70 offset:544
	s_and_saveexec_b64 s[6:7], s[4:5]
	s_cbranch_execz .LBB33_12
; %bb.11:
	s_lshl_b64 s[12:13], s[8:9], 2
	s_add_u32 s12, s14, s12
	s_addc_u32 s13, s15, s13
	s_waitcnt lgkmcnt(0)
	global_store_dword v70, v1, s[12:13]
.LBB33_12:
	s_or_b64 exec, exec, s[6:7]
	s_waitcnt lgkmcnt(0)
	v_cmp_ne_u32_e32 vcc, 0, v1
	s_mov_b64 s[6:7], 0
	s_cbranch_vccnz .LBB33_148
; %bb.13:
	buffer_load_dword v76, v75, s[0:3], 0 offen offset:4
	buffer_load_dword v71, v75, s[0:3], 0 offen
	s_waitcnt vmcnt(1)
	v_cmp_gt_f32_e32 vcc, 0, v76
	v_cndmask_b32_e64 v1, v76, -v76, vcc
	s_waitcnt vmcnt(0)
	v_cmp_gt_f32_e32 vcc, 0, v71
	v_cndmask_b32_e64 v70, v71, -v71, vcc
	v_cmp_ngt_f32_e32 vcc, v70, v1
                                        ; implicit-def: $vgpr1
                                        ; implicit-def: $vgpr70
	s_and_saveexec_b64 s[6:7], vcc
	s_xor_b64 s[6:7], exec, s[6:7]
                                        ; implicit-def: $vgpr72_vgpr73
	s_cbranch_execz .LBB33_15
; %bb.14:
	v_div_scale_f32 v1, s[12:13], v76, v76, v71
	v_rcp_f32_e32 v70, v1
	v_div_scale_f32 v72, vcc, v71, v76, v71
	v_fma_f32 v73, -v1, v70, 1.0
	v_fmac_f32_e32 v70, v73, v70
	v_mul_f32_e32 v73, v72, v70
	v_fma_f32 v77, -v1, v73, v72
	v_fmac_f32_e32 v73, v77, v70
	v_fma_f32 v1, -v1, v73, v72
	v_div_fmas_f32 v1, v1, v70, v73
	v_div_fixup_f32 v70, v1, v76, v71
	v_fmac_f32_e32 v76, v71, v70
	v_div_scale_f32 v1, s[12:13], v76, v76, -1.0
	v_rcp_f32_e32 v71, v1
	v_fma_f32 v72, -v1, v71, 1.0
	v_fmac_f32_e32 v71, v72, v71
	v_div_scale_f32 v72, vcc, -1.0, v76, -1.0
	v_mul_f32_e32 v73, v72, v71
	v_fma_f32 v77, -v1, v73, v72
	v_fmac_f32_e32 v73, v77, v71
	v_fma_f32 v1, -v1, v73, v72
	v_div_fmas_f32 v1, v1, v71, v73
	v_div_fixup_f32 v1, v1, v76, -1.0
	v_mul_f32_e32 v70, v70, v1
	v_xor_b32_e32 v72, 0x80000000, v70
                                        ; implicit-def: $vgpr71
                                        ; implicit-def: $vgpr76
.LBB33_15:
	s_andn2_saveexec_b64 s[6:7], s[6:7]
	s_cbranch_execz .LBB33_17
; %bb.16:
	v_div_scale_f32 v1, s[12:13], v71, v71, v76
	v_rcp_f32_e32 v70, v1
	v_div_scale_f32 v72, vcc, v76, v71, v76
	v_fma_f32 v73, -v1, v70, 1.0
	v_fmac_f32_e32 v70, v73, v70
	v_mul_f32_e32 v73, v72, v70
	v_fma_f32 v77, -v1, v73, v72
	v_fmac_f32_e32 v73, v77, v70
	v_fma_f32 v1, -v1, v73, v72
	v_div_fmas_f32 v1, v1, v70, v73
	v_div_fixup_f32 v1, v1, v71, v76
	v_fmac_f32_e32 v71, v76, v1
	v_div_scale_f32 v70, s[12:13], v71, v71, 1.0
	v_rcp_f32_e32 v72, v70
	v_fma_f32 v73, -v70, v72, 1.0
	v_fmac_f32_e32 v72, v73, v72
	v_div_scale_f32 v73, vcc, 1.0, v71, 1.0
	v_mul_f32_e32 v76, v73, v72
	v_fma_f32 v77, -v70, v76, v73
	v_fmac_f32_e32 v76, v77, v72
	v_fma_f32 v70, -v70, v76, v73
	v_div_fmas_f32 v70, v70, v72, v76
	v_div_fixup_f32 v72, v70, v71, 1.0
	v_xor_b32_e32 v70, 0x80000000, v72
	v_mul_f32_e64 v1, v1, -v72
.LBB33_17:
	s_or_b64 exec, exec, s[6:7]
	buffer_store_dword v1, v75, s[0:3], 0 offen offset:4
	buffer_store_dword v72, v75, s[0:3], 0 offen
	buffer_load_dword v73, off, s[0:3], 0 offset:12
	s_nop 0
	buffer_load_dword v72, off, s[0:3], 0 offset:8
	v_xor_b32_e32 v71, 0x80000000, v1
	v_add_u32_e32 v1, 0x110, v74
	s_waitcnt vmcnt(0)
	ds_write2_b64 v74, v[70:71], v[72:73] offset1:34
	s_waitcnt lgkmcnt(0)
	; wave barrier
	s_waitcnt lgkmcnt(0)
	s_and_saveexec_b64 s[6:7], s[4:5]
	s_cbranch_execz .LBB33_19
; %bb.18:
	buffer_load_dword v76, v75, s[0:3], 0 offen offset:4
	buffer_load_dword v77, v75, s[0:3], 0 offen
	ds_read_b64 v[70:71], v1
	v_mov_b32_e32 v72, 0
	ds_read_b64 v[72:73], v72 offset:8
	s_waitcnt vmcnt(1) lgkmcnt(1)
	v_mul_f32_e32 v78, v71, v76
	v_mul_f32_e32 v76, v70, v76
	s_waitcnt vmcnt(0)
	v_fmac_f32_e32 v76, v71, v77
	v_fma_f32 v70, v70, v77, -v78
	v_add_f32_e32 v71, 0, v76
	v_add_f32_e32 v70, 0, v70
	s_waitcnt lgkmcnt(0)
	v_mul_f32_e32 v76, v71, v73
	v_mul_f32_e32 v73, v70, v73
	v_fma_f32 v70, v70, v72, -v76
	v_fmac_f32_e32 v73, v71, v72
	buffer_store_dword v70, off, s[0:3], 0 offset:8
	buffer_store_dword v73, off, s[0:3], 0 offset:12
.LBB33_19:
	s_or_b64 exec, exec, s[6:7]
	s_waitcnt lgkmcnt(0)
	; wave barrier
	buffer_load_dword v70, off, s[0:3], 0 offset:16
	buffer_load_dword v71, off, s[0:3], 0 offset:20
	v_cmp_gt_u32_e32 vcc, 2, v0
	s_waitcnt vmcnt(0)
	ds_write_b64 v1, v[70:71]
	s_waitcnt lgkmcnt(0)
	; wave barrier
	s_waitcnt lgkmcnt(0)
	s_and_saveexec_b64 s[6:7], vcc
	s_cbranch_execz .LBB33_23
; %bb.20:
	buffer_load_dword v72, v75, s[0:3], 0 offen offset:4
	buffer_load_dword v73, v75, s[0:3], 0 offen
	ds_read_b64 v[70:71], v1
	s_waitcnt vmcnt(1) lgkmcnt(0)
	v_mul_f32_e32 v75, v71, v72
	v_mul_f32_e32 v72, v70, v72
	s_waitcnt vmcnt(0)
	v_fma_f32 v70, v70, v73, -v75
	v_fmac_f32_e32 v72, v71, v73
	v_add_f32_e32 v71, 0, v70
	v_add_f32_e32 v70, 0, v72
	s_and_saveexec_b64 s[12:13], s[4:5]
	s_cbranch_execz .LBB33_22
; %bb.21:
	buffer_load_dword v75, off, s[0:3], 0 offset:12
	buffer_load_dword v76, off, s[0:3], 0 offset:8
	v_mov_b32_e32 v72, 0
	ds_read_b64 v[72:73], v72 offset:280
	s_waitcnt vmcnt(1) lgkmcnt(0)
	v_mul_f32_e32 v77, v72, v75
	v_mul_f32_e32 v75, v73, v75
	s_waitcnt vmcnt(0)
	v_fmac_f32_e32 v77, v73, v76
	v_fma_f32 v72, v72, v76, -v75
	v_add_f32_e32 v70, v70, v77
	v_add_f32_e32 v71, v71, v72
.LBB33_22:
	s_or_b64 exec, exec, s[12:13]
	v_mov_b32_e32 v72, 0
	ds_read_b64 v[72:73], v72 offset:16
	s_waitcnt lgkmcnt(0)
	v_mul_f32_e32 v75, v70, v73
	v_mul_f32_e32 v73, v71, v73
	v_fma_f32 v71, v71, v72, -v75
	v_fmac_f32_e32 v73, v70, v72
	buffer_store_dword v71, off, s[0:3], 0 offset:16
	buffer_store_dword v73, off, s[0:3], 0 offset:20
.LBB33_23:
	s_or_b64 exec, exec, s[6:7]
	s_waitcnt lgkmcnt(0)
	; wave barrier
	buffer_load_dword v70, off, s[0:3], 0 offset:24
	buffer_load_dword v71, off, s[0:3], 0 offset:28
	v_cmp_gt_u32_e32 vcc, 3, v0
	s_waitcnt vmcnt(0)
	ds_write_b64 v1, v[70:71]
	v_add_u32_e32 v70, -1, v0
	s_waitcnt lgkmcnt(0)
	; wave barrier
	s_waitcnt lgkmcnt(0)
	s_and_saveexec_b64 s[4:5], vcc
	s_cbranch_execz .LBB33_27
; %bb.24:
	v_add_u32_e32 v72, -1, v0
	v_add_u32_e32 v73, 0x110, v74
	v_add_u32_e32 v75, 0, v74
	s_mov_b64 s[6:7], 0
	v_mov_b32_e32 v71, 0
	v_mov_b32_e32 v76, 0
.LBB33_25:                              ; =>This Inner Loop Header: Depth=1
	buffer_load_dword v77, v75, s[0:3], 0 offen offset:4
	buffer_load_dword v80, v75, s[0:3], 0 offen
	ds_read_b64 v[78:79], v73
	v_add_u32_e32 v72, 1, v72
	v_cmp_lt_u32_e32 vcc, 1, v72
	v_add_u32_e32 v73, 8, v73
	v_add_u32_e32 v75, 8, v75
	s_or_b64 s[6:7], vcc, s[6:7]
	s_waitcnt vmcnt(1) lgkmcnt(0)
	v_mul_f32_e32 v81, v79, v77
	v_mul_f32_e32 v77, v78, v77
	s_waitcnt vmcnt(0)
	v_fma_f32 v78, v78, v80, -v81
	v_fmac_f32_e32 v77, v79, v80
	v_add_f32_e32 v76, v76, v78
	v_add_f32_e32 v71, v71, v77
	s_andn2_b64 exec, exec, s[6:7]
	s_cbranch_execnz .LBB33_25
; %bb.26:
	s_or_b64 exec, exec, s[6:7]
	v_mov_b32_e32 v72, 0
	ds_read_b64 v[72:73], v72 offset:24
	s_waitcnt lgkmcnt(0)
	v_mul_f32_e32 v75, v71, v73
	v_mul_f32_e32 v73, v76, v73
	v_fma_f32 v75, v76, v72, -v75
	v_fmac_f32_e32 v73, v71, v72
	buffer_store_dword v75, off, s[0:3], 0 offset:24
	buffer_store_dword v73, off, s[0:3], 0 offset:28
.LBB33_27:
	s_or_b64 exec, exec, s[4:5]
	s_waitcnt lgkmcnt(0)
	; wave barrier
	buffer_load_dword v72, off, s[0:3], 0 offset:32
	buffer_load_dword v73, off, s[0:3], 0 offset:36
	v_cmp_gt_u32_e32 vcc, 4, v0
	s_waitcnt vmcnt(0)
	ds_write_b64 v1, v[72:73]
	s_waitcnt lgkmcnt(0)
	; wave barrier
	s_waitcnt lgkmcnt(0)
	s_and_saveexec_b64 s[4:5], vcc
	s_cbranch_execz .LBB33_31
; %bb.28:
	v_add_u32_e32 v72, -1, v0
	v_add_u32_e32 v73, 0x110, v74
	v_add_u32_e32 v75, 0, v74
	s_mov_b64 s[6:7], 0
	v_mov_b32_e32 v71, 0
	v_mov_b32_e32 v76, 0
.LBB33_29:                              ; =>This Inner Loop Header: Depth=1
	buffer_load_dword v77, v75, s[0:3], 0 offen offset:4
	buffer_load_dword v80, v75, s[0:3], 0 offen
	ds_read_b64 v[78:79], v73
	v_add_u32_e32 v72, 1, v72
	v_cmp_lt_u32_e32 vcc, 2, v72
	v_add_u32_e32 v73, 8, v73
	v_add_u32_e32 v75, 8, v75
	s_or_b64 s[6:7], vcc, s[6:7]
	s_waitcnt vmcnt(1) lgkmcnt(0)
	v_mul_f32_e32 v81, v79, v77
	v_mul_f32_e32 v77, v78, v77
	s_waitcnt vmcnt(0)
	v_fma_f32 v78, v78, v80, -v81
	v_fmac_f32_e32 v77, v79, v80
	v_add_f32_e32 v76, v76, v78
	v_add_f32_e32 v71, v71, v77
	s_andn2_b64 exec, exec, s[6:7]
	s_cbranch_execnz .LBB33_29
; %bb.30:
	s_or_b64 exec, exec, s[6:7]
	v_mov_b32_e32 v72, 0
	ds_read_b64 v[72:73], v72 offset:32
	s_waitcnt lgkmcnt(0)
	v_mul_f32_e32 v75, v71, v73
	v_mul_f32_e32 v73, v76, v73
	v_fma_f32 v75, v76, v72, -v75
	v_fmac_f32_e32 v73, v71, v72
	buffer_store_dword v75, off, s[0:3], 0 offset:32
	buffer_store_dword v73, off, s[0:3], 0 offset:36
.LBB33_31:
	s_or_b64 exec, exec, s[4:5]
	s_waitcnt lgkmcnt(0)
	; wave barrier
	buffer_load_dword v72, off, s[0:3], 0 offset:40
	buffer_load_dword v73, off, s[0:3], 0 offset:44
	v_cmp_gt_u32_e32 vcc, 5, v0
	s_waitcnt vmcnt(0)
	ds_write_b64 v1, v[72:73]
	;; [unrolled: 51-line block ×19, first 2 shown]
	s_waitcnt lgkmcnt(0)
	; wave barrier
	s_waitcnt lgkmcnt(0)
	s_and_saveexec_b64 s[4:5], vcc
	s_cbranch_execz .LBB33_103
; %bb.100:
	v_add_u32_e32 v72, -1, v0
	v_add_u32_e32 v73, 0x110, v74
	v_add_u32_e32 v75, 0, v74
	s_mov_b64 s[6:7], 0
	v_mov_b32_e32 v71, 0
	v_mov_b32_e32 v76, 0
.LBB33_101:                             ; =>This Inner Loop Header: Depth=1
	buffer_load_dword v77, v75, s[0:3], 0 offen offset:4
	buffer_load_dword v80, v75, s[0:3], 0 offen
	ds_read_b64 v[78:79], v73
	v_add_u32_e32 v72, 1, v72
	v_cmp_lt_u32_e32 vcc, 20, v72
	v_add_u32_e32 v73, 8, v73
	v_add_u32_e32 v75, 8, v75
	s_or_b64 s[6:7], vcc, s[6:7]
	s_waitcnt vmcnt(1) lgkmcnt(0)
	v_mul_f32_e32 v81, v79, v77
	v_mul_f32_e32 v77, v78, v77
	s_waitcnt vmcnt(0)
	v_fma_f32 v78, v78, v80, -v81
	v_fmac_f32_e32 v77, v79, v80
	v_add_f32_e32 v76, v76, v78
	v_add_f32_e32 v71, v71, v77
	s_andn2_b64 exec, exec, s[6:7]
	s_cbranch_execnz .LBB33_101
; %bb.102:
	s_or_b64 exec, exec, s[6:7]
	v_mov_b32_e32 v72, 0
	ds_read_b64 v[72:73], v72 offset:176
	s_waitcnt lgkmcnt(0)
	v_mul_f32_e32 v75, v71, v73
	v_mul_f32_e32 v73, v76, v73
	v_fma_f32 v75, v76, v72, -v75
	v_fmac_f32_e32 v73, v71, v72
	buffer_store_dword v75, off, s[0:3], 0 offset:176
	buffer_store_dword v73, off, s[0:3], 0 offset:180
.LBB33_103:
	s_or_b64 exec, exec, s[4:5]
	s_waitcnt lgkmcnt(0)
	; wave barrier
	buffer_load_dword v72, off, s[0:3], 0 offset:184
	buffer_load_dword v73, off, s[0:3], 0 offset:188
	v_cmp_gt_u32_e32 vcc, 23, v0
	s_waitcnt vmcnt(0)
	ds_write_b64 v1, v[72:73]
	s_waitcnt lgkmcnt(0)
	; wave barrier
	s_waitcnt lgkmcnt(0)
	s_and_saveexec_b64 s[4:5], vcc
	s_cbranch_execz .LBB33_107
; %bb.104:
	v_add_u32_e32 v72, -1, v0
	v_add_u32_e32 v73, 0x110, v74
	v_add_u32_e32 v75, 0, v74
	s_mov_b64 s[6:7], 0
	v_mov_b32_e32 v71, 0
	v_mov_b32_e32 v76, 0
.LBB33_105:                             ; =>This Inner Loop Header: Depth=1
	buffer_load_dword v77, v75, s[0:3], 0 offen offset:4
	buffer_load_dword v80, v75, s[0:3], 0 offen
	ds_read_b64 v[78:79], v73
	v_add_u32_e32 v72, 1, v72
	v_cmp_lt_u32_e32 vcc, 21, v72
	v_add_u32_e32 v73, 8, v73
	v_add_u32_e32 v75, 8, v75
	s_or_b64 s[6:7], vcc, s[6:7]
	s_waitcnt vmcnt(1) lgkmcnt(0)
	v_mul_f32_e32 v81, v79, v77
	v_mul_f32_e32 v77, v78, v77
	s_waitcnt vmcnt(0)
	v_fma_f32 v78, v78, v80, -v81
	v_fmac_f32_e32 v77, v79, v80
	v_add_f32_e32 v76, v76, v78
	v_add_f32_e32 v71, v71, v77
	s_andn2_b64 exec, exec, s[6:7]
	s_cbranch_execnz .LBB33_105
; %bb.106:
	s_or_b64 exec, exec, s[6:7]
	v_mov_b32_e32 v72, 0
	ds_read_b64 v[72:73], v72 offset:184
	s_waitcnt lgkmcnt(0)
	v_mul_f32_e32 v75, v71, v73
	v_mul_f32_e32 v73, v76, v73
	v_fma_f32 v75, v76, v72, -v75
	v_fmac_f32_e32 v73, v71, v72
	buffer_store_dword v75, off, s[0:3], 0 offset:184
	buffer_store_dword v73, off, s[0:3], 0 offset:188
.LBB33_107:
	s_or_b64 exec, exec, s[4:5]
	s_waitcnt lgkmcnt(0)
	; wave barrier
	buffer_load_dword v72, off, s[0:3], 0 offset:192
	buffer_load_dword v73, off, s[0:3], 0 offset:196
	v_cmp_gt_u32_e32 vcc, 24, v0
	s_waitcnt vmcnt(0)
	ds_write_b64 v1, v[72:73]
	;; [unrolled: 51-line block ×10, first 2 shown]
	s_waitcnt lgkmcnt(0)
	; wave barrier
	s_waitcnt lgkmcnt(0)
	s_and_saveexec_b64 s[4:5], vcc
	s_cbranch_execz .LBB33_143
; %bb.140:
	v_add_u32_e32 v72, -1, v0
	v_add_u32_e32 v73, 0x110, v74
	v_add_u32_e32 v75, 0, v74
	s_mov_b64 s[6:7], 0
	v_mov_b32_e32 v71, 0
	v_mov_b32_e32 v76, 0
.LBB33_141:                             ; =>This Inner Loop Header: Depth=1
	buffer_load_dword v77, v75, s[0:3], 0 offen offset:4
	buffer_load_dword v80, v75, s[0:3], 0 offen
	ds_read_b64 v[78:79], v73
	v_add_u32_e32 v72, 1, v72
	v_cmp_lt_u32_e32 vcc, 30, v72
	v_add_u32_e32 v73, 8, v73
	v_add_u32_e32 v75, 8, v75
	s_or_b64 s[6:7], vcc, s[6:7]
	s_waitcnt vmcnt(1) lgkmcnt(0)
	v_mul_f32_e32 v81, v79, v77
	v_mul_f32_e32 v77, v78, v77
	s_waitcnt vmcnt(0)
	v_fma_f32 v78, v78, v80, -v81
	v_fmac_f32_e32 v77, v79, v80
	v_add_f32_e32 v76, v76, v78
	v_add_f32_e32 v71, v71, v77
	s_andn2_b64 exec, exec, s[6:7]
	s_cbranch_execnz .LBB33_141
; %bb.142:
	s_or_b64 exec, exec, s[6:7]
	v_mov_b32_e32 v72, 0
	ds_read_b64 v[72:73], v72 offset:256
	s_waitcnt lgkmcnt(0)
	v_mul_f32_e32 v75, v71, v73
	v_mul_f32_e32 v73, v76, v73
	v_fma_f32 v75, v76, v72, -v75
	v_fmac_f32_e32 v73, v71, v72
	buffer_store_dword v75, off, s[0:3], 0 offset:256
	buffer_store_dword v73, off, s[0:3], 0 offset:260
.LBB33_143:
	s_or_b64 exec, exec, s[4:5]
	s_waitcnt lgkmcnt(0)
	; wave barrier
	buffer_load_dword v72, off, s[0:3], 0 offset:264
	buffer_load_dword v73, off, s[0:3], 0 offset:268
	v_cmp_ne_u32_e32 vcc, 33, v0
	s_waitcnt vmcnt(0)
	ds_write_b64 v1, v[72:73]
	s_waitcnt lgkmcnt(0)
	; wave barrier
	s_waitcnt lgkmcnt(0)
	s_and_saveexec_b64 s[4:5], vcc
	s_cbranch_execz .LBB33_147
; %bb.144:
	v_add_u32_e32 v71, 0x110, v74
	v_add_u32_e32 v72, 0, v74
	s_mov_b64 s[6:7], 0
	v_mov_b32_e32 v1, 0
	v_mov_b32_e32 v73, 0
.LBB33_145:                             ; =>This Inner Loop Header: Depth=1
	buffer_load_dword v76, v72, s[0:3], 0 offen offset:4
	buffer_load_dword v77, v72, s[0:3], 0 offen
	ds_read_b64 v[74:75], v71
	v_add_u32_e32 v70, 1, v70
	v_cmp_lt_u32_e32 vcc, 31, v70
	v_add_u32_e32 v71, 8, v71
	v_add_u32_e32 v72, 8, v72
	s_or_b64 s[6:7], vcc, s[6:7]
	s_waitcnt vmcnt(1) lgkmcnt(0)
	v_mul_f32_e32 v78, v75, v76
	v_mul_f32_e32 v76, v74, v76
	s_waitcnt vmcnt(0)
	v_fma_f32 v74, v74, v77, -v78
	v_fmac_f32_e32 v76, v75, v77
	v_add_f32_e32 v73, v73, v74
	v_add_f32_e32 v1, v1, v76
	s_andn2_b64 exec, exec, s[6:7]
	s_cbranch_execnz .LBB33_145
; %bb.146:
	s_or_b64 exec, exec, s[6:7]
	v_mov_b32_e32 v70, 0
	ds_read_b64 v[70:71], v70 offset:264
	s_waitcnt lgkmcnt(0)
	v_mul_f32_e32 v72, v1, v71
	v_mul_f32_e32 v71, v73, v71
	v_fma_f32 v72, v73, v70, -v72
	v_fmac_f32_e32 v71, v1, v70
	buffer_store_dword v72, off, s[0:3], 0 offset:264
	buffer_store_dword v71, off, s[0:3], 0 offset:268
.LBB33_147:
	s_or_b64 exec, exec, s[4:5]
	s_mov_b64 s[6:7], -1
	s_waitcnt lgkmcnt(0)
	; wave barrier
.LBB33_148:
	s_and_b64 vcc, exec, s[6:7]
	s_cbranch_vccz .LBB33_150
; %bb.149:
	s_lshl_b64 s[4:5], s[8:9], 2
	s_add_u32 s4, s14, s4
	s_addc_u32 s5, s15, s5
	v_mov_b32_e32 v1, 0
	global_load_dword v1, v1, s[4:5]
	s_waitcnt vmcnt(0)
	v_cmp_ne_u32_e32 vcc, 0, v1
	s_cbranch_vccz .LBB33_151
.LBB33_150:
	s_endpgm
.LBB33_151:
	v_mov_b32_e32 v1, 0x110
	v_lshl_add_u32 v1, v0, 3, v1
	v_cmp_eq_u32_e32 vcc, 33, v0
	s_and_saveexec_b64 s[4:5], vcc
	s_cbranch_execz .LBB33_153
; %bb.152:
	buffer_load_dword v70, off, s[0:3], 0 offset:256
	buffer_load_dword v71, off, s[0:3], 0 offset:260
	v_mov_b32_e32 v72, 0
	buffer_store_dword v72, off, s[0:3], 0 offset:256
	buffer_store_dword v72, off, s[0:3], 0 offset:260
	s_waitcnt vmcnt(2)
	ds_write_b64 v1, v[70:71]
.LBB33_153:
	s_or_b64 exec, exec, s[4:5]
	s_waitcnt lgkmcnt(0)
	; wave barrier
	s_waitcnt lgkmcnt(0)
	buffer_load_dword v73, off, s[0:3], 0 offset:268
	buffer_load_dword v72, off, s[0:3], 0 offset:264
	;; [unrolled: 1-line block ×4, first 2 shown]
	v_mov_b32_e32 v70, 0
	ds_read_b64 v[76:77], v70 offset:536
	v_cmp_lt_u32_e32 vcc, 31, v0
	s_waitcnt vmcnt(3)
	v_mov_b32_e32 v78, v73
	s_waitcnt lgkmcnt(0)
	v_pk_mul_f32 v[78:79], v[76:77], v[78:79] op_sel_hi:[1,0]
	s_waitcnt vmcnt(2)
	v_pk_fma_f32 v[80:81], v[76:77], v[72:73], v[78:79] op_sel:[0,0,1] op_sel_hi:[1,1,0] neg_lo:[0,0,1] neg_hi:[0,0,1]
	v_pk_fma_f32 v[72:73], v[76:77], v[72:73], v[78:79] op_sel:[0,0,1] op_sel_hi:[1,0,0]
	v_mov_b32_e32 v81, v73
	v_pk_add_f32 v[72:73], v[80:81], 0 op_sel_hi:[1,0]
	s_waitcnt vmcnt(0)
	v_pk_add_f32 v[72:73], v[74:75], v[72:73] neg_lo:[0,1] neg_hi:[0,1]
	buffer_store_dword v72, off, s[0:3], 0 offset:256
	buffer_store_dword v73, off, s[0:3], 0 offset:260
	s_and_saveexec_b64 s[4:5], vcc
	s_cbranch_execz .LBB33_155
; %bb.154:
	buffer_load_dword v72, off, s[0:3], 0 offset:248
	buffer_load_dword v73, off, s[0:3], 0 offset:252
	s_waitcnt vmcnt(0)
	ds_write_b64 v1, v[72:73]
	buffer_store_dword v70, off, s[0:3], 0 offset:248
	buffer_store_dword v70, off, s[0:3], 0 offset:252
.LBB33_155:
	s_or_b64 exec, exec, s[4:5]
	s_waitcnt lgkmcnt(0)
	; wave barrier
	s_waitcnt lgkmcnt(0)
	buffer_load_dword v75, off, s[0:3], 0 offset:260
	buffer_load_dword v77, off, s[0:3], 0 offset:268
	;; [unrolled: 1-line block ×6, first 2 shown]
	ds_read_b128 v[70:73], v70 offset:528
	v_cmp_lt_u32_e32 vcc, 30, v0
	s_waitcnt vmcnt(5)
	v_mov_b32_e32 v80, v75
	s_waitcnt vmcnt(4)
	v_mov_b32_e32 v82, v77
	s_waitcnt lgkmcnt(0)
	v_pk_mul_f32 v[80:81], v[70:71], v[80:81] op_sel_hi:[1,0]
	v_pk_mul_f32 v[82:83], v[72:73], v[82:83] op_sel_hi:[1,0]
	s_waitcnt vmcnt(3)
	v_pk_fma_f32 v[84:85], v[70:71], v[74:75], v[80:81] op_sel:[0,0,1] op_sel_hi:[1,1,0] neg_lo:[0,0,1] neg_hi:[0,0,1]
	v_pk_fma_f32 v[70:71], v[70:71], v[74:75], v[80:81] op_sel:[0,0,1] op_sel_hi:[1,0,0]
	s_waitcnt vmcnt(2)
	v_pk_fma_f32 v[74:75], v[72:73], v[76:77], v[82:83] op_sel:[0,0,1] op_sel_hi:[1,1,0] neg_lo:[0,0,1] neg_hi:[0,0,1]
	v_pk_fma_f32 v[72:73], v[72:73], v[76:77], v[82:83] op_sel:[0,0,1] op_sel_hi:[1,0,0]
	v_mov_b32_e32 v85, v71
	v_mov_b32_e32 v75, v73
	v_pk_add_f32 v[70:71], v[84:85], 0 op_sel_hi:[1,0]
	v_pk_add_f32 v[70:71], v[70:71], v[74:75]
	s_waitcnt vmcnt(0)
	v_pk_add_f32 v[70:71], v[78:79], v[70:71] neg_lo:[0,1] neg_hi:[0,1]
	buffer_store_dword v70, off, s[0:3], 0 offset:248
	buffer_store_dword v71, off, s[0:3], 0 offset:252
	s_and_saveexec_b64 s[4:5], vcc
	s_cbranch_execz .LBB33_157
; %bb.156:
	buffer_load_dword v70, off, s[0:3], 0 offset:240
	buffer_load_dword v71, off, s[0:3], 0 offset:244
	v_mov_b32_e32 v72, 0
	buffer_store_dword v72, off, s[0:3], 0 offset:240
	buffer_store_dword v72, off, s[0:3], 0 offset:244
	s_waitcnt vmcnt(2)
	ds_write_b64 v1, v[70:71]
.LBB33_157:
	s_or_b64 exec, exec, s[4:5]
	s_waitcnt lgkmcnt(0)
	; wave barrier
	s_waitcnt lgkmcnt(0)
	buffer_load_dword v77, off, s[0:3], 0 offset:252
	buffer_load_dword v79, off, s[0:3], 0 offset:260
	;; [unrolled: 1-line block ×8, first 2 shown]
	v_mov_b32_e32 v70, 0
	ds_read2_b64 v[72:75], v70 offset0:65 offset1:66
	ds_read_b64 v[84:85], v70 offset:536
	v_cmp_lt_u32_e32 vcc, 29, v0
	s_waitcnt vmcnt(7)
	v_mov_b32_e32 v86, v77
	s_waitcnt vmcnt(6)
	v_mov_b32_e32 v88, v79
	s_waitcnt lgkmcnt(1)
	v_pk_mul_f32 v[86:87], v[72:73], v[86:87] op_sel_hi:[1,0]
	s_waitcnt vmcnt(5)
	v_mov_b32_e32 v90, v81
	v_pk_mul_f32 v[88:89], v[74:75], v[88:89] op_sel_hi:[1,0]
	s_waitcnt vmcnt(4)
	v_pk_fma_f32 v[92:93], v[72:73], v[76:77], v[86:87] op_sel:[0,0,1] op_sel_hi:[1,1,0] neg_lo:[0,0,1] neg_hi:[0,0,1]
	v_pk_fma_f32 v[72:73], v[72:73], v[76:77], v[86:87] op_sel:[0,0,1] op_sel_hi:[1,0,0]
	s_waitcnt lgkmcnt(0)
	v_pk_mul_f32 v[90:91], v[84:85], v[90:91] op_sel_hi:[1,0]
	s_waitcnt vmcnt(3)
	v_pk_fma_f32 v[76:77], v[74:75], v[78:79], v[88:89] op_sel:[0,0,1] op_sel_hi:[1,1,0] neg_lo:[0,0,1] neg_hi:[0,0,1]
	v_pk_fma_f32 v[74:75], v[74:75], v[78:79], v[88:89] op_sel:[0,0,1] op_sel_hi:[1,0,0]
	v_mov_b32_e32 v93, v73
	s_waitcnt vmcnt(2)
	v_pk_fma_f32 v[78:79], v[84:85], v[80:81], v[90:91] op_sel:[0,0,1] op_sel_hi:[1,1,0] neg_lo:[0,0,1] neg_hi:[0,0,1]
	v_pk_fma_f32 v[80:81], v[84:85], v[80:81], v[90:91] op_sel:[0,0,1] op_sel_hi:[1,0,0]
	v_mov_b32_e32 v77, v75
	v_pk_add_f32 v[72:73], v[92:93], 0 op_sel_hi:[1,0]
	v_mov_b32_e32 v79, v81
	v_pk_add_f32 v[72:73], v[72:73], v[76:77]
	v_pk_add_f32 v[72:73], v[72:73], v[78:79]
	s_waitcnt vmcnt(0)
	v_pk_add_f32 v[72:73], v[82:83], v[72:73] neg_lo:[0,1] neg_hi:[0,1]
	buffer_store_dword v72, off, s[0:3], 0 offset:240
	buffer_store_dword v73, off, s[0:3], 0 offset:244
	s_and_saveexec_b64 s[4:5], vcc
	s_cbranch_execz .LBB33_159
; %bb.158:
	buffer_load_dword v72, off, s[0:3], 0 offset:232
	buffer_load_dword v73, off, s[0:3], 0 offset:236
	s_waitcnt vmcnt(0)
	ds_write_b64 v1, v[72:73]
	buffer_store_dword v70, off, s[0:3], 0 offset:232
	buffer_store_dword v70, off, s[0:3], 0 offset:236
.LBB33_159:
	s_or_b64 exec, exec, s[4:5]
	s_waitcnt lgkmcnt(0)
	; wave barrier
	s_waitcnt lgkmcnt(0)
	buffer_load_dword v81, off, s[0:3], 0 offset:244
	buffer_load_dword v83, off, s[0:3], 0 offset:252
	;; [unrolled: 1-line block ×10, first 2 shown]
	ds_read_b128 v[72:75], v70 offset:512
	ds_read_b128 v[76:79], v70 offset:528
	v_cmp_lt_u32_e32 vcc, 28, v0
	s_waitcnt vmcnt(9)
	v_mov_b32_e32 v70, v81
	s_waitcnt vmcnt(8)
	v_mov_b32_e32 v90, v83
	s_waitcnt lgkmcnt(1)
	v_pk_mul_f32 v[70:71], v[72:73], v[70:71] op_sel_hi:[1,0]
	s_waitcnt vmcnt(7)
	v_mov_b32_e32 v92, v85
	v_pk_mul_f32 v[90:91], v[74:75], v[90:91] op_sel_hi:[1,0]
	s_waitcnt vmcnt(5)
	v_pk_fma_f32 v[96:97], v[72:73], v[80:81], v[70:71] op_sel:[0,0,1] op_sel_hi:[1,1,0] neg_lo:[0,0,1] neg_hi:[0,0,1]
	v_pk_fma_f32 v[70:71], v[72:73], v[80:81], v[70:71] op_sel:[0,0,1] op_sel_hi:[1,0,0]
	v_mov_b32_e32 v94, v87
	s_waitcnt lgkmcnt(0)
	v_pk_mul_f32 v[92:93], v[76:77], v[92:93] op_sel_hi:[1,0]
	s_waitcnt vmcnt(4)
	v_pk_fma_f32 v[72:73], v[74:75], v[82:83], v[90:91] op_sel:[0,0,1] op_sel_hi:[1,1,0] neg_lo:[0,0,1] neg_hi:[0,0,1]
	v_pk_fma_f32 v[74:75], v[74:75], v[82:83], v[90:91] op_sel:[0,0,1] op_sel_hi:[1,0,0]
	v_mov_b32_e32 v97, v71
	v_pk_mul_f32 v[94:95], v[78:79], v[94:95] op_sel_hi:[1,0]
	s_waitcnt vmcnt(3)
	v_pk_fma_f32 v[80:81], v[76:77], v[84:85], v[92:93] op_sel:[0,0,1] op_sel_hi:[1,1,0] neg_lo:[0,0,1] neg_hi:[0,0,1]
	v_pk_fma_f32 v[76:77], v[76:77], v[84:85], v[92:93] op_sel:[0,0,1] op_sel_hi:[1,0,0]
	v_mov_b32_e32 v73, v75
	v_pk_add_f32 v[70:71], v[96:97], 0 op_sel_hi:[1,0]
	s_waitcnt vmcnt(2)
	v_pk_fma_f32 v[82:83], v[78:79], v[86:87], v[94:95] op_sel:[0,0,1] op_sel_hi:[1,1,0] neg_lo:[0,0,1] neg_hi:[0,0,1]
	v_pk_fma_f32 v[78:79], v[78:79], v[86:87], v[94:95] op_sel:[0,0,1] op_sel_hi:[1,0,0]
	v_mov_b32_e32 v81, v77
	v_pk_add_f32 v[70:71], v[70:71], v[72:73]
	v_mov_b32_e32 v83, v79
	v_pk_add_f32 v[70:71], v[70:71], v[80:81]
	v_pk_add_f32 v[70:71], v[70:71], v[82:83]
	s_waitcnt vmcnt(0)
	v_pk_add_f32 v[70:71], v[88:89], v[70:71] neg_lo:[0,1] neg_hi:[0,1]
	buffer_store_dword v70, off, s[0:3], 0 offset:232
	buffer_store_dword v71, off, s[0:3], 0 offset:236
	s_and_saveexec_b64 s[4:5], vcc
	s_cbranch_execz .LBB33_161
; %bb.160:
	buffer_load_dword v70, off, s[0:3], 0 offset:224
	buffer_load_dword v71, off, s[0:3], 0 offset:228
	v_mov_b32_e32 v72, 0
	buffer_store_dword v72, off, s[0:3], 0 offset:224
	buffer_store_dword v72, off, s[0:3], 0 offset:228
	s_waitcnt vmcnt(2)
	ds_write_b64 v1, v[70:71]
.LBB33_161:
	s_or_b64 exec, exec, s[4:5]
	s_waitcnt lgkmcnt(0)
	; wave barrier
	s_waitcnt lgkmcnt(0)
	buffer_load_dword v81, off, s[0:3], 0 offset:236
	buffer_load_dword v83, off, s[0:3], 0 offset:244
	;; [unrolled: 1-line block ×12, first 2 shown]
	v_mov_b32_e32 v70, 0
	ds_read2_b64 v[72:75], v70 offset0:63 offset1:64
	ds_read2_b64 v[76:79], v70 offset0:65 offset1:66
	ds_read_b64 v[92:93], v70 offset:536
	v_cmp_lt_u32_e32 vcc, 27, v0
	s_waitcnt vmcnt(11)
	v_mov_b32_e32 v94, v81
	s_waitcnt vmcnt(10)
	v_mov_b32_e32 v96, v83
	s_waitcnt lgkmcnt(2)
	v_pk_mul_f32 v[94:95], v[72:73], v[94:95] op_sel_hi:[1,0]
	s_waitcnt vmcnt(9)
	v_mov_b32_e32 v98, v85
	v_pk_mul_f32 v[96:97], v[74:75], v[96:97] op_sel_hi:[1,0]
	s_waitcnt vmcnt(6)
	v_pk_fma_f32 v[104:105], v[72:73], v[80:81], v[94:95] op_sel:[0,0,1] op_sel_hi:[1,1,0] neg_lo:[0,0,1] neg_hi:[0,0,1]
	v_pk_fma_f32 v[72:73], v[72:73], v[80:81], v[94:95] op_sel:[0,0,1] op_sel_hi:[1,0,0]
	v_mov_b32_e32 v100, v87
	s_waitcnt lgkmcnt(1)
	v_pk_mul_f32 v[98:99], v[76:77], v[98:99] op_sel_hi:[1,0]
	s_waitcnt vmcnt(5)
	v_pk_fma_f32 v[80:81], v[74:75], v[82:83], v[96:97] op_sel:[0,0,1] op_sel_hi:[1,1,0] neg_lo:[0,0,1] neg_hi:[0,0,1]
	v_pk_fma_f32 v[74:75], v[74:75], v[82:83], v[96:97] op_sel:[0,0,1] op_sel_hi:[1,0,0]
	v_mov_b32_e32 v105, v73
	v_mov_b32_e32 v102, v89
	v_pk_mul_f32 v[100:101], v[78:79], v[100:101] op_sel_hi:[1,0]
	s_waitcnt vmcnt(4)
	v_pk_fma_f32 v[82:83], v[76:77], v[84:85], v[98:99] op_sel:[0,0,1] op_sel_hi:[1,1,0] neg_lo:[0,0,1] neg_hi:[0,0,1]
	v_pk_fma_f32 v[76:77], v[76:77], v[84:85], v[98:99] op_sel:[0,0,1] op_sel_hi:[1,0,0]
	v_mov_b32_e32 v81, v75
	v_pk_add_f32 v[72:73], v[104:105], 0 op_sel_hi:[1,0]
	s_waitcnt lgkmcnt(0)
	v_pk_mul_f32 v[102:103], v[92:93], v[102:103] op_sel_hi:[1,0]
	s_waitcnt vmcnt(3)
	v_pk_fma_f32 v[84:85], v[78:79], v[86:87], v[100:101] op_sel:[0,0,1] op_sel_hi:[1,1,0] neg_lo:[0,0,1] neg_hi:[0,0,1]
	v_pk_fma_f32 v[78:79], v[78:79], v[86:87], v[100:101] op_sel:[0,0,1] op_sel_hi:[1,0,0]
	v_mov_b32_e32 v83, v77
	v_pk_add_f32 v[72:73], v[72:73], v[80:81]
	s_waitcnt vmcnt(2)
	v_pk_fma_f32 v[86:87], v[92:93], v[88:89], v[102:103] op_sel:[0,0,1] op_sel_hi:[1,1,0] neg_lo:[0,0,1] neg_hi:[0,0,1]
	v_pk_fma_f32 v[88:89], v[92:93], v[88:89], v[102:103] op_sel:[0,0,1] op_sel_hi:[1,0,0]
	v_mov_b32_e32 v85, v79
	v_pk_add_f32 v[72:73], v[72:73], v[82:83]
	v_mov_b32_e32 v87, v89
	v_pk_add_f32 v[72:73], v[72:73], v[84:85]
	v_pk_add_f32 v[72:73], v[72:73], v[86:87]
	s_waitcnt vmcnt(0)
	v_pk_add_f32 v[72:73], v[90:91], v[72:73] neg_lo:[0,1] neg_hi:[0,1]
	buffer_store_dword v72, off, s[0:3], 0 offset:224
	buffer_store_dword v73, off, s[0:3], 0 offset:228
	s_and_saveexec_b64 s[4:5], vcc
	s_cbranch_execz .LBB33_163
; %bb.162:
	buffer_load_dword v72, off, s[0:3], 0 offset:216
	buffer_load_dword v73, off, s[0:3], 0 offset:220
	s_waitcnt vmcnt(0)
	ds_write_b64 v1, v[72:73]
	buffer_store_dword v70, off, s[0:3], 0 offset:216
	buffer_store_dword v70, off, s[0:3], 0 offset:220
.LBB33_163:
	s_or_b64 exec, exec, s[4:5]
	s_waitcnt lgkmcnt(0)
	; wave barrier
	s_waitcnt lgkmcnt(0)
	buffer_load_dword v85, off, s[0:3], 0 offset:228
	buffer_load_dword v87, off, s[0:3], 0 offset:236
	;; [unrolled: 1-line block ×14, first 2 shown]
	ds_read_b128 v[72:75], v70 offset:496
	ds_read_b128 v[76:79], v70 offset:512
	;; [unrolled: 1-line block ×3, first 2 shown]
	v_cmp_lt_u32_e32 vcc, 26, v0
	s_waitcnt vmcnt(13)
	v_mov_b32_e32 v70, v85
	s_waitcnt vmcnt(12)
	v_mov_b32_e32 v98, v87
	s_waitcnt lgkmcnt(2)
	v_pk_mul_f32 v[70:71], v[72:73], v[70:71] op_sel_hi:[1,0]
	s_waitcnt vmcnt(11)
	v_mov_b32_e32 v100, v89
	v_pk_mul_f32 v[98:99], v[74:75], v[98:99] op_sel_hi:[1,0]
	s_waitcnt vmcnt(10)
	v_mov_b32_e32 v102, v91
	s_waitcnt vmcnt(7)
	v_pk_fma_f32 v[108:109], v[72:73], v[84:85], v[70:71] op_sel:[0,0,1] op_sel_hi:[1,1,0] neg_lo:[0,0,1] neg_hi:[0,0,1]
	v_pk_fma_f32 v[70:71], v[72:73], v[84:85], v[70:71] op_sel:[0,0,1] op_sel_hi:[1,0,0]
	s_waitcnt lgkmcnt(1)
	v_pk_mul_f32 v[100:101], v[76:77], v[100:101] op_sel_hi:[1,0]
	s_waitcnt vmcnt(6)
	v_pk_fma_f32 v[72:73], v[74:75], v[86:87], v[98:99] op_sel:[0,0,1] op_sel_hi:[1,1,0] neg_lo:[0,0,1] neg_hi:[0,0,1]
	v_pk_fma_f32 v[74:75], v[74:75], v[86:87], v[98:99] op_sel:[0,0,1] op_sel_hi:[1,0,0]
	v_mov_b32_e32 v109, v71
	v_mov_b32_e32 v104, v93
	v_pk_mul_f32 v[102:103], v[78:79], v[102:103] op_sel_hi:[1,0]
	s_waitcnt vmcnt(5)
	v_pk_fma_f32 v[84:85], v[76:77], v[88:89], v[100:101] op_sel:[0,0,1] op_sel_hi:[1,1,0] neg_lo:[0,0,1] neg_hi:[0,0,1]
	v_pk_fma_f32 v[76:77], v[76:77], v[88:89], v[100:101] op_sel:[0,0,1] op_sel_hi:[1,0,0]
	v_mov_b32_e32 v73, v75
	v_pk_add_f32 v[70:71], v[108:109], 0 op_sel_hi:[1,0]
	v_mov_b32_e32 v106, v95
	s_waitcnt lgkmcnt(0)
	v_pk_mul_f32 v[104:105], v[80:81], v[104:105] op_sel_hi:[1,0]
	s_waitcnt vmcnt(4)
	v_pk_fma_f32 v[86:87], v[78:79], v[90:91], v[102:103] op_sel:[0,0,1] op_sel_hi:[1,1,0] neg_lo:[0,0,1] neg_hi:[0,0,1]
	v_pk_fma_f32 v[78:79], v[78:79], v[90:91], v[102:103] op_sel:[0,0,1] op_sel_hi:[1,0,0]
	v_mov_b32_e32 v85, v77
	v_pk_add_f32 v[70:71], v[70:71], v[72:73]
	v_pk_mul_f32 v[106:107], v[82:83], v[106:107] op_sel_hi:[1,0]
	s_waitcnt vmcnt(3)
	v_pk_fma_f32 v[88:89], v[80:81], v[92:93], v[104:105] op_sel:[0,0,1] op_sel_hi:[1,1,0] neg_lo:[0,0,1] neg_hi:[0,0,1]
	v_pk_fma_f32 v[80:81], v[80:81], v[92:93], v[104:105] op_sel:[0,0,1] op_sel_hi:[1,0,0]
	v_mov_b32_e32 v87, v79
	v_pk_add_f32 v[70:71], v[70:71], v[84:85]
	s_waitcnt vmcnt(2)
	v_pk_fma_f32 v[90:91], v[82:83], v[94:95], v[106:107] op_sel:[0,0,1] op_sel_hi:[1,1,0] neg_lo:[0,0,1] neg_hi:[0,0,1]
	v_pk_fma_f32 v[82:83], v[82:83], v[94:95], v[106:107] op_sel:[0,0,1] op_sel_hi:[1,0,0]
	v_mov_b32_e32 v89, v81
	v_pk_add_f32 v[70:71], v[70:71], v[86:87]
	v_mov_b32_e32 v91, v83
	v_pk_add_f32 v[70:71], v[70:71], v[88:89]
	v_pk_add_f32 v[70:71], v[70:71], v[90:91]
	s_waitcnt vmcnt(0)
	v_pk_add_f32 v[70:71], v[96:97], v[70:71] neg_lo:[0,1] neg_hi:[0,1]
	buffer_store_dword v70, off, s[0:3], 0 offset:216
	buffer_store_dword v71, off, s[0:3], 0 offset:220
	s_and_saveexec_b64 s[4:5], vcc
	s_cbranch_execz .LBB33_165
; %bb.164:
	buffer_load_dword v70, off, s[0:3], 0 offset:208
	buffer_load_dword v71, off, s[0:3], 0 offset:212
	v_mov_b32_e32 v72, 0
	buffer_store_dword v72, off, s[0:3], 0 offset:208
	buffer_store_dword v72, off, s[0:3], 0 offset:212
	s_waitcnt vmcnt(2)
	ds_write_b64 v1, v[70:71]
.LBB33_165:
	s_or_b64 exec, exec, s[4:5]
	s_waitcnt lgkmcnt(0)
	; wave barrier
	s_waitcnt lgkmcnt(0)
	buffer_load_dword v85, off, s[0:3], 0 offset:220
	buffer_load_dword v87, off, s[0:3], 0 offset:228
	;; [unrolled: 1-line block ×16, first 2 shown]
	v_mov_b32_e32 v70, 0
	ds_read2_b64 v[72:75], v70 offset0:61 offset1:62
	ds_read2_b64 v[76:79], v70 offset0:63 offset1:64
	ds_read2_b64 v[80:83], v70 offset0:65 offset1:66
	ds_read_b64 v[100:101], v70 offset:536
	v_cmp_lt_u32_e32 vcc, 25, v0
	s_waitcnt vmcnt(15)
	v_mov_b32_e32 v102, v85
	s_waitcnt vmcnt(14)
	v_mov_b32_e32 v104, v87
	s_waitcnt lgkmcnt(3)
	v_pk_mul_f32 v[102:103], v[72:73], v[102:103] op_sel_hi:[1,0]
	s_waitcnt vmcnt(13)
	v_mov_b32_e32 v106, v89
	v_pk_mul_f32 v[104:105], v[74:75], v[104:105] op_sel_hi:[1,0]
	s_waitcnt vmcnt(12)
	v_mov_b32_e32 v108, v91
	s_waitcnt lgkmcnt(2)
	v_pk_mul_f32 v[106:107], v[76:77], v[106:107] op_sel_hi:[1,0]
	s_waitcnt vmcnt(8)
	v_pk_fma_f32 v[116:117], v[72:73], v[84:85], v[102:103] op_sel:[0,0,1] op_sel_hi:[1,1,0] neg_lo:[0,0,1] neg_hi:[0,0,1]
	v_pk_fma_f32 v[72:73], v[72:73], v[84:85], v[102:103] op_sel:[0,0,1] op_sel_hi:[1,0,0]
	s_waitcnt vmcnt(7)
	v_pk_fma_f32 v[84:85], v[74:75], v[86:87], v[104:105] op_sel:[0,0,1] op_sel_hi:[1,1,0] neg_lo:[0,0,1] neg_hi:[0,0,1]
	v_pk_fma_f32 v[74:75], v[74:75], v[86:87], v[104:105] op_sel:[0,0,1] op_sel_hi:[1,0,0]
	v_mov_b32_e32 v117, v73
	v_mov_b32_e32 v110, v93
	v_pk_mul_f32 v[108:109], v[78:79], v[108:109] op_sel_hi:[1,0]
	s_waitcnt vmcnt(6)
	v_pk_fma_f32 v[86:87], v[76:77], v[88:89], v[106:107] op_sel:[0,0,1] op_sel_hi:[1,1,0] neg_lo:[0,0,1] neg_hi:[0,0,1]
	v_pk_fma_f32 v[76:77], v[76:77], v[88:89], v[106:107] op_sel:[0,0,1] op_sel_hi:[1,0,0]
	v_mov_b32_e32 v85, v75
	v_pk_add_f32 v[72:73], v[116:117], 0 op_sel_hi:[1,0]
	v_mov_b32_e32 v112, v95
	s_waitcnt lgkmcnt(1)
	v_pk_mul_f32 v[110:111], v[80:81], v[110:111] op_sel_hi:[1,0]
	s_waitcnt vmcnt(5)
	v_pk_fma_f32 v[88:89], v[78:79], v[90:91], v[108:109] op_sel:[0,0,1] op_sel_hi:[1,1,0] neg_lo:[0,0,1] neg_hi:[0,0,1]
	v_pk_fma_f32 v[78:79], v[78:79], v[90:91], v[108:109] op_sel:[0,0,1] op_sel_hi:[1,0,0]
	v_mov_b32_e32 v87, v77
	v_pk_add_f32 v[72:73], v[72:73], v[84:85]
	v_mov_b32_e32 v114, v97
	v_pk_mul_f32 v[112:113], v[82:83], v[112:113] op_sel_hi:[1,0]
	s_waitcnt vmcnt(4)
	v_pk_fma_f32 v[90:91], v[80:81], v[92:93], v[110:111] op_sel:[0,0,1] op_sel_hi:[1,1,0] neg_lo:[0,0,1] neg_hi:[0,0,1]
	v_pk_fma_f32 v[80:81], v[80:81], v[92:93], v[110:111] op_sel:[0,0,1] op_sel_hi:[1,0,0]
	v_mov_b32_e32 v89, v79
	v_pk_add_f32 v[72:73], v[72:73], v[86:87]
	s_waitcnt lgkmcnt(0)
	v_pk_mul_f32 v[114:115], v[100:101], v[114:115] op_sel_hi:[1,0]
	s_waitcnt vmcnt(3)
	v_pk_fma_f32 v[92:93], v[82:83], v[94:95], v[112:113] op_sel:[0,0,1] op_sel_hi:[1,1,0] neg_lo:[0,0,1] neg_hi:[0,0,1]
	v_pk_fma_f32 v[82:83], v[82:83], v[94:95], v[112:113] op_sel:[0,0,1] op_sel_hi:[1,0,0]
	v_mov_b32_e32 v91, v81
	v_pk_add_f32 v[72:73], v[72:73], v[88:89]
	s_waitcnt vmcnt(2)
	v_pk_fma_f32 v[94:95], v[100:101], v[96:97], v[114:115] op_sel:[0,0,1] op_sel_hi:[1,1,0] neg_lo:[0,0,1] neg_hi:[0,0,1]
	v_pk_fma_f32 v[96:97], v[100:101], v[96:97], v[114:115] op_sel:[0,0,1] op_sel_hi:[1,0,0]
	v_mov_b32_e32 v93, v83
	v_pk_add_f32 v[72:73], v[72:73], v[90:91]
	v_mov_b32_e32 v95, v97
	v_pk_add_f32 v[72:73], v[72:73], v[92:93]
	v_pk_add_f32 v[72:73], v[72:73], v[94:95]
	s_waitcnt vmcnt(0)
	v_pk_add_f32 v[72:73], v[98:99], v[72:73] neg_lo:[0,1] neg_hi:[0,1]
	buffer_store_dword v72, off, s[0:3], 0 offset:208
	buffer_store_dword v73, off, s[0:3], 0 offset:212
	s_and_saveexec_b64 s[4:5], vcc
	s_cbranch_execz .LBB33_167
; %bb.166:
	buffer_load_dword v72, off, s[0:3], 0 offset:200
	buffer_load_dword v73, off, s[0:3], 0 offset:204
	s_waitcnt vmcnt(0)
	ds_write_b64 v1, v[72:73]
	buffer_store_dword v70, off, s[0:3], 0 offset:200
	buffer_store_dword v70, off, s[0:3], 0 offset:204
.LBB33_167:
	s_or_b64 exec, exec, s[4:5]
	s_waitcnt lgkmcnt(0)
	; wave barrier
	s_waitcnt lgkmcnt(0)
	buffer_load_dword v89, off, s[0:3], 0 offset:212
	buffer_load_dword v91, off, s[0:3], 0 offset:220
	;; [unrolled: 1-line block ×18, first 2 shown]
	ds_read_b128 v[72:75], v70 offset:480
	ds_read_b128 v[76:79], v70 offset:496
	;; [unrolled: 1-line block ×4, first 2 shown]
	v_cmp_lt_u32_e32 vcc, 24, v0
	s_waitcnt vmcnt(17)
	v_mov_b32_e32 v70, v89
	s_waitcnt vmcnt(16)
	v_mov_b32_e32 v106, v91
	s_waitcnt lgkmcnt(3)
	v_pk_mul_f32 v[70:71], v[72:73], v[70:71] op_sel_hi:[1,0]
	s_waitcnt vmcnt(15)
	v_mov_b32_e32 v108, v93
	v_pk_mul_f32 v[106:107], v[74:75], v[106:107] op_sel_hi:[1,0]
	s_waitcnt vmcnt(14)
	v_mov_b32_e32 v110, v95
	s_waitcnt lgkmcnt(2)
	v_pk_mul_f32 v[108:109], v[76:77], v[108:109] op_sel_hi:[1,0]
	s_waitcnt vmcnt(13)
	v_mov_b32_e32 v112, v97
	s_waitcnt vmcnt(9)
	v_pk_fma_f32 v[120:121], v[72:73], v[88:89], v[70:71] op_sel:[0,0,1] op_sel_hi:[1,1,0] neg_lo:[0,0,1] neg_hi:[0,0,1]
	v_pk_fma_f32 v[70:71], v[72:73], v[88:89], v[70:71] op_sel:[0,0,1] op_sel_hi:[1,0,0]
	s_waitcnt vmcnt(8)
	v_pk_fma_f32 v[72:73], v[74:75], v[90:91], v[106:107] op_sel:[0,0,1] op_sel_hi:[1,1,0] neg_lo:[0,0,1] neg_hi:[0,0,1]
	v_pk_fma_f32 v[74:75], v[74:75], v[90:91], v[106:107] op_sel:[0,0,1] op_sel_hi:[1,0,0]
	v_mov_b32_e32 v121, v71
	v_pk_mul_f32 v[110:111], v[78:79], v[110:111] op_sel_hi:[1,0]
	s_waitcnt vmcnt(7)
	v_pk_fma_f32 v[88:89], v[76:77], v[92:93], v[108:109] op_sel:[0,0,1] op_sel_hi:[1,1,0] neg_lo:[0,0,1] neg_hi:[0,0,1]
	v_pk_fma_f32 v[76:77], v[76:77], v[92:93], v[108:109] op_sel:[0,0,1] op_sel_hi:[1,0,0]
	v_mov_b32_e32 v73, v75
	v_pk_add_f32 v[70:71], v[120:121], 0 op_sel_hi:[1,0]
	v_mov_b32_e32 v114, v99
	s_waitcnt lgkmcnt(1)
	v_pk_mul_f32 v[112:113], v[80:81], v[112:113] op_sel_hi:[1,0]
	s_waitcnt vmcnt(6)
	v_pk_fma_f32 v[90:91], v[78:79], v[94:95], v[110:111] op_sel:[0,0,1] op_sel_hi:[1,1,0] neg_lo:[0,0,1] neg_hi:[0,0,1]
	v_pk_fma_f32 v[78:79], v[78:79], v[94:95], v[110:111] op_sel:[0,0,1] op_sel_hi:[1,0,0]
	v_mov_b32_e32 v89, v77
	v_pk_add_f32 v[70:71], v[70:71], v[72:73]
	v_mov_b32_e32 v116, v101
	v_pk_mul_f32 v[114:115], v[82:83], v[114:115] op_sel_hi:[1,0]
	s_waitcnt vmcnt(5)
	v_pk_fma_f32 v[92:93], v[80:81], v[96:97], v[112:113] op_sel:[0,0,1] op_sel_hi:[1,1,0] neg_lo:[0,0,1] neg_hi:[0,0,1]
	v_pk_fma_f32 v[80:81], v[80:81], v[96:97], v[112:113] op_sel:[0,0,1] op_sel_hi:[1,0,0]
	v_mov_b32_e32 v91, v79
	v_pk_add_f32 v[70:71], v[70:71], v[88:89]
	v_mov_b32_e32 v118, v103
	s_waitcnt lgkmcnt(0)
	v_pk_mul_f32 v[116:117], v[84:85], v[116:117] op_sel_hi:[1,0]
	s_waitcnt vmcnt(4)
	v_pk_fma_f32 v[94:95], v[82:83], v[98:99], v[114:115] op_sel:[0,0,1] op_sel_hi:[1,1,0] neg_lo:[0,0,1] neg_hi:[0,0,1]
	v_pk_fma_f32 v[82:83], v[82:83], v[98:99], v[114:115] op_sel:[0,0,1] op_sel_hi:[1,0,0]
	v_mov_b32_e32 v93, v81
	v_pk_add_f32 v[70:71], v[70:71], v[90:91]
	v_pk_mul_f32 v[118:119], v[86:87], v[118:119] op_sel_hi:[1,0]
	s_waitcnt vmcnt(3)
	v_pk_fma_f32 v[96:97], v[84:85], v[100:101], v[116:117] op_sel:[0,0,1] op_sel_hi:[1,1,0] neg_lo:[0,0,1] neg_hi:[0,0,1]
	v_pk_fma_f32 v[84:85], v[84:85], v[100:101], v[116:117] op_sel:[0,0,1] op_sel_hi:[1,0,0]
	v_mov_b32_e32 v95, v83
	v_pk_add_f32 v[70:71], v[70:71], v[92:93]
	s_waitcnt vmcnt(2)
	v_pk_fma_f32 v[98:99], v[86:87], v[102:103], v[118:119] op_sel:[0,0,1] op_sel_hi:[1,1,0] neg_lo:[0,0,1] neg_hi:[0,0,1]
	v_pk_fma_f32 v[86:87], v[86:87], v[102:103], v[118:119] op_sel:[0,0,1] op_sel_hi:[1,0,0]
	v_mov_b32_e32 v97, v85
	v_pk_add_f32 v[70:71], v[70:71], v[94:95]
	v_mov_b32_e32 v99, v87
	v_pk_add_f32 v[70:71], v[70:71], v[96:97]
	v_pk_add_f32 v[70:71], v[70:71], v[98:99]
	s_waitcnt vmcnt(0)
	v_pk_add_f32 v[70:71], v[104:105], v[70:71] neg_lo:[0,1] neg_hi:[0,1]
	buffer_store_dword v70, off, s[0:3], 0 offset:200
	buffer_store_dword v71, off, s[0:3], 0 offset:204
	s_and_saveexec_b64 s[4:5], vcc
	s_cbranch_execz .LBB33_169
; %bb.168:
	buffer_load_dword v70, off, s[0:3], 0 offset:192
	buffer_load_dword v71, off, s[0:3], 0 offset:196
	v_mov_b32_e32 v72, 0
	buffer_store_dword v72, off, s[0:3], 0 offset:192
	buffer_store_dword v72, off, s[0:3], 0 offset:196
	s_waitcnt vmcnt(2)
	ds_write_b64 v1, v[70:71]
.LBB33_169:
	s_or_b64 exec, exec, s[4:5]
	s_waitcnt lgkmcnt(0)
	; wave barrier
	s_waitcnt lgkmcnt(0)
	buffer_load_dword v71, off, s[0:3], 0 offset:204
	buffer_load_dword v89, off, s[0:3], 0 offset:212
	;; [unrolled: 1-line block ×20, first 2 shown]
	v_mov_b32_e32 v70, 0
	ds_read2_b64 v[72:75], v70 offset0:59 offset1:60
	ds_read2_b64 v[76:79], v70 offset0:61 offset1:62
	;; [unrolled: 1-line block ×4, first 2 shown]
	ds_read_b64 v[106:107], v70 offset:536
	v_cmp_lt_u32_e32 vcc, 23, v0
	s_waitcnt vmcnt(19) lgkmcnt(4)
	v_mul_f32_e32 v109, v72, v71
	v_mul_f32_e32 v71, v73, v71
	s_waitcnt vmcnt(18)
	v_mov_b32_e32 v110, v89
	s_waitcnt vmcnt(17)
	v_mov_b32_e32 v112, v91
	;; [unrolled: 2-line block ×8, first 2 shown]
	s_waitcnt vmcnt(10)
	v_fmac_f32_e32 v109, v73, v108
	v_fma_f32 v108, v72, v108, -v71
	v_pk_mul_f32 v[72:73], v[74:75], v[110:111] op_sel_hi:[1,0]
	s_waitcnt lgkmcnt(3)
	v_pk_mul_f32 v[110:111], v[76:77], v[112:113] op_sel_hi:[1,0]
	v_pk_mul_f32 v[112:113], v[78:79], v[114:115] op_sel_hi:[1,0]
	s_waitcnt lgkmcnt(2)
	v_pk_mul_f32 v[114:115], v[80:81], v[116:117] op_sel_hi:[1,0]
	;; [unrolled: 3-line block ×4, first 2 shown]
	s_waitcnt vmcnt(9)
	v_pk_fma_f32 v[124:125], v[74:75], v[88:89], v[72:73] op_sel:[0,0,1] op_sel_hi:[1,1,0] neg_lo:[0,0,1] neg_hi:[0,0,1]
	v_pk_fma_f32 v[72:73], v[74:75], v[88:89], v[72:73] op_sel:[0,0,1] op_sel_hi:[1,0,0]
	v_pk_add_f32 v[108:109], v[108:109], 0 op_sel_hi:[1,0]
	s_waitcnt vmcnt(8)
	v_pk_fma_f32 v[74:75], v[76:77], v[90:91], v[110:111] op_sel:[0,0,1] op_sel_hi:[1,1,0] neg_lo:[0,0,1] neg_hi:[0,0,1]
	v_pk_fma_f32 v[76:77], v[76:77], v[90:91], v[110:111] op_sel:[0,0,1] op_sel_hi:[1,0,0]
	v_mov_b32_e32 v125, v73
	s_waitcnt vmcnt(7)
	v_pk_fma_f32 v[88:89], v[78:79], v[92:93], v[112:113] op_sel:[0,0,1] op_sel_hi:[1,1,0] neg_lo:[0,0,1] neg_hi:[0,0,1]
	v_pk_fma_f32 v[78:79], v[78:79], v[92:93], v[112:113] op_sel:[0,0,1] op_sel_hi:[1,0,0]
	v_mov_b32_e32 v75, v77
	v_pk_add_f32 v[72:73], v[108:109], v[124:125]
	s_waitcnt vmcnt(6)
	v_pk_fma_f32 v[90:91], v[80:81], v[94:95], v[114:115] op_sel:[0,0,1] op_sel_hi:[1,1,0] neg_lo:[0,0,1] neg_hi:[0,0,1]
	v_pk_fma_f32 v[80:81], v[80:81], v[94:95], v[114:115] op_sel:[0,0,1] op_sel_hi:[1,0,0]
	v_mov_b32_e32 v89, v79
	v_pk_add_f32 v[72:73], v[72:73], v[74:75]
	;; [unrolled: 5-line block ×5, first 2 shown]
	v_pk_fma_f32 v[98:99], v[106:107], v[102:103], v[122:123] op_sel:[0,0,1] op_sel_hi:[1,1,0] neg_lo:[0,0,1] neg_hi:[0,0,1]
	v_pk_fma_f32 v[100:101], v[106:107], v[102:103], v[122:123] op_sel:[0,0,1] op_sel_hi:[1,0,0]
	v_mov_b32_e32 v97, v87
	v_pk_add_f32 v[72:73], v[72:73], v[94:95]
	v_mov_b32_e32 v99, v101
	v_pk_add_f32 v[72:73], v[72:73], v[96:97]
	v_pk_add_f32 v[72:73], v[72:73], v[98:99]
	s_waitcnt vmcnt(0)
	v_pk_add_f32 v[72:73], v[104:105], v[72:73] neg_lo:[0,1] neg_hi:[0,1]
	buffer_store_dword v72, off, s[0:3], 0 offset:192
	buffer_store_dword v73, off, s[0:3], 0 offset:196
	s_and_saveexec_b64 s[4:5], vcc
	s_cbranch_execz .LBB33_171
; %bb.170:
	buffer_load_dword v72, off, s[0:3], 0 offset:184
	buffer_load_dword v73, off, s[0:3], 0 offset:188
	s_waitcnt vmcnt(0)
	ds_write_b64 v1, v[72:73]
	buffer_store_dword v70, off, s[0:3], 0 offset:184
	buffer_store_dword v70, off, s[0:3], 0 offset:188
.LBB33_171:
	s_or_b64 exec, exec, s[4:5]
	s_waitcnt lgkmcnt(0)
	; wave barrier
	s_waitcnt lgkmcnt(0)
	buffer_load_dword v110, off, s[0:3], 0 offset:196
	buffer_load_dword v112, off, s[0:3], 0 offset:204
	;; [unrolled: 1-line block ×22, first 2 shown]
	ds_read_b128 v[72:75], v70 offset:464
	ds_read_b128 v[76:79], v70 offset:480
	;; [unrolled: 1-line block ×5, first 2 shown]
	v_cmp_lt_u32_e32 vcc, 22, v0
	s_waitcnt vmcnt(21) lgkmcnt(4)
	v_mul_f32_e32 v71, v72, v110
	s_waitcnt vmcnt(20)
	v_mul_f32_e32 v111, v74, v112
	v_mul_f32_e32 v70, v73, v110
	;; [unrolled: 1-line block ×3, first 2 shown]
	s_waitcnt vmcnt(19)
	v_mov_b32_e32 v112, v93
	s_waitcnt vmcnt(18)
	v_mov_b32_e32 v114, v95
	;; [unrolled: 2-line block ×5, first 2 shown]
	v_mov_b32_e32 v118, v99
	s_waitcnt vmcnt(11)
	v_fmac_f32_e32 v71, v73, v113
	v_fma_f32 v70, v72, v113, -v70
	s_waitcnt lgkmcnt(3)
	v_pk_mul_f32 v[72:73], v[76:77], v[112:113] op_sel_hi:[1,0]
	s_waitcnt vmcnt(10)
	v_fmac_f32_e32 v111, v75, v115
	v_fma_f32 v110, v74, v115, -v110
	v_pk_mul_f32 v[74:75], v[78:79], v[114:115] op_sel_hi:[1,0]
	s_waitcnt lgkmcnt(2)
	v_pk_mul_f32 v[112:113], v[80:81], v[116:117] op_sel_hi:[1,0]
	s_waitcnt lgkmcnt(1)
	;; [unrolled: 2-line block ×3, first 2 shown]
	v_pk_mul_f32 v[120:121], v[88:89], v[124:125] op_sel_hi:[1,0]
	v_pk_add_f32 v[70:71], v[70:71], 0 op_sel_hi:[1,0]
	s_waitcnt vmcnt(9)
	v_pk_fma_f32 v[124:125], v[76:77], v[92:93], v[72:73] op_sel:[0,0,1] op_sel_hi:[1,1,0] neg_lo:[0,0,1] neg_hi:[0,0,1]
	v_pk_fma_f32 v[72:73], v[76:77], v[92:93], v[72:73] op_sel:[0,0,1] op_sel_hi:[1,0,0]
	s_waitcnt vmcnt(8)
	v_pk_fma_f32 v[76:77], v[78:79], v[94:95], v[74:75] op_sel:[0,0,1] op_sel_hi:[1,1,0] neg_lo:[0,0,1] neg_hi:[0,0,1]
	v_pk_fma_f32 v[74:75], v[78:79], v[94:95], v[74:75] op_sel:[0,0,1] op_sel_hi:[1,0,0]
	v_pk_add_f32 v[70:71], v[70:71], v[110:111]
	v_mov_b32_e32 v125, v73
	v_pk_mul_f32 v[114:115], v[82:83], v[118:119] op_sel_hi:[1,0]
	s_waitcnt vmcnt(7)
	v_pk_fma_f32 v[78:79], v[80:81], v[96:97], v[112:113] op_sel:[0,0,1] op_sel_hi:[1,1,0] neg_lo:[0,0,1] neg_hi:[0,0,1]
	v_pk_fma_f32 v[80:81], v[80:81], v[96:97], v[112:113] op_sel:[0,0,1] op_sel_hi:[1,0,0]
	v_mov_b32_e32 v77, v75
	v_pk_add_f32 v[70:71], v[70:71], v[124:125]
	v_mov_b32_e32 v122, v103
	s_waitcnt vmcnt(6)
	v_pk_fma_f32 v[92:93], v[82:83], v[98:99], v[114:115] op_sel:[0,0,1] op_sel_hi:[1,1,0] neg_lo:[0,0,1] neg_hi:[0,0,1]
	v_pk_fma_f32 v[82:83], v[82:83], v[98:99], v[114:115] op_sel:[0,0,1] op_sel_hi:[1,0,0]
	v_mov_b32_e32 v79, v81
	v_pk_add_f32 v[70:71], v[70:71], v[76:77]
	v_pk_mul_f32 v[118:119], v[86:87], v[122:123] op_sel_hi:[1,0]
	s_waitcnt vmcnt(5)
	v_pk_fma_f32 v[94:95], v[84:85], v[100:101], v[116:117] op_sel:[0,0,1] op_sel_hi:[1,1,0] neg_lo:[0,0,1] neg_hi:[0,0,1]
	v_pk_fma_f32 v[84:85], v[84:85], v[100:101], v[116:117] op_sel:[0,0,1] op_sel_hi:[1,0,0]
	v_mov_b32_e32 v93, v83
	v_pk_add_f32 v[70:71], v[70:71], v[78:79]
	v_mov_b32_e32 v126, v107
	s_waitcnt vmcnt(2)
	v_pk_fma_f32 v[96:97], v[86:87], v[102:103], v[118:119] op_sel:[0,0,1] op_sel_hi:[1,1,0] neg_lo:[0,0,1] neg_hi:[0,0,1]
	v_pk_fma_f32 v[86:87], v[86:87], v[102:103], v[118:119] op_sel:[0,0,1] op_sel_hi:[1,0,0]
	v_mov_b32_e32 v95, v85
	v_pk_add_f32 v[70:71], v[70:71], v[92:93]
	v_pk_mul_f32 v[122:123], v[90:91], v[126:127] op_sel_hi:[1,0]
	v_pk_fma_f32 v[98:99], v[88:89], v[104:105], v[120:121] op_sel:[0,0,1] op_sel_hi:[1,1,0] neg_lo:[0,0,1] neg_hi:[0,0,1]
	v_pk_fma_f32 v[88:89], v[88:89], v[104:105], v[120:121] op_sel:[0,0,1] op_sel_hi:[1,0,0]
	v_mov_b32_e32 v97, v87
	v_pk_add_f32 v[70:71], v[70:71], v[94:95]
	v_pk_fma_f32 v[100:101], v[90:91], v[106:107], v[122:123] op_sel:[0,0,1] op_sel_hi:[1,1,0] neg_lo:[0,0,1] neg_hi:[0,0,1]
	v_pk_fma_f32 v[90:91], v[90:91], v[106:107], v[122:123] op_sel:[0,0,1] op_sel_hi:[1,0,0]
	v_mov_b32_e32 v99, v89
	v_pk_add_f32 v[70:71], v[70:71], v[96:97]
	v_mov_b32_e32 v101, v91
	v_pk_add_f32 v[70:71], v[70:71], v[98:99]
	v_pk_add_f32 v[70:71], v[70:71], v[100:101]
	s_waitcnt vmcnt(0)
	v_pk_add_f32 v[70:71], v[108:109], v[70:71] neg_lo:[0,1] neg_hi:[0,1]
	buffer_store_dword v70, off, s[0:3], 0 offset:184
	buffer_store_dword v71, off, s[0:3], 0 offset:188
	s_and_saveexec_b64 s[4:5], vcc
	s_cbranch_execz .LBB33_173
; %bb.172:
	buffer_load_dword v70, off, s[0:3], 0 offset:176
	buffer_load_dword v71, off, s[0:3], 0 offset:180
	v_mov_b32_e32 v72, 0
	buffer_store_dword v72, off, s[0:3], 0 offset:176
	buffer_store_dword v72, off, s[0:3], 0 offset:180
	s_waitcnt vmcnt(2)
	ds_write_b64 v1, v[70:71]
.LBB33_173:
	s_or_b64 exec, exec, s[4:5]
	s_waitcnt lgkmcnt(0)
	; wave barrier
	s_waitcnt lgkmcnt(0)
	buffer_load_dword v73, off, s[0:3], 0 offset:188
	buffer_load_dword v112, off, s[0:3], 0 offset:196
	;; [unrolled: 1-line block ×24, first 2 shown]
	v_mov_b32_e32 v72, 0
	ds_read2_b64 v[74:77], v72 offset0:57 offset1:58
	ds_read2_b64 v[78:81], v72 offset0:59 offset1:60
	;; [unrolled: 1-line block ×5, first 2 shown]
	ds_read_b64 v[110:111], v72 offset:536
	v_cmp_lt_u32_e32 vcc, 21, v0
	s_waitcnt vmcnt(23) lgkmcnt(5)
	v_mul_f32_e32 v125, v74, v73
	v_mul_f32_e32 v73, v75, v73
	s_waitcnt vmcnt(22)
	v_mul_f32_e32 v113, v76, v112
	s_waitcnt vmcnt(21) lgkmcnt(4)
	v_mul_f32_e32 v115, v78, v114
	v_mul_f32_e32 v112, v77, v112
	;; [unrolled: 1-line block ×3, first 2 shown]
	s_waitcnt vmcnt(20)
	v_mov_b32_e32 v116, v71
	s_waitcnt vmcnt(19)
	v_mov_b32_e32 v118, v95
	;; [unrolled: 2-line block ×5, first 2 shown]
	s_waitcnt vmcnt(12)
	v_fmac_f32_e32 v125, v75, v117
	v_fma_f32 v73, v74, v117, -v73
	v_mov_b32_e32 v126, v103
	s_waitcnt vmcnt(11)
	v_fmac_f32_e32 v113, v77, v119
	s_waitcnt vmcnt(10)
	v_fmac_f32_e32 v115, v79, v121
	v_fma_f32 v112, v76, v119, -v112
	v_fma_f32 v114, v78, v121, -v114
	v_pk_mul_f32 v[74:75], v[80:81], v[116:117] op_sel_hi:[1,0]
	s_waitcnt lgkmcnt(3)
	v_pk_mul_f32 v[76:77], v[82:83], v[118:119] op_sel_hi:[1,0]
	v_pk_mul_f32 v[78:79], v[84:85], v[120:121] op_sel_hi:[1,0]
	s_waitcnt lgkmcnt(2)
	v_pk_mul_f32 v[116:117], v[86:87], v[122:123] op_sel_hi:[1,0]
	v_pk_mul_f32 v[118:119], v[88:89], v[124:125] op_sel_hi:[1,0]
	v_add_f32_e32 v125, 0, v125
	v_add_f32_e32 v124, 0, v73
	s_waitcnt lgkmcnt(1)
	v_pk_mul_f32 v[120:121], v[90:91], v[126:127] op_sel_hi:[1,0]
	s_waitcnt vmcnt(9)
	v_pk_fma_f32 v[126:127], v[80:81], v[70:71], v[74:75] op_sel:[0,0,1] op_sel_hi:[1,1,0] neg_lo:[0,0,1] neg_hi:[0,0,1]
	v_pk_fma_f32 v[70:71], v[80:81], v[70:71], v[74:75] op_sel:[0,0,1] op_sel_hi:[1,0,0]
	s_waitcnt vmcnt(8)
	v_pk_fma_f32 v[74:75], v[82:83], v[94:95], v[76:77] op_sel:[0,0,1] op_sel_hi:[1,1,0] neg_lo:[0,0,1] neg_hi:[0,0,1]
	v_pk_fma_f32 v[76:77], v[82:83], v[94:95], v[76:77] op_sel:[0,0,1] op_sel_hi:[1,0,0]
	;; [unrolled: 3-line block ×4, first 2 shown]
	v_pk_add_f32 v[98:99], v[124:125], v[112:113]
	v_mov_b32_e32 v127, v71
	v_pk_add_f32 v[70:71], v[98:99], v[114:115]
	v_mov_b32_e32 v75, v77
	;; [unrolled: 2-line block ×4, first 2 shown]
	s_waitcnt vmcnt(2)
	v_pk_fma_f32 v[86:87], v[88:89], v[100:101], v[118:119] op_sel:[0,0,1] op_sel_hi:[1,1,0] neg_lo:[0,0,1] neg_hi:[0,0,1]
	v_pk_fma_f32 v[88:89], v[88:89], v[100:101], v[118:119] op_sel:[0,0,1] op_sel_hi:[1,0,0]
	v_mov_b32_e32 v83, v85
	v_pk_add_f32 v[70:71], v[70:71], v[80:81]
	v_mov_b32_e32 v130, v107
	v_pk_mul_f32 v[122:123], v[92:93], v[128:129] op_sel_hi:[1,0]
	v_pk_fma_f32 v[94:95], v[90:91], v[102:103], v[120:121] op_sel:[0,0,1] op_sel_hi:[1,1,0] neg_lo:[0,0,1] neg_hi:[0,0,1]
	v_pk_fma_f32 v[90:91], v[90:91], v[102:103], v[120:121] op_sel:[0,0,1] op_sel_hi:[1,0,0]
	v_mov_b32_e32 v87, v89
	v_pk_add_f32 v[70:71], v[70:71], v[82:83]
	v_pk_fma_f32 v[96:97], v[92:93], v[104:105], v[122:123] op_sel:[0,0,1] op_sel_hi:[1,1,0] neg_lo:[0,0,1] neg_hi:[0,0,1]
	v_pk_fma_f32 v[92:93], v[92:93], v[104:105], v[122:123] op_sel:[0,0,1] op_sel_hi:[1,0,0]
	v_mov_b32_e32 v95, v91
	v_pk_add_f32 v[70:71], v[70:71], v[86:87]
	s_waitcnt lgkmcnt(0)
	v_pk_mul_f32 v[74:75], v[110:111], v[130:131] op_sel_hi:[1,0]
	v_mov_b32_e32 v97, v93
	v_pk_add_f32 v[70:71], v[70:71], v[94:95]
	v_pk_fma_f32 v[76:77], v[110:111], v[106:107], v[74:75] op_sel:[0,0,1] op_sel_hi:[1,1,0] neg_lo:[0,0,1] neg_hi:[0,0,1]
	v_pk_fma_f32 v[74:75], v[110:111], v[106:107], v[74:75] op_sel:[0,0,1] op_sel_hi:[1,0,0]
	v_pk_add_f32 v[70:71], v[70:71], v[96:97]
	v_mov_b32_e32 v77, v75
	v_pk_add_f32 v[70:71], v[70:71], v[76:77]
	s_waitcnt vmcnt(0)
	v_pk_add_f32 v[70:71], v[108:109], v[70:71] neg_lo:[0,1] neg_hi:[0,1]
	buffer_store_dword v71, off, s[0:3], 0 offset:180
	buffer_store_dword v70, off, s[0:3], 0 offset:176
	s_and_saveexec_b64 s[4:5], vcc
	s_cbranch_execz .LBB33_175
; %bb.174:
	buffer_load_dword v70, off, s[0:3], 0 offset:168
	buffer_load_dword v71, off, s[0:3], 0 offset:172
	s_waitcnt vmcnt(0)
	ds_write_b64 v1, v[70:71]
	buffer_store_dword v72, off, s[0:3], 0 offset:168
	buffer_store_dword v72, off, s[0:3], 0 offset:172
.LBB33_175:
	s_or_b64 exec, exec, s[4:5]
	s_waitcnt lgkmcnt(0)
	; wave barrier
	s_waitcnt lgkmcnt(0)
	ds_read_b128 v[74:77], v72 offset:448
	ds_read_b128 v[78:81], v72 offset:464
	;; [unrolled: 1-line block ×4, first 2 shown]
	buffer_load_dword v70, off, s[0:3], 0 offset:168
	buffer_load_dword v71, off, s[0:3], 0 offset:172
	;; [unrolled: 1-line block ×26, first 2 shown]
	v_cmp_lt_u32_e32 vcc, 20, v0
	s_waitcnt vmcnt(22) lgkmcnt(3)
	v_mul_f32_e32 v97, v74, v96
	v_fmac_f32_e32 v97, v75, v73
	v_mul_f32_e32 v75, v75, v96
	s_waitcnt vmcnt(20)
	v_mul_f32_e32 v99, v76, v100
	v_fma_f32 v73, v74, v73, -v75
	v_mul_f32_e32 v74, v77, v100
	v_add_f32_e32 v97, 0, v97
	v_fmac_f32_e32 v99, v77, v98
	v_add_f32_e32 v73, 0, v73
	v_fma_f32 v74, v76, v98, -v74
	v_add_f32_e32 v97, v97, v99
	s_waitcnt vmcnt(18) lgkmcnt(2)
	v_mul_f32_e32 v99, v78, v113
	v_add_f32_e32 v96, v73, v74
	v_mul_f32_e32 v73, v79, v113
	v_fmac_f32_e32 v99, v79, v112
	s_waitcnt vmcnt(16)
	v_mul_f32_e32 v101, v80, v115
	v_fma_f32 v98, v78, v112, -v73
	v_mul_f32_e32 v73, v81, v115
	v_fmac_f32_e32 v101, v81, v114
	v_fma_f32 v100, v80, v114, -v73
	ds_read_b128 v[74:77], v72 offset:512
	ds_read_b128 v[78:81], v72 offset:528
	v_pk_add_f32 v[72:73], v[96:97], v[98:99]
	s_waitcnt vmcnt(14)
	v_mov_b32_e32 v96, v91
	s_waitcnt lgkmcnt(3)
	v_pk_mul_f32 v[96:97], v[82:83], v[96:97] op_sel_hi:[1,0]
	v_pk_fma_f32 v[98:99], v[82:83], v[90:91], v[96:97] op_sel:[0,0,1] op_sel_hi:[1,1,0] neg_lo:[0,0,1] neg_hi:[0,0,1]
	v_pk_fma_f32 v[82:83], v[82:83], v[90:91], v[96:97] op_sel:[0,0,1] op_sel_hi:[1,0,0]
	s_waitcnt vmcnt(12)
	v_mov_b32_e32 v82, v93
	v_mov_b32_e32 v99, v83
	v_pk_mul_f32 v[82:83], v[84:85], v[82:83] op_sel_hi:[1,0]
	v_pk_fma_f32 v[90:91], v[84:85], v[92:93], v[82:83] op_sel:[0,0,1] op_sel_hi:[1,1,0] neg_lo:[0,0,1] neg_hi:[0,0,1]
	v_pk_fma_f32 v[82:83], v[84:85], v[92:93], v[82:83] op_sel:[0,0,1] op_sel_hi:[1,0,0]
	s_waitcnt vmcnt(10)
	v_mov_b32_e32 v82, v95
	v_mov_b32_e32 v91, v83
	s_waitcnt lgkmcnt(2)
	v_pk_mul_f32 v[82:83], v[86:87], v[82:83] op_sel_hi:[1,0]
	v_pk_add_f32 v[72:73], v[72:73], v[100:101]
	v_pk_fma_f32 v[84:85], v[86:87], v[94:95], v[82:83] op_sel:[0,0,1] op_sel_hi:[1,1,0] neg_lo:[0,0,1] neg_hi:[0,0,1]
	v_pk_fma_f32 v[82:83], v[86:87], v[94:95], v[82:83] op_sel:[0,0,1] op_sel_hi:[1,0,0]
	v_pk_add_f32 v[72:73], v[72:73], v[98:99]
	s_waitcnt vmcnt(9)
	v_mov_b32_e32 v82, v103
	v_pk_add_f32 v[72:73], v[72:73], v[90:91]
	v_mov_b32_e32 v85, v83
	v_pk_mul_f32 v[82:83], v[88:89], v[82:83] op_sel_hi:[1,0]
	v_pk_add_f32 v[72:73], v[72:73], v[84:85]
	s_waitcnt vmcnt(8)
	v_pk_fma_f32 v[84:85], v[88:89], v[102:103], v[82:83] op_sel:[0,0,1] op_sel_hi:[1,1,0] neg_lo:[0,0,1] neg_hi:[0,0,1]
	v_pk_fma_f32 v[82:83], v[88:89], v[102:103], v[82:83] op_sel:[0,0,1] op_sel_hi:[1,0,0]
	s_waitcnt vmcnt(7)
	v_mov_b32_e32 v82, v105
	v_mov_b32_e32 v85, v83
	s_waitcnt lgkmcnt(1)
	v_pk_mul_f32 v[82:83], v[74:75], v[82:83] op_sel_hi:[1,0]
	v_pk_add_f32 v[72:73], v[72:73], v[84:85]
	s_waitcnt vmcnt(6)
	v_pk_fma_f32 v[84:85], v[74:75], v[104:105], v[82:83] op_sel:[0,0,1] op_sel_hi:[1,1,0] neg_lo:[0,0,1] neg_hi:[0,0,1]
	v_pk_fma_f32 v[74:75], v[74:75], v[104:105], v[82:83] op_sel:[0,0,1] op_sel_hi:[1,0,0]
	s_waitcnt vmcnt(5)
	v_mov_b32_e32 v74, v107
	v_mov_b32_e32 v85, v75
	v_pk_mul_f32 v[74:75], v[76:77], v[74:75] op_sel_hi:[1,0]
	s_waitcnt vmcnt(4)
	v_pk_fma_f32 v[82:83], v[76:77], v[106:107], v[74:75] op_sel:[0,0,1] op_sel_hi:[1,1,0] neg_lo:[0,0,1] neg_hi:[0,0,1]
	v_pk_fma_f32 v[74:75], v[76:77], v[106:107], v[74:75] op_sel:[0,0,1] op_sel_hi:[1,0,0]
	s_waitcnt vmcnt(3)
	v_mov_b32_e32 v74, v109
	v_mov_b32_e32 v83, v75
	s_waitcnt lgkmcnt(0)
	v_pk_mul_f32 v[74:75], v[78:79], v[74:75] op_sel_hi:[1,0]
	s_waitcnt vmcnt(2)
	v_pk_fma_f32 v[76:77], v[78:79], v[108:109], v[74:75] op_sel:[0,0,1] op_sel_hi:[1,1,0] neg_lo:[0,0,1] neg_hi:[0,0,1]
	v_pk_fma_f32 v[74:75], v[78:79], v[108:109], v[74:75] op_sel:[0,0,1] op_sel_hi:[1,0,0]
	v_pk_add_f32 v[72:73], v[72:73], v[84:85]
	s_waitcnt vmcnt(1)
	v_mov_b32_e32 v74, v111
	v_pk_add_f32 v[72:73], v[72:73], v[82:83]
	v_mov_b32_e32 v77, v75
	v_pk_mul_f32 v[74:75], v[80:81], v[74:75] op_sel_hi:[1,0]
	v_pk_add_f32 v[72:73], v[72:73], v[76:77]
	s_waitcnt vmcnt(0)
	v_pk_fma_f32 v[76:77], v[80:81], v[110:111], v[74:75] op_sel:[0,0,1] op_sel_hi:[1,1,0] neg_lo:[0,0,1] neg_hi:[0,0,1]
	v_pk_fma_f32 v[74:75], v[80:81], v[110:111], v[74:75] op_sel:[0,0,1] op_sel_hi:[1,0,0]
	v_mov_b32_e32 v77, v75
	v_pk_add_f32 v[72:73], v[72:73], v[76:77]
	v_pk_add_f32 v[70:71], v[70:71], v[72:73] neg_lo:[0,1] neg_hi:[0,1]
	buffer_store_dword v71, off, s[0:3], 0 offset:172
	buffer_store_dword v70, off, s[0:3], 0 offset:168
	s_and_saveexec_b64 s[4:5], vcc
	s_cbranch_execz .LBB33_177
; %bb.176:
	buffer_load_dword v70, off, s[0:3], 0 offset:160
	buffer_load_dword v71, off, s[0:3], 0 offset:164
	v_mov_b32_e32 v72, 0
	buffer_store_dword v72, off, s[0:3], 0 offset:160
	buffer_store_dword v72, off, s[0:3], 0 offset:164
	s_waitcnt vmcnt(2)
	ds_write_b64 v1, v[70:71]
.LBB33_177:
	s_or_b64 exec, exec, s[4:5]
	v_mov_b32_e32 v72, 0
	s_waitcnt lgkmcnt(0)
	; wave barrier
	s_waitcnt lgkmcnt(0)
	ds_read2_b64 v[74:77], v72 offset0:55 offset1:56
	buffer_load_dword v70, off, s[0:3], 0 offset:160
	buffer_load_dword v71, off, s[0:3], 0 offset:164
	;; [unrolled: 1-line block ×16, first 2 shown]
	v_cmp_lt_u32_e32 vcc, 19, v0
	s_waitcnt vmcnt(12) lgkmcnt(0)
	v_mul_f32_e32 v78, v74, v86
	v_fmac_f32_e32 v78, v75, v73
	s_waitcnt vmcnt(10)
	v_mul_f32_e32 v79, v76, v88
	v_add_f32_e32 v78, 0, v78
	v_fmac_f32_e32 v79, v77, v87
	v_add_f32_e32 v82, v78, v79
	ds_read2_b64 v[78:81], v72 offset0:57 offset1:58
	v_mul_f32_e32 v75, v75, v86
	v_fma_f32 v73, v74, v73, -v75
	v_mul_f32_e32 v74, v77, v88
	v_add_f32_e32 v73, 0, v73
	s_waitcnt vmcnt(8) lgkmcnt(0)
	v_mul_f32_e32 v83, v78, v94
	v_fmac_f32_e32 v83, v79, v89
	v_add_f32_e32 v95, v82, v83
	ds_read2_b64 v[82:85], v72 offset0:59 offset1:60
	buffer_load_dword v101, off, s[0:3], 0 offset:228
	buffer_load_dword v100, off, s[0:3], 0 offset:224
	;; [unrolled: 1-line block ×12, first 2 shown]
	v_fma_f32 v74, v76, v87, -v74
	v_add_f32_e32 v73, v73, v74
	v_mul_f32_e32 v74, v79, v94
	v_fma_f32 v74, v78, v89, -v74
	s_waitcnt vmcnt(18)
	v_mul_f32_e32 v97, v80, v98
	v_add_f32_e32 v94, v73, v74
	v_mul_f32_e32 v73, v81, v98
	v_fmac_f32_e32 v97, v81, v96
	v_fma_f32 v96, v80, v96, -v73
	s_waitcnt vmcnt(16) lgkmcnt(0)
	v_mul_f32_e32 v99, v82, v113
	v_mul_f32_e32 v73, v83, v113
	v_pk_add_f32 v[94:95], v[94:95], v[96:97]
	s_waitcnt vmcnt(14)
	v_mov_b32_e32 v96, v91
	v_fmac_f32_e32 v99, v83, v112
	v_fma_f32 v98, v82, v112, -v73
	ds_read2_b64 v[74:77], v72 offset0:61 offset1:62
	ds_read2_b64 v[78:81], v72 offset0:63 offset1:64
	;; [unrolled: 1-line block ×3, first 2 shown]
	ds_read_b64 v[82:83], v72 offset:536
	v_pk_mul_f32 v[96:97], v[84:85], v[96:97] op_sel_hi:[1,0]
	v_pk_add_f32 v[94:95], v[94:95], v[98:99]
	v_pk_fma_f32 v[98:99], v[84:85], v[90:91], v[96:97] op_sel:[0,0,1] op_sel_hi:[1,1,0] neg_lo:[0,0,1] neg_hi:[0,0,1]
	v_pk_fma_f32 v[84:85], v[84:85], v[90:91], v[96:97] op_sel:[0,0,1] op_sel_hi:[1,0,0]
	s_waitcnt vmcnt(12)
	v_mov_b32_e32 v90, v93
	v_mov_b32_e32 v99, v85
	s_waitcnt lgkmcnt(3)
	v_pk_mul_f32 v[90:91], v[74:75], v[90:91] op_sel_hi:[1,0]
	v_pk_add_f32 v[84:85], v[94:95], v[98:99]
	v_pk_fma_f32 v[94:95], v[74:75], v[92:93], v[90:91] op_sel:[0,0,1] op_sel_hi:[1,1,0] neg_lo:[0,0,1] neg_hi:[0,0,1]
	v_pk_fma_f32 v[74:75], v[74:75], v[92:93], v[90:91] op_sel:[0,0,1] op_sel_hi:[1,0,0]
	v_mov_b32_e32 v95, v75
	v_pk_add_f32 v[74:75], v[84:85], v[94:95]
	s_waitcnt vmcnt(11)
	v_mov_b32_e32 v84, v101
	v_pk_mul_f32 v[84:85], v[76:77], v[84:85] op_sel_hi:[1,0]
	s_waitcnt vmcnt(10)
	v_pk_fma_f32 v[90:91], v[76:77], v[100:101], v[84:85] op_sel:[0,0,1] op_sel_hi:[1,1,0] neg_lo:[0,0,1] neg_hi:[0,0,1]
	v_pk_fma_f32 v[76:77], v[76:77], v[100:101], v[84:85] op_sel:[0,0,1] op_sel_hi:[1,0,0]
	s_waitcnt vmcnt(9)
	v_mov_b32_e32 v76, v103
	v_mov_b32_e32 v91, v77
	s_waitcnt lgkmcnt(2)
	v_pk_mul_f32 v[76:77], v[78:79], v[76:77] op_sel_hi:[1,0]
	s_waitcnt vmcnt(8)
	v_pk_fma_f32 v[84:85], v[78:79], v[102:103], v[76:77] op_sel:[0,0,1] op_sel_hi:[1,1,0] neg_lo:[0,0,1] neg_hi:[0,0,1]
	v_pk_fma_f32 v[76:77], v[78:79], v[102:103], v[76:77] op_sel:[0,0,1] op_sel_hi:[1,0,0]
	s_waitcnt vmcnt(7)
	v_mov_b32_e32 v76, v105
	v_mov_b32_e32 v85, v77
	v_pk_mul_f32 v[76:77], v[80:81], v[76:77] op_sel_hi:[1,0]
	s_waitcnt vmcnt(6)
	v_pk_fma_f32 v[78:79], v[80:81], v[104:105], v[76:77] op_sel:[0,0,1] op_sel_hi:[1,1,0] neg_lo:[0,0,1] neg_hi:[0,0,1]
	v_pk_fma_f32 v[76:77], v[80:81], v[104:105], v[76:77] op_sel:[0,0,1] op_sel_hi:[1,0,0]
	v_pk_add_f32 v[74:75], v[74:75], v[90:91]
	s_waitcnt vmcnt(5)
	v_mov_b32_e32 v76, v107
	v_pk_add_f32 v[74:75], v[74:75], v[84:85]
	v_mov_b32_e32 v79, v77
	s_waitcnt lgkmcnt(1)
	v_pk_mul_f32 v[76:77], v[86:87], v[76:77] op_sel_hi:[1,0]
	v_pk_add_f32 v[74:75], v[74:75], v[78:79]
	s_waitcnt vmcnt(4)
	v_pk_fma_f32 v[78:79], v[86:87], v[106:107], v[76:77] op_sel:[0,0,1] op_sel_hi:[1,1,0] neg_lo:[0,0,1] neg_hi:[0,0,1]
	v_pk_fma_f32 v[76:77], v[86:87], v[106:107], v[76:77] op_sel:[0,0,1] op_sel_hi:[1,0,0]
	s_waitcnt vmcnt(3)
	v_mov_b32_e32 v76, v109
	v_mov_b32_e32 v79, v77
	v_pk_mul_f32 v[76:77], v[88:89], v[76:77] op_sel_hi:[1,0]
	v_pk_add_f32 v[74:75], v[74:75], v[78:79]
	s_waitcnt vmcnt(2)
	v_pk_fma_f32 v[78:79], v[88:89], v[108:109], v[76:77] op_sel:[0,0,1] op_sel_hi:[1,1,0] neg_lo:[0,0,1] neg_hi:[0,0,1]
	v_pk_fma_f32 v[76:77], v[88:89], v[108:109], v[76:77] op_sel:[0,0,1] op_sel_hi:[1,0,0]
	s_waitcnt vmcnt(1)
	v_mov_b32_e32 v76, v111
	v_mov_b32_e32 v79, v77
	s_waitcnt lgkmcnt(0)
	v_pk_mul_f32 v[76:77], v[82:83], v[76:77] op_sel_hi:[1,0]
	v_pk_add_f32 v[74:75], v[74:75], v[78:79]
	s_waitcnt vmcnt(0)
	v_pk_fma_f32 v[78:79], v[82:83], v[110:111], v[76:77] op_sel:[0,0,1] op_sel_hi:[1,1,0] neg_lo:[0,0,1] neg_hi:[0,0,1]
	v_pk_fma_f32 v[76:77], v[82:83], v[110:111], v[76:77] op_sel:[0,0,1] op_sel_hi:[1,0,0]
	v_mov_b32_e32 v79, v77
	v_pk_add_f32 v[74:75], v[74:75], v[78:79]
	v_pk_add_f32 v[70:71], v[70:71], v[74:75] neg_lo:[0,1] neg_hi:[0,1]
	buffer_store_dword v71, off, s[0:3], 0 offset:164
	buffer_store_dword v70, off, s[0:3], 0 offset:160
	s_and_saveexec_b64 s[4:5], vcc
	s_cbranch_execz .LBB33_179
; %bb.178:
	buffer_load_dword v70, off, s[0:3], 0 offset:152
	buffer_load_dword v71, off, s[0:3], 0 offset:156
	s_waitcnt vmcnt(0)
	ds_write_b64 v1, v[70:71]
	buffer_store_dword v72, off, s[0:3], 0 offset:152
	buffer_store_dword v72, off, s[0:3], 0 offset:156
.LBB33_179:
	s_or_b64 exec, exec, s[4:5]
	s_waitcnt lgkmcnt(0)
	; wave barrier
	s_waitcnt lgkmcnt(0)
	ds_read_b128 v[74:77], v72 offset:432
	ds_read_b128 v[78:81], v72 offset:448
	;; [unrolled: 1-line block ×4, first 2 shown]
	buffer_load_dword v70, off, s[0:3], 0 offset:152
	buffer_load_dword v71, off, s[0:3], 0 offset:156
	;; [unrolled: 1-line block ×30, first 2 shown]
	v_cmp_lt_u32_e32 vcc, 18, v0
	s_waitcnt vmcnt(26) lgkmcnt(3)
	v_mul_f32_e32 v93, v74, v92
	v_fmac_f32_e32 v93, v75, v73
	v_mul_f32_e32 v75, v75, v92
	s_waitcnt vmcnt(24)
	v_mul_f32_e32 v95, v76, v96
	v_fma_f32 v73, v74, v73, -v75
	v_mul_f32_e32 v74, v77, v96
	v_add_f32_e32 v93, 0, v93
	v_fmac_f32_e32 v95, v77, v94
	v_add_f32_e32 v73, 0, v73
	v_fma_f32 v74, v76, v94, -v74
	v_add_f32_e32 v93, v93, v95
	s_waitcnt vmcnt(22) lgkmcnt(2)
	v_mul_f32_e32 v95, v78, v113
	v_add_f32_e32 v73, v73, v74
	v_mul_f32_e32 v74, v79, v113
	v_fmac_f32_e32 v95, v79, v112
	v_fma_f32 v74, v78, v112, -v74
	v_add_f32_e32 v93, v93, v95
	s_waitcnt vmcnt(20)
	v_mul_f32_e32 v95, v80, v115
	v_add_f32_e32 v73, v73, v74
	v_mul_f32_e32 v74, v81, v115
	v_fmac_f32_e32 v95, v81, v114
	v_fma_f32 v74, v80, v114, -v74
	v_add_f32_e32 v93, v93, v95
	s_waitcnt vmcnt(18) lgkmcnt(1)
	v_mul_f32_e32 v95, v82, v117
	v_add_f32_e32 v92, v73, v74
	v_mul_f32_e32 v73, v83, v117
	v_fmac_f32_e32 v95, v83, v116
	s_waitcnt vmcnt(16)
	v_mul_f32_e32 v97, v84, v119
	v_fma_f32 v94, v82, v116, -v73
	v_mul_f32_e32 v73, v85, v119
	v_fmac_f32_e32 v97, v85, v118
	v_fma_f32 v96, v84, v118, -v73
	ds_read_b128 v[74:77], v72 offset:496
	ds_read_b128 v[78:81], v72 offset:512
	;; [unrolled: 1-line block ×3, first 2 shown]
	v_pk_add_f32 v[72:73], v[92:93], v[94:95]
	s_waitcnt vmcnt(14)
	v_mov_b32_e32 v92, v91
	s_waitcnt lgkmcnt(3)
	v_pk_mul_f32 v[92:93], v[86:87], v[92:93] op_sel_hi:[1,0]
	v_pk_fma_f32 v[94:95], v[86:87], v[90:91], v[92:93] op_sel:[0,0,1] op_sel_hi:[1,1,0] neg_lo:[0,0,1] neg_hi:[0,0,1]
	v_pk_fma_f32 v[86:87], v[86:87], v[90:91], v[92:93] op_sel:[0,0,1] op_sel_hi:[1,0,0]
	s_waitcnt vmcnt(13)
	v_mov_b32_e32 v86, v99
	v_mov_b32_e32 v95, v87
	v_pk_mul_f32 v[86:87], v[88:89], v[86:87] op_sel_hi:[1,0]
	s_waitcnt vmcnt(12)
	v_pk_fma_f32 v[90:91], v[88:89], v[98:99], v[86:87] op_sel:[0,0,1] op_sel_hi:[1,1,0] neg_lo:[0,0,1] neg_hi:[0,0,1]
	v_pk_fma_f32 v[86:87], v[88:89], v[98:99], v[86:87] op_sel:[0,0,1] op_sel_hi:[1,0,0]
	s_waitcnt vmcnt(11)
	v_mov_b32_e32 v86, v101
	v_mov_b32_e32 v91, v87
	s_waitcnt lgkmcnt(2)
	v_pk_mul_f32 v[86:87], v[74:75], v[86:87] op_sel_hi:[1,0]
	s_waitcnt vmcnt(10)
	v_pk_fma_f32 v[88:89], v[74:75], v[100:101], v[86:87] op_sel:[0,0,1] op_sel_hi:[1,1,0] neg_lo:[0,0,1] neg_hi:[0,0,1]
	v_pk_fma_f32 v[74:75], v[74:75], v[100:101], v[86:87] op_sel:[0,0,1] op_sel_hi:[1,0,0]
	s_waitcnt vmcnt(9)
	v_mov_b32_e32 v74, v103
	v_mov_b32_e32 v89, v75
	v_pk_mul_f32 v[74:75], v[76:77], v[74:75] op_sel_hi:[1,0]
	s_waitcnt vmcnt(8)
	v_pk_fma_f32 v[86:87], v[76:77], v[102:103], v[74:75] op_sel:[0,0,1] op_sel_hi:[1,1,0] neg_lo:[0,0,1] neg_hi:[0,0,1]
	v_pk_fma_f32 v[74:75], v[76:77], v[102:103], v[74:75] op_sel:[0,0,1] op_sel_hi:[1,0,0]
	v_pk_add_f32 v[72:73], v[72:73], v[96:97]
	s_waitcnt vmcnt(7)
	v_mov_b32_e32 v74, v105
	v_pk_add_f32 v[72:73], v[72:73], v[94:95]
	v_mov_b32_e32 v87, v75
	s_waitcnt lgkmcnt(1)
	v_pk_mul_f32 v[74:75], v[78:79], v[74:75] op_sel_hi:[1,0]
	v_pk_add_f32 v[72:73], v[72:73], v[90:91]
	s_waitcnt vmcnt(6)
	v_pk_fma_f32 v[76:77], v[78:79], v[104:105], v[74:75] op_sel:[0,0,1] op_sel_hi:[1,1,0] neg_lo:[0,0,1] neg_hi:[0,0,1]
	v_pk_fma_f32 v[74:75], v[78:79], v[104:105], v[74:75] op_sel:[0,0,1] op_sel_hi:[1,0,0]
	v_pk_add_f32 v[72:73], v[72:73], v[88:89]
	s_waitcnt vmcnt(5)
	v_mov_b32_e32 v74, v107
	v_pk_add_f32 v[72:73], v[72:73], v[86:87]
	v_mov_b32_e32 v77, v75
	v_pk_mul_f32 v[74:75], v[80:81], v[74:75] op_sel_hi:[1,0]
	v_pk_add_f32 v[72:73], v[72:73], v[76:77]
	s_waitcnt vmcnt(4)
	v_pk_fma_f32 v[76:77], v[80:81], v[106:107], v[74:75] op_sel:[0,0,1] op_sel_hi:[1,1,0] neg_lo:[0,0,1] neg_hi:[0,0,1]
	v_pk_fma_f32 v[74:75], v[80:81], v[106:107], v[74:75] op_sel:[0,0,1] op_sel_hi:[1,0,0]
	s_waitcnt vmcnt(3)
	v_mov_b32_e32 v74, v109
	v_mov_b32_e32 v77, v75
	s_waitcnt lgkmcnt(0)
	v_pk_mul_f32 v[74:75], v[82:83], v[74:75] op_sel_hi:[1,0]
	v_pk_add_f32 v[72:73], v[72:73], v[76:77]
	s_waitcnt vmcnt(2)
	v_pk_fma_f32 v[76:77], v[82:83], v[108:109], v[74:75] op_sel:[0,0,1] op_sel_hi:[1,1,0] neg_lo:[0,0,1] neg_hi:[0,0,1]
	v_pk_fma_f32 v[74:75], v[82:83], v[108:109], v[74:75] op_sel:[0,0,1] op_sel_hi:[1,0,0]
	s_waitcnt vmcnt(1)
	v_mov_b32_e32 v74, v111
	v_mov_b32_e32 v77, v75
	v_pk_mul_f32 v[74:75], v[84:85], v[74:75] op_sel_hi:[1,0]
	v_pk_add_f32 v[72:73], v[72:73], v[76:77]
	s_waitcnt vmcnt(0)
	v_pk_fma_f32 v[76:77], v[84:85], v[110:111], v[74:75] op_sel:[0,0,1] op_sel_hi:[1,1,0] neg_lo:[0,0,1] neg_hi:[0,0,1]
	v_pk_fma_f32 v[74:75], v[84:85], v[110:111], v[74:75] op_sel:[0,0,1] op_sel_hi:[1,0,0]
	v_mov_b32_e32 v77, v75
	v_pk_add_f32 v[72:73], v[72:73], v[76:77]
	v_pk_add_f32 v[70:71], v[70:71], v[72:73] neg_lo:[0,1] neg_hi:[0,1]
	buffer_store_dword v71, off, s[0:3], 0 offset:156
	buffer_store_dword v70, off, s[0:3], 0 offset:152
	s_and_saveexec_b64 s[4:5], vcc
	s_cbranch_execz .LBB33_181
; %bb.180:
	buffer_load_dword v70, off, s[0:3], 0 offset:144
	buffer_load_dword v71, off, s[0:3], 0 offset:148
	v_mov_b32_e32 v72, 0
	buffer_store_dword v72, off, s[0:3], 0 offset:144
	buffer_store_dword v72, off, s[0:3], 0 offset:148
	s_waitcnt vmcnt(2)
	ds_write_b64 v1, v[70:71]
.LBB33_181:
	s_or_b64 exec, exec, s[4:5]
	v_mov_b32_e32 v72, 0
	s_waitcnt lgkmcnt(0)
	; wave barrier
	s_waitcnt lgkmcnt(0)
	ds_read2_b64 v[74:77], v72 offset0:53 offset1:54
	buffer_load_dword v70, off, s[0:3], 0 offset:144
	buffer_load_dword v71, off, s[0:3], 0 offset:148
	;; [unrolled: 1-line block ×16, first 2 shown]
	v_cmp_lt_u32_e32 vcc, 17, v0
	s_waitcnt vmcnt(12) lgkmcnt(0)
	v_mul_f32_e32 v78, v74, v90
	v_fmac_f32_e32 v78, v75, v73
	s_waitcnt vmcnt(10)
	v_mul_f32_e32 v79, v76, v94
	v_add_f32_e32 v78, 0, v78
	v_fmac_f32_e32 v79, v77, v92
	v_add_f32_e32 v82, v78, v79
	ds_read2_b64 v[78:81], v72 offset0:55 offset1:56
	v_mul_f32_e32 v75, v75, v90
	v_fma_f32 v73, v74, v73, -v75
	v_mul_f32_e32 v74, v77, v94
	v_add_f32_e32 v73, 0, v73
	s_waitcnt vmcnt(8) lgkmcnt(0)
	v_mul_f32_e32 v83, v78, v113
	v_fmac_f32_e32 v83, v79, v112
	v_add_f32_e32 v82, v82, v83
	s_waitcnt vmcnt(6)
	v_mul_f32_e32 v83, v80, v115
	v_fmac_f32_e32 v83, v81, v114
	v_add_f32_e32 v86, v82, v83
	ds_read2_b64 v[82:85], v72 offset0:57 offset1:58
	v_fma_f32 v74, v76, v92, -v74
	v_add_f32_e32 v73, v73, v74
	v_mul_f32_e32 v74, v79, v113
	v_fma_f32 v74, v78, v112, -v74
	s_waitcnt vmcnt(4) lgkmcnt(0)
	v_mul_f32_e32 v87, v82, v117
	v_fmac_f32_e32 v87, v83, v116
	v_add_f32_e32 v91, v86, v87
	ds_read2_b64 v[86:89], v72 offset0:59 offset1:60
	buffer_load_dword v97, off, s[0:3], 0 offset:212
	buffer_load_dword v96, off, s[0:3], 0 offset:208
	;; [unrolled: 1-line block ×16, first 2 shown]
	v_add_f32_e32 v73, v73, v74
	v_mul_f32_e32 v74, v81, v115
	v_fma_f32 v74, v80, v114, -v74
	v_add_f32_e32 v73, v73, v74
	v_mul_f32_e32 v74, v83, v117
	v_fma_f32 v74, v82, v116, -v74
	s_waitcnt vmcnt(18)
	v_mul_f32_e32 v93, v84, v119
	v_add_f32_e32 v90, v73, v74
	v_mul_f32_e32 v73, v85, v119
	v_fmac_f32_e32 v93, v85, v118
	v_fma_f32 v92, v84, v118, -v73
	s_waitcnt vmcnt(16) lgkmcnt(0)
	v_mul_f32_e32 v95, v86, v121
	v_mul_f32_e32 v73, v87, v121
	v_pk_add_f32 v[90:91], v[90:91], v[92:93]
	v_fmac_f32_e32 v95, v87, v120
	v_fma_f32 v94, v86, v120, -v73
	v_pk_add_f32 v[90:91], v[90:91], v[94:95]
	ds_read2_b64 v[74:77], v72 offset0:61 offset1:62
	ds_read2_b64 v[78:81], v72 offset0:63 offset1:64
	;; [unrolled: 1-line block ×3, first 2 shown]
	ds_read_b64 v[86:87], v72 offset:536
	s_waitcnt vmcnt(15)
	v_mov_b32_e32 v92, v97
	v_pk_mul_f32 v[92:93], v[88:89], v[92:93] op_sel_hi:[1,0]
	s_waitcnt vmcnt(14)
	v_pk_fma_f32 v[94:95], v[88:89], v[96:97], v[92:93] op_sel:[0,0,1] op_sel_hi:[1,1,0] neg_lo:[0,0,1] neg_hi:[0,0,1]
	v_pk_fma_f32 v[88:89], v[88:89], v[96:97], v[92:93] op_sel:[0,0,1] op_sel_hi:[1,0,0]
	v_mov_b32_e32 v95, v89
	v_pk_add_f32 v[88:89], v[90:91], v[94:95]
	s_waitcnt vmcnt(13)
	v_mov_b32_e32 v90, v99
	s_waitcnt lgkmcnt(3)
	v_pk_mul_f32 v[90:91], v[74:75], v[90:91] op_sel_hi:[1,0]
	s_waitcnt vmcnt(12)
	v_pk_fma_f32 v[92:93], v[74:75], v[98:99], v[90:91] op_sel:[0,0,1] op_sel_hi:[1,1,0] neg_lo:[0,0,1] neg_hi:[0,0,1]
	v_pk_fma_f32 v[74:75], v[74:75], v[98:99], v[90:91] op_sel:[0,0,1] op_sel_hi:[1,0,0]
	v_mov_b32_e32 v93, v75
	v_pk_add_f32 v[74:75], v[88:89], v[92:93]
	s_waitcnt vmcnt(11)
	v_mov_b32_e32 v88, v101
	v_pk_mul_f32 v[88:89], v[76:77], v[88:89] op_sel_hi:[1,0]
	s_waitcnt vmcnt(10)
	v_pk_fma_f32 v[90:91], v[76:77], v[100:101], v[88:89] op_sel:[0,0,1] op_sel_hi:[1,1,0] neg_lo:[0,0,1] neg_hi:[0,0,1]
	v_pk_fma_f32 v[76:77], v[76:77], v[100:101], v[88:89] op_sel:[0,0,1] op_sel_hi:[1,0,0]
	s_waitcnt vmcnt(9)
	v_mov_b32_e32 v76, v103
	v_mov_b32_e32 v91, v77
	s_waitcnt lgkmcnt(2)
	v_pk_mul_f32 v[76:77], v[78:79], v[76:77] op_sel_hi:[1,0]
	s_waitcnt vmcnt(8)
	v_pk_fma_f32 v[88:89], v[78:79], v[102:103], v[76:77] op_sel:[0,0,1] op_sel_hi:[1,1,0] neg_lo:[0,0,1] neg_hi:[0,0,1]
	v_pk_fma_f32 v[76:77], v[78:79], v[102:103], v[76:77] op_sel:[0,0,1] op_sel_hi:[1,0,0]
	s_waitcnt vmcnt(7)
	v_mov_b32_e32 v76, v105
	v_mov_b32_e32 v89, v77
	v_pk_mul_f32 v[76:77], v[80:81], v[76:77] op_sel_hi:[1,0]
	s_waitcnt vmcnt(6)
	v_pk_fma_f32 v[78:79], v[80:81], v[104:105], v[76:77] op_sel:[0,0,1] op_sel_hi:[1,1,0] neg_lo:[0,0,1] neg_hi:[0,0,1]
	v_pk_fma_f32 v[76:77], v[80:81], v[104:105], v[76:77] op_sel:[0,0,1] op_sel_hi:[1,0,0]
	v_pk_add_f32 v[74:75], v[74:75], v[90:91]
	s_waitcnt vmcnt(5)
	v_mov_b32_e32 v76, v107
	v_pk_add_f32 v[74:75], v[74:75], v[88:89]
	v_mov_b32_e32 v79, v77
	s_waitcnt lgkmcnt(1)
	v_pk_mul_f32 v[76:77], v[82:83], v[76:77] op_sel_hi:[1,0]
	v_pk_add_f32 v[74:75], v[74:75], v[78:79]
	s_waitcnt vmcnt(4)
	v_pk_fma_f32 v[78:79], v[82:83], v[106:107], v[76:77] op_sel:[0,0,1] op_sel_hi:[1,1,0] neg_lo:[0,0,1] neg_hi:[0,0,1]
	v_pk_fma_f32 v[76:77], v[82:83], v[106:107], v[76:77] op_sel:[0,0,1] op_sel_hi:[1,0,0]
	s_waitcnt vmcnt(3)
	v_mov_b32_e32 v76, v109
	v_mov_b32_e32 v79, v77
	v_pk_mul_f32 v[76:77], v[84:85], v[76:77] op_sel_hi:[1,0]
	v_pk_add_f32 v[74:75], v[74:75], v[78:79]
	s_waitcnt vmcnt(2)
	v_pk_fma_f32 v[78:79], v[84:85], v[108:109], v[76:77] op_sel:[0,0,1] op_sel_hi:[1,1,0] neg_lo:[0,0,1] neg_hi:[0,0,1]
	v_pk_fma_f32 v[76:77], v[84:85], v[108:109], v[76:77] op_sel:[0,0,1] op_sel_hi:[1,0,0]
	s_waitcnt vmcnt(1)
	v_mov_b32_e32 v76, v111
	v_mov_b32_e32 v79, v77
	s_waitcnt lgkmcnt(0)
	v_pk_mul_f32 v[76:77], v[86:87], v[76:77] op_sel_hi:[1,0]
	v_pk_add_f32 v[74:75], v[74:75], v[78:79]
	s_waitcnt vmcnt(0)
	v_pk_fma_f32 v[78:79], v[86:87], v[110:111], v[76:77] op_sel:[0,0,1] op_sel_hi:[1,1,0] neg_lo:[0,0,1] neg_hi:[0,0,1]
	v_pk_fma_f32 v[76:77], v[86:87], v[110:111], v[76:77] op_sel:[0,0,1] op_sel_hi:[1,0,0]
	v_mov_b32_e32 v79, v77
	v_pk_add_f32 v[74:75], v[74:75], v[78:79]
	v_pk_add_f32 v[70:71], v[70:71], v[74:75] neg_lo:[0,1] neg_hi:[0,1]
	buffer_store_dword v71, off, s[0:3], 0 offset:148
	buffer_store_dword v70, off, s[0:3], 0 offset:144
	s_and_saveexec_b64 s[4:5], vcc
	s_cbranch_execz .LBB33_183
; %bb.182:
	buffer_load_dword v70, off, s[0:3], 0 offset:136
	buffer_load_dword v71, off, s[0:3], 0 offset:140
	s_waitcnt vmcnt(0)
	ds_write_b64 v1, v[70:71]
	buffer_store_dword v72, off, s[0:3], 0 offset:136
	buffer_store_dword v72, off, s[0:3], 0 offset:140
.LBB33_183:
	s_or_b64 exec, exec, s[4:5]
	s_waitcnt lgkmcnt(0)
	; wave barrier
	s_waitcnt lgkmcnt(0)
	buffer_load_dword v120, off, s[0:3], 0 offset:148
	buffer_load_dword v122, off, s[0:3], 0 offset:156
	;; [unrolled: 1-line block ×32, first 2 shown]
	ds_read_b128 v[74:77], v72 offset:416
	ds_read_b128 v[78:81], v72 offset:432
	ds_read_b128 v[82:85], v72 offset:448
	ds_read_b128 v[86:89], v72 offset:464
	buffer_load_dword v119, off, s[0:3], 0 offset:268
	buffer_load_dword v118, off, s[0:3], 0 offset:264
	ds_read_b128 v[90:93], v72 offset:480
	ds_read_b128 v[94:97], v72 offset:496
	;; [unrolled: 1-line block ×4, first 2 shown]
	v_cmp_lt_u32_e32 vcc, 16, v0
	s_waitcnt vmcnt(33) lgkmcnt(7)
	v_mul_f32_e32 v138, v74, v120
	v_mul_f32_e32 v120, v75, v120
	s_waitcnt vmcnt(32)
	v_mul_f32_e32 v139, v76, v122
	s_waitcnt vmcnt(30) lgkmcnt(6)
	v_mul_f32_e32 v141, v80, v125
	v_mul_f32_e32 v122, v77, v122
	;; [unrolled: 1-line block ×5, first 2 shown]
	s_waitcnt vmcnt(25)
	v_fmac_f32_e32 v138, v75, v130
	v_fma_f32 v74, v74, v130, -v120
	s_waitcnt vmcnt(24)
	v_fmac_f32_e32 v139, v77, v131
	v_fma_f32 v75, v76, v131, -v122
	s_waitcnt vmcnt(22)
	v_fma_f32 v77, v80, v133, -v125
	v_add_f32_e32 v80, 0, v138
	v_add_f32_e32 v74, 0, v74
	v_fmac_f32_e32 v140, v79, v132
	v_fma_f32 v76, v78, v132, -v124
	v_add_f32_e32 v80, v80, v139
	v_add_f32_e32 v74, v74, v75
	s_waitcnt lgkmcnt(5)
	v_mul_f32_e32 v142, v82, v126
	v_mul_f32_e32 v126, v83, v126
	v_fmac_f32_e32 v141, v81, v133
	v_add_f32_e32 v75, v80, v140
	v_add_f32_e32 v74, v74, v76
	v_mul_f32_e32 v143, v84, v127
	v_mul_f32_e32 v127, v85, v127
	s_waitcnt vmcnt(21)
	v_fmac_f32_e32 v142, v83, v134
	v_fma_f32 v78, v82, v134, -v126
	v_add_f32_e32 v75, v75, v141
	v_add_f32_e32 v74, v74, v77
	s_waitcnt vmcnt(17)
	v_mov_b32_e32 v76, v103
	s_waitcnt lgkmcnt(4)
	v_mul_f32_e32 v121, v86, v128
	v_mul_f32_e32 v128, v87, v128
	v_fmac_f32_e32 v143, v85, v135
	v_fma_f32 v79, v84, v135, -v127
	v_add_f32_e32 v75, v75, v142
	v_add_f32_e32 v74, v74, v78
	s_waitcnt lgkmcnt(3)
	v_pk_mul_f32 v[76:77], v[90:91], v[76:77] op_sel_hi:[1,0]
	v_mul_f32_e32 v123, v88, v129
	v_mul_f32_e32 v129, v89, v129
	v_fmac_f32_e32 v121, v87, v136
	v_fma_f32 v120, v86, v136, -v128
	v_add_f32_e32 v75, v75, v143
	v_add_f32_e32 v74, v74, v79
	s_waitcnt vmcnt(14)
	v_pk_fma_f32 v[78:79], v[90:91], v[102:103], v[76:77] op_sel:[0,0,1] op_sel_hi:[1,1,0] neg_lo:[0,0,1] neg_hi:[0,0,1]
	v_pk_fma_f32 v[76:77], v[90:91], v[102:103], v[76:77] op_sel:[0,0,1] op_sel_hi:[1,0,0]
	v_fmac_f32_e32 v123, v89, v137
	v_fma_f32 v122, v88, v137, -v129
	v_pk_add_f32 v[74:75], v[74:75], v[120:121]
	s_waitcnt vmcnt(13)
	v_mov_b32_e32 v76, v107
	v_pk_add_f32 v[74:75], v[74:75], v[122:123]
	v_mov_b32_e32 v79, v77
	v_pk_mul_f32 v[76:77], v[92:93], v[76:77] op_sel_hi:[1,0]
	v_pk_add_f32 v[74:75], v[74:75], v[78:79]
	v_pk_fma_f32 v[78:79], v[92:93], v[106:107], v[76:77] op_sel:[0,0,1] op_sel_hi:[1,1,0] neg_lo:[0,0,1] neg_hi:[0,0,1]
	v_pk_fma_f32 v[76:77], v[92:93], v[106:107], v[76:77] op_sel:[0,0,1] op_sel_hi:[1,0,0]
	s_waitcnt vmcnt(12)
	v_mov_b32_e32 v76, v105
	v_mov_b32_e32 v79, v77
	s_waitcnt lgkmcnt(2)
	v_pk_mul_f32 v[76:77], v[94:95], v[76:77] op_sel_hi:[1,0]
	v_pk_add_f32 v[74:75], v[74:75], v[78:79]
	v_pk_fma_f32 v[78:79], v[94:95], v[104:105], v[76:77] op_sel:[0,0,1] op_sel_hi:[1,1,0] neg_lo:[0,0,1] neg_hi:[0,0,1]
	v_pk_fma_f32 v[76:77], v[94:95], v[104:105], v[76:77] op_sel:[0,0,1] op_sel_hi:[1,0,0]
	s_waitcnt vmcnt(11)
	v_mov_b32_e32 v76, v109
	v_mov_b32_e32 v79, v77
	v_pk_mul_f32 v[76:77], v[96:97], v[76:77] op_sel_hi:[1,0]
	v_pk_add_f32 v[74:75], v[74:75], v[78:79]
	s_waitcnt vmcnt(5)
	v_pk_fma_f32 v[78:79], v[96:97], v[108:109], v[76:77] op_sel:[0,0,1] op_sel_hi:[1,1,0] neg_lo:[0,0,1] neg_hi:[0,0,1]
	v_pk_fma_f32 v[76:77], v[96:97], v[108:109], v[76:77] op_sel:[0,0,1] op_sel_hi:[1,0,0]
	v_mov_b32_e32 v76, v115
	v_mov_b32_e32 v79, v77
	s_waitcnt lgkmcnt(1)
	v_pk_mul_f32 v[76:77], v[98:99], v[76:77] op_sel_hi:[1,0]
	v_pk_add_f32 v[74:75], v[74:75], v[78:79]
	v_pk_fma_f32 v[78:79], v[98:99], v[114:115], v[76:77] op_sel:[0,0,1] op_sel_hi:[1,1,0] neg_lo:[0,0,1] neg_hi:[0,0,1]
	v_pk_fma_f32 v[76:77], v[98:99], v[114:115], v[76:77] op_sel:[0,0,1] op_sel_hi:[1,0,0]
	v_mov_b32_e32 v76, v113
	v_mov_b32_e32 v79, v77
	v_pk_mul_f32 v[76:77], v[100:101], v[76:77] op_sel_hi:[1,0]
	v_pk_add_f32 v[74:75], v[74:75], v[78:79]
	v_pk_fma_f32 v[78:79], v[100:101], v[112:113], v[76:77] op_sel:[0,0,1] op_sel_hi:[1,1,0] neg_lo:[0,0,1] neg_hi:[0,0,1]
	v_pk_fma_f32 v[76:77], v[100:101], v[112:113], v[76:77] op_sel:[0,0,1] op_sel_hi:[1,0,0]
	s_waitcnt vmcnt(2)
	v_mov_b32_e32 v76, v111
	v_mov_b32_e32 v79, v77
	s_waitcnt lgkmcnt(0)
	v_pk_mul_f32 v[76:77], v[70:71], v[76:77] op_sel_hi:[1,0]
	v_pk_add_f32 v[74:75], v[74:75], v[78:79]
	v_pk_fma_f32 v[78:79], v[70:71], v[110:111], v[76:77] op_sel:[0,0,1] op_sel_hi:[1,1,0] neg_lo:[0,0,1] neg_hi:[0,0,1]
	v_pk_fma_f32 v[70:71], v[70:71], v[110:111], v[76:77] op_sel:[0,0,1] op_sel_hi:[1,0,0]
	v_mov_b32_e32 v79, v71
	v_pk_add_f32 v[70:71], v[74:75], v[78:79]
	s_waitcnt vmcnt(1)
	v_mov_b32_e32 v74, v119
	v_pk_mul_f32 v[74:75], v[72:73], v[74:75] op_sel_hi:[1,0]
	s_waitcnt vmcnt(0)
	v_pk_fma_f32 v[76:77], v[72:73], v[118:119], v[74:75] op_sel:[0,0,1] op_sel_hi:[1,1,0] neg_lo:[0,0,1] neg_hi:[0,0,1]
	v_pk_fma_f32 v[72:73], v[72:73], v[118:119], v[74:75] op_sel:[0,0,1] op_sel_hi:[1,0,0]
	v_mov_b32_e32 v77, v73
	v_pk_add_f32 v[70:71], v[70:71], v[76:77]
	v_pk_add_f32 v[70:71], v[116:117], v[70:71] neg_lo:[0,1] neg_hi:[0,1]
	buffer_store_dword v71, off, s[0:3], 0 offset:140
	buffer_store_dword v70, off, s[0:3], 0 offset:136
	s_and_saveexec_b64 s[4:5], vcc
	s_cbranch_execz .LBB33_185
; %bb.184:
	buffer_load_dword v70, off, s[0:3], 0 offset:128
	buffer_load_dword v71, off, s[0:3], 0 offset:132
	v_mov_b32_e32 v72, 0
	buffer_store_dword v72, off, s[0:3], 0 offset:128
	buffer_store_dword v72, off, s[0:3], 0 offset:132
	s_waitcnt vmcnt(2)
	ds_write_b64 v1, v[70:71]
.LBB33_185:
	s_or_b64 exec, exec, s[4:5]
	s_waitcnt lgkmcnt(0)
	; wave barrier
	s_waitcnt lgkmcnt(0)
	buffer_load_dword v71, off, s[0:3], 0 offset:140
	buffer_load_dword v114, off, s[0:3], 0 offset:148
	;; [unrolled: 1-line block ×36, first 2 shown]
	v_mov_b32_e32 v70, 0
	ds_read2_b64 v[72:75], v70 offset0:51 offset1:52
	ds_read2_b64 v[76:79], v70 offset0:53 offset1:54
	;; [unrolled: 1-line block ×6, first 2 shown]
	v_cmp_lt_u32_e32 vcc, 15, v0
	s_waitcnt vmcnt(35) lgkmcnt(5)
	v_mul_f32_e32 v133, v72, v71
	s_waitcnt vmcnt(34)
	v_mul_f32_e32 v134, v74, v114
	s_waitcnt vmcnt(33) lgkmcnt(4)
	v_mul_f32_e32 v135, v76, v116
	v_mul_f32_e32 v71, v73, v71
	;; [unrolled: 1-line block ×4, first 2 shown]
	s_waitcnt vmcnt(32)
	v_mul_f32_e32 v136, v78, v118
	s_waitcnt vmcnt(31) lgkmcnt(3)
	v_mul_f32_e32 v137, v80, v119
	v_mul_f32_e32 v118, v79, v118
	s_waitcnt vmcnt(26)
	v_fmac_f32_e32 v133, v73, v124
	s_waitcnt vmcnt(25)
	v_fmac_f32_e32 v134, v75, v125
	;; [unrolled: 2-line block ×3, first 2 shown]
	v_fma_f32 v71, v72, v124, -v71
	v_add_f32_e32 v77, 0, v133
	v_fma_f32 v72, v74, v125, -v114
	v_add_f32_e32 v71, 0, v71
	v_add_f32_e32 v77, v77, v134
	s_waitcnt vmcnt(23)
	v_fmac_f32_e32 v136, v79, v127
	v_fma_f32 v73, v76, v126, -v116
	v_add_f32_e32 v71, v71, v72
	v_add_f32_e32 v72, v77, v135
	v_mul_f32_e32 v138, v82, v120
	v_mul_f32_e32 v119, v81, v119
	s_waitcnt vmcnt(22)
	v_fmac_f32_e32 v137, v81, v128
	v_fma_f32 v74, v78, v127, -v118
	v_add_f32_e32 v71, v71, v73
	v_add_f32_e32 v72, v72, v136
	s_waitcnt lgkmcnt(2)
	v_mul_f32_e32 v139, v84, v121
	v_mul_f32_e32 v120, v83, v120
	s_waitcnt vmcnt(21)
	v_fmac_f32_e32 v138, v83, v129
	v_fma_f32 v75, v80, v128, -v119
	v_add_f32_e32 v71, v71, v74
	v_add_f32_e32 v72, v72, v137
	v_mul_f32_e32 v121, v85, v121
	s_waitcnt vmcnt(20)
	v_fmac_f32_e32 v139, v85, v130
	v_fma_f32 v76, v82, v129, -v120
	v_add_f32_e32 v71, v71, v75
	v_add_f32_e32 v72, v72, v138
	;; [unrolled: 1-line block ×4, first 2 shown]
	v_fma_f32 v72, v84, v130, -v121
	s_waitcnt vmcnt(17)
	v_mov_b32_e32 v84, v97
	v_mul_f32_e32 v115, v86, v122
	v_add_f32_e32 v80, v71, v72
	v_mul_f32_e32 v71, v87, v122
	s_waitcnt lgkmcnt(1)
	v_pk_mul_f32 v[84:85], v[90:91], v[84:85] op_sel_hi:[1,0]
	v_mul_f32_e32 v117, v88, v123
	v_fmac_f32_e32 v115, v87, v131
	v_fma_f32 v114, v86, v131, -v71
	v_mul_f32_e32 v71, v89, v123
	s_waitcnt vmcnt(15)
	v_pk_fma_f32 v[86:87], v[90:91], v[96:97], v[84:85] op_sel:[0,0,1] op_sel_hi:[1,1,0] neg_lo:[0,0,1] neg_hi:[0,0,1]
	v_pk_fma_f32 v[84:85], v[90:91], v[96:97], v[84:85] op_sel:[0,0,1] op_sel_hi:[1,0,0]
	v_fmac_f32_e32 v117, v89, v132
	v_fma_f32 v116, v88, v132, -v71
	v_pk_add_f32 v[80:81], v[80:81], v[114:115]
	s_waitcnt vmcnt(12)
	v_mov_b32_e32 v84, v99
	v_pk_add_f32 v[80:81], v[80:81], v[116:117]
	v_mov_b32_e32 v87, v85
	s_waitcnt lgkmcnt(0)
	v_pk_mul_f32 v[84:85], v[92:93], v[84:85] op_sel_hi:[1,0]
	v_pk_add_f32 v[80:81], v[80:81], v[86:87]
	v_pk_fma_f32 v[86:87], v[92:93], v[98:99], v[84:85] op_sel:[0,0,1] op_sel_hi:[1,1,0] neg_lo:[0,0,1] neg_hi:[0,0,1]
	v_pk_fma_f32 v[84:85], v[92:93], v[98:99], v[84:85] op_sel:[0,0,1] op_sel_hi:[1,0,0]
	s_waitcnt vmcnt(11)
	v_mov_b32_e32 v84, v103
	ds_read2_b64 v[72:75], v70 offset0:63 offset1:64
	ds_read2_b64 v[76:79], v70 offset0:65 offset1:66
	ds_read_b64 v[82:83], v70 offset:536
	v_mov_b32_e32 v87, v85
	v_pk_mul_f32 v[84:85], v[94:95], v[84:85] op_sel_hi:[1,0]
	v_pk_add_f32 v[80:81], v[80:81], v[86:87]
	s_waitcnt vmcnt(4)
	v_pk_fma_f32 v[86:87], v[94:95], v[102:103], v[84:85] op_sel:[0,0,1] op_sel_hi:[1,1,0] neg_lo:[0,0,1] neg_hi:[0,0,1]
	v_pk_fma_f32 v[84:85], v[94:95], v[102:103], v[84:85] op_sel:[0,0,1] op_sel_hi:[1,0,0]
	v_mov_b32_e32 v84, v109
	v_mov_b32_e32 v87, v85
	s_waitcnt lgkmcnt(2)
	v_pk_mul_f32 v[84:85], v[72:73], v[84:85] op_sel_hi:[1,0]
	v_pk_add_f32 v[80:81], v[80:81], v[86:87]
	v_pk_fma_f32 v[86:87], v[72:73], v[108:109], v[84:85] op_sel:[0,0,1] op_sel_hi:[1,1,0] neg_lo:[0,0,1] neg_hi:[0,0,1]
	v_pk_fma_f32 v[72:73], v[72:73], v[108:109], v[84:85] op_sel:[0,0,1] op_sel_hi:[1,0,0]
	v_mov_b32_e32 v87, v73
	v_pk_add_f32 v[72:73], v[80:81], v[86:87]
	v_mov_b32_e32 v80, v107
	v_pk_mul_f32 v[80:81], v[74:75], v[80:81] op_sel_hi:[1,0]
	v_pk_fma_f32 v[84:85], v[74:75], v[106:107], v[80:81] op_sel:[0,0,1] op_sel_hi:[1,1,0] neg_lo:[0,0,1] neg_hi:[0,0,1]
	v_pk_fma_f32 v[74:75], v[74:75], v[106:107], v[80:81] op_sel:[0,0,1] op_sel_hi:[1,0,0]
	v_mov_b32_e32 v74, v105
	v_mov_b32_e32 v85, v75
	s_waitcnt lgkmcnt(1)
	v_pk_mul_f32 v[74:75], v[76:77], v[74:75] op_sel_hi:[1,0]
	v_pk_fma_f32 v[80:81], v[76:77], v[104:105], v[74:75] op_sel:[0,0,1] op_sel_hi:[1,1,0] neg_lo:[0,0,1] neg_hi:[0,0,1]
	v_pk_fma_f32 v[74:75], v[76:77], v[104:105], v[74:75] op_sel:[0,0,1] op_sel_hi:[1,0,0]
	s_waitcnt vmcnt(1)
	v_mov_b32_e32 v74, v113
	v_mov_b32_e32 v81, v75
	v_pk_mul_f32 v[74:75], v[78:79], v[74:75] op_sel_hi:[1,0]
	s_waitcnt vmcnt(0)
	v_pk_fma_f32 v[76:77], v[78:79], v[112:113], v[74:75] op_sel:[0,0,1] op_sel_hi:[1,1,0] neg_lo:[0,0,1] neg_hi:[0,0,1]
	v_pk_fma_f32 v[74:75], v[78:79], v[112:113], v[74:75] op_sel:[0,0,1] op_sel_hi:[1,0,0]
	v_pk_add_f32 v[72:73], v[72:73], v[84:85]
	v_mov_b32_e32 v74, v111
	v_pk_add_f32 v[72:73], v[72:73], v[80:81]
	v_mov_b32_e32 v77, v75
	s_waitcnt lgkmcnt(0)
	v_pk_mul_f32 v[74:75], v[82:83], v[74:75] op_sel_hi:[1,0]
	v_pk_add_f32 v[72:73], v[72:73], v[76:77]
	v_pk_fma_f32 v[76:77], v[82:83], v[110:111], v[74:75] op_sel:[0,0,1] op_sel_hi:[1,1,0] neg_lo:[0,0,1] neg_hi:[0,0,1]
	v_pk_fma_f32 v[74:75], v[82:83], v[110:111], v[74:75] op_sel:[0,0,1] op_sel_hi:[1,0,0]
	v_mov_b32_e32 v77, v75
	v_pk_add_f32 v[72:73], v[72:73], v[76:77]
	v_pk_add_f32 v[72:73], v[100:101], v[72:73] neg_lo:[0,1] neg_hi:[0,1]
	buffer_store_dword v73, off, s[0:3], 0 offset:132
	buffer_store_dword v72, off, s[0:3], 0 offset:128
	s_and_saveexec_b64 s[4:5], vcc
	s_cbranch_execz .LBB33_187
; %bb.186:
	buffer_load_dword v72, off, s[0:3], 0 offset:120
	buffer_load_dword v73, off, s[0:3], 0 offset:124
	s_waitcnt vmcnt(0)
	ds_write_b64 v1, v[72:73]
	buffer_store_dword v70, off, s[0:3], 0 offset:120
	buffer_store_dword v70, off, s[0:3], 0 offset:124
.LBB33_187:
	s_or_b64 exec, exec, s[4:5]
	s_waitcnt lgkmcnt(0)
	; wave barrier
	s_waitcnt lgkmcnt(0)
	buffer_load_dword v71, off, s[0:3], 0 offset:132
	buffer_load_dword v114, off, s[0:3], 0 offset:140
	;; [unrolled: 1-line block ×22, first 2 shown]
	ds_read_b128 v[72:75], v70 offset:400
	ds_read_b128 v[76:79], v70 offset:416
	buffer_load_dword v99, off, s[0:3], 0 offset:212
	buffer_load_dword v98, off, s[0:3], 0 offset:208
	;; [unrolled: 1-line block ×10, first 2 shown]
	ds_read_b128 v[80:83], v70 offset:432
	ds_read_b128 v[84:87], v70 offset:448
	ds_read_b128 v[88:91], v70 offset:464
	ds_read_b128 v[92:95], v70 offset:480
	buffer_load_dword v109, off, s[0:3], 0 offset:268
	buffer_load_dword v108, off, s[0:3], 0 offset:264
	;; [unrolled: 1-line block ×6, first 2 shown]
	v_cmp_lt_u32_e32 vcc, 14, v0
	s_waitcnt vmcnt(37) lgkmcnt(5)
	v_mul_f32_e32 v135, v72, v71
	s_waitcnt vmcnt(36)
	v_mul_f32_e32 v136, v74, v114
	s_waitcnt vmcnt(35) lgkmcnt(4)
	v_mul_f32_e32 v137, v76, v116
	v_mul_f32_e32 v71, v73, v71
	v_mul_f32_e32 v116, v77, v116
	v_mul_f32_e32 v114, v75, v114
	s_waitcnt vmcnt(34)
	v_mul_f32_e32 v138, v78, v118
	s_waitcnt vmcnt(33) lgkmcnt(3)
	v_mul_f32_e32 v139, v80, v119
	s_waitcnt vmcnt(32)
	v_mul_f32_e32 v140, v82, v120
	s_waitcnt vmcnt(31) lgkmcnt(2)
	v_mul_f32_e32 v141, v84, v121
	s_waitcnt vmcnt(27)
	v_fmac_f32_e32 v135, v73, v125
	s_waitcnt vmcnt(26)
	v_fmac_f32_e32 v136, v75, v126
	v_fma_f32 v71, v72, v125, -v71
	s_waitcnt vmcnt(25)
	v_fma_f32 v73, v76, v127, -v116
	v_add_f32_e32 v76, 0, v135
	v_fmac_f32_e32 v137, v77, v127
	v_fma_f32 v72, v74, v126, -v114
	v_add_f32_e32 v71, 0, v71
	v_add_f32_e32 v76, v76, v136
	s_waitcnt vmcnt(24)
	v_fmac_f32_e32 v138, v79, v128
	v_add_f32_e32 v71, v71, v72
	v_add_f32_e32 v72, v76, v137
	s_waitcnt vmcnt(23)
	v_fmac_f32_e32 v139, v81, v129
	v_add_f32_e32 v72, v72, v138
	v_mul_f32_e32 v118, v79, v118
	s_waitcnt vmcnt(22)
	v_fmac_f32_e32 v140, v83, v130
	v_add_f32_e32 v72, v72, v139
	v_mul_f32_e32 v142, v86, v122
	v_mul_f32_e32 v119, v81, v119
	s_waitcnt vmcnt(21)
	v_fmac_f32_e32 v141, v85, v131
	v_fma_f32 v74, v78, v128, -v118
	v_add_f32_e32 v71, v71, v73
	v_add_f32_e32 v72, v72, v140
	v_mul_f32_e32 v120, v83, v120
	s_waitcnt vmcnt(20)
	v_fmac_f32_e32 v142, v87, v132
	v_fma_f32 v75, v80, v129, -v119
	v_add_f32_e32 v71, v71, v74
	v_add_f32_e32 v72, v72, v141
	v_add_f32_e32 v71, v71, v75
	v_add_f32_e32 v119, v72, v142
	v_fma_f32 v72, v82, v130, -v120
	v_add_f32_e32 v71, v71, v72
	v_mul_f32_e32 v72, v85, v121
	v_fma_f32 v72, v84, v131, -v72
	v_add_f32_e32 v71, v71, v72
	v_mul_f32_e32 v72, v87, v122
	v_fma_f32 v72, v86, v132, -v72
	s_waitcnt vmcnt(15)
	v_mov_b32_e32 v84, v99
	s_waitcnt lgkmcnt(1)
	v_mul_f32_e32 v115, v88, v123
	v_add_f32_e32 v118, v71, v72
	v_mul_f32_e32 v71, v89, v123
	s_waitcnt lgkmcnt(0)
	v_pk_mul_f32 v[84:85], v[92:93], v[84:85] op_sel_hi:[1,0]
	v_mul_f32_e32 v117, v90, v124
	v_fmac_f32_e32 v115, v89, v133
	v_fma_f32 v114, v88, v133, -v71
	v_mul_f32_e32 v71, v91, v124
	s_waitcnt vmcnt(14)
	v_pk_fma_f32 v[86:87], v[92:93], v[98:99], v[84:85] op_sel:[0,0,1] op_sel_hi:[1,1,0] neg_lo:[0,0,1] neg_hi:[0,0,1]
	v_pk_fma_f32 v[84:85], v[92:93], v[98:99], v[84:85] op_sel:[0,0,1] op_sel_hi:[1,0,0]
	v_fmac_f32_e32 v117, v91, v134
	v_fma_f32 v116, v90, v134, -v71
	ds_read_b128 v[72:75], v70 offset:496
	ds_read_b128 v[76:79], v70 offset:512
	;; [unrolled: 1-line block ×3, first 2 shown]
	v_pk_add_f32 v[70:71], v[118:119], v[114:115]
	s_waitcnt vmcnt(13)
	v_mov_b32_e32 v84, v101
	v_pk_add_f32 v[70:71], v[70:71], v[116:117]
	v_mov_b32_e32 v87, v85
	v_pk_mul_f32 v[84:85], v[94:95], v[84:85] op_sel_hi:[1,0]
	v_pk_add_f32 v[70:71], v[70:71], v[86:87]
	s_waitcnt vmcnt(6)
	v_pk_fma_f32 v[86:87], v[94:95], v[100:101], v[84:85] op_sel:[0,0,1] op_sel_hi:[1,1,0] neg_lo:[0,0,1] neg_hi:[0,0,1]
	v_pk_fma_f32 v[84:85], v[94:95], v[100:101], v[84:85] op_sel:[0,0,1] op_sel_hi:[1,0,0]
	v_mov_b32_e32 v84, v107
	v_mov_b32_e32 v87, v85
	s_waitcnt lgkmcnt(2)
	v_pk_mul_f32 v[84:85], v[72:73], v[84:85] op_sel_hi:[1,0]
	v_pk_add_f32 v[70:71], v[70:71], v[86:87]
	v_pk_fma_f32 v[86:87], v[72:73], v[106:107], v[84:85] op_sel:[0,0,1] op_sel_hi:[1,1,0] neg_lo:[0,0,1] neg_hi:[0,0,1]
	v_pk_fma_f32 v[72:73], v[72:73], v[106:107], v[84:85] op_sel:[0,0,1] op_sel_hi:[1,0,0]
	v_mov_b32_e32 v72, v105
	v_mov_b32_e32 v87, v73
	v_pk_mul_f32 v[72:73], v[74:75], v[72:73] op_sel_hi:[1,0]
	v_pk_fma_f32 v[84:85], v[74:75], v[104:105], v[72:73] op_sel:[0,0,1] op_sel_hi:[1,1,0] neg_lo:[0,0,1] neg_hi:[0,0,1]
	v_pk_fma_f32 v[72:73], v[74:75], v[104:105], v[72:73] op_sel:[0,0,1] op_sel_hi:[1,0,0]
	v_mov_b32_e32 v72, v103
	v_mov_b32_e32 v85, v73
	s_waitcnt lgkmcnt(1)
	v_pk_mul_f32 v[72:73], v[76:77], v[72:73] op_sel_hi:[1,0]
	v_pk_fma_f32 v[74:75], v[76:77], v[102:103], v[72:73] op_sel:[0,0,1] op_sel_hi:[1,1,0] neg_lo:[0,0,1] neg_hi:[0,0,1]
	v_pk_fma_f32 v[72:73], v[76:77], v[102:103], v[72:73] op_sel:[0,0,1] op_sel_hi:[1,0,0]
	v_pk_add_f32 v[70:71], v[70:71], v[86:87]
	s_waitcnt vmcnt(1)
	v_mov_b32_e32 v72, v113
	v_pk_add_f32 v[70:71], v[70:71], v[84:85]
	v_mov_b32_e32 v75, v73
	v_pk_mul_f32 v[72:73], v[78:79], v[72:73] op_sel_hi:[1,0]
	v_pk_add_f32 v[70:71], v[70:71], v[74:75]
	s_waitcnt vmcnt(0)
	v_pk_fma_f32 v[74:75], v[78:79], v[112:113], v[72:73] op_sel:[0,0,1] op_sel_hi:[1,1,0] neg_lo:[0,0,1] neg_hi:[0,0,1]
	v_pk_fma_f32 v[72:73], v[78:79], v[112:113], v[72:73] op_sel:[0,0,1] op_sel_hi:[1,0,0]
	v_mov_b32_e32 v72, v111
	v_mov_b32_e32 v75, v73
	s_waitcnt lgkmcnt(0)
	v_pk_mul_f32 v[72:73], v[80:81], v[72:73] op_sel_hi:[1,0]
	v_pk_add_f32 v[70:71], v[70:71], v[74:75]
	v_pk_fma_f32 v[74:75], v[80:81], v[110:111], v[72:73] op_sel:[0,0,1] op_sel_hi:[1,1,0] neg_lo:[0,0,1] neg_hi:[0,0,1]
	v_pk_fma_f32 v[72:73], v[80:81], v[110:111], v[72:73] op_sel:[0,0,1] op_sel_hi:[1,0,0]
	v_mov_b32_e32 v72, v109
	v_mov_b32_e32 v75, v73
	v_pk_mul_f32 v[72:73], v[82:83], v[72:73] op_sel_hi:[1,0]
	v_pk_add_f32 v[70:71], v[70:71], v[74:75]
	v_pk_fma_f32 v[74:75], v[82:83], v[108:109], v[72:73] op_sel:[0,0,1] op_sel_hi:[1,1,0] neg_lo:[0,0,1] neg_hi:[0,0,1]
	v_pk_fma_f32 v[72:73], v[82:83], v[108:109], v[72:73] op_sel:[0,0,1] op_sel_hi:[1,0,0]
	v_mov_b32_e32 v75, v73
	v_pk_add_f32 v[70:71], v[70:71], v[74:75]
	v_pk_add_f32 v[70:71], v[96:97], v[70:71] neg_lo:[0,1] neg_hi:[0,1]
	buffer_store_dword v71, off, s[0:3], 0 offset:124
	buffer_store_dword v70, off, s[0:3], 0 offset:120
	s_and_saveexec_b64 s[4:5], vcc
	s_cbranch_execz .LBB33_189
; %bb.188:
	buffer_load_dword v70, off, s[0:3], 0 offset:112
	buffer_load_dword v71, off, s[0:3], 0 offset:116
	v_mov_b32_e32 v72, 0
	buffer_store_dword v72, off, s[0:3], 0 offset:112
	buffer_store_dword v72, off, s[0:3], 0 offset:116
	s_waitcnt vmcnt(2)
	ds_write_b64 v1, v[70:71]
.LBB33_189:
	s_or_b64 exec, exec, s[4:5]
	s_waitcnt lgkmcnt(0)
	; wave barrier
	s_waitcnt lgkmcnt(0)
	buffer_load_dword v71, off, s[0:3], 0 offset:124
	buffer_load_dword v114, off, s[0:3], 0 offset:132
	;; [unrolled: 1-line block ×40, first 2 shown]
	v_mov_b32_e32 v70, 0
	ds_read2_b64 v[72:75], v70 offset0:49 offset1:50
	ds_read2_b64 v[76:79], v70 offset0:51 offset1:52
	;; [unrolled: 1-line block ×6, first 2 shown]
	v_cmp_lt_u32_e32 vcc, 13, v0
	s_waitcnt vmcnt(39) lgkmcnt(5)
	v_mul_f32_e32 v137, v72, v71
	s_waitcnt vmcnt(38)
	v_mul_f32_e32 v138, v74, v114
	v_mul_f32_e32 v71, v73, v71
	s_waitcnt vmcnt(37) lgkmcnt(4)
	v_mul_f32_e32 v139, v76, v116
	v_mul_f32_e32 v114, v75, v114
	s_waitcnt vmcnt(36)
	v_mul_f32_e32 v140, v78, v118
	s_waitcnt vmcnt(35) lgkmcnt(3)
	v_mul_f32_e32 v141, v80, v120
	s_waitcnt vmcnt(34)
	v_mul_f32_e32 v142, v82, v121
	s_waitcnt vmcnt(33) lgkmcnt(2)
	v_mul_f32_e32 v143, v84, v122
	s_waitcnt vmcnt(32)
	v_mul_f32_e32 v144, v86, v123
	s_waitcnt vmcnt(31) lgkmcnt(1)
	v_mul_f32_e32 v145, v88, v124
	s_waitcnt vmcnt(28)
	v_fmac_f32_e32 v137, v73, v119
	s_waitcnt vmcnt(27)
	v_fmac_f32_e32 v138, v75, v127
	v_fma_f32 v71, v72, v119, -v71
	v_add_f32_e32 v75, 0, v137
	s_waitcnt vmcnt(26)
	v_fmac_f32_e32 v139, v77, v128
	v_fma_f32 v72, v74, v127, -v114
	v_add_f32_e32 v71, 0, v71
	v_add_f32_e32 v75, v75, v138
	s_waitcnt vmcnt(25)
	v_fmac_f32_e32 v140, v79, v129
	v_add_f32_e32 v71, v71, v72
	v_add_f32_e32 v72, v75, v139
	s_waitcnt vmcnt(24)
	v_fmac_f32_e32 v141, v81, v130
	v_add_f32_e32 v72, v72, v140
	s_waitcnt vmcnt(23)
	v_fmac_f32_e32 v142, v83, v131
	;; [unrolled: 3-line block ×3, first 2 shown]
	v_add_f32_e32 v72, v72, v142
	v_mul_f32_e32 v116, v77, v116
	s_waitcnt vmcnt(21)
	v_fmac_f32_e32 v144, v87, v133
	v_add_f32_e32 v72, v72, v143
	v_mul_f32_e32 v118, v79, v118
	s_waitcnt vmcnt(20)
	v_fmac_f32_e32 v145, v89, v134
	v_fma_f32 v73, v76, v128, -v116
	v_add_f32_e32 v72, v72, v144
	v_fma_f32 v74, v78, v129, -v118
	v_add_f32_e32 v71, v71, v73
	v_add_f32_e32 v119, v72, v145
	v_mul_f32_e32 v72, v81, v120
	v_add_f32_e32 v71, v71, v74
	v_fma_f32 v72, v80, v130, -v72
	v_add_f32_e32 v71, v71, v72
	v_mul_f32_e32 v72, v83, v121
	v_fma_f32 v72, v82, v131, -v72
	v_add_f32_e32 v71, v71, v72
	v_mul_f32_e32 v72, v85, v122
	;; [unrolled: 3-line block ×4, first 2 shown]
	v_fma_f32 v72, v88, v134, -v72
	s_waitcnt vmcnt(9)
	v_mov_b32_e32 v88, v105
	v_mul_f32_e32 v115, v90, v125
	v_add_f32_e32 v118, v71, v72
	v_mul_f32_e32 v71, v91, v125
	s_waitcnt lgkmcnt(0)
	v_pk_mul_f32 v[88:89], v[94:95], v[88:89] op_sel_hi:[1,0]
	v_mul_f32_e32 v117, v92, v126
	v_fmac_f32_e32 v115, v91, v135
	v_fma_f32 v114, v90, v135, -v71
	v_mul_f32_e32 v71, v93, v126
	ds_read2_b64 v[72:75], v70 offset0:61 offset1:62
	ds_read2_b64 v[76:79], v70 offset0:63 offset1:64
	;; [unrolled: 1-line block ×3, first 2 shown]
	ds_read_b64 v[84:85], v70 offset:536
	s_waitcnt vmcnt(8)
	v_pk_fma_f32 v[90:91], v[94:95], v[104:105], v[88:89] op_sel:[0,0,1] op_sel_hi:[1,1,0] neg_lo:[0,0,1] neg_hi:[0,0,1]
	v_pk_fma_f32 v[88:89], v[94:95], v[104:105], v[88:89] op_sel:[0,0,1] op_sel_hi:[1,0,0]
	v_fmac_f32_e32 v117, v93, v136
	v_fma_f32 v116, v92, v136, -v71
	v_pk_add_f32 v[86:87], v[118:119], v[114:115]
	v_mov_b32_e32 v88, v103
	v_pk_add_f32 v[86:87], v[86:87], v[116:117]
	v_mov_b32_e32 v91, v89
	s_waitcnt lgkmcnt(3)
	v_pk_mul_f32 v[88:89], v[72:73], v[88:89] op_sel_hi:[1,0]
	v_pk_add_f32 v[86:87], v[86:87], v[90:91]
	v_pk_fma_f32 v[90:91], v[72:73], v[102:103], v[88:89] op_sel:[0,0,1] op_sel_hi:[1,1,0] neg_lo:[0,0,1] neg_hi:[0,0,1]
	v_pk_fma_f32 v[72:73], v[72:73], v[102:103], v[88:89] op_sel:[0,0,1] op_sel_hi:[1,0,0]
	v_mov_b32_e32 v91, v73
	v_pk_add_f32 v[72:73], v[86:87], v[90:91]
	v_mov_b32_e32 v86, v101
	v_pk_mul_f32 v[86:87], v[74:75], v[86:87] op_sel_hi:[1,0]
	v_pk_fma_f32 v[88:89], v[74:75], v[100:101], v[86:87] op_sel:[0,0,1] op_sel_hi:[1,1,0] neg_lo:[0,0,1] neg_hi:[0,0,1]
	v_pk_fma_f32 v[74:75], v[74:75], v[100:101], v[86:87] op_sel:[0,0,1] op_sel_hi:[1,0,0]
	v_mov_b32_e32 v74, v99
	v_mov_b32_e32 v89, v75
	s_waitcnt lgkmcnt(2)
	v_pk_mul_f32 v[74:75], v[76:77], v[74:75] op_sel_hi:[1,0]
	v_pk_fma_f32 v[86:87], v[76:77], v[98:99], v[74:75] op_sel:[0,0,1] op_sel_hi:[1,1,0] neg_lo:[0,0,1] neg_hi:[0,0,1]
	v_pk_fma_f32 v[74:75], v[76:77], v[98:99], v[74:75] op_sel:[0,0,1] op_sel_hi:[1,0,0]
	s_waitcnt vmcnt(1)
	v_mov_b32_e32 v74, v113
	v_mov_b32_e32 v87, v75
	v_pk_mul_f32 v[74:75], v[78:79], v[74:75] op_sel_hi:[1,0]
	s_waitcnt vmcnt(0)
	v_pk_fma_f32 v[76:77], v[78:79], v[112:113], v[74:75] op_sel:[0,0,1] op_sel_hi:[1,1,0] neg_lo:[0,0,1] neg_hi:[0,0,1]
	v_pk_fma_f32 v[74:75], v[78:79], v[112:113], v[74:75] op_sel:[0,0,1] op_sel_hi:[1,0,0]
	v_pk_add_f32 v[72:73], v[72:73], v[88:89]
	v_mov_b32_e32 v74, v111
	v_pk_add_f32 v[72:73], v[72:73], v[86:87]
	v_mov_b32_e32 v77, v75
	s_waitcnt lgkmcnt(1)
	v_pk_mul_f32 v[74:75], v[80:81], v[74:75] op_sel_hi:[1,0]
	v_pk_add_f32 v[72:73], v[72:73], v[76:77]
	v_pk_fma_f32 v[76:77], v[80:81], v[110:111], v[74:75] op_sel:[0,0,1] op_sel_hi:[1,1,0] neg_lo:[0,0,1] neg_hi:[0,0,1]
	v_pk_fma_f32 v[74:75], v[80:81], v[110:111], v[74:75] op_sel:[0,0,1] op_sel_hi:[1,0,0]
	v_mov_b32_e32 v74, v109
	v_mov_b32_e32 v77, v75
	v_pk_mul_f32 v[74:75], v[82:83], v[74:75] op_sel_hi:[1,0]
	v_pk_add_f32 v[72:73], v[72:73], v[76:77]
	v_pk_fma_f32 v[76:77], v[82:83], v[108:109], v[74:75] op_sel:[0,0,1] op_sel_hi:[1,1,0] neg_lo:[0,0,1] neg_hi:[0,0,1]
	v_pk_fma_f32 v[74:75], v[82:83], v[108:109], v[74:75] op_sel:[0,0,1] op_sel_hi:[1,0,0]
	v_mov_b32_e32 v74, v107
	v_mov_b32_e32 v77, v75
	s_waitcnt lgkmcnt(0)
	v_pk_mul_f32 v[74:75], v[84:85], v[74:75] op_sel_hi:[1,0]
	v_pk_add_f32 v[72:73], v[72:73], v[76:77]
	v_pk_fma_f32 v[76:77], v[84:85], v[106:107], v[74:75] op_sel:[0,0,1] op_sel_hi:[1,1,0] neg_lo:[0,0,1] neg_hi:[0,0,1]
	v_pk_fma_f32 v[74:75], v[84:85], v[106:107], v[74:75] op_sel:[0,0,1] op_sel_hi:[1,0,0]
	v_mov_b32_e32 v77, v75
	v_pk_add_f32 v[72:73], v[72:73], v[76:77]
	v_pk_add_f32 v[72:73], v[96:97], v[72:73] neg_lo:[0,1] neg_hi:[0,1]
	buffer_store_dword v73, off, s[0:3], 0 offset:116
	buffer_store_dword v72, off, s[0:3], 0 offset:112
	s_and_saveexec_b64 s[4:5], vcc
	s_cbranch_execz .LBB33_191
; %bb.190:
	buffer_load_dword v72, off, s[0:3], 0 offset:104
	buffer_load_dword v73, off, s[0:3], 0 offset:108
	s_waitcnt vmcnt(0)
	ds_write_b64 v1, v[72:73]
	buffer_store_dword v70, off, s[0:3], 0 offset:104
	buffer_store_dword v70, off, s[0:3], 0 offset:108
.LBB33_191:
	s_or_b64 exec, exec, s[4:5]
	s_waitcnt lgkmcnt(0)
	; wave barrier
	s_waitcnt lgkmcnt(0)
	buffer_load_dword v71, off, s[0:3], 0 offset:116
	buffer_load_dword v114, off, s[0:3], 0 offset:124
	;; [unrolled: 1-line block ×26, first 2 shown]
	ds_read_b128 v[72:75], v70 offset:384
	ds_read_b128 v[76:79], v70 offset:400
	;; [unrolled: 1-line block ×6, first 2 shown]
	buffer_load_dword v99, off, s[0:3], 0 offset:228
	buffer_load_dword v98, off, s[0:3], 0 offset:224
	;; [unrolled: 1-line block ×16, first 2 shown]
	v_cmp_lt_u32_e32 vcc, 12, v0
	s_waitcnt vmcnt(41) lgkmcnt(5)
	v_mul_f32_e32 v139, v72, v71
	s_waitcnt vmcnt(40)
	v_mul_f32_e32 v140, v74, v114
	v_mul_f32_e32 v71, v73, v71
	v_mul_f32_e32 v114, v75, v114
	s_waitcnt vmcnt(39) lgkmcnt(4)
	v_mul_f32_e32 v141, v76, v116
	s_waitcnt vmcnt(38)
	v_mul_f32_e32 v142, v78, v118
	s_waitcnt vmcnt(37) lgkmcnt(3)
	v_mul_f32_e32 v143, v80, v120
	s_waitcnt vmcnt(36)
	v_mul_f32_e32 v144, v82, v121
	;; [unrolled: 4-line block ×4, first 2 shown]
	s_waitcnt vmcnt(29)
	v_fmac_f32_e32 v139, v73, v119
	s_waitcnt vmcnt(28)
	v_fmac_f32_e32 v140, v75, v128
	v_fma_f32 v71, v72, v119, -v71
	v_fma_f32 v72, v74, v128, -v114
	v_add_f32_e32 v74, 0, v139
	s_waitcnt vmcnt(27)
	v_fmac_f32_e32 v141, v77, v129
	v_add_f32_e32 v71, 0, v71
	v_add_f32_e32 v74, v74, v140
	s_waitcnt vmcnt(26)
	v_fmac_f32_e32 v142, v79, v130
	v_add_f32_e32 v71, v71, v72
	;; [unrolled: 4-line block ×3, first 2 shown]
	s_waitcnt vmcnt(24)
	v_fmac_f32_e32 v144, v83, v132
	v_add_f32_e32 v72, v72, v143
	s_waitcnt vmcnt(23)
	v_fmac_f32_e32 v145, v85, v133
	v_add_f32_e32 v72, v72, v144
	;; [unrolled: 3-line block ×4, first 2 shown]
	v_mul_f32_e32 v116, v77, v116
	s_waitcnt vmcnt(20)
	v_fmac_f32_e32 v148, v91, v136
	v_add_f32_e32 v72, v72, v147
	v_fma_f32 v73, v76, v129, -v116
	v_add_f32_e32 v119, v72, v148
	v_mul_f32_e32 v72, v79, v118
	v_add_f32_e32 v71, v71, v73
	v_fma_f32 v72, v78, v130, -v72
	v_add_f32_e32 v71, v71, v72
	v_mul_f32_e32 v72, v81, v120
	v_fma_f32 v72, v80, v131, -v72
	v_add_f32_e32 v71, v71, v72
	v_mul_f32_e32 v72, v83, v121
	;; [unrolled: 3-line block ×6, first 2 shown]
	v_fma_f32 v72, v90, v136, -v72
	v_add_f32_e32 v118, v71, v72
	ds_read_b128 v[72:75], v70 offset:480
	ds_read_b128 v[76:79], v70 offset:496
	ds_read_b128 v[80:83], v70 offset:512
	ds_read_b128 v[84:87], v70 offset:528
	s_waitcnt vmcnt(11)
	v_mov_b32_e32 v88, v103
	s_waitcnt lgkmcnt(3)
	v_pk_mul_f32 v[88:89], v[72:73], v[88:89] op_sel_hi:[1,0]
	s_waitcnt vmcnt(10)
	v_pk_fma_f32 v[90:91], v[72:73], v[102:103], v[88:89] op_sel:[0,0,1] op_sel_hi:[1,1,0] neg_lo:[0,0,1] neg_hi:[0,0,1]
	v_pk_fma_f32 v[72:73], v[72:73], v[102:103], v[88:89] op_sel:[0,0,1] op_sel_hi:[1,0,0]
	v_mov_b32_e32 v72, v101
	v_mov_b32_e32 v91, v73
	v_pk_mul_f32 v[72:73], v[74:75], v[72:73] op_sel_hi:[1,0]
	v_mul_f32_e32 v115, v92, v126
	v_mul_f32_e32 v71, v93, v126
	v_pk_fma_f32 v[88:89], v[74:75], v[100:101], v[72:73] op_sel:[0,0,1] op_sel_hi:[1,1,0] neg_lo:[0,0,1] neg_hi:[0,0,1]
	v_pk_fma_f32 v[72:73], v[74:75], v[100:101], v[72:73] op_sel:[0,0,1] op_sel_hi:[1,0,0]
	v_mul_f32_e32 v117, v94, v127
	v_fmac_f32_e32 v115, v93, v137
	v_fma_f32 v114, v92, v137, -v71
	v_mul_f32_e32 v71, v95, v127
	v_mov_b32_e32 v72, v99
	v_fmac_f32_e32 v117, v95, v138
	v_fma_f32 v116, v94, v138, -v71
	v_pk_add_f32 v[70:71], v[118:119], v[114:115]
	v_mov_b32_e32 v89, v73
	s_waitcnt lgkmcnt(2)
	v_pk_mul_f32 v[72:73], v[76:77], v[72:73] op_sel_hi:[1,0]
	v_pk_add_f32 v[70:71], v[70:71], v[116:117]
	v_pk_fma_f32 v[74:75], v[76:77], v[98:99], v[72:73] op_sel:[0,0,1] op_sel_hi:[1,1,0] neg_lo:[0,0,1] neg_hi:[0,0,1]
	v_pk_fma_f32 v[72:73], v[76:77], v[98:99], v[72:73] op_sel:[0,0,1] op_sel_hi:[1,0,0]
	v_pk_add_f32 v[70:71], v[70:71], v[90:91]
	s_waitcnt vmcnt(3)
	v_mov_b32_e32 v72, v111
	v_pk_add_f32 v[70:71], v[70:71], v[88:89]
	v_mov_b32_e32 v75, v73
	v_pk_mul_f32 v[72:73], v[78:79], v[72:73] op_sel_hi:[1,0]
	v_pk_add_f32 v[70:71], v[70:71], v[74:75]
	s_waitcnt vmcnt(2)
	v_pk_fma_f32 v[74:75], v[78:79], v[110:111], v[72:73] op_sel:[0,0,1] op_sel_hi:[1,1,0] neg_lo:[0,0,1] neg_hi:[0,0,1]
	v_pk_fma_f32 v[72:73], v[78:79], v[110:111], v[72:73] op_sel:[0,0,1] op_sel_hi:[1,0,0]
	v_mov_b32_e32 v72, v109
	v_mov_b32_e32 v75, v73
	s_waitcnt lgkmcnt(1)
	v_pk_mul_f32 v[72:73], v[80:81], v[72:73] op_sel_hi:[1,0]
	v_pk_add_f32 v[70:71], v[70:71], v[74:75]
	v_pk_fma_f32 v[74:75], v[80:81], v[108:109], v[72:73] op_sel:[0,0,1] op_sel_hi:[1,1,0] neg_lo:[0,0,1] neg_hi:[0,0,1]
	v_pk_fma_f32 v[72:73], v[80:81], v[108:109], v[72:73] op_sel:[0,0,1] op_sel_hi:[1,0,0]
	v_mov_b32_e32 v72, v107
	v_mov_b32_e32 v75, v73
	v_pk_mul_f32 v[72:73], v[82:83], v[72:73] op_sel_hi:[1,0]
	v_pk_add_f32 v[70:71], v[70:71], v[74:75]
	v_pk_fma_f32 v[74:75], v[82:83], v[106:107], v[72:73] op_sel:[0,0,1] op_sel_hi:[1,1,0] neg_lo:[0,0,1] neg_hi:[0,0,1]
	v_pk_fma_f32 v[72:73], v[82:83], v[106:107], v[72:73] op_sel:[0,0,1] op_sel_hi:[1,0,0]
	v_mov_b32_e32 v72, v105
	v_mov_b32_e32 v75, v73
	s_waitcnt lgkmcnt(0)
	v_pk_mul_f32 v[72:73], v[84:85], v[72:73] op_sel_hi:[1,0]
	v_pk_add_f32 v[70:71], v[70:71], v[74:75]
	v_pk_fma_f32 v[74:75], v[84:85], v[104:105], v[72:73] op_sel:[0,0,1] op_sel_hi:[1,1,0] neg_lo:[0,0,1] neg_hi:[0,0,1]
	v_pk_fma_f32 v[72:73], v[84:85], v[104:105], v[72:73] op_sel:[0,0,1] op_sel_hi:[1,0,0]
	s_waitcnt vmcnt(1)
	v_mov_b32_e32 v72, v113
	v_mov_b32_e32 v75, v73
	v_pk_mul_f32 v[72:73], v[86:87], v[72:73] op_sel_hi:[1,0]
	v_pk_add_f32 v[70:71], v[70:71], v[74:75]
	s_waitcnt vmcnt(0)
	v_pk_fma_f32 v[74:75], v[86:87], v[112:113], v[72:73] op_sel:[0,0,1] op_sel_hi:[1,1,0] neg_lo:[0,0,1] neg_hi:[0,0,1]
	v_pk_fma_f32 v[72:73], v[86:87], v[112:113], v[72:73] op_sel:[0,0,1] op_sel_hi:[1,0,0]
	v_mov_b32_e32 v75, v73
	v_pk_add_f32 v[70:71], v[70:71], v[74:75]
	v_pk_add_f32 v[70:71], v[96:97], v[70:71] neg_lo:[0,1] neg_hi:[0,1]
	buffer_store_dword v71, off, s[0:3], 0 offset:108
	buffer_store_dword v70, off, s[0:3], 0 offset:104
	s_and_saveexec_b64 s[4:5], vcc
	s_cbranch_execz .LBB33_193
; %bb.192:
	buffer_load_dword v70, off, s[0:3], 0 offset:96
	buffer_load_dword v71, off, s[0:3], 0 offset:100
	v_mov_b32_e32 v72, 0
	buffer_store_dword v72, off, s[0:3], 0 offset:96
	buffer_store_dword v72, off, s[0:3], 0 offset:100
	s_waitcnt vmcnt(2)
	ds_write_b64 v1, v[70:71]
.LBB33_193:
	s_or_b64 exec, exec, s[4:5]
	s_waitcnt lgkmcnt(0)
	; wave barrier
	s_waitcnt lgkmcnt(0)
	buffer_load_dword v71, off, s[0:3], 0 offset:108
	buffer_load_dword v122, off, s[0:3], 0 offset:116
	;; [unrolled: 1-line block ×44, first 2 shown]
	v_mov_b32_e32 v70, 0
	ds_read2_b64 v[72:75], v70 offset0:47 offset1:48
	ds_read2_b64 v[76:79], v70 offset0:49 offset1:50
	;; [unrolled: 1-line block ×8, first 2 shown]
	v_cmp_lt_u32_e32 vcc, 11, v0
	s_waitcnt vmcnt(43) lgkmcnt(7)
	v_mul_f32_e32 v127, v72, v71
	v_mul_f32_e32 v71, v73, v71
	s_waitcnt vmcnt(42)
	v_mul_f32_e32 v150, v74, v122
	s_waitcnt vmcnt(41) lgkmcnt(6)
	v_mul_f32_e32 v151, v76, v124
	s_waitcnt vmcnt(40)
	v_mul_f32_e32 v152, v78, v126
	s_waitcnt vmcnt(39) lgkmcnt(5)
	;; [unrolled: 4-line block ×5, first 2 shown]
	v_mul_f32_e32 v159, v92, v134
	s_waitcnt vmcnt(32)
	v_mul_f32_e32 v123, v94, v135
	s_waitcnt vmcnt(30)
	v_fma_f32 v71, v72, v137, -v71
	v_mul_f32_e32 v72, v75, v122
	v_add_f32_e32 v71, 0, v71
	s_waitcnt vmcnt(29)
	v_fma_f32 v72, v74, v138, -v72
	v_add_f32_e32 v71, v71, v72
	v_mul_f32_e32 v72, v77, v124
	s_waitcnt vmcnt(28)
	v_fma_f32 v72, v76, v139, -v72
	v_add_f32_e32 v71, v71, v72
	v_mul_f32_e32 v72, v79, v126
	;; [unrolled: 4-line block ×4, first 2 shown]
	s_waitcnt vmcnt(25)
	v_fma_f32 v72, v82, v142, -v72
	v_fmac_f32_e32 v127, v73, v137
	v_add_f32_e32 v71, v71, v72
	v_mul_f32_e32 v72, v85, v130
	v_fmac_f32_e32 v150, v75, v138
	v_add_f32_e32 v73, 0, v127
	s_waitcnt vmcnt(24)
	v_fma_f32 v72, v84, v143, -v72
	v_fmac_f32_e32 v151, v77, v139
	v_add_f32_e32 v73, v73, v150
	v_add_f32_e32 v71, v71, v72
	v_mul_f32_e32 v72, v87, v131
	v_fmac_f32_e32 v152, v79, v140
	v_add_f32_e32 v73, v73, v151
	s_waitcnt vmcnt(23)
	v_fma_f32 v72, v86, v144, -v72
	v_fmac_f32_e32 v153, v81, v141
	v_add_f32_e32 v73, v73, v152
	v_add_f32_e32 v71, v71, v72
	v_mul_f32_e32 v72, v89, v132
	v_fmac_f32_e32 v154, v83, v142
	v_add_f32_e32 v73, v73, v153
	s_waitcnt vmcnt(22)
	v_fma_f32 v72, v88, v145, -v72
	v_fmac_f32_e32 v155, v85, v143
	v_add_f32_e32 v73, v73, v154
	v_add_f32_e32 v71, v71, v72
	v_mul_f32_e32 v72, v91, v133
	v_fmac_f32_e32 v156, v87, v144
	v_add_f32_e32 v73, v73, v155
	s_waitcnt vmcnt(21)
	v_fma_f32 v72, v90, v146, -v72
	v_fmac_f32_e32 v157, v89, v145
	v_add_f32_e32 v73, v73, v156
	v_add_f32_e32 v71, v71, v72
	v_mul_f32_e32 v72, v93, v134
	v_fmac_f32_e32 v158, v91, v146
	v_add_f32_e32 v73, v73, v157
	s_waitcnt vmcnt(20)
	v_fma_f32 v72, v92, v147, -v72
	s_waitcnt vmcnt(13)
	v_mov_b32_e32 v84, v109
	v_fmac_f32_e32 v159, v93, v147
	v_add_f32_e32 v73, v73, v158
	v_add_f32_e32 v126, v71, v72
	v_mul_f32_e32 v71, v95, v135
	s_waitcnt lgkmcnt(1)
	v_pk_mul_f32 v[84:85], v[98:99], v[84:85] op_sel_hi:[1,0]
	v_mul_f32_e32 v125, v96, v136
	v_fmac_f32_e32 v123, v95, v148
	v_add_f32_e32 v127, v73, v159
	v_fma_f32 v122, v94, v148, -v71
	v_mul_f32_e32 v71, v97, v136
	s_waitcnt vmcnt(12)
	v_pk_fma_f32 v[86:87], v[98:99], v[108:109], v[84:85] op_sel:[0,0,1] op_sel_hi:[1,1,0] neg_lo:[0,0,1] neg_hi:[0,0,1]
	v_pk_fma_f32 v[84:85], v[98:99], v[108:109], v[84:85] op_sel:[0,0,1] op_sel_hi:[1,0,0]
	v_fmac_f32_e32 v125, v97, v149
	v_fma_f32 v124, v96, v149, -v71
	v_pk_add_f32 v[82:83], v[126:127], v[122:123]
	v_mov_b32_e32 v84, v107
	v_pk_add_f32 v[82:83], v[82:83], v[124:125]
	v_mov_b32_e32 v87, v85
	s_waitcnt lgkmcnt(0)
	v_pk_mul_f32 v[84:85], v[100:101], v[84:85] op_sel_hi:[1,0]
	v_pk_add_f32 v[82:83], v[82:83], v[86:87]
	v_pk_fma_f32 v[86:87], v[100:101], v[106:107], v[84:85] op_sel:[0,0,1] op_sel_hi:[1,1,0] neg_lo:[0,0,1] neg_hi:[0,0,1]
	v_pk_fma_f32 v[84:85], v[100:101], v[106:107], v[84:85] op_sel:[0,0,1] op_sel_hi:[1,0,0]
	s_waitcnt vmcnt(5)
	v_mov_b32_e32 v84, v117
	ds_read2_b64 v[72:75], v70 offset0:63 offset1:64
	ds_read2_b64 v[76:79], v70 offset0:65 offset1:66
	ds_read_b64 v[80:81], v70 offset:536
	v_mov_b32_e32 v87, v85
	v_pk_mul_f32 v[84:85], v[102:103], v[84:85] op_sel_hi:[1,0]
	v_pk_add_f32 v[82:83], v[82:83], v[86:87]
	s_waitcnt vmcnt(4)
	v_pk_fma_f32 v[86:87], v[102:103], v[116:117], v[84:85] op_sel:[0,0,1] op_sel_hi:[1,1,0] neg_lo:[0,0,1] neg_hi:[0,0,1]
	v_pk_fma_f32 v[84:85], v[102:103], v[116:117], v[84:85] op_sel:[0,0,1] op_sel_hi:[1,0,0]
	v_mov_b32_e32 v84, v115
	v_mov_b32_e32 v87, v85
	s_waitcnt lgkmcnt(2)
	v_pk_mul_f32 v[84:85], v[72:73], v[84:85] op_sel_hi:[1,0]
	v_pk_add_f32 v[82:83], v[82:83], v[86:87]
	v_pk_fma_f32 v[86:87], v[72:73], v[114:115], v[84:85] op_sel:[0,0,1] op_sel_hi:[1,1,0] neg_lo:[0,0,1] neg_hi:[0,0,1]
	v_pk_fma_f32 v[72:73], v[72:73], v[114:115], v[84:85] op_sel:[0,0,1] op_sel_hi:[1,0,0]
	v_mov_b32_e32 v87, v73
	v_pk_add_f32 v[72:73], v[82:83], v[86:87]
	v_mov_b32_e32 v82, v113
	v_pk_mul_f32 v[82:83], v[74:75], v[82:83] op_sel_hi:[1,0]
	v_pk_fma_f32 v[84:85], v[74:75], v[112:113], v[82:83] op_sel:[0,0,1] op_sel_hi:[1,1,0] neg_lo:[0,0,1] neg_hi:[0,0,1]
	v_pk_fma_f32 v[74:75], v[74:75], v[112:113], v[82:83] op_sel:[0,0,1] op_sel_hi:[1,0,0]
	v_mov_b32_e32 v74, v111
	v_mov_b32_e32 v85, v75
	s_waitcnt lgkmcnt(1)
	v_pk_mul_f32 v[74:75], v[76:77], v[74:75] op_sel_hi:[1,0]
	v_pk_fma_f32 v[82:83], v[76:77], v[110:111], v[74:75] op_sel:[0,0,1] op_sel_hi:[1,1,0] neg_lo:[0,0,1] neg_hi:[0,0,1]
	v_pk_fma_f32 v[74:75], v[76:77], v[110:111], v[74:75] op_sel:[0,0,1] op_sel_hi:[1,0,0]
	s_waitcnt vmcnt(1)
	v_mov_b32_e32 v74, v121
	v_mov_b32_e32 v83, v75
	v_pk_mul_f32 v[74:75], v[78:79], v[74:75] op_sel_hi:[1,0]
	s_waitcnt vmcnt(0)
	v_pk_fma_f32 v[76:77], v[78:79], v[120:121], v[74:75] op_sel:[0,0,1] op_sel_hi:[1,1,0] neg_lo:[0,0,1] neg_hi:[0,0,1]
	v_pk_fma_f32 v[74:75], v[78:79], v[120:121], v[74:75] op_sel:[0,0,1] op_sel_hi:[1,0,0]
	v_pk_add_f32 v[72:73], v[72:73], v[84:85]
	v_mov_b32_e32 v74, v119
	v_pk_add_f32 v[72:73], v[72:73], v[82:83]
	v_mov_b32_e32 v77, v75
	s_waitcnt lgkmcnt(0)
	v_pk_mul_f32 v[74:75], v[80:81], v[74:75] op_sel_hi:[1,0]
	v_pk_add_f32 v[72:73], v[72:73], v[76:77]
	v_pk_fma_f32 v[76:77], v[80:81], v[118:119], v[74:75] op_sel:[0,0,1] op_sel_hi:[1,1,0] neg_lo:[0,0,1] neg_hi:[0,0,1]
	v_pk_fma_f32 v[74:75], v[80:81], v[118:119], v[74:75] op_sel:[0,0,1] op_sel_hi:[1,0,0]
	v_mov_b32_e32 v77, v75
	v_pk_add_f32 v[72:73], v[72:73], v[76:77]
	v_pk_add_f32 v[72:73], v[104:105], v[72:73] neg_lo:[0,1] neg_hi:[0,1]
	buffer_store_dword v73, off, s[0:3], 0 offset:100
	buffer_store_dword v72, off, s[0:3], 0 offset:96
	s_and_saveexec_b64 s[4:5], vcc
	s_cbranch_execz .LBB33_195
; %bb.194:
	buffer_load_dword v72, off, s[0:3], 0 offset:88
	buffer_load_dword v73, off, s[0:3], 0 offset:92
	s_waitcnt vmcnt(0)
	ds_write_b64 v1, v[72:73]
	buffer_store_dword v70, off, s[0:3], 0 offset:88
	buffer_store_dword v70, off, s[0:3], 0 offset:92
.LBB33_195:
	s_or_b64 exec, exec, s[4:5]
	s_waitcnt lgkmcnt(0)
	; wave barrier
	s_waitcnt lgkmcnt(0)
	buffer_load_dword v71, off, s[0:3], 0 offset:100
	buffer_load_dword v122, off, s[0:3], 0 offset:108
	;; [unrolled: 1-line block ×30, first 2 shown]
	ds_read_b128 v[72:75], v70 offset:368
	ds_read_b128 v[76:79], v70 offset:384
	;; [unrolled: 1-line block ×6, first 2 shown]
	buffer_load_dword v107, off, s[0:3], 0 offset:212
	buffer_load_dword v106, off, s[0:3], 0 offset:208
	ds_read_b128 v[96:99], v70 offset:464
	ds_read_b128 v[100:103], v70 offset:480
	buffer_load_dword v109, off, s[0:3], 0 offset:244
	buffer_load_dword v108, off, s[0:3], 0 offset:240
	;; [unrolled: 1-line block ×14, first 2 shown]
	v_cmp_lt_u32_e32 vcc, 10, v0
	s_waitcnt vmcnt(45) lgkmcnt(7)
	v_mul_f32_e32 v125, v72, v71
	v_mul_f32_e32 v71, v73, v71
	s_waitcnt vmcnt(44)
	v_mul_f32_e32 v127, v74, v122
	s_waitcnt vmcnt(43) lgkmcnt(6)
	v_mul_f32_e32 v152, v76, v124
	s_waitcnt vmcnt(42)
	v_mul_f32_e32 v153, v78, v126
	s_waitcnt vmcnt(41) lgkmcnt(5)
	;; [unrolled: 4-line block ×5, first 2 shown]
	v_mul_f32_e32 v160, v92, v134
	s_waitcnt vmcnt(34)
	v_mul_f32_e32 v161, v94, v135
	s_waitcnt vmcnt(32)
	v_fma_f32 v71, v72, v137, -v71
	v_mul_f32_e32 v72, v75, v122
	v_add_f32_e32 v71, 0, v71
	s_waitcnt vmcnt(31)
	v_fma_f32 v72, v74, v138, -v72
	v_add_f32_e32 v71, v71, v72
	v_mul_f32_e32 v72, v77, v124
	s_waitcnt vmcnt(30)
	v_fma_f32 v72, v76, v139, -v72
	v_add_f32_e32 v71, v71, v72
	v_mul_f32_e32 v72, v79, v126
	;; [unrolled: 4-line block ×5, first 2 shown]
	v_fmac_f32_e32 v125, v73, v137
	s_waitcnt vmcnt(26)
	v_fma_f32 v72, v84, v143, -v72
	v_fmac_f32_e32 v127, v75, v138
	v_add_f32_e32 v125, 0, v125
	v_add_f32_e32 v71, v71, v72
	v_mul_f32_e32 v72, v87, v131
	v_fmac_f32_e32 v152, v77, v139
	v_add_f32_e32 v125, v125, v127
	s_waitcnt vmcnt(25)
	v_fma_f32 v72, v86, v144, -v72
	v_fmac_f32_e32 v153, v79, v140
	v_add_f32_e32 v125, v125, v152
	v_add_f32_e32 v71, v71, v72
	v_mul_f32_e32 v72, v89, v132
	v_fmac_f32_e32 v154, v81, v141
	v_add_f32_e32 v125, v125, v153
	;; [unrolled: 8-line block ×5, first 2 shown]
	s_waitcnt vmcnt(21)
	v_fma_f32 v72, v94, v148, -v72
	s_waitcnt vmcnt(15)
	v_mov_b32_e32 v84, v107
	s_waitcnt lgkmcnt(1)
	v_mul_f32_e32 v123, v96, v136
	v_fmac_f32_e32 v161, v95, v148
	v_add_f32_e32 v125, v125, v160
	v_add_f32_e32 v124, v71, v72
	v_mul_f32_e32 v71, v97, v136
	s_waitcnt lgkmcnt(0)
	v_pk_mul_f32 v[84:85], v[100:101], v[84:85] op_sel_hi:[1,0]
	v_fmac_f32_e32 v123, v97, v149
	v_add_f32_e32 v125, v125, v161
	v_mul_f32_e32 v127, v98, v150
	v_fma_f32 v122, v96, v149, -v71
	v_mul_f32_e32 v71, v99, v150
	s_waitcnt vmcnt(14)
	v_pk_fma_f32 v[86:87], v[100:101], v[106:107], v[84:85] op_sel:[0,0,1] op_sel_hi:[1,1,0] neg_lo:[0,0,1] neg_hi:[0,0,1]
	v_pk_fma_f32 v[84:85], v[100:101], v[106:107], v[84:85] op_sel:[0,0,1] op_sel_hi:[1,0,0]
	v_fmac_f32_e32 v127, v99, v151
	v_fma_f32 v126, v98, v151, -v71
	ds_read_b128 v[72:75], v70 offset:496
	ds_read_b128 v[76:79], v70 offset:512
	;; [unrolled: 1-line block ×3, first 2 shown]
	v_pk_add_f32 v[70:71], v[124:125], v[122:123]
	s_waitcnt vmcnt(7)
	v_mov_b32_e32 v84, v115
	v_pk_add_f32 v[70:71], v[70:71], v[126:127]
	v_mov_b32_e32 v87, v85
	v_pk_mul_f32 v[84:85], v[102:103], v[84:85] op_sel_hi:[1,0]
	v_pk_add_f32 v[70:71], v[70:71], v[86:87]
	s_waitcnt vmcnt(6)
	v_pk_fma_f32 v[86:87], v[102:103], v[114:115], v[84:85] op_sel:[0,0,1] op_sel_hi:[1,1,0] neg_lo:[0,0,1] neg_hi:[0,0,1]
	v_pk_fma_f32 v[84:85], v[102:103], v[114:115], v[84:85] op_sel:[0,0,1] op_sel_hi:[1,0,0]
	v_mov_b32_e32 v84, v113
	v_mov_b32_e32 v87, v85
	s_waitcnt lgkmcnt(2)
	v_pk_mul_f32 v[84:85], v[72:73], v[84:85] op_sel_hi:[1,0]
	v_pk_add_f32 v[70:71], v[70:71], v[86:87]
	v_pk_fma_f32 v[86:87], v[72:73], v[112:113], v[84:85] op_sel:[0,0,1] op_sel_hi:[1,1,0] neg_lo:[0,0,1] neg_hi:[0,0,1]
	v_pk_fma_f32 v[72:73], v[72:73], v[112:113], v[84:85] op_sel:[0,0,1] op_sel_hi:[1,0,0]
	v_mov_b32_e32 v72, v111
	v_mov_b32_e32 v87, v73
	v_pk_mul_f32 v[72:73], v[74:75], v[72:73] op_sel_hi:[1,0]
	v_pk_fma_f32 v[84:85], v[74:75], v[110:111], v[72:73] op_sel:[0,0,1] op_sel_hi:[1,1,0] neg_lo:[0,0,1] neg_hi:[0,0,1]
	v_pk_fma_f32 v[72:73], v[74:75], v[110:111], v[72:73] op_sel:[0,0,1] op_sel_hi:[1,0,0]
	v_mov_b32_e32 v72, v109
	v_mov_b32_e32 v85, v73
	s_waitcnt lgkmcnt(1)
	v_pk_mul_f32 v[72:73], v[76:77], v[72:73] op_sel_hi:[1,0]
	v_pk_fma_f32 v[74:75], v[76:77], v[108:109], v[72:73] op_sel:[0,0,1] op_sel_hi:[1,1,0] neg_lo:[0,0,1] neg_hi:[0,0,1]
	v_pk_fma_f32 v[72:73], v[76:77], v[108:109], v[72:73] op_sel:[0,0,1] op_sel_hi:[1,0,0]
	v_pk_add_f32 v[70:71], v[70:71], v[86:87]
	s_waitcnt vmcnt(1)
	v_mov_b32_e32 v72, v121
	v_pk_add_f32 v[70:71], v[70:71], v[84:85]
	v_mov_b32_e32 v75, v73
	v_pk_mul_f32 v[72:73], v[78:79], v[72:73] op_sel_hi:[1,0]
	v_pk_add_f32 v[70:71], v[70:71], v[74:75]
	s_waitcnt vmcnt(0)
	v_pk_fma_f32 v[74:75], v[78:79], v[120:121], v[72:73] op_sel:[0,0,1] op_sel_hi:[1,1,0] neg_lo:[0,0,1] neg_hi:[0,0,1]
	v_pk_fma_f32 v[72:73], v[78:79], v[120:121], v[72:73] op_sel:[0,0,1] op_sel_hi:[1,0,0]
	v_mov_b32_e32 v72, v119
	v_mov_b32_e32 v75, v73
	s_waitcnt lgkmcnt(0)
	v_pk_mul_f32 v[72:73], v[80:81], v[72:73] op_sel_hi:[1,0]
	v_pk_add_f32 v[70:71], v[70:71], v[74:75]
	v_pk_fma_f32 v[74:75], v[80:81], v[118:119], v[72:73] op_sel:[0,0,1] op_sel_hi:[1,1,0] neg_lo:[0,0,1] neg_hi:[0,0,1]
	v_pk_fma_f32 v[72:73], v[80:81], v[118:119], v[72:73] op_sel:[0,0,1] op_sel_hi:[1,0,0]
	v_mov_b32_e32 v72, v117
	v_mov_b32_e32 v75, v73
	v_pk_mul_f32 v[72:73], v[82:83], v[72:73] op_sel_hi:[1,0]
	v_pk_add_f32 v[70:71], v[70:71], v[74:75]
	v_pk_fma_f32 v[74:75], v[82:83], v[116:117], v[72:73] op_sel:[0,0,1] op_sel_hi:[1,1,0] neg_lo:[0,0,1] neg_hi:[0,0,1]
	v_pk_fma_f32 v[72:73], v[82:83], v[116:117], v[72:73] op_sel:[0,0,1] op_sel_hi:[1,0,0]
	v_mov_b32_e32 v75, v73
	v_pk_add_f32 v[70:71], v[70:71], v[74:75]
	v_pk_add_f32 v[70:71], v[104:105], v[70:71] neg_lo:[0,1] neg_hi:[0,1]
	buffer_store_dword v71, off, s[0:3], 0 offset:92
	buffer_store_dword v70, off, s[0:3], 0 offset:88
	s_and_saveexec_b64 s[4:5], vcc
	s_cbranch_execz .LBB33_197
; %bb.196:
	buffer_load_dword v70, off, s[0:3], 0 offset:80
	buffer_load_dword v71, off, s[0:3], 0 offset:84
	v_mov_b32_e32 v72, 0
	buffer_store_dword v72, off, s[0:3], 0 offset:80
	buffer_store_dword v72, off, s[0:3], 0 offset:84
	s_waitcnt vmcnt(2)
	ds_write_b64 v1, v[70:71]
.LBB33_197:
	s_or_b64 exec, exec, s[4:5]
	s_waitcnt lgkmcnt(0)
	; wave barrier
	s_waitcnt lgkmcnt(0)
	buffer_load_dword v71, off, s[0:3], 0 offset:92
	buffer_load_dword v120, off, s[0:3], 0 offset:100
	;; [unrolled: 1-line block ×32, first 2 shown]
	v_mov_b32_e32 v70, 0
	buffer_load_dword v107, off, s[0:3], 0 offset:236
	buffer_load_dword v106, off, s[0:3], 0 offset:232
	;; [unrolled: 1-line block ×13, first 2 shown]
	ds_read2_b64 v[72:75], v70 offset0:45 offset1:46
	ds_read2_b64 v[76:79], v70 offset0:47 offset1:48
	;; [unrolled: 1-line block ×8, first 2 shown]
	v_cmp_lt_u32_e32 vcc, 9, v0
	s_waitcnt vmcnt(44) lgkmcnt(7)
	v_mul_f32_e32 v114, v72, v71
	s_waitcnt vmcnt(43)
	v_mul_f32_e32 v121, v74, v120
	s_waitcnt vmcnt(42) lgkmcnt(6)
	v_mul_f32_e32 v122, v76, v124
	s_waitcnt vmcnt(41)
	v_mul_f32_e32 v123, v78, v126
	;; [unrolled: 4-line block ×6, first 2 shown]
	s_waitcnt vmcnt(32) lgkmcnt(1)
	v_mul_f32_e32 v160, v96, v136
	s_waitcnt vmcnt(31)
	v_fmac_f32_e32 v114, v73, v137
	s_waitcnt vmcnt(30)
	v_fmac_f32_e32 v121, v75, v138
	v_add_f32_e32 v114, 0, v114
	s_waitcnt vmcnt(29)
	v_fmac_f32_e32 v122, v77, v139
	v_add_f32_e32 v114, v114, v121
	;; [unrolled: 3-line block ×12, first 2 shown]
	v_add_f32_e32 v121, v114, v160
	buffer_load_dword v123, off, s[0:3], 0 offset:252
	buffer_load_dword v122, off, s[0:3], 0 offset:248
	;; [unrolled: 1-line block ×3, first 2 shown]
	v_mul_f32_e32 v71, v73, v71
	v_fma_f32 v71, v72, v137, -v71
	v_mul_f32_e32 v72, v75, v120
	v_add_f32_e32 v71, 0, v71
	v_fma_f32 v72, v74, v138, -v72
	v_add_f32_e32 v71, v71, v72
	v_mul_f32_e32 v72, v77, v124
	v_fma_f32 v72, v76, v139, -v72
	v_add_f32_e32 v71, v71, v72
	v_mul_f32_e32 v72, v79, v126
	;; [unrolled: 3-line block ×11, first 2 shown]
	v_fma_f32 v72, v96, v149, -v72
	s_waitcnt vmcnt(9)
	v_mov_b32_e32 v88, v113
	v_mul_f32_e32 v125, v98, v150
	v_add_f32_e32 v120, v71, v72
	v_mul_f32_e32 v71, v99, v150
	s_waitcnt lgkmcnt(0)
	v_pk_mul_f32 v[88:89], v[102:103], v[88:89] op_sel_hi:[1,0]
	v_fmac_f32_e32 v125, v99, v151
	v_mul_f32_e32 v127, v100, v152
	v_fma_f32 v124, v98, v151, -v71
	v_mul_f32_e32 v71, v101, v152
	ds_read2_b64 v[72:75], v70 offset0:61 offset1:62
	ds_read2_b64 v[76:79], v70 offset0:63 offset1:64
	;; [unrolled: 1-line block ×3, first 2 shown]
	ds_read_b64 v[84:85], v70 offset:536
	s_waitcnt vmcnt(8)
	v_pk_fma_f32 v[90:91], v[102:103], v[112:113], v[88:89] op_sel:[0,0,1] op_sel_hi:[1,1,0] neg_lo:[0,0,1] neg_hi:[0,0,1]
	v_pk_fma_f32 v[88:89], v[102:103], v[112:113], v[88:89] op_sel:[0,0,1] op_sel_hi:[1,0,0]
	v_fmac_f32_e32 v127, v101, v153
	v_fma_f32 v126, v100, v153, -v71
	v_pk_add_f32 v[86:87], v[120:121], v[124:125]
	v_mov_b32_e32 v88, v111
	v_pk_add_f32 v[86:87], v[86:87], v[126:127]
	v_mov_b32_e32 v91, v89
	s_waitcnt lgkmcnt(3)
	v_pk_mul_f32 v[88:89], v[72:73], v[88:89] op_sel_hi:[1,0]
	v_pk_add_f32 v[86:87], v[86:87], v[90:91]
	v_pk_fma_f32 v[90:91], v[72:73], v[110:111], v[88:89] op_sel:[0,0,1] op_sel_hi:[1,1,0] neg_lo:[0,0,1] neg_hi:[0,0,1]
	v_pk_fma_f32 v[72:73], v[72:73], v[110:111], v[88:89] op_sel:[0,0,1] op_sel_hi:[1,0,0]
	v_mov_b32_e32 v91, v73
	v_pk_add_f32 v[72:73], v[86:87], v[90:91]
	v_mov_b32_e32 v86, v109
	v_pk_mul_f32 v[86:87], v[74:75], v[86:87] op_sel_hi:[1,0]
	v_pk_fma_f32 v[88:89], v[74:75], v[108:109], v[86:87] op_sel:[0,0,1] op_sel_hi:[1,1,0] neg_lo:[0,0,1] neg_hi:[0,0,1]
	v_pk_fma_f32 v[74:75], v[74:75], v[108:109], v[86:87] op_sel:[0,0,1] op_sel_hi:[1,0,0]
	v_mov_b32_e32 v74, v107
	v_mov_b32_e32 v89, v75
	s_waitcnt lgkmcnt(2)
	v_pk_mul_f32 v[74:75], v[76:77], v[74:75] op_sel_hi:[1,0]
	v_pk_fma_f32 v[86:87], v[76:77], v[106:107], v[74:75] op_sel:[0,0,1] op_sel_hi:[1,1,0] neg_lo:[0,0,1] neg_hi:[0,0,1]
	v_pk_fma_f32 v[74:75], v[76:77], v[106:107], v[74:75] op_sel:[0,0,1] op_sel_hi:[1,0,0]
	s_waitcnt vmcnt(7)
	v_mov_b32_e32 v74, v115
	v_mov_b32_e32 v87, v75
	v_pk_mul_f32 v[74:75], v[78:79], v[74:75] op_sel_hi:[1,0]
	v_pk_add_f32 v[72:73], v[72:73], v[88:89]
	v_pk_add_f32 v[72:73], v[72:73], v[86:87]
	s_waitcnt vmcnt(0)
	v_pk_fma_f32 v[76:77], v[78:79], v[114:115], v[74:75] op_sel:[0,0,1] op_sel_hi:[1,1,0] neg_lo:[0,0,1] neg_hi:[0,0,1]
	v_pk_fma_f32 v[74:75], v[78:79], v[114:115], v[74:75] op_sel:[0,0,1] op_sel_hi:[1,0,0]
	v_mov_b32_e32 v74, v123
	v_mov_b32_e32 v77, v75
	s_waitcnt lgkmcnt(1)
	v_pk_mul_f32 v[74:75], v[80:81], v[74:75] op_sel_hi:[1,0]
	v_pk_add_f32 v[72:73], v[72:73], v[76:77]
	v_pk_fma_f32 v[76:77], v[80:81], v[122:123], v[74:75] op_sel:[0,0,1] op_sel_hi:[1,1,0] neg_lo:[0,0,1] neg_hi:[0,0,1]
	v_pk_fma_f32 v[74:75], v[80:81], v[122:123], v[74:75] op_sel:[0,0,1] op_sel_hi:[1,0,0]
	v_mov_b32_e32 v74, v119
	v_mov_b32_e32 v77, v75
	v_pk_mul_f32 v[74:75], v[82:83], v[74:75] op_sel_hi:[1,0]
	v_pk_add_f32 v[72:73], v[72:73], v[76:77]
	v_pk_fma_f32 v[76:77], v[82:83], v[118:119], v[74:75] op_sel:[0,0,1] op_sel_hi:[1,1,0] neg_lo:[0,0,1] neg_hi:[0,0,1]
	v_pk_fma_f32 v[74:75], v[82:83], v[118:119], v[74:75] op_sel:[0,0,1] op_sel_hi:[1,0,0]
	v_mov_b32_e32 v74, v117
	v_mov_b32_e32 v77, v75
	s_waitcnt lgkmcnt(0)
	v_pk_mul_f32 v[74:75], v[84:85], v[74:75] op_sel_hi:[1,0]
	v_pk_add_f32 v[72:73], v[72:73], v[76:77]
	v_pk_fma_f32 v[76:77], v[84:85], v[116:117], v[74:75] op_sel:[0,0,1] op_sel_hi:[1,1,0] neg_lo:[0,0,1] neg_hi:[0,0,1]
	v_pk_fma_f32 v[74:75], v[84:85], v[116:117], v[74:75] op_sel:[0,0,1] op_sel_hi:[1,0,0]
	v_mov_b32_e32 v77, v75
	v_pk_add_f32 v[72:73], v[72:73], v[76:77]
	v_pk_add_f32 v[72:73], v[104:105], v[72:73] neg_lo:[0,1] neg_hi:[0,1]
	buffer_store_dword v73, off, s[0:3], 0 offset:84
	buffer_store_dword v72, off, s[0:3], 0 offset:80
	s_and_saveexec_b64 s[4:5], vcc
	s_cbranch_execz .LBB33_199
; %bb.198:
	buffer_load_dword v72, off, s[0:3], 0 offset:72
	buffer_load_dword v73, off, s[0:3], 0 offset:76
	s_waitcnt vmcnt(0)
	ds_write_b64 v1, v[72:73]
	buffer_store_dword v70, off, s[0:3], 0 offset:72
	buffer_store_dword v70, off, s[0:3], 0 offset:76
.LBB33_199:
	s_or_b64 exec, exec, s[4:5]
	s_waitcnt lgkmcnt(0)
	; wave barrier
	s_waitcnt lgkmcnt(0)
	buffer_load_dword v71, off, s[0:3], 0 offset:84
	buffer_load_dword v120, off, s[0:3], 0 offset:92
	;; [unrolled: 1-line block ×34, first 2 shown]
	ds_read_b128 v[72:75], v70 offset:352
	ds_read_b128 v[76:79], v70 offset:368
	;; [unrolled: 1-line block ×8, first 2 shown]
	buffer_load_dword v107, off, s[0:3], 0 offset:228
	buffer_load_dword v106, off, s[0:3], 0 offset:224
	;; [unrolled: 1-line block ×9, first 2 shown]
	v_cmp_lt_u32_e32 vcc, 8, v0
	s_waitcnt vmcnt(42) lgkmcnt(7)
	v_mul_f32_e32 v112, v72, v71
	s_waitcnt vmcnt(41)
	v_mul_f32_e32 v116, v74, v120
	s_waitcnt vmcnt(40) lgkmcnt(6)
	v_mul_f32_e32 v117, v76, v122
	s_waitcnt vmcnt(39)
	v_mul_f32_e32 v118, v78, v124
	s_waitcnt vmcnt(38) lgkmcnt(5)
	v_mul_f32_e32 v119, v80, v128
	s_waitcnt vmcnt(37)
	v_mul_f32_e32 v121, v82, v129
	s_waitcnt vmcnt(36) lgkmcnt(4)
	v_mul_f32_e32 v123, v84, v130
	s_waitcnt vmcnt(35)
	v_mul_f32_e32 v125, v86, v131
	s_waitcnt vmcnt(34) lgkmcnt(3)
	v_mul_f32_e32 v126, v88, v132
	s_waitcnt vmcnt(33)
	v_mul_f32_e32 v127, v90, v133
	s_waitcnt vmcnt(32) lgkmcnt(2)
	v_mul_f32_e32 v156, v92, v134
	s_waitcnt vmcnt(31)
	v_mul_f32_e32 v157, v94, v135
	s_waitcnt vmcnt(30) lgkmcnt(1)
	v_mul_f32_e32 v158, v96, v136
	v_mul_f32_e32 v71, v73, v71
	s_waitcnt vmcnt(28)
	v_fmac_f32_e32 v112, v73, v138
	s_waitcnt vmcnt(27)
	v_fmac_f32_e32 v116, v75, v139
	v_add_f32_e32 v112, 0, v112
	s_waitcnt vmcnt(26)
	v_fmac_f32_e32 v117, v77, v140
	v_add_f32_e32 v112, v112, v116
	;; [unrolled: 3-line block ×12, first 2 shown]
	v_add_f32_e32 v121, v112, v158
	buffer_load_dword v117, off, s[0:3], 0 offset:252
	buffer_load_dword v116, off, s[0:3], 0 offset:248
	;; [unrolled: 1-line block ×7, first 2 shown]
	v_fma_f32 v71, v72, v138, -v71
	v_mul_f32_e32 v72, v75, v120
	v_add_f32_e32 v71, 0, v71
	v_fma_f32 v72, v74, v139, -v72
	v_add_f32_e32 v71, v71, v72
	v_mul_f32_e32 v72, v77, v122
	v_fma_f32 v72, v76, v140, -v72
	v_add_f32_e32 v71, v71, v72
	v_mul_f32_e32 v72, v79, v124
	;; [unrolled: 3-line block ×12, first 2 shown]
	s_waitcnt vmcnt(22)
	v_fma_f32 v72, v98, v151, -v72
	v_add_f32_e32 v120, v71, v72
	ds_read_b128 v[72:75], v70 offset:480
	ds_read_b128 v[76:79], v70 offset:496
	;; [unrolled: 1-line block ×4, first 2 shown]
	s_waitcnt vmcnt(11)
	v_mov_b32_e32 v88, v111
	s_waitcnt lgkmcnt(3)
	v_pk_mul_f32 v[88:89], v[72:73], v[88:89] op_sel_hi:[1,0]
	s_waitcnt vmcnt(10)
	v_pk_fma_f32 v[90:91], v[72:73], v[110:111], v[88:89] op_sel:[0,0,1] op_sel_hi:[1,1,0] neg_lo:[0,0,1] neg_hi:[0,0,1]
	v_pk_fma_f32 v[72:73], v[72:73], v[110:111], v[88:89] op_sel:[0,0,1] op_sel_hi:[1,0,0]
	v_mov_b32_e32 v72, v109
	v_mul_f32_e32 v159, v98, v137
	v_mov_b32_e32 v91, v73
	v_pk_mul_f32 v[72:73], v[74:75], v[72:73] op_sel_hi:[1,0]
	v_fmac_f32_e32 v159, v99, v151
	v_mul_f32_e32 v123, v100, v152
	v_mul_f32_e32 v71, v101, v152
	v_pk_fma_f32 v[88:89], v[74:75], v[108:109], v[72:73] op_sel:[0,0,1] op_sel_hi:[1,1,0] neg_lo:[0,0,1] neg_hi:[0,0,1]
	v_pk_fma_f32 v[72:73], v[74:75], v[108:109], v[72:73] op_sel:[0,0,1] op_sel_hi:[1,0,0]
	v_add_f32_e32 v121, v121, v159
	v_fmac_f32_e32 v123, v101, v153
	v_mul_f32_e32 v125, v102, v154
	v_fma_f32 v122, v100, v153, -v71
	v_mul_f32_e32 v71, v103, v154
	v_mov_b32_e32 v72, v107
	v_fmac_f32_e32 v125, v103, v155
	v_fma_f32 v124, v102, v155, -v71
	v_pk_add_f32 v[70:71], v[120:121], v[122:123]
	v_mov_b32_e32 v89, v73
	s_waitcnt lgkmcnt(2)
	v_pk_mul_f32 v[72:73], v[76:77], v[72:73] op_sel_hi:[1,0]
	v_pk_add_f32 v[70:71], v[70:71], v[124:125]
	v_pk_fma_f32 v[74:75], v[76:77], v[106:107], v[72:73] op_sel:[0,0,1] op_sel_hi:[1,1,0] neg_lo:[0,0,1] neg_hi:[0,0,1]
	v_pk_fma_f32 v[72:73], v[76:77], v[106:107], v[72:73] op_sel:[0,0,1] op_sel_hi:[1,0,0]
	v_pk_add_f32 v[70:71], v[70:71], v[90:91]
	s_waitcnt vmcnt(9)
	v_mov_b32_e32 v72, v113
	v_pk_add_f32 v[70:71], v[70:71], v[88:89]
	v_mov_b32_e32 v75, v73
	v_pk_mul_f32 v[72:73], v[78:79], v[72:73] op_sel_hi:[1,0]
	v_pk_add_f32 v[70:71], v[70:71], v[74:75]
	s_waitcnt vmcnt(2)
	v_pk_fma_f32 v[74:75], v[78:79], v[112:113], v[72:73] op_sel:[0,0,1] op_sel_hi:[1,1,0] neg_lo:[0,0,1] neg_hi:[0,0,1]
	v_pk_fma_f32 v[72:73], v[78:79], v[112:113], v[72:73] op_sel:[0,0,1] op_sel_hi:[1,0,0]
	v_mov_b32_e32 v72, v119
	v_mov_b32_e32 v75, v73
	s_waitcnt lgkmcnt(1)
	v_pk_mul_f32 v[72:73], v[80:81], v[72:73] op_sel_hi:[1,0]
	v_pk_add_f32 v[70:71], v[70:71], v[74:75]
	v_pk_fma_f32 v[74:75], v[80:81], v[118:119], v[72:73] op_sel:[0,0,1] op_sel_hi:[1,1,0] neg_lo:[0,0,1] neg_hi:[0,0,1]
	v_pk_fma_f32 v[72:73], v[80:81], v[118:119], v[72:73] op_sel:[0,0,1] op_sel_hi:[1,0,0]
	v_mov_b32_e32 v72, v117
	v_mov_b32_e32 v75, v73
	v_pk_mul_f32 v[72:73], v[82:83], v[72:73] op_sel_hi:[1,0]
	v_pk_add_f32 v[70:71], v[70:71], v[74:75]
	v_pk_fma_f32 v[74:75], v[82:83], v[116:117], v[72:73] op_sel:[0,0,1] op_sel_hi:[1,1,0] neg_lo:[0,0,1] neg_hi:[0,0,1]
	v_pk_fma_f32 v[72:73], v[82:83], v[116:117], v[72:73] op_sel:[0,0,1] op_sel_hi:[1,0,0]
	v_mov_b32_e32 v72, v115
	v_mov_b32_e32 v75, v73
	s_waitcnt lgkmcnt(0)
	v_pk_mul_f32 v[72:73], v[84:85], v[72:73] op_sel_hi:[1,0]
	v_pk_add_f32 v[70:71], v[70:71], v[74:75]
	v_pk_fma_f32 v[74:75], v[84:85], v[114:115], v[72:73] op_sel:[0,0,1] op_sel_hi:[1,1,0] neg_lo:[0,0,1] neg_hi:[0,0,1]
	v_pk_fma_f32 v[72:73], v[84:85], v[114:115], v[72:73] op_sel:[0,0,1] op_sel_hi:[1,0,0]
	s_waitcnt vmcnt(1)
	v_mov_b32_e32 v72, v127
	v_mov_b32_e32 v75, v73
	v_pk_mul_f32 v[72:73], v[86:87], v[72:73] op_sel_hi:[1,0]
	v_pk_add_f32 v[70:71], v[70:71], v[74:75]
	s_waitcnt vmcnt(0)
	v_pk_fma_f32 v[74:75], v[86:87], v[126:127], v[72:73] op_sel:[0,0,1] op_sel_hi:[1,1,0] neg_lo:[0,0,1] neg_hi:[0,0,1]
	v_pk_fma_f32 v[72:73], v[86:87], v[126:127], v[72:73] op_sel:[0,0,1] op_sel_hi:[1,0,0]
	v_mov_b32_e32 v75, v73
	v_pk_add_f32 v[70:71], v[70:71], v[74:75]
	v_pk_add_f32 v[70:71], v[104:105], v[70:71] neg_lo:[0,1] neg_hi:[0,1]
	buffer_store_dword v71, off, s[0:3], 0 offset:76
	buffer_store_dword v70, off, s[0:3], 0 offset:72
	s_and_saveexec_b64 s[4:5], vcc
	s_cbranch_execz .LBB33_201
; %bb.200:
	buffer_load_dword v70, off, s[0:3], 0 offset:64
	buffer_load_dword v71, off, s[0:3], 0 offset:68
	v_mov_b32_e32 v72, 0
	buffer_store_dword v72, off, s[0:3], 0 offset:64
	buffer_store_dword v72, off, s[0:3], 0 offset:68
	s_waitcnt vmcnt(2)
	ds_write_b64 v1, v[70:71]
.LBB33_201:
	s_or_b64 exec, exec, s[4:5]
	s_waitcnt lgkmcnt(0)
	; wave barrier
	s_waitcnt lgkmcnt(0)
	buffer_load_dword v73, off, s[0:3], 0 offset:76
	buffer_load_dword v126, off, s[0:3], 0 offset:84
	;; [unrolled: 1-line block ×36, first 2 shown]
	v_mov_b32_e32 v72, 0
	buffer_load_dword v115, off, s[0:3], 0 offset:220
	buffer_load_dword v114, off, s[0:3], 0 offset:216
	;; [unrolled: 1-line block ×5, first 2 shown]
	ds_read2_b64 v[74:77], v72 offset0:43 offset1:44
	ds_read2_b64 v[78:81], v72 offset0:45 offset1:46
	;; [unrolled: 1-line block ×8, first 2 shown]
	v_cmp_lt_u32_e32 vcc, 7, v0
	s_waitcnt vmcnt(40) lgkmcnt(7)
	v_mul_f32_e32 v106, v74, v73
	s_waitcnt vmcnt(39)
	v_mul_f32_e32 v107, v76, v126
	s_waitcnt vmcnt(38) lgkmcnt(6)
	v_mul_f32_e32 v108, v78, v128
	s_waitcnt vmcnt(37)
	v_mul_f32_e32 v109, v80, v130
	;; [unrolled: 4-line block ×7, first 2 shown]
	s_waitcnt vmcnt(26) lgkmcnt(0)
	v_mul_f32_e32 v127, v102, v146
	s_waitcnt vmcnt(25)
	v_fmac_f32_e32 v106, v75, v147
	s_waitcnt vmcnt(24)
	v_fmac_f32_e32 v107, v77, v148
	v_add_f32_e32 v106, 0, v106
	s_waitcnt vmcnt(23)
	v_fmac_f32_e32 v108, v79, v149
	v_add_f32_e32 v106, v106, v107
	;; [unrolled: 3-line block ×13, first 2 shown]
	v_add_f32_e32 v110, v106, v124
	buffer_load_dword v121, off, s[0:3], 0 offset:252
	buffer_load_dword v120, off, s[0:3], 0 offset:248
	;; [unrolled: 1-line block ×7, first 2 shown]
	s_waitcnt vmcnt(18)
	v_fmac_f32_e32 v127, v103, v161
	ds_read2_b64 v[106:109], v72 offset0:59 offset1:60
	v_add_f32_e32 v127, v110, v127
	ds_read2_b64 v[110:113], v72 offset0:61 offset1:62
	buffer_load_dword v133, off, s[0:3], 0 offset:268
	buffer_load_dword v132, off, s[0:3], 0 offset:264
	;; [unrolled: 1-line block ×4, first 2 shown]
	v_mul_f32_e32 v73, v75, v73
	v_fma_f32 v73, v74, v147, -v73
	v_mul_f32_e32 v74, v77, v126
	v_add_f32_e32 v73, 0, v73
	v_fma_f32 v74, v76, v148, -v74
	v_add_f32_e32 v73, v73, v74
	v_mul_f32_e32 v74, v79, v128
	v_fma_f32 v74, v78, v149, -v74
	v_add_f32_e32 v73, v73, v74
	v_mul_f32_e32 v74, v81, v130
	;; [unrolled: 3-line block ×13, first 2 shown]
	v_fma_f32 v74, v102, v161, -v74
	s_waitcnt vmcnt(13)
	v_mov_b32_e32 v86, v117
	v_mul_f32_e32 v129, v104, v162
	v_add_f32_e32 v126, v73, v74
	v_mul_f32_e32 v73, v105, v162
	s_waitcnt lgkmcnt(1)
	v_pk_mul_f32 v[86:87], v[108:109], v[86:87] op_sel_hi:[1,0]
	v_fmac_f32_e32 v129, v105, v163
	v_mul_f32_e32 v131, v106, v164
	v_fma_f32 v128, v104, v163, -v73
	v_mul_f32_e32 v73, v107, v164
	s_waitcnt vmcnt(12)
	v_pk_fma_f32 v[88:89], v[108:109], v[116:117], v[86:87] op_sel:[0,0,1] op_sel_hi:[1,1,0] neg_lo:[0,0,1] neg_hi:[0,0,1]
	v_pk_fma_f32 v[86:87], v[108:109], v[116:117], v[86:87] op_sel:[0,0,1] op_sel_hi:[1,0,0]
	v_fmac_f32_e32 v131, v107, v165
	v_fma_f32 v130, v106, v165, -v73
	v_pk_add_f32 v[84:85], v[126:127], v[128:129]
	v_mov_b32_e32 v86, v115
	v_pk_add_f32 v[84:85], v[84:85], v[130:131]
	v_mov_b32_e32 v89, v87
	s_waitcnt lgkmcnt(0)
	v_pk_mul_f32 v[86:87], v[110:111], v[86:87] op_sel_hi:[1,0]
	v_pk_add_f32 v[84:85], v[84:85], v[88:89]
	v_pk_fma_f32 v[88:89], v[110:111], v[114:115], v[86:87] op_sel:[0,0,1] op_sel_hi:[1,1,0] neg_lo:[0,0,1] neg_hi:[0,0,1]
	v_pk_fma_f32 v[86:87], v[110:111], v[114:115], v[86:87] op_sel:[0,0,1] op_sel_hi:[1,0,0]
	s_waitcnt vmcnt(11)
	v_mov_b32_e32 v86, v119
	ds_read2_b64 v[74:77], v72 offset0:63 offset1:64
	ds_read2_b64 v[78:81], v72 offset0:65 offset1:66
	ds_read_b64 v[82:83], v72 offset:536
	v_mov_b32_e32 v89, v87
	v_pk_mul_f32 v[86:87], v[112:113], v[86:87] op_sel_hi:[1,0]
	v_pk_add_f32 v[84:85], v[84:85], v[88:89]
	s_waitcnt vmcnt(4)
	v_pk_fma_f32 v[88:89], v[112:113], v[118:119], v[86:87] op_sel:[0,0,1] op_sel_hi:[1,1,0] neg_lo:[0,0,1] neg_hi:[0,0,1]
	v_pk_fma_f32 v[86:87], v[112:113], v[118:119], v[86:87] op_sel:[0,0,1] op_sel_hi:[1,0,0]
	v_mov_b32_e32 v86, v125
	v_mov_b32_e32 v89, v87
	s_waitcnt lgkmcnt(2)
	v_pk_mul_f32 v[86:87], v[74:75], v[86:87] op_sel_hi:[1,0]
	v_pk_add_f32 v[84:85], v[84:85], v[88:89]
	v_pk_fma_f32 v[88:89], v[74:75], v[124:125], v[86:87] op_sel:[0,0,1] op_sel_hi:[1,1,0] neg_lo:[0,0,1] neg_hi:[0,0,1]
	v_pk_fma_f32 v[74:75], v[74:75], v[124:125], v[86:87] op_sel:[0,0,1] op_sel_hi:[1,0,0]
	v_mov_b32_e32 v89, v75
	v_pk_add_f32 v[74:75], v[84:85], v[88:89]
	v_mov_b32_e32 v84, v123
	v_pk_mul_f32 v[84:85], v[76:77], v[84:85] op_sel_hi:[1,0]
	v_pk_fma_f32 v[86:87], v[76:77], v[122:123], v[84:85] op_sel:[0,0,1] op_sel_hi:[1,1,0] neg_lo:[0,0,1] neg_hi:[0,0,1]
	v_pk_fma_f32 v[76:77], v[76:77], v[122:123], v[84:85] op_sel:[0,0,1] op_sel_hi:[1,0,0]
	v_mov_b32_e32 v76, v121
	v_mov_b32_e32 v87, v77
	s_waitcnt lgkmcnt(1)
	v_pk_mul_f32 v[76:77], v[78:79], v[76:77] op_sel_hi:[1,0]
	v_pk_fma_f32 v[84:85], v[78:79], v[120:121], v[76:77] op_sel:[0,0,1] op_sel_hi:[1,1,0] neg_lo:[0,0,1] neg_hi:[0,0,1]
	v_pk_fma_f32 v[76:77], v[78:79], v[120:121], v[76:77] op_sel:[0,0,1] op_sel_hi:[1,0,0]
	s_waitcnt vmcnt(1)
	v_mov_b32_e32 v76, v135
	v_mov_b32_e32 v85, v77
	v_pk_mul_f32 v[76:77], v[80:81], v[76:77] op_sel_hi:[1,0]
	s_waitcnt vmcnt(0)
	v_pk_fma_f32 v[78:79], v[80:81], v[134:135], v[76:77] op_sel:[0,0,1] op_sel_hi:[1,1,0] neg_lo:[0,0,1] neg_hi:[0,0,1]
	v_pk_fma_f32 v[76:77], v[80:81], v[134:135], v[76:77] op_sel:[0,0,1] op_sel_hi:[1,0,0]
	v_pk_add_f32 v[74:75], v[74:75], v[86:87]
	v_mov_b32_e32 v76, v133
	v_pk_add_f32 v[74:75], v[74:75], v[84:85]
	v_mov_b32_e32 v79, v77
	s_waitcnt lgkmcnt(0)
	v_pk_mul_f32 v[76:77], v[82:83], v[76:77] op_sel_hi:[1,0]
	v_pk_add_f32 v[74:75], v[74:75], v[78:79]
	v_pk_fma_f32 v[78:79], v[82:83], v[132:133], v[76:77] op_sel:[0,0,1] op_sel_hi:[1,1,0] neg_lo:[0,0,1] neg_hi:[0,0,1]
	v_pk_fma_f32 v[76:77], v[82:83], v[132:133], v[76:77] op_sel:[0,0,1] op_sel_hi:[1,0,0]
	v_mov_b32_e32 v79, v77
	v_pk_add_f32 v[74:75], v[74:75], v[78:79]
	v_pk_add_f32 v[70:71], v[70:71], v[74:75] neg_lo:[0,1] neg_hi:[0,1]
	buffer_store_dword v71, off, s[0:3], 0 offset:68
	buffer_store_dword v70, off, s[0:3], 0 offset:64
	s_and_saveexec_b64 s[4:5], vcc
	s_cbranch_execz .LBB33_203
; %bb.202:
	buffer_load_dword v70, off, s[0:3], 0 offset:56
	buffer_load_dword v71, off, s[0:3], 0 offset:60
	s_waitcnt vmcnt(0)
	ds_write_b64 v1, v[70:71]
	buffer_store_dword v72, off, s[0:3], 0 offset:56
	buffer_store_dword v72, off, s[0:3], 0 offset:60
.LBB33_203:
	s_or_b64 exec, exec, s[4:5]
	s_waitcnt lgkmcnt(0)
	; wave barrier
	s_waitcnt lgkmcnt(0)
	buffer_load_dword v70, off, s[0:3], 0 offset:68
	buffer_load_dword v71, off, s[0:3], 0 offset:76
	;; [unrolled: 1-line block ×38, first 2 shown]
	ds_read_b128 v[74:77], v72 offset:336
	ds_read_b128 v[78:81], v72 offset:352
	ds_read_b128 v[82:85], v72 offset:368
	ds_read_b128 v[86:89], v72 offset:384
	ds_read_b128 v[90:93], v72 offset:400
	ds_read_b128 v[94:97], v72 offset:416
	ds_read_b128 v[98:101], v72 offset:432
	ds_read_b128 v[102:105], v72 offset:448
	buffer_load_dword v117, off, s[0:3], 0 offset:212
	buffer_load_dword v116, off, s[0:3], 0 offset:208
	;; [unrolled: 1-line block ×4, first 2 shown]
	v_cmp_lt_u32_e32 vcc, 6, v0
	s_waitcnt vmcnt(41) lgkmcnt(7)
	v_mul_f32_e32 v106, v74, v70
	s_waitcnt vmcnt(40)
	v_mul_f32_e32 v107, v76, v71
	s_waitcnt vmcnt(39) lgkmcnt(6)
	v_mul_f32_e32 v108, v78, v73
	s_waitcnt vmcnt(38)
	v_mul_f32_e32 v109, v80, v126
	;; [unrolled: 4-line block ×7, first 2 shown]
	s_waitcnt vmcnt(27) lgkmcnt(0)
	v_mul_f32_e32 v127, v102, v146
	s_waitcnt vmcnt(26)
	v_fmac_f32_e32 v106, v75, v147
	s_waitcnt vmcnt(25)
	v_fmac_f32_e32 v107, v77, v148
	v_add_f32_e32 v106, 0, v106
	s_waitcnt vmcnt(24)
	v_fmac_f32_e32 v108, v79, v149
	v_add_f32_e32 v106, v106, v107
	;; [unrolled: 3-line block ×13, first 2 shown]
	v_add_f32_e32 v106, v106, v125
	buffer_load_dword v121, off, s[0:3], 0 offset:236
	buffer_load_dword v120, off, s[0:3], 0 offset:232
	;; [unrolled: 1-line block ×6, first 2 shown]
	s_waitcnt vmcnt(18)
	v_fmac_f32_e32 v127, v103, v161
	s_waitcnt vmcnt(17)
	v_mul_f32_e32 v111, v104, v162
	v_add_f32_e32 v110, v106, v127
	s_waitcnt vmcnt(16)
	v_fmac_f32_e32 v111, v105, v163
	ds_read_b128 v[106:109], v72 offset:464
	v_add_f32_e32 v127, v110, v111
	ds_read_b128 v[110:113], v72 offset:480
	buffer_load_dword v133, off, s[0:3], 0 offset:268
	buffer_load_dword v132, off, s[0:3], 0 offset:264
	;; [unrolled: 1-line block ×6, first 2 shown]
	v_mul_f32_e32 v70, v75, v70
	v_fma_f32 v70, v74, v147, -v70
	v_mul_f32_e32 v71, v77, v71
	v_add_f32_e32 v70, 0, v70
	v_fma_f32 v71, v76, v148, -v71
	v_add_f32_e32 v70, v70, v71
	v_mul_f32_e32 v71, v79, v73
	v_fma_f32 v71, v78, v149, -v71
	v_add_f32_e32 v70, v70, v71
	v_mul_f32_e32 v71, v81, v126
	;; [unrolled: 3-line block ×14, first 2 shown]
	v_fma_f32 v71, v104, v163, -v71
	s_waitcnt vmcnt(15)
	v_mov_b32_e32 v84, v117
	s_waitcnt lgkmcnt(1)
	v_mul_f32_e32 v129, v106, v164
	v_add_f32_e32 v126, v70, v71
	v_mul_f32_e32 v70, v107, v164
	s_waitcnt lgkmcnt(0)
	v_pk_mul_f32 v[84:85], v[110:111], v[84:85] op_sel_hi:[1,0]
	v_fmac_f32_e32 v129, v107, v165
	v_mul_f32_e32 v131, v108, v166
	v_fma_f32 v128, v106, v165, -v70
	v_mul_f32_e32 v70, v109, v166
	s_waitcnt vmcnt(14)
	v_pk_fma_f32 v[86:87], v[110:111], v[116:117], v[84:85] op_sel:[0,0,1] op_sel_hi:[1,1,0] neg_lo:[0,0,1] neg_hi:[0,0,1]
	v_pk_fma_f32 v[84:85], v[110:111], v[116:117], v[84:85] op_sel:[0,0,1] op_sel_hi:[1,0,0]
	v_fmac_f32_e32 v131, v109, v167
	v_fma_f32 v130, v108, v167, -v70
	v_pk_add_f32 v[82:83], v[126:127], v[128:129]
	ds_read_b128 v[74:77], v72 offset:496
	ds_read_b128 v[78:81], v72 offset:512
	;; [unrolled: 1-line block ×3, first 2 shown]
	v_pk_add_f32 v[82:83], v[82:83], v[130:131]
	v_mov_b32_e32 v87, v85
	v_pk_add_f32 v[82:83], v[82:83], v[86:87]
	s_waitcnt vmcnt(7)
	v_mov_b32_e32 v84, v125
	v_pk_mul_f32 v[84:85], v[112:113], v[84:85] op_sel_hi:[1,0]
	s_waitcnt vmcnt(6)
	v_pk_fma_f32 v[86:87], v[112:113], v[124:125], v[84:85] op_sel:[0,0,1] op_sel_hi:[1,1,0] neg_lo:[0,0,1] neg_hi:[0,0,1]
	v_pk_fma_f32 v[84:85], v[112:113], v[124:125], v[84:85] op_sel:[0,0,1] op_sel_hi:[1,0,0]
	v_mov_b32_e32 v84, v123
	v_mov_b32_e32 v87, v85
	s_waitcnt lgkmcnt(2)
	v_pk_mul_f32 v[84:85], v[74:75], v[84:85] op_sel_hi:[1,0]
	v_pk_add_f32 v[82:83], v[82:83], v[86:87]
	v_pk_fma_f32 v[86:87], v[74:75], v[122:123], v[84:85] op_sel:[0,0,1] op_sel_hi:[1,1,0] neg_lo:[0,0,1] neg_hi:[0,0,1]
	v_pk_fma_f32 v[74:75], v[74:75], v[122:123], v[84:85] op_sel:[0,0,1] op_sel_hi:[1,0,0]
	v_mov_b32_e32 v87, v75
	v_pk_add_f32 v[74:75], v[82:83], v[86:87]
	v_mov_b32_e32 v82, v121
	v_pk_mul_f32 v[82:83], v[76:77], v[82:83] op_sel_hi:[1,0]
	v_pk_fma_f32 v[84:85], v[76:77], v[120:121], v[82:83] op_sel:[0,0,1] op_sel_hi:[1,1,0] neg_lo:[0,0,1] neg_hi:[0,0,1]
	v_pk_fma_f32 v[76:77], v[76:77], v[120:121], v[82:83] op_sel:[0,0,1] op_sel_hi:[1,0,0]
	v_mov_b32_e32 v76, v119
	v_mov_b32_e32 v85, v77
	s_waitcnt lgkmcnt(1)
	v_pk_mul_f32 v[76:77], v[78:79], v[76:77] op_sel_hi:[1,0]
	v_pk_fma_f32 v[82:83], v[78:79], v[118:119], v[76:77] op_sel:[0,0,1] op_sel_hi:[1,1,0] neg_lo:[0,0,1] neg_hi:[0,0,1]
	v_pk_fma_f32 v[76:77], v[78:79], v[118:119], v[76:77] op_sel:[0,0,1] op_sel_hi:[1,0,0]
	s_waitcnt vmcnt(1)
	v_mov_b32_e32 v76, v137
	v_mov_b32_e32 v83, v77
	v_pk_mul_f32 v[76:77], v[80:81], v[76:77] op_sel_hi:[1,0]
	s_waitcnt vmcnt(0)
	v_pk_fma_f32 v[78:79], v[80:81], v[136:137], v[76:77] op_sel:[0,0,1] op_sel_hi:[1,1,0] neg_lo:[0,0,1] neg_hi:[0,0,1]
	v_pk_fma_f32 v[76:77], v[80:81], v[136:137], v[76:77] op_sel:[0,0,1] op_sel_hi:[1,0,0]
	v_pk_add_f32 v[74:75], v[74:75], v[84:85]
	v_mov_b32_e32 v76, v135
	v_pk_add_f32 v[74:75], v[74:75], v[82:83]
	v_mov_b32_e32 v79, v77
	s_waitcnt lgkmcnt(0)
	v_pk_mul_f32 v[76:77], v[70:71], v[76:77] op_sel_hi:[1,0]
	v_pk_add_f32 v[74:75], v[74:75], v[78:79]
	v_pk_fma_f32 v[78:79], v[70:71], v[134:135], v[76:77] op_sel:[0,0,1] op_sel_hi:[1,1,0] neg_lo:[0,0,1] neg_hi:[0,0,1]
	v_pk_fma_f32 v[70:71], v[70:71], v[134:135], v[76:77] op_sel:[0,0,1] op_sel_hi:[1,0,0]
	v_mov_b32_e32 v79, v71
	v_pk_add_f32 v[70:71], v[74:75], v[78:79]
	v_mov_b32_e32 v74, v133
	v_pk_mul_f32 v[74:75], v[72:73], v[74:75] op_sel_hi:[1,0]
	v_pk_fma_f32 v[76:77], v[72:73], v[132:133], v[74:75] op_sel:[0,0,1] op_sel_hi:[1,1,0] neg_lo:[0,0,1] neg_hi:[0,0,1]
	v_pk_fma_f32 v[72:73], v[72:73], v[132:133], v[74:75] op_sel:[0,0,1] op_sel_hi:[1,0,0]
	v_mov_b32_e32 v77, v73
	v_pk_add_f32 v[70:71], v[70:71], v[76:77]
	v_pk_add_f32 v[70:71], v[114:115], v[70:71] neg_lo:[0,1] neg_hi:[0,1]
	buffer_store_dword v71, off, s[0:3], 0 offset:60
	buffer_store_dword v70, off, s[0:3], 0 offset:56
	s_and_saveexec_b64 s[4:5], vcc
	s_cbranch_execz .LBB33_205
; %bb.204:
	buffer_load_dword v70, off, s[0:3], 0 offset:48
	buffer_load_dword v71, off, s[0:3], 0 offset:52
	v_mov_b32_e32 v72, 0
	buffer_store_dword v72, off, s[0:3], 0 offset:48
	buffer_store_dword v72, off, s[0:3], 0 offset:52
	s_waitcnt vmcnt(2)
	ds_write_b64 v1, v[70:71]
.LBB33_205:
	s_or_b64 exec, exec, s[4:5]
	s_waitcnt lgkmcnt(0)
	; wave barrier
	s_waitcnt lgkmcnt(0)
	buffer_load_dword v73, off, s[0:3], 0 offset:60
	buffer_load_dword v122, off, s[0:3], 0 offset:68
	;; [unrolled: 1-line block ×40, first 2 shown]
	v_mov_b32_e32 v72, 0
	ds_read2_b64 v[74:77], v72 offset0:41 offset1:42
	ds_read2_b64 v[78:81], v72 offset0:43 offset1:44
	;; [unrolled: 1-line block ×8, first 2 shown]
	v_cmp_lt_u32_e32 vcc, 5, v0
	s_waitcnt vmcnt(39) lgkmcnt(7)
	v_mul_f32_e32 v106, v74, v73
	s_waitcnt vmcnt(38)
	v_mul_f32_e32 v107, v76, v122
	s_waitcnt vmcnt(37) lgkmcnt(6)
	v_mul_f32_e32 v108, v78, v124
	s_waitcnt vmcnt(36)
	v_mul_f32_e32 v109, v80, v126
	;; [unrolled: 4-line block ×8, first 2 shown]
	s_waitcnt vmcnt(23)
	v_fmac_f32_e32 v106, v75, v148
	s_waitcnt vmcnt(22)
	v_fmac_f32_e32 v107, v77, v149
	v_add_f32_e32 v106, 0, v106
	s_waitcnt vmcnt(21)
	v_fmac_f32_e32 v108, v79, v150
	v_add_f32_e32 v106, v106, v107
	;; [unrolled: 3-line block ×14, first 2 shown]
	v_add_f32_e32 v106, v106, v120
	s_waitcnt vmcnt(8)
	v_fmac_f32_e32 v121, v105, v163
	v_add_f32_e32 v123, v106, v121
	ds_read2_b64 v[106:109], v72 offset0:57 offset1:58
	buffer_load_dword v115, off, s[0:3], 0 offset:212
	buffer_load_dword v117, off, s[0:3], 0 offset:236
	;; [unrolled: 1-line block ×8, first 2 shown]
	ds_read2_b64 v[110:113], v72 offset0:59 offset1:60
	buffer_load_dword v129, off, s[0:3], 0 offset:268
	buffer_load_dword v128, off, s[0:3], 0 offset:264
	;; [unrolled: 1-line block ×8, first 2 shown]
	v_mul_f32_e32 v73, v75, v73
	v_fma_f32 v73, v74, v148, -v73
	v_mul_f32_e32 v74, v77, v122
	v_add_f32_e32 v73, 0, v73
	v_fma_f32 v74, v76, v149, -v74
	v_add_f32_e32 v73, v73, v74
	v_mul_f32_e32 v74, v79, v124
	v_fma_f32 v74, v78, v150, -v74
	v_add_f32_e32 v73, v73, v74
	v_mul_f32_e32 v74, v81, v126
	;; [unrolled: 3-line block ×14, first 2 shown]
	v_fma_f32 v74, v104, v163, -v74
	s_waitcnt vmcnt(23) lgkmcnt(1)
	v_mul_f32_e32 v125, v106, v164
	v_add_f32_e32 v73, v73, v74
	v_mul_f32_e32 v74, v107, v164
	s_waitcnt vmcnt(22)
	v_fmac_f32_e32 v125, v107, v165
	v_fma_f32 v74, v106, v165, -v74
	v_add_f32_e32 v123, v123, v125
	s_waitcnt vmcnt(21)
	v_mul_f32_e32 v125, v108, v166
	v_add_f32_e32 v122, v73, v74
	v_mul_f32_e32 v73, v109, v166
	s_waitcnt vmcnt(20)
	v_fmac_f32_e32 v125, v109, v167
	s_waitcnt vmcnt(19) lgkmcnt(0)
	v_mul_f32_e32 v127, v110, v168
	v_fma_f32 v124, v108, v167, -v73
	v_mul_f32_e32 v73, v111, v168
	ds_read2_b64 v[74:77], v72 offset0:61 offset1:62
	ds_read2_b64 v[78:81], v72 offset0:63 offset1:64
	ds_read2_b64 v[82:85], v72 offset0:65 offset1:66
	ds_read_b64 v[86:87], v72 offset:536
	s_waitcnt vmcnt(18)
	v_fmac_f32_e32 v127, v111, v169
	v_fma_f32 v126, v110, v169, -v73
	v_pk_add_f32 v[88:89], v[122:123], v[124:125]
	v_pk_add_f32 v[88:89], v[88:89], v[126:127]
	s_waitcnt vmcnt(15)
	v_mov_b32_e32 v90, v115
	v_pk_mul_f32 v[90:91], v[112:113], v[90:91] op_sel_hi:[1,0]
	s_waitcnt vmcnt(8)
	v_pk_fma_f32 v[92:93], v[112:113], v[114:115], v[90:91] op_sel:[0,0,1] op_sel_hi:[1,1,0] neg_lo:[0,0,1] neg_hi:[0,0,1]
	v_pk_fma_f32 v[90:91], v[112:113], v[114:115], v[90:91] op_sel:[0,0,1] op_sel_hi:[1,0,0]
	v_mov_b32_e32 v90, v121
	v_mov_b32_e32 v93, v91
	s_waitcnt lgkmcnt(3)
	v_pk_mul_f32 v[90:91], v[74:75], v[90:91] op_sel_hi:[1,0]
	v_pk_add_f32 v[88:89], v[88:89], v[92:93]
	v_pk_fma_f32 v[92:93], v[74:75], v[120:121], v[90:91] op_sel:[0,0,1] op_sel_hi:[1,1,0] neg_lo:[0,0,1] neg_hi:[0,0,1]
	v_pk_fma_f32 v[74:75], v[74:75], v[120:121], v[90:91] op_sel:[0,0,1] op_sel_hi:[1,0,0]
	v_mov_b32_e32 v93, v75
	v_pk_add_f32 v[74:75], v[88:89], v[92:93]
	v_mov_b32_e32 v88, v119
	v_pk_mul_f32 v[88:89], v[76:77], v[88:89] op_sel_hi:[1,0]
	v_pk_fma_f32 v[90:91], v[76:77], v[118:119], v[88:89] op_sel:[0,0,1] op_sel_hi:[1,1,0] neg_lo:[0,0,1] neg_hi:[0,0,1]
	v_pk_fma_f32 v[76:77], v[76:77], v[118:119], v[88:89] op_sel:[0,0,1] op_sel_hi:[1,0,0]
	v_mov_b32_e32 v76, v117
	v_mov_b32_e32 v91, v77
	s_waitcnt lgkmcnt(2)
	v_pk_mul_f32 v[76:77], v[78:79], v[76:77] op_sel_hi:[1,0]
	v_pk_fma_f32 v[88:89], v[78:79], v[116:117], v[76:77] op_sel:[0,0,1] op_sel_hi:[1,1,0] neg_lo:[0,0,1] neg_hi:[0,0,1]
	v_pk_fma_f32 v[76:77], v[78:79], v[116:117], v[76:77] op_sel:[0,0,1] op_sel_hi:[1,0,0]
	s_waitcnt vmcnt(1)
	v_mov_b32_e32 v76, v135
	v_mov_b32_e32 v89, v77
	v_pk_mul_f32 v[76:77], v[80:81], v[76:77] op_sel_hi:[1,0]
	s_waitcnt vmcnt(0)
	v_pk_fma_f32 v[78:79], v[80:81], v[134:135], v[76:77] op_sel:[0,0,1] op_sel_hi:[1,1,0] neg_lo:[0,0,1] neg_hi:[0,0,1]
	v_pk_fma_f32 v[76:77], v[80:81], v[134:135], v[76:77] op_sel:[0,0,1] op_sel_hi:[1,0,0]
	v_pk_add_f32 v[74:75], v[74:75], v[90:91]
	v_mov_b32_e32 v76, v133
	v_pk_add_f32 v[74:75], v[74:75], v[88:89]
	v_mov_b32_e32 v79, v77
	s_waitcnt lgkmcnt(1)
	v_pk_mul_f32 v[76:77], v[82:83], v[76:77] op_sel_hi:[1,0]
	v_pk_add_f32 v[74:75], v[74:75], v[78:79]
	v_pk_fma_f32 v[78:79], v[82:83], v[132:133], v[76:77] op_sel:[0,0,1] op_sel_hi:[1,1,0] neg_lo:[0,0,1] neg_hi:[0,0,1]
	v_pk_fma_f32 v[76:77], v[82:83], v[132:133], v[76:77] op_sel:[0,0,1] op_sel_hi:[1,0,0]
	v_mov_b32_e32 v76, v131
	v_mov_b32_e32 v79, v77
	v_pk_mul_f32 v[76:77], v[84:85], v[76:77] op_sel_hi:[1,0]
	v_pk_add_f32 v[74:75], v[74:75], v[78:79]
	v_pk_fma_f32 v[78:79], v[84:85], v[130:131], v[76:77] op_sel:[0,0,1] op_sel_hi:[1,1,0] neg_lo:[0,0,1] neg_hi:[0,0,1]
	v_pk_fma_f32 v[76:77], v[84:85], v[130:131], v[76:77] op_sel:[0,0,1] op_sel_hi:[1,0,0]
	v_mov_b32_e32 v76, v129
	v_mov_b32_e32 v79, v77
	s_waitcnt lgkmcnt(0)
	v_pk_mul_f32 v[76:77], v[86:87], v[76:77] op_sel_hi:[1,0]
	v_pk_add_f32 v[74:75], v[74:75], v[78:79]
	v_pk_fma_f32 v[78:79], v[86:87], v[128:129], v[76:77] op_sel:[0,0,1] op_sel_hi:[1,1,0] neg_lo:[0,0,1] neg_hi:[0,0,1]
	v_pk_fma_f32 v[76:77], v[86:87], v[128:129], v[76:77] op_sel:[0,0,1] op_sel_hi:[1,0,0]
	v_mov_b32_e32 v79, v77
	v_pk_add_f32 v[74:75], v[74:75], v[78:79]
	v_pk_add_f32 v[70:71], v[70:71], v[74:75] neg_lo:[0,1] neg_hi:[0,1]
	buffer_store_dword v71, off, s[0:3], 0 offset:52
	buffer_store_dword v70, off, s[0:3], 0 offset:48
	s_and_saveexec_b64 s[4:5], vcc
	s_cbranch_execz .LBB33_207
; %bb.206:
	buffer_load_dword v70, off, s[0:3], 0 offset:40
	buffer_load_dword v71, off, s[0:3], 0 offset:44
	s_waitcnt vmcnt(0)
	ds_write_b64 v1, v[70:71]
	buffer_store_dword v72, off, s[0:3], 0 offset:40
	buffer_store_dword v72, off, s[0:3], 0 offset:44
.LBB33_207:
	s_or_b64 exec, exec, s[4:5]
	s_waitcnt lgkmcnt(0)
	; wave barrier
	s_waitcnt lgkmcnt(0)
	buffer_load_dword v73, off, s[0:3], 0 offset:52
	buffer_load_dword v114, off, s[0:3], 0 offset:60
	;; [unrolled: 1-line block ×42, first 2 shown]
	ds_read_b128 v[74:77], v72 offset:320
	ds_read_b128 v[78:81], v72 offset:336
	;; [unrolled: 1-line block ×8, first 2 shown]
	v_cmp_lt_u32_e32 vcc, 4, v0
	s_waitcnt vmcnt(41) lgkmcnt(7)
	v_mul_f32_e32 v106, v74, v73
	s_waitcnt vmcnt(40)
	v_mul_f32_e32 v107, v76, v114
	s_waitcnt vmcnt(39) lgkmcnt(6)
	v_mul_f32_e32 v108, v78, v116
	s_waitcnt vmcnt(38)
	v_mul_f32_e32 v109, v80, v124
	s_waitcnt vmcnt(37) lgkmcnt(5)
	v_mul_f32_e32 v110, v82, v136
	s_waitcnt vmcnt(36)
	v_mul_f32_e32 v111, v84, v137
	s_waitcnt vmcnt(35) lgkmcnt(4)
	v_mul_f32_e32 v112, v86, v138
	s_waitcnt vmcnt(34)
	v_mul_f32_e32 v113, v88, v139
	s_waitcnt vmcnt(33) lgkmcnt(3)
	v_mul_f32_e32 v115, v90, v140
	s_waitcnt vmcnt(32)
	v_mul_f32_e32 v117, v92, v141
	s_waitcnt vmcnt(31) lgkmcnt(2)
	v_mul_f32_e32 v118, v94, v142
	s_waitcnt vmcnt(30)
	v_mul_f32_e32 v119, v96, v143
	s_waitcnt vmcnt(29) lgkmcnt(1)
	v_mul_f32_e32 v120, v98, v144
	s_waitcnt vmcnt(28)
	v_mul_f32_e32 v121, v100, v145
	s_waitcnt vmcnt(27) lgkmcnt(0)
	v_mul_f32_e32 v122, v102, v146
	s_waitcnt vmcnt(26)
	v_fmac_f32_e32 v106, v75, v147
	s_waitcnt vmcnt(25)
	v_fmac_f32_e32 v107, v77, v148
	v_add_f32_e32 v106, 0, v106
	s_waitcnt vmcnt(24)
	v_fmac_f32_e32 v108, v79, v149
	v_add_f32_e32 v106, v106, v107
	;; [unrolled: 3-line block ×14, first 2 shown]
	s_waitcnt vmcnt(11)
	v_mul_f32_e32 v111, v104, v162
	v_add_f32_e32 v110, v106, v122
	s_waitcnt vmcnt(10)
	v_fmac_f32_e32 v111, v105, v163
	ds_read_b128 v[106:109], v72 offset:448
	v_add_f32_e32 v115, v110, v111
	ds_read_b128 v[110:113], v72 offset:464
	buffer_load_dword v119, off, s[0:3], 0 offset:212
	buffer_load_dword v121, off, s[0:3], 0 offset:228
	;; [unrolled: 1-line block ×16, first 2 shown]
	v_mul_f32_e32 v73, v75, v73
	v_fma_f32 v73, v74, v147, -v73
	v_mul_f32_e32 v74, v77, v114
	v_add_f32_e32 v73, 0, v73
	v_fma_f32 v74, v76, v148, -v74
	v_add_f32_e32 v73, v73, v74
	v_mul_f32_e32 v74, v79, v116
	v_fma_f32 v74, v78, v149, -v74
	v_add_f32_e32 v73, v73, v74
	v_mul_f32_e32 v74, v81, v124
	;; [unrolled: 3-line block ×14, first 2 shown]
	v_fma_f32 v74, v104, v163, -v74
	v_add_f32_e32 v73, v73, v74
	s_waitcnt vmcnt(25) lgkmcnt(1)
	v_mul_f32_e32 v74, v107, v164
	s_waitcnt vmcnt(24)
	v_fma_f32 v74, v106, v165, -v74
	v_add_f32_e32 v73, v73, v74
	s_waitcnt vmcnt(23)
	v_mul_f32_e32 v74, v109, v166
	s_waitcnt vmcnt(22)
	v_fma_f32 v74, v108, v167, -v74
	v_add_f32_e32 v114, v73, v74
	ds_read_b128 v[74:77], v72 offset:480
	ds_read_b128 v[78:81], v72 offset:496
	;; [unrolled: 1-line block ×4, first 2 shown]
	v_mul_f32_e32 v117, v106, v164
	v_fmac_f32_e32 v117, v107, v165
	v_add_f32_e32 v115, v115, v117
	v_mul_f32_e32 v117, v108, v166
	v_fmac_f32_e32 v117, v109, v167
	v_add_f32_e32 v115, v115, v117
	s_waitcnt vmcnt(21) lgkmcnt(4)
	v_mul_f32_e32 v117, v110, v168
	v_mul_f32_e32 v73, v111, v168
	s_waitcnt vmcnt(20)
	v_fmac_f32_e32 v117, v111, v169
	s_waitcnt vmcnt(19)
	v_mul_f32_e32 v125, v112, v170
	v_fma_f32 v116, v110, v169, -v73
	v_mul_f32_e32 v73, v113, v170
	s_waitcnt vmcnt(18)
	v_fmac_f32_e32 v125, v113, v171
	v_fma_f32 v124, v112, v171, -v73
	v_pk_add_f32 v[72:73], v[114:115], v[116:117]
	v_pk_add_f32 v[72:73], v[72:73], v[124:125]
	s_waitcnt vmcnt(15)
	v_mov_b32_e32 v90, v119
	s_waitcnt lgkmcnt(3)
	v_pk_mul_f32 v[90:91], v[74:75], v[90:91] op_sel_hi:[1,0]
	s_waitcnt vmcnt(10)
	v_pk_fma_f32 v[92:93], v[74:75], v[118:119], v[90:91] op_sel:[0,0,1] op_sel_hi:[1,1,0] neg_lo:[0,0,1] neg_hi:[0,0,1]
	v_pk_fma_f32 v[74:75], v[74:75], v[118:119], v[90:91] op_sel:[0,0,1] op_sel_hi:[1,0,0]
	v_mov_b32_e32 v74, v123
	v_mov_b32_e32 v93, v75
	v_pk_mul_f32 v[74:75], v[76:77], v[74:75] op_sel_hi:[1,0]
	v_pk_fma_f32 v[90:91], v[76:77], v[122:123], v[74:75] op_sel:[0,0,1] op_sel_hi:[1,1,0] neg_lo:[0,0,1] neg_hi:[0,0,1]
	v_pk_fma_f32 v[74:75], v[76:77], v[122:123], v[74:75] op_sel:[0,0,1] op_sel_hi:[1,0,0]
	v_mov_b32_e32 v74, v121
	v_mov_b32_e32 v91, v75
	s_waitcnt lgkmcnt(2)
	v_pk_mul_f32 v[74:75], v[78:79], v[74:75] op_sel_hi:[1,0]
	v_pk_fma_f32 v[76:77], v[78:79], v[120:121], v[74:75] op_sel:[0,0,1] op_sel_hi:[1,1,0] neg_lo:[0,0,1] neg_hi:[0,0,1]
	v_pk_fma_f32 v[74:75], v[78:79], v[120:121], v[74:75] op_sel:[0,0,1] op_sel_hi:[1,0,0]
	v_pk_add_f32 v[72:73], v[72:73], v[92:93]
	s_waitcnt vmcnt(3)
	v_mov_b32_e32 v74, v133
	v_pk_add_f32 v[72:73], v[72:73], v[90:91]
	v_mov_b32_e32 v77, v75
	v_pk_mul_f32 v[74:75], v[80:81], v[74:75] op_sel_hi:[1,0]
	v_pk_add_f32 v[72:73], v[72:73], v[76:77]
	s_waitcnt vmcnt(2)
	v_pk_fma_f32 v[76:77], v[80:81], v[132:133], v[74:75] op_sel:[0,0,1] op_sel_hi:[1,1,0] neg_lo:[0,0,1] neg_hi:[0,0,1]
	v_pk_fma_f32 v[74:75], v[80:81], v[132:133], v[74:75] op_sel:[0,0,1] op_sel_hi:[1,0,0]
	v_mov_b32_e32 v74, v131
	v_mov_b32_e32 v77, v75
	s_waitcnt lgkmcnt(1)
	v_pk_mul_f32 v[74:75], v[82:83], v[74:75] op_sel_hi:[1,0]
	v_pk_add_f32 v[72:73], v[72:73], v[76:77]
	v_pk_fma_f32 v[76:77], v[82:83], v[130:131], v[74:75] op_sel:[0,0,1] op_sel_hi:[1,1,0] neg_lo:[0,0,1] neg_hi:[0,0,1]
	v_pk_fma_f32 v[74:75], v[82:83], v[130:131], v[74:75] op_sel:[0,0,1] op_sel_hi:[1,0,0]
	v_mov_b32_e32 v74, v129
	v_mov_b32_e32 v77, v75
	v_pk_mul_f32 v[74:75], v[84:85], v[74:75] op_sel_hi:[1,0]
	v_pk_add_f32 v[72:73], v[72:73], v[76:77]
	v_pk_fma_f32 v[76:77], v[84:85], v[128:129], v[74:75] op_sel:[0,0,1] op_sel_hi:[1,1,0] neg_lo:[0,0,1] neg_hi:[0,0,1]
	v_pk_fma_f32 v[74:75], v[84:85], v[128:129], v[74:75] op_sel:[0,0,1] op_sel_hi:[1,0,0]
	v_mov_b32_e32 v74, v127
	v_mov_b32_e32 v77, v75
	s_waitcnt lgkmcnt(0)
	v_pk_mul_f32 v[74:75], v[86:87], v[74:75] op_sel_hi:[1,0]
	v_pk_add_f32 v[72:73], v[72:73], v[76:77]
	v_pk_fma_f32 v[76:77], v[86:87], v[126:127], v[74:75] op_sel:[0,0,1] op_sel_hi:[1,1,0] neg_lo:[0,0,1] neg_hi:[0,0,1]
	v_pk_fma_f32 v[74:75], v[86:87], v[126:127], v[74:75] op_sel:[0,0,1] op_sel_hi:[1,0,0]
	s_waitcnt vmcnt(1)
	v_mov_b32_e32 v74, v135
	v_mov_b32_e32 v77, v75
	v_pk_mul_f32 v[74:75], v[88:89], v[74:75] op_sel_hi:[1,0]
	v_pk_add_f32 v[72:73], v[72:73], v[76:77]
	s_waitcnt vmcnt(0)
	v_pk_fma_f32 v[76:77], v[88:89], v[134:135], v[74:75] op_sel:[0,0,1] op_sel_hi:[1,1,0] neg_lo:[0,0,1] neg_hi:[0,0,1]
	v_pk_fma_f32 v[74:75], v[88:89], v[134:135], v[74:75] op_sel:[0,0,1] op_sel_hi:[1,0,0]
	v_mov_b32_e32 v77, v75
	v_pk_add_f32 v[72:73], v[72:73], v[76:77]
	v_pk_add_f32 v[70:71], v[70:71], v[72:73] neg_lo:[0,1] neg_hi:[0,1]
	buffer_store_dword v71, off, s[0:3], 0 offset:44
	buffer_store_dword v70, off, s[0:3], 0 offset:40
	s_and_saveexec_b64 s[4:5], vcc
	s_cbranch_execz .LBB33_209
; %bb.208:
	buffer_load_dword v70, off, s[0:3], 0 offset:32
	buffer_load_dword v71, off, s[0:3], 0 offset:36
	v_mov_b32_e32 v72, 0
	buffer_store_dword v72, off, s[0:3], 0 offset:32
	buffer_store_dword v72, off, s[0:3], 0 offset:36
	s_waitcnt vmcnt(2)
	ds_write_b64 v1, v[70:71]
.LBB33_209:
	s_or_b64 exec, exec, s[4:5]
	s_waitcnt lgkmcnt(0)
	; wave barrier
	s_waitcnt lgkmcnt(0)
	buffer_load_dword v73, off, s[0:3], 0 offset:44
	buffer_load_dword v122, off, s[0:3], 0 offset:52
	;; [unrolled: 1-line block ×44, first 2 shown]
	v_mov_b32_e32 v72, 0
	ds_read2_b64 v[74:77], v72 offset0:39 offset1:40
	ds_read2_b64 v[78:81], v72 offset0:41 offset1:42
	;; [unrolled: 1-line block ×8, first 2 shown]
	v_cmp_lt_u32_e32 vcc, 3, v0
	s_waitcnt vmcnt(43) lgkmcnt(7)
	v_mul_f32_e32 v106, v74, v73
	s_waitcnt vmcnt(42)
	v_mul_f32_e32 v107, v76, v122
	s_waitcnt vmcnt(41) lgkmcnt(6)
	v_mul_f32_e32 v108, v78, v128
	s_waitcnt vmcnt(40)
	v_mul_f32_e32 v109, v80, v130
	;; [unrolled: 4-line block ×7, first 2 shown]
	s_waitcnt vmcnt(29)
	v_fmac_f32_e32 v106, v75, v154
	s_waitcnt vmcnt(28)
	v_fmac_f32_e32 v107, v77, v155
	v_add_f32_e32 v106, 0, v106
	s_waitcnt vmcnt(27)
	v_fmac_f32_e32 v108, v79, v156
	v_add_f32_e32 v106, v106, v107
	;; [unrolled: 3-line block ×12, first 2 shown]
	v_add_f32_e32 v106, v106, v118
	s_waitcnt vmcnt(16)
	v_fmac_f32_e32 v119, v101, v167
	s_waitcnt vmcnt(15) lgkmcnt(0)
	v_mul_f32_e32 v107, v102, v168
	v_add_f32_e32 v106, v106, v119
	s_waitcnt vmcnt(14)
	v_fmac_f32_e32 v107, v103, v169
	v_add_f32_e32 v110, v106, v107
	ds_read2_b64 v[106:109], v72 offset0:55 offset1:56
	s_waitcnt vmcnt(13)
	v_mul_f32_e32 v111, v104, v170
	s_waitcnt vmcnt(12)
	v_fmac_f32_e32 v111, v105, v171
	v_add_f32_e32 v114, v110, v111
	ds_read2_b64 v[110:113], v72 offset0:57 offset1:58
	s_waitcnt vmcnt(11) lgkmcnt(1)
	v_mul_f32_e32 v115, v106, v172
	s_waitcnt vmcnt(10)
	v_fmac_f32_e32 v115, v107, v173
	v_add_f32_e32 v114, v114, v115
	s_waitcnt vmcnt(9)
	v_mul_f32_e32 v115, v108, v174
	s_waitcnt vmcnt(8)
	v_fmac_f32_e32 v115, v109, v175
	v_add_f32_e32 v114, v114, v115
	s_waitcnt vmcnt(7) lgkmcnt(0)
	v_mul_f32_e32 v115, v110, v176
	s_waitcnt vmcnt(6)
	v_fmac_f32_e32 v115, v111, v177
	v_add_f32_e32 v123, v114, v115
	ds_read2_b64 v[114:117], v72 offset0:59 offset1:60
	buffer_load_dword v125, off, s[0:3], 0 offset:220
	buffer_load_dword v124, off, s[0:3], 0 offset:216
	buffer_load_dword v127, off, s[0:3], 0 offset:212
	buffer_load_dword v126, off, s[0:3], 0 offset:208
	ds_read2_b64 v[118:121], v72 offset0:61 offset1:62
	buffer_load_dword v133, off, s[0:3], 0 offset:252
	buffer_load_dword v132, off, s[0:3], 0 offset:248
	;; [unrolled: 1-line block ×12, first 2 shown]
	v_mul_f32_e32 v73, v75, v73
	v_fma_f32 v73, v74, v154, -v73
	v_mul_f32_e32 v74, v77, v122
	v_add_f32_e32 v73, 0, v73
	v_fma_f32 v74, v76, v155, -v74
	v_add_f32_e32 v73, v73, v74
	v_mul_f32_e32 v74, v79, v128
	v_fma_f32 v74, v78, v156, -v74
	v_add_f32_e32 v73, v73, v74
	v_mul_f32_e32 v74, v81, v130
	;; [unrolled: 3-line block ×17, first 2 shown]
	v_fma_f32 v74, v110, v177, -v74
	s_waitcnt vmcnt(21)
	v_mul_f32_e32 v129, v112, v178
	v_add_f32_e32 v122, v73, v74
	v_mul_f32_e32 v73, v113, v178
	s_waitcnt vmcnt(20)
	v_fmac_f32_e32 v129, v113, v179
	s_waitcnt vmcnt(19) lgkmcnt(1)
	v_mul_f32_e32 v131, v114, v180
	v_fma_f32 v128, v112, v179, -v73
	v_mul_f32_e32 v73, v115, v180
	s_waitcnt vmcnt(18)
	v_fmac_f32_e32 v131, v115, v181
	v_fma_f32 v130, v114, v181, -v73
	v_pk_add_f32 v[84:85], v[122:123], v[128:129]
	v_pk_add_f32 v[84:85], v[84:85], v[130:131]
	ds_read2_b64 v[74:77], v72 offset0:63 offset1:64
	ds_read2_b64 v[78:81], v72 offset0:65 offset1:66
	ds_read_b64 v[82:83], v72 offset:536
	s_waitcnt vmcnt(13)
	v_mov_b32_e32 v86, v127
	v_pk_mul_f32 v[86:87], v[116:117], v[86:87] op_sel_hi:[1,0]
	s_waitcnt vmcnt(12)
	v_pk_fma_f32 v[88:89], v[116:117], v[126:127], v[86:87] op_sel:[0,0,1] op_sel_hi:[1,1,0] neg_lo:[0,0,1] neg_hi:[0,0,1]
	v_pk_fma_f32 v[86:87], v[116:117], v[126:127], v[86:87] op_sel:[0,0,1] op_sel_hi:[1,0,0]
	v_mov_b32_e32 v86, v125
	v_mov_b32_e32 v89, v87
	s_waitcnt lgkmcnt(3)
	v_pk_mul_f32 v[86:87], v[118:119], v[86:87] op_sel_hi:[1,0]
	v_pk_add_f32 v[84:85], v[84:85], v[88:89]
	v_pk_fma_f32 v[88:89], v[118:119], v[124:125], v[86:87] op_sel:[0,0,1] op_sel_hi:[1,1,0] neg_lo:[0,0,1] neg_hi:[0,0,1]
	v_pk_fma_f32 v[86:87], v[118:119], v[124:125], v[86:87] op_sel:[0,0,1] op_sel_hi:[1,0,0]
	s_waitcnt vmcnt(5)
	v_mov_b32_e32 v86, v139
	v_mov_b32_e32 v89, v87
	v_pk_mul_f32 v[86:87], v[120:121], v[86:87] op_sel_hi:[1,0]
	v_pk_add_f32 v[84:85], v[84:85], v[88:89]
	s_waitcnt vmcnt(4)
	v_pk_fma_f32 v[88:89], v[120:121], v[138:139], v[86:87] op_sel:[0,0,1] op_sel_hi:[1,1,0] neg_lo:[0,0,1] neg_hi:[0,0,1]
	v_pk_fma_f32 v[86:87], v[120:121], v[138:139], v[86:87] op_sel:[0,0,1] op_sel_hi:[1,0,0]
	v_mov_b32_e32 v86, v137
	v_mov_b32_e32 v89, v87
	s_waitcnt lgkmcnt(2)
	v_pk_mul_f32 v[86:87], v[74:75], v[86:87] op_sel_hi:[1,0]
	v_pk_add_f32 v[84:85], v[84:85], v[88:89]
	v_pk_fma_f32 v[88:89], v[74:75], v[136:137], v[86:87] op_sel:[0,0,1] op_sel_hi:[1,1,0] neg_lo:[0,0,1] neg_hi:[0,0,1]
	v_pk_fma_f32 v[74:75], v[74:75], v[136:137], v[86:87] op_sel:[0,0,1] op_sel_hi:[1,0,0]
	v_mov_b32_e32 v89, v75
	v_pk_add_f32 v[74:75], v[84:85], v[88:89]
	v_mov_b32_e32 v84, v135
	v_pk_mul_f32 v[84:85], v[76:77], v[84:85] op_sel_hi:[1,0]
	v_pk_fma_f32 v[86:87], v[76:77], v[134:135], v[84:85] op_sel:[0,0,1] op_sel_hi:[1,1,0] neg_lo:[0,0,1] neg_hi:[0,0,1]
	v_pk_fma_f32 v[76:77], v[76:77], v[134:135], v[84:85] op_sel:[0,0,1] op_sel_hi:[1,0,0]
	v_mov_b32_e32 v76, v133
	v_mov_b32_e32 v87, v77
	s_waitcnt lgkmcnt(1)
	v_pk_mul_f32 v[76:77], v[78:79], v[76:77] op_sel_hi:[1,0]
	v_pk_fma_f32 v[84:85], v[78:79], v[132:133], v[76:77] op_sel:[0,0,1] op_sel_hi:[1,1,0] neg_lo:[0,0,1] neg_hi:[0,0,1]
	v_pk_fma_f32 v[76:77], v[78:79], v[132:133], v[76:77] op_sel:[0,0,1] op_sel_hi:[1,0,0]
	s_waitcnt vmcnt(1)
	v_mov_b32_e32 v76, v143
	v_mov_b32_e32 v85, v77
	v_pk_mul_f32 v[76:77], v[80:81], v[76:77] op_sel_hi:[1,0]
	s_waitcnt vmcnt(0)
	v_pk_fma_f32 v[78:79], v[80:81], v[142:143], v[76:77] op_sel:[0,0,1] op_sel_hi:[1,1,0] neg_lo:[0,0,1] neg_hi:[0,0,1]
	v_pk_fma_f32 v[76:77], v[80:81], v[142:143], v[76:77] op_sel:[0,0,1] op_sel_hi:[1,0,0]
	v_pk_add_f32 v[74:75], v[74:75], v[86:87]
	v_mov_b32_e32 v76, v141
	v_pk_add_f32 v[74:75], v[74:75], v[84:85]
	v_mov_b32_e32 v79, v77
	s_waitcnt lgkmcnt(0)
	v_pk_mul_f32 v[76:77], v[82:83], v[76:77] op_sel_hi:[1,0]
	v_pk_add_f32 v[74:75], v[74:75], v[78:79]
	v_pk_fma_f32 v[78:79], v[82:83], v[140:141], v[76:77] op_sel:[0,0,1] op_sel_hi:[1,1,0] neg_lo:[0,0,1] neg_hi:[0,0,1]
	v_pk_fma_f32 v[76:77], v[82:83], v[140:141], v[76:77] op_sel:[0,0,1] op_sel_hi:[1,0,0]
	v_mov_b32_e32 v79, v77
	v_pk_add_f32 v[74:75], v[74:75], v[78:79]
	v_pk_add_f32 v[70:71], v[70:71], v[74:75] neg_lo:[0,1] neg_hi:[0,1]
	buffer_store_dword v71, off, s[0:3], 0 offset:36
	buffer_store_dword v70, off, s[0:3], 0 offset:32
	s_and_saveexec_b64 s[4:5], vcc
	s_cbranch_execz .LBB33_211
; %bb.210:
	buffer_load_dword v70, off, s[0:3], 0 offset:24
	buffer_load_dword v71, off, s[0:3], 0 offset:28
	s_waitcnt vmcnt(0)
	ds_write_b64 v1, v[70:71]
	buffer_store_dword v72, off, s[0:3], 0 offset:24
	buffer_store_dword v72, off, s[0:3], 0 offset:28
.LBB33_211:
	s_or_b64 exec, exec, s[4:5]
	s_waitcnt lgkmcnt(0)
	; wave barrier
	s_waitcnt lgkmcnt(0)
	buffer_load_dword v73, off, s[0:3], 0 offset:36
	buffer_load_dword v124, off, s[0:3], 0 offset:44
	;; [unrolled: 1-line block ×46, first 2 shown]
	ds_read_b128 v[74:77], v72 offset:304
	ds_read_b128 v[78:81], v72 offset:320
	;; [unrolled: 1-line block ×8, first 2 shown]
	v_cmp_lt_u32_e32 vcc, 2, v0
	s_waitcnt vmcnt(45) lgkmcnt(7)
	v_mul_f32_e32 v106, v74, v73
	s_waitcnt vmcnt(44)
	v_mul_f32_e32 v107, v76, v124
	s_waitcnt vmcnt(43) lgkmcnt(6)
	v_mul_f32_e32 v108, v78, v126
	s_waitcnt vmcnt(42)
	v_mul_f32_e32 v109, v80, v128
	;; [unrolled: 4-line block ×6, first 2 shown]
	s_waitcnt vmcnt(33) lgkmcnt(1)
	v_mul_f32_e32 v118, v98, v152
	s_waitcnt vmcnt(32)
	v_fmac_f32_e32 v106, v75, v153
	s_waitcnt vmcnt(31)
	v_fmac_f32_e32 v107, v77, v154
	v_add_f32_e32 v106, 0, v106
	s_waitcnt vmcnt(30)
	v_fmac_f32_e32 v108, v79, v155
	v_add_f32_e32 v106, v106, v107
	s_waitcnt vmcnt(29)
	v_fmac_f32_e32 v109, v81, v156
	v_add_f32_e32 v106, v106, v108
	s_waitcnt vmcnt(28)
	v_fmac_f32_e32 v110, v83, v157
	v_add_f32_e32 v106, v106, v109
	s_waitcnt vmcnt(27)
	v_fmac_f32_e32 v111, v85, v158
	v_add_f32_e32 v106, v106, v110
	s_waitcnt vmcnt(26)
	v_fmac_f32_e32 v112, v87, v159
	v_add_f32_e32 v106, v106, v111
	s_waitcnt vmcnt(25)
	v_fmac_f32_e32 v113, v89, v160
	v_add_f32_e32 v106, v106, v112
	s_waitcnt vmcnt(24)
	v_fmac_f32_e32 v114, v91, v161
	v_add_f32_e32 v106, v106, v113
	s_waitcnt vmcnt(23)
	v_fmac_f32_e32 v115, v93, v162
	v_add_f32_e32 v106, v106, v114
	s_waitcnt vmcnt(22)
	v_fmac_f32_e32 v116, v95, v163
	v_add_f32_e32 v106, v106, v115
	s_waitcnt vmcnt(21)
	v_fmac_f32_e32 v117, v97, v164
	v_add_f32_e32 v106, v106, v116
	s_waitcnt vmcnt(20)
	v_fmac_f32_e32 v118, v99, v165
	v_add_f32_e32 v106, v106, v117
	s_waitcnt vmcnt(19)
	v_mul_f32_e32 v107, v100, v166
	v_add_f32_e32 v106, v106, v118
	s_waitcnt vmcnt(18)
	v_fmac_f32_e32 v107, v101, v167
	v_add_f32_e32 v106, v106, v107
	s_waitcnt vmcnt(17) lgkmcnt(0)
	v_mul_f32_e32 v107, v102, v168
	s_waitcnt vmcnt(16)
	v_fmac_f32_e32 v107, v103, v169
	v_add_f32_e32 v110, v106, v107
	ds_read_b128 v[106:109], v72 offset:432
	s_waitcnt vmcnt(15)
	v_mul_f32_e32 v111, v104, v170
	s_waitcnt vmcnt(14)
	v_fmac_f32_e32 v111, v105, v171
	v_add_f32_e32 v114, v110, v111
	ds_read_b128 v[110:113], v72 offset:448
	buffer_load_dword v123, off, s[0:3], 0 offset:212
	buffer_load_dword v122, off, s[0:3], 0 offset:208
	s_waitcnt vmcnt(15) lgkmcnt(1)
	v_mul_f32_e32 v115, v106, v172
	s_waitcnt vmcnt(14)
	v_fmac_f32_e32 v115, v107, v173
	v_add_f32_e32 v114, v114, v115
	s_waitcnt vmcnt(13)
	v_mul_f32_e32 v115, v108, v174
	s_waitcnt vmcnt(12)
	v_fmac_f32_e32 v115, v109, v175
	v_add_f32_e32 v114, v114, v115
	s_waitcnt vmcnt(11) lgkmcnt(0)
	v_mul_f32_e32 v115, v110, v176
	s_waitcnt vmcnt(10)
	v_fmac_f32_e32 v115, v111, v177
	s_waitcnt vmcnt(9)
	v_mul_f32_e32 v119, v112, v178
	v_add_f32_e32 v118, v114, v115
	s_waitcnt vmcnt(8)
	v_fmac_f32_e32 v119, v113, v179
	ds_read_b128 v[114:117], v72 offset:464
	v_add_f32_e32 v125, v118, v119
	ds_read_b128 v[118:121], v72 offset:480
	buffer_load_dword v131, off, s[0:3], 0 offset:244
	buffer_load_dword v130, off, s[0:3], 0 offset:240
	;; [unrolled: 1-line block ×14, first 2 shown]
	v_mul_f32_e32 v73, v75, v73
	v_fma_f32 v73, v74, v153, -v73
	v_mul_f32_e32 v74, v77, v124
	v_add_f32_e32 v73, 0, v73
	v_fma_f32 v74, v76, v154, -v74
	v_add_f32_e32 v73, v73, v74
	v_mul_f32_e32 v74, v79, v126
	v_fma_f32 v74, v78, v155, -v74
	v_add_f32_e32 v73, v73, v74
	v_mul_f32_e32 v74, v81, v128
	;; [unrolled: 3-line block ×18, first 2 shown]
	v_fma_f32 v74, v112, v179, -v74
	s_waitcnt vmcnt(21) lgkmcnt(1)
	v_mul_f32_e32 v127, v114, v180
	v_add_f32_e32 v124, v73, v74
	v_mul_f32_e32 v73, v115, v180
	s_waitcnt vmcnt(20)
	v_fmac_f32_e32 v127, v115, v181
	s_waitcnt vmcnt(15)
	v_mov_b32_e32 v86, v123
	s_waitcnt lgkmcnt(0)
	v_pk_mul_f32 v[86:87], v[118:119], v[86:87] op_sel_hi:[1,0]
	v_mul_f32_e32 v129, v116, v182
	v_fma_f32 v126, v114, v181, -v73
	v_mul_f32_e32 v73, v117, v182
	s_waitcnt vmcnt(14)
	v_pk_fma_f32 v[88:89], v[118:119], v[122:123], v[86:87] op_sel:[0,0,1] op_sel_hi:[1,1,0] neg_lo:[0,0,1] neg_hi:[0,0,1]
	v_pk_fma_f32 v[86:87], v[118:119], v[122:123], v[86:87] op_sel:[0,0,1] op_sel_hi:[1,0,0]
	v_fmac_f32_e32 v129, v117, v183
	v_fma_f32 v128, v116, v183, -v73
	ds_read_b128 v[74:77], v72 offset:496
	ds_read_b128 v[78:81], v72 offset:512
	;; [unrolled: 1-line block ×3, first 2 shown]
	v_pk_add_f32 v[72:73], v[124:125], v[126:127]
	s_waitcnt vmcnt(7)
	v_mov_b32_e32 v86, v137
	v_pk_add_f32 v[72:73], v[72:73], v[128:129]
	v_mov_b32_e32 v89, v87
	v_pk_mul_f32 v[86:87], v[120:121], v[86:87] op_sel_hi:[1,0]
	v_pk_add_f32 v[72:73], v[72:73], v[88:89]
	s_waitcnt vmcnt(6)
	v_pk_fma_f32 v[88:89], v[120:121], v[136:137], v[86:87] op_sel:[0,0,1] op_sel_hi:[1,1,0] neg_lo:[0,0,1] neg_hi:[0,0,1]
	v_pk_fma_f32 v[86:87], v[120:121], v[136:137], v[86:87] op_sel:[0,0,1] op_sel_hi:[1,0,0]
	v_mov_b32_e32 v86, v135
	v_mov_b32_e32 v89, v87
	s_waitcnt lgkmcnt(2)
	v_pk_mul_f32 v[86:87], v[74:75], v[86:87] op_sel_hi:[1,0]
	v_pk_add_f32 v[72:73], v[72:73], v[88:89]
	v_pk_fma_f32 v[88:89], v[74:75], v[134:135], v[86:87] op_sel:[0,0,1] op_sel_hi:[1,1,0] neg_lo:[0,0,1] neg_hi:[0,0,1]
	v_pk_fma_f32 v[74:75], v[74:75], v[134:135], v[86:87] op_sel:[0,0,1] op_sel_hi:[1,0,0]
	v_mov_b32_e32 v74, v133
	v_mov_b32_e32 v89, v75
	v_pk_mul_f32 v[74:75], v[76:77], v[74:75] op_sel_hi:[1,0]
	v_pk_fma_f32 v[86:87], v[76:77], v[132:133], v[74:75] op_sel:[0,0,1] op_sel_hi:[1,1,0] neg_lo:[0,0,1] neg_hi:[0,0,1]
	v_pk_fma_f32 v[74:75], v[76:77], v[132:133], v[74:75] op_sel:[0,0,1] op_sel_hi:[1,0,0]
	v_mov_b32_e32 v74, v131
	v_mov_b32_e32 v87, v75
	s_waitcnt lgkmcnt(1)
	v_pk_mul_f32 v[74:75], v[78:79], v[74:75] op_sel_hi:[1,0]
	v_pk_fma_f32 v[76:77], v[78:79], v[130:131], v[74:75] op_sel:[0,0,1] op_sel_hi:[1,1,0] neg_lo:[0,0,1] neg_hi:[0,0,1]
	v_pk_fma_f32 v[74:75], v[78:79], v[130:131], v[74:75] op_sel:[0,0,1] op_sel_hi:[1,0,0]
	v_pk_add_f32 v[72:73], v[72:73], v[88:89]
	s_waitcnt vmcnt(1)
	v_mov_b32_e32 v74, v143
	v_pk_add_f32 v[72:73], v[72:73], v[86:87]
	v_mov_b32_e32 v77, v75
	v_pk_mul_f32 v[74:75], v[80:81], v[74:75] op_sel_hi:[1,0]
	v_pk_add_f32 v[72:73], v[72:73], v[76:77]
	s_waitcnt vmcnt(0)
	v_pk_fma_f32 v[76:77], v[80:81], v[142:143], v[74:75] op_sel:[0,0,1] op_sel_hi:[1,1,0] neg_lo:[0,0,1] neg_hi:[0,0,1]
	v_pk_fma_f32 v[74:75], v[80:81], v[142:143], v[74:75] op_sel:[0,0,1] op_sel_hi:[1,0,0]
	v_mov_b32_e32 v74, v141
	v_mov_b32_e32 v77, v75
	s_waitcnt lgkmcnt(0)
	v_pk_mul_f32 v[74:75], v[82:83], v[74:75] op_sel_hi:[1,0]
	v_pk_add_f32 v[72:73], v[72:73], v[76:77]
	v_pk_fma_f32 v[76:77], v[82:83], v[140:141], v[74:75] op_sel:[0,0,1] op_sel_hi:[1,1,0] neg_lo:[0,0,1] neg_hi:[0,0,1]
	v_pk_fma_f32 v[74:75], v[82:83], v[140:141], v[74:75] op_sel:[0,0,1] op_sel_hi:[1,0,0]
	v_mov_b32_e32 v74, v139
	v_mov_b32_e32 v77, v75
	v_pk_mul_f32 v[74:75], v[84:85], v[74:75] op_sel_hi:[1,0]
	v_pk_add_f32 v[72:73], v[72:73], v[76:77]
	v_pk_fma_f32 v[76:77], v[84:85], v[138:139], v[74:75] op_sel:[0,0,1] op_sel_hi:[1,1,0] neg_lo:[0,0,1] neg_hi:[0,0,1]
	v_pk_fma_f32 v[74:75], v[84:85], v[138:139], v[74:75] op_sel:[0,0,1] op_sel_hi:[1,0,0]
	v_mov_b32_e32 v77, v75
	v_pk_add_f32 v[72:73], v[72:73], v[76:77]
	v_pk_add_f32 v[70:71], v[70:71], v[72:73] neg_lo:[0,1] neg_hi:[0,1]
	buffer_store_dword v71, off, s[0:3], 0 offset:28
	buffer_store_dword v70, off, s[0:3], 0 offset:24
	s_and_saveexec_b64 s[4:5], vcc
	s_cbranch_execz .LBB33_213
; %bb.212:
	buffer_load_dword v70, off, s[0:3], 0 offset:16
	buffer_load_dword v71, off, s[0:3], 0 offset:20
	v_mov_b32_e32 v72, 0
	buffer_store_dword v72, off, s[0:3], 0 offset:16
	buffer_store_dword v72, off, s[0:3], 0 offset:20
	s_waitcnt vmcnt(2)
	ds_write_b64 v1, v[70:71]
.LBB33_213:
	s_or_b64 exec, exec, s[4:5]
	s_waitcnt lgkmcnt(0)
	; wave barrier
	s_waitcnt lgkmcnt(0)
	buffer_load_dword v73, off, s[0:3], 0 offset:28
	buffer_load_dword v122, off, s[0:3], 0 offset:36
	;; [unrolled: 1-line block ×48, first 2 shown]
	v_mov_b32_e32 v72, 0
	ds_read2_b64 v[74:77], v72 offset0:37 offset1:38
	ds_read2_b64 v[78:81], v72 offset0:39 offset1:40
	;; [unrolled: 1-line block ×6, first 2 shown]
	v_cmp_lt_u32_e32 vcc, 1, v0
	s_waitcnt vmcnt(47) lgkmcnt(5)
	v_mul_f32_e32 v98, v74, v73
	s_waitcnt vmcnt(46)
	v_mul_f32_e32 v99, v76, v122
	s_waitcnt vmcnt(45) lgkmcnt(4)
	v_mul_f32_e32 v100, v78, v124
	s_waitcnt vmcnt(44)
	v_mul_f32_e32 v101, v80, v126
	;; [unrolled: 4-line block ×6, first 2 shown]
	s_waitcnt vmcnt(35)
	v_fmac_f32_e32 v98, v75, v152
	s_waitcnt vmcnt(34)
	v_fmac_f32_e32 v99, v77, v153
	v_add_f32_e32 v98, 0, v98
	s_waitcnt vmcnt(33)
	v_fmac_f32_e32 v100, v79, v154
	v_add_f32_e32 v98, v98, v99
	;; [unrolled: 3-line block ×8, first 2 shown]
	v_add_f32_e32 v102, v98, v106
	ds_read2_b64 v[98:101], v72 offset0:49 offset1:50
	s_waitcnt vmcnt(26)
	v_fmac_f32_e32 v107, v93, v161
	s_waitcnt vmcnt(25)
	v_fmac_f32_e32 v108, v95, v162
	v_add_f32_e32 v102, v102, v107
	s_waitcnt vmcnt(24)
	v_fmac_f32_e32 v109, v97, v163
	v_add_f32_e32 v102, v102, v108
	v_add_f32_e32 v106, v102, v109
	ds_read2_b64 v[102:105], v72 offset0:51 offset1:52
	s_waitcnt vmcnt(23) lgkmcnt(1)
	v_mul_f32_e32 v107, v98, v164
	s_waitcnt vmcnt(22)
	v_fmac_f32_e32 v107, v99, v165
	v_add_f32_e32 v106, v106, v107
	s_waitcnt vmcnt(21)
	v_mul_f32_e32 v107, v100, v166
	s_waitcnt vmcnt(20)
	v_fmac_f32_e32 v107, v101, v167
	v_add_f32_e32 v106, v106, v107
	s_waitcnt vmcnt(19) lgkmcnt(0)
	v_mul_f32_e32 v107, v102, v168
	s_waitcnt vmcnt(18)
	v_fmac_f32_e32 v107, v103, v169
	v_add_f32_e32 v110, v106, v107
	ds_read2_b64 v[106:109], v72 offset0:53 offset1:54
	s_waitcnt vmcnt(17)
	v_mul_f32_e32 v111, v104, v170
	s_waitcnt vmcnt(16)
	v_fmac_f32_e32 v111, v105, v171
	v_add_f32_e32 v114, v110, v111
	ds_read2_b64 v[110:113], v72 offset0:55 offset1:56
	s_waitcnt vmcnt(15) lgkmcnt(1)
	v_mul_f32_e32 v115, v106, v172
	s_waitcnt vmcnt(14)
	v_fmac_f32_e32 v115, v107, v173
	v_add_f32_e32 v114, v114, v115
	s_waitcnt vmcnt(13)
	v_mul_f32_e32 v115, v108, v174
	s_waitcnt vmcnt(12)
	v_fmac_f32_e32 v115, v109, v175
	v_add_f32_e32 v114, v114, v115
	s_waitcnt vmcnt(11) lgkmcnt(0)
	v_mul_f32_e32 v115, v110, v176
	s_waitcnt vmcnt(10)
	v_fmac_f32_e32 v115, v111, v177
	s_waitcnt vmcnt(9)
	v_mul_f32_e32 v119, v112, v178
	v_add_f32_e32 v118, v114, v115
	s_waitcnt vmcnt(8)
	v_fmac_f32_e32 v119, v113, v179
	ds_read2_b64 v[114:117], v72 offset0:57 offset1:58
	v_add_f32_e32 v123, v118, v119
	ds_read2_b64 v[118:121], v72 offset0:59 offset1:60
	buffer_load_dword v129, off, s[0:3], 0 offset:236
	buffer_load_dword v128, off, s[0:3], 0 offset:232
	;; [unrolled: 1-line block ×16, first 2 shown]
	v_mul_f32_e32 v73, v75, v73
	v_fma_f32 v73, v74, v152, -v73
	v_mul_f32_e32 v74, v77, v122
	v_add_f32_e32 v73, 0, v73
	v_fma_f32 v74, v76, v153, -v74
	v_add_f32_e32 v73, v73, v74
	v_mul_f32_e32 v74, v79, v124
	v_fma_f32 v74, v78, v154, -v74
	v_add_f32_e32 v73, v73, v74
	v_mul_f32_e32 v74, v81, v126
	;; [unrolled: 3-line block ×18, first 2 shown]
	v_fma_f32 v74, v112, v179, -v74
	s_waitcnt vmcnt(22) lgkmcnt(1)
	v_mul_f32_e32 v125, v114, v181
	v_add_f32_e32 v73, v73, v74
	v_mul_f32_e32 v74, v115, v181
	v_fmac_f32_e32 v125, v115, v180
	v_fma_f32 v74, v114, v180, -v74
	v_add_f32_e32 v123, v123, v125
	s_waitcnt vmcnt(19)
	v_mul_f32_e32 v125, v116, v182
	v_add_f32_e32 v122, v73, v74
	v_mul_f32_e32 v73, v117, v182
	s_waitcnt vmcnt(18)
	v_fmac_f32_e32 v125, v117, v183
	s_waitcnt vmcnt(17) lgkmcnt(0)
	v_mul_f32_e32 v127, v118, v184
	s_waitcnt vmcnt(9)
	v_mov_b32_e32 v90, v135
	v_pk_mul_f32 v[90:91], v[120:121], v[90:91] op_sel_hi:[1,0]
	v_fma_f32 v124, v116, v183, -v73
	v_mul_f32_e32 v73, v119, v184
	ds_read2_b64 v[74:77], v72 offset0:61 offset1:62
	ds_read2_b64 v[78:81], v72 offset0:63 offset1:64
	;; [unrolled: 1-line block ×3, first 2 shown]
	ds_read_b64 v[86:87], v72 offset:536
	s_waitcnt vmcnt(8)
	v_pk_fma_f32 v[92:93], v[120:121], v[134:135], v[90:91] op_sel:[0,0,1] op_sel_hi:[1,1,0] neg_lo:[0,0,1] neg_hi:[0,0,1]
	v_pk_fma_f32 v[90:91], v[120:121], v[134:135], v[90:91] op_sel:[0,0,1] op_sel_hi:[1,0,0]
	v_fmac_f32_e32 v127, v119, v185
	v_fma_f32 v126, v118, v185, -v73
	v_pk_add_f32 v[88:89], v[122:123], v[124:125]
	v_mov_b32_e32 v90, v133
	v_pk_add_f32 v[88:89], v[88:89], v[126:127]
	v_mov_b32_e32 v93, v91
	s_waitcnt lgkmcnt(3)
	v_pk_mul_f32 v[90:91], v[74:75], v[90:91] op_sel_hi:[1,0]
	v_pk_add_f32 v[88:89], v[88:89], v[92:93]
	v_pk_fma_f32 v[92:93], v[74:75], v[132:133], v[90:91] op_sel:[0,0,1] op_sel_hi:[1,1,0] neg_lo:[0,0,1] neg_hi:[0,0,1]
	v_pk_fma_f32 v[74:75], v[74:75], v[132:133], v[90:91] op_sel:[0,0,1] op_sel_hi:[1,0,0]
	v_mov_b32_e32 v93, v75
	v_pk_add_f32 v[74:75], v[88:89], v[92:93]
	v_mov_b32_e32 v88, v131
	v_pk_mul_f32 v[88:89], v[76:77], v[88:89] op_sel_hi:[1,0]
	v_pk_fma_f32 v[90:91], v[76:77], v[130:131], v[88:89] op_sel:[0,0,1] op_sel_hi:[1,1,0] neg_lo:[0,0,1] neg_hi:[0,0,1]
	v_pk_fma_f32 v[76:77], v[76:77], v[130:131], v[88:89] op_sel:[0,0,1] op_sel_hi:[1,0,0]
	v_mov_b32_e32 v76, v129
	v_mov_b32_e32 v91, v77
	s_waitcnt lgkmcnt(2)
	v_pk_mul_f32 v[76:77], v[78:79], v[76:77] op_sel_hi:[1,0]
	v_pk_fma_f32 v[88:89], v[78:79], v[128:129], v[76:77] op_sel:[0,0,1] op_sel_hi:[1,1,0] neg_lo:[0,0,1] neg_hi:[0,0,1]
	v_pk_fma_f32 v[76:77], v[78:79], v[128:129], v[76:77] op_sel:[0,0,1] op_sel_hi:[1,0,0]
	s_waitcnt vmcnt(1)
	v_mov_b32_e32 v76, v143
	v_mov_b32_e32 v89, v77
	v_pk_mul_f32 v[76:77], v[80:81], v[76:77] op_sel_hi:[1,0]
	s_waitcnt vmcnt(0)
	v_pk_fma_f32 v[78:79], v[80:81], v[142:143], v[76:77] op_sel:[0,0,1] op_sel_hi:[1,1,0] neg_lo:[0,0,1] neg_hi:[0,0,1]
	v_pk_fma_f32 v[76:77], v[80:81], v[142:143], v[76:77] op_sel:[0,0,1] op_sel_hi:[1,0,0]
	v_pk_add_f32 v[74:75], v[74:75], v[90:91]
	v_mov_b32_e32 v76, v141
	v_pk_add_f32 v[74:75], v[74:75], v[88:89]
	v_mov_b32_e32 v79, v77
	s_waitcnt lgkmcnt(1)
	v_pk_mul_f32 v[76:77], v[82:83], v[76:77] op_sel_hi:[1,0]
	v_pk_add_f32 v[74:75], v[74:75], v[78:79]
	v_pk_fma_f32 v[78:79], v[82:83], v[140:141], v[76:77] op_sel:[0,0,1] op_sel_hi:[1,1,0] neg_lo:[0,0,1] neg_hi:[0,0,1]
	v_pk_fma_f32 v[76:77], v[82:83], v[140:141], v[76:77] op_sel:[0,0,1] op_sel_hi:[1,0,0]
	v_mov_b32_e32 v76, v139
	v_mov_b32_e32 v79, v77
	v_pk_mul_f32 v[76:77], v[84:85], v[76:77] op_sel_hi:[1,0]
	v_pk_add_f32 v[74:75], v[74:75], v[78:79]
	v_pk_fma_f32 v[78:79], v[84:85], v[138:139], v[76:77] op_sel:[0,0,1] op_sel_hi:[1,1,0] neg_lo:[0,0,1] neg_hi:[0,0,1]
	v_pk_fma_f32 v[76:77], v[84:85], v[138:139], v[76:77] op_sel:[0,0,1] op_sel_hi:[1,0,0]
	v_mov_b32_e32 v76, v137
	v_mov_b32_e32 v79, v77
	s_waitcnt lgkmcnt(0)
	v_pk_mul_f32 v[76:77], v[86:87], v[76:77] op_sel_hi:[1,0]
	v_pk_add_f32 v[74:75], v[74:75], v[78:79]
	v_pk_fma_f32 v[78:79], v[86:87], v[136:137], v[76:77] op_sel:[0,0,1] op_sel_hi:[1,1,0] neg_lo:[0,0,1] neg_hi:[0,0,1]
	v_pk_fma_f32 v[76:77], v[86:87], v[136:137], v[76:77] op_sel:[0,0,1] op_sel_hi:[1,0,0]
	v_mov_b32_e32 v79, v77
	v_pk_add_f32 v[74:75], v[74:75], v[78:79]
	v_pk_add_f32 v[70:71], v[70:71], v[74:75] neg_lo:[0,1] neg_hi:[0,1]
	buffer_store_dword v71, off, s[0:3], 0 offset:20
	buffer_store_dword v70, off, s[0:3], 0 offset:16
	s_and_saveexec_b64 s[4:5], vcc
	s_cbranch_execz .LBB33_215
; %bb.214:
	buffer_load_dword v70, off, s[0:3], 0 offset:8
	buffer_load_dword v71, off, s[0:3], 0 offset:12
	s_waitcnt vmcnt(0)
	ds_write_b64 v1, v[70:71]
	buffer_store_dword v72, off, s[0:3], 0 offset:8
	buffer_store_dword v72, off, s[0:3], 0 offset:12
.LBB33_215:
	s_or_b64 exec, exec, s[4:5]
	s_waitcnt lgkmcnt(0)
	; wave barrier
	s_waitcnt lgkmcnt(0)
	buffer_load_dword v73, off, s[0:3], 0 offset:20
	buffer_load_dword v122, off, s[0:3], 0 offset:28
	;; [unrolled: 1-line block ×48, first 2 shown]
	ds_read_b128 v[74:77], v72 offset:288
	ds_read_b128 v[78:81], v72 offset:304
	ds_read_b128 v[82:85], v72 offset:320
	ds_read_b128 v[86:89], v72 offset:336
	ds_read_b128 v[90:93], v72 offset:352
	ds_read_b128 v[94:97], v72 offset:368
	buffer_load_dword v186, off, s[0:3], 0 offset:200
	buffer_load_dword v187, off, s[0:3], 0 offset:204
	v_cmp_ne_u32_e32 vcc, 0, v0
	s_waitcnt vmcnt(49) lgkmcnt(5)
	v_mul_f32_e32 v98, v74, v73
	s_waitcnt vmcnt(48)
	v_mul_f32_e32 v99, v76, v122
	s_waitcnt vmcnt(47) lgkmcnt(4)
	v_mul_f32_e32 v100, v78, v124
	s_waitcnt vmcnt(46)
	v_mul_f32_e32 v101, v80, v132
	;; [unrolled: 4-line block ×6, first 2 shown]
	s_waitcnt vmcnt(37)
	v_fmac_f32_e32 v98, v75, v152
	s_waitcnt vmcnt(36)
	v_fmac_f32_e32 v99, v77, v153
	v_add_f32_e32 v98, 0, v98
	s_waitcnt vmcnt(35)
	v_fmac_f32_e32 v100, v79, v154
	v_add_f32_e32 v98, v98, v99
	;; [unrolled: 3-line block ×9, first 2 shown]
	v_add_f32_e32 v102, v98, v107
	ds_read_b128 v[98:101], v72 offset:384
	s_waitcnt vmcnt(27)
	v_fmac_f32_e32 v108, v95, v162
	v_add_f32_e32 v102, v102, v108
	s_waitcnt vmcnt(26)
	v_fmac_f32_e32 v109, v97, v163
	v_add_f32_e32 v106, v102, v109
	ds_read_b128 v[102:105], v72 offset:400
	s_waitcnt vmcnt(25) lgkmcnt(1)
	v_mul_f32_e32 v107, v98, v164
	s_waitcnt vmcnt(24)
	v_fmac_f32_e32 v107, v99, v165
	v_add_f32_e32 v106, v106, v107
	s_waitcnt vmcnt(23)
	v_mul_f32_e32 v107, v100, v166
	s_waitcnt vmcnt(22)
	v_fmac_f32_e32 v107, v101, v167
	v_add_f32_e32 v106, v106, v107
	s_waitcnt vmcnt(21) lgkmcnt(0)
	v_mul_f32_e32 v107, v102, v168
	s_waitcnt vmcnt(20)
	v_fmac_f32_e32 v107, v103, v169
	v_add_f32_e32 v110, v106, v107
	ds_read_b128 v[106:109], v72 offset:416
	s_waitcnt vmcnt(19)
	v_mul_f32_e32 v111, v104, v170
	s_waitcnt vmcnt(18)
	v_fmac_f32_e32 v111, v105, v171
	v_add_f32_e32 v114, v110, v111
	ds_read_b128 v[110:113], v72 offset:432
	s_waitcnt vmcnt(17) lgkmcnt(1)
	v_mul_f32_e32 v115, v106, v172
	s_waitcnt vmcnt(16)
	v_fmac_f32_e32 v115, v107, v173
	v_add_f32_e32 v114, v114, v115
	s_waitcnt vmcnt(15)
	v_mul_f32_e32 v115, v108, v174
	s_waitcnt vmcnt(14)
	v_fmac_f32_e32 v115, v109, v175
	v_add_f32_e32 v114, v114, v115
	s_waitcnt vmcnt(13) lgkmcnt(0)
	v_mul_f32_e32 v115, v110, v176
	s_waitcnt vmcnt(12)
	v_fmac_f32_e32 v115, v111, v177
	s_waitcnt vmcnt(11)
	v_mul_f32_e32 v119, v112, v178
	v_add_f32_e32 v118, v114, v115
	s_waitcnt vmcnt(10)
	v_fmac_f32_e32 v119, v113, v179
	ds_read_b128 v[114:117], v72 offset:448
	v_add_f32_e32 v123, v118, v119
	ds_read_b128 v[118:121], v72 offset:464
	buffer_load_dword v127, off, s[0:3], 0 offset:228
	buffer_load_dword v126, off, s[0:3], 0 offset:224
	;; [unrolled: 1-line block ×16, first 2 shown]
	v_mul_f32_e32 v73, v75, v73
	v_fma_f32 v73, v74, v152, -v73
	v_mul_f32_e32 v74, v77, v122
	v_add_f32_e32 v73, 0, v73
	v_fma_f32 v74, v76, v153, -v74
	v_add_f32_e32 v73, v73, v74
	v_mul_f32_e32 v74, v79, v124
	v_fma_f32 v74, v78, v154, -v74
	v_add_f32_e32 v73, v73, v74
	v_mul_f32_e32 v74, v81, v132
	;; [unrolled: 3-line block ×18, first 2 shown]
	v_fma_f32 v74, v112, v179, -v74
	v_add_f32_e32 v73, v73, v74
	s_waitcnt vmcnt(23) lgkmcnt(1)
	v_mul_f32_e32 v74, v115, v180
	s_waitcnt vmcnt(22)
	v_fma_f32 v74, v114, v181, -v74
	v_add_f32_e32 v73, v73, v74
	s_waitcnt vmcnt(20)
	v_mul_f32_e32 v74, v117, v183
	v_fma_f32 v74, v116, v182, -v74
	v_add_f32_e32 v122, v73, v74
	ds_read_b128 v[74:77], v72 offset:480
	ds_read_b128 v[78:81], v72 offset:496
	;; [unrolled: 1-line block ×4, first 2 shown]
	v_mul_f32_e32 v125, v114, v180
	v_fmac_f32_e32 v125, v115, v181
	v_add_f32_e32 v123, v123, v125
	v_mul_f32_e32 v125, v116, v183
	v_fmac_f32_e32 v125, v117, v182
	v_add_f32_e32 v123, v123, v125
	s_waitcnt vmcnt(18) lgkmcnt(4)
	v_mul_f32_e32 v125, v118, v185
	v_mul_f32_e32 v73, v119, v185
	v_fmac_f32_e32 v125, v119, v184
	s_waitcnt vmcnt(16)
	v_mul_f32_e32 v133, v120, v187
	s_waitcnt vmcnt(11)
	v_mov_b32_e32 v90, v131
	s_waitcnt lgkmcnt(3)
	v_pk_mul_f32 v[90:91], v[74:75], v[90:91] op_sel_hi:[1,0]
	s_waitcnt vmcnt(10)
	v_pk_fma_f32 v[92:93], v[74:75], v[130:131], v[90:91] op_sel:[0,0,1] op_sel_hi:[1,1,0] neg_lo:[0,0,1] neg_hi:[0,0,1]
	v_pk_fma_f32 v[74:75], v[74:75], v[130:131], v[90:91] op_sel:[0,0,1] op_sel_hi:[1,0,0]
	v_mov_b32_e32 v74, v129
	v_mov_b32_e32 v93, v75
	v_pk_mul_f32 v[74:75], v[76:77], v[74:75] op_sel_hi:[1,0]
	v_pk_fma_f32 v[90:91], v[76:77], v[128:129], v[74:75] op_sel:[0,0,1] op_sel_hi:[1,1,0] neg_lo:[0,0,1] neg_hi:[0,0,1]
	v_pk_fma_f32 v[74:75], v[76:77], v[128:129], v[74:75] op_sel:[0,0,1] op_sel_hi:[1,0,0]
	v_fma_f32 v124, v118, v184, -v73
	v_mul_f32_e32 v73, v121, v187
	v_mov_b32_e32 v74, v127
	v_fmac_f32_e32 v133, v121, v186
	v_fma_f32 v132, v120, v186, -v73
	v_pk_add_f32 v[72:73], v[122:123], v[124:125]
	v_mov_b32_e32 v91, v75
	s_waitcnt lgkmcnt(2)
	v_pk_mul_f32 v[74:75], v[78:79], v[74:75] op_sel_hi:[1,0]
	v_pk_add_f32 v[72:73], v[72:73], v[132:133]
	v_pk_fma_f32 v[76:77], v[78:79], v[126:127], v[74:75] op_sel:[0,0,1] op_sel_hi:[1,1,0] neg_lo:[0,0,1] neg_hi:[0,0,1]
	v_pk_fma_f32 v[74:75], v[78:79], v[126:127], v[74:75] op_sel:[0,0,1] op_sel_hi:[1,0,0]
	v_pk_add_f32 v[72:73], v[72:73], v[92:93]
	s_waitcnt vmcnt(3)
	v_mov_b32_e32 v74, v141
	v_pk_add_f32 v[72:73], v[72:73], v[90:91]
	v_mov_b32_e32 v77, v75
	v_pk_mul_f32 v[74:75], v[80:81], v[74:75] op_sel_hi:[1,0]
	v_pk_add_f32 v[72:73], v[72:73], v[76:77]
	s_waitcnt vmcnt(2)
	v_pk_fma_f32 v[76:77], v[80:81], v[140:141], v[74:75] op_sel:[0,0,1] op_sel_hi:[1,1,0] neg_lo:[0,0,1] neg_hi:[0,0,1]
	v_pk_fma_f32 v[74:75], v[80:81], v[140:141], v[74:75] op_sel:[0,0,1] op_sel_hi:[1,0,0]
	v_mov_b32_e32 v74, v139
	v_mov_b32_e32 v77, v75
	s_waitcnt lgkmcnt(1)
	v_pk_mul_f32 v[74:75], v[82:83], v[74:75] op_sel_hi:[1,0]
	v_pk_add_f32 v[72:73], v[72:73], v[76:77]
	v_pk_fma_f32 v[76:77], v[82:83], v[138:139], v[74:75] op_sel:[0,0,1] op_sel_hi:[1,1,0] neg_lo:[0,0,1] neg_hi:[0,0,1]
	v_pk_fma_f32 v[74:75], v[82:83], v[138:139], v[74:75] op_sel:[0,0,1] op_sel_hi:[1,0,0]
	v_mov_b32_e32 v74, v137
	v_mov_b32_e32 v77, v75
	v_pk_mul_f32 v[74:75], v[84:85], v[74:75] op_sel_hi:[1,0]
	v_pk_add_f32 v[72:73], v[72:73], v[76:77]
	v_pk_fma_f32 v[76:77], v[84:85], v[136:137], v[74:75] op_sel:[0,0,1] op_sel_hi:[1,1,0] neg_lo:[0,0,1] neg_hi:[0,0,1]
	v_pk_fma_f32 v[74:75], v[84:85], v[136:137], v[74:75] op_sel:[0,0,1] op_sel_hi:[1,0,0]
	v_mov_b32_e32 v74, v135
	v_mov_b32_e32 v77, v75
	s_waitcnt lgkmcnt(0)
	v_pk_mul_f32 v[74:75], v[86:87], v[74:75] op_sel_hi:[1,0]
	v_pk_add_f32 v[72:73], v[72:73], v[76:77]
	v_pk_fma_f32 v[76:77], v[86:87], v[134:135], v[74:75] op_sel:[0,0,1] op_sel_hi:[1,1,0] neg_lo:[0,0,1] neg_hi:[0,0,1]
	v_pk_fma_f32 v[74:75], v[86:87], v[134:135], v[74:75] op_sel:[0,0,1] op_sel_hi:[1,0,0]
	s_waitcnt vmcnt(1)
	v_mov_b32_e32 v74, v143
	v_mov_b32_e32 v77, v75
	v_pk_mul_f32 v[74:75], v[88:89], v[74:75] op_sel_hi:[1,0]
	v_pk_add_f32 v[72:73], v[72:73], v[76:77]
	s_waitcnt vmcnt(0)
	v_pk_fma_f32 v[76:77], v[88:89], v[142:143], v[74:75] op_sel:[0,0,1] op_sel_hi:[1,1,0] neg_lo:[0,0,1] neg_hi:[0,0,1]
	v_pk_fma_f32 v[74:75], v[88:89], v[142:143], v[74:75] op_sel:[0,0,1] op_sel_hi:[1,0,0]
	v_mov_b32_e32 v77, v75
	v_pk_add_f32 v[72:73], v[72:73], v[76:77]
	v_pk_add_f32 v[70:71], v[70:71], v[72:73] neg_lo:[0,1] neg_hi:[0,1]
	buffer_store_dword v71, off, s[0:3], 0 offset:12
	buffer_store_dword v70, off, s[0:3], 0 offset:8
	s_and_saveexec_b64 s[4:5], vcc
	s_cbranch_execz .LBB33_217
; %bb.216:
	buffer_load_dword v70, off, s[0:3], 0
	buffer_load_dword v71, off, s[0:3], 0 offset:4
	v_mov_b32_e32 v0, 0
	buffer_store_dword v0, off, s[0:3], 0
	buffer_store_dword v0, off, s[0:3], 0 offset:4
	s_waitcnt vmcnt(2)
	ds_write_b64 v1, v[70:71]
.LBB33_217:
	s_or_b64 exec, exec, s[4:5]
	s_waitcnt lgkmcnt(0)
	; wave barrier
	s_waitcnt lgkmcnt(0)
	buffer_load_dword v126, off, s[0:3], 0 offset:12
	buffer_load_dword v132, off, s[0:3], 0 offset:20
	;; [unrolled: 1-line block ×38, first 2 shown]
	buffer_load_dword v0, off, s[0:3], 0
	buffer_load_dword v1, off, s[0:3], 0 offset:4
	buffer_load_dword v183, off, s[0:3], 0 offset:160
	;; [unrolled: 1-line block ×13, first 2 shown]
	v_mov_b32_e32 v185, 0
	ds_read2_b64 v[70:73], v185 offset0:35 offset1:36
	ds_read2_b64 v[74:77], v185 offset0:37 offset1:38
	ds_read2_b64 v[78:81], v185 offset0:39 offset1:40
	ds_read2_b64 v[82:85], v185 offset0:41 offset1:42
	ds_read2_b64 v[86:89], v185 offset0:43 offset1:44
	ds_read2_b64 v[90:93], v185 offset0:45 offset1:46
	s_and_b64 vcc, exec, s[20:21]
	s_waitcnt vmcnt(51) lgkmcnt(5)
	v_mul_f32_e32 v94, v70, v126
	s_waitcnt vmcnt(50)
	v_mul_f32_e32 v95, v72, v132
	s_waitcnt vmcnt(49) lgkmcnt(4)
	v_mul_f32_e32 v96, v74, v134
	s_waitcnt vmcnt(48)
	v_mul_f32_e32 v97, v76, v148
	;; [unrolled: 4-line block ×5, first 2 shown]
	s_waitcnt vmcnt(41) lgkmcnt(0)
	v_mul_f32_e32 v104, v90, v155
	s_waitcnt vmcnt(40)
	v_fmac_f32_e32 v94, v71, v156
	s_waitcnt vmcnt(39)
	v_fmac_f32_e32 v95, v73, v157
	v_add_f32_e32 v94, 0, v94
	s_waitcnt vmcnt(38)
	v_fmac_f32_e32 v96, v75, v158
	v_add_f32_e32 v94, v94, v95
	;; [unrolled: 3-line block ×9, first 2 shown]
	v_add_f32_e32 v94, v94, v103
	s_waitcnt vmcnt(30)
	v_fmac_f32_e32 v104, v91, v166
	v_add_f32_e32 v98, v94, v104
	ds_read2_b64 v[94:97], v185 offset0:47 offset1:48
	s_waitcnt vmcnt(29)
	v_mul_f32_e32 v99, v92, v167
	s_waitcnt vmcnt(28)
	v_fmac_f32_e32 v99, v93, v168
	v_add_f32_e32 v102, v98, v99
	ds_read2_b64 v[98:101], v185 offset0:49 offset1:50
	s_waitcnt vmcnt(27) lgkmcnt(1)
	v_mul_f32_e32 v103, v94, v169
	s_waitcnt vmcnt(26)
	v_fmac_f32_e32 v103, v95, v170
	v_add_f32_e32 v102, v102, v103
	s_waitcnt vmcnt(25)
	v_mul_f32_e32 v103, v96, v171
	s_waitcnt vmcnt(24)
	v_fmac_f32_e32 v103, v97, v172
	v_add_f32_e32 v102, v102, v103
	s_waitcnt vmcnt(23) lgkmcnt(0)
	v_mul_f32_e32 v103, v98, v173
	s_waitcnt vmcnt(22)
	v_fmac_f32_e32 v103, v99, v174
	v_add_f32_e32 v106, v102, v103
	ds_read2_b64 v[102:105], v185 offset0:51 offset1:52
	s_waitcnt vmcnt(21)
	v_mul_f32_e32 v107, v100, v175
	s_waitcnt vmcnt(20)
	v_fmac_f32_e32 v107, v101, v176
	v_add_f32_e32 v110, v106, v107
	ds_read2_b64 v[106:109], v185 offset0:53 offset1:54
	s_waitcnt vmcnt(19) lgkmcnt(1)
	v_mul_f32_e32 v111, v102, v177
	s_waitcnt vmcnt(18)
	v_fmac_f32_e32 v111, v103, v178
	v_add_f32_e32 v110, v110, v111
	s_waitcnt vmcnt(17)
	v_mul_f32_e32 v111, v104, v179
	s_waitcnt vmcnt(16)
	v_fmac_f32_e32 v111, v105, v180
	v_add_f32_e32 v110, v110, v111
	s_waitcnt vmcnt(14) lgkmcnt(0)
	v_mul_f32_e32 v111, v106, v182
	v_fmac_f32_e32 v111, v107, v181
	v_add_f32_e32 v114, v110, v111
	ds_read2_b64 v[110:113], v185 offset0:55 offset1:56
	s_waitcnt vmcnt(10)
	v_mul_f32_e32 v115, v108, v184
	v_fmac_f32_e32 v115, v109, v183
	v_add_f32_e32 v118, v114, v115
	ds_read2_b64 v[114:117], v185 offset0:57 offset1:58
	s_waitcnt vmcnt(8) lgkmcnt(1)
	v_mul_f32_e32 v119, v110, v187
	v_fmac_f32_e32 v119, v111, v186
	v_add_f32_e32 v118, v118, v119
	s_waitcnt vmcnt(6)
	v_mul_f32_e32 v119, v112, v189
	v_fmac_f32_e32 v119, v113, v188
	v_add_f32_e32 v118, v118, v119
	s_waitcnt vmcnt(4) lgkmcnt(0)
	v_mul_f32_e32 v119, v114, v191
	v_fmac_f32_e32 v119, v115, v190
	v_add_f32_e32 v127, v118, v119
	ds_read2_b64 v[118:121], v185 offset0:59 offset1:60
	buffer_load_dword v129, off, s[0:3], 0 offset:220
	buffer_load_dword v128, off, s[0:3], 0 offset:216
	;; [unrolled: 1-line block ×4, first 2 shown]
	ds_read2_b64 v[122:125], v185 offset0:61 offset1:62
	buffer_load_dword v137, off, s[0:3], 0 offset:252
	buffer_load_dword v136, off, s[0:3], 0 offset:248
	;; [unrolled: 1-line block ×12, first 2 shown]
	v_mul_f32_e32 v71, v71, v126
	v_fma_f32 v70, v70, v156, -v71
	v_mul_f32_e32 v71, v73, v132
	v_add_f32_e32 v70, 0, v70
	v_fma_f32 v71, v72, v157, -v71
	v_add_f32_e32 v70, v70, v71
	v_mul_f32_e32 v71, v75, v134
	v_fma_f32 v71, v74, v158, -v71
	v_add_f32_e32 v70, v70, v71
	v_mul_f32_e32 v71, v77, v148
	;; [unrolled: 3-line block ×21, first 2 shown]
	v_fma_f32 v71, v114, v190, -v71
	s_waitcnt vmcnt(18)
	v_mul_f32_e32 v133, v116, v193
	v_add_f32_e32 v126, v70, v71
	v_mul_f32_e32 v70, v117, v193
	v_fmac_f32_e32 v133, v117, v192
	s_waitcnt vmcnt(16) lgkmcnt(1)
	v_mul_f32_e32 v135, v118, v195
	v_fma_f32 v132, v116, v192, -v70
	v_mul_f32_e32 v70, v119, v195
	v_fmac_f32_e32 v135, v119, v194
	s_waitcnt vmcnt(13)
	v_mov_b32_e32 v82, v131
	v_pk_mul_f32 v[82:83], v[120:121], v[82:83] op_sel_hi:[1,0]
	s_waitcnt vmcnt(12)
	v_pk_fma_f32 v[84:85], v[120:121], v[130:131], v[82:83] op_sel:[0,0,1] op_sel_hi:[1,1,0] neg_lo:[0,0,1] neg_hi:[0,0,1]
	v_pk_fma_f32 v[82:83], v[120:121], v[130:131], v[82:83] op_sel:[0,0,1] op_sel_hi:[1,0,0]
	v_fma_f32 v134, v118, v194, -v70
	v_pk_add_f32 v[80:81], v[126:127], v[132:133]
	v_mov_b32_e32 v82, v129
	v_pk_add_f32 v[80:81], v[80:81], v[134:135]
	v_mov_b32_e32 v85, v83
	s_waitcnt lgkmcnt(0)
	v_pk_mul_f32 v[82:83], v[122:123], v[82:83] op_sel_hi:[1,0]
	v_pk_add_f32 v[80:81], v[80:81], v[84:85]
	v_pk_fma_f32 v[84:85], v[122:123], v[128:129], v[82:83] op_sel:[0,0,1] op_sel_hi:[1,1,0] neg_lo:[0,0,1] neg_hi:[0,0,1]
	v_pk_fma_f32 v[82:83], v[122:123], v[128:129], v[82:83] op_sel:[0,0,1] op_sel_hi:[1,0,0]
	s_waitcnt vmcnt(5)
	v_mov_b32_e32 v82, v143
	ds_read2_b64 v[70:73], v185 offset0:63 offset1:64
	ds_read2_b64 v[74:77], v185 offset0:65 offset1:66
	ds_read_b64 v[78:79], v185 offset:536
	v_mov_b32_e32 v85, v83
	v_pk_mul_f32 v[82:83], v[124:125], v[82:83] op_sel_hi:[1,0]
	v_pk_add_f32 v[80:81], v[80:81], v[84:85]
	s_waitcnt vmcnt(4)
	v_pk_fma_f32 v[84:85], v[124:125], v[142:143], v[82:83] op_sel:[0,0,1] op_sel_hi:[1,1,0] neg_lo:[0,0,1] neg_hi:[0,0,1]
	v_pk_fma_f32 v[82:83], v[124:125], v[142:143], v[82:83] op_sel:[0,0,1] op_sel_hi:[1,0,0]
	v_mov_b32_e32 v82, v141
	v_mov_b32_e32 v85, v83
	s_waitcnt lgkmcnt(2)
	v_pk_mul_f32 v[82:83], v[70:71], v[82:83] op_sel_hi:[1,0]
	v_pk_add_f32 v[80:81], v[80:81], v[84:85]
	v_pk_fma_f32 v[84:85], v[70:71], v[140:141], v[82:83] op_sel:[0,0,1] op_sel_hi:[1,1,0] neg_lo:[0,0,1] neg_hi:[0,0,1]
	v_pk_fma_f32 v[70:71], v[70:71], v[140:141], v[82:83] op_sel:[0,0,1] op_sel_hi:[1,0,0]
	v_mov_b32_e32 v85, v71
	v_pk_add_f32 v[70:71], v[80:81], v[84:85]
	v_mov_b32_e32 v80, v139
	v_pk_mul_f32 v[80:81], v[72:73], v[80:81] op_sel_hi:[1,0]
	v_pk_fma_f32 v[82:83], v[72:73], v[138:139], v[80:81] op_sel:[0,0,1] op_sel_hi:[1,1,0] neg_lo:[0,0,1] neg_hi:[0,0,1]
	v_pk_fma_f32 v[72:73], v[72:73], v[138:139], v[80:81] op_sel:[0,0,1] op_sel_hi:[1,0,0]
	v_mov_b32_e32 v72, v137
	v_mov_b32_e32 v83, v73
	s_waitcnt lgkmcnt(1)
	v_pk_mul_f32 v[72:73], v[74:75], v[72:73] op_sel_hi:[1,0]
	v_pk_fma_f32 v[80:81], v[74:75], v[136:137], v[72:73] op_sel:[0,0,1] op_sel_hi:[1,1,0] neg_lo:[0,0,1] neg_hi:[0,0,1]
	v_pk_fma_f32 v[72:73], v[74:75], v[136:137], v[72:73] op_sel:[0,0,1] op_sel_hi:[1,0,0]
	s_waitcnt vmcnt(1)
	v_mov_b32_e32 v72, v147
	v_mov_b32_e32 v81, v73
	v_pk_mul_f32 v[72:73], v[76:77], v[72:73] op_sel_hi:[1,0]
	s_waitcnt vmcnt(0)
	v_pk_fma_f32 v[74:75], v[76:77], v[146:147], v[72:73] op_sel:[0,0,1] op_sel_hi:[1,1,0] neg_lo:[0,0,1] neg_hi:[0,0,1]
	v_pk_fma_f32 v[72:73], v[76:77], v[146:147], v[72:73] op_sel:[0,0,1] op_sel_hi:[1,0,0]
	v_pk_add_f32 v[70:71], v[70:71], v[82:83]
	v_mov_b32_e32 v72, v145
	v_pk_add_f32 v[70:71], v[70:71], v[80:81]
	v_mov_b32_e32 v75, v73
	s_waitcnt lgkmcnt(0)
	v_pk_mul_f32 v[72:73], v[78:79], v[72:73] op_sel_hi:[1,0]
	v_pk_add_f32 v[70:71], v[70:71], v[74:75]
	v_pk_fma_f32 v[74:75], v[78:79], v[144:145], v[72:73] op_sel:[0,0,1] op_sel_hi:[1,1,0] neg_lo:[0,0,1] neg_hi:[0,0,1]
	v_pk_fma_f32 v[72:73], v[78:79], v[144:145], v[72:73] op_sel:[0,0,1] op_sel_hi:[1,0,0]
	v_mov_b32_e32 v75, v73
	v_pk_add_f32 v[70:71], v[70:71], v[74:75]
	v_pk_add_f32 v[0:1], v[0:1], v[70:71] neg_lo:[0,1] neg_hi:[0,1]
	buffer_store_dword v1, off, s[0:3], 0 offset:4
	buffer_store_dword v0, off, s[0:3], 0
	s_cbranch_vccz .LBB33_285
; %bb.218:
	v_pk_mov_b32 v[0:1], s[10:11], s[10:11] op_sel:[0,1]
	flat_load_dword v0, v[0:1] offset:128
	s_waitcnt vmcnt(0) lgkmcnt(0)
	v_add_u32_e32 v0, -1, v0
	v_cmp_ne_u32_e32 vcc, 32, v0
	s_and_saveexec_b64 s[4:5], vcc
	s_cbranch_execz .LBB33_220
; %bb.219:
	v_mov_b32_e32 v1, 0
	v_lshl_add_u32 v0, v0, 3, v1
	buffer_load_dword v1, v0, s[0:3], 0 offen
	buffer_load_dword v70, v0, s[0:3], 0 offen offset:4
	buffer_load_dword v71, off, s[0:3], 0 offset:260
	buffer_load_dword v72, off, s[0:3], 0 offset:256
	s_waitcnt vmcnt(3)
	buffer_store_dword v1, off, s[0:3], 0 offset:256
	s_waitcnt vmcnt(3)
	buffer_store_dword v70, off, s[0:3], 0 offset:260
	s_waitcnt vmcnt(3)
	buffer_store_dword v71, v0, s[0:3], 0 offen offset:4
	s_waitcnt vmcnt(3)
	buffer_store_dword v72, v0, s[0:3], 0 offen
.LBB33_220:
	s_or_b64 exec, exec, s[4:5]
	v_pk_mov_b32 v[0:1], s[10:11], s[10:11] op_sel:[0,1]
	flat_load_dword v0, v[0:1] offset:124
	s_waitcnt vmcnt(0) lgkmcnt(0)
	v_add_u32_e32 v0, -1, v0
	v_cmp_ne_u32_e32 vcc, 31, v0
	s_and_saveexec_b64 s[4:5], vcc
	s_cbranch_execz .LBB33_222
; %bb.221:
	v_mov_b32_e32 v1, 0
	v_lshl_add_u32 v0, v0, 3, v1
	buffer_load_dword v1, v0, s[0:3], 0 offen
	buffer_load_dword v70, v0, s[0:3], 0 offen offset:4
	buffer_load_dword v71, off, s[0:3], 0 offset:248
	buffer_load_dword v72, off, s[0:3], 0 offset:252
	s_waitcnt vmcnt(3)
	buffer_store_dword v1, off, s[0:3], 0 offset:248
	s_waitcnt vmcnt(3)
	buffer_store_dword v70, off, s[0:3], 0 offset:252
	s_waitcnt vmcnt(3)
	buffer_store_dword v71, v0, s[0:3], 0 offen
	s_waitcnt vmcnt(3)
	buffer_store_dword v72, v0, s[0:3], 0 offen offset:4
.LBB33_222:
	s_or_b64 exec, exec, s[4:5]
	v_pk_mov_b32 v[0:1], s[10:11], s[10:11] op_sel:[0,1]
	flat_load_dword v0, v[0:1] offset:120
	s_waitcnt vmcnt(0) lgkmcnt(0)
	v_add_u32_e32 v0, -1, v0
	v_cmp_ne_u32_e32 vcc, 30, v0
	s_and_saveexec_b64 s[4:5], vcc
	s_cbranch_execz .LBB33_224
; %bb.223:
	v_mov_b32_e32 v1, 0
	v_lshl_add_u32 v0, v0, 3, v1
	buffer_load_dword v1, v0, s[0:3], 0 offen
	buffer_load_dword v70, v0, s[0:3], 0 offen offset:4
	buffer_load_dword v71, off, s[0:3], 0 offset:244
	buffer_load_dword v72, off, s[0:3], 0 offset:240
	s_waitcnt vmcnt(3)
	buffer_store_dword v1, off, s[0:3], 0 offset:240
	s_waitcnt vmcnt(3)
	buffer_store_dword v70, off, s[0:3], 0 offset:244
	s_waitcnt vmcnt(3)
	buffer_store_dword v71, v0, s[0:3], 0 offen offset:4
	s_waitcnt vmcnt(3)
	buffer_store_dword v72, v0, s[0:3], 0 offen
.LBB33_224:
	s_or_b64 exec, exec, s[4:5]
	v_pk_mov_b32 v[0:1], s[10:11], s[10:11] op_sel:[0,1]
	flat_load_dword v0, v[0:1] offset:116
	s_waitcnt vmcnt(0) lgkmcnt(0)
	v_add_u32_e32 v0, -1, v0
	v_cmp_ne_u32_e32 vcc, 29, v0
	s_and_saveexec_b64 s[4:5], vcc
	s_cbranch_execz .LBB33_226
; %bb.225:
	v_mov_b32_e32 v1, 0
	v_lshl_add_u32 v0, v0, 3, v1
	buffer_load_dword v1, v0, s[0:3], 0 offen
	buffer_load_dword v70, v0, s[0:3], 0 offen offset:4
	buffer_load_dword v71, off, s[0:3], 0 offset:232
	buffer_load_dword v72, off, s[0:3], 0 offset:236
	s_waitcnt vmcnt(3)
	buffer_store_dword v1, off, s[0:3], 0 offset:232
	s_waitcnt vmcnt(3)
	buffer_store_dword v70, off, s[0:3], 0 offset:236
	s_waitcnt vmcnt(3)
	buffer_store_dword v71, v0, s[0:3], 0 offen
	s_waitcnt vmcnt(3)
	buffer_store_dword v72, v0, s[0:3], 0 offen offset:4
.LBB33_226:
	s_or_b64 exec, exec, s[4:5]
	;; [unrolled: 48-line block ×16, first 2 shown]
	v_pk_mov_b32 v[0:1], s[10:11], s[10:11] op_sel:[0,1]
	flat_load_dword v70, v[0:1]
	s_nop 0
	buffer_load_dword v0, off, s[0:3], 0
	buffer_load_dword v1, off, s[0:3], 0 offset:4
	s_waitcnt vmcnt(0) lgkmcnt(0)
	v_add_u32_e32 v70, -1, v70
	v_cmp_ne_u32_e32 vcc, 0, v70
	s_and_saveexec_b64 s[4:5], vcc
	s_cbranch_execz .LBB33_284
; %bb.283:
	v_mov_b32_e32 v71, 0
	v_lshl_add_u32 v70, v70, 3, v71
	buffer_load_dword v71, v70, s[0:3], 0 offen offset:4
	buffer_load_dword v72, v70, s[0:3], 0 offen
	s_waitcnt vmcnt(1)
	buffer_store_dword v71, off, s[0:3], 0 offset:4
	s_waitcnt vmcnt(1)
	buffer_store_dword v72, off, s[0:3], 0
	buffer_store_dword v1, v70, s[0:3], 0 offen offset:4
	buffer_store_dword v0, v70, s[0:3], 0 offen
	buffer_load_dword v0, off, s[0:3], 0
	s_nop 0
	buffer_load_dword v1, off, s[0:3], 0 offset:4
.LBB33_284:
	s_or_b64 exec, exec, s[4:5]
.LBB33_285:
	buffer_load_dword v70, off, s[0:3], 0 offset:8
	buffer_load_dword v71, off, s[0:3], 0 offset:12
	buffer_load_dword v72, off, s[0:3], 0 offset:16
	buffer_load_dword v73, off, s[0:3], 0 offset:20
	buffer_load_dword v74, off, s[0:3], 0 offset:24
	buffer_load_dword v75, off, s[0:3], 0 offset:28
	buffer_load_dword v76, off, s[0:3], 0 offset:32
	buffer_load_dword v77, off, s[0:3], 0 offset:36
	buffer_load_dword v78, off, s[0:3], 0 offset:40
	buffer_load_dword v79, off, s[0:3], 0 offset:44
	buffer_load_dword v80, off, s[0:3], 0 offset:48
	buffer_load_dword v81, off, s[0:3], 0 offset:52
	buffer_load_dword v82, off, s[0:3], 0 offset:56
	buffer_load_dword v83, off, s[0:3], 0 offset:60
	buffer_load_dword v84, off, s[0:3], 0 offset:64
	buffer_load_dword v85, off, s[0:3], 0 offset:68
	buffer_load_dword v86, off, s[0:3], 0 offset:72
	buffer_load_dword v87, off, s[0:3], 0 offset:76
	buffer_load_dword v88, off, s[0:3], 0 offset:80
	buffer_load_dword v89, off, s[0:3], 0 offset:84
	buffer_load_dword v90, off, s[0:3], 0 offset:88
	buffer_load_dword v91, off, s[0:3], 0 offset:92
	buffer_load_dword v92, off, s[0:3], 0 offset:96
	buffer_load_dword v93, off, s[0:3], 0 offset:100
	buffer_load_dword v94, off, s[0:3], 0 offset:104
	buffer_load_dword v95, off, s[0:3], 0 offset:108
	buffer_load_dword v96, off, s[0:3], 0 offset:112
	buffer_load_dword v97, off, s[0:3], 0 offset:116
	buffer_load_dword v98, off, s[0:3], 0 offset:120
	buffer_load_dword v99, off, s[0:3], 0 offset:124
	buffer_load_dword v100, off, s[0:3], 0 offset:128
	buffer_load_dword v101, off, s[0:3], 0 offset:132
	buffer_load_dword v102, off, s[0:3], 0 offset:136
	buffer_load_dword v103, off, s[0:3], 0 offset:140
	buffer_load_dword v104, off, s[0:3], 0 offset:144
	buffer_load_dword v105, off, s[0:3], 0 offset:148
	buffer_load_dword v106, off, s[0:3], 0 offset:152
	buffer_load_dword v107, off, s[0:3], 0 offset:156
	buffer_load_dword v108, off, s[0:3], 0 offset:160
	buffer_load_dword v109, off, s[0:3], 0 offset:164
	buffer_load_dword v110, off, s[0:3], 0 offset:168
	buffer_load_dword v111, off, s[0:3], 0 offset:172
	buffer_load_dword v112, off, s[0:3], 0 offset:176
	buffer_load_dword v113, off, s[0:3], 0 offset:180
	buffer_load_dword v114, off, s[0:3], 0 offset:184
	buffer_load_dword v115, off, s[0:3], 0 offset:188
	buffer_load_dword v116, off, s[0:3], 0 offset:192
	buffer_load_dword v117, off, s[0:3], 0 offset:196
	buffer_load_dword v118, off, s[0:3], 0 offset:200
	buffer_load_dword v119, off, s[0:3], 0 offset:204
	buffer_load_dword v120, off, s[0:3], 0 offset:208
	buffer_load_dword v121, off, s[0:3], 0 offset:212
	buffer_load_dword v122, off, s[0:3], 0 offset:216
	buffer_load_dword v123, off, s[0:3], 0 offset:220
	buffer_load_dword v124, off, s[0:3], 0 offset:224
	buffer_load_dword v125, off, s[0:3], 0 offset:228
	buffer_load_dword v126, off, s[0:3], 0 offset:232
	buffer_load_dword v127, off, s[0:3], 0 offset:236
	buffer_load_dword v128, off, s[0:3], 0 offset:240
	buffer_load_dword v129, off, s[0:3], 0 offset:244
	buffer_load_dword v130, off, s[0:3], 0 offset:248
	buffer_load_dword v131, off, s[0:3], 0 offset:252
	buffer_load_dword v132, off, s[0:3], 0 offset:256
	buffer_load_dword v133, off, s[0:3], 0 offset:260
	buffer_load_dword v134, off, s[0:3], 0 offset:264
	buffer_load_dword v135, off, s[0:3], 0 offset:268
	s_waitcnt vmcnt(62)
	global_store_dwordx2 v[60:61], v[0:1], off
	global_store_dwordx2 v[62:63], v[70:71], off
	;; [unrolled: 1-line block ×3, first 2 shown]
	s_waitcnt vmcnt(62)
	global_store_dwordx2 v[4:5], v[74:75], off
	s_waitcnt vmcnt(62)
	global_store_dwordx2 v[6:7], v[76:77], off
	;; [unrolled: 2-line block ×31, first 2 shown]
	s_endpgm
	.section	.rodata,"a",@progbits
	.p2align	6, 0x0
	.amdhsa_kernel _ZN9rocsolver6v33100L18getri_kernel_smallILi34E19rocblas_complex_numIfEPS3_EEvT1_iilPiilS6_bb
		.amdhsa_group_segment_fixed_size 548
		.amdhsa_private_segment_fixed_size 288
		.amdhsa_kernarg_size 60
		.amdhsa_user_sgpr_count 8
		.amdhsa_user_sgpr_private_segment_buffer 1
		.amdhsa_user_sgpr_dispatch_ptr 0
		.amdhsa_user_sgpr_queue_ptr 0
		.amdhsa_user_sgpr_kernarg_segment_ptr 1
		.amdhsa_user_sgpr_dispatch_id 0
		.amdhsa_user_sgpr_flat_scratch_init 1
		.amdhsa_user_sgpr_kernarg_preload_length 0
		.amdhsa_user_sgpr_kernarg_preload_offset 0
		.amdhsa_user_sgpr_private_segment_size 0
		.amdhsa_uses_dynamic_stack 0
		.amdhsa_system_sgpr_private_segment_wavefront_offset 1
		.amdhsa_system_sgpr_workgroup_id_x 1
		.amdhsa_system_sgpr_workgroup_id_y 0
		.amdhsa_system_sgpr_workgroup_id_z 0
		.amdhsa_system_sgpr_workgroup_info 0
		.amdhsa_system_vgpr_workitem_id 0
		.amdhsa_next_free_vgpr 196
		.amdhsa_next_free_sgpr 23
		.amdhsa_accum_offset 196
		.amdhsa_reserve_vcc 1
		.amdhsa_reserve_flat_scratch 1
		.amdhsa_float_round_mode_32 0
		.amdhsa_float_round_mode_16_64 0
		.amdhsa_float_denorm_mode_32 3
		.amdhsa_float_denorm_mode_16_64 3
		.amdhsa_dx10_clamp 1
		.amdhsa_ieee_mode 1
		.amdhsa_fp16_overflow 0
		.amdhsa_tg_split 0
		.amdhsa_exception_fp_ieee_invalid_op 0
		.amdhsa_exception_fp_denorm_src 0
		.amdhsa_exception_fp_ieee_div_zero 0
		.amdhsa_exception_fp_ieee_overflow 0
		.amdhsa_exception_fp_ieee_underflow 0
		.amdhsa_exception_fp_ieee_inexact 0
		.amdhsa_exception_int_div_zero 0
	.end_amdhsa_kernel
	.section	.text._ZN9rocsolver6v33100L18getri_kernel_smallILi34E19rocblas_complex_numIfEPS3_EEvT1_iilPiilS6_bb,"axG",@progbits,_ZN9rocsolver6v33100L18getri_kernel_smallILi34E19rocblas_complex_numIfEPS3_EEvT1_iilPiilS6_bb,comdat
.Lfunc_end33:
	.size	_ZN9rocsolver6v33100L18getri_kernel_smallILi34E19rocblas_complex_numIfEPS3_EEvT1_iilPiilS6_bb, .Lfunc_end33-_ZN9rocsolver6v33100L18getri_kernel_smallILi34E19rocblas_complex_numIfEPS3_EEvT1_iilPiilS6_bb
                                        ; -- End function
	.section	.AMDGPU.csdata,"",@progbits
; Kernel info:
; codeLenInByte = 52920
; NumSgprs: 29
; NumVgprs: 196
; NumAgprs: 0
; TotalNumVgprs: 196
; ScratchSize: 288
; MemoryBound: 0
; FloatMode: 240
; IeeeMode: 1
; LDSByteSize: 548 bytes/workgroup (compile time only)
; SGPRBlocks: 3
; VGPRBlocks: 24
; NumSGPRsForWavesPerEU: 29
; NumVGPRsForWavesPerEU: 196
; AccumOffset: 196
; Occupancy: 2
; WaveLimiterHint : 1
; COMPUTE_PGM_RSRC2:SCRATCH_EN: 1
; COMPUTE_PGM_RSRC2:USER_SGPR: 8
; COMPUTE_PGM_RSRC2:TRAP_HANDLER: 0
; COMPUTE_PGM_RSRC2:TGID_X_EN: 1
; COMPUTE_PGM_RSRC2:TGID_Y_EN: 0
; COMPUTE_PGM_RSRC2:TGID_Z_EN: 0
; COMPUTE_PGM_RSRC2:TIDIG_COMP_CNT: 0
; COMPUTE_PGM_RSRC3_GFX90A:ACCUM_OFFSET: 48
; COMPUTE_PGM_RSRC3_GFX90A:TG_SPLIT: 0
	.section	.text._ZN9rocsolver6v33100L18getri_kernel_smallILi35E19rocblas_complex_numIfEPS3_EEvT1_iilPiilS6_bb,"axG",@progbits,_ZN9rocsolver6v33100L18getri_kernel_smallILi35E19rocblas_complex_numIfEPS3_EEvT1_iilPiilS6_bb,comdat
	.globl	_ZN9rocsolver6v33100L18getri_kernel_smallILi35E19rocblas_complex_numIfEPS3_EEvT1_iilPiilS6_bb ; -- Begin function _ZN9rocsolver6v33100L18getri_kernel_smallILi35E19rocblas_complex_numIfEPS3_EEvT1_iilPiilS6_bb
	.p2align	8
	.type	_ZN9rocsolver6v33100L18getri_kernel_smallILi35E19rocblas_complex_numIfEPS3_EEvT1_iilPiilS6_bb,@function
_ZN9rocsolver6v33100L18getri_kernel_smallILi35E19rocblas_complex_numIfEPS3_EEvT1_iilPiilS6_bb: ; @_ZN9rocsolver6v33100L18getri_kernel_smallILi35E19rocblas_complex_numIfEPS3_EEvT1_iilPiilS6_bb
; %bb.0:
	s_add_u32 flat_scratch_lo, s6, s9
	s_addc_u32 flat_scratch_hi, s7, 0
	s_add_u32 s0, s0, s9
	s_addc_u32 s1, s1, 0
	v_cmp_gt_u32_e32 vcc, 35, v0
	s_and_saveexec_b64 s[6:7], vcc
	s_cbranch_execz .LBB34_154
; %bb.1:
	s_load_dword s22, s[4:5], 0x38
	s_load_dwordx4 s[16:19], s[4:5], 0x10
	s_load_dwordx4 s[12:15], s[4:5], 0x28
                                        ; implicit-def: $sgpr10_sgpr11
	s_waitcnt lgkmcnt(0)
	s_bitcmp1_b32 s22, 8
	s_cselect_b64 s[20:21], -1, 0
	s_ashr_i32 s9, s8, 31
	s_bfe_u32 s6, s22, 0x10008
	s_cmp_eq_u32 s6, 0
	s_cbranch_scc1 .LBB34_3
; %bb.2:
	s_load_dword s6, s[4:5], 0x20
	s_mul_i32 s7, s8, s13
	s_mul_hi_u32 s10, s8, s12
	s_mul_i32 s11, s9, s12
	s_add_i32 s10, s10, s7
	s_add_i32 s11, s10, s11
	s_mul_i32 s10, s8, s12
	s_waitcnt lgkmcnt(0)
	s_ashr_i32 s7, s6, 31
	s_lshl_b64 s[10:11], s[10:11], 2
	s_add_u32 s10, s18, s10
	s_addc_u32 s11, s19, s11
	s_lshl_b64 s[6:7], s[6:7], 2
	s_add_u32 s10, s10, s6
	s_addc_u32 s11, s11, s7
.LBB34_3:
	s_load_dwordx4 s[4:7], s[4:5], 0x0
	s_mul_i32 s12, s8, s17
	s_mul_hi_u32 s13, s8, s16
	s_add_i32 s17, s13, s12
	v_lshlrev_b32_e32 v6, 3, v0
	s_waitcnt lgkmcnt(0)
	s_ashr_i32 s13, s6, 31
	s_mov_b32 s12, s6
	s_mul_i32 s6, s9, s16
	s_add_i32 s17, s17, s6
	s_mul_i32 s16, s8, s16
	s_lshl_b64 s[16:17], s[16:17], 3
	s_add_u32 s6, s4, s16
	s_addc_u32 s16, s5, s17
	s_lshl_b64 s[4:5], s[12:13], 3
	s_add_u32 s4, s6, s4
	s_addc_u32 s5, s16, s5
	s_add_i32 s6, s7, s7
	v_add_u32_e32 v2, s6, v0
	v_ashrrev_i32_e32 v3, 31, v2
	v_lshlrev_b64 v[4:5], 3, v[2:3]
	v_add_u32_e32 v2, s7, v2
	v_mov_b32_e32 v1, s5
	v_add_co_u32_e32 v22, vcc, s4, v4
	v_ashrrev_i32_e32 v3, 31, v2
	v_addc_co_u32_e32 v23, vcc, v1, v5, vcc
	v_lshlrev_b64 v[4:5], 3, v[2:3]
	v_add_u32_e32 v2, s7, v2
	v_add_co_u32_e32 v24, vcc, s4, v4
	v_ashrrev_i32_e32 v3, 31, v2
	v_addc_co_u32_e32 v25, vcc, v1, v5, vcc
	v_lshlrev_b64 v[4:5], 3, v[2:3]
	v_add_u32_e32 v2, s7, v2
	;; [unrolled: 5-line block ×26, first 2 shown]
	v_add_co_u32_e32 v74, vcc, s4, v4
	v_ashrrev_i32_e32 v3, 31, v2
	v_addc_co_u32_e32 v75, vcc, v1, v5, vcc
	v_lshlrev_b64 v[4:5], 3, v[2:3]
	v_add_co_u32_e32 v76, vcc, s4, v4
	v_add_u32_e32 v2, s7, v2
	v_addc_co_u32_e32 v77, vcc, v1, v5, vcc
	v_ashrrev_i32_e32 v3, 31, v2
	v_lshlrev_b64 v[4:5], 3, v[2:3]
	v_mov_b32_e32 v3, s5
	v_add_co_u32_e32 v80, vcc, s4, v6
	s_ashr_i32 s13, s7, 31
	s_mov_b32 s12, s7
	v_addc_co_u32_e32 v81, vcc, 0, v3, vcc
	s_lshl_b64 s[12:13], s[12:13], 3
	v_mov_b32_e32 v3, s13
	v_add_co_u32_e32 v82, vcc, s12, v80
	v_addc_co_u32_e32 v83, vcc, v81, v3, vcc
	v_add_u32_e32 v2, s7, v2
	v_add_co_u32_e32 v78, vcc, s4, v4
	v_ashrrev_i32_e32 v3, 31, v2
	v_addc_co_u32_e32 v79, vcc, v1, v5, vcc
	v_lshlrev_b64 v[18:19], 3, v[2:3]
	v_add_u32_e32 v2, s7, v2
	v_add_co_u32_e32 v84, vcc, s4, v18
	v_ashrrev_i32_e32 v3, 31, v2
	v_addc_co_u32_e32 v85, vcc, v1, v19, vcc
	v_lshlrev_b64 v[86:87], 3, v[2:3]
	;; [unrolled: 5-line block ×3, first 2 shown]
	v_add_co_u32_e32 v88, vcc, s4, v88
	global_load_dwordx2 v[8:9], v6, s[4:5]
	global_load_dwordx2 v[4:5], v[22:23], off
	global_load_dwordx2 v[12:13], v[24:25], off
	;; [unrolled: 1-line block ×25, first 2 shown]
	v_addc_co_u32_e32 v89, vcc, v1, v89, vcc
	global_load_dwordx2 v[128:129], v[70:71], off
	global_load_dwordx2 v[130:131], v[72:73], off
	global_load_dwordx2 v[132:133], v[74:75], off
	global_load_dwordx2 v[134:135], v[76:77], off
	global_load_dwordx2 v[136:137], v[78:79], off
	global_load_dwordx2 v[138:139], v[84:85], off
	global_load_dwordx2 v[140:141], v[86:87], off
	global_load_dwordx2 v[142:143], v[88:89], off
	v_add_u32_e32 v2, s7, v2
	v_ashrrev_i32_e32 v3, 31, v2
	v_lshlrev_b64 v[2:3], 3, v[2:3]
	v_add_co_u32_e32 v90, vcc, s4, v2
	v_addc_co_u32_e32 v91, vcc, v1, v3, vcc
	global_load_dwordx2 v[2:3], v[90:91], off
	s_bitcmp0_b32 s22, 0
	s_mov_b64 s[6:7], -1
	s_waitcnt vmcnt(34)
	buffer_store_dword v9, off, s[0:3], 0 offset:4
	buffer_store_dword v8, off, s[0:3], 0
	s_waitcnt vmcnt(33)
	buffer_store_dword v11, off, s[0:3], 0 offset:12
	buffer_store_dword v10, off, s[0:3], 0 offset:8
	;; [unrolled: 1-line block ×6, first 2 shown]
	s_waitcnt vmcnt(38)
	buffer_store_dword v15, off, s[0:3], 0 offset:36
	buffer_store_dword v14, off, s[0:3], 0 offset:32
	s_waitcnt vmcnt(39)
	buffer_store_dword v17, off, s[0:3], 0 offset:44
	buffer_store_dword v16, off, s[0:3], 0 offset:40
	;; [unrolled: 3-line block ×26, first 2 shown]
	buffer_store_dword v136, off, s[0:3], 0 offset:240
	buffer_store_dword v137, off, s[0:3], 0 offset:244
	s_waitcnt vmcnt(62)
	buffer_store_dword v139, off, s[0:3], 0 offset:252
	buffer_store_dword v138, off, s[0:3], 0 offset:248
	;; [unrolled: 1-line block ×8, first 2 shown]
	s_cbranch_scc1 .LBB34_152
; %bb.4:
	v_cmp_eq_u32_e64 s[4:5], 0, v0
	s_and_saveexec_b64 s[6:7], s[4:5]
	s_cbranch_execz .LBB34_6
; %bb.5:
	v_mov_b32_e32 v1, 0
	ds_write_b32 v1, v1 offset:280
.LBB34_6:
	s_or_b64 exec, exec, s[6:7]
	v_mov_b32_e32 v1, 0
	v_lshl_add_u32 v7, v0, 3, v1
	s_waitcnt lgkmcnt(0)
	; wave barrier
	s_waitcnt lgkmcnt(0)
	buffer_load_dword v1, v7, s[0:3], 0 offen
	buffer_load_dword v2, v7, s[0:3], 0 offen offset:4
	s_waitcnt vmcnt(1)
	v_cmp_eq_f32_e32 vcc, 0, v1
	s_waitcnt vmcnt(0)
	v_cmp_eq_f32_e64 s[6:7], 0, v2
	s_and_b64 s[6:7], vcc, s[6:7]
	s_and_saveexec_b64 s[12:13], s[6:7]
	s_cbranch_execz .LBB34_10
; %bb.7:
	v_mov_b32_e32 v1, 0
	ds_read_b32 v3, v1 offset:280
	v_add_u32_e32 v2, 1, v0
	s_waitcnt lgkmcnt(0)
	v_readfirstlane_b32 s6, v3
	s_cmp_eq_u32 s6, 0
	s_cselect_b64 s[16:17], -1, 0
	v_cmp_gt_i32_e32 vcc, s6, v2
	s_or_b64 s[16:17], s[16:17], vcc
	s_and_b64 exec, exec, s[16:17]
	s_cbranch_execz .LBB34_10
; %bb.8:
	s_mov_b64 s[16:17], 0
	v_mov_b32_e32 v3, s6
.LBB34_9:                               ; =>This Inner Loop Header: Depth=1
	ds_cmpst_rtn_b32 v3, v1, v3, v2 offset:280
	s_waitcnt lgkmcnt(0)
	v_cmp_ne_u32_e32 vcc, 0, v3
	v_cmp_le_i32_e64 s[6:7], v3, v2
	s_and_b64 s[6:7], vcc, s[6:7]
	s_and_b64 s[6:7], exec, s[6:7]
	s_or_b64 s[16:17], s[6:7], s[16:17]
	s_andn2_b64 exec, exec, s[16:17]
	s_cbranch_execnz .LBB34_9
.LBB34_10:
	s_or_b64 exec, exec, s[12:13]
	v_mov_b32_e32 v2, 0
	s_waitcnt lgkmcnt(0)
	; wave barrier
	ds_read_b32 v1, v2 offset:280
	s_and_saveexec_b64 s[6:7], s[4:5]
	s_cbranch_execz .LBB34_12
; %bb.11:
	s_lshl_b64 s[12:13], s[8:9], 2
	s_add_u32 s12, s14, s12
	s_addc_u32 s13, s15, s13
	s_waitcnt lgkmcnt(0)
	global_store_dword v2, v1, s[12:13]
.LBB34_12:
	s_or_b64 exec, exec, s[6:7]
	s_waitcnt lgkmcnt(0)
	v_cmp_ne_u32_e32 vcc, 0, v1
	s_mov_b64 s[6:7], 0
	s_cbranch_vccnz .LBB34_152
; %bb.13:
	buffer_load_dword v8, v7, s[0:3], 0 offen offset:4
	buffer_load_dword v3, v7, s[0:3], 0 offen
	s_waitcnt vmcnt(1)
	v_cmp_gt_f32_e32 vcc, 0, v8
	v_cndmask_b32_e64 v1, v8, -v8, vcc
	s_waitcnt vmcnt(0)
	v_cmp_gt_f32_e32 vcc, 0, v3
	v_cndmask_b32_e64 v2, v3, -v3, vcc
	v_cmp_ngt_f32_e32 vcc, v2, v1
                                        ; implicit-def: $vgpr1
                                        ; implicit-def: $vgpr2
	s_and_saveexec_b64 s[6:7], vcc
	s_xor_b64 s[6:7], exec, s[6:7]
                                        ; implicit-def: $vgpr4_vgpr5
	s_cbranch_execz .LBB34_15
; %bb.14:
	v_div_scale_f32 v1, s[12:13], v8, v8, v3
	v_rcp_f32_e32 v2, v1
	v_div_scale_f32 v4, vcc, v3, v8, v3
	v_fma_f32 v5, -v1, v2, 1.0
	v_fmac_f32_e32 v2, v5, v2
	v_mul_f32_e32 v5, v4, v2
	v_fma_f32 v9, -v1, v5, v4
	v_fmac_f32_e32 v5, v9, v2
	v_fma_f32 v1, -v1, v5, v4
	v_div_fmas_f32 v1, v1, v2, v5
	v_div_fixup_f32 v2, v1, v8, v3
	v_fmac_f32_e32 v8, v3, v2
	v_div_scale_f32 v1, s[12:13], v8, v8, -1.0
	v_rcp_f32_e32 v3, v1
	v_fma_f32 v4, -v1, v3, 1.0
	v_fmac_f32_e32 v3, v4, v3
	v_div_scale_f32 v4, vcc, -1.0, v8, -1.0
	v_mul_f32_e32 v5, v4, v3
	v_fma_f32 v9, -v1, v5, v4
	v_fmac_f32_e32 v5, v9, v3
	v_fma_f32 v1, -v1, v5, v4
	v_div_fmas_f32 v1, v1, v3, v5
	v_div_fixup_f32 v1, v1, v8, -1.0
	v_mul_f32_e32 v2, v2, v1
	v_xor_b32_e32 v4, 0x80000000, v2
                                        ; implicit-def: $vgpr3
                                        ; implicit-def: $vgpr8
.LBB34_15:
	s_andn2_saveexec_b64 s[6:7], s[6:7]
	s_cbranch_execz .LBB34_17
; %bb.16:
	v_div_scale_f32 v1, s[12:13], v3, v3, v8
	v_rcp_f32_e32 v2, v1
	v_div_scale_f32 v4, vcc, v8, v3, v8
	v_fma_f32 v5, -v1, v2, 1.0
	v_fmac_f32_e32 v2, v5, v2
	v_mul_f32_e32 v5, v4, v2
	v_fma_f32 v9, -v1, v5, v4
	v_fmac_f32_e32 v5, v9, v2
	v_fma_f32 v1, -v1, v5, v4
	v_div_fmas_f32 v1, v1, v2, v5
	v_div_fixup_f32 v1, v1, v3, v8
	v_fmac_f32_e32 v3, v8, v1
	v_div_scale_f32 v2, s[12:13], v3, v3, 1.0
	v_rcp_f32_e32 v4, v2
	v_fma_f32 v5, -v2, v4, 1.0
	v_fmac_f32_e32 v4, v5, v4
	v_div_scale_f32 v5, vcc, 1.0, v3, 1.0
	v_mul_f32_e32 v8, v5, v4
	v_fma_f32 v9, -v2, v8, v5
	v_fmac_f32_e32 v8, v9, v4
	v_fma_f32 v2, -v2, v8, v5
	v_div_fmas_f32 v2, v2, v4, v8
	v_div_fixup_f32 v4, v2, v3, 1.0
	v_xor_b32_e32 v2, 0x80000000, v4
	v_mul_f32_e64 v1, v1, -v4
.LBB34_17:
	s_or_b64 exec, exec, s[6:7]
	buffer_store_dword v1, v7, s[0:3], 0 offen offset:4
	buffer_store_dword v4, v7, s[0:3], 0 offen
	buffer_load_dword v5, off, s[0:3], 0 offset:12
	s_nop 0
	buffer_load_dword v4, off, s[0:3], 0 offset:8
	v_xor_b32_e32 v3, 0x80000000, v1
	v_add_u32_e32 v1, 0x120, v6
	s_waitcnt vmcnt(0)
	ds_write2_b64 v6, v[2:3], v[4:5] offset1:36
	s_waitcnt lgkmcnt(0)
	; wave barrier
	s_waitcnt lgkmcnt(0)
	s_and_saveexec_b64 s[6:7], s[4:5]
	s_cbranch_execz .LBB34_19
; %bb.18:
	buffer_load_dword v8, v7, s[0:3], 0 offen offset:4
	buffer_load_dword v9, v7, s[0:3], 0 offen
	ds_read_b64 v[2:3], v1
	v_mov_b32_e32 v4, 0
	ds_read_b64 v[4:5], v4 offset:8
	s_waitcnt vmcnt(1) lgkmcnt(1)
	v_mul_f32_e32 v10, v3, v8
	v_mul_f32_e32 v8, v2, v8
	s_waitcnt vmcnt(0)
	v_fmac_f32_e32 v8, v3, v9
	v_fma_f32 v2, v2, v9, -v10
	v_add_f32_e32 v3, 0, v8
	v_add_f32_e32 v2, 0, v2
	s_waitcnt lgkmcnt(0)
	v_mul_f32_e32 v8, v3, v5
	v_mul_f32_e32 v5, v2, v5
	v_fma_f32 v2, v2, v4, -v8
	v_fmac_f32_e32 v5, v3, v4
	buffer_store_dword v2, off, s[0:3], 0 offset:8
	buffer_store_dword v5, off, s[0:3], 0 offset:12
.LBB34_19:
	s_or_b64 exec, exec, s[6:7]
	s_waitcnt lgkmcnt(0)
	; wave barrier
	buffer_load_dword v2, off, s[0:3], 0 offset:16
	buffer_load_dword v3, off, s[0:3], 0 offset:20
	v_cmp_gt_u32_e32 vcc, 2, v0
	s_waitcnt vmcnt(0)
	ds_write_b64 v1, v[2:3]
	s_waitcnt lgkmcnt(0)
	; wave barrier
	s_waitcnt lgkmcnt(0)
	s_and_saveexec_b64 s[6:7], vcc
	s_cbranch_execz .LBB34_23
; %bb.20:
	buffer_load_dword v4, v7, s[0:3], 0 offen offset:4
	buffer_load_dword v5, v7, s[0:3], 0 offen
	ds_read_b64 v[2:3], v1
	s_waitcnt vmcnt(1) lgkmcnt(0)
	v_mul_f32_e32 v7, v3, v4
	v_mul_f32_e32 v4, v2, v4
	s_waitcnt vmcnt(0)
	v_fma_f32 v2, v2, v5, -v7
	v_fmac_f32_e32 v4, v3, v5
	v_add_f32_e32 v3, 0, v2
	v_add_f32_e32 v2, 0, v4
	s_and_saveexec_b64 s[12:13], s[4:5]
	s_cbranch_execz .LBB34_22
; %bb.21:
	buffer_load_dword v7, off, s[0:3], 0 offset:12
	buffer_load_dword v8, off, s[0:3], 0 offset:8
	v_mov_b32_e32 v4, 0
	ds_read_b64 v[4:5], v4 offset:296
	s_waitcnt vmcnt(1) lgkmcnt(0)
	v_mul_f32_e32 v9, v4, v7
	v_mul_f32_e32 v7, v5, v7
	s_waitcnt vmcnt(0)
	v_fmac_f32_e32 v9, v5, v8
	v_fma_f32 v4, v4, v8, -v7
	v_add_f32_e32 v2, v2, v9
	v_add_f32_e32 v3, v3, v4
.LBB34_22:
	s_or_b64 exec, exec, s[12:13]
	v_mov_b32_e32 v4, 0
	ds_read_b64 v[4:5], v4 offset:16
	s_waitcnt lgkmcnt(0)
	v_mul_f32_e32 v7, v2, v5
	v_mul_f32_e32 v5, v3, v5
	v_fma_f32 v3, v3, v4, -v7
	v_fmac_f32_e32 v5, v2, v4
	buffer_store_dword v3, off, s[0:3], 0 offset:16
	buffer_store_dword v5, off, s[0:3], 0 offset:20
.LBB34_23:
	s_or_b64 exec, exec, s[6:7]
	s_waitcnt lgkmcnt(0)
	; wave barrier
	buffer_load_dword v2, off, s[0:3], 0 offset:24
	buffer_load_dword v3, off, s[0:3], 0 offset:28
	v_cmp_gt_u32_e32 vcc, 3, v0
	s_waitcnt vmcnt(0)
	ds_write_b64 v1, v[2:3]
	v_add_u32_e32 v2, -1, v0
	s_waitcnt lgkmcnt(0)
	; wave barrier
	s_waitcnt lgkmcnt(0)
	s_and_saveexec_b64 s[4:5], vcc
	s_cbranch_execz .LBB34_27
; %bb.24:
	v_add_u32_e32 v4, -1, v0
	v_add_u32_e32 v5, 0x120, v6
	v_add_u32_e32 v7, 0, v6
	s_mov_b64 s[6:7], 0
	v_mov_b32_e32 v3, 0
	v_mov_b32_e32 v8, 0
.LBB34_25:                              ; =>This Inner Loop Header: Depth=1
	buffer_load_dword v9, v7, s[0:3], 0 offen offset:4
	buffer_load_dword v12, v7, s[0:3], 0 offen
	ds_read_b64 v[10:11], v5
	v_add_u32_e32 v4, 1, v4
	v_cmp_lt_u32_e32 vcc, 1, v4
	v_add_u32_e32 v5, 8, v5
	v_add_u32_e32 v7, 8, v7
	s_or_b64 s[6:7], vcc, s[6:7]
	s_waitcnt vmcnt(1) lgkmcnt(0)
	v_mul_f32_e32 v13, v11, v9
	v_mul_f32_e32 v9, v10, v9
	s_waitcnt vmcnt(0)
	v_fma_f32 v10, v10, v12, -v13
	v_fmac_f32_e32 v9, v11, v12
	v_add_f32_e32 v8, v8, v10
	v_add_f32_e32 v3, v3, v9
	s_andn2_b64 exec, exec, s[6:7]
	s_cbranch_execnz .LBB34_25
; %bb.26:
	s_or_b64 exec, exec, s[6:7]
	v_mov_b32_e32 v4, 0
	ds_read_b64 v[4:5], v4 offset:24
	s_waitcnt lgkmcnt(0)
	v_mul_f32_e32 v7, v3, v5
	v_mul_f32_e32 v5, v8, v5
	v_fma_f32 v7, v8, v4, -v7
	v_fmac_f32_e32 v5, v3, v4
	buffer_store_dword v7, off, s[0:3], 0 offset:24
	buffer_store_dword v5, off, s[0:3], 0 offset:28
.LBB34_27:
	s_or_b64 exec, exec, s[4:5]
	s_waitcnt lgkmcnt(0)
	; wave barrier
	buffer_load_dword v4, off, s[0:3], 0 offset:32
	buffer_load_dword v5, off, s[0:3], 0 offset:36
	v_cmp_gt_u32_e32 vcc, 4, v0
	s_waitcnt vmcnt(0)
	ds_write_b64 v1, v[4:5]
	s_waitcnt lgkmcnt(0)
	; wave barrier
	s_waitcnt lgkmcnt(0)
	s_and_saveexec_b64 s[4:5], vcc
	s_cbranch_execz .LBB34_31
; %bb.28:
	v_add_u32_e32 v4, -1, v0
	v_add_u32_e32 v5, 0x120, v6
	v_add_u32_e32 v7, 0, v6
	s_mov_b64 s[6:7], 0
	v_mov_b32_e32 v3, 0
	v_mov_b32_e32 v8, 0
.LBB34_29:                              ; =>This Inner Loop Header: Depth=1
	buffer_load_dword v9, v7, s[0:3], 0 offen offset:4
	buffer_load_dword v12, v7, s[0:3], 0 offen
	ds_read_b64 v[10:11], v5
	v_add_u32_e32 v4, 1, v4
	v_cmp_lt_u32_e32 vcc, 2, v4
	v_add_u32_e32 v5, 8, v5
	v_add_u32_e32 v7, 8, v7
	s_or_b64 s[6:7], vcc, s[6:7]
	s_waitcnt vmcnt(1) lgkmcnt(0)
	v_mul_f32_e32 v13, v11, v9
	v_mul_f32_e32 v9, v10, v9
	s_waitcnt vmcnt(0)
	v_fma_f32 v10, v10, v12, -v13
	v_fmac_f32_e32 v9, v11, v12
	v_add_f32_e32 v8, v8, v10
	v_add_f32_e32 v3, v3, v9
	s_andn2_b64 exec, exec, s[6:7]
	s_cbranch_execnz .LBB34_29
; %bb.30:
	s_or_b64 exec, exec, s[6:7]
	v_mov_b32_e32 v4, 0
	ds_read_b64 v[4:5], v4 offset:32
	s_waitcnt lgkmcnt(0)
	v_mul_f32_e32 v7, v3, v5
	v_mul_f32_e32 v5, v8, v5
	v_fma_f32 v7, v8, v4, -v7
	v_fmac_f32_e32 v5, v3, v4
	buffer_store_dword v7, off, s[0:3], 0 offset:32
	buffer_store_dword v5, off, s[0:3], 0 offset:36
.LBB34_31:
	s_or_b64 exec, exec, s[4:5]
	s_waitcnt lgkmcnt(0)
	; wave barrier
	buffer_load_dword v4, off, s[0:3], 0 offset:40
	buffer_load_dword v5, off, s[0:3], 0 offset:44
	v_cmp_gt_u32_e32 vcc, 5, v0
	s_waitcnt vmcnt(0)
	ds_write_b64 v1, v[4:5]
	;; [unrolled: 51-line block ×19, first 2 shown]
	s_waitcnt lgkmcnt(0)
	; wave barrier
	s_waitcnt lgkmcnt(0)
	s_and_saveexec_b64 s[4:5], vcc
	s_cbranch_execz .LBB34_103
; %bb.100:
	v_add_u32_e32 v4, -1, v0
	v_add_u32_e32 v5, 0x120, v6
	v_add_u32_e32 v7, 0, v6
	s_mov_b64 s[6:7], 0
	v_mov_b32_e32 v3, 0
	v_mov_b32_e32 v8, 0
.LBB34_101:                             ; =>This Inner Loop Header: Depth=1
	buffer_load_dword v9, v7, s[0:3], 0 offen offset:4
	buffer_load_dword v12, v7, s[0:3], 0 offen
	ds_read_b64 v[10:11], v5
	v_add_u32_e32 v4, 1, v4
	v_cmp_lt_u32_e32 vcc, 20, v4
	v_add_u32_e32 v5, 8, v5
	v_add_u32_e32 v7, 8, v7
	s_or_b64 s[6:7], vcc, s[6:7]
	s_waitcnt vmcnt(1) lgkmcnt(0)
	v_mul_f32_e32 v13, v11, v9
	v_mul_f32_e32 v9, v10, v9
	s_waitcnt vmcnt(0)
	v_fma_f32 v10, v10, v12, -v13
	v_fmac_f32_e32 v9, v11, v12
	v_add_f32_e32 v8, v8, v10
	v_add_f32_e32 v3, v3, v9
	s_andn2_b64 exec, exec, s[6:7]
	s_cbranch_execnz .LBB34_101
; %bb.102:
	s_or_b64 exec, exec, s[6:7]
	v_mov_b32_e32 v4, 0
	ds_read_b64 v[4:5], v4 offset:176
	s_waitcnt lgkmcnt(0)
	v_mul_f32_e32 v7, v3, v5
	v_mul_f32_e32 v5, v8, v5
	v_fma_f32 v7, v8, v4, -v7
	v_fmac_f32_e32 v5, v3, v4
	buffer_store_dword v7, off, s[0:3], 0 offset:176
	buffer_store_dword v5, off, s[0:3], 0 offset:180
.LBB34_103:
	s_or_b64 exec, exec, s[4:5]
	s_waitcnt lgkmcnt(0)
	; wave barrier
	buffer_load_dword v4, off, s[0:3], 0 offset:184
	buffer_load_dword v5, off, s[0:3], 0 offset:188
	v_cmp_gt_u32_e32 vcc, 23, v0
	s_waitcnt vmcnt(0)
	ds_write_b64 v1, v[4:5]
	s_waitcnt lgkmcnt(0)
	; wave barrier
	s_waitcnt lgkmcnt(0)
	s_and_saveexec_b64 s[4:5], vcc
	s_cbranch_execz .LBB34_107
; %bb.104:
	v_add_u32_e32 v4, -1, v0
	v_add_u32_e32 v5, 0x120, v6
	v_add_u32_e32 v7, 0, v6
	s_mov_b64 s[6:7], 0
	v_mov_b32_e32 v3, 0
	v_mov_b32_e32 v8, 0
.LBB34_105:                             ; =>This Inner Loop Header: Depth=1
	buffer_load_dword v9, v7, s[0:3], 0 offen offset:4
	buffer_load_dword v12, v7, s[0:3], 0 offen
	ds_read_b64 v[10:11], v5
	v_add_u32_e32 v4, 1, v4
	v_cmp_lt_u32_e32 vcc, 21, v4
	v_add_u32_e32 v5, 8, v5
	v_add_u32_e32 v7, 8, v7
	s_or_b64 s[6:7], vcc, s[6:7]
	s_waitcnt vmcnt(1) lgkmcnt(0)
	v_mul_f32_e32 v13, v11, v9
	v_mul_f32_e32 v9, v10, v9
	s_waitcnt vmcnt(0)
	v_fma_f32 v10, v10, v12, -v13
	v_fmac_f32_e32 v9, v11, v12
	v_add_f32_e32 v8, v8, v10
	v_add_f32_e32 v3, v3, v9
	s_andn2_b64 exec, exec, s[6:7]
	s_cbranch_execnz .LBB34_105
; %bb.106:
	s_or_b64 exec, exec, s[6:7]
	v_mov_b32_e32 v4, 0
	ds_read_b64 v[4:5], v4 offset:184
	s_waitcnt lgkmcnt(0)
	v_mul_f32_e32 v7, v3, v5
	v_mul_f32_e32 v5, v8, v5
	v_fma_f32 v7, v8, v4, -v7
	v_fmac_f32_e32 v5, v3, v4
	buffer_store_dword v7, off, s[0:3], 0 offset:184
	buffer_store_dword v5, off, s[0:3], 0 offset:188
.LBB34_107:
	s_or_b64 exec, exec, s[4:5]
	s_waitcnt lgkmcnt(0)
	; wave barrier
	buffer_load_dword v4, off, s[0:3], 0 offset:192
	buffer_load_dword v5, off, s[0:3], 0 offset:196
	v_cmp_gt_u32_e32 vcc, 24, v0
	s_waitcnt vmcnt(0)
	ds_write_b64 v1, v[4:5]
	;; [unrolled: 51-line block ×11, first 2 shown]
	s_waitcnt lgkmcnt(0)
	; wave barrier
	s_waitcnt lgkmcnt(0)
	s_and_saveexec_b64 s[4:5], vcc
	s_cbranch_execz .LBB34_147
; %bb.144:
	v_add_u32_e32 v4, -1, v0
	v_add_u32_e32 v5, 0x120, v6
	v_add_u32_e32 v7, 0, v6
	s_mov_b64 s[6:7], 0
	v_mov_b32_e32 v3, 0
	v_mov_b32_e32 v8, 0
.LBB34_145:                             ; =>This Inner Loop Header: Depth=1
	buffer_load_dword v9, v7, s[0:3], 0 offen offset:4
	buffer_load_dword v12, v7, s[0:3], 0 offen
	ds_read_b64 v[10:11], v5
	v_add_u32_e32 v4, 1, v4
	v_cmp_lt_u32_e32 vcc, 31, v4
	v_add_u32_e32 v5, 8, v5
	v_add_u32_e32 v7, 8, v7
	s_or_b64 s[6:7], vcc, s[6:7]
	s_waitcnt vmcnt(1) lgkmcnt(0)
	v_mul_f32_e32 v13, v11, v9
	v_mul_f32_e32 v9, v10, v9
	s_waitcnt vmcnt(0)
	v_fma_f32 v10, v10, v12, -v13
	v_fmac_f32_e32 v9, v11, v12
	v_add_f32_e32 v8, v8, v10
	v_add_f32_e32 v3, v3, v9
	s_andn2_b64 exec, exec, s[6:7]
	s_cbranch_execnz .LBB34_145
; %bb.146:
	s_or_b64 exec, exec, s[6:7]
	v_mov_b32_e32 v4, 0
	ds_read_b64 v[4:5], v4 offset:264
	s_waitcnt lgkmcnt(0)
	v_mul_f32_e32 v7, v3, v5
	v_mul_f32_e32 v5, v8, v5
	v_fma_f32 v7, v8, v4, -v7
	v_fmac_f32_e32 v5, v3, v4
	buffer_store_dword v7, off, s[0:3], 0 offset:264
	buffer_store_dword v5, off, s[0:3], 0 offset:268
.LBB34_147:
	s_or_b64 exec, exec, s[4:5]
	s_waitcnt lgkmcnt(0)
	; wave barrier
	buffer_load_dword v4, off, s[0:3], 0 offset:272
	buffer_load_dword v5, off, s[0:3], 0 offset:276
	v_cmp_ne_u32_e32 vcc, 34, v0
	s_waitcnt vmcnt(0)
	ds_write_b64 v1, v[4:5]
	s_waitcnt lgkmcnt(0)
	; wave barrier
	s_waitcnt lgkmcnt(0)
	s_and_saveexec_b64 s[4:5], vcc
	s_cbranch_execz .LBB34_151
; %bb.148:
	v_add_u32_e32 v3, 0x120, v6
	v_add_u32_e32 v4, 0, v6
	s_mov_b64 s[6:7], 0
	v_mov_b32_e32 v1, 0
	v_mov_b32_e32 v5, 0
.LBB34_149:                             ; =>This Inner Loop Header: Depth=1
	buffer_load_dword v8, v4, s[0:3], 0 offen offset:4
	buffer_load_dword v9, v4, s[0:3], 0 offen
	ds_read_b64 v[6:7], v3
	v_add_u32_e32 v2, 1, v2
	v_cmp_lt_u32_e32 vcc, 32, v2
	v_add_u32_e32 v3, 8, v3
	v_add_u32_e32 v4, 8, v4
	s_or_b64 s[6:7], vcc, s[6:7]
	s_waitcnt vmcnt(1) lgkmcnt(0)
	v_mul_f32_e32 v10, v7, v8
	v_mul_f32_e32 v8, v6, v8
	s_waitcnt vmcnt(0)
	v_fma_f32 v6, v6, v9, -v10
	v_fmac_f32_e32 v8, v7, v9
	v_add_f32_e32 v5, v5, v6
	v_add_f32_e32 v1, v1, v8
	s_andn2_b64 exec, exec, s[6:7]
	s_cbranch_execnz .LBB34_149
; %bb.150:
	s_or_b64 exec, exec, s[6:7]
	v_mov_b32_e32 v2, 0
	ds_read_b64 v[2:3], v2 offset:272
	s_waitcnt lgkmcnt(0)
	v_mul_f32_e32 v4, v1, v3
	v_mul_f32_e32 v3, v5, v3
	v_fma_f32 v4, v5, v2, -v4
	v_fmac_f32_e32 v3, v1, v2
	buffer_store_dword v4, off, s[0:3], 0 offset:272
	buffer_store_dword v3, off, s[0:3], 0 offset:276
.LBB34_151:
	s_or_b64 exec, exec, s[4:5]
	s_mov_b64 s[6:7], -1
	s_waitcnt lgkmcnt(0)
	; wave barrier
.LBB34_152:
	s_and_b64 vcc, exec, s[6:7]
	s_cbranch_vccz .LBB34_154
; %bb.153:
	s_lshl_b64 s[4:5], s[8:9], 2
	s_add_u32 s4, s14, s4
	s_addc_u32 s5, s15, s5
	v_mov_b32_e32 v1, 0
	global_load_dword v1, v1, s[4:5]
	s_waitcnt vmcnt(0)
	v_cmp_ne_u32_e32 vcc, 0, v1
	s_cbranch_vccz .LBB34_155
.LBB34_154:
	s_endpgm
.LBB34_155:
	v_mov_b32_e32 v1, 0x120
	v_lshl_add_u32 v1, v0, 3, v1
	v_cmp_eq_u32_e32 vcc, 34, v0
	s_and_saveexec_b64 s[4:5], vcc
	s_cbranch_execz .LBB34_157
; %bb.156:
	buffer_load_dword v2, off, s[0:3], 0 offset:264
	buffer_load_dword v3, off, s[0:3], 0 offset:268
	v_mov_b32_e32 v4, 0
	buffer_store_dword v4, off, s[0:3], 0 offset:264
	buffer_store_dword v4, off, s[0:3], 0 offset:268
	s_waitcnt vmcnt(2)
	ds_write_b64 v1, v[2:3]
.LBB34_157:
	s_or_b64 exec, exec, s[4:5]
	s_waitcnt lgkmcnt(0)
	; wave barrier
	s_waitcnt lgkmcnt(0)
	buffer_load_dword v5, off, s[0:3], 0 offset:276
	buffer_load_dword v4, off, s[0:3], 0 offset:272
	;; [unrolled: 1-line block ×4, first 2 shown]
	v_mov_b32_e32 v2, 0
	ds_read_b64 v[8:9], v2 offset:560
	v_cmp_lt_u32_e32 vcc, 32, v0
	s_waitcnt vmcnt(3)
	v_mov_b32_e32 v10, v5
	s_waitcnt lgkmcnt(0)
	v_pk_mul_f32 v[10:11], v[8:9], v[10:11] op_sel_hi:[1,0]
	s_waitcnt vmcnt(2)
	v_pk_fma_f32 v[12:13], v[8:9], v[4:5], v[10:11] op_sel:[0,0,1] op_sel_hi:[1,1,0] neg_lo:[0,0,1] neg_hi:[0,0,1]
	v_pk_fma_f32 v[4:5], v[8:9], v[4:5], v[10:11] op_sel:[0,0,1] op_sel_hi:[1,0,0]
	v_mov_b32_e32 v13, v5
	v_pk_add_f32 v[4:5], v[12:13], 0 op_sel_hi:[1,0]
	s_waitcnt vmcnt(0)
	v_pk_add_f32 v[4:5], v[6:7], v[4:5] neg_lo:[0,1] neg_hi:[0,1]
	buffer_store_dword v4, off, s[0:3], 0 offset:264
	buffer_store_dword v5, off, s[0:3], 0 offset:268
	s_and_saveexec_b64 s[4:5], vcc
	s_cbranch_execz .LBB34_159
; %bb.158:
	buffer_load_dword v4, off, s[0:3], 0 offset:256
	buffer_load_dword v5, off, s[0:3], 0 offset:260
	s_waitcnt vmcnt(0)
	ds_write_b64 v1, v[4:5]
	buffer_store_dword v2, off, s[0:3], 0 offset:256
	buffer_store_dword v2, off, s[0:3], 0 offset:260
.LBB34_159:
	s_or_b64 exec, exec, s[4:5]
	s_waitcnt lgkmcnt(0)
	; wave barrier
	s_waitcnt lgkmcnt(0)
	buffer_load_dword v7, off, s[0:3], 0 offset:268
	buffer_load_dword v9, off, s[0:3], 0 offset:276
	;; [unrolled: 1-line block ×6, first 2 shown]
	ds_read2_b64 v[2:5], v2 offset0:69 offset1:70
	v_cmp_lt_u32_e32 vcc, 31, v0
	s_waitcnt vmcnt(5)
	v_mov_b32_e32 v12, v7
	s_waitcnt vmcnt(4)
	v_mov_b32_e32 v14, v9
	s_waitcnt lgkmcnt(0)
	v_pk_mul_f32 v[12:13], v[2:3], v[12:13] op_sel_hi:[1,0]
	v_pk_mul_f32 v[14:15], v[4:5], v[14:15] op_sel_hi:[1,0]
	s_waitcnt vmcnt(3)
	v_pk_fma_f32 v[16:17], v[2:3], v[6:7], v[12:13] op_sel:[0,0,1] op_sel_hi:[1,1,0] neg_lo:[0,0,1] neg_hi:[0,0,1]
	v_pk_fma_f32 v[2:3], v[2:3], v[6:7], v[12:13] op_sel:[0,0,1] op_sel_hi:[1,0,0]
	s_waitcnt vmcnt(2)
	v_pk_fma_f32 v[6:7], v[4:5], v[8:9], v[14:15] op_sel:[0,0,1] op_sel_hi:[1,1,0] neg_lo:[0,0,1] neg_hi:[0,0,1]
	v_pk_fma_f32 v[4:5], v[4:5], v[8:9], v[14:15] op_sel:[0,0,1] op_sel_hi:[1,0,0]
	v_mov_b32_e32 v17, v3
	v_mov_b32_e32 v7, v5
	v_pk_add_f32 v[2:3], v[16:17], 0 op_sel_hi:[1,0]
	v_pk_add_f32 v[2:3], v[2:3], v[6:7]
	s_waitcnt vmcnt(0)
	v_pk_add_f32 v[2:3], v[10:11], v[2:3] neg_lo:[0,1] neg_hi:[0,1]
	buffer_store_dword v2, off, s[0:3], 0 offset:256
	buffer_store_dword v3, off, s[0:3], 0 offset:260
	s_and_saveexec_b64 s[4:5], vcc
	s_cbranch_execz .LBB34_161
; %bb.160:
	buffer_load_dword v2, off, s[0:3], 0 offset:248
	buffer_load_dword v3, off, s[0:3], 0 offset:252
	v_mov_b32_e32 v4, 0
	buffer_store_dword v4, off, s[0:3], 0 offset:248
	buffer_store_dword v4, off, s[0:3], 0 offset:252
	s_waitcnt vmcnt(2)
	ds_write_b64 v1, v[2:3]
.LBB34_161:
	s_or_b64 exec, exec, s[4:5]
	s_waitcnt lgkmcnt(0)
	; wave barrier
	s_waitcnt lgkmcnt(0)
	buffer_load_dword v9, off, s[0:3], 0 offset:260
	buffer_load_dword v11, off, s[0:3], 0 offset:268
	buffer_load_dword v13, off, s[0:3], 0 offset:276
	buffer_load_dword v8, off, s[0:3], 0 offset:256
	buffer_load_dword v10, off, s[0:3], 0 offset:264
	buffer_load_dword v12, off, s[0:3], 0 offset:272
	buffer_load_dword v14, off, s[0:3], 0 offset:248
	buffer_load_dword v15, off, s[0:3], 0 offset:252
	v_mov_b32_e32 v2, 0
	ds_read_b128 v[4:7], v2 offset:544
	ds_read_b64 v[16:17], v2 offset:560
	v_cmp_lt_u32_e32 vcc, 30, v0
	s_waitcnt vmcnt(7)
	v_mov_b32_e32 v18, v9
	s_waitcnt vmcnt(6)
	v_mov_b32_e32 v20, v11
	s_waitcnt lgkmcnt(1)
	v_pk_mul_f32 v[18:19], v[4:5], v[18:19] op_sel_hi:[1,0]
	s_waitcnt vmcnt(5)
	v_mov_b32_e32 v92, v13
	v_pk_mul_f32 v[20:21], v[6:7], v[20:21] op_sel_hi:[1,0]
	s_waitcnt vmcnt(4)
	v_pk_fma_f32 v[94:95], v[4:5], v[8:9], v[18:19] op_sel:[0,0,1] op_sel_hi:[1,1,0] neg_lo:[0,0,1] neg_hi:[0,0,1]
	v_pk_fma_f32 v[4:5], v[4:5], v[8:9], v[18:19] op_sel:[0,0,1] op_sel_hi:[1,0,0]
	s_waitcnt lgkmcnt(0)
	v_pk_mul_f32 v[92:93], v[16:17], v[92:93] op_sel_hi:[1,0]
	s_waitcnt vmcnt(3)
	v_pk_fma_f32 v[8:9], v[6:7], v[10:11], v[20:21] op_sel:[0,0,1] op_sel_hi:[1,1,0] neg_lo:[0,0,1] neg_hi:[0,0,1]
	v_pk_fma_f32 v[6:7], v[6:7], v[10:11], v[20:21] op_sel:[0,0,1] op_sel_hi:[1,0,0]
	v_mov_b32_e32 v95, v5
	s_waitcnt vmcnt(2)
	v_pk_fma_f32 v[10:11], v[16:17], v[12:13], v[92:93] op_sel:[0,0,1] op_sel_hi:[1,1,0] neg_lo:[0,0,1] neg_hi:[0,0,1]
	v_pk_fma_f32 v[12:13], v[16:17], v[12:13], v[92:93] op_sel:[0,0,1] op_sel_hi:[1,0,0]
	v_mov_b32_e32 v9, v7
	v_pk_add_f32 v[4:5], v[94:95], 0 op_sel_hi:[1,0]
	v_mov_b32_e32 v11, v13
	v_pk_add_f32 v[4:5], v[4:5], v[8:9]
	v_pk_add_f32 v[4:5], v[4:5], v[10:11]
	s_waitcnt vmcnt(0)
	v_pk_add_f32 v[4:5], v[14:15], v[4:5] neg_lo:[0,1] neg_hi:[0,1]
	buffer_store_dword v4, off, s[0:3], 0 offset:248
	buffer_store_dword v5, off, s[0:3], 0 offset:252
	s_and_saveexec_b64 s[4:5], vcc
	s_cbranch_execz .LBB34_163
; %bb.162:
	buffer_load_dword v4, off, s[0:3], 0 offset:240
	buffer_load_dword v5, off, s[0:3], 0 offset:244
	s_waitcnt vmcnt(0)
	ds_write_b64 v1, v[4:5]
	buffer_store_dword v2, off, s[0:3], 0 offset:240
	buffer_store_dword v2, off, s[0:3], 0 offset:244
.LBB34_163:
	s_or_b64 exec, exec, s[4:5]
	s_waitcnt lgkmcnt(0)
	; wave barrier
	s_waitcnt lgkmcnt(0)
	buffer_load_dword v13, off, s[0:3], 0 offset:252
	buffer_load_dword v15, off, s[0:3], 0 offset:260
	;; [unrolled: 1-line block ×10, first 2 shown]
	ds_read2_b64 v[4:7], v2 offset0:67 offset1:68
	ds_read2_b64 v[8:11], v2 offset0:69 offset1:70
	v_cmp_lt_u32_e32 vcc, 29, v0
	s_waitcnt vmcnt(9)
	v_mov_b32_e32 v2, v13
	s_waitcnt vmcnt(8)
	v_mov_b32_e32 v92, v15
	s_waitcnt lgkmcnt(1)
	v_pk_mul_f32 v[2:3], v[4:5], v[2:3] op_sel_hi:[1,0]
	s_waitcnt vmcnt(7)
	v_mov_b32_e32 v94, v17
	v_pk_mul_f32 v[92:93], v[6:7], v[92:93] op_sel_hi:[1,0]
	s_waitcnt vmcnt(5)
	v_pk_fma_f32 v[98:99], v[4:5], v[12:13], v[2:3] op_sel:[0,0,1] op_sel_hi:[1,1,0] neg_lo:[0,0,1] neg_hi:[0,0,1]
	v_pk_fma_f32 v[2:3], v[4:5], v[12:13], v[2:3] op_sel:[0,0,1] op_sel_hi:[1,0,0]
	v_mov_b32_e32 v96, v19
	s_waitcnt lgkmcnt(0)
	v_pk_mul_f32 v[94:95], v[8:9], v[94:95] op_sel_hi:[1,0]
	s_waitcnt vmcnt(4)
	v_pk_fma_f32 v[4:5], v[6:7], v[14:15], v[92:93] op_sel:[0,0,1] op_sel_hi:[1,1,0] neg_lo:[0,0,1] neg_hi:[0,0,1]
	v_pk_fma_f32 v[6:7], v[6:7], v[14:15], v[92:93] op_sel:[0,0,1] op_sel_hi:[1,0,0]
	v_mov_b32_e32 v99, v3
	v_pk_mul_f32 v[96:97], v[10:11], v[96:97] op_sel_hi:[1,0]
	s_waitcnt vmcnt(3)
	v_pk_fma_f32 v[12:13], v[8:9], v[16:17], v[94:95] op_sel:[0,0,1] op_sel_hi:[1,1,0] neg_lo:[0,0,1] neg_hi:[0,0,1]
	v_pk_fma_f32 v[8:9], v[8:9], v[16:17], v[94:95] op_sel:[0,0,1] op_sel_hi:[1,0,0]
	v_mov_b32_e32 v5, v7
	v_pk_add_f32 v[2:3], v[98:99], 0 op_sel_hi:[1,0]
	s_waitcnt vmcnt(2)
	v_pk_fma_f32 v[14:15], v[10:11], v[18:19], v[96:97] op_sel:[0,0,1] op_sel_hi:[1,1,0] neg_lo:[0,0,1] neg_hi:[0,0,1]
	v_pk_fma_f32 v[10:11], v[10:11], v[18:19], v[96:97] op_sel:[0,0,1] op_sel_hi:[1,0,0]
	v_mov_b32_e32 v13, v9
	v_pk_add_f32 v[2:3], v[2:3], v[4:5]
	v_mov_b32_e32 v15, v11
	v_pk_add_f32 v[2:3], v[2:3], v[12:13]
	v_pk_add_f32 v[2:3], v[2:3], v[14:15]
	s_waitcnt vmcnt(0)
	v_pk_add_f32 v[2:3], v[20:21], v[2:3] neg_lo:[0,1] neg_hi:[0,1]
	buffer_store_dword v2, off, s[0:3], 0 offset:240
	buffer_store_dword v3, off, s[0:3], 0 offset:244
	s_and_saveexec_b64 s[4:5], vcc
	s_cbranch_execz .LBB34_165
; %bb.164:
	buffer_load_dword v2, off, s[0:3], 0 offset:232
	buffer_load_dword v3, off, s[0:3], 0 offset:236
	v_mov_b32_e32 v4, 0
	buffer_store_dword v4, off, s[0:3], 0 offset:232
	buffer_store_dword v4, off, s[0:3], 0 offset:236
	s_waitcnt vmcnt(2)
	ds_write_b64 v1, v[2:3]
.LBB34_165:
	s_or_b64 exec, exec, s[4:5]
	s_waitcnt lgkmcnt(0)
	; wave barrier
	s_waitcnt lgkmcnt(0)
	buffer_load_dword v13, off, s[0:3], 0 offset:244
	buffer_load_dword v15, off, s[0:3], 0 offset:252
	;; [unrolled: 1-line block ×12, first 2 shown]
	v_mov_b32_e32 v2, 0
	ds_read_b128 v[4:7], v2 offset:528
	ds_read_b128 v[8:11], v2 offset:544
	ds_read_b64 v[94:95], v2 offset:560
	v_cmp_lt_u32_e32 vcc, 28, v0
	s_waitcnt vmcnt(11)
	v_mov_b32_e32 v96, v13
	s_waitcnt vmcnt(10)
	v_mov_b32_e32 v98, v15
	s_waitcnt lgkmcnt(2)
	v_pk_mul_f32 v[96:97], v[4:5], v[96:97] op_sel_hi:[1,0]
	s_waitcnt vmcnt(9)
	v_mov_b32_e32 v100, v17
	v_pk_mul_f32 v[98:99], v[6:7], v[98:99] op_sel_hi:[1,0]
	s_waitcnt vmcnt(6)
	v_pk_fma_f32 v[106:107], v[4:5], v[12:13], v[96:97] op_sel:[0,0,1] op_sel_hi:[1,1,0] neg_lo:[0,0,1] neg_hi:[0,0,1]
	v_pk_fma_f32 v[4:5], v[4:5], v[12:13], v[96:97] op_sel:[0,0,1] op_sel_hi:[1,0,0]
	v_mov_b32_e32 v102, v19
	s_waitcnt lgkmcnt(1)
	v_pk_mul_f32 v[100:101], v[8:9], v[100:101] op_sel_hi:[1,0]
	s_waitcnt vmcnt(5)
	v_pk_fma_f32 v[12:13], v[6:7], v[14:15], v[98:99] op_sel:[0,0,1] op_sel_hi:[1,1,0] neg_lo:[0,0,1] neg_hi:[0,0,1]
	v_pk_fma_f32 v[6:7], v[6:7], v[14:15], v[98:99] op_sel:[0,0,1] op_sel_hi:[1,0,0]
	v_mov_b32_e32 v107, v5
	v_mov_b32_e32 v104, v21
	v_pk_mul_f32 v[102:103], v[10:11], v[102:103] op_sel_hi:[1,0]
	s_waitcnt vmcnt(4)
	v_pk_fma_f32 v[14:15], v[8:9], v[16:17], v[100:101] op_sel:[0,0,1] op_sel_hi:[1,1,0] neg_lo:[0,0,1] neg_hi:[0,0,1]
	v_pk_fma_f32 v[8:9], v[8:9], v[16:17], v[100:101] op_sel:[0,0,1] op_sel_hi:[1,0,0]
	v_mov_b32_e32 v13, v7
	v_pk_add_f32 v[4:5], v[106:107], 0 op_sel_hi:[1,0]
	s_waitcnt lgkmcnt(0)
	v_pk_mul_f32 v[104:105], v[94:95], v[104:105] op_sel_hi:[1,0]
	s_waitcnt vmcnt(3)
	v_pk_fma_f32 v[16:17], v[10:11], v[18:19], v[102:103] op_sel:[0,0,1] op_sel_hi:[1,1,0] neg_lo:[0,0,1] neg_hi:[0,0,1]
	v_pk_fma_f32 v[10:11], v[10:11], v[18:19], v[102:103] op_sel:[0,0,1] op_sel_hi:[1,0,0]
	v_mov_b32_e32 v15, v9
	v_pk_add_f32 v[4:5], v[4:5], v[12:13]
	s_waitcnt vmcnt(2)
	v_pk_fma_f32 v[18:19], v[94:95], v[20:21], v[104:105] op_sel:[0,0,1] op_sel_hi:[1,1,0] neg_lo:[0,0,1] neg_hi:[0,0,1]
	v_pk_fma_f32 v[20:21], v[94:95], v[20:21], v[104:105] op_sel:[0,0,1] op_sel_hi:[1,0,0]
	v_mov_b32_e32 v17, v11
	v_pk_add_f32 v[4:5], v[4:5], v[14:15]
	v_mov_b32_e32 v19, v21
	v_pk_add_f32 v[4:5], v[4:5], v[16:17]
	v_pk_add_f32 v[4:5], v[4:5], v[18:19]
	s_waitcnt vmcnt(0)
	v_pk_add_f32 v[4:5], v[92:93], v[4:5] neg_lo:[0,1] neg_hi:[0,1]
	buffer_store_dword v4, off, s[0:3], 0 offset:232
	buffer_store_dword v5, off, s[0:3], 0 offset:236
	s_and_saveexec_b64 s[4:5], vcc
	s_cbranch_execz .LBB34_167
; %bb.166:
	buffer_load_dword v4, off, s[0:3], 0 offset:224
	buffer_load_dword v5, off, s[0:3], 0 offset:228
	s_waitcnt vmcnt(0)
	ds_write_b64 v1, v[4:5]
	buffer_store_dword v2, off, s[0:3], 0 offset:224
	buffer_store_dword v2, off, s[0:3], 0 offset:228
.LBB34_167:
	s_or_b64 exec, exec, s[4:5]
	s_waitcnt lgkmcnt(0)
	; wave barrier
	s_waitcnt lgkmcnt(0)
	buffer_load_dword v17, off, s[0:3], 0 offset:236
	buffer_load_dword v19, off, s[0:3], 0 offset:244
	;; [unrolled: 1-line block ×14, first 2 shown]
	ds_read2_b64 v[4:7], v2 offset0:65 offset1:66
	ds_read2_b64 v[8:11], v2 offset0:67 offset1:68
	;; [unrolled: 1-line block ×3, first 2 shown]
	v_cmp_lt_u32_e32 vcc, 27, v0
	s_waitcnt vmcnt(13)
	v_mov_b32_e32 v2, v17
	s_waitcnt vmcnt(12)
	v_mov_b32_e32 v100, v19
	s_waitcnt lgkmcnt(2)
	v_pk_mul_f32 v[2:3], v[4:5], v[2:3] op_sel_hi:[1,0]
	s_waitcnt vmcnt(11)
	v_mov_b32_e32 v102, v21
	v_pk_mul_f32 v[100:101], v[6:7], v[100:101] op_sel_hi:[1,0]
	s_waitcnt vmcnt(10)
	v_mov_b32_e32 v104, v93
	s_waitcnt vmcnt(7)
	v_pk_fma_f32 v[110:111], v[4:5], v[16:17], v[2:3] op_sel:[0,0,1] op_sel_hi:[1,1,0] neg_lo:[0,0,1] neg_hi:[0,0,1]
	v_pk_fma_f32 v[2:3], v[4:5], v[16:17], v[2:3] op_sel:[0,0,1] op_sel_hi:[1,0,0]
	s_waitcnt lgkmcnt(1)
	v_pk_mul_f32 v[102:103], v[8:9], v[102:103] op_sel_hi:[1,0]
	s_waitcnt vmcnt(6)
	v_pk_fma_f32 v[4:5], v[6:7], v[18:19], v[100:101] op_sel:[0,0,1] op_sel_hi:[1,1,0] neg_lo:[0,0,1] neg_hi:[0,0,1]
	v_pk_fma_f32 v[6:7], v[6:7], v[18:19], v[100:101] op_sel:[0,0,1] op_sel_hi:[1,0,0]
	v_mov_b32_e32 v111, v3
	v_mov_b32_e32 v106, v95
	v_pk_mul_f32 v[104:105], v[10:11], v[104:105] op_sel_hi:[1,0]
	s_waitcnt vmcnt(5)
	v_pk_fma_f32 v[16:17], v[8:9], v[20:21], v[102:103] op_sel:[0,0,1] op_sel_hi:[1,1,0] neg_lo:[0,0,1] neg_hi:[0,0,1]
	v_pk_fma_f32 v[8:9], v[8:9], v[20:21], v[102:103] op_sel:[0,0,1] op_sel_hi:[1,0,0]
	v_mov_b32_e32 v5, v7
	v_pk_add_f32 v[2:3], v[110:111], 0 op_sel_hi:[1,0]
	v_mov_b32_e32 v108, v97
	s_waitcnt lgkmcnt(0)
	v_pk_mul_f32 v[106:107], v[12:13], v[106:107] op_sel_hi:[1,0]
	s_waitcnt vmcnt(4)
	v_pk_fma_f32 v[18:19], v[10:11], v[92:93], v[104:105] op_sel:[0,0,1] op_sel_hi:[1,1,0] neg_lo:[0,0,1] neg_hi:[0,0,1]
	v_pk_fma_f32 v[10:11], v[10:11], v[92:93], v[104:105] op_sel:[0,0,1] op_sel_hi:[1,0,0]
	v_mov_b32_e32 v17, v9
	v_pk_add_f32 v[2:3], v[2:3], v[4:5]
	v_pk_mul_f32 v[108:109], v[14:15], v[108:109] op_sel_hi:[1,0]
	s_waitcnt vmcnt(3)
	v_pk_fma_f32 v[20:21], v[12:13], v[94:95], v[106:107] op_sel:[0,0,1] op_sel_hi:[1,1,0] neg_lo:[0,0,1] neg_hi:[0,0,1]
	v_pk_fma_f32 v[12:13], v[12:13], v[94:95], v[106:107] op_sel:[0,0,1] op_sel_hi:[1,0,0]
	v_mov_b32_e32 v19, v11
	v_pk_add_f32 v[2:3], v[2:3], v[16:17]
	s_waitcnt vmcnt(2)
	v_pk_fma_f32 v[92:93], v[14:15], v[96:97], v[108:109] op_sel:[0,0,1] op_sel_hi:[1,1,0] neg_lo:[0,0,1] neg_hi:[0,0,1]
	v_pk_fma_f32 v[14:15], v[14:15], v[96:97], v[108:109] op_sel:[0,0,1] op_sel_hi:[1,0,0]
	v_mov_b32_e32 v21, v13
	v_pk_add_f32 v[2:3], v[2:3], v[18:19]
	v_mov_b32_e32 v93, v15
	v_pk_add_f32 v[2:3], v[2:3], v[20:21]
	v_pk_add_f32 v[2:3], v[2:3], v[92:93]
	s_waitcnt vmcnt(0)
	v_pk_add_f32 v[2:3], v[98:99], v[2:3] neg_lo:[0,1] neg_hi:[0,1]
	buffer_store_dword v2, off, s[0:3], 0 offset:224
	buffer_store_dword v3, off, s[0:3], 0 offset:228
	s_and_saveexec_b64 s[4:5], vcc
	s_cbranch_execz .LBB34_169
; %bb.168:
	buffer_load_dword v2, off, s[0:3], 0 offset:216
	buffer_load_dword v3, off, s[0:3], 0 offset:220
	v_mov_b32_e32 v4, 0
	buffer_store_dword v4, off, s[0:3], 0 offset:216
	buffer_store_dword v4, off, s[0:3], 0 offset:220
	s_waitcnt vmcnt(2)
	ds_write_b64 v1, v[2:3]
.LBB34_169:
	s_or_b64 exec, exec, s[4:5]
	s_waitcnt lgkmcnt(0)
	; wave barrier
	s_waitcnt lgkmcnt(0)
	buffer_load_dword v17, off, s[0:3], 0 offset:228
	buffer_load_dword v19, off, s[0:3], 0 offset:236
	;; [unrolled: 1-line block ×16, first 2 shown]
	v_mov_b32_e32 v2, 0
	ds_read_b128 v[4:7], v2 offset:512
	ds_read_b128 v[8:11], v2 offset:528
	;; [unrolled: 1-line block ×3, first 2 shown]
	ds_read_b64 v[102:103], v2 offset:560
	v_cmp_lt_u32_e32 vcc, 26, v0
	s_waitcnt vmcnt(15)
	v_mov_b32_e32 v104, v17
	s_waitcnt vmcnt(14)
	v_mov_b32_e32 v106, v19
	s_waitcnt lgkmcnt(3)
	v_pk_mul_f32 v[104:105], v[4:5], v[104:105] op_sel_hi:[1,0]
	s_waitcnt vmcnt(13)
	v_mov_b32_e32 v108, v21
	v_pk_mul_f32 v[106:107], v[6:7], v[106:107] op_sel_hi:[1,0]
	s_waitcnt vmcnt(12)
	v_mov_b32_e32 v110, v93
	s_waitcnt lgkmcnt(2)
	v_pk_mul_f32 v[108:109], v[8:9], v[108:109] op_sel_hi:[1,0]
	s_waitcnt vmcnt(8)
	v_pk_fma_f32 v[118:119], v[4:5], v[16:17], v[104:105] op_sel:[0,0,1] op_sel_hi:[1,1,0] neg_lo:[0,0,1] neg_hi:[0,0,1]
	v_pk_fma_f32 v[4:5], v[4:5], v[16:17], v[104:105] op_sel:[0,0,1] op_sel_hi:[1,0,0]
	s_waitcnt vmcnt(7)
	v_pk_fma_f32 v[16:17], v[6:7], v[18:19], v[106:107] op_sel:[0,0,1] op_sel_hi:[1,1,0] neg_lo:[0,0,1] neg_hi:[0,0,1]
	v_pk_fma_f32 v[6:7], v[6:7], v[18:19], v[106:107] op_sel:[0,0,1] op_sel_hi:[1,0,0]
	v_mov_b32_e32 v119, v5
	v_mov_b32_e32 v112, v95
	v_pk_mul_f32 v[110:111], v[10:11], v[110:111] op_sel_hi:[1,0]
	s_waitcnt vmcnt(6)
	v_pk_fma_f32 v[18:19], v[8:9], v[20:21], v[108:109] op_sel:[0,0,1] op_sel_hi:[1,1,0] neg_lo:[0,0,1] neg_hi:[0,0,1]
	v_pk_fma_f32 v[8:9], v[8:9], v[20:21], v[108:109] op_sel:[0,0,1] op_sel_hi:[1,0,0]
	v_mov_b32_e32 v17, v7
	v_pk_add_f32 v[4:5], v[118:119], 0 op_sel_hi:[1,0]
	v_mov_b32_e32 v114, v97
	s_waitcnt lgkmcnt(1)
	v_pk_mul_f32 v[112:113], v[12:13], v[112:113] op_sel_hi:[1,0]
	s_waitcnt vmcnt(5)
	v_pk_fma_f32 v[20:21], v[10:11], v[92:93], v[110:111] op_sel:[0,0,1] op_sel_hi:[1,1,0] neg_lo:[0,0,1] neg_hi:[0,0,1]
	v_pk_fma_f32 v[10:11], v[10:11], v[92:93], v[110:111] op_sel:[0,0,1] op_sel_hi:[1,0,0]
	v_mov_b32_e32 v19, v9
	v_pk_add_f32 v[4:5], v[4:5], v[16:17]
	v_mov_b32_e32 v116, v99
	v_pk_mul_f32 v[114:115], v[14:15], v[114:115] op_sel_hi:[1,0]
	s_waitcnt vmcnt(4)
	v_pk_fma_f32 v[92:93], v[12:13], v[94:95], v[112:113] op_sel:[0,0,1] op_sel_hi:[1,1,0] neg_lo:[0,0,1] neg_hi:[0,0,1]
	v_pk_fma_f32 v[12:13], v[12:13], v[94:95], v[112:113] op_sel:[0,0,1] op_sel_hi:[1,0,0]
	v_mov_b32_e32 v21, v11
	v_pk_add_f32 v[4:5], v[4:5], v[18:19]
	s_waitcnt lgkmcnt(0)
	v_pk_mul_f32 v[116:117], v[102:103], v[116:117] op_sel_hi:[1,0]
	s_waitcnt vmcnt(3)
	v_pk_fma_f32 v[94:95], v[14:15], v[96:97], v[114:115] op_sel:[0,0,1] op_sel_hi:[1,1,0] neg_lo:[0,0,1] neg_hi:[0,0,1]
	v_pk_fma_f32 v[14:15], v[14:15], v[96:97], v[114:115] op_sel:[0,0,1] op_sel_hi:[1,0,0]
	v_mov_b32_e32 v93, v13
	v_pk_add_f32 v[4:5], v[4:5], v[20:21]
	s_waitcnt vmcnt(2)
	v_pk_fma_f32 v[96:97], v[102:103], v[98:99], v[116:117] op_sel:[0,0,1] op_sel_hi:[1,1,0] neg_lo:[0,0,1] neg_hi:[0,0,1]
	v_pk_fma_f32 v[98:99], v[102:103], v[98:99], v[116:117] op_sel:[0,0,1] op_sel_hi:[1,0,0]
	v_mov_b32_e32 v95, v15
	v_pk_add_f32 v[4:5], v[4:5], v[92:93]
	v_mov_b32_e32 v97, v99
	v_pk_add_f32 v[4:5], v[4:5], v[94:95]
	v_pk_add_f32 v[4:5], v[4:5], v[96:97]
	s_waitcnt vmcnt(0)
	v_pk_add_f32 v[4:5], v[100:101], v[4:5] neg_lo:[0,1] neg_hi:[0,1]
	buffer_store_dword v4, off, s[0:3], 0 offset:216
	buffer_store_dword v5, off, s[0:3], 0 offset:220
	s_and_saveexec_b64 s[4:5], vcc
	s_cbranch_execz .LBB34_171
; %bb.170:
	buffer_load_dword v4, off, s[0:3], 0 offset:208
	buffer_load_dword v5, off, s[0:3], 0 offset:212
	s_waitcnt vmcnt(0)
	ds_write_b64 v1, v[4:5]
	buffer_store_dword v2, off, s[0:3], 0 offset:208
	buffer_store_dword v2, off, s[0:3], 0 offset:212
.LBB34_171:
	s_or_b64 exec, exec, s[4:5]
	s_waitcnt lgkmcnt(0)
	; wave barrier
	s_waitcnt lgkmcnt(0)
	buffer_load_dword v21, off, s[0:3], 0 offset:220
	buffer_load_dword v93, off, s[0:3], 0 offset:228
	;; [unrolled: 1-line block ×18, first 2 shown]
	ds_read2_b64 v[4:7], v2 offset0:63 offset1:64
	ds_read2_b64 v[8:11], v2 offset0:65 offset1:66
	;; [unrolled: 1-line block ×4, first 2 shown]
	v_cmp_lt_u32_e32 vcc, 25, v0
	s_waitcnt vmcnt(17)
	v_mov_b32_e32 v2, v21
	s_waitcnt vmcnt(16)
	v_mov_b32_e32 v108, v93
	s_waitcnt lgkmcnt(3)
	v_pk_mul_f32 v[2:3], v[4:5], v[2:3] op_sel_hi:[1,0]
	s_waitcnt vmcnt(15)
	v_mov_b32_e32 v110, v95
	v_pk_mul_f32 v[108:109], v[6:7], v[108:109] op_sel_hi:[1,0]
	s_waitcnt vmcnt(14)
	v_mov_b32_e32 v112, v97
	s_waitcnt lgkmcnt(2)
	v_pk_mul_f32 v[110:111], v[8:9], v[110:111] op_sel_hi:[1,0]
	s_waitcnt vmcnt(13)
	v_mov_b32_e32 v114, v99
	s_waitcnt vmcnt(9)
	v_pk_fma_f32 v[122:123], v[4:5], v[20:21], v[2:3] op_sel:[0,0,1] op_sel_hi:[1,1,0] neg_lo:[0,0,1] neg_hi:[0,0,1]
	v_pk_fma_f32 v[2:3], v[4:5], v[20:21], v[2:3] op_sel:[0,0,1] op_sel_hi:[1,0,0]
	s_waitcnt vmcnt(8)
	v_pk_fma_f32 v[4:5], v[6:7], v[92:93], v[108:109] op_sel:[0,0,1] op_sel_hi:[1,1,0] neg_lo:[0,0,1] neg_hi:[0,0,1]
	v_pk_fma_f32 v[6:7], v[6:7], v[92:93], v[108:109] op_sel:[0,0,1] op_sel_hi:[1,0,0]
	v_mov_b32_e32 v123, v3
	v_pk_mul_f32 v[112:113], v[10:11], v[112:113] op_sel_hi:[1,0]
	s_waitcnt vmcnt(7)
	v_pk_fma_f32 v[20:21], v[8:9], v[94:95], v[110:111] op_sel:[0,0,1] op_sel_hi:[1,1,0] neg_lo:[0,0,1] neg_hi:[0,0,1]
	v_pk_fma_f32 v[8:9], v[8:9], v[94:95], v[110:111] op_sel:[0,0,1] op_sel_hi:[1,0,0]
	v_mov_b32_e32 v5, v7
	v_pk_add_f32 v[2:3], v[122:123], 0 op_sel_hi:[1,0]
	v_mov_b32_e32 v116, v101
	s_waitcnt lgkmcnt(1)
	v_pk_mul_f32 v[114:115], v[12:13], v[114:115] op_sel_hi:[1,0]
	s_waitcnt vmcnt(6)
	v_pk_fma_f32 v[92:93], v[10:11], v[96:97], v[112:113] op_sel:[0,0,1] op_sel_hi:[1,1,0] neg_lo:[0,0,1] neg_hi:[0,0,1]
	v_pk_fma_f32 v[10:11], v[10:11], v[96:97], v[112:113] op_sel:[0,0,1] op_sel_hi:[1,0,0]
	v_mov_b32_e32 v21, v9
	v_pk_add_f32 v[2:3], v[2:3], v[4:5]
	v_mov_b32_e32 v118, v103
	v_pk_mul_f32 v[116:117], v[14:15], v[116:117] op_sel_hi:[1,0]
	s_waitcnt vmcnt(5)
	v_pk_fma_f32 v[94:95], v[12:13], v[98:99], v[114:115] op_sel:[0,0,1] op_sel_hi:[1,1,0] neg_lo:[0,0,1] neg_hi:[0,0,1]
	v_pk_fma_f32 v[12:13], v[12:13], v[98:99], v[114:115] op_sel:[0,0,1] op_sel_hi:[1,0,0]
	v_mov_b32_e32 v93, v11
	v_pk_add_f32 v[2:3], v[2:3], v[20:21]
	v_mov_b32_e32 v120, v105
	s_waitcnt lgkmcnt(0)
	v_pk_mul_f32 v[118:119], v[16:17], v[118:119] op_sel_hi:[1,0]
	s_waitcnt vmcnt(4)
	v_pk_fma_f32 v[96:97], v[14:15], v[100:101], v[116:117] op_sel:[0,0,1] op_sel_hi:[1,1,0] neg_lo:[0,0,1] neg_hi:[0,0,1]
	v_pk_fma_f32 v[14:15], v[14:15], v[100:101], v[116:117] op_sel:[0,0,1] op_sel_hi:[1,0,0]
	v_mov_b32_e32 v95, v13
	v_pk_add_f32 v[2:3], v[2:3], v[92:93]
	v_pk_mul_f32 v[120:121], v[18:19], v[120:121] op_sel_hi:[1,0]
	s_waitcnt vmcnt(3)
	v_pk_fma_f32 v[98:99], v[16:17], v[102:103], v[118:119] op_sel:[0,0,1] op_sel_hi:[1,1,0] neg_lo:[0,0,1] neg_hi:[0,0,1]
	v_pk_fma_f32 v[16:17], v[16:17], v[102:103], v[118:119] op_sel:[0,0,1] op_sel_hi:[1,0,0]
	v_mov_b32_e32 v97, v15
	v_pk_add_f32 v[2:3], v[2:3], v[94:95]
	s_waitcnt vmcnt(2)
	v_pk_fma_f32 v[100:101], v[18:19], v[104:105], v[120:121] op_sel:[0,0,1] op_sel_hi:[1,1,0] neg_lo:[0,0,1] neg_hi:[0,0,1]
	v_pk_fma_f32 v[18:19], v[18:19], v[104:105], v[120:121] op_sel:[0,0,1] op_sel_hi:[1,0,0]
	v_mov_b32_e32 v99, v17
	v_pk_add_f32 v[2:3], v[2:3], v[96:97]
	v_mov_b32_e32 v101, v19
	v_pk_add_f32 v[2:3], v[2:3], v[98:99]
	v_pk_add_f32 v[2:3], v[2:3], v[100:101]
	s_waitcnt vmcnt(0)
	v_pk_add_f32 v[2:3], v[106:107], v[2:3] neg_lo:[0,1] neg_hi:[0,1]
	buffer_store_dword v2, off, s[0:3], 0 offset:208
	buffer_store_dword v3, off, s[0:3], 0 offset:212
	s_and_saveexec_b64 s[4:5], vcc
	s_cbranch_execz .LBB34_173
; %bb.172:
	buffer_load_dword v2, off, s[0:3], 0 offset:200
	buffer_load_dword v3, off, s[0:3], 0 offset:204
	v_mov_b32_e32 v4, 0
	buffer_store_dword v4, off, s[0:3], 0 offset:200
	buffer_store_dword v4, off, s[0:3], 0 offset:204
	s_waitcnt vmcnt(2)
	ds_write_b64 v1, v[2:3]
.LBB34_173:
	s_or_b64 exec, exec, s[4:5]
	s_waitcnt lgkmcnt(0)
	; wave barrier
	s_waitcnt lgkmcnt(0)
	buffer_load_dword v3, off, s[0:3], 0 offset:212
	buffer_load_dword v21, off, s[0:3], 0 offset:220
	;; [unrolled: 1-line block ×20, first 2 shown]
	v_mov_b32_e32 v2, 0
	ds_read_b128 v[4:7], v2 offset:496
	ds_read_b128 v[8:11], v2 offset:512
	;; [unrolled: 1-line block ×4, first 2 shown]
	ds_read_b64 v[108:109], v2 offset:560
	v_cmp_lt_u32_e32 vcc, 24, v0
	s_waitcnt vmcnt(19) lgkmcnt(4)
	v_mul_f32_e32 v111, v4, v3
	v_mul_f32_e32 v3, v5, v3
	s_waitcnt vmcnt(18)
	v_mov_b32_e32 v112, v21
	s_waitcnt vmcnt(17)
	v_mov_b32_e32 v114, v93
	;; [unrolled: 2-line block ×8, first 2 shown]
	s_waitcnt vmcnt(10)
	v_fmac_f32_e32 v111, v5, v110
	v_fma_f32 v110, v4, v110, -v3
	v_pk_mul_f32 v[4:5], v[6:7], v[112:113] op_sel_hi:[1,0]
	s_waitcnt lgkmcnt(3)
	v_pk_mul_f32 v[112:113], v[8:9], v[114:115] op_sel_hi:[1,0]
	v_pk_mul_f32 v[114:115], v[10:11], v[116:117] op_sel_hi:[1,0]
	s_waitcnt lgkmcnt(2)
	v_pk_mul_f32 v[116:117], v[12:13], v[118:119] op_sel_hi:[1,0]
	;; [unrolled: 3-line block ×4, first 2 shown]
	s_waitcnt vmcnt(9)
	v_pk_fma_f32 v[126:127], v[6:7], v[20:21], v[4:5] op_sel:[0,0,1] op_sel_hi:[1,1,0] neg_lo:[0,0,1] neg_hi:[0,0,1]
	v_pk_fma_f32 v[4:5], v[6:7], v[20:21], v[4:5] op_sel:[0,0,1] op_sel_hi:[1,0,0]
	v_pk_add_f32 v[110:111], v[110:111], 0 op_sel_hi:[1,0]
	s_waitcnt vmcnt(8)
	v_pk_fma_f32 v[6:7], v[8:9], v[92:93], v[112:113] op_sel:[0,0,1] op_sel_hi:[1,1,0] neg_lo:[0,0,1] neg_hi:[0,0,1]
	v_pk_fma_f32 v[8:9], v[8:9], v[92:93], v[112:113] op_sel:[0,0,1] op_sel_hi:[1,0,0]
	v_mov_b32_e32 v127, v5
	s_waitcnt vmcnt(7)
	v_pk_fma_f32 v[20:21], v[10:11], v[94:95], v[114:115] op_sel:[0,0,1] op_sel_hi:[1,1,0] neg_lo:[0,0,1] neg_hi:[0,0,1]
	v_pk_fma_f32 v[10:11], v[10:11], v[94:95], v[114:115] op_sel:[0,0,1] op_sel_hi:[1,0,0]
	v_mov_b32_e32 v7, v9
	v_pk_add_f32 v[4:5], v[110:111], v[126:127]
	s_waitcnt vmcnt(6)
	v_pk_fma_f32 v[92:93], v[12:13], v[96:97], v[116:117] op_sel:[0,0,1] op_sel_hi:[1,1,0] neg_lo:[0,0,1] neg_hi:[0,0,1]
	v_pk_fma_f32 v[12:13], v[12:13], v[96:97], v[116:117] op_sel:[0,0,1] op_sel_hi:[1,0,0]
	v_mov_b32_e32 v21, v11
	v_pk_add_f32 v[4:5], v[4:5], v[6:7]
	;; [unrolled: 5-line block ×5, first 2 shown]
	v_pk_fma_f32 v[100:101], v[108:109], v[104:105], v[124:125] op_sel:[0,0,1] op_sel_hi:[1,1,0] neg_lo:[0,0,1] neg_hi:[0,0,1]
	v_pk_fma_f32 v[102:103], v[108:109], v[104:105], v[124:125] op_sel:[0,0,1] op_sel_hi:[1,0,0]
	v_mov_b32_e32 v99, v19
	v_pk_add_f32 v[4:5], v[4:5], v[96:97]
	v_mov_b32_e32 v101, v103
	v_pk_add_f32 v[4:5], v[4:5], v[98:99]
	v_pk_add_f32 v[4:5], v[4:5], v[100:101]
	s_waitcnt vmcnt(0)
	v_pk_add_f32 v[4:5], v[106:107], v[4:5] neg_lo:[0,1] neg_hi:[0,1]
	buffer_store_dword v4, off, s[0:3], 0 offset:200
	buffer_store_dword v5, off, s[0:3], 0 offset:204
	s_and_saveexec_b64 s[4:5], vcc
	s_cbranch_execz .LBB34_175
; %bb.174:
	buffer_load_dword v4, off, s[0:3], 0 offset:192
	buffer_load_dword v5, off, s[0:3], 0 offset:196
	s_waitcnt vmcnt(0)
	ds_write_b64 v1, v[4:5]
	buffer_store_dword v2, off, s[0:3], 0 offset:192
	buffer_store_dword v2, off, s[0:3], 0 offset:196
.LBB34_175:
	s_or_b64 exec, exec, s[4:5]
	s_waitcnt lgkmcnt(0)
	; wave barrier
	s_waitcnt lgkmcnt(0)
	buffer_load_dword v112, off, s[0:3], 0 offset:204
	buffer_load_dword v114, off, s[0:3], 0 offset:212
	;; [unrolled: 1-line block ×22, first 2 shown]
	ds_read2_b64 v[4:7], v2 offset0:61 offset1:62
	ds_read2_b64 v[8:11], v2 offset0:63 offset1:64
	;; [unrolled: 1-line block ×5, first 2 shown]
	v_cmp_lt_u32_e32 vcc, 23, v0
	s_waitcnt vmcnt(21) lgkmcnt(4)
	v_mul_f32_e32 v3, v4, v112
	s_waitcnt vmcnt(20)
	v_mul_f32_e32 v113, v6, v114
	v_mul_f32_e32 v2, v5, v112
	;; [unrolled: 1-line block ×3, first 2 shown]
	s_waitcnt vmcnt(19)
	v_mov_b32_e32 v114, v21
	s_waitcnt vmcnt(18)
	v_mov_b32_e32 v116, v97
	;; [unrolled: 2-line block ×5, first 2 shown]
	v_mov_b32_e32 v120, v101
	s_waitcnt vmcnt(11)
	v_fmac_f32_e32 v3, v5, v115
	v_fma_f32 v2, v4, v115, -v2
	s_waitcnt lgkmcnt(3)
	v_pk_mul_f32 v[4:5], v[8:9], v[114:115] op_sel_hi:[1,0]
	s_waitcnt vmcnt(10)
	v_fmac_f32_e32 v113, v7, v117
	v_fma_f32 v112, v6, v117, -v112
	v_pk_mul_f32 v[6:7], v[10:11], v[116:117] op_sel_hi:[1,0]
	s_waitcnt lgkmcnt(2)
	v_pk_mul_f32 v[114:115], v[12:13], v[118:119] op_sel_hi:[1,0]
	s_waitcnt lgkmcnt(1)
	;; [unrolled: 2-line block ×3, first 2 shown]
	v_pk_mul_f32 v[122:123], v[92:93], v[126:127] op_sel_hi:[1,0]
	v_pk_add_f32 v[2:3], v[2:3], 0 op_sel_hi:[1,0]
	s_waitcnt vmcnt(9)
	v_pk_fma_f32 v[126:127], v[8:9], v[20:21], v[4:5] op_sel:[0,0,1] op_sel_hi:[1,1,0] neg_lo:[0,0,1] neg_hi:[0,0,1]
	v_pk_fma_f32 v[4:5], v[8:9], v[20:21], v[4:5] op_sel:[0,0,1] op_sel_hi:[1,0,0]
	s_waitcnt vmcnt(8)
	v_pk_fma_f32 v[8:9], v[10:11], v[96:97], v[6:7] op_sel:[0,0,1] op_sel_hi:[1,1,0] neg_lo:[0,0,1] neg_hi:[0,0,1]
	v_pk_fma_f32 v[6:7], v[10:11], v[96:97], v[6:7] op_sel:[0,0,1] op_sel_hi:[1,0,0]
	v_pk_add_f32 v[2:3], v[2:3], v[112:113]
	v_mov_b32_e32 v127, v5
	v_pk_mul_f32 v[116:117], v[14:15], v[120:121] op_sel_hi:[1,0]
	s_waitcnt vmcnt(7)
	v_pk_fma_f32 v[10:11], v[12:13], v[98:99], v[114:115] op_sel:[0,0,1] op_sel_hi:[1,1,0] neg_lo:[0,0,1] neg_hi:[0,0,1]
	v_pk_fma_f32 v[12:13], v[12:13], v[98:99], v[114:115] op_sel:[0,0,1] op_sel_hi:[1,0,0]
	v_mov_b32_e32 v9, v7
	v_pk_add_f32 v[2:3], v[2:3], v[126:127]
	v_mov_b32_e32 v124, v105
	s_waitcnt vmcnt(6)
	v_pk_fma_f32 v[20:21], v[14:15], v[100:101], v[116:117] op_sel:[0,0,1] op_sel_hi:[1,1,0] neg_lo:[0,0,1] neg_hi:[0,0,1]
	v_pk_fma_f32 v[14:15], v[14:15], v[100:101], v[116:117] op_sel:[0,0,1] op_sel_hi:[1,0,0]
	v_mov_b32_e32 v11, v13
	v_pk_add_f32 v[2:3], v[2:3], v[8:9]
	v_pk_mul_f32 v[120:121], v[18:19], v[124:125] op_sel_hi:[1,0]
	s_waitcnt vmcnt(5)
	v_pk_fma_f32 v[96:97], v[16:17], v[102:103], v[118:119] op_sel:[0,0,1] op_sel_hi:[1,1,0] neg_lo:[0,0,1] neg_hi:[0,0,1]
	v_pk_fma_f32 v[16:17], v[16:17], v[102:103], v[118:119] op_sel:[0,0,1] op_sel_hi:[1,0,0]
	v_mov_b32_e32 v21, v15
	v_pk_add_f32 v[2:3], v[2:3], v[10:11]
	v_mov_b32_e32 v128, v109
	s_waitcnt vmcnt(2)
	v_pk_fma_f32 v[98:99], v[18:19], v[104:105], v[120:121] op_sel:[0,0,1] op_sel_hi:[1,1,0] neg_lo:[0,0,1] neg_hi:[0,0,1]
	v_pk_fma_f32 v[18:19], v[18:19], v[104:105], v[120:121] op_sel:[0,0,1] op_sel_hi:[1,0,0]
	v_mov_b32_e32 v97, v17
	v_pk_add_f32 v[2:3], v[2:3], v[20:21]
	v_pk_mul_f32 v[124:125], v[94:95], v[128:129] op_sel_hi:[1,0]
	v_pk_fma_f32 v[100:101], v[92:93], v[106:107], v[122:123] op_sel:[0,0,1] op_sel_hi:[1,1,0] neg_lo:[0,0,1] neg_hi:[0,0,1]
	v_pk_fma_f32 v[92:93], v[92:93], v[106:107], v[122:123] op_sel:[0,0,1] op_sel_hi:[1,0,0]
	v_mov_b32_e32 v99, v19
	v_pk_add_f32 v[2:3], v[2:3], v[96:97]
	v_pk_fma_f32 v[102:103], v[94:95], v[108:109], v[124:125] op_sel:[0,0,1] op_sel_hi:[1,1,0] neg_lo:[0,0,1] neg_hi:[0,0,1]
	v_pk_fma_f32 v[94:95], v[94:95], v[108:109], v[124:125] op_sel:[0,0,1] op_sel_hi:[1,0,0]
	v_mov_b32_e32 v101, v93
	v_pk_add_f32 v[2:3], v[2:3], v[98:99]
	v_mov_b32_e32 v103, v95
	v_pk_add_f32 v[2:3], v[2:3], v[100:101]
	v_pk_add_f32 v[2:3], v[2:3], v[102:103]
	s_waitcnt vmcnt(0)
	v_pk_add_f32 v[2:3], v[110:111], v[2:3] neg_lo:[0,1] neg_hi:[0,1]
	buffer_store_dword v2, off, s[0:3], 0 offset:192
	buffer_store_dword v3, off, s[0:3], 0 offset:196
	s_and_saveexec_b64 s[4:5], vcc
	s_cbranch_execz .LBB34_177
; %bb.176:
	buffer_load_dword v2, off, s[0:3], 0 offset:184
	buffer_load_dword v3, off, s[0:3], 0 offset:188
	v_mov_b32_e32 v4, 0
	buffer_store_dword v4, off, s[0:3], 0 offset:184
	buffer_store_dword v4, off, s[0:3], 0 offset:188
	s_waitcnt vmcnt(2)
	ds_write_b64 v1, v[2:3]
.LBB34_177:
	s_or_b64 exec, exec, s[4:5]
	v_mov_b32_e32 v4, 0
	s_waitcnt lgkmcnt(0)
	; wave barrier
	s_waitcnt lgkmcnt(0)
	ds_read_b128 v[6:9], v4 offset:480
	ds_read_b128 v[10:13], v4 offset:496
	;; [unrolled: 1-line block ×4, first 2 shown]
	buffer_load_dword v2, off, s[0:3], 0 offset:184
	buffer_load_dword v3, off, s[0:3], 0 offset:188
	;; [unrolled: 1-line block ×24, first 2 shown]
	v_cmp_lt_u32_e32 vcc, 22, v0
	s_waitcnt vmcnt(20) lgkmcnt(3)
	v_mul_f32_e32 v101, v6, v100
	v_fmac_f32_e32 v101, v7, v5
	v_mul_f32_e32 v7, v7, v100
	v_fma_f32 v5, v6, v5, -v7
	s_waitcnt vmcnt(18)
	v_mul_f32_e32 v103, v8, v104
	v_add_f32_e32 v100, 0, v5
	v_mul_f32_e32 v5, v9, v104
	v_add_f32_e32 v101, 0, v101
	v_fmac_f32_e32 v103, v9, v102
	v_fma_f32 v102, v8, v102, -v5
	s_waitcnt vmcnt(16) lgkmcnt(2)
	v_mul_f32_e32 v105, v10, v115
	v_mul_f32_e32 v5, v11, v115
	v_pk_add_f32 v[100:101], v[100:101], v[102:103]
	s_waitcnt vmcnt(14)
	v_mov_b32_e32 v102, v93
	v_fmac_f32_e32 v105, v11, v114
	v_fma_f32 v104, v10, v114, -v5
	v_pk_mul_f32 v[102:103], v[12:13], v[102:103] op_sel_hi:[1,0]
	v_pk_add_f32 v[100:101], v[100:101], v[104:105]
	v_pk_fma_f32 v[104:105], v[12:13], v[92:93], v[102:103] op_sel:[0,0,1] op_sel_hi:[1,1,0] neg_lo:[0,0,1] neg_hi:[0,0,1]
	v_pk_fma_f32 v[12:13], v[12:13], v[92:93], v[102:103] op_sel:[0,0,1] op_sel_hi:[1,0,0]
	s_waitcnt vmcnt(12)
	v_mov_b32_e32 v92, v95
	v_mov_b32_e32 v105, v13
	s_waitcnt lgkmcnt(1)
	v_pk_mul_f32 v[92:93], v[14:15], v[92:93] op_sel_hi:[1,0]
	v_pk_add_f32 v[12:13], v[100:101], v[104:105]
	v_pk_fma_f32 v[100:101], v[14:15], v[94:95], v[92:93] op_sel:[0,0,1] op_sel_hi:[1,1,0] neg_lo:[0,0,1] neg_hi:[0,0,1]
	v_pk_fma_f32 v[14:15], v[14:15], v[94:95], v[92:93] op_sel:[0,0,1] op_sel_hi:[1,0,0]
	s_waitcnt vmcnt(10)
	v_mov_b32_e32 v14, v97
	v_mov_b32_e32 v101, v15
	v_pk_mul_f32 v[14:15], v[16:17], v[14:15] op_sel_hi:[1,0]
	v_pk_fma_f32 v[92:93], v[16:17], v[96:97], v[14:15] op_sel:[0,0,1] op_sel_hi:[1,1,0] neg_lo:[0,0,1] neg_hi:[0,0,1]
	v_pk_fma_f32 v[14:15], v[16:17], v[96:97], v[14:15] op_sel:[0,0,1] op_sel_hi:[1,0,0]
	s_waitcnt vmcnt(8)
	v_mov_b32_e32 v14, v99
	v_mov_b32_e32 v93, v15
	s_waitcnt lgkmcnt(0)
	v_pk_mul_f32 v[14:15], v[18:19], v[14:15] op_sel_hi:[1,0]
	v_pk_fma_f32 v[16:17], v[18:19], v[98:99], v[14:15] op_sel:[0,0,1] op_sel_hi:[1,1,0] neg_lo:[0,0,1] neg_hi:[0,0,1]
	v_pk_fma_f32 v[14:15], v[18:19], v[98:99], v[14:15] op_sel:[0,0,1] op_sel_hi:[1,0,0]
	ds_read_b128 v[6:9], v4 offset:544
	ds_read_b64 v[10:11], v4 offset:560
	v_pk_add_f32 v[12:13], v[12:13], v[100:101]
	s_waitcnt vmcnt(7)
	v_mov_b32_e32 v14, v107
	v_pk_add_f32 v[12:13], v[12:13], v[92:93]
	v_mov_b32_e32 v17, v15
	v_pk_mul_f32 v[14:15], v[20:21], v[14:15] op_sel_hi:[1,0]
	v_pk_add_f32 v[12:13], v[12:13], v[16:17]
	s_waitcnt vmcnt(6)
	v_pk_fma_f32 v[16:17], v[20:21], v[106:107], v[14:15] op_sel:[0,0,1] op_sel_hi:[1,1,0] neg_lo:[0,0,1] neg_hi:[0,0,1]
	v_pk_fma_f32 v[14:15], v[20:21], v[106:107], v[14:15] op_sel:[0,0,1] op_sel_hi:[1,0,0]
	s_waitcnt vmcnt(5)
	v_mov_b32_e32 v14, v109
	v_mov_b32_e32 v17, v15
	s_waitcnt lgkmcnt(1)
	v_pk_mul_f32 v[14:15], v[6:7], v[14:15] op_sel_hi:[1,0]
	v_pk_add_f32 v[12:13], v[12:13], v[16:17]
	s_waitcnt vmcnt(4)
	v_pk_fma_f32 v[16:17], v[6:7], v[108:109], v[14:15] op_sel:[0,0,1] op_sel_hi:[1,1,0] neg_lo:[0,0,1] neg_hi:[0,0,1]
	v_pk_fma_f32 v[6:7], v[6:7], v[108:109], v[14:15] op_sel:[0,0,1] op_sel_hi:[1,0,0]
	v_mov_b32_e32 v17, v7
	v_pk_add_f32 v[6:7], v[12:13], v[16:17]
	s_waitcnt vmcnt(3)
	v_mov_b32_e32 v12, v111
	v_pk_mul_f32 v[12:13], v[8:9], v[12:13] op_sel_hi:[1,0]
	s_waitcnt vmcnt(2)
	v_pk_fma_f32 v[14:15], v[8:9], v[110:111], v[12:13] op_sel:[0,0,1] op_sel_hi:[1,1,0] neg_lo:[0,0,1] neg_hi:[0,0,1]
	v_pk_fma_f32 v[8:9], v[8:9], v[110:111], v[12:13] op_sel:[0,0,1] op_sel_hi:[1,0,0]
	s_waitcnt vmcnt(1)
	v_mov_b32_e32 v8, v113
	v_mov_b32_e32 v15, v9
	s_waitcnt lgkmcnt(0)
	v_pk_mul_f32 v[8:9], v[10:11], v[8:9] op_sel_hi:[1,0]
	s_waitcnt vmcnt(0)
	v_pk_fma_f32 v[12:13], v[10:11], v[112:113], v[8:9] op_sel:[0,0,1] op_sel_hi:[1,1,0] neg_lo:[0,0,1] neg_hi:[0,0,1]
	v_pk_fma_f32 v[8:9], v[10:11], v[112:113], v[8:9] op_sel:[0,0,1] op_sel_hi:[1,0,0]
	v_pk_add_f32 v[6:7], v[6:7], v[14:15]
	v_mov_b32_e32 v13, v9
	v_pk_add_f32 v[6:7], v[6:7], v[12:13]
	v_pk_add_f32 v[2:3], v[2:3], v[6:7] neg_lo:[0,1] neg_hi:[0,1]
	buffer_store_dword v3, off, s[0:3], 0 offset:188
	buffer_store_dword v2, off, s[0:3], 0 offset:184
	s_and_saveexec_b64 s[4:5], vcc
	s_cbranch_execz .LBB34_179
; %bb.178:
	buffer_load_dword v2, off, s[0:3], 0 offset:176
	buffer_load_dword v3, off, s[0:3], 0 offset:180
	s_waitcnt vmcnt(0)
	ds_write_b64 v1, v[2:3]
	buffer_store_dword v4, off, s[0:3], 0 offset:176
	buffer_store_dword v4, off, s[0:3], 0 offset:180
.LBB34_179:
	s_or_b64 exec, exec, s[4:5]
	s_waitcnt lgkmcnt(0)
	; wave barrier
	s_waitcnt lgkmcnt(0)
	ds_read2_b64 v[6:9], v4 offset0:59 offset1:60
	buffer_load_dword v2, off, s[0:3], 0 offset:176
	buffer_load_dword v3, off, s[0:3], 0 offset:180
	;; [unrolled: 1-line block ×16, first 2 shown]
	v_cmp_lt_u32_e32 vcc, 21, v0
	ds_read2_b64 v[14:17], v4 offset0:63 offset1:64
	s_waitcnt vmcnt(12) lgkmcnt(1)
	v_mul_f32_e32 v10, v6, v18
	v_fmac_f32_e32 v10, v7, v5
	s_waitcnt vmcnt(10)
	v_mul_f32_e32 v11, v8, v20
	v_add_f32_e32 v10, 0, v10
	v_fmac_f32_e32 v11, v9, v19
	v_add_f32_e32 v99, v10, v11
	ds_read2_b64 v[10:13], v4 offset0:61 offset1:62
	buffer_load_dword v105, off, s[0:3], 0 offset:244
	buffer_load_dword v104, off, s[0:3], 0 offset:240
	;; [unrolled: 1-line block ×10, first 2 shown]
	v_mul_f32_e32 v7, v7, v18
	v_fma_f32 v5, v6, v5, -v7
	v_mul_f32_e32 v6, v9, v20
	v_add_f32_e32 v5, 0, v5
	v_fma_f32 v6, v8, v19, -v6
	s_waitcnt vmcnt(18) lgkmcnt(0)
	v_mul_f32_e32 v101, v10, v100
	v_add_f32_e32 v98, v5, v6
	v_mul_f32_e32 v5, v11, v100
	v_fmac_f32_e32 v101, v11, v21
	s_waitcnt vmcnt(16)
	v_mul_f32_e32 v103, v12, v114
	v_fma_f32 v100, v10, v21, -v5
	v_mul_f32_e32 v5, v13, v114
	v_fmac_f32_e32 v103, v13, v102
	v_fma_f32 v102, v12, v102, -v5
	ds_read2_b64 v[6:9], v4 offset0:65 offset1:66
	ds_read2_b64 v[10:13], v4 offset0:67 offset1:68
	;; [unrolled: 1-line block ×3, first 2 shown]
	v_pk_add_f32 v[4:5], v[98:99], v[100:101]
	s_waitcnt vmcnt(14)
	v_mov_b32_e32 v98, v93
	v_pk_mul_f32 v[98:99], v[14:15], v[98:99] op_sel_hi:[1,0]
	v_pk_fma_f32 v[100:101], v[14:15], v[92:93], v[98:99] op_sel:[0,0,1] op_sel_hi:[1,1,0] neg_lo:[0,0,1] neg_hi:[0,0,1]
	v_pk_fma_f32 v[14:15], v[14:15], v[92:93], v[98:99] op_sel:[0,0,1] op_sel_hi:[1,0,0]
	s_waitcnt vmcnt(12)
	v_mov_b32_e32 v14, v95
	v_mov_b32_e32 v101, v15
	v_pk_mul_f32 v[14:15], v[16:17], v[14:15] op_sel_hi:[1,0]
	v_pk_fma_f32 v[92:93], v[16:17], v[94:95], v[14:15] op_sel:[0,0,1] op_sel_hi:[1,1,0] neg_lo:[0,0,1] neg_hi:[0,0,1]
	v_pk_fma_f32 v[14:15], v[16:17], v[94:95], v[14:15] op_sel:[0,0,1] op_sel_hi:[1,0,0]
	s_waitcnt vmcnt(10)
	v_mov_b32_e32 v14, v97
	v_mov_b32_e32 v93, v15
	s_waitcnt lgkmcnt(2)
	v_pk_mul_f32 v[14:15], v[6:7], v[14:15] op_sel_hi:[1,0]
	v_pk_fma_f32 v[16:17], v[6:7], v[96:97], v[14:15] op_sel:[0,0,1] op_sel_hi:[1,1,0] neg_lo:[0,0,1] neg_hi:[0,0,1]
	v_pk_fma_f32 v[6:7], v[6:7], v[96:97], v[14:15] op_sel:[0,0,1] op_sel_hi:[1,0,0]
	v_mov_b32_e32 v17, v7
	v_pk_add_f32 v[4:5], v[4:5], v[102:103]
	v_pk_add_f32 v[4:5], v[4:5], v[100:101]
	;; [unrolled: 1-line block ×4, first 2 shown]
	s_waitcnt vmcnt(9)
	v_mov_b32_e32 v6, v105
	v_pk_mul_f32 v[6:7], v[8:9], v[6:7] op_sel_hi:[1,0]
	s_waitcnt vmcnt(8)
	v_pk_fma_f32 v[14:15], v[8:9], v[104:105], v[6:7] op_sel:[0,0,1] op_sel_hi:[1,1,0] neg_lo:[0,0,1] neg_hi:[0,0,1]
	v_pk_fma_f32 v[6:7], v[8:9], v[104:105], v[6:7] op_sel:[0,0,1] op_sel_hi:[1,0,0]
	s_waitcnt vmcnt(7)
	v_mov_b32_e32 v6, v107
	v_mov_b32_e32 v15, v7
	s_waitcnt lgkmcnt(1)
	v_pk_mul_f32 v[6:7], v[10:11], v[6:7] op_sel_hi:[1,0]
	s_waitcnt vmcnt(6)
	v_pk_fma_f32 v[8:9], v[10:11], v[106:107], v[6:7] op_sel:[0,0,1] op_sel_hi:[1,1,0] neg_lo:[0,0,1] neg_hi:[0,0,1]
	v_pk_fma_f32 v[6:7], v[10:11], v[106:107], v[6:7] op_sel:[0,0,1] op_sel_hi:[1,0,0]
	s_waitcnt vmcnt(5)
	v_mov_b32_e32 v6, v109
	v_pk_add_f32 v[4:5], v[4:5], v[14:15]
	v_mov_b32_e32 v9, v7
	v_pk_mul_f32 v[6:7], v[12:13], v[6:7] op_sel_hi:[1,0]
	v_pk_add_f32 v[4:5], v[4:5], v[8:9]
	s_waitcnt vmcnt(4)
	v_pk_fma_f32 v[8:9], v[12:13], v[108:109], v[6:7] op_sel:[0,0,1] op_sel_hi:[1,1,0] neg_lo:[0,0,1] neg_hi:[0,0,1]
	v_pk_fma_f32 v[6:7], v[12:13], v[108:109], v[6:7] op_sel:[0,0,1] op_sel_hi:[1,0,0]
	s_waitcnt vmcnt(3)
	v_mov_b32_e32 v6, v111
	v_mov_b32_e32 v9, v7
	s_waitcnt lgkmcnt(0)
	v_pk_mul_f32 v[6:7], v[18:19], v[6:7] op_sel_hi:[1,0]
	v_pk_add_f32 v[4:5], v[4:5], v[8:9]
	s_waitcnt vmcnt(2)
	v_pk_fma_f32 v[8:9], v[18:19], v[110:111], v[6:7] op_sel:[0,0,1] op_sel_hi:[1,1,0] neg_lo:[0,0,1] neg_hi:[0,0,1]
	v_pk_fma_f32 v[6:7], v[18:19], v[110:111], v[6:7] op_sel:[0,0,1] op_sel_hi:[1,0,0]
	s_waitcnt vmcnt(1)
	v_mov_b32_e32 v6, v113
	v_mov_b32_e32 v9, v7
	v_pk_mul_f32 v[6:7], v[20:21], v[6:7] op_sel_hi:[1,0]
	v_pk_add_f32 v[4:5], v[4:5], v[8:9]
	s_waitcnt vmcnt(0)
	v_pk_fma_f32 v[8:9], v[20:21], v[112:113], v[6:7] op_sel:[0,0,1] op_sel_hi:[1,1,0] neg_lo:[0,0,1] neg_hi:[0,0,1]
	v_pk_fma_f32 v[6:7], v[20:21], v[112:113], v[6:7] op_sel:[0,0,1] op_sel_hi:[1,0,0]
	v_mov_b32_e32 v9, v7
	v_pk_add_f32 v[4:5], v[4:5], v[8:9]
	v_pk_add_f32 v[2:3], v[2:3], v[4:5] neg_lo:[0,1] neg_hi:[0,1]
	buffer_store_dword v3, off, s[0:3], 0 offset:180
	buffer_store_dword v2, off, s[0:3], 0 offset:176
	s_and_saveexec_b64 s[4:5], vcc
	s_cbranch_execz .LBB34_181
; %bb.180:
	buffer_load_dword v2, off, s[0:3], 0 offset:168
	buffer_load_dword v3, off, s[0:3], 0 offset:172
	v_mov_b32_e32 v4, 0
	buffer_store_dword v4, off, s[0:3], 0 offset:168
	buffer_store_dword v4, off, s[0:3], 0 offset:172
	s_waitcnt vmcnt(2)
	ds_write_b64 v1, v[2:3]
.LBB34_181:
	s_or_b64 exec, exec, s[4:5]
	v_mov_b32_e32 v4, 0
	s_waitcnt lgkmcnt(0)
	; wave barrier
	s_waitcnt lgkmcnt(0)
	ds_read_b128 v[6:9], v4 offset:464
	ds_read_b128 v[10:13], v4 offset:480
	;; [unrolled: 1-line block ×4, first 2 shown]
	buffer_load_dword v2, off, s[0:3], 0 offset:168
	buffer_load_dword v3, off, s[0:3], 0 offset:172
	;; [unrolled: 1-line block ×28, first 2 shown]
	v_cmp_lt_u32_e32 vcc, 20, v0
	s_waitcnt vmcnt(24) lgkmcnt(3)
	v_mul_f32_e32 v97, v6, v96
	v_fmac_f32_e32 v97, v7, v5
	v_mul_f32_e32 v7, v7, v96
	s_waitcnt vmcnt(22)
	v_mul_f32_e32 v99, v8, v100
	v_fma_f32 v5, v6, v5, -v7
	v_mul_f32_e32 v6, v9, v100
	v_add_f32_e32 v97, 0, v97
	v_fmac_f32_e32 v99, v9, v98
	v_add_f32_e32 v5, 0, v5
	v_fma_f32 v6, v8, v98, -v6
	v_add_f32_e32 v97, v97, v99
	s_waitcnt vmcnt(20) lgkmcnt(2)
	v_mul_f32_e32 v99, v10, v115
	v_add_f32_e32 v5, v5, v6
	v_mul_f32_e32 v6, v11, v115
	v_fmac_f32_e32 v99, v11, v114
	v_fma_f32 v6, v10, v114, -v6
	v_add_f32_e32 v97, v97, v99
	s_waitcnt vmcnt(18)
	v_mul_f32_e32 v99, v12, v117
	v_add_f32_e32 v96, v5, v6
	v_mul_f32_e32 v5, v13, v117
	v_fmac_f32_e32 v99, v13, v116
	v_fma_f32 v98, v12, v116, -v5
	s_waitcnt vmcnt(16) lgkmcnt(1)
	v_mul_f32_e32 v101, v14, v119
	v_mul_f32_e32 v5, v15, v119
	v_pk_add_f32 v[96:97], v[96:97], v[98:99]
	s_waitcnt vmcnt(14)
	v_mov_b32_e32 v98, v93
	v_fmac_f32_e32 v101, v15, v118
	v_fma_f32 v100, v14, v118, -v5
	v_pk_mul_f32 v[98:99], v[16:17], v[98:99] op_sel_hi:[1,0]
	v_pk_add_f32 v[96:97], v[96:97], v[100:101]
	v_pk_fma_f32 v[100:101], v[16:17], v[92:93], v[98:99] op_sel:[0,0,1] op_sel_hi:[1,1,0] neg_lo:[0,0,1] neg_hi:[0,0,1]
	v_pk_fma_f32 v[16:17], v[16:17], v[92:93], v[98:99] op_sel:[0,0,1] op_sel_hi:[1,0,0]
	s_waitcnt vmcnt(12)
	v_mov_b32_e32 v92, v95
	v_mov_b32_e32 v101, v17
	s_waitcnt lgkmcnt(0)
	v_pk_mul_f32 v[92:93], v[18:19], v[92:93] op_sel_hi:[1,0]
	v_pk_add_f32 v[16:17], v[96:97], v[100:101]
	v_pk_fma_f32 v[96:97], v[18:19], v[94:95], v[92:93] op_sel:[0,0,1] op_sel_hi:[1,1,0] neg_lo:[0,0,1] neg_hi:[0,0,1]
	v_pk_fma_f32 v[18:19], v[18:19], v[94:95], v[92:93] op_sel:[0,0,1] op_sel_hi:[1,0,0]
	s_waitcnt vmcnt(11)
	v_mov_b32_e32 v18, v103
	ds_read_b128 v[6:9], v4 offset:528
	ds_read_b128 v[10:13], v4 offset:544
	ds_read_b64 v[14:15], v4 offset:560
	v_mov_b32_e32 v97, v19
	v_pk_mul_f32 v[18:19], v[20:21], v[18:19] op_sel_hi:[1,0]
	s_waitcnt vmcnt(10)
	v_pk_fma_f32 v[92:93], v[20:21], v[102:103], v[18:19] op_sel:[0,0,1] op_sel_hi:[1,1,0] neg_lo:[0,0,1] neg_hi:[0,0,1]
	v_pk_fma_f32 v[18:19], v[20:21], v[102:103], v[18:19] op_sel:[0,0,1] op_sel_hi:[1,0,0]
	s_waitcnt vmcnt(9)
	v_mov_b32_e32 v18, v105
	v_mov_b32_e32 v93, v19
	s_waitcnt lgkmcnt(2)
	v_pk_mul_f32 v[18:19], v[6:7], v[18:19] op_sel_hi:[1,0]
	v_pk_add_f32 v[16:17], v[16:17], v[96:97]
	s_waitcnt vmcnt(8)
	v_pk_fma_f32 v[20:21], v[6:7], v[104:105], v[18:19] op_sel:[0,0,1] op_sel_hi:[1,1,0] neg_lo:[0,0,1] neg_hi:[0,0,1]
	v_pk_fma_f32 v[6:7], v[6:7], v[104:105], v[18:19] op_sel:[0,0,1] op_sel_hi:[1,0,0]
	v_pk_add_f32 v[16:17], v[16:17], v[92:93]
	v_mov_b32_e32 v21, v7
	v_pk_add_f32 v[6:7], v[16:17], v[20:21]
	s_waitcnt vmcnt(7)
	v_mov_b32_e32 v16, v107
	v_pk_mul_f32 v[16:17], v[8:9], v[16:17] op_sel_hi:[1,0]
	s_waitcnt vmcnt(6)
	v_pk_fma_f32 v[18:19], v[8:9], v[106:107], v[16:17] op_sel:[0,0,1] op_sel_hi:[1,1,0] neg_lo:[0,0,1] neg_hi:[0,0,1]
	v_pk_fma_f32 v[8:9], v[8:9], v[106:107], v[16:17] op_sel:[0,0,1] op_sel_hi:[1,0,0]
	s_waitcnt vmcnt(5)
	v_mov_b32_e32 v8, v109
	v_mov_b32_e32 v19, v9
	s_waitcnt lgkmcnt(1)
	v_pk_mul_f32 v[8:9], v[10:11], v[8:9] op_sel_hi:[1,0]
	s_waitcnt vmcnt(4)
	v_pk_fma_f32 v[16:17], v[10:11], v[108:109], v[8:9] op_sel:[0,0,1] op_sel_hi:[1,1,0] neg_lo:[0,0,1] neg_hi:[0,0,1]
	v_pk_fma_f32 v[8:9], v[10:11], v[108:109], v[8:9] op_sel:[0,0,1] op_sel_hi:[1,0,0]
	s_waitcnt vmcnt(3)
	v_mov_b32_e32 v8, v111
	v_mov_b32_e32 v17, v9
	v_pk_mul_f32 v[8:9], v[12:13], v[8:9] op_sel_hi:[1,0]
	s_waitcnt vmcnt(2)
	v_pk_fma_f32 v[10:11], v[12:13], v[110:111], v[8:9] op_sel:[0,0,1] op_sel_hi:[1,1,0] neg_lo:[0,0,1] neg_hi:[0,0,1]
	v_pk_fma_f32 v[8:9], v[12:13], v[110:111], v[8:9] op_sel:[0,0,1] op_sel_hi:[1,0,0]
	v_pk_add_f32 v[6:7], v[6:7], v[18:19]
	s_waitcnt vmcnt(1)
	v_mov_b32_e32 v8, v113
	v_pk_add_f32 v[6:7], v[6:7], v[16:17]
	v_mov_b32_e32 v11, v9
	s_waitcnt lgkmcnt(0)
	v_pk_mul_f32 v[8:9], v[14:15], v[8:9] op_sel_hi:[1,0]
	v_pk_add_f32 v[6:7], v[6:7], v[10:11]
	s_waitcnt vmcnt(0)
	v_pk_fma_f32 v[10:11], v[14:15], v[112:113], v[8:9] op_sel:[0,0,1] op_sel_hi:[1,1,0] neg_lo:[0,0,1] neg_hi:[0,0,1]
	v_pk_fma_f32 v[8:9], v[14:15], v[112:113], v[8:9] op_sel:[0,0,1] op_sel_hi:[1,0,0]
	v_mov_b32_e32 v11, v9
	v_pk_add_f32 v[6:7], v[6:7], v[10:11]
	v_pk_add_f32 v[2:3], v[2:3], v[6:7] neg_lo:[0,1] neg_hi:[0,1]
	buffer_store_dword v3, off, s[0:3], 0 offset:172
	buffer_store_dword v2, off, s[0:3], 0 offset:168
	s_and_saveexec_b64 s[4:5], vcc
	s_cbranch_execz .LBB34_183
; %bb.182:
	buffer_load_dword v2, off, s[0:3], 0 offset:160
	buffer_load_dword v3, off, s[0:3], 0 offset:164
	s_waitcnt vmcnt(0)
	ds_write_b64 v1, v[2:3]
	buffer_store_dword v4, off, s[0:3], 0 offset:160
	buffer_store_dword v4, off, s[0:3], 0 offset:164
.LBB34_183:
	s_or_b64 exec, exec, s[4:5]
	s_waitcnt lgkmcnt(0)
	; wave barrier
	s_waitcnt lgkmcnt(0)
	ds_read2_b64 v[6:9], v4 offset0:57 offset1:58
	buffer_load_dword v2, off, s[0:3], 0 offset:160
	buffer_load_dword v3, off, s[0:3], 0 offset:164
	;; [unrolled: 1-line block ×16, first 2 shown]
	v_cmp_lt_u32_e32 vcc, 19, v0
	ds_read2_b64 v[18:21], v4 offset0:63 offset1:64
	s_waitcnt vmcnt(12) lgkmcnt(1)
	v_mul_f32_e32 v10, v6, v94
	v_fmac_f32_e32 v10, v7, v5
	s_waitcnt vmcnt(10)
	v_mul_f32_e32 v11, v8, v98
	v_add_f32_e32 v10, 0, v10
	v_fmac_f32_e32 v11, v9, v96
	v_add_f32_e32 v14, v10, v11
	ds_read2_b64 v[10:13], v4 offset0:59 offset1:60
	v_mul_f32_e32 v7, v7, v94
	v_fma_f32 v5, v6, v5, -v7
	v_mul_f32_e32 v6, v9, v98
	v_add_f32_e32 v5, 0, v5
	s_waitcnt vmcnt(8) lgkmcnt(0)
	v_mul_f32_e32 v15, v10, v115
	v_fmac_f32_e32 v15, v11, v114
	v_add_f32_e32 v14, v14, v15
	s_waitcnt vmcnt(6)
	v_mul_f32_e32 v15, v12, v117
	v_fmac_f32_e32 v15, v13, v116
	v_add_f32_e32 v95, v14, v15
	ds_read2_b64 v[14:17], v4 offset0:61 offset1:62
	buffer_load_dword v101, off, s[0:3], 0 offset:228
	buffer_load_dword v100, off, s[0:3], 0 offset:224
	;; [unrolled: 1-line block ×14, first 2 shown]
	v_fma_f32 v6, v8, v96, -v6
	v_add_f32_e32 v5, v5, v6
	v_mul_f32_e32 v6, v11, v115
	v_fma_f32 v6, v10, v114, -v6
	v_add_f32_e32 v5, v5, v6
	v_mul_f32_e32 v6, v13, v117
	v_fma_f32 v6, v12, v116, -v6
	s_waitcnt vmcnt(18) lgkmcnt(0)
	v_mul_f32_e32 v97, v14, v119
	v_add_f32_e32 v94, v5, v6
	v_mul_f32_e32 v5, v15, v119
	v_fmac_f32_e32 v97, v15, v118
	s_waitcnt vmcnt(16)
	v_mul_f32_e32 v99, v16, v121
	v_fma_f32 v96, v14, v118, -v5
	v_mul_f32_e32 v5, v17, v121
	v_fmac_f32_e32 v99, v17, v120
	v_fma_f32 v98, v16, v120, -v5
	ds_read2_b64 v[6:9], v4 offset0:65 offset1:66
	ds_read2_b64 v[10:13], v4 offset0:67 offset1:68
	;; [unrolled: 1-line block ×3, first 2 shown]
	v_pk_add_f32 v[4:5], v[94:95], v[96:97]
	s_waitcnt vmcnt(14)
	v_mov_b32_e32 v94, v93
	v_pk_mul_f32 v[94:95], v[18:19], v[94:95] op_sel_hi:[1,0]
	v_pk_fma_f32 v[96:97], v[18:19], v[92:93], v[94:95] op_sel:[0,0,1] op_sel_hi:[1,1,0] neg_lo:[0,0,1] neg_hi:[0,0,1]
	v_pk_fma_f32 v[18:19], v[18:19], v[92:93], v[94:95] op_sel:[0,0,1] op_sel_hi:[1,0,0]
	v_mov_b32_e32 v97, v19
	v_pk_add_f32 v[4:5], v[4:5], v[98:99]
	v_pk_add_f32 v[4:5], v[4:5], v[96:97]
	s_waitcnt vmcnt(13)
	v_mov_b32_e32 v18, v101
	v_pk_mul_f32 v[18:19], v[20:21], v[18:19] op_sel_hi:[1,0]
	s_waitcnt vmcnt(12)
	v_pk_fma_f32 v[92:93], v[20:21], v[100:101], v[18:19] op_sel:[0,0,1] op_sel_hi:[1,1,0] neg_lo:[0,0,1] neg_hi:[0,0,1]
	v_pk_fma_f32 v[18:19], v[20:21], v[100:101], v[18:19] op_sel:[0,0,1] op_sel_hi:[1,0,0]
	s_waitcnt vmcnt(11)
	v_mov_b32_e32 v18, v103
	v_mov_b32_e32 v93, v19
	s_waitcnt lgkmcnt(2)
	v_pk_mul_f32 v[18:19], v[6:7], v[18:19] op_sel_hi:[1,0]
	s_waitcnt vmcnt(10)
	v_pk_fma_f32 v[20:21], v[6:7], v[102:103], v[18:19] op_sel:[0,0,1] op_sel_hi:[1,1,0] neg_lo:[0,0,1] neg_hi:[0,0,1]
	v_pk_fma_f32 v[6:7], v[6:7], v[102:103], v[18:19] op_sel:[0,0,1] op_sel_hi:[1,0,0]
	s_waitcnt vmcnt(9)
	v_mov_b32_e32 v6, v105
	v_mov_b32_e32 v21, v7
	v_pk_mul_f32 v[6:7], v[8:9], v[6:7] op_sel_hi:[1,0]
	s_waitcnt vmcnt(8)
	v_pk_fma_f32 v[18:19], v[8:9], v[104:105], v[6:7] op_sel:[0,0,1] op_sel_hi:[1,1,0] neg_lo:[0,0,1] neg_hi:[0,0,1]
	v_pk_fma_f32 v[6:7], v[8:9], v[104:105], v[6:7] op_sel:[0,0,1] op_sel_hi:[1,0,0]
	s_waitcnt vmcnt(7)
	v_mov_b32_e32 v6, v107
	v_mov_b32_e32 v19, v7
	s_waitcnt lgkmcnt(1)
	v_pk_mul_f32 v[6:7], v[10:11], v[6:7] op_sel_hi:[1,0]
	v_pk_add_f32 v[4:5], v[4:5], v[92:93]
	s_waitcnt vmcnt(6)
	v_pk_fma_f32 v[8:9], v[10:11], v[106:107], v[6:7] op_sel:[0,0,1] op_sel_hi:[1,1,0] neg_lo:[0,0,1] neg_hi:[0,0,1]
	v_pk_fma_f32 v[6:7], v[10:11], v[106:107], v[6:7] op_sel:[0,0,1] op_sel_hi:[1,0,0]
	v_pk_add_f32 v[4:5], v[4:5], v[20:21]
	s_waitcnt vmcnt(5)
	v_mov_b32_e32 v6, v109
	v_pk_add_f32 v[4:5], v[4:5], v[18:19]
	v_mov_b32_e32 v9, v7
	v_pk_mul_f32 v[6:7], v[12:13], v[6:7] op_sel_hi:[1,0]
	v_pk_add_f32 v[4:5], v[4:5], v[8:9]
	s_waitcnt vmcnt(4)
	v_pk_fma_f32 v[8:9], v[12:13], v[108:109], v[6:7] op_sel:[0,0,1] op_sel_hi:[1,1,0] neg_lo:[0,0,1] neg_hi:[0,0,1]
	v_pk_fma_f32 v[6:7], v[12:13], v[108:109], v[6:7] op_sel:[0,0,1] op_sel_hi:[1,0,0]
	s_waitcnt vmcnt(3)
	v_mov_b32_e32 v6, v111
	v_mov_b32_e32 v9, v7
	s_waitcnt lgkmcnt(0)
	v_pk_mul_f32 v[6:7], v[14:15], v[6:7] op_sel_hi:[1,0]
	v_pk_add_f32 v[4:5], v[4:5], v[8:9]
	s_waitcnt vmcnt(2)
	v_pk_fma_f32 v[8:9], v[14:15], v[110:111], v[6:7] op_sel:[0,0,1] op_sel_hi:[1,1,0] neg_lo:[0,0,1] neg_hi:[0,0,1]
	v_pk_fma_f32 v[6:7], v[14:15], v[110:111], v[6:7] op_sel:[0,0,1] op_sel_hi:[1,0,0]
	s_waitcnt vmcnt(1)
	v_mov_b32_e32 v6, v113
	v_mov_b32_e32 v9, v7
	v_pk_mul_f32 v[6:7], v[16:17], v[6:7] op_sel_hi:[1,0]
	v_pk_add_f32 v[4:5], v[4:5], v[8:9]
	s_waitcnt vmcnt(0)
	v_pk_fma_f32 v[8:9], v[16:17], v[112:113], v[6:7] op_sel:[0,0,1] op_sel_hi:[1,1,0] neg_lo:[0,0,1] neg_hi:[0,0,1]
	v_pk_fma_f32 v[6:7], v[16:17], v[112:113], v[6:7] op_sel:[0,0,1] op_sel_hi:[1,0,0]
	v_mov_b32_e32 v9, v7
	v_pk_add_f32 v[4:5], v[4:5], v[8:9]
	v_pk_add_f32 v[2:3], v[2:3], v[4:5] neg_lo:[0,1] neg_hi:[0,1]
	buffer_store_dword v3, off, s[0:3], 0 offset:164
	buffer_store_dword v2, off, s[0:3], 0 offset:160
	s_and_saveexec_b64 s[4:5], vcc
	s_cbranch_execz .LBB34_185
; %bb.184:
	buffer_load_dword v2, off, s[0:3], 0 offset:152
	buffer_load_dword v3, off, s[0:3], 0 offset:156
	v_mov_b32_e32 v4, 0
	buffer_store_dword v4, off, s[0:3], 0 offset:152
	buffer_store_dword v4, off, s[0:3], 0 offset:156
	s_waitcnt vmcnt(2)
	ds_write_b64 v1, v[2:3]
.LBB34_185:
	s_or_b64 exec, exec, s[4:5]
	v_mov_b32_e32 v4, 0
	s_waitcnt lgkmcnt(0)
	; wave barrier
	s_waitcnt lgkmcnt(0)
	ds_read_b128 v[6:9], v4 offset:448
	ds_read_b128 v[10:13], v4 offset:464
	;; [unrolled: 1-line block ×4, first 2 shown]
	buffer_load_dword v2, off, s[0:3], 0 offset:152
	buffer_load_dword v3, off, s[0:3], 0 offset:156
	;; [unrolled: 1-line block ×32, first 2 shown]
	v_cmp_lt_u32_e32 vcc, 18, v0
	s_waitcnt vmcnt(28) lgkmcnt(3)
	v_mul_f32_e32 v93, v6, v92
	v_fmac_f32_e32 v93, v7, v5
	v_mul_f32_e32 v7, v7, v92
	s_waitcnt vmcnt(26)
	v_mul_f32_e32 v95, v8, v96
	v_fma_f32 v5, v6, v5, -v7
	v_mul_f32_e32 v6, v9, v96
	v_add_f32_e32 v93, 0, v93
	v_fmac_f32_e32 v95, v9, v94
	v_add_f32_e32 v5, 0, v5
	v_fma_f32 v6, v8, v94, -v6
	v_add_f32_e32 v93, v93, v95
	s_waitcnt vmcnt(24) lgkmcnt(2)
	v_mul_f32_e32 v95, v10, v115
	v_add_f32_e32 v5, v5, v6
	v_mul_f32_e32 v6, v11, v115
	v_fmac_f32_e32 v95, v11, v114
	v_fma_f32 v6, v10, v114, -v6
	v_add_f32_e32 v93, v93, v95
	s_waitcnt vmcnt(22)
	v_mul_f32_e32 v95, v12, v117
	v_add_f32_e32 v5, v5, v6
	v_mul_f32_e32 v6, v13, v117
	v_fmac_f32_e32 v95, v13, v116
	v_fma_f32 v6, v12, v116, -v6
	v_add_f32_e32 v93, v93, v95
	s_waitcnt vmcnt(20) lgkmcnt(1)
	v_mul_f32_e32 v95, v14, v119
	v_add_f32_e32 v5, v5, v6
	v_mul_f32_e32 v6, v15, v119
	v_fmac_f32_e32 v95, v15, v118
	v_fma_f32 v6, v14, v118, -v6
	v_add_f32_e32 v93, v93, v95
	s_waitcnt vmcnt(18)
	v_mul_f32_e32 v95, v16, v121
	v_add_f32_e32 v92, v5, v6
	v_mul_f32_e32 v5, v17, v121
	v_fmac_f32_e32 v95, v17, v120
	v_fma_f32 v94, v16, v120, -v5
	s_waitcnt vmcnt(16) lgkmcnt(0)
	v_mul_f32_e32 v97, v18, v123
	v_mul_f32_e32 v5, v19, v123
	v_pk_add_f32 v[92:93], v[92:93], v[94:95]
	s_waitcnt vmcnt(15)
	v_mov_b32_e32 v94, v99
	v_fmac_f32_e32 v97, v19, v122
	v_fma_f32 v96, v18, v122, -v5
	v_pk_mul_f32 v[94:95], v[20:21], v[94:95] op_sel_hi:[1,0]
	v_pk_add_f32 v[92:93], v[92:93], v[96:97]
	s_waitcnt vmcnt(14)
	v_pk_fma_f32 v[96:97], v[20:21], v[98:99], v[94:95] op_sel:[0,0,1] op_sel_hi:[1,1,0] neg_lo:[0,0,1] neg_hi:[0,0,1]
	v_pk_fma_f32 v[20:21], v[20:21], v[98:99], v[94:95] op_sel:[0,0,1] op_sel_hi:[1,0,0]
	ds_read_b128 v[6:9], v4 offset:512
	ds_read_b128 v[10:13], v4 offset:528
	ds_read_b128 v[14:17], v4 offset:544
	ds_read_b64 v[18:19], v4 offset:560
	v_mov_b32_e32 v97, v21
	v_pk_add_f32 v[20:21], v[92:93], v[96:97]
	s_waitcnt vmcnt(13)
	v_mov_b32_e32 v92, v101
	s_waitcnt lgkmcnt(3)
	v_pk_mul_f32 v[92:93], v[6:7], v[92:93] op_sel_hi:[1,0]
	s_waitcnt vmcnt(12)
	v_pk_fma_f32 v[94:95], v[6:7], v[100:101], v[92:93] op_sel:[0,0,1] op_sel_hi:[1,1,0] neg_lo:[0,0,1] neg_hi:[0,0,1]
	v_pk_fma_f32 v[6:7], v[6:7], v[100:101], v[92:93] op_sel:[0,0,1] op_sel_hi:[1,0,0]
	v_mov_b32_e32 v95, v7
	v_pk_add_f32 v[6:7], v[20:21], v[94:95]
	s_waitcnt vmcnt(11)
	v_mov_b32_e32 v20, v103
	v_pk_mul_f32 v[20:21], v[8:9], v[20:21] op_sel_hi:[1,0]
	s_waitcnt vmcnt(10)
	v_pk_fma_f32 v[92:93], v[8:9], v[102:103], v[20:21] op_sel:[0,0,1] op_sel_hi:[1,1,0] neg_lo:[0,0,1] neg_hi:[0,0,1]
	v_pk_fma_f32 v[8:9], v[8:9], v[102:103], v[20:21] op_sel:[0,0,1] op_sel_hi:[1,0,0]
	s_waitcnt vmcnt(9)
	v_mov_b32_e32 v8, v105
	v_mov_b32_e32 v93, v9
	s_waitcnt lgkmcnt(2)
	v_pk_mul_f32 v[8:9], v[10:11], v[8:9] op_sel_hi:[1,0]
	s_waitcnt vmcnt(8)
	v_pk_fma_f32 v[20:21], v[10:11], v[104:105], v[8:9] op_sel:[0,0,1] op_sel_hi:[1,1,0] neg_lo:[0,0,1] neg_hi:[0,0,1]
	v_pk_fma_f32 v[8:9], v[10:11], v[104:105], v[8:9] op_sel:[0,0,1] op_sel_hi:[1,0,0]
	s_waitcnt vmcnt(7)
	v_mov_b32_e32 v8, v107
	v_mov_b32_e32 v21, v9
	v_pk_mul_f32 v[8:9], v[12:13], v[8:9] op_sel_hi:[1,0]
	s_waitcnt vmcnt(6)
	v_pk_fma_f32 v[10:11], v[12:13], v[106:107], v[8:9] op_sel:[0,0,1] op_sel_hi:[1,1,0] neg_lo:[0,0,1] neg_hi:[0,0,1]
	v_pk_fma_f32 v[8:9], v[12:13], v[106:107], v[8:9] op_sel:[0,0,1] op_sel_hi:[1,0,0]
	v_pk_add_f32 v[6:7], v[6:7], v[92:93]
	s_waitcnt vmcnt(5)
	v_mov_b32_e32 v8, v109
	v_pk_add_f32 v[6:7], v[6:7], v[20:21]
	v_mov_b32_e32 v11, v9
	s_waitcnt lgkmcnt(1)
	v_pk_mul_f32 v[8:9], v[14:15], v[8:9] op_sel_hi:[1,0]
	v_pk_add_f32 v[6:7], v[6:7], v[10:11]
	s_waitcnt vmcnt(4)
	v_pk_fma_f32 v[10:11], v[14:15], v[108:109], v[8:9] op_sel:[0,0,1] op_sel_hi:[1,1,0] neg_lo:[0,0,1] neg_hi:[0,0,1]
	v_pk_fma_f32 v[8:9], v[14:15], v[108:109], v[8:9] op_sel:[0,0,1] op_sel_hi:[1,0,0]
	s_waitcnt vmcnt(3)
	v_mov_b32_e32 v8, v111
	v_mov_b32_e32 v11, v9
	v_pk_mul_f32 v[8:9], v[16:17], v[8:9] op_sel_hi:[1,0]
	v_pk_add_f32 v[6:7], v[6:7], v[10:11]
	s_waitcnt vmcnt(2)
	v_pk_fma_f32 v[10:11], v[16:17], v[110:111], v[8:9] op_sel:[0,0,1] op_sel_hi:[1,1,0] neg_lo:[0,0,1] neg_hi:[0,0,1]
	v_pk_fma_f32 v[8:9], v[16:17], v[110:111], v[8:9] op_sel:[0,0,1] op_sel_hi:[1,0,0]
	s_waitcnt vmcnt(1)
	v_mov_b32_e32 v8, v113
	v_mov_b32_e32 v11, v9
	s_waitcnt lgkmcnt(0)
	v_pk_mul_f32 v[8:9], v[18:19], v[8:9] op_sel_hi:[1,0]
	v_pk_add_f32 v[6:7], v[6:7], v[10:11]
	s_waitcnt vmcnt(0)
	v_pk_fma_f32 v[10:11], v[18:19], v[112:113], v[8:9] op_sel:[0,0,1] op_sel_hi:[1,1,0] neg_lo:[0,0,1] neg_hi:[0,0,1]
	v_pk_fma_f32 v[8:9], v[18:19], v[112:113], v[8:9] op_sel:[0,0,1] op_sel_hi:[1,0,0]
	v_mov_b32_e32 v11, v9
	v_pk_add_f32 v[6:7], v[6:7], v[10:11]
	v_pk_add_f32 v[2:3], v[2:3], v[6:7] neg_lo:[0,1] neg_hi:[0,1]
	buffer_store_dword v3, off, s[0:3], 0 offset:156
	buffer_store_dword v2, off, s[0:3], 0 offset:152
	s_and_saveexec_b64 s[4:5], vcc
	s_cbranch_execz .LBB34_187
; %bb.186:
	buffer_load_dword v2, off, s[0:3], 0 offset:144
	buffer_load_dword v3, off, s[0:3], 0 offset:148
	s_waitcnt vmcnt(0)
	ds_write_b64 v1, v[2:3]
	buffer_store_dword v4, off, s[0:3], 0 offset:144
	buffer_store_dword v4, off, s[0:3], 0 offset:148
.LBB34_187:
	s_or_b64 exec, exec, s[4:5]
	s_waitcnt lgkmcnt(0)
	; wave barrier
	s_waitcnt lgkmcnt(0)
	buffer_load_dword v122, off, s[0:3], 0 offset:156
	buffer_load_dword v124, off, s[0:3], 0 offset:164
	;; [unrolled: 1-line block ×32, first 2 shown]
	ds_read2_b64 v[6:9], v4 offset0:55 offset1:56
	ds_read2_b64 v[10:13], v4 offset0:57 offset1:58
	;; [unrolled: 1-line block ×4, first 2 shown]
	buffer_load_dword v121, off, s[0:3], 0 offset:276
	buffer_load_dword v120, off, s[0:3], 0 offset:272
	ds_read2_b64 v[92:95], v4 offset0:63 offset1:64
	ds_read2_b64 v[96:99], v4 offset0:65 offset1:66
	;; [unrolled: 1-line block ×4, first 2 shown]
	v_cmp_lt_u32_e32 vcc, 17, v0
	s_waitcnt vmcnt(33) lgkmcnt(7)
	v_mul_f32_e32 v140, v6, v122
	v_mul_f32_e32 v122, v7, v122
	s_waitcnt vmcnt(32)
	v_mul_f32_e32 v141, v8, v124
	s_waitcnt vmcnt(30) lgkmcnt(6)
	v_mul_f32_e32 v143, v12, v127
	v_mul_f32_e32 v124, v9, v124
	;; [unrolled: 1-line block ×5, first 2 shown]
	s_waitcnt vmcnt(25)
	v_fmac_f32_e32 v140, v7, v132
	v_fma_f32 v6, v6, v132, -v122
	s_waitcnt vmcnt(24)
	v_fmac_f32_e32 v141, v9, v133
	v_fma_f32 v7, v8, v133, -v124
	s_waitcnt vmcnt(22)
	v_fma_f32 v9, v12, v135, -v127
	v_add_f32_e32 v12, 0, v140
	v_add_f32_e32 v6, 0, v6
	v_fmac_f32_e32 v142, v11, v134
	v_fma_f32 v8, v10, v134, -v126
	v_add_f32_e32 v12, v12, v141
	v_add_f32_e32 v6, v6, v7
	s_waitcnt lgkmcnt(5)
	v_mul_f32_e32 v144, v14, v128
	v_mul_f32_e32 v128, v15, v128
	v_fmac_f32_e32 v143, v13, v135
	v_add_f32_e32 v7, v12, v142
	v_add_f32_e32 v6, v6, v8
	v_mul_f32_e32 v145, v16, v129
	v_mul_f32_e32 v129, v17, v129
	s_waitcnt vmcnt(21)
	v_fmac_f32_e32 v144, v15, v136
	v_fma_f32 v10, v14, v136, -v128
	v_add_f32_e32 v7, v7, v143
	v_add_f32_e32 v6, v6, v9
	s_waitcnt vmcnt(17)
	v_mov_b32_e32 v8, v105
	s_waitcnt lgkmcnt(4)
	v_mul_f32_e32 v123, v18, v130
	v_mul_f32_e32 v130, v19, v130
	v_fmac_f32_e32 v145, v17, v137
	v_fma_f32 v11, v16, v137, -v129
	v_add_f32_e32 v7, v7, v144
	v_add_f32_e32 v6, v6, v10
	s_waitcnt lgkmcnt(3)
	v_pk_mul_f32 v[8:9], v[92:93], v[8:9] op_sel_hi:[1,0]
	v_mul_f32_e32 v125, v20, v131
	v_mul_f32_e32 v131, v21, v131
	v_fmac_f32_e32 v123, v19, v138
	v_fma_f32 v122, v18, v138, -v130
	v_add_f32_e32 v7, v7, v145
	v_add_f32_e32 v6, v6, v11
	s_waitcnt vmcnt(14)
	v_pk_fma_f32 v[10:11], v[92:93], v[104:105], v[8:9] op_sel:[0,0,1] op_sel_hi:[1,1,0] neg_lo:[0,0,1] neg_hi:[0,0,1]
	v_pk_fma_f32 v[8:9], v[92:93], v[104:105], v[8:9] op_sel:[0,0,1] op_sel_hi:[1,0,0]
	v_fmac_f32_e32 v125, v21, v139
	v_fma_f32 v124, v20, v139, -v131
	v_pk_add_f32 v[6:7], v[6:7], v[122:123]
	s_waitcnt vmcnt(13)
	v_mov_b32_e32 v8, v109
	v_pk_add_f32 v[6:7], v[6:7], v[124:125]
	v_mov_b32_e32 v11, v9
	v_pk_mul_f32 v[8:9], v[94:95], v[8:9] op_sel_hi:[1,0]
	v_pk_add_f32 v[6:7], v[6:7], v[10:11]
	v_pk_fma_f32 v[10:11], v[94:95], v[108:109], v[8:9] op_sel:[0,0,1] op_sel_hi:[1,1,0] neg_lo:[0,0,1] neg_hi:[0,0,1]
	v_pk_fma_f32 v[8:9], v[94:95], v[108:109], v[8:9] op_sel:[0,0,1] op_sel_hi:[1,0,0]
	s_waitcnt vmcnt(12)
	v_mov_b32_e32 v8, v107
	v_mov_b32_e32 v11, v9
	s_waitcnt lgkmcnt(2)
	v_pk_mul_f32 v[8:9], v[96:97], v[8:9] op_sel_hi:[1,0]
	v_pk_add_f32 v[6:7], v[6:7], v[10:11]
	v_pk_fma_f32 v[10:11], v[96:97], v[106:107], v[8:9] op_sel:[0,0,1] op_sel_hi:[1,1,0] neg_lo:[0,0,1] neg_hi:[0,0,1]
	v_pk_fma_f32 v[8:9], v[96:97], v[106:107], v[8:9] op_sel:[0,0,1] op_sel_hi:[1,0,0]
	s_waitcnt vmcnt(11)
	v_mov_b32_e32 v8, v111
	v_mov_b32_e32 v11, v9
	v_pk_mul_f32 v[8:9], v[98:99], v[8:9] op_sel_hi:[1,0]
	v_pk_add_f32 v[6:7], v[6:7], v[10:11]
	s_waitcnt vmcnt(5)
	v_pk_fma_f32 v[10:11], v[98:99], v[110:111], v[8:9] op_sel:[0,0,1] op_sel_hi:[1,1,0] neg_lo:[0,0,1] neg_hi:[0,0,1]
	v_pk_fma_f32 v[8:9], v[98:99], v[110:111], v[8:9] op_sel:[0,0,1] op_sel_hi:[1,0,0]
	v_mov_b32_e32 v8, v117
	v_mov_b32_e32 v11, v9
	s_waitcnt lgkmcnt(1)
	v_pk_mul_f32 v[8:9], v[100:101], v[8:9] op_sel_hi:[1,0]
	v_pk_add_f32 v[6:7], v[6:7], v[10:11]
	v_pk_fma_f32 v[10:11], v[100:101], v[116:117], v[8:9] op_sel:[0,0,1] op_sel_hi:[1,1,0] neg_lo:[0,0,1] neg_hi:[0,0,1]
	v_pk_fma_f32 v[8:9], v[100:101], v[116:117], v[8:9] op_sel:[0,0,1] op_sel_hi:[1,0,0]
	v_mov_b32_e32 v8, v115
	v_mov_b32_e32 v11, v9
	v_pk_mul_f32 v[8:9], v[102:103], v[8:9] op_sel_hi:[1,0]
	v_pk_add_f32 v[6:7], v[6:7], v[10:11]
	v_pk_fma_f32 v[10:11], v[102:103], v[114:115], v[8:9] op_sel:[0,0,1] op_sel_hi:[1,1,0] neg_lo:[0,0,1] neg_hi:[0,0,1]
	v_pk_fma_f32 v[8:9], v[102:103], v[114:115], v[8:9] op_sel:[0,0,1] op_sel_hi:[1,0,0]
	s_waitcnt vmcnt(2)
	v_mov_b32_e32 v8, v113
	v_mov_b32_e32 v11, v9
	s_waitcnt lgkmcnt(0)
	v_pk_mul_f32 v[8:9], v[2:3], v[8:9] op_sel_hi:[1,0]
	v_pk_add_f32 v[6:7], v[6:7], v[10:11]
	v_pk_fma_f32 v[10:11], v[2:3], v[112:113], v[8:9] op_sel:[0,0,1] op_sel_hi:[1,1,0] neg_lo:[0,0,1] neg_hi:[0,0,1]
	v_pk_fma_f32 v[2:3], v[2:3], v[112:113], v[8:9] op_sel:[0,0,1] op_sel_hi:[1,0,0]
	v_mov_b32_e32 v11, v3
	v_pk_add_f32 v[2:3], v[6:7], v[10:11]
	s_waitcnt vmcnt(1)
	v_mov_b32_e32 v6, v121
	v_pk_mul_f32 v[6:7], v[4:5], v[6:7] op_sel_hi:[1,0]
	s_waitcnt vmcnt(0)
	v_pk_fma_f32 v[8:9], v[4:5], v[120:121], v[6:7] op_sel:[0,0,1] op_sel_hi:[1,1,0] neg_lo:[0,0,1] neg_hi:[0,0,1]
	v_pk_fma_f32 v[4:5], v[4:5], v[120:121], v[6:7] op_sel:[0,0,1] op_sel_hi:[1,0,0]
	v_mov_b32_e32 v9, v5
	v_pk_add_f32 v[2:3], v[2:3], v[8:9]
	v_pk_add_f32 v[2:3], v[118:119], v[2:3] neg_lo:[0,1] neg_hi:[0,1]
	buffer_store_dword v3, off, s[0:3], 0 offset:148
	buffer_store_dword v2, off, s[0:3], 0 offset:144
	s_and_saveexec_b64 s[4:5], vcc
	s_cbranch_execz .LBB34_189
; %bb.188:
	buffer_load_dword v2, off, s[0:3], 0 offset:136
	buffer_load_dword v3, off, s[0:3], 0 offset:140
	v_mov_b32_e32 v4, 0
	buffer_store_dword v4, off, s[0:3], 0 offset:136
	buffer_store_dword v4, off, s[0:3], 0 offset:140
	s_waitcnt vmcnt(2)
	ds_write_b64 v1, v[2:3]
.LBB34_189:
	s_or_b64 exec, exec, s[4:5]
	s_waitcnt lgkmcnt(0)
	; wave barrier
	s_waitcnt lgkmcnt(0)
	buffer_load_dword v3, off, s[0:3], 0 offset:148
	buffer_load_dword v116, off, s[0:3], 0 offset:156
	buffer_load_dword v118, off, s[0:3], 0 offset:164
	buffer_load_dword v120, off, s[0:3], 0 offset:172
	buffer_load_dword v121, off, s[0:3], 0 offset:180
	buffer_load_dword v122, off, s[0:3], 0 offset:188
	buffer_load_dword v123, off, s[0:3], 0 offset:196
	buffer_load_dword v124, off, s[0:3], 0 offset:204
	buffer_load_dword v125, off, s[0:3], 0 offset:212
	buffer_load_dword v126, off, s[0:3], 0 offset:144
	buffer_load_dword v127, off, s[0:3], 0 offset:152
	buffer_load_dword v128, off, s[0:3], 0 offset:160
	buffer_load_dword v129, off, s[0:3], 0 offset:168
	buffer_load_dword v130, off, s[0:3], 0 offset:176
	buffer_load_dword v131, off, s[0:3], 0 offset:184
	buffer_load_dword v132, off, s[0:3], 0 offset:192
	buffer_load_dword v133, off, s[0:3], 0 offset:200
	buffer_load_dword v134, off, s[0:3], 0 offset:208
	buffer_load_dword v21, off, s[0:3], 0 offset:220
	buffer_load_dword v100, off, s[0:3], 0 offset:224
	buffer_load_dword v20, off, s[0:3], 0 offset:216
	buffer_load_dword v102, off, s[0:3], 0 offset:136
	buffer_load_dword v103, off, s[0:3], 0 offset:140
	buffer_load_dword v101, off, s[0:3], 0 offset:228
	buffer_load_dword v105, off, s[0:3], 0 offset:236
	buffer_load_dword v107, off, s[0:3], 0 offset:260
	buffer_load_dword v106, off, s[0:3], 0 offset:256
	buffer_load_dword v109, off, s[0:3], 0 offset:252
	buffer_load_dword v108, off, s[0:3], 0 offset:248
	buffer_load_dword v111, off, s[0:3], 0 offset:244
	buffer_load_dword v110, off, s[0:3], 0 offset:240
	buffer_load_dword v104, off, s[0:3], 0 offset:232
	buffer_load_dword v113, off, s[0:3], 0 offset:276
	buffer_load_dword v112, off, s[0:3], 0 offset:272
	buffer_load_dword v115, off, s[0:3], 0 offset:268
	buffer_load_dword v114, off, s[0:3], 0 offset:264
	v_mov_b32_e32 v2, 0
	ds_read_b128 v[4:7], v2 offset:432
	ds_read_b128 v[8:11], v2 offset:448
	;; [unrolled: 1-line block ×6, first 2 shown]
	v_cmp_lt_u32_e32 vcc, 16, v0
	s_waitcnt vmcnt(35) lgkmcnt(5)
	v_mul_f32_e32 v135, v4, v3
	s_waitcnt vmcnt(34)
	v_mul_f32_e32 v136, v6, v116
	s_waitcnt vmcnt(33) lgkmcnt(4)
	v_mul_f32_e32 v137, v8, v118
	v_mul_f32_e32 v3, v5, v3
	;; [unrolled: 1-line block ×4, first 2 shown]
	s_waitcnt vmcnt(32)
	v_mul_f32_e32 v138, v10, v120
	s_waitcnt vmcnt(31) lgkmcnt(3)
	v_mul_f32_e32 v139, v12, v121
	v_mul_f32_e32 v120, v11, v120
	s_waitcnt vmcnt(26)
	v_fmac_f32_e32 v135, v5, v126
	s_waitcnt vmcnt(25)
	v_fmac_f32_e32 v136, v7, v127
	;; [unrolled: 2-line block ×3, first 2 shown]
	v_fma_f32 v3, v4, v126, -v3
	v_add_f32_e32 v9, 0, v135
	v_fma_f32 v4, v6, v127, -v116
	v_add_f32_e32 v3, 0, v3
	v_add_f32_e32 v9, v9, v136
	s_waitcnt vmcnt(23)
	v_fmac_f32_e32 v138, v11, v129
	v_fma_f32 v5, v8, v128, -v118
	v_add_f32_e32 v3, v3, v4
	v_add_f32_e32 v4, v9, v137
	v_mul_f32_e32 v140, v14, v122
	v_mul_f32_e32 v121, v13, v121
	s_waitcnt vmcnt(22)
	v_fmac_f32_e32 v139, v13, v130
	v_fma_f32 v6, v10, v129, -v120
	v_add_f32_e32 v3, v3, v5
	v_add_f32_e32 v4, v4, v138
	s_waitcnt lgkmcnt(2)
	v_mul_f32_e32 v141, v16, v123
	v_mul_f32_e32 v122, v15, v122
	s_waitcnt vmcnt(21)
	v_fmac_f32_e32 v140, v15, v131
	v_fma_f32 v7, v12, v130, -v121
	v_add_f32_e32 v3, v3, v6
	v_add_f32_e32 v4, v4, v139
	v_mul_f32_e32 v123, v17, v123
	s_waitcnt vmcnt(20)
	v_fmac_f32_e32 v141, v17, v132
	v_fma_f32 v8, v14, v131, -v122
	v_add_f32_e32 v3, v3, v7
	v_add_f32_e32 v4, v4, v140
	;; [unrolled: 1-line block ×4, first 2 shown]
	v_fma_f32 v4, v16, v132, -v123
	s_waitcnt vmcnt(17)
	v_mov_b32_e32 v16, v21
	v_mul_f32_e32 v117, v18, v124
	v_add_f32_e32 v12, v3, v4
	v_mul_f32_e32 v3, v19, v124
	s_waitcnt lgkmcnt(1)
	v_pk_mul_f32 v[16:17], v[94:95], v[16:17] op_sel_hi:[1,0]
	v_mul_f32_e32 v119, v92, v125
	v_fmac_f32_e32 v117, v19, v133
	v_fma_f32 v116, v18, v133, -v3
	v_mul_f32_e32 v3, v93, v125
	s_waitcnt vmcnt(15)
	v_pk_fma_f32 v[18:19], v[94:95], v[20:21], v[16:17] op_sel:[0,0,1] op_sel_hi:[1,1,0] neg_lo:[0,0,1] neg_hi:[0,0,1]
	v_pk_fma_f32 v[16:17], v[94:95], v[20:21], v[16:17] op_sel:[0,0,1] op_sel_hi:[1,0,0]
	v_fmac_f32_e32 v119, v93, v134
	v_fma_f32 v118, v92, v134, -v3
	v_pk_add_f32 v[12:13], v[12:13], v[116:117]
	s_waitcnt vmcnt(12)
	v_mov_b32_e32 v16, v101
	v_pk_add_f32 v[12:13], v[12:13], v[118:119]
	v_mov_b32_e32 v19, v17
	s_waitcnt lgkmcnt(0)
	v_pk_mul_f32 v[16:17], v[96:97], v[16:17] op_sel_hi:[1,0]
	v_pk_add_f32 v[12:13], v[12:13], v[18:19]
	v_pk_fma_f32 v[18:19], v[96:97], v[100:101], v[16:17] op_sel:[0,0,1] op_sel_hi:[1,1,0] neg_lo:[0,0,1] neg_hi:[0,0,1]
	v_pk_fma_f32 v[16:17], v[96:97], v[100:101], v[16:17] op_sel:[0,0,1] op_sel_hi:[1,0,0]
	s_waitcnt vmcnt(11)
	v_mov_b32_e32 v16, v105
	ds_read_b128 v[4:7], v2 offset:528
	ds_read_b128 v[8:11], v2 offset:544
	ds_read_b64 v[14:15], v2 offset:560
	v_mov_b32_e32 v19, v17
	v_pk_mul_f32 v[16:17], v[98:99], v[16:17] op_sel_hi:[1,0]
	v_pk_add_f32 v[12:13], v[12:13], v[18:19]
	s_waitcnt vmcnt(4)
	v_pk_fma_f32 v[18:19], v[98:99], v[104:105], v[16:17] op_sel:[0,0,1] op_sel_hi:[1,1,0] neg_lo:[0,0,1] neg_hi:[0,0,1]
	v_pk_fma_f32 v[16:17], v[98:99], v[104:105], v[16:17] op_sel:[0,0,1] op_sel_hi:[1,0,0]
	v_mov_b32_e32 v16, v111
	v_mov_b32_e32 v19, v17
	s_waitcnt lgkmcnt(2)
	v_pk_mul_f32 v[16:17], v[4:5], v[16:17] op_sel_hi:[1,0]
	v_pk_add_f32 v[12:13], v[12:13], v[18:19]
	v_pk_fma_f32 v[18:19], v[4:5], v[110:111], v[16:17] op_sel:[0,0,1] op_sel_hi:[1,1,0] neg_lo:[0,0,1] neg_hi:[0,0,1]
	v_pk_fma_f32 v[4:5], v[4:5], v[110:111], v[16:17] op_sel:[0,0,1] op_sel_hi:[1,0,0]
	v_mov_b32_e32 v19, v5
	v_pk_add_f32 v[4:5], v[12:13], v[18:19]
	v_mov_b32_e32 v12, v109
	v_pk_mul_f32 v[12:13], v[6:7], v[12:13] op_sel_hi:[1,0]
	v_pk_fma_f32 v[16:17], v[6:7], v[108:109], v[12:13] op_sel:[0,0,1] op_sel_hi:[1,1,0] neg_lo:[0,0,1] neg_hi:[0,0,1]
	v_pk_fma_f32 v[6:7], v[6:7], v[108:109], v[12:13] op_sel:[0,0,1] op_sel_hi:[1,0,0]
	v_mov_b32_e32 v6, v107
	v_mov_b32_e32 v17, v7
	s_waitcnt lgkmcnt(1)
	v_pk_mul_f32 v[6:7], v[8:9], v[6:7] op_sel_hi:[1,0]
	v_pk_fma_f32 v[12:13], v[8:9], v[106:107], v[6:7] op_sel:[0,0,1] op_sel_hi:[1,1,0] neg_lo:[0,0,1] neg_hi:[0,0,1]
	v_pk_fma_f32 v[6:7], v[8:9], v[106:107], v[6:7] op_sel:[0,0,1] op_sel_hi:[1,0,0]
	s_waitcnt vmcnt(1)
	v_mov_b32_e32 v6, v115
	v_mov_b32_e32 v13, v7
	v_pk_mul_f32 v[6:7], v[10:11], v[6:7] op_sel_hi:[1,0]
	s_waitcnt vmcnt(0)
	v_pk_fma_f32 v[8:9], v[10:11], v[114:115], v[6:7] op_sel:[0,0,1] op_sel_hi:[1,1,0] neg_lo:[0,0,1] neg_hi:[0,0,1]
	v_pk_fma_f32 v[6:7], v[10:11], v[114:115], v[6:7] op_sel:[0,0,1] op_sel_hi:[1,0,0]
	v_pk_add_f32 v[4:5], v[4:5], v[16:17]
	v_mov_b32_e32 v6, v113
	v_pk_add_f32 v[4:5], v[4:5], v[12:13]
	v_mov_b32_e32 v9, v7
	s_waitcnt lgkmcnt(0)
	v_pk_mul_f32 v[6:7], v[14:15], v[6:7] op_sel_hi:[1,0]
	v_pk_add_f32 v[4:5], v[4:5], v[8:9]
	v_pk_fma_f32 v[8:9], v[14:15], v[112:113], v[6:7] op_sel:[0,0,1] op_sel_hi:[1,1,0] neg_lo:[0,0,1] neg_hi:[0,0,1]
	v_pk_fma_f32 v[6:7], v[14:15], v[112:113], v[6:7] op_sel:[0,0,1] op_sel_hi:[1,0,0]
	v_mov_b32_e32 v9, v7
	v_pk_add_f32 v[4:5], v[4:5], v[8:9]
	v_pk_add_f32 v[4:5], v[102:103], v[4:5] neg_lo:[0,1] neg_hi:[0,1]
	buffer_store_dword v5, off, s[0:3], 0 offset:140
	buffer_store_dword v4, off, s[0:3], 0 offset:136
	s_and_saveexec_b64 s[4:5], vcc
	s_cbranch_execz .LBB34_191
; %bb.190:
	buffer_load_dword v4, off, s[0:3], 0 offset:128
	buffer_load_dword v5, off, s[0:3], 0 offset:132
	s_waitcnt vmcnt(0)
	ds_write_b64 v1, v[4:5]
	buffer_store_dword v2, off, s[0:3], 0 offset:128
	buffer_store_dword v2, off, s[0:3], 0 offset:132
.LBB34_191:
	s_or_b64 exec, exec, s[4:5]
	s_waitcnt lgkmcnt(0)
	; wave barrier
	s_waitcnt lgkmcnt(0)
	buffer_load_dword v3, off, s[0:3], 0 offset:140
	buffer_load_dword v116, off, s[0:3], 0 offset:148
	;; [unrolled: 1-line block ×22, first 2 shown]
	ds_read2_b64 v[4:7], v2 offset0:53 offset1:54
	ds_read2_b64 v[8:11], v2 offset0:55 offset1:56
	buffer_load_dword v101, off, s[0:3], 0 offset:220
	buffer_load_dword v100, off, s[0:3], 0 offset:216
	buffer_load_dword v103, off, s[0:3], 0 offset:228
	buffer_load_dword v105, off, s[0:3], 0 offset:252
	buffer_load_dword v104, off, s[0:3], 0 offset:248
	buffer_load_dword v107, off, s[0:3], 0 offset:244
	buffer_load_dword v106, off, s[0:3], 0 offset:240
	buffer_load_dword v109, off, s[0:3], 0 offset:236
	buffer_load_dword v108, off, s[0:3], 0 offset:232
	buffer_load_dword v102, off, s[0:3], 0 offset:224
	ds_read2_b64 v[12:15], v2 offset0:57 offset1:58
	ds_read2_b64 v[16:19], v2 offset0:59 offset1:60
	;; [unrolled: 1-line block ×4, first 2 shown]
	buffer_load_dword v111, off, s[0:3], 0 offset:276
	buffer_load_dword v110, off, s[0:3], 0 offset:272
	;; [unrolled: 1-line block ×6, first 2 shown]
	v_cmp_lt_u32_e32 vcc, 15, v0
	s_waitcnt vmcnt(37) lgkmcnt(5)
	v_mul_f32_e32 v137, v4, v3
	s_waitcnt vmcnt(36)
	v_mul_f32_e32 v138, v6, v116
	s_waitcnt vmcnt(35) lgkmcnt(4)
	v_mul_f32_e32 v139, v8, v118
	v_mul_f32_e32 v3, v5, v3
	;; [unrolled: 1-line block ×4, first 2 shown]
	s_waitcnt vmcnt(34)
	v_mul_f32_e32 v140, v10, v120
	s_waitcnt vmcnt(33) lgkmcnt(3)
	v_mul_f32_e32 v141, v12, v121
	s_waitcnt vmcnt(32)
	v_mul_f32_e32 v142, v14, v122
	s_waitcnt vmcnt(31) lgkmcnt(2)
	v_mul_f32_e32 v143, v16, v123
	s_waitcnt vmcnt(27)
	v_fmac_f32_e32 v137, v5, v127
	s_waitcnt vmcnt(26)
	v_fmac_f32_e32 v138, v7, v128
	v_fma_f32 v3, v4, v127, -v3
	s_waitcnt vmcnt(25)
	v_fma_f32 v5, v8, v129, -v118
	v_add_f32_e32 v8, 0, v137
	v_fmac_f32_e32 v139, v9, v129
	v_fma_f32 v4, v6, v128, -v116
	v_add_f32_e32 v3, 0, v3
	v_add_f32_e32 v8, v8, v138
	s_waitcnt vmcnt(24)
	v_fmac_f32_e32 v140, v11, v130
	v_add_f32_e32 v3, v3, v4
	v_add_f32_e32 v4, v8, v139
	s_waitcnt vmcnt(23)
	v_fmac_f32_e32 v141, v13, v131
	v_add_f32_e32 v4, v4, v140
	v_mul_f32_e32 v120, v11, v120
	s_waitcnt vmcnt(22)
	v_fmac_f32_e32 v142, v15, v132
	v_add_f32_e32 v4, v4, v141
	v_mul_f32_e32 v144, v18, v124
	v_mul_f32_e32 v121, v13, v121
	s_waitcnt vmcnt(21)
	v_fmac_f32_e32 v143, v17, v133
	v_fma_f32 v6, v10, v130, -v120
	v_add_f32_e32 v3, v3, v5
	v_add_f32_e32 v4, v4, v142
	v_mul_f32_e32 v122, v15, v122
	s_waitcnt vmcnt(20)
	v_fmac_f32_e32 v144, v19, v134
	v_fma_f32 v7, v12, v131, -v121
	v_add_f32_e32 v3, v3, v6
	v_add_f32_e32 v4, v4, v143
	;; [unrolled: 1-line block ×4, first 2 shown]
	v_fma_f32 v4, v14, v132, -v122
	v_add_f32_e32 v3, v3, v4
	v_mul_f32_e32 v4, v17, v123
	v_fma_f32 v4, v16, v133, -v4
	v_add_f32_e32 v3, v3, v4
	v_mul_f32_e32 v4, v19, v124
	v_fma_f32 v4, v18, v134, -v4
	s_waitcnt vmcnt(15)
	v_mov_b32_e32 v16, v101
	s_waitcnt lgkmcnt(1)
	v_mul_f32_e32 v117, v92, v125
	v_add_f32_e32 v120, v3, v4
	v_mul_f32_e32 v3, v93, v125
	s_waitcnt lgkmcnt(0)
	v_pk_mul_f32 v[16:17], v[96:97], v[16:17] op_sel_hi:[1,0]
	v_mul_f32_e32 v119, v94, v126
	v_fmac_f32_e32 v117, v93, v135
	v_fma_f32 v116, v92, v135, -v3
	v_mul_f32_e32 v3, v95, v126
	s_waitcnt vmcnt(14)
	v_pk_fma_f32 v[18:19], v[96:97], v[100:101], v[16:17] op_sel:[0,0,1] op_sel_hi:[1,1,0] neg_lo:[0,0,1] neg_hi:[0,0,1]
	v_pk_fma_f32 v[16:17], v[96:97], v[100:101], v[16:17] op_sel:[0,0,1] op_sel_hi:[1,0,0]
	v_fmac_f32_e32 v119, v95, v136
	v_fma_f32 v118, v94, v136, -v3
	ds_read2_b64 v[4:7], v2 offset0:65 offset1:66
	ds_read2_b64 v[8:11], v2 offset0:67 offset1:68
	;; [unrolled: 1-line block ×3, first 2 shown]
	v_pk_add_f32 v[2:3], v[120:121], v[116:117]
	s_waitcnt vmcnt(13)
	v_mov_b32_e32 v16, v103
	v_pk_add_f32 v[2:3], v[2:3], v[118:119]
	v_mov_b32_e32 v19, v17
	v_pk_mul_f32 v[16:17], v[98:99], v[16:17] op_sel_hi:[1,0]
	v_pk_add_f32 v[2:3], v[2:3], v[18:19]
	s_waitcnt vmcnt(6)
	v_pk_fma_f32 v[18:19], v[98:99], v[102:103], v[16:17] op_sel:[0,0,1] op_sel_hi:[1,1,0] neg_lo:[0,0,1] neg_hi:[0,0,1]
	v_pk_fma_f32 v[16:17], v[98:99], v[102:103], v[16:17] op_sel:[0,0,1] op_sel_hi:[1,0,0]
	v_mov_b32_e32 v16, v109
	v_mov_b32_e32 v19, v17
	s_waitcnt lgkmcnt(2)
	v_pk_mul_f32 v[16:17], v[4:5], v[16:17] op_sel_hi:[1,0]
	v_pk_add_f32 v[2:3], v[2:3], v[18:19]
	v_pk_fma_f32 v[18:19], v[4:5], v[108:109], v[16:17] op_sel:[0,0,1] op_sel_hi:[1,1,0] neg_lo:[0,0,1] neg_hi:[0,0,1]
	v_pk_fma_f32 v[4:5], v[4:5], v[108:109], v[16:17] op_sel:[0,0,1] op_sel_hi:[1,0,0]
	v_mov_b32_e32 v4, v107
	v_mov_b32_e32 v19, v5
	v_pk_mul_f32 v[4:5], v[6:7], v[4:5] op_sel_hi:[1,0]
	v_pk_fma_f32 v[16:17], v[6:7], v[106:107], v[4:5] op_sel:[0,0,1] op_sel_hi:[1,1,0] neg_lo:[0,0,1] neg_hi:[0,0,1]
	v_pk_fma_f32 v[4:5], v[6:7], v[106:107], v[4:5] op_sel:[0,0,1] op_sel_hi:[1,0,0]
	v_mov_b32_e32 v4, v105
	v_mov_b32_e32 v17, v5
	s_waitcnt lgkmcnt(1)
	v_pk_mul_f32 v[4:5], v[8:9], v[4:5] op_sel_hi:[1,0]
	v_pk_fma_f32 v[6:7], v[8:9], v[104:105], v[4:5] op_sel:[0,0,1] op_sel_hi:[1,1,0] neg_lo:[0,0,1] neg_hi:[0,0,1]
	v_pk_fma_f32 v[4:5], v[8:9], v[104:105], v[4:5] op_sel:[0,0,1] op_sel_hi:[1,0,0]
	v_pk_add_f32 v[2:3], v[2:3], v[18:19]
	s_waitcnt vmcnt(1)
	v_mov_b32_e32 v4, v115
	v_pk_add_f32 v[2:3], v[2:3], v[16:17]
	v_mov_b32_e32 v7, v5
	v_pk_mul_f32 v[4:5], v[10:11], v[4:5] op_sel_hi:[1,0]
	v_pk_add_f32 v[2:3], v[2:3], v[6:7]
	s_waitcnt vmcnt(0)
	v_pk_fma_f32 v[6:7], v[10:11], v[114:115], v[4:5] op_sel:[0,0,1] op_sel_hi:[1,1,0] neg_lo:[0,0,1] neg_hi:[0,0,1]
	v_pk_fma_f32 v[4:5], v[10:11], v[114:115], v[4:5] op_sel:[0,0,1] op_sel_hi:[1,0,0]
	v_mov_b32_e32 v4, v113
	v_mov_b32_e32 v7, v5
	s_waitcnt lgkmcnt(0)
	v_pk_mul_f32 v[4:5], v[12:13], v[4:5] op_sel_hi:[1,0]
	v_pk_add_f32 v[2:3], v[2:3], v[6:7]
	v_pk_fma_f32 v[6:7], v[12:13], v[112:113], v[4:5] op_sel:[0,0,1] op_sel_hi:[1,1,0] neg_lo:[0,0,1] neg_hi:[0,0,1]
	v_pk_fma_f32 v[4:5], v[12:13], v[112:113], v[4:5] op_sel:[0,0,1] op_sel_hi:[1,0,0]
	v_mov_b32_e32 v4, v111
	v_mov_b32_e32 v7, v5
	v_pk_mul_f32 v[4:5], v[14:15], v[4:5] op_sel_hi:[1,0]
	v_pk_add_f32 v[2:3], v[2:3], v[6:7]
	v_pk_fma_f32 v[6:7], v[14:15], v[110:111], v[4:5] op_sel:[0,0,1] op_sel_hi:[1,1,0] neg_lo:[0,0,1] neg_hi:[0,0,1]
	v_pk_fma_f32 v[4:5], v[14:15], v[110:111], v[4:5] op_sel:[0,0,1] op_sel_hi:[1,0,0]
	v_mov_b32_e32 v7, v5
	v_pk_add_f32 v[2:3], v[2:3], v[6:7]
	v_pk_add_f32 v[2:3], v[20:21], v[2:3] neg_lo:[0,1] neg_hi:[0,1]
	buffer_store_dword v3, off, s[0:3], 0 offset:132
	buffer_store_dword v2, off, s[0:3], 0 offset:128
	s_and_saveexec_b64 s[4:5], vcc
	s_cbranch_execz .LBB34_193
; %bb.192:
	buffer_load_dword v2, off, s[0:3], 0 offset:120
	buffer_load_dword v3, off, s[0:3], 0 offset:124
	v_mov_b32_e32 v4, 0
	buffer_store_dword v4, off, s[0:3], 0 offset:120
	buffer_store_dword v4, off, s[0:3], 0 offset:124
	s_waitcnt vmcnt(2)
	ds_write_b64 v1, v[2:3]
.LBB34_193:
	s_or_b64 exec, exec, s[4:5]
	s_waitcnt lgkmcnt(0)
	; wave barrier
	s_waitcnt lgkmcnt(0)
	buffer_load_dword v3, off, s[0:3], 0 offset:132
	buffer_load_dword v116, off, s[0:3], 0 offset:140
	;; [unrolled: 1-line block ×40, first 2 shown]
	v_mov_b32_e32 v2, 0
	ds_read_b128 v[4:7], v2 offset:416
	ds_read_b128 v[8:11], v2 offset:432
	;; [unrolled: 1-line block ×6, first 2 shown]
	v_cmp_lt_u32_e32 vcc, 14, v0
	s_waitcnt vmcnt(39) lgkmcnt(5)
	v_mul_f32_e32 v139, v4, v3
	s_waitcnt vmcnt(38)
	v_mul_f32_e32 v140, v6, v116
	v_mul_f32_e32 v3, v5, v3
	s_waitcnt vmcnt(37) lgkmcnt(4)
	v_mul_f32_e32 v141, v8, v118
	v_mul_f32_e32 v116, v7, v116
	s_waitcnt vmcnt(36)
	v_mul_f32_e32 v142, v10, v120
	s_waitcnt vmcnt(35) lgkmcnt(3)
	v_mul_f32_e32 v143, v12, v122
	s_waitcnt vmcnt(34)
	v_mul_f32_e32 v144, v14, v123
	s_waitcnt vmcnt(33) lgkmcnt(2)
	;; [unrolled: 4-line block ×3, first 2 shown]
	v_mul_f32_e32 v147, v92, v126
	s_waitcnt vmcnt(28)
	v_fmac_f32_e32 v139, v5, v121
	s_waitcnt vmcnt(27)
	v_fmac_f32_e32 v140, v7, v129
	v_fma_f32 v3, v4, v121, -v3
	v_add_f32_e32 v7, 0, v139
	s_waitcnt vmcnt(26)
	v_fmac_f32_e32 v141, v9, v130
	v_fma_f32 v4, v6, v129, -v116
	v_add_f32_e32 v3, 0, v3
	v_add_f32_e32 v7, v7, v140
	s_waitcnt vmcnt(25)
	v_fmac_f32_e32 v142, v11, v131
	v_add_f32_e32 v3, v3, v4
	v_add_f32_e32 v4, v7, v141
	s_waitcnt vmcnt(24)
	v_fmac_f32_e32 v143, v13, v132
	v_add_f32_e32 v4, v4, v142
	s_waitcnt vmcnt(23)
	v_fmac_f32_e32 v144, v15, v133
	;; [unrolled: 3-line block ×3, first 2 shown]
	v_add_f32_e32 v4, v4, v144
	v_mul_f32_e32 v118, v9, v118
	s_waitcnt vmcnt(21)
	v_fmac_f32_e32 v146, v19, v135
	v_add_f32_e32 v4, v4, v145
	v_mul_f32_e32 v120, v11, v120
	s_waitcnt vmcnt(20)
	v_fmac_f32_e32 v147, v93, v136
	v_fma_f32 v5, v8, v130, -v118
	v_add_f32_e32 v4, v4, v146
	v_fma_f32 v6, v10, v131, -v120
	v_add_f32_e32 v3, v3, v5
	v_add_f32_e32 v121, v4, v147
	v_mul_f32_e32 v4, v13, v122
	v_add_f32_e32 v3, v3, v6
	v_fma_f32 v4, v12, v132, -v4
	v_add_f32_e32 v3, v3, v4
	v_mul_f32_e32 v4, v15, v123
	v_fma_f32 v4, v14, v133, -v4
	v_add_f32_e32 v3, v3, v4
	v_mul_f32_e32 v4, v17, v124
	;; [unrolled: 3-line block ×4, first 2 shown]
	v_fma_f32 v4, v92, v136, -v4
	s_waitcnt vmcnt(9)
	v_mov_b32_e32 v92, v107
	v_mul_f32_e32 v117, v94, v127
	v_add_f32_e32 v120, v3, v4
	v_mul_f32_e32 v3, v95, v127
	s_waitcnt lgkmcnt(0)
	v_pk_mul_f32 v[92:93], v[98:99], v[92:93] op_sel_hi:[1,0]
	v_mul_f32_e32 v119, v96, v128
	v_fmac_f32_e32 v117, v95, v137
	v_fma_f32 v116, v94, v137, -v3
	v_mul_f32_e32 v3, v97, v128
	ds_read_b128 v[4:7], v2 offset:512
	ds_read_b128 v[8:11], v2 offset:528
	;; [unrolled: 1-line block ×3, first 2 shown]
	ds_read_b64 v[16:17], v2 offset:560
	s_waitcnt vmcnt(8)
	v_pk_fma_f32 v[94:95], v[98:99], v[106:107], v[92:93] op_sel:[0,0,1] op_sel_hi:[1,1,0] neg_lo:[0,0,1] neg_hi:[0,0,1]
	v_pk_fma_f32 v[92:93], v[98:99], v[106:107], v[92:93] op_sel:[0,0,1] op_sel_hi:[1,0,0]
	v_fmac_f32_e32 v119, v97, v138
	v_fma_f32 v118, v96, v138, -v3
	v_pk_add_f32 v[18:19], v[120:121], v[116:117]
	v_mov_b32_e32 v92, v105
	v_pk_add_f32 v[18:19], v[18:19], v[118:119]
	v_mov_b32_e32 v95, v93
	s_waitcnt lgkmcnt(3)
	v_pk_mul_f32 v[92:93], v[4:5], v[92:93] op_sel_hi:[1,0]
	v_pk_add_f32 v[18:19], v[18:19], v[94:95]
	v_pk_fma_f32 v[94:95], v[4:5], v[104:105], v[92:93] op_sel:[0,0,1] op_sel_hi:[1,1,0] neg_lo:[0,0,1] neg_hi:[0,0,1]
	v_pk_fma_f32 v[4:5], v[4:5], v[104:105], v[92:93] op_sel:[0,0,1] op_sel_hi:[1,0,0]
	v_mov_b32_e32 v95, v5
	v_pk_add_f32 v[4:5], v[18:19], v[94:95]
	v_mov_b32_e32 v18, v103
	v_pk_mul_f32 v[18:19], v[6:7], v[18:19] op_sel_hi:[1,0]
	v_pk_fma_f32 v[92:93], v[6:7], v[102:103], v[18:19] op_sel:[0,0,1] op_sel_hi:[1,1,0] neg_lo:[0,0,1] neg_hi:[0,0,1]
	v_pk_fma_f32 v[6:7], v[6:7], v[102:103], v[18:19] op_sel:[0,0,1] op_sel_hi:[1,0,0]
	v_mov_b32_e32 v6, v101
	v_mov_b32_e32 v93, v7
	s_waitcnt lgkmcnt(2)
	v_pk_mul_f32 v[6:7], v[8:9], v[6:7] op_sel_hi:[1,0]
	v_pk_fma_f32 v[18:19], v[8:9], v[100:101], v[6:7] op_sel:[0,0,1] op_sel_hi:[1,1,0] neg_lo:[0,0,1] neg_hi:[0,0,1]
	v_pk_fma_f32 v[6:7], v[8:9], v[100:101], v[6:7] op_sel:[0,0,1] op_sel_hi:[1,0,0]
	s_waitcnt vmcnt(1)
	v_mov_b32_e32 v6, v115
	v_mov_b32_e32 v19, v7
	v_pk_mul_f32 v[6:7], v[10:11], v[6:7] op_sel_hi:[1,0]
	s_waitcnt vmcnt(0)
	v_pk_fma_f32 v[8:9], v[10:11], v[114:115], v[6:7] op_sel:[0,0,1] op_sel_hi:[1,1,0] neg_lo:[0,0,1] neg_hi:[0,0,1]
	v_pk_fma_f32 v[6:7], v[10:11], v[114:115], v[6:7] op_sel:[0,0,1] op_sel_hi:[1,0,0]
	v_pk_add_f32 v[4:5], v[4:5], v[92:93]
	v_mov_b32_e32 v6, v113
	v_pk_add_f32 v[4:5], v[4:5], v[18:19]
	v_mov_b32_e32 v9, v7
	s_waitcnt lgkmcnt(1)
	v_pk_mul_f32 v[6:7], v[12:13], v[6:7] op_sel_hi:[1,0]
	v_pk_add_f32 v[4:5], v[4:5], v[8:9]
	v_pk_fma_f32 v[8:9], v[12:13], v[112:113], v[6:7] op_sel:[0,0,1] op_sel_hi:[1,1,0] neg_lo:[0,0,1] neg_hi:[0,0,1]
	v_pk_fma_f32 v[6:7], v[12:13], v[112:113], v[6:7] op_sel:[0,0,1] op_sel_hi:[1,0,0]
	v_mov_b32_e32 v6, v111
	v_mov_b32_e32 v9, v7
	v_pk_mul_f32 v[6:7], v[14:15], v[6:7] op_sel_hi:[1,0]
	v_pk_add_f32 v[4:5], v[4:5], v[8:9]
	v_pk_fma_f32 v[8:9], v[14:15], v[110:111], v[6:7] op_sel:[0,0,1] op_sel_hi:[1,1,0] neg_lo:[0,0,1] neg_hi:[0,0,1]
	v_pk_fma_f32 v[6:7], v[14:15], v[110:111], v[6:7] op_sel:[0,0,1] op_sel_hi:[1,0,0]
	v_mov_b32_e32 v6, v109
	v_mov_b32_e32 v9, v7
	s_waitcnt lgkmcnt(0)
	v_pk_mul_f32 v[6:7], v[16:17], v[6:7] op_sel_hi:[1,0]
	v_pk_add_f32 v[4:5], v[4:5], v[8:9]
	v_pk_fma_f32 v[8:9], v[16:17], v[108:109], v[6:7] op_sel:[0,0,1] op_sel_hi:[1,1,0] neg_lo:[0,0,1] neg_hi:[0,0,1]
	v_pk_fma_f32 v[6:7], v[16:17], v[108:109], v[6:7] op_sel:[0,0,1] op_sel_hi:[1,0,0]
	v_mov_b32_e32 v9, v7
	v_pk_add_f32 v[4:5], v[4:5], v[8:9]
	v_pk_add_f32 v[4:5], v[20:21], v[4:5] neg_lo:[0,1] neg_hi:[0,1]
	buffer_store_dword v5, off, s[0:3], 0 offset:124
	buffer_store_dword v4, off, s[0:3], 0 offset:120
	s_and_saveexec_b64 s[4:5], vcc
	s_cbranch_execz .LBB34_195
; %bb.194:
	buffer_load_dword v4, off, s[0:3], 0 offset:112
	buffer_load_dword v5, off, s[0:3], 0 offset:116
	s_waitcnt vmcnt(0)
	ds_write_b64 v1, v[4:5]
	buffer_store_dword v2, off, s[0:3], 0 offset:112
	buffer_store_dword v2, off, s[0:3], 0 offset:116
.LBB34_195:
	s_or_b64 exec, exec, s[4:5]
	s_waitcnt lgkmcnt(0)
	; wave barrier
	s_waitcnt lgkmcnt(0)
	buffer_load_dword v3, off, s[0:3], 0 offset:124
	buffer_load_dword v116, off, s[0:3], 0 offset:132
	;; [unrolled: 1-line block ×26, first 2 shown]
	ds_read2_b64 v[4:7], v2 offset0:51 offset1:52
	ds_read2_b64 v[8:11], v2 offset0:53 offset1:54
	;; [unrolled: 1-line block ×6, first 2 shown]
	buffer_load_dword v101, off, s[0:3], 0 offset:236
	buffer_load_dword v100, off, s[0:3], 0 offset:232
	;; [unrolled: 1-line block ×16, first 2 shown]
	v_cmp_lt_u32_e32 vcc, 13, v0
	s_waitcnt vmcnt(41) lgkmcnt(5)
	v_mul_f32_e32 v141, v4, v3
	s_waitcnt vmcnt(40)
	v_mul_f32_e32 v142, v6, v116
	v_mul_f32_e32 v3, v5, v3
	;; [unrolled: 1-line block ×3, first 2 shown]
	s_waitcnt vmcnt(39) lgkmcnt(4)
	v_mul_f32_e32 v143, v8, v118
	s_waitcnt vmcnt(38)
	v_mul_f32_e32 v144, v10, v120
	s_waitcnt vmcnt(37) lgkmcnt(3)
	v_mul_f32_e32 v145, v12, v122
	s_waitcnt vmcnt(36)
	v_mul_f32_e32 v146, v14, v123
	;; [unrolled: 4-line block ×4, first 2 shown]
	s_waitcnt vmcnt(29)
	v_fmac_f32_e32 v141, v5, v121
	s_waitcnt vmcnt(28)
	v_fmac_f32_e32 v142, v7, v130
	v_fma_f32 v3, v4, v121, -v3
	v_fma_f32 v4, v6, v130, -v116
	v_add_f32_e32 v6, 0, v141
	s_waitcnt vmcnt(27)
	v_fmac_f32_e32 v143, v9, v131
	v_add_f32_e32 v3, 0, v3
	v_add_f32_e32 v6, v6, v142
	s_waitcnt vmcnt(26)
	v_fmac_f32_e32 v144, v11, v132
	v_add_f32_e32 v3, v3, v4
	;; [unrolled: 4-line block ×3, first 2 shown]
	s_waitcnt vmcnt(24)
	v_fmac_f32_e32 v146, v15, v134
	v_add_f32_e32 v4, v4, v145
	s_waitcnt vmcnt(23)
	v_fmac_f32_e32 v147, v17, v135
	v_add_f32_e32 v4, v4, v146
	s_waitcnt vmcnt(22)
	v_fmac_f32_e32 v148, v19, v136
	v_add_f32_e32 v4, v4, v147
	s_waitcnt vmcnt(21)
	v_fmac_f32_e32 v149, v93, v137
	v_add_f32_e32 v4, v4, v148
	v_mul_f32_e32 v118, v9, v118
	s_waitcnt vmcnt(20)
	v_fmac_f32_e32 v150, v95, v138
	v_add_f32_e32 v4, v4, v149
	v_fma_f32 v5, v8, v131, -v118
	v_add_f32_e32 v121, v4, v150
	v_mul_f32_e32 v4, v11, v120
	v_add_f32_e32 v3, v3, v5
	v_fma_f32 v4, v10, v132, -v4
	v_add_f32_e32 v3, v3, v4
	v_mul_f32_e32 v4, v13, v122
	v_fma_f32 v4, v12, v133, -v4
	v_add_f32_e32 v3, v3, v4
	v_mul_f32_e32 v4, v15, v123
	;; [unrolled: 3-line block ×6, first 2 shown]
	v_fma_f32 v4, v94, v138, -v4
	v_add_f32_e32 v120, v3, v4
	ds_read2_b64 v[4:7], v2 offset0:63 offset1:64
	ds_read2_b64 v[8:11], v2 offset0:65 offset1:66
	;; [unrolled: 1-line block ×4, first 2 shown]
	s_waitcnt vmcnt(11)
	v_mov_b32_e32 v92, v105
	s_waitcnt lgkmcnt(3)
	v_pk_mul_f32 v[92:93], v[4:5], v[92:93] op_sel_hi:[1,0]
	s_waitcnt vmcnt(10)
	v_pk_fma_f32 v[94:95], v[4:5], v[104:105], v[92:93] op_sel:[0,0,1] op_sel_hi:[1,1,0] neg_lo:[0,0,1] neg_hi:[0,0,1]
	v_pk_fma_f32 v[4:5], v[4:5], v[104:105], v[92:93] op_sel:[0,0,1] op_sel_hi:[1,0,0]
	v_mov_b32_e32 v4, v103
	v_mov_b32_e32 v95, v5
	v_pk_mul_f32 v[4:5], v[6:7], v[4:5] op_sel_hi:[1,0]
	v_mul_f32_e32 v117, v96, v128
	v_mul_f32_e32 v3, v97, v128
	v_pk_fma_f32 v[92:93], v[6:7], v[102:103], v[4:5] op_sel:[0,0,1] op_sel_hi:[1,1,0] neg_lo:[0,0,1] neg_hi:[0,0,1]
	v_pk_fma_f32 v[4:5], v[6:7], v[102:103], v[4:5] op_sel:[0,0,1] op_sel_hi:[1,0,0]
	v_mul_f32_e32 v119, v98, v129
	v_fmac_f32_e32 v117, v97, v139
	v_fma_f32 v116, v96, v139, -v3
	v_mul_f32_e32 v3, v99, v129
	v_mov_b32_e32 v4, v101
	v_fmac_f32_e32 v119, v99, v140
	v_fma_f32 v118, v98, v140, -v3
	v_pk_add_f32 v[2:3], v[120:121], v[116:117]
	v_mov_b32_e32 v93, v5
	s_waitcnt lgkmcnt(2)
	v_pk_mul_f32 v[4:5], v[8:9], v[4:5] op_sel_hi:[1,0]
	v_pk_add_f32 v[2:3], v[2:3], v[118:119]
	v_pk_fma_f32 v[6:7], v[8:9], v[100:101], v[4:5] op_sel:[0,0,1] op_sel_hi:[1,1,0] neg_lo:[0,0,1] neg_hi:[0,0,1]
	v_pk_fma_f32 v[4:5], v[8:9], v[100:101], v[4:5] op_sel:[0,0,1] op_sel_hi:[1,0,0]
	v_pk_add_f32 v[2:3], v[2:3], v[94:95]
	s_waitcnt vmcnt(3)
	v_mov_b32_e32 v4, v113
	v_pk_add_f32 v[2:3], v[2:3], v[92:93]
	v_mov_b32_e32 v7, v5
	v_pk_mul_f32 v[4:5], v[10:11], v[4:5] op_sel_hi:[1,0]
	v_pk_add_f32 v[2:3], v[2:3], v[6:7]
	s_waitcnt vmcnt(2)
	v_pk_fma_f32 v[6:7], v[10:11], v[112:113], v[4:5] op_sel:[0,0,1] op_sel_hi:[1,1,0] neg_lo:[0,0,1] neg_hi:[0,0,1]
	v_pk_fma_f32 v[4:5], v[10:11], v[112:113], v[4:5] op_sel:[0,0,1] op_sel_hi:[1,0,0]
	v_mov_b32_e32 v4, v111
	v_mov_b32_e32 v7, v5
	s_waitcnt lgkmcnt(1)
	v_pk_mul_f32 v[4:5], v[12:13], v[4:5] op_sel_hi:[1,0]
	v_pk_add_f32 v[2:3], v[2:3], v[6:7]
	v_pk_fma_f32 v[6:7], v[12:13], v[110:111], v[4:5] op_sel:[0,0,1] op_sel_hi:[1,1,0] neg_lo:[0,0,1] neg_hi:[0,0,1]
	v_pk_fma_f32 v[4:5], v[12:13], v[110:111], v[4:5] op_sel:[0,0,1] op_sel_hi:[1,0,0]
	v_mov_b32_e32 v4, v109
	v_mov_b32_e32 v7, v5
	v_pk_mul_f32 v[4:5], v[14:15], v[4:5] op_sel_hi:[1,0]
	v_pk_add_f32 v[2:3], v[2:3], v[6:7]
	v_pk_fma_f32 v[6:7], v[14:15], v[108:109], v[4:5] op_sel:[0,0,1] op_sel_hi:[1,1,0] neg_lo:[0,0,1] neg_hi:[0,0,1]
	v_pk_fma_f32 v[4:5], v[14:15], v[108:109], v[4:5] op_sel:[0,0,1] op_sel_hi:[1,0,0]
	v_mov_b32_e32 v4, v107
	v_mov_b32_e32 v7, v5
	s_waitcnt lgkmcnt(0)
	v_pk_mul_f32 v[4:5], v[16:17], v[4:5] op_sel_hi:[1,0]
	v_pk_add_f32 v[2:3], v[2:3], v[6:7]
	v_pk_fma_f32 v[6:7], v[16:17], v[106:107], v[4:5] op_sel:[0,0,1] op_sel_hi:[1,1,0] neg_lo:[0,0,1] neg_hi:[0,0,1]
	v_pk_fma_f32 v[4:5], v[16:17], v[106:107], v[4:5] op_sel:[0,0,1] op_sel_hi:[1,0,0]
	s_waitcnt vmcnt(1)
	v_mov_b32_e32 v4, v115
	v_mov_b32_e32 v7, v5
	v_pk_mul_f32 v[4:5], v[18:19], v[4:5] op_sel_hi:[1,0]
	v_pk_add_f32 v[2:3], v[2:3], v[6:7]
	s_waitcnt vmcnt(0)
	v_pk_fma_f32 v[6:7], v[18:19], v[114:115], v[4:5] op_sel:[0,0,1] op_sel_hi:[1,1,0] neg_lo:[0,0,1] neg_hi:[0,0,1]
	v_pk_fma_f32 v[4:5], v[18:19], v[114:115], v[4:5] op_sel:[0,0,1] op_sel_hi:[1,0,0]
	v_mov_b32_e32 v7, v5
	v_pk_add_f32 v[2:3], v[2:3], v[6:7]
	v_pk_add_f32 v[2:3], v[20:21], v[2:3] neg_lo:[0,1] neg_hi:[0,1]
	buffer_store_dword v3, off, s[0:3], 0 offset:116
	buffer_store_dword v2, off, s[0:3], 0 offset:112
	s_and_saveexec_b64 s[4:5], vcc
	s_cbranch_execz .LBB34_197
; %bb.196:
	buffer_load_dword v2, off, s[0:3], 0 offset:104
	buffer_load_dword v3, off, s[0:3], 0 offset:108
	v_mov_b32_e32 v4, 0
	buffer_store_dword v4, off, s[0:3], 0 offset:104
	buffer_store_dword v4, off, s[0:3], 0 offset:108
	s_waitcnt vmcnt(2)
	ds_write_b64 v1, v[2:3]
.LBB34_197:
	s_or_b64 exec, exec, s[4:5]
	s_waitcnt lgkmcnt(0)
	; wave barrier
	s_waitcnt lgkmcnt(0)
	buffer_load_dword v3, off, s[0:3], 0 offset:116
	buffer_load_dword v124, off, s[0:3], 0 offset:124
	buffer_load_dword v126, off, s[0:3], 0 offset:132
	buffer_load_dword v128, off, s[0:3], 0 offset:140
	buffer_load_dword v130, off, s[0:3], 0 offset:148
	buffer_load_dword v131, off, s[0:3], 0 offset:156
	buffer_load_dword v132, off, s[0:3], 0 offset:164
	buffer_load_dword v133, off, s[0:3], 0 offset:172
	buffer_load_dword v134, off, s[0:3], 0 offset:180
	buffer_load_dword v135, off, s[0:3], 0 offset:188
	buffer_load_dword v136, off, s[0:3], 0 offset:196
	buffer_load_dword v137, off, s[0:3], 0 offset:204
	buffer_load_dword v138, off, s[0:3], 0 offset:212
	buffer_load_dword v139, off, s[0:3], 0 offset:112
	buffer_load_dword v140, off, s[0:3], 0 offset:120
	buffer_load_dword v141, off, s[0:3], 0 offset:128
	buffer_load_dword v142, off, s[0:3], 0 offset:136
	buffer_load_dword v143, off, s[0:3], 0 offset:144
	buffer_load_dword v144, off, s[0:3], 0 offset:152
	buffer_load_dword v145, off, s[0:3], 0 offset:160
	buffer_load_dword v146, off, s[0:3], 0 offset:168
	buffer_load_dword v147, off, s[0:3], 0 offset:176
	buffer_load_dword v148, off, s[0:3], 0 offset:184
	buffer_load_dword v149, off, s[0:3], 0 offset:192
	buffer_load_dword v150, off, s[0:3], 0 offset:200
	buffer_load_dword v151, off, s[0:3], 0 offset:208
	buffer_load_dword v20, off, s[0:3], 0 offset:104
	buffer_load_dword v21, off, s[0:3], 0 offset:108
	buffer_load_dword v109, off, s[0:3], 0 offset:228
	buffer_load_dword v108, off, s[0:3], 0 offset:224
	buffer_load_dword v111, off, s[0:3], 0 offset:220
	buffer_load_dword v110, off, s[0:3], 0 offset:216
	buffer_load_dword v113, off, s[0:3], 0 offset:260
	buffer_load_dword v112, off, s[0:3], 0 offset:256
	buffer_load_dword v115, off, s[0:3], 0 offset:252
	buffer_load_dword v114, off, s[0:3], 0 offset:248
	buffer_load_dword v117, off, s[0:3], 0 offset:244
	buffer_load_dword v116, off, s[0:3], 0 offset:240
	buffer_load_dword v119, off, s[0:3], 0 offset:236
	buffer_load_dword v118, off, s[0:3], 0 offset:232
	buffer_load_dword v121, off, s[0:3], 0 offset:276
	buffer_load_dword v120, off, s[0:3], 0 offset:272
	buffer_load_dword v123, off, s[0:3], 0 offset:268
	buffer_load_dword v122, off, s[0:3], 0 offset:264
	v_mov_b32_e32 v2, 0
	ds_read_b128 v[4:7], v2 offset:400
	ds_read_b128 v[8:11], v2 offset:416
	;; [unrolled: 1-line block ×8, first 2 shown]
	v_cmp_lt_u32_e32 vcc, 12, v0
	s_waitcnt vmcnt(43) lgkmcnt(7)
	v_mul_f32_e32 v129, v4, v3
	v_mul_f32_e32 v3, v5, v3
	s_waitcnt vmcnt(42)
	v_mul_f32_e32 v152, v6, v124
	s_waitcnt vmcnt(41) lgkmcnt(6)
	v_mul_f32_e32 v153, v8, v126
	s_waitcnt vmcnt(40)
	v_mul_f32_e32 v154, v10, v128
	s_waitcnt vmcnt(39) lgkmcnt(5)
	;; [unrolled: 4-line block ×5, first 2 shown]
	v_mul_f32_e32 v161, v96, v136
	s_waitcnt vmcnt(32)
	v_mul_f32_e32 v125, v98, v137
	s_waitcnt vmcnt(30)
	v_fma_f32 v3, v4, v139, -v3
	v_mul_f32_e32 v4, v7, v124
	v_add_f32_e32 v3, 0, v3
	s_waitcnt vmcnt(29)
	v_fma_f32 v4, v6, v140, -v4
	v_add_f32_e32 v3, v3, v4
	v_mul_f32_e32 v4, v9, v126
	s_waitcnt vmcnt(28)
	v_fma_f32 v4, v8, v141, -v4
	v_add_f32_e32 v3, v3, v4
	v_mul_f32_e32 v4, v11, v128
	;; [unrolled: 4-line block ×4, first 2 shown]
	s_waitcnt vmcnt(25)
	v_fma_f32 v4, v14, v144, -v4
	v_fmac_f32_e32 v129, v5, v139
	v_add_f32_e32 v3, v3, v4
	v_mul_f32_e32 v4, v17, v132
	v_fmac_f32_e32 v152, v7, v140
	v_add_f32_e32 v5, 0, v129
	s_waitcnt vmcnt(24)
	v_fma_f32 v4, v16, v145, -v4
	v_fmac_f32_e32 v153, v9, v141
	v_add_f32_e32 v5, v5, v152
	v_add_f32_e32 v3, v3, v4
	v_mul_f32_e32 v4, v19, v133
	v_fmac_f32_e32 v154, v11, v142
	v_add_f32_e32 v5, v5, v153
	s_waitcnt vmcnt(23)
	v_fma_f32 v4, v18, v146, -v4
	v_fmac_f32_e32 v155, v13, v143
	v_add_f32_e32 v5, v5, v154
	;; [unrolled: 8-line block ×4, first 2 shown]
	v_add_f32_e32 v3, v3, v4
	v_mul_f32_e32 v4, v97, v136
	v_fmac_f32_e32 v160, v95, v148
	v_add_f32_e32 v5, v5, v159
	s_waitcnt vmcnt(20)
	v_fma_f32 v4, v96, v149, -v4
	s_waitcnt vmcnt(13)
	v_mov_b32_e32 v16, v111
	v_fmac_f32_e32 v161, v97, v149
	v_add_f32_e32 v5, v5, v160
	v_add_f32_e32 v128, v3, v4
	v_mul_f32_e32 v3, v99, v137
	s_waitcnt lgkmcnt(1)
	v_pk_mul_f32 v[16:17], v[102:103], v[16:17] op_sel_hi:[1,0]
	v_mul_f32_e32 v127, v100, v138
	v_fmac_f32_e32 v125, v99, v150
	v_add_f32_e32 v129, v5, v161
	v_fma_f32 v124, v98, v150, -v3
	v_mul_f32_e32 v3, v101, v138
	s_waitcnt vmcnt(12)
	v_pk_fma_f32 v[18:19], v[102:103], v[110:111], v[16:17] op_sel:[0,0,1] op_sel_hi:[1,1,0] neg_lo:[0,0,1] neg_hi:[0,0,1]
	v_pk_fma_f32 v[16:17], v[102:103], v[110:111], v[16:17] op_sel:[0,0,1] op_sel_hi:[1,0,0]
	v_fmac_f32_e32 v127, v101, v151
	v_fma_f32 v126, v100, v151, -v3
	v_pk_add_f32 v[14:15], v[128:129], v[124:125]
	v_mov_b32_e32 v16, v109
	v_pk_add_f32 v[14:15], v[14:15], v[126:127]
	v_mov_b32_e32 v19, v17
	s_waitcnt lgkmcnt(0)
	v_pk_mul_f32 v[16:17], v[104:105], v[16:17] op_sel_hi:[1,0]
	v_pk_add_f32 v[14:15], v[14:15], v[18:19]
	v_pk_fma_f32 v[18:19], v[104:105], v[108:109], v[16:17] op_sel:[0,0,1] op_sel_hi:[1,1,0] neg_lo:[0,0,1] neg_hi:[0,0,1]
	v_pk_fma_f32 v[16:17], v[104:105], v[108:109], v[16:17] op_sel:[0,0,1] op_sel_hi:[1,0,0]
	s_waitcnt vmcnt(5)
	v_mov_b32_e32 v16, v119
	ds_read_b128 v[4:7], v2 offset:528
	ds_read_b128 v[8:11], v2 offset:544
	ds_read_b64 v[12:13], v2 offset:560
	v_mov_b32_e32 v19, v17
	v_pk_mul_f32 v[16:17], v[106:107], v[16:17] op_sel_hi:[1,0]
	v_pk_add_f32 v[14:15], v[14:15], v[18:19]
	s_waitcnt vmcnt(4)
	v_pk_fma_f32 v[18:19], v[106:107], v[118:119], v[16:17] op_sel:[0,0,1] op_sel_hi:[1,1,0] neg_lo:[0,0,1] neg_hi:[0,0,1]
	v_pk_fma_f32 v[16:17], v[106:107], v[118:119], v[16:17] op_sel:[0,0,1] op_sel_hi:[1,0,0]
	v_mov_b32_e32 v16, v117
	v_mov_b32_e32 v19, v17
	s_waitcnt lgkmcnt(2)
	v_pk_mul_f32 v[16:17], v[4:5], v[16:17] op_sel_hi:[1,0]
	v_pk_add_f32 v[14:15], v[14:15], v[18:19]
	v_pk_fma_f32 v[18:19], v[4:5], v[116:117], v[16:17] op_sel:[0,0,1] op_sel_hi:[1,1,0] neg_lo:[0,0,1] neg_hi:[0,0,1]
	v_pk_fma_f32 v[4:5], v[4:5], v[116:117], v[16:17] op_sel:[0,0,1] op_sel_hi:[1,0,0]
	v_mov_b32_e32 v19, v5
	v_pk_add_f32 v[4:5], v[14:15], v[18:19]
	v_mov_b32_e32 v14, v115
	v_pk_mul_f32 v[14:15], v[6:7], v[14:15] op_sel_hi:[1,0]
	v_pk_fma_f32 v[16:17], v[6:7], v[114:115], v[14:15] op_sel:[0,0,1] op_sel_hi:[1,1,0] neg_lo:[0,0,1] neg_hi:[0,0,1]
	v_pk_fma_f32 v[6:7], v[6:7], v[114:115], v[14:15] op_sel:[0,0,1] op_sel_hi:[1,0,0]
	v_mov_b32_e32 v6, v113
	v_mov_b32_e32 v17, v7
	s_waitcnt lgkmcnt(1)
	v_pk_mul_f32 v[6:7], v[8:9], v[6:7] op_sel_hi:[1,0]
	v_pk_fma_f32 v[14:15], v[8:9], v[112:113], v[6:7] op_sel:[0,0,1] op_sel_hi:[1,1,0] neg_lo:[0,0,1] neg_hi:[0,0,1]
	v_pk_fma_f32 v[6:7], v[8:9], v[112:113], v[6:7] op_sel:[0,0,1] op_sel_hi:[1,0,0]
	s_waitcnt vmcnt(1)
	v_mov_b32_e32 v6, v123
	v_mov_b32_e32 v15, v7
	v_pk_mul_f32 v[6:7], v[10:11], v[6:7] op_sel_hi:[1,0]
	s_waitcnt vmcnt(0)
	v_pk_fma_f32 v[8:9], v[10:11], v[122:123], v[6:7] op_sel:[0,0,1] op_sel_hi:[1,1,0] neg_lo:[0,0,1] neg_hi:[0,0,1]
	v_pk_fma_f32 v[6:7], v[10:11], v[122:123], v[6:7] op_sel:[0,0,1] op_sel_hi:[1,0,0]
	v_pk_add_f32 v[4:5], v[4:5], v[16:17]
	v_mov_b32_e32 v6, v121
	v_pk_add_f32 v[4:5], v[4:5], v[14:15]
	v_mov_b32_e32 v9, v7
	s_waitcnt lgkmcnt(0)
	v_pk_mul_f32 v[6:7], v[12:13], v[6:7] op_sel_hi:[1,0]
	v_pk_add_f32 v[4:5], v[4:5], v[8:9]
	v_pk_fma_f32 v[8:9], v[12:13], v[120:121], v[6:7] op_sel:[0,0,1] op_sel_hi:[1,1,0] neg_lo:[0,0,1] neg_hi:[0,0,1]
	v_pk_fma_f32 v[6:7], v[12:13], v[120:121], v[6:7] op_sel:[0,0,1] op_sel_hi:[1,0,0]
	v_mov_b32_e32 v9, v7
	v_pk_add_f32 v[4:5], v[4:5], v[8:9]
	v_pk_add_f32 v[4:5], v[20:21], v[4:5] neg_lo:[0,1] neg_hi:[0,1]
	buffer_store_dword v5, off, s[0:3], 0 offset:108
	buffer_store_dword v4, off, s[0:3], 0 offset:104
	s_and_saveexec_b64 s[4:5], vcc
	s_cbranch_execz .LBB34_199
; %bb.198:
	buffer_load_dword v4, off, s[0:3], 0 offset:96
	buffer_load_dword v5, off, s[0:3], 0 offset:100
	s_waitcnt vmcnt(0)
	ds_write_b64 v1, v[4:5]
	buffer_store_dword v2, off, s[0:3], 0 offset:96
	buffer_store_dword v2, off, s[0:3], 0 offset:100
.LBB34_199:
	s_or_b64 exec, exec, s[4:5]
	s_waitcnt lgkmcnt(0)
	; wave barrier
	s_waitcnt lgkmcnt(0)
	buffer_load_dword v3, off, s[0:3], 0 offset:108
	buffer_load_dword v124, off, s[0:3], 0 offset:116
	;; [unrolled: 1-line block ×30, first 2 shown]
	ds_read2_b64 v[4:7], v2 offset0:49 offset1:50
	ds_read2_b64 v[8:11], v2 offset0:51 offset1:52
	;; [unrolled: 1-line block ×6, first 2 shown]
	buffer_load_dword v109, off, s[0:3], 0 offset:220
	buffer_load_dword v108, off, s[0:3], 0 offset:216
	ds_read2_b64 v[100:103], v2 offset0:61 offset1:62
	ds_read2_b64 v[104:107], v2 offset0:63 offset1:64
	buffer_load_dword v111, off, s[0:3], 0 offset:252
	buffer_load_dword v110, off, s[0:3], 0 offset:248
	;; [unrolled: 1-line block ×14, first 2 shown]
	v_cmp_lt_u32_e32 vcc, 11, v0
	s_waitcnt vmcnt(45) lgkmcnt(7)
	v_mul_f32_e32 v127, v4, v3
	v_mul_f32_e32 v3, v5, v3
	s_waitcnt vmcnt(44)
	v_mul_f32_e32 v129, v6, v124
	s_waitcnt vmcnt(43) lgkmcnt(6)
	v_mul_f32_e32 v154, v8, v126
	s_waitcnt vmcnt(42)
	v_mul_f32_e32 v155, v10, v128
	s_waitcnt vmcnt(41) lgkmcnt(5)
	;; [unrolled: 4-line block ×5, first 2 shown]
	v_mul_f32_e32 v162, v96, v136
	s_waitcnt vmcnt(34)
	v_mul_f32_e32 v163, v98, v137
	s_waitcnt vmcnt(32)
	v_fma_f32 v3, v4, v139, -v3
	v_mul_f32_e32 v4, v7, v124
	v_add_f32_e32 v3, 0, v3
	s_waitcnt vmcnt(31)
	v_fma_f32 v4, v6, v140, -v4
	v_add_f32_e32 v3, v3, v4
	v_mul_f32_e32 v4, v9, v126
	s_waitcnt vmcnt(30)
	v_fma_f32 v4, v8, v141, -v4
	v_add_f32_e32 v3, v3, v4
	v_mul_f32_e32 v4, v11, v128
	;; [unrolled: 4-line block ×5, first 2 shown]
	v_fmac_f32_e32 v127, v5, v139
	s_waitcnt vmcnt(26)
	v_fma_f32 v4, v16, v145, -v4
	v_fmac_f32_e32 v129, v7, v140
	v_add_f32_e32 v127, 0, v127
	v_add_f32_e32 v3, v3, v4
	v_mul_f32_e32 v4, v19, v133
	v_fmac_f32_e32 v154, v9, v141
	v_add_f32_e32 v127, v127, v129
	s_waitcnt vmcnt(25)
	v_fma_f32 v4, v18, v146, -v4
	v_fmac_f32_e32 v155, v11, v142
	v_add_f32_e32 v127, v127, v154
	v_add_f32_e32 v3, v3, v4
	v_mul_f32_e32 v4, v93, v134
	v_fmac_f32_e32 v156, v13, v143
	v_add_f32_e32 v127, v127, v155
	;; [unrolled: 8-line block ×5, first 2 shown]
	s_waitcnt vmcnt(21)
	v_fma_f32 v4, v98, v150, -v4
	s_waitcnt vmcnt(15)
	v_mov_b32_e32 v16, v109
	s_waitcnt lgkmcnt(1)
	v_mul_f32_e32 v125, v100, v138
	v_fmac_f32_e32 v163, v99, v150
	v_add_f32_e32 v127, v127, v162
	v_add_f32_e32 v126, v3, v4
	v_mul_f32_e32 v3, v101, v138
	s_waitcnt lgkmcnt(0)
	v_pk_mul_f32 v[16:17], v[104:105], v[16:17] op_sel_hi:[1,0]
	v_fmac_f32_e32 v125, v101, v151
	v_add_f32_e32 v127, v127, v163
	v_mul_f32_e32 v129, v102, v152
	v_fma_f32 v124, v100, v151, -v3
	v_mul_f32_e32 v3, v103, v152
	s_waitcnt vmcnt(14)
	v_pk_fma_f32 v[18:19], v[104:105], v[108:109], v[16:17] op_sel:[0,0,1] op_sel_hi:[1,1,0] neg_lo:[0,0,1] neg_hi:[0,0,1]
	v_pk_fma_f32 v[16:17], v[104:105], v[108:109], v[16:17] op_sel:[0,0,1] op_sel_hi:[1,0,0]
	v_fmac_f32_e32 v129, v103, v153
	v_fma_f32 v128, v102, v153, -v3
	ds_read2_b64 v[4:7], v2 offset0:65 offset1:66
	ds_read2_b64 v[8:11], v2 offset0:67 offset1:68
	;; [unrolled: 1-line block ×3, first 2 shown]
	v_pk_add_f32 v[2:3], v[126:127], v[124:125]
	s_waitcnt vmcnt(7)
	v_mov_b32_e32 v16, v117
	v_pk_add_f32 v[2:3], v[2:3], v[128:129]
	v_mov_b32_e32 v19, v17
	v_pk_mul_f32 v[16:17], v[106:107], v[16:17] op_sel_hi:[1,0]
	v_pk_add_f32 v[2:3], v[2:3], v[18:19]
	s_waitcnt vmcnt(6)
	v_pk_fma_f32 v[18:19], v[106:107], v[116:117], v[16:17] op_sel:[0,0,1] op_sel_hi:[1,1,0] neg_lo:[0,0,1] neg_hi:[0,0,1]
	v_pk_fma_f32 v[16:17], v[106:107], v[116:117], v[16:17] op_sel:[0,0,1] op_sel_hi:[1,0,0]
	v_mov_b32_e32 v16, v115
	v_mov_b32_e32 v19, v17
	s_waitcnt lgkmcnt(2)
	v_pk_mul_f32 v[16:17], v[4:5], v[16:17] op_sel_hi:[1,0]
	v_pk_add_f32 v[2:3], v[2:3], v[18:19]
	v_pk_fma_f32 v[18:19], v[4:5], v[114:115], v[16:17] op_sel:[0,0,1] op_sel_hi:[1,1,0] neg_lo:[0,0,1] neg_hi:[0,0,1]
	v_pk_fma_f32 v[4:5], v[4:5], v[114:115], v[16:17] op_sel:[0,0,1] op_sel_hi:[1,0,0]
	v_mov_b32_e32 v4, v113
	v_mov_b32_e32 v19, v5
	v_pk_mul_f32 v[4:5], v[6:7], v[4:5] op_sel_hi:[1,0]
	v_pk_fma_f32 v[16:17], v[6:7], v[112:113], v[4:5] op_sel:[0,0,1] op_sel_hi:[1,1,0] neg_lo:[0,0,1] neg_hi:[0,0,1]
	v_pk_fma_f32 v[4:5], v[6:7], v[112:113], v[4:5] op_sel:[0,0,1] op_sel_hi:[1,0,0]
	v_mov_b32_e32 v4, v111
	v_mov_b32_e32 v17, v5
	s_waitcnt lgkmcnt(1)
	v_pk_mul_f32 v[4:5], v[8:9], v[4:5] op_sel_hi:[1,0]
	v_pk_fma_f32 v[6:7], v[8:9], v[110:111], v[4:5] op_sel:[0,0,1] op_sel_hi:[1,1,0] neg_lo:[0,0,1] neg_hi:[0,0,1]
	v_pk_fma_f32 v[4:5], v[8:9], v[110:111], v[4:5] op_sel:[0,0,1] op_sel_hi:[1,0,0]
	v_pk_add_f32 v[2:3], v[2:3], v[18:19]
	s_waitcnt vmcnt(1)
	v_mov_b32_e32 v4, v123
	v_pk_add_f32 v[2:3], v[2:3], v[16:17]
	v_mov_b32_e32 v7, v5
	v_pk_mul_f32 v[4:5], v[10:11], v[4:5] op_sel_hi:[1,0]
	v_pk_add_f32 v[2:3], v[2:3], v[6:7]
	s_waitcnt vmcnt(0)
	v_pk_fma_f32 v[6:7], v[10:11], v[122:123], v[4:5] op_sel:[0,0,1] op_sel_hi:[1,1,0] neg_lo:[0,0,1] neg_hi:[0,0,1]
	v_pk_fma_f32 v[4:5], v[10:11], v[122:123], v[4:5] op_sel:[0,0,1] op_sel_hi:[1,0,0]
	v_mov_b32_e32 v4, v121
	v_mov_b32_e32 v7, v5
	s_waitcnt lgkmcnt(0)
	v_pk_mul_f32 v[4:5], v[12:13], v[4:5] op_sel_hi:[1,0]
	v_pk_add_f32 v[2:3], v[2:3], v[6:7]
	v_pk_fma_f32 v[6:7], v[12:13], v[120:121], v[4:5] op_sel:[0,0,1] op_sel_hi:[1,1,0] neg_lo:[0,0,1] neg_hi:[0,0,1]
	v_pk_fma_f32 v[4:5], v[12:13], v[120:121], v[4:5] op_sel:[0,0,1] op_sel_hi:[1,0,0]
	v_mov_b32_e32 v4, v119
	v_mov_b32_e32 v7, v5
	v_pk_mul_f32 v[4:5], v[14:15], v[4:5] op_sel_hi:[1,0]
	v_pk_add_f32 v[2:3], v[2:3], v[6:7]
	v_pk_fma_f32 v[6:7], v[14:15], v[118:119], v[4:5] op_sel:[0,0,1] op_sel_hi:[1,1,0] neg_lo:[0,0,1] neg_hi:[0,0,1]
	v_pk_fma_f32 v[4:5], v[14:15], v[118:119], v[4:5] op_sel:[0,0,1] op_sel_hi:[1,0,0]
	v_mov_b32_e32 v7, v5
	v_pk_add_f32 v[2:3], v[2:3], v[6:7]
	v_pk_add_f32 v[2:3], v[20:21], v[2:3] neg_lo:[0,1] neg_hi:[0,1]
	buffer_store_dword v3, off, s[0:3], 0 offset:100
	buffer_store_dword v2, off, s[0:3], 0 offset:96
	s_and_saveexec_b64 s[4:5], vcc
	s_cbranch_execz .LBB34_201
; %bb.200:
	buffer_load_dword v2, off, s[0:3], 0 offset:88
	buffer_load_dword v3, off, s[0:3], 0 offset:92
	v_mov_b32_e32 v4, 0
	buffer_store_dword v4, off, s[0:3], 0 offset:88
	buffer_store_dword v4, off, s[0:3], 0 offset:92
	s_waitcnt vmcnt(2)
	ds_write_b64 v1, v[2:3]
.LBB34_201:
	s_or_b64 exec, exec, s[4:5]
	s_waitcnt lgkmcnt(0)
	; wave barrier
	s_waitcnt lgkmcnt(0)
	buffer_load_dword v3, off, s[0:3], 0 offset:100
	buffer_load_dword v122, off, s[0:3], 0 offset:108
	;; [unrolled: 1-line block ×32, first 2 shown]
	v_mov_b32_e32 v2, 0
	buffer_load_dword v109, off, s[0:3], 0 offset:244
	buffer_load_dword v108, off, s[0:3], 0 offset:240
	;; [unrolled: 1-line block ×13, first 2 shown]
	ds_read_b128 v[4:7], v2 offset:384
	ds_read_b128 v[8:11], v2 offset:400
	;; [unrolled: 1-line block ×8, first 2 shown]
	v_cmp_lt_u32_e32 vcc, 10, v0
	s_waitcnt vmcnt(44) lgkmcnt(7)
	v_mul_f32_e32 v116, v4, v3
	s_waitcnt vmcnt(43)
	v_mul_f32_e32 v123, v6, v122
	s_waitcnt vmcnt(42) lgkmcnt(6)
	v_mul_f32_e32 v124, v8, v126
	s_waitcnt vmcnt(41)
	v_mul_f32_e32 v125, v10, v128
	s_waitcnt vmcnt(40) lgkmcnt(5)
	v_mul_f32_e32 v127, v12, v130
	s_waitcnt vmcnt(39)
	v_mul_f32_e32 v129, v14, v131
	s_waitcnt vmcnt(38) lgkmcnt(4)
	v_mul_f32_e32 v156, v16, v132
	s_waitcnt vmcnt(37)
	v_mul_f32_e32 v157, v18, v133
	s_waitcnt vmcnt(36) lgkmcnt(3)
	v_mul_f32_e32 v158, v92, v134
	s_waitcnt vmcnt(35)
	v_mul_f32_e32 v159, v94, v135
	s_waitcnt vmcnt(34) lgkmcnt(2)
	v_mul_f32_e32 v160, v96, v136
	s_waitcnt vmcnt(33)
	v_mul_f32_e32 v161, v98, v137
	s_waitcnt vmcnt(32) lgkmcnt(1)
	v_mul_f32_e32 v162, v100, v138
	s_waitcnt vmcnt(31)
	v_fmac_f32_e32 v116, v5, v139
	s_waitcnt vmcnt(30)
	v_fmac_f32_e32 v123, v7, v140
	v_add_f32_e32 v116, 0, v116
	s_waitcnt vmcnt(29)
	v_fmac_f32_e32 v124, v9, v141
	v_add_f32_e32 v116, v116, v123
	;; [unrolled: 3-line block ×12, first 2 shown]
	v_add_f32_e32 v123, v116, v162
	buffer_load_dword v125, off, s[0:3], 0 offset:260
	buffer_load_dword v124, off, s[0:3], 0 offset:256
	buffer_load_dword v116, off, s[0:3], 0 offset:248
	v_mul_f32_e32 v3, v5, v3
	v_fma_f32 v3, v4, v139, -v3
	v_mul_f32_e32 v4, v7, v122
	v_add_f32_e32 v3, 0, v3
	v_fma_f32 v4, v6, v140, -v4
	v_add_f32_e32 v3, v3, v4
	v_mul_f32_e32 v4, v9, v126
	v_fma_f32 v4, v8, v141, -v4
	v_add_f32_e32 v3, v3, v4
	v_mul_f32_e32 v4, v11, v128
	;; [unrolled: 3-line block ×11, first 2 shown]
	v_fma_f32 v4, v100, v151, -v4
	s_waitcnt vmcnt(9)
	v_mov_b32_e32 v92, v115
	v_mul_f32_e32 v127, v102, v152
	v_add_f32_e32 v122, v3, v4
	v_mul_f32_e32 v3, v103, v152
	s_waitcnt lgkmcnt(0)
	v_pk_mul_f32 v[92:93], v[106:107], v[92:93] op_sel_hi:[1,0]
	v_fmac_f32_e32 v127, v103, v153
	v_mul_f32_e32 v129, v104, v154
	v_fma_f32 v126, v102, v153, -v3
	v_mul_f32_e32 v3, v105, v154
	ds_read_b128 v[4:7], v2 offset:512
	ds_read_b128 v[8:11], v2 offset:528
	;; [unrolled: 1-line block ×3, first 2 shown]
	ds_read_b64 v[16:17], v2 offset:560
	s_waitcnt vmcnt(8)
	v_pk_fma_f32 v[94:95], v[106:107], v[114:115], v[92:93] op_sel:[0,0,1] op_sel_hi:[1,1,0] neg_lo:[0,0,1] neg_hi:[0,0,1]
	v_pk_fma_f32 v[92:93], v[106:107], v[114:115], v[92:93] op_sel:[0,0,1] op_sel_hi:[1,0,0]
	v_fmac_f32_e32 v129, v105, v155
	v_fma_f32 v128, v104, v155, -v3
	v_pk_add_f32 v[18:19], v[122:123], v[126:127]
	v_mov_b32_e32 v92, v113
	v_pk_add_f32 v[18:19], v[18:19], v[128:129]
	v_mov_b32_e32 v95, v93
	s_waitcnt lgkmcnt(3)
	v_pk_mul_f32 v[92:93], v[4:5], v[92:93] op_sel_hi:[1,0]
	v_pk_add_f32 v[18:19], v[18:19], v[94:95]
	v_pk_fma_f32 v[94:95], v[4:5], v[112:113], v[92:93] op_sel:[0,0,1] op_sel_hi:[1,1,0] neg_lo:[0,0,1] neg_hi:[0,0,1]
	v_pk_fma_f32 v[4:5], v[4:5], v[112:113], v[92:93] op_sel:[0,0,1] op_sel_hi:[1,0,0]
	v_mov_b32_e32 v95, v5
	v_pk_add_f32 v[4:5], v[18:19], v[94:95]
	v_mov_b32_e32 v18, v111
	v_pk_mul_f32 v[18:19], v[6:7], v[18:19] op_sel_hi:[1,0]
	v_pk_fma_f32 v[92:93], v[6:7], v[110:111], v[18:19] op_sel:[0,0,1] op_sel_hi:[1,1,0] neg_lo:[0,0,1] neg_hi:[0,0,1]
	v_pk_fma_f32 v[6:7], v[6:7], v[110:111], v[18:19] op_sel:[0,0,1] op_sel_hi:[1,0,0]
	v_mov_b32_e32 v6, v109
	v_mov_b32_e32 v93, v7
	s_waitcnt lgkmcnt(2)
	v_pk_mul_f32 v[6:7], v[8:9], v[6:7] op_sel_hi:[1,0]
	v_pk_fma_f32 v[18:19], v[8:9], v[108:109], v[6:7] op_sel:[0,0,1] op_sel_hi:[1,1,0] neg_lo:[0,0,1] neg_hi:[0,0,1]
	v_pk_fma_f32 v[6:7], v[8:9], v[108:109], v[6:7] op_sel:[0,0,1] op_sel_hi:[1,0,0]
	s_waitcnt vmcnt(7)
	v_mov_b32_e32 v6, v117
	v_mov_b32_e32 v19, v7
	v_pk_mul_f32 v[6:7], v[10:11], v[6:7] op_sel_hi:[1,0]
	v_pk_add_f32 v[4:5], v[4:5], v[92:93]
	v_pk_add_f32 v[4:5], v[4:5], v[18:19]
	s_waitcnt vmcnt(0)
	v_pk_fma_f32 v[8:9], v[10:11], v[116:117], v[6:7] op_sel:[0,0,1] op_sel_hi:[1,1,0] neg_lo:[0,0,1] neg_hi:[0,0,1]
	v_pk_fma_f32 v[6:7], v[10:11], v[116:117], v[6:7] op_sel:[0,0,1] op_sel_hi:[1,0,0]
	v_mov_b32_e32 v6, v125
	v_mov_b32_e32 v9, v7
	s_waitcnt lgkmcnt(1)
	v_pk_mul_f32 v[6:7], v[12:13], v[6:7] op_sel_hi:[1,0]
	v_pk_add_f32 v[4:5], v[4:5], v[8:9]
	v_pk_fma_f32 v[8:9], v[12:13], v[124:125], v[6:7] op_sel:[0,0,1] op_sel_hi:[1,1,0] neg_lo:[0,0,1] neg_hi:[0,0,1]
	v_pk_fma_f32 v[6:7], v[12:13], v[124:125], v[6:7] op_sel:[0,0,1] op_sel_hi:[1,0,0]
	v_mov_b32_e32 v6, v121
	v_mov_b32_e32 v9, v7
	v_pk_mul_f32 v[6:7], v[14:15], v[6:7] op_sel_hi:[1,0]
	v_pk_add_f32 v[4:5], v[4:5], v[8:9]
	v_pk_fma_f32 v[8:9], v[14:15], v[120:121], v[6:7] op_sel:[0,0,1] op_sel_hi:[1,1,0] neg_lo:[0,0,1] neg_hi:[0,0,1]
	v_pk_fma_f32 v[6:7], v[14:15], v[120:121], v[6:7] op_sel:[0,0,1] op_sel_hi:[1,0,0]
	v_mov_b32_e32 v6, v119
	v_mov_b32_e32 v9, v7
	s_waitcnt lgkmcnt(0)
	v_pk_mul_f32 v[6:7], v[16:17], v[6:7] op_sel_hi:[1,0]
	v_pk_add_f32 v[4:5], v[4:5], v[8:9]
	v_pk_fma_f32 v[8:9], v[16:17], v[118:119], v[6:7] op_sel:[0,0,1] op_sel_hi:[1,1,0] neg_lo:[0,0,1] neg_hi:[0,0,1]
	v_pk_fma_f32 v[6:7], v[16:17], v[118:119], v[6:7] op_sel:[0,0,1] op_sel_hi:[1,0,0]
	v_mov_b32_e32 v9, v7
	v_pk_add_f32 v[4:5], v[4:5], v[8:9]
	v_pk_add_f32 v[4:5], v[20:21], v[4:5] neg_lo:[0,1] neg_hi:[0,1]
	buffer_store_dword v5, off, s[0:3], 0 offset:92
	buffer_store_dword v4, off, s[0:3], 0 offset:88
	s_and_saveexec_b64 s[4:5], vcc
	s_cbranch_execz .LBB34_203
; %bb.202:
	buffer_load_dword v4, off, s[0:3], 0 offset:80
	buffer_load_dword v5, off, s[0:3], 0 offset:84
	s_waitcnt vmcnt(0)
	ds_write_b64 v1, v[4:5]
	buffer_store_dword v2, off, s[0:3], 0 offset:80
	buffer_store_dword v2, off, s[0:3], 0 offset:84
.LBB34_203:
	s_or_b64 exec, exec, s[4:5]
	s_waitcnt lgkmcnt(0)
	; wave barrier
	s_waitcnt lgkmcnt(0)
	buffer_load_dword v3, off, s[0:3], 0 offset:92
	buffer_load_dword v122, off, s[0:3], 0 offset:100
	;; [unrolled: 1-line block ×34, first 2 shown]
	ds_read2_b64 v[4:7], v2 offset0:47 offset1:48
	ds_read2_b64 v[8:11], v2 offset0:49 offset1:50
	;; [unrolled: 1-line block ×8, first 2 shown]
	buffer_load_dword v109, off, s[0:3], 0 offset:236
	buffer_load_dword v108, off, s[0:3], 0 offset:232
	;; [unrolled: 1-line block ×9, first 2 shown]
	v_cmp_lt_u32_e32 vcc, 9, v0
	s_waitcnt vmcnt(42) lgkmcnt(7)
	v_mul_f32_e32 v114, v4, v3
	s_waitcnt vmcnt(41)
	v_mul_f32_e32 v118, v6, v122
	s_waitcnt vmcnt(40) lgkmcnt(6)
	v_mul_f32_e32 v119, v8, v124
	s_waitcnt vmcnt(39)
	v_mul_f32_e32 v120, v10, v126
	;; [unrolled: 4-line block ×6, first 2 shown]
	s_waitcnt vmcnt(30) lgkmcnt(1)
	v_mul_f32_e32 v160, v100, v138
	v_mul_f32_e32 v3, v5, v3
	s_waitcnt vmcnt(28)
	v_fmac_f32_e32 v114, v5, v140
	s_waitcnt vmcnt(27)
	v_fmac_f32_e32 v118, v7, v141
	v_add_f32_e32 v114, 0, v114
	s_waitcnt vmcnt(26)
	v_fmac_f32_e32 v119, v9, v142
	v_add_f32_e32 v114, v114, v118
	;; [unrolled: 3-line block ×12, first 2 shown]
	v_add_f32_e32 v123, v114, v160
	buffer_load_dword v119, off, s[0:3], 0 offset:260
	buffer_load_dword v118, off, s[0:3], 0 offset:256
	buffer_load_dword v121, off, s[0:3], 0 offset:252
	buffer_load_dword v120, off, s[0:3], 0 offset:248
	buffer_load_dword v114, off, s[0:3], 0 offset:240
	buffer_load_dword v129, off, s[0:3], 0 offset:276
	buffer_load_dword v128, off, s[0:3], 0 offset:272
	v_fma_f32 v3, v4, v140, -v3
	v_mul_f32_e32 v4, v7, v122
	v_add_f32_e32 v3, 0, v3
	v_fma_f32 v4, v6, v141, -v4
	v_add_f32_e32 v3, v3, v4
	v_mul_f32_e32 v4, v9, v124
	v_fma_f32 v4, v8, v142, -v4
	v_add_f32_e32 v3, v3, v4
	v_mul_f32_e32 v4, v11, v126
	;; [unrolled: 3-line block ×12, first 2 shown]
	s_waitcnt vmcnt(22)
	v_fma_f32 v4, v102, v153, -v4
	v_add_f32_e32 v122, v3, v4
	ds_read2_b64 v[4:7], v2 offset0:63 offset1:64
	ds_read2_b64 v[8:11], v2 offset0:65 offset1:66
	;; [unrolled: 1-line block ×4, first 2 shown]
	s_waitcnt vmcnt(11)
	v_mov_b32_e32 v92, v113
	s_waitcnt lgkmcnt(3)
	v_pk_mul_f32 v[92:93], v[4:5], v[92:93] op_sel_hi:[1,0]
	s_waitcnt vmcnt(10)
	v_pk_fma_f32 v[94:95], v[4:5], v[112:113], v[92:93] op_sel:[0,0,1] op_sel_hi:[1,1,0] neg_lo:[0,0,1] neg_hi:[0,0,1]
	v_pk_fma_f32 v[4:5], v[4:5], v[112:113], v[92:93] op_sel:[0,0,1] op_sel_hi:[1,0,0]
	v_mov_b32_e32 v4, v111
	v_mul_f32_e32 v161, v102, v139
	v_mov_b32_e32 v95, v5
	v_pk_mul_f32 v[4:5], v[6:7], v[4:5] op_sel_hi:[1,0]
	v_fmac_f32_e32 v161, v103, v153
	v_mul_f32_e32 v125, v104, v154
	v_mul_f32_e32 v3, v105, v154
	v_pk_fma_f32 v[92:93], v[6:7], v[110:111], v[4:5] op_sel:[0,0,1] op_sel_hi:[1,1,0] neg_lo:[0,0,1] neg_hi:[0,0,1]
	v_pk_fma_f32 v[4:5], v[6:7], v[110:111], v[4:5] op_sel:[0,0,1] op_sel_hi:[1,0,0]
	v_add_f32_e32 v123, v123, v161
	v_fmac_f32_e32 v125, v105, v155
	v_mul_f32_e32 v127, v106, v156
	v_fma_f32 v124, v104, v155, -v3
	v_mul_f32_e32 v3, v107, v156
	v_mov_b32_e32 v4, v109
	v_fmac_f32_e32 v127, v107, v157
	v_fma_f32 v126, v106, v157, -v3
	v_pk_add_f32 v[2:3], v[122:123], v[124:125]
	v_mov_b32_e32 v93, v5
	s_waitcnt lgkmcnt(2)
	v_pk_mul_f32 v[4:5], v[8:9], v[4:5] op_sel_hi:[1,0]
	v_pk_add_f32 v[2:3], v[2:3], v[126:127]
	v_pk_fma_f32 v[6:7], v[8:9], v[108:109], v[4:5] op_sel:[0,0,1] op_sel_hi:[1,1,0] neg_lo:[0,0,1] neg_hi:[0,0,1]
	v_pk_fma_f32 v[4:5], v[8:9], v[108:109], v[4:5] op_sel:[0,0,1] op_sel_hi:[1,0,0]
	v_pk_add_f32 v[2:3], v[2:3], v[94:95]
	s_waitcnt vmcnt(9)
	v_mov_b32_e32 v4, v115
	v_pk_add_f32 v[2:3], v[2:3], v[92:93]
	v_mov_b32_e32 v7, v5
	v_pk_mul_f32 v[4:5], v[10:11], v[4:5] op_sel_hi:[1,0]
	v_pk_add_f32 v[2:3], v[2:3], v[6:7]
	s_waitcnt vmcnt(2)
	v_pk_fma_f32 v[6:7], v[10:11], v[114:115], v[4:5] op_sel:[0,0,1] op_sel_hi:[1,1,0] neg_lo:[0,0,1] neg_hi:[0,0,1]
	v_pk_fma_f32 v[4:5], v[10:11], v[114:115], v[4:5] op_sel:[0,0,1] op_sel_hi:[1,0,0]
	v_mov_b32_e32 v4, v121
	v_mov_b32_e32 v7, v5
	s_waitcnt lgkmcnt(1)
	v_pk_mul_f32 v[4:5], v[12:13], v[4:5] op_sel_hi:[1,0]
	v_pk_add_f32 v[2:3], v[2:3], v[6:7]
	v_pk_fma_f32 v[6:7], v[12:13], v[120:121], v[4:5] op_sel:[0,0,1] op_sel_hi:[1,1,0] neg_lo:[0,0,1] neg_hi:[0,0,1]
	v_pk_fma_f32 v[4:5], v[12:13], v[120:121], v[4:5] op_sel:[0,0,1] op_sel_hi:[1,0,0]
	v_mov_b32_e32 v4, v119
	v_mov_b32_e32 v7, v5
	v_pk_mul_f32 v[4:5], v[14:15], v[4:5] op_sel_hi:[1,0]
	v_pk_add_f32 v[2:3], v[2:3], v[6:7]
	v_pk_fma_f32 v[6:7], v[14:15], v[118:119], v[4:5] op_sel:[0,0,1] op_sel_hi:[1,1,0] neg_lo:[0,0,1] neg_hi:[0,0,1]
	v_pk_fma_f32 v[4:5], v[14:15], v[118:119], v[4:5] op_sel:[0,0,1] op_sel_hi:[1,0,0]
	v_mov_b32_e32 v4, v117
	v_mov_b32_e32 v7, v5
	s_waitcnt lgkmcnt(0)
	v_pk_mul_f32 v[4:5], v[16:17], v[4:5] op_sel_hi:[1,0]
	v_pk_add_f32 v[2:3], v[2:3], v[6:7]
	v_pk_fma_f32 v[6:7], v[16:17], v[116:117], v[4:5] op_sel:[0,0,1] op_sel_hi:[1,1,0] neg_lo:[0,0,1] neg_hi:[0,0,1]
	v_pk_fma_f32 v[4:5], v[16:17], v[116:117], v[4:5] op_sel:[0,0,1] op_sel_hi:[1,0,0]
	s_waitcnt vmcnt(1)
	v_mov_b32_e32 v4, v129
	v_mov_b32_e32 v7, v5
	v_pk_mul_f32 v[4:5], v[18:19], v[4:5] op_sel_hi:[1,0]
	v_pk_add_f32 v[2:3], v[2:3], v[6:7]
	s_waitcnt vmcnt(0)
	v_pk_fma_f32 v[6:7], v[18:19], v[128:129], v[4:5] op_sel:[0,0,1] op_sel_hi:[1,1,0] neg_lo:[0,0,1] neg_hi:[0,0,1]
	v_pk_fma_f32 v[4:5], v[18:19], v[128:129], v[4:5] op_sel:[0,0,1] op_sel_hi:[1,0,0]
	v_mov_b32_e32 v7, v5
	v_pk_add_f32 v[2:3], v[2:3], v[6:7]
	v_pk_add_f32 v[2:3], v[20:21], v[2:3] neg_lo:[0,1] neg_hi:[0,1]
	buffer_store_dword v3, off, s[0:3], 0 offset:84
	buffer_store_dword v2, off, s[0:3], 0 offset:80
	s_and_saveexec_b64 s[4:5], vcc
	s_cbranch_execz .LBB34_205
; %bb.204:
	buffer_load_dword v2, off, s[0:3], 0 offset:72
	buffer_load_dword v3, off, s[0:3], 0 offset:76
	v_mov_b32_e32 v4, 0
	buffer_store_dword v4, off, s[0:3], 0 offset:72
	buffer_store_dword v4, off, s[0:3], 0 offset:76
	s_waitcnt vmcnt(2)
	ds_write_b64 v1, v[2:3]
.LBB34_205:
	s_or_b64 exec, exec, s[4:5]
	v_mov_b32_e32 v112, 0
	s_waitcnt lgkmcnt(0)
	; wave barrier
	s_waitcnt lgkmcnt(0)
	ds_read_b128 v[18:21], v112 offset:368
	ds_read_b128 v[10:13], v112 offset:384
	;; [unrolled: 1-line block ×4, first 2 shown]
	buffer_load_dword v92, off, s[0:3], 0 offset:72
	buffer_load_dword v93, off, s[0:3], 0 offset:76
	;; [unrolled: 1-line block ×18, first 2 shown]
	ds_read_b128 v[114:117], v112 offset:432
	buffer_load_dword v146, off, s[0:3], 0 offset:144
	buffer_load_dword v147, off, s[0:3], 0 offset:148
	buffer_load_dword v148, off, s[0:3], 0 offset:152
	buffer_load_dword v149, off, s[0:3], 0 offset:156
	ds_read_b128 v[118:121], v112 offset:448
	buffer_load_dword v150, off, s[0:3], 0 offset:160
	buffer_load_dword v151, off, s[0:3], 0 offset:164
	buffer_load_dword v152, off, s[0:3], 0 offset:168
	buffer_load_dword v153, off, s[0:3], 0 offset:172
	;; [unrolled: 5-line block ×4, first 2 shown]
	v_cmp_lt_u32_e32 vcc, 8, v0
	s_waitcnt vmcnt(30) lgkmcnt(7)
	v_mul_f32_e32 v14, v18, v98
	v_fmac_f32_e32 v14, v19, v94
	s_waitcnt vmcnt(28)
	v_mul_f32_e32 v15, v20, v113
	v_add_f32_e32 v14, 0, v14
	v_fmac_f32_e32 v15, v21, v106
	v_add_f32_e32 v14, v14, v15
	s_waitcnt vmcnt(26) lgkmcnt(6)
	v_mul_f32_e32 v15, v10, v135
	v_fmac_f32_e32 v15, v11, v134
	v_add_f32_e32 v14, v14, v15
	s_waitcnt vmcnt(24)
	v_mul_f32_e32 v15, v12, v137
	v_fmac_f32_e32 v15, v13, v136
	v_add_f32_e32 v14, v14, v15
	s_waitcnt vmcnt(22) lgkmcnt(5)
	v_mul_f32_e32 v15, v6, v139
	v_fmac_f32_e32 v15, v7, v138
	v_add_f32_e32 v14, v14, v15
	s_waitcnt vmcnt(20)
	v_mul_f32_e32 v15, v8, v141
	;; [unrolled: 8-line block ×6, first 2 shown]
	v_fmac_f32_e32 v15, v125, v156
	v_add_f32_e32 v14, v14, v15
	s_waitcnt vmcnt(2) lgkmcnt(0)
	v_mul_f32_e32 v15, v126, v159
	v_fmac_f32_e32 v15, v127, v158
	v_add_f32_e32 v95, v14, v15
	ds_read_b128 v[14:17], v112 offset:496
	buffer_load_dword v162, off, s[0:3], 0 offset:208
	buffer_load_dword v163, off, s[0:3], 0 offset:212
	;; [unrolled: 1-line block ×18, first 2 shown]
	v_mul_f32_e32 v19, v19, v98
	v_fma_f32 v18, v18, v94, -v19
	v_mul_f32_e32 v19, v21, v113
	v_add_f32_e32 v18, 0, v18
	v_fma_f32 v19, v20, v106, -v19
	v_mul_f32_e32 v11, v11, v135
	v_add_f32_e32 v18, v18, v19
	;; [unrolled: 3-line block ×7, first 2 shown]
	v_fma_f32 v3, v4, v144, -v3
	v_add_f32_e32 v2, v2, v3
	v_mul_f32_e32 v3, v115, v147
	v_fma_f32 v3, v114, v146, -v3
	v_add_f32_e32 v2, v2, v3
	v_mul_f32_e32 v3, v117, v149
	;; [unrolled: 3-line block ×7, first 2 shown]
	v_fma_f32 v3, v126, v158, -v3
	s_waitcnt vmcnt(18)
	v_mul_f32_e32 v99, v128, v161
	v_add_f32_e32 v94, v2, v3
	v_mul_f32_e32 v2, v129, v161
	v_fmac_f32_e32 v99, v129, v160
	v_fma_f32 v98, v128, v160, -v2
	v_pk_add_f32 v[18:19], v[94:95], v[98:99]
	s_waitcnt vmcnt(15)
	v_mov_b32_e32 v20, v103
	s_waitcnt lgkmcnt(0)
	v_pk_mul_f32 v[20:21], v[16:17], v[20:21] op_sel_hi:[1,0]
	s_waitcnt vmcnt(14)
	v_pk_fma_f32 v[94:95], v[16:17], v[102:103], v[20:21] op_sel:[0,0,1] op_sel_hi:[1,1,0] neg_lo:[0,0,1] neg_hi:[0,0,1]
	v_pk_fma_f32 v[16:17], v[16:17], v[102:103], v[20:21] op_sel:[0,0,1] op_sel_hi:[1,0,0]
	v_mov_b32_e32 v95, v17
	v_mul_f32_e32 v107, v14, v163
	v_mul_f32_e32 v2, v15, v163
	v_fmac_f32_e32 v107, v15, v162
	v_fma_f32 v106, v14, v162, -v2
	ds_read_b128 v[2:5], v112 offset:512
	ds_read_b128 v[6:9], v112 offset:528
	;; [unrolled: 1-line block ×3, first 2 shown]
	ds_read_b64 v[14:15], v112 offset:560
	v_pk_add_f32 v[18:19], v[18:19], v[106:107]
	v_pk_add_f32 v[16:17], v[18:19], v[94:95]
	s_waitcnt vmcnt(13)
	v_mov_b32_e32 v18, v109
	s_waitcnt lgkmcnt(3)
	v_pk_mul_f32 v[18:19], v[2:3], v[18:19] op_sel_hi:[1,0]
	s_waitcnt vmcnt(12)
	v_pk_fma_f32 v[20:21], v[2:3], v[108:109], v[18:19] op_sel:[0,0,1] op_sel_hi:[1,1,0] neg_lo:[0,0,1] neg_hi:[0,0,1]
	v_pk_fma_f32 v[2:3], v[2:3], v[108:109], v[18:19] op_sel:[0,0,1] op_sel_hi:[1,0,0]
	v_mov_b32_e32 v21, v3
	v_pk_add_f32 v[2:3], v[16:17], v[20:21]
	s_waitcnt vmcnt(11)
	v_mov_b32_e32 v16, v105
	v_pk_mul_f32 v[16:17], v[4:5], v[16:17] op_sel_hi:[1,0]
	s_waitcnt vmcnt(10)
	v_pk_fma_f32 v[18:19], v[4:5], v[104:105], v[16:17] op_sel:[0,0,1] op_sel_hi:[1,1,0] neg_lo:[0,0,1] neg_hi:[0,0,1]
	v_pk_fma_f32 v[4:5], v[4:5], v[104:105], v[16:17] op_sel:[0,0,1] op_sel_hi:[1,0,0]
	s_waitcnt vmcnt(9)
	v_mov_b32_e32 v4, v101
	v_mov_b32_e32 v19, v5
	s_waitcnt lgkmcnt(2)
	v_pk_mul_f32 v[4:5], v[6:7], v[4:5] op_sel_hi:[1,0]
	s_waitcnt vmcnt(8)
	v_pk_fma_f32 v[16:17], v[6:7], v[100:101], v[4:5] op_sel:[0,0,1] op_sel_hi:[1,1,0] neg_lo:[0,0,1] neg_hi:[0,0,1]
	v_pk_fma_f32 v[4:5], v[6:7], v[100:101], v[4:5] op_sel:[0,0,1] op_sel_hi:[1,0,0]
	s_waitcnt vmcnt(7)
	v_mov_b32_e32 v4, v97
	v_mov_b32_e32 v17, v5
	v_pk_mul_f32 v[4:5], v[8:9], v[4:5] op_sel_hi:[1,0]
	s_waitcnt vmcnt(6)
	v_pk_fma_f32 v[6:7], v[8:9], v[96:97], v[4:5] op_sel:[0,0,1] op_sel_hi:[1,1,0] neg_lo:[0,0,1] neg_hi:[0,0,1]
	v_pk_fma_f32 v[4:5], v[8:9], v[96:97], v[4:5] op_sel:[0,0,1] op_sel_hi:[1,0,0]
	v_pk_add_f32 v[2:3], v[2:3], v[18:19]
	s_waitcnt vmcnt(5)
	v_mov_b32_e32 v4, v131
	v_pk_add_f32 v[2:3], v[2:3], v[16:17]
	v_mov_b32_e32 v7, v5
	s_waitcnt lgkmcnt(1)
	v_pk_mul_f32 v[4:5], v[10:11], v[4:5] op_sel_hi:[1,0]
	v_pk_add_f32 v[2:3], v[2:3], v[6:7]
	s_waitcnt vmcnt(4)
	v_pk_fma_f32 v[6:7], v[10:11], v[130:131], v[4:5] op_sel:[0,0,1] op_sel_hi:[1,1,0] neg_lo:[0,0,1] neg_hi:[0,0,1]
	v_pk_fma_f32 v[4:5], v[10:11], v[130:131], v[4:5] op_sel:[0,0,1] op_sel_hi:[1,0,0]
	s_waitcnt vmcnt(3)
	v_mov_b32_e32 v4, v133
	v_mov_b32_e32 v7, v5
	v_pk_mul_f32 v[4:5], v[12:13], v[4:5] op_sel_hi:[1,0]
	v_pk_add_f32 v[2:3], v[2:3], v[6:7]
	s_waitcnt vmcnt(2)
	v_pk_fma_f32 v[6:7], v[12:13], v[132:133], v[4:5] op_sel:[0,0,1] op_sel_hi:[1,1,0] neg_lo:[0,0,1] neg_hi:[0,0,1]
	v_pk_fma_f32 v[4:5], v[12:13], v[132:133], v[4:5] op_sel:[0,0,1] op_sel_hi:[1,0,0]
	s_waitcnt vmcnt(1)
	v_mov_b32_e32 v4, v111
	v_mov_b32_e32 v7, v5
	s_waitcnt lgkmcnt(0)
	v_pk_mul_f32 v[4:5], v[14:15], v[4:5] op_sel_hi:[1,0]
	v_pk_add_f32 v[2:3], v[2:3], v[6:7]
	s_waitcnt vmcnt(0)
	v_pk_fma_f32 v[6:7], v[14:15], v[110:111], v[4:5] op_sel:[0,0,1] op_sel_hi:[1,1,0] neg_lo:[0,0,1] neg_hi:[0,0,1]
	v_pk_fma_f32 v[4:5], v[14:15], v[110:111], v[4:5] op_sel:[0,0,1] op_sel_hi:[1,0,0]
	v_mov_b32_e32 v7, v5
	v_pk_add_f32 v[2:3], v[2:3], v[6:7]
	v_pk_add_f32 v[2:3], v[92:93], v[2:3] neg_lo:[0,1] neg_hi:[0,1]
	buffer_store_dword v3, off, s[0:3], 0 offset:76
	buffer_store_dword v2, off, s[0:3], 0 offset:72
	s_and_saveexec_b64 s[4:5], vcc
	s_cbranch_execz .LBB34_207
; %bb.206:
	buffer_load_dword v2, off, s[0:3], 0 offset:64
	buffer_load_dword v3, off, s[0:3], 0 offset:68
	s_waitcnt vmcnt(0)
	ds_write_b64 v1, v[2:3]
	buffer_store_dword v112, off, s[0:3], 0 offset:64
	buffer_store_dword v112, off, s[0:3], 0 offset:68
.LBB34_207:
	s_or_b64 exec, exec, s[4:5]
	s_waitcnt lgkmcnt(0)
	; wave barrier
	s_waitcnt lgkmcnt(0)
	buffer_load_dword v113, off, s[0:3], 0 offset:76
	buffer_load_dword v126, off, s[0:3], 0 offset:84
	;; [unrolled: 1-line block ×38, first 2 shown]
	ds_read2_b64 v[2:5], v112 offset0:45 offset1:46
	ds_read2_b64 v[6:9], v112 offset0:47 offset1:48
	;; [unrolled: 1-line block ×8, first 2 shown]
	buffer_load_dword v117, off, s[0:3], 0 offset:220
	buffer_load_dword v116, off, s[0:3], 0 offset:216
	;; [unrolled: 1-line block ×4, first 2 shown]
	v_cmp_lt_u32_e32 vcc, 7, v0
	s_waitcnt vmcnt(41) lgkmcnt(7)
	v_mul_f32_e32 v104, v2, v113
	s_waitcnt vmcnt(40)
	v_mul_f32_e32 v105, v4, v126
	s_waitcnt vmcnt(39) lgkmcnt(6)
	v_mul_f32_e32 v106, v6, v128
	s_waitcnt vmcnt(38)
	v_mul_f32_e32 v107, v8, v130
	;; [unrolled: 4-line block ×7, first 2 shown]
	s_waitcnt vmcnt(27) lgkmcnt(0)
	v_mul_f32_e32 v127, v100, v148
	s_waitcnt vmcnt(26)
	v_fmac_f32_e32 v104, v3, v149
	s_waitcnt vmcnt(25)
	v_fmac_f32_e32 v105, v5, v150
	v_add_f32_e32 v104, 0, v104
	s_waitcnt vmcnt(24)
	v_fmac_f32_e32 v106, v7, v151
	v_add_f32_e32 v104, v104, v105
	s_waitcnt vmcnt(23)
	v_fmac_f32_e32 v107, v9, v152
	v_add_f32_e32 v104, v104, v106
	s_waitcnt vmcnt(22)
	v_fmac_f32_e32 v108, v11, v153
	v_add_f32_e32 v104, v104, v107
	s_waitcnt vmcnt(21)
	v_fmac_f32_e32 v109, v13, v154
	v_add_f32_e32 v104, v104, v108
	s_waitcnt vmcnt(20)
	v_fmac_f32_e32 v110, v15, v155
	v_add_f32_e32 v104, v104, v109
	s_waitcnt vmcnt(19)
	v_fmac_f32_e32 v111, v17, v156
	v_add_f32_e32 v104, v104, v110
	s_waitcnt vmcnt(18)
	v_fmac_f32_e32 v120, v19, v157
	v_add_f32_e32 v104, v104, v111
	s_waitcnt vmcnt(17)
	v_fmac_f32_e32 v121, v21, v158
	v_add_f32_e32 v104, v104, v120
	s_waitcnt vmcnt(16)
	v_fmac_f32_e32 v122, v93, v159
	v_add_f32_e32 v104, v104, v121
	s_waitcnt vmcnt(15)
	v_fmac_f32_e32 v123, v95, v160
	v_add_f32_e32 v104, v104, v122
	s_waitcnt vmcnt(14)
	v_fmac_f32_e32 v124, v97, v161
	v_add_f32_e32 v104, v104, v123
	s_waitcnt vmcnt(13)
	v_fmac_f32_e32 v125, v99, v162
	v_add_f32_e32 v104, v104, v124
	v_add_f32_e32 v104, v104, v125
	buffer_load_dword v121, off, s[0:3], 0 offset:244
	buffer_load_dword v120, off, s[0:3], 0 offset:240
	;; [unrolled: 1-line block ×6, first 2 shown]
	s_waitcnt vmcnt(18)
	v_fmac_f32_e32 v127, v101, v163
	s_waitcnt vmcnt(17)
	v_mul_f32_e32 v109, v102, v164
	v_add_f32_e32 v108, v104, v127
	s_waitcnt vmcnt(16)
	v_fmac_f32_e32 v109, v103, v165
	ds_read2_b64 v[104:107], v112 offset0:61 offset1:62
	v_add_f32_e32 v127, v108, v109
	ds_read2_b64 v[108:111], v112 offset0:63 offset1:64
	buffer_load_dword v133, off, s[0:3], 0 offset:276
	buffer_load_dword v132, off, s[0:3], 0 offset:272
	;; [unrolled: 1-line block ×6, first 2 shown]
	v_mul_f32_e32 v3, v3, v113
	v_fma_f32 v2, v2, v149, -v3
	v_mul_f32_e32 v3, v5, v126
	v_add_f32_e32 v2, 0, v2
	v_fma_f32 v3, v4, v150, -v3
	v_add_f32_e32 v2, v2, v3
	v_mul_f32_e32 v3, v7, v128
	v_fma_f32 v3, v6, v151, -v3
	v_add_f32_e32 v2, v2, v3
	v_mul_f32_e32 v3, v9, v130
	;; [unrolled: 3-line block ×14, first 2 shown]
	v_fma_f32 v3, v102, v165, -v3
	s_waitcnt vmcnt(15)
	v_mov_b32_e32 v16, v117
	s_waitcnt lgkmcnt(1)
	v_mul_f32_e32 v129, v104, v166
	v_add_f32_e32 v126, v2, v3
	v_mul_f32_e32 v2, v105, v166
	s_waitcnt lgkmcnt(0)
	v_pk_mul_f32 v[16:17], v[108:109], v[16:17] op_sel_hi:[1,0]
	v_fmac_f32_e32 v129, v105, v167
	v_mul_f32_e32 v131, v106, v168
	v_fma_f32 v128, v104, v167, -v2
	v_mul_f32_e32 v2, v107, v168
	s_waitcnt vmcnt(14)
	v_pk_fma_f32 v[18:19], v[108:109], v[116:117], v[16:17] op_sel:[0,0,1] op_sel_hi:[1,1,0] neg_lo:[0,0,1] neg_hi:[0,0,1]
	v_pk_fma_f32 v[16:17], v[108:109], v[116:117], v[16:17] op_sel:[0,0,1] op_sel_hi:[1,0,0]
	v_fmac_f32_e32 v131, v107, v169
	v_fma_f32 v130, v106, v169, -v2
	v_pk_add_f32 v[14:15], v[126:127], v[128:129]
	ds_read2_b64 v[2:5], v112 offset0:65 offset1:66
	ds_read2_b64 v[6:9], v112 offset0:67 offset1:68
	;; [unrolled: 1-line block ×3, first 2 shown]
	v_pk_add_f32 v[14:15], v[14:15], v[130:131]
	v_mov_b32_e32 v19, v17
	v_pk_add_f32 v[14:15], v[14:15], v[18:19]
	s_waitcnt vmcnt(7)
	v_mov_b32_e32 v16, v125
	v_pk_mul_f32 v[16:17], v[110:111], v[16:17] op_sel_hi:[1,0]
	s_waitcnt vmcnt(6)
	v_pk_fma_f32 v[18:19], v[110:111], v[124:125], v[16:17] op_sel:[0,0,1] op_sel_hi:[1,1,0] neg_lo:[0,0,1] neg_hi:[0,0,1]
	v_pk_fma_f32 v[16:17], v[110:111], v[124:125], v[16:17] op_sel:[0,0,1] op_sel_hi:[1,0,0]
	v_mov_b32_e32 v16, v123
	v_mov_b32_e32 v19, v17
	s_waitcnt lgkmcnt(2)
	v_pk_mul_f32 v[16:17], v[2:3], v[16:17] op_sel_hi:[1,0]
	v_pk_add_f32 v[14:15], v[14:15], v[18:19]
	v_pk_fma_f32 v[18:19], v[2:3], v[122:123], v[16:17] op_sel:[0,0,1] op_sel_hi:[1,1,0] neg_lo:[0,0,1] neg_hi:[0,0,1]
	v_pk_fma_f32 v[2:3], v[2:3], v[122:123], v[16:17] op_sel:[0,0,1] op_sel_hi:[1,0,0]
	v_mov_b32_e32 v19, v3
	v_pk_add_f32 v[2:3], v[14:15], v[18:19]
	v_mov_b32_e32 v14, v121
	v_pk_mul_f32 v[14:15], v[4:5], v[14:15] op_sel_hi:[1,0]
	v_pk_fma_f32 v[16:17], v[4:5], v[120:121], v[14:15] op_sel:[0,0,1] op_sel_hi:[1,1,0] neg_lo:[0,0,1] neg_hi:[0,0,1]
	v_pk_fma_f32 v[4:5], v[4:5], v[120:121], v[14:15] op_sel:[0,0,1] op_sel_hi:[1,0,0]
	v_mov_b32_e32 v4, v119
	v_mov_b32_e32 v17, v5
	s_waitcnt lgkmcnt(1)
	v_pk_mul_f32 v[4:5], v[6:7], v[4:5] op_sel_hi:[1,0]
	v_pk_fma_f32 v[14:15], v[6:7], v[118:119], v[4:5] op_sel:[0,0,1] op_sel_hi:[1,1,0] neg_lo:[0,0,1] neg_hi:[0,0,1]
	v_pk_fma_f32 v[4:5], v[6:7], v[118:119], v[4:5] op_sel:[0,0,1] op_sel_hi:[1,0,0]
	s_waitcnt vmcnt(1)
	v_mov_b32_e32 v4, v137
	v_mov_b32_e32 v15, v5
	v_pk_mul_f32 v[4:5], v[8:9], v[4:5] op_sel_hi:[1,0]
	s_waitcnt vmcnt(0)
	v_pk_fma_f32 v[6:7], v[8:9], v[136:137], v[4:5] op_sel:[0,0,1] op_sel_hi:[1,1,0] neg_lo:[0,0,1] neg_hi:[0,0,1]
	v_pk_fma_f32 v[4:5], v[8:9], v[136:137], v[4:5] op_sel:[0,0,1] op_sel_hi:[1,0,0]
	v_pk_add_f32 v[2:3], v[2:3], v[16:17]
	v_mov_b32_e32 v4, v135
	v_pk_add_f32 v[2:3], v[2:3], v[14:15]
	v_mov_b32_e32 v7, v5
	s_waitcnt lgkmcnt(0)
	v_pk_mul_f32 v[4:5], v[10:11], v[4:5] op_sel_hi:[1,0]
	v_pk_add_f32 v[2:3], v[2:3], v[6:7]
	v_pk_fma_f32 v[6:7], v[10:11], v[134:135], v[4:5] op_sel:[0,0,1] op_sel_hi:[1,1,0] neg_lo:[0,0,1] neg_hi:[0,0,1]
	v_pk_fma_f32 v[4:5], v[10:11], v[134:135], v[4:5] op_sel:[0,0,1] op_sel_hi:[1,0,0]
	v_mov_b32_e32 v4, v133
	v_mov_b32_e32 v7, v5
	v_pk_mul_f32 v[4:5], v[12:13], v[4:5] op_sel_hi:[1,0]
	v_pk_add_f32 v[2:3], v[2:3], v[6:7]
	v_pk_fma_f32 v[6:7], v[12:13], v[132:133], v[4:5] op_sel:[0,0,1] op_sel_hi:[1,1,0] neg_lo:[0,0,1] neg_hi:[0,0,1]
	v_pk_fma_f32 v[4:5], v[12:13], v[132:133], v[4:5] op_sel:[0,0,1] op_sel_hi:[1,0,0]
	v_mov_b32_e32 v7, v5
	v_pk_add_f32 v[2:3], v[2:3], v[6:7]
	v_pk_add_f32 v[2:3], v[114:115], v[2:3] neg_lo:[0,1] neg_hi:[0,1]
	buffer_store_dword v3, off, s[0:3], 0 offset:68
	buffer_store_dword v2, off, s[0:3], 0 offset:64
	s_and_saveexec_b64 s[4:5], vcc
	s_cbranch_execz .LBB34_209
; %bb.208:
	buffer_load_dword v2, off, s[0:3], 0 offset:56
	buffer_load_dword v3, off, s[0:3], 0 offset:60
	v_mov_b32_e32 v4, 0
	buffer_store_dword v4, off, s[0:3], 0 offset:56
	buffer_store_dword v4, off, s[0:3], 0 offset:60
	s_waitcnt vmcnt(2)
	ds_write_b64 v1, v[2:3]
.LBB34_209:
	s_or_b64 exec, exec, s[4:5]
	s_waitcnt lgkmcnt(0)
	; wave barrier
	s_waitcnt lgkmcnt(0)
	buffer_load_dword v5, off, s[0:3], 0 offset:68
	buffer_load_dword v124, off, s[0:3], 0 offset:76
	;; [unrolled: 1-line block ×40, first 2 shown]
	v_mov_b32_e32 v4, 0
	ds_read_b128 v[6:9], v4 offset:352
	ds_read_b128 v[10:13], v4 offset:368
	;; [unrolled: 1-line block ×8, first 2 shown]
	v_cmp_lt_u32_e32 vcc, 6, v0
	s_waitcnt vmcnt(39) lgkmcnt(7)
	v_mul_f32_e32 v108, v6, v5
	s_waitcnt vmcnt(38)
	v_mul_f32_e32 v109, v8, v124
	s_waitcnt vmcnt(37) lgkmcnt(6)
	v_mul_f32_e32 v110, v10, v126
	s_waitcnt vmcnt(36)
	v_mul_f32_e32 v111, v12, v128
	;; [unrolled: 4-line block ×8, first 2 shown]
	s_waitcnt vmcnt(23)
	v_fmac_f32_e32 v108, v7, v150
	s_waitcnt vmcnt(22)
	v_fmac_f32_e32 v109, v9, v151
	v_add_f32_e32 v108, 0, v108
	s_waitcnt vmcnt(21)
	v_fmac_f32_e32 v110, v11, v152
	v_add_f32_e32 v108, v108, v109
	;; [unrolled: 3-line block ×14, first 2 shown]
	v_add_f32_e32 v108, v108, v122
	s_waitcnt vmcnt(8)
	v_fmac_f32_e32 v123, v107, v165
	v_add_f32_e32 v125, v108, v123
	ds_read_b128 v[108:111], v4 offset:480
	buffer_load_dword v117, off, s[0:3], 0 offset:220
	buffer_load_dword v119, off, s[0:3], 0 offset:244
	;; [unrolled: 1-line block ×8, first 2 shown]
	ds_read_b128 v[112:115], v4 offset:496
	buffer_load_dword v131, off, s[0:3], 0 offset:276
	buffer_load_dword v130, off, s[0:3], 0 offset:272
	buffer_load_dword v133, off, s[0:3], 0 offset:268
	buffer_load_dword v132, off, s[0:3], 0 offset:264
	buffer_load_dword v135, off, s[0:3], 0 offset:260
	buffer_load_dword v134, off, s[0:3], 0 offset:256
	buffer_load_dword v137, off, s[0:3], 0 offset:252
	buffer_load_dword v136, off, s[0:3], 0 offset:248
	v_mul_f32_e32 v5, v7, v5
	v_fma_f32 v5, v6, v150, -v5
	v_mul_f32_e32 v6, v9, v124
	v_add_f32_e32 v5, 0, v5
	v_fma_f32 v6, v8, v151, -v6
	v_add_f32_e32 v5, v5, v6
	v_mul_f32_e32 v6, v11, v126
	v_fma_f32 v6, v10, v152, -v6
	v_add_f32_e32 v5, v5, v6
	v_mul_f32_e32 v6, v13, v128
	;; [unrolled: 3-line block ×14, first 2 shown]
	v_fma_f32 v6, v106, v165, -v6
	s_waitcnt vmcnt(23) lgkmcnt(1)
	v_mul_f32_e32 v127, v108, v166
	v_add_f32_e32 v5, v5, v6
	v_mul_f32_e32 v6, v109, v166
	s_waitcnt vmcnt(22)
	v_fmac_f32_e32 v127, v109, v167
	v_fma_f32 v6, v108, v167, -v6
	v_add_f32_e32 v125, v125, v127
	s_waitcnt vmcnt(21)
	v_mul_f32_e32 v127, v110, v168
	v_add_f32_e32 v124, v5, v6
	v_mul_f32_e32 v5, v111, v168
	s_waitcnt vmcnt(20)
	v_fmac_f32_e32 v127, v111, v169
	s_waitcnt vmcnt(19) lgkmcnt(0)
	v_mul_f32_e32 v129, v112, v170
	v_fma_f32 v126, v110, v169, -v5
	v_mul_f32_e32 v5, v113, v170
	ds_read_b128 v[6:9], v4 offset:512
	ds_read_b128 v[10:13], v4 offset:528
	;; [unrolled: 1-line block ×3, first 2 shown]
	ds_read_b64 v[18:19], v4 offset:560
	s_waitcnt vmcnt(18)
	v_fmac_f32_e32 v129, v113, v171
	v_fma_f32 v128, v112, v171, -v5
	v_pk_add_f32 v[20:21], v[124:125], v[126:127]
	v_pk_add_f32 v[20:21], v[20:21], v[128:129]
	s_waitcnt vmcnt(15)
	v_mov_b32_e32 v92, v117
	v_pk_mul_f32 v[92:93], v[114:115], v[92:93] op_sel_hi:[1,0]
	s_waitcnt vmcnt(8)
	v_pk_fma_f32 v[94:95], v[114:115], v[116:117], v[92:93] op_sel:[0,0,1] op_sel_hi:[1,1,0] neg_lo:[0,0,1] neg_hi:[0,0,1]
	v_pk_fma_f32 v[92:93], v[114:115], v[116:117], v[92:93] op_sel:[0,0,1] op_sel_hi:[1,0,0]
	v_mov_b32_e32 v92, v123
	v_mov_b32_e32 v95, v93
	s_waitcnt lgkmcnt(3)
	v_pk_mul_f32 v[92:93], v[6:7], v[92:93] op_sel_hi:[1,0]
	v_pk_add_f32 v[20:21], v[20:21], v[94:95]
	v_pk_fma_f32 v[94:95], v[6:7], v[122:123], v[92:93] op_sel:[0,0,1] op_sel_hi:[1,1,0] neg_lo:[0,0,1] neg_hi:[0,0,1]
	v_pk_fma_f32 v[6:7], v[6:7], v[122:123], v[92:93] op_sel:[0,0,1] op_sel_hi:[1,0,0]
	v_mov_b32_e32 v95, v7
	v_pk_add_f32 v[6:7], v[20:21], v[94:95]
	v_mov_b32_e32 v20, v121
	v_pk_mul_f32 v[20:21], v[8:9], v[20:21] op_sel_hi:[1,0]
	v_pk_fma_f32 v[92:93], v[8:9], v[120:121], v[20:21] op_sel:[0,0,1] op_sel_hi:[1,1,0] neg_lo:[0,0,1] neg_hi:[0,0,1]
	v_pk_fma_f32 v[8:9], v[8:9], v[120:121], v[20:21] op_sel:[0,0,1] op_sel_hi:[1,0,0]
	v_mov_b32_e32 v8, v119
	v_mov_b32_e32 v93, v9
	s_waitcnt lgkmcnt(2)
	v_pk_mul_f32 v[8:9], v[10:11], v[8:9] op_sel_hi:[1,0]
	v_pk_fma_f32 v[20:21], v[10:11], v[118:119], v[8:9] op_sel:[0,0,1] op_sel_hi:[1,1,0] neg_lo:[0,0,1] neg_hi:[0,0,1]
	v_pk_fma_f32 v[8:9], v[10:11], v[118:119], v[8:9] op_sel:[0,0,1] op_sel_hi:[1,0,0]
	s_waitcnt vmcnt(1)
	v_mov_b32_e32 v8, v137
	v_mov_b32_e32 v21, v9
	v_pk_mul_f32 v[8:9], v[12:13], v[8:9] op_sel_hi:[1,0]
	s_waitcnt vmcnt(0)
	v_pk_fma_f32 v[10:11], v[12:13], v[136:137], v[8:9] op_sel:[0,0,1] op_sel_hi:[1,1,0] neg_lo:[0,0,1] neg_hi:[0,0,1]
	v_pk_fma_f32 v[8:9], v[12:13], v[136:137], v[8:9] op_sel:[0,0,1] op_sel_hi:[1,0,0]
	v_pk_add_f32 v[6:7], v[6:7], v[92:93]
	v_mov_b32_e32 v8, v135
	v_pk_add_f32 v[6:7], v[6:7], v[20:21]
	v_mov_b32_e32 v11, v9
	s_waitcnt lgkmcnt(1)
	v_pk_mul_f32 v[8:9], v[14:15], v[8:9] op_sel_hi:[1,0]
	v_pk_add_f32 v[6:7], v[6:7], v[10:11]
	v_pk_fma_f32 v[10:11], v[14:15], v[134:135], v[8:9] op_sel:[0,0,1] op_sel_hi:[1,1,0] neg_lo:[0,0,1] neg_hi:[0,0,1]
	v_pk_fma_f32 v[8:9], v[14:15], v[134:135], v[8:9] op_sel:[0,0,1] op_sel_hi:[1,0,0]
	v_mov_b32_e32 v8, v133
	v_mov_b32_e32 v11, v9
	v_pk_mul_f32 v[8:9], v[16:17], v[8:9] op_sel_hi:[1,0]
	v_pk_add_f32 v[6:7], v[6:7], v[10:11]
	v_pk_fma_f32 v[10:11], v[16:17], v[132:133], v[8:9] op_sel:[0,0,1] op_sel_hi:[1,1,0] neg_lo:[0,0,1] neg_hi:[0,0,1]
	v_pk_fma_f32 v[8:9], v[16:17], v[132:133], v[8:9] op_sel:[0,0,1] op_sel_hi:[1,0,0]
	v_mov_b32_e32 v8, v131
	v_mov_b32_e32 v11, v9
	s_waitcnt lgkmcnt(0)
	v_pk_mul_f32 v[8:9], v[18:19], v[8:9] op_sel_hi:[1,0]
	v_pk_add_f32 v[6:7], v[6:7], v[10:11]
	v_pk_fma_f32 v[10:11], v[18:19], v[130:131], v[8:9] op_sel:[0,0,1] op_sel_hi:[1,1,0] neg_lo:[0,0,1] neg_hi:[0,0,1]
	v_pk_fma_f32 v[8:9], v[18:19], v[130:131], v[8:9] op_sel:[0,0,1] op_sel_hi:[1,0,0]
	v_mov_b32_e32 v11, v9
	v_pk_add_f32 v[6:7], v[6:7], v[10:11]
	v_pk_add_f32 v[2:3], v[2:3], v[6:7] neg_lo:[0,1] neg_hi:[0,1]
	buffer_store_dword v3, off, s[0:3], 0 offset:60
	buffer_store_dword v2, off, s[0:3], 0 offset:56
	s_and_saveexec_b64 s[4:5], vcc
	s_cbranch_execz .LBB34_211
; %bb.210:
	buffer_load_dword v2, off, s[0:3], 0 offset:48
	buffer_load_dword v3, off, s[0:3], 0 offset:52
	s_waitcnt vmcnt(0)
	ds_write_b64 v1, v[2:3]
	buffer_store_dword v4, off, s[0:3], 0 offset:48
	buffer_store_dword v4, off, s[0:3], 0 offset:52
.LBB34_211:
	s_or_b64 exec, exec, s[4:5]
	s_waitcnt lgkmcnt(0)
	; wave barrier
	s_waitcnt lgkmcnt(0)
	buffer_load_dword v5, off, s[0:3], 0 offset:60
	buffer_load_dword v116, off, s[0:3], 0 offset:68
	;; [unrolled: 1-line block ×42, first 2 shown]
	ds_read2_b64 v[6:9], v4 offset0:43 offset1:44
	ds_read2_b64 v[10:13], v4 offset0:45 offset1:46
	;; [unrolled: 1-line block ×8, first 2 shown]
	v_cmp_lt_u32_e32 vcc, 5, v0
	s_waitcnt vmcnt(41) lgkmcnt(7)
	v_mul_f32_e32 v108, v6, v5
	s_waitcnt vmcnt(40)
	v_mul_f32_e32 v109, v8, v116
	s_waitcnt vmcnt(39) lgkmcnt(6)
	v_mul_f32_e32 v110, v10, v118
	s_waitcnt vmcnt(38)
	v_mul_f32_e32 v111, v12, v126
	;; [unrolled: 4-line block ×7, first 2 shown]
	s_waitcnt vmcnt(27) lgkmcnt(0)
	v_mul_f32_e32 v124, v104, v148
	s_waitcnt vmcnt(26)
	v_fmac_f32_e32 v108, v7, v149
	s_waitcnt vmcnt(25)
	v_fmac_f32_e32 v109, v9, v150
	v_add_f32_e32 v108, 0, v108
	s_waitcnt vmcnt(24)
	v_fmac_f32_e32 v110, v11, v151
	v_add_f32_e32 v108, v108, v109
	;; [unrolled: 3-line block ×14, first 2 shown]
	s_waitcnt vmcnt(11)
	v_mul_f32_e32 v113, v106, v164
	v_add_f32_e32 v112, v108, v124
	s_waitcnt vmcnt(10)
	v_fmac_f32_e32 v113, v107, v165
	ds_read2_b64 v[108:111], v4 offset0:59 offset1:60
	v_add_f32_e32 v117, v112, v113
	ds_read2_b64 v[112:115], v4 offset0:61 offset1:62
	buffer_load_dword v121, off, s[0:3], 0 offset:220
	buffer_load_dword v123, off, s[0:3], 0 offset:236
	;; [unrolled: 1-line block ×16, first 2 shown]
	v_mul_f32_e32 v5, v7, v5
	v_fma_f32 v5, v6, v149, -v5
	v_mul_f32_e32 v6, v9, v116
	v_add_f32_e32 v5, 0, v5
	v_fma_f32 v6, v8, v150, -v6
	v_add_f32_e32 v5, v5, v6
	v_mul_f32_e32 v6, v11, v118
	v_fma_f32 v6, v10, v151, -v6
	v_add_f32_e32 v5, v5, v6
	v_mul_f32_e32 v6, v13, v126
	;; [unrolled: 3-line block ×14, first 2 shown]
	v_fma_f32 v6, v106, v165, -v6
	v_add_f32_e32 v5, v5, v6
	s_waitcnt vmcnt(25) lgkmcnt(1)
	v_mul_f32_e32 v6, v109, v166
	s_waitcnt vmcnt(24)
	v_fma_f32 v6, v108, v167, -v6
	v_add_f32_e32 v5, v5, v6
	s_waitcnt vmcnt(23)
	v_mul_f32_e32 v6, v111, v168
	s_waitcnt vmcnt(22)
	v_fma_f32 v6, v110, v169, -v6
	v_add_f32_e32 v116, v5, v6
	ds_read2_b64 v[6:9], v4 offset0:63 offset1:64
	ds_read2_b64 v[10:13], v4 offset0:65 offset1:66
	;; [unrolled: 1-line block ×4, first 2 shown]
	v_mul_f32_e32 v119, v108, v166
	v_fmac_f32_e32 v119, v109, v167
	v_add_f32_e32 v117, v117, v119
	v_mul_f32_e32 v119, v110, v168
	v_fmac_f32_e32 v119, v111, v169
	v_add_f32_e32 v117, v117, v119
	s_waitcnt vmcnt(21) lgkmcnt(4)
	v_mul_f32_e32 v119, v112, v170
	v_mul_f32_e32 v5, v113, v170
	s_waitcnt vmcnt(20)
	v_fmac_f32_e32 v119, v113, v171
	s_waitcnt vmcnt(19)
	v_mul_f32_e32 v127, v114, v172
	v_fma_f32 v118, v112, v171, -v5
	v_mul_f32_e32 v5, v115, v172
	s_waitcnt vmcnt(18)
	v_fmac_f32_e32 v127, v115, v173
	v_fma_f32 v126, v114, v173, -v5
	v_pk_add_f32 v[4:5], v[116:117], v[118:119]
	v_pk_add_f32 v[4:5], v[4:5], v[126:127]
	s_waitcnt vmcnt(15)
	v_mov_b32_e32 v92, v121
	s_waitcnt lgkmcnt(3)
	v_pk_mul_f32 v[92:93], v[6:7], v[92:93] op_sel_hi:[1,0]
	s_waitcnt vmcnt(10)
	v_pk_fma_f32 v[94:95], v[6:7], v[120:121], v[92:93] op_sel:[0,0,1] op_sel_hi:[1,1,0] neg_lo:[0,0,1] neg_hi:[0,0,1]
	v_pk_fma_f32 v[6:7], v[6:7], v[120:121], v[92:93] op_sel:[0,0,1] op_sel_hi:[1,0,0]
	v_mov_b32_e32 v6, v125
	v_mov_b32_e32 v95, v7
	v_pk_mul_f32 v[6:7], v[8:9], v[6:7] op_sel_hi:[1,0]
	v_pk_fma_f32 v[92:93], v[8:9], v[124:125], v[6:7] op_sel:[0,0,1] op_sel_hi:[1,1,0] neg_lo:[0,0,1] neg_hi:[0,0,1]
	v_pk_fma_f32 v[6:7], v[8:9], v[124:125], v[6:7] op_sel:[0,0,1] op_sel_hi:[1,0,0]
	v_mov_b32_e32 v6, v123
	v_mov_b32_e32 v93, v7
	s_waitcnt lgkmcnt(2)
	v_pk_mul_f32 v[6:7], v[10:11], v[6:7] op_sel_hi:[1,0]
	v_pk_fma_f32 v[8:9], v[10:11], v[122:123], v[6:7] op_sel:[0,0,1] op_sel_hi:[1,1,0] neg_lo:[0,0,1] neg_hi:[0,0,1]
	v_pk_fma_f32 v[6:7], v[10:11], v[122:123], v[6:7] op_sel:[0,0,1] op_sel_hi:[1,0,0]
	v_pk_add_f32 v[4:5], v[4:5], v[94:95]
	s_waitcnt vmcnt(3)
	v_mov_b32_e32 v6, v135
	v_pk_add_f32 v[4:5], v[4:5], v[92:93]
	v_mov_b32_e32 v9, v7
	v_pk_mul_f32 v[6:7], v[12:13], v[6:7] op_sel_hi:[1,0]
	v_pk_add_f32 v[4:5], v[4:5], v[8:9]
	s_waitcnt vmcnt(2)
	v_pk_fma_f32 v[8:9], v[12:13], v[134:135], v[6:7] op_sel:[0,0,1] op_sel_hi:[1,1,0] neg_lo:[0,0,1] neg_hi:[0,0,1]
	v_pk_fma_f32 v[6:7], v[12:13], v[134:135], v[6:7] op_sel:[0,0,1] op_sel_hi:[1,0,0]
	v_mov_b32_e32 v6, v133
	v_mov_b32_e32 v9, v7
	s_waitcnt lgkmcnt(1)
	v_pk_mul_f32 v[6:7], v[14:15], v[6:7] op_sel_hi:[1,0]
	v_pk_add_f32 v[4:5], v[4:5], v[8:9]
	v_pk_fma_f32 v[8:9], v[14:15], v[132:133], v[6:7] op_sel:[0,0,1] op_sel_hi:[1,1,0] neg_lo:[0,0,1] neg_hi:[0,0,1]
	v_pk_fma_f32 v[6:7], v[14:15], v[132:133], v[6:7] op_sel:[0,0,1] op_sel_hi:[1,0,0]
	v_mov_b32_e32 v6, v131
	v_mov_b32_e32 v9, v7
	v_pk_mul_f32 v[6:7], v[16:17], v[6:7] op_sel_hi:[1,0]
	v_pk_add_f32 v[4:5], v[4:5], v[8:9]
	v_pk_fma_f32 v[8:9], v[16:17], v[130:131], v[6:7] op_sel:[0,0,1] op_sel_hi:[1,1,0] neg_lo:[0,0,1] neg_hi:[0,0,1]
	v_pk_fma_f32 v[6:7], v[16:17], v[130:131], v[6:7] op_sel:[0,0,1] op_sel_hi:[1,0,0]
	v_mov_b32_e32 v6, v129
	v_mov_b32_e32 v9, v7
	s_waitcnt lgkmcnt(0)
	v_pk_mul_f32 v[6:7], v[18:19], v[6:7] op_sel_hi:[1,0]
	v_pk_add_f32 v[4:5], v[4:5], v[8:9]
	v_pk_fma_f32 v[8:9], v[18:19], v[128:129], v[6:7] op_sel:[0,0,1] op_sel_hi:[1,1,0] neg_lo:[0,0,1] neg_hi:[0,0,1]
	v_pk_fma_f32 v[6:7], v[18:19], v[128:129], v[6:7] op_sel:[0,0,1] op_sel_hi:[1,0,0]
	s_waitcnt vmcnt(1)
	v_mov_b32_e32 v6, v137
	v_mov_b32_e32 v9, v7
	v_pk_mul_f32 v[6:7], v[20:21], v[6:7] op_sel_hi:[1,0]
	v_pk_add_f32 v[4:5], v[4:5], v[8:9]
	s_waitcnt vmcnt(0)
	v_pk_fma_f32 v[8:9], v[20:21], v[136:137], v[6:7] op_sel:[0,0,1] op_sel_hi:[1,1,0] neg_lo:[0,0,1] neg_hi:[0,0,1]
	v_pk_fma_f32 v[6:7], v[20:21], v[136:137], v[6:7] op_sel:[0,0,1] op_sel_hi:[1,0,0]
	v_mov_b32_e32 v9, v7
	v_pk_add_f32 v[4:5], v[4:5], v[8:9]
	v_pk_add_f32 v[2:3], v[2:3], v[4:5] neg_lo:[0,1] neg_hi:[0,1]
	buffer_store_dword v3, off, s[0:3], 0 offset:52
	buffer_store_dword v2, off, s[0:3], 0 offset:48
	s_and_saveexec_b64 s[4:5], vcc
	s_cbranch_execz .LBB34_213
; %bb.212:
	buffer_load_dword v2, off, s[0:3], 0 offset:40
	buffer_load_dword v3, off, s[0:3], 0 offset:44
	v_mov_b32_e32 v4, 0
	buffer_store_dword v4, off, s[0:3], 0 offset:40
	buffer_store_dword v4, off, s[0:3], 0 offset:44
	s_waitcnt vmcnt(2)
	ds_write_b64 v1, v[2:3]
.LBB34_213:
	s_or_b64 exec, exec, s[4:5]
	s_waitcnt lgkmcnt(0)
	; wave barrier
	s_waitcnt lgkmcnt(0)
	buffer_load_dword v5, off, s[0:3], 0 offset:52
	buffer_load_dword v124, off, s[0:3], 0 offset:60
	;; [unrolled: 1-line block ×44, first 2 shown]
	v_mov_b32_e32 v4, 0
	ds_read_b128 v[6:9], v4 offset:336
	ds_read_b128 v[10:13], v4 offset:352
	;; [unrolled: 1-line block ×8, first 2 shown]
	v_cmp_lt_u32_e32 vcc, 4, v0
	s_waitcnt vmcnt(43) lgkmcnt(7)
	v_mul_f32_e32 v108, v6, v5
	s_waitcnt vmcnt(42)
	v_mul_f32_e32 v109, v8, v124
	s_waitcnt vmcnt(41) lgkmcnt(6)
	v_mul_f32_e32 v110, v10, v130
	s_waitcnt vmcnt(40)
	v_mul_f32_e32 v111, v12, v132
	;; [unrolled: 4-line block ×7, first 2 shown]
	s_waitcnt vmcnt(29)
	v_fmac_f32_e32 v108, v7, v156
	s_waitcnt vmcnt(28)
	v_fmac_f32_e32 v109, v9, v157
	v_add_f32_e32 v108, 0, v108
	s_waitcnt vmcnt(27)
	v_fmac_f32_e32 v110, v11, v158
	v_add_f32_e32 v108, v108, v109
	;; [unrolled: 3-line block ×12, first 2 shown]
	v_add_f32_e32 v108, v108, v120
	s_waitcnt vmcnt(16)
	v_fmac_f32_e32 v121, v103, v169
	s_waitcnt vmcnt(15) lgkmcnt(0)
	v_mul_f32_e32 v109, v104, v170
	v_add_f32_e32 v108, v108, v121
	s_waitcnt vmcnt(14)
	v_fmac_f32_e32 v109, v105, v171
	v_add_f32_e32 v112, v108, v109
	ds_read_b128 v[108:111], v4 offset:464
	s_waitcnt vmcnt(13)
	v_mul_f32_e32 v113, v106, v172
	s_waitcnt vmcnt(12)
	v_fmac_f32_e32 v113, v107, v173
	v_add_f32_e32 v116, v112, v113
	ds_read_b128 v[112:115], v4 offset:480
	s_waitcnt vmcnt(11) lgkmcnt(1)
	v_mul_f32_e32 v117, v108, v174
	s_waitcnt vmcnt(10)
	v_fmac_f32_e32 v117, v109, v175
	v_add_f32_e32 v116, v116, v117
	s_waitcnt vmcnt(9)
	v_mul_f32_e32 v117, v110, v176
	s_waitcnt vmcnt(8)
	v_fmac_f32_e32 v117, v111, v177
	v_add_f32_e32 v116, v116, v117
	s_waitcnt vmcnt(7) lgkmcnt(0)
	v_mul_f32_e32 v117, v112, v178
	s_waitcnt vmcnt(6)
	v_fmac_f32_e32 v117, v113, v179
	v_add_f32_e32 v125, v116, v117
	ds_read_b128 v[116:119], v4 offset:496
	buffer_load_dword v127, off, s[0:3], 0 offset:228
	buffer_load_dword v126, off, s[0:3], 0 offset:224
	;; [unrolled: 1-line block ×4, first 2 shown]
	ds_read_b128 v[120:123], v4 offset:512
	buffer_load_dword v135, off, s[0:3], 0 offset:260
	buffer_load_dword v134, off, s[0:3], 0 offset:256
	buffer_load_dword v137, off, s[0:3], 0 offset:252
	buffer_load_dword v136, off, s[0:3], 0 offset:248
	buffer_load_dword v139, off, s[0:3], 0 offset:244
	buffer_load_dword v138, off, s[0:3], 0 offset:240
	buffer_load_dword v141, off, s[0:3], 0 offset:236
	buffer_load_dword v140, off, s[0:3], 0 offset:232
	buffer_load_dword v143, off, s[0:3], 0 offset:276
	buffer_load_dword v142, off, s[0:3], 0 offset:272
	buffer_load_dword v145, off, s[0:3], 0 offset:268
	buffer_load_dword v144, off, s[0:3], 0 offset:264
	v_mul_f32_e32 v5, v7, v5
	v_fma_f32 v5, v6, v156, -v5
	v_mul_f32_e32 v6, v9, v124
	v_add_f32_e32 v5, 0, v5
	v_fma_f32 v6, v8, v157, -v6
	v_add_f32_e32 v5, v5, v6
	v_mul_f32_e32 v6, v11, v130
	v_fma_f32 v6, v10, v158, -v6
	v_add_f32_e32 v5, v5, v6
	v_mul_f32_e32 v6, v13, v132
	v_fma_f32 v6, v12, v159, -v6
	v_add_f32_e32 v5, v5, v6
	v_mul_f32_e32 v6, v15, v146
	v_fma_f32 v6, v14, v160, -v6
	v_add_f32_e32 v5, v5, v6
	v_mul_f32_e32 v6, v17, v147
	v_fma_f32 v6, v16, v161, -v6
	v_add_f32_e32 v5, v5, v6
	v_mul_f32_e32 v6, v19, v148
	v_fma_f32 v6, v18, v162, -v6
	v_add_f32_e32 v5, v5, v6
	v_mul_f32_e32 v6, v21, v149
	v_fma_f32 v6, v20, v163, -v6
	v_add_f32_e32 v5, v5, v6
	v_mul_f32_e32 v6, v93, v150
	v_fma_f32 v6, v92, v164, -v6
	v_add_f32_e32 v5, v5, v6
	v_mul_f32_e32 v6, v95, v151
	v_fma_f32 v6, v94, v165, -v6
	v_add_f32_e32 v5, v5, v6
	v_mul_f32_e32 v6, v97, v152
	v_fma_f32 v6, v96, v166, -v6
	v_add_f32_e32 v5, v5, v6
	v_mul_f32_e32 v6, v99, v153
	v_fma_f32 v6, v98, v167, -v6
	v_add_f32_e32 v5, v5, v6
	v_mul_f32_e32 v6, v101, v154
	v_fma_f32 v6, v100, v168, -v6
	v_add_f32_e32 v5, v5, v6
	v_mul_f32_e32 v6, v103, v155
	v_fma_f32 v6, v102, v169, -v6
	v_add_f32_e32 v5, v5, v6
	v_mul_f32_e32 v6, v105, v170
	v_fma_f32 v6, v104, v171, -v6
	v_add_f32_e32 v5, v5, v6
	v_mul_f32_e32 v6, v107, v172
	v_fma_f32 v6, v106, v173, -v6
	v_add_f32_e32 v5, v5, v6
	v_mul_f32_e32 v6, v109, v174
	v_fma_f32 v6, v108, v175, -v6
	v_add_f32_e32 v5, v5, v6
	v_mul_f32_e32 v6, v111, v176
	v_fma_f32 v6, v110, v177, -v6
	v_add_f32_e32 v5, v5, v6
	v_mul_f32_e32 v6, v113, v178
	v_fma_f32 v6, v112, v179, -v6
	s_waitcnt vmcnt(21)
	v_mul_f32_e32 v131, v114, v180
	v_add_f32_e32 v124, v5, v6
	v_mul_f32_e32 v5, v115, v180
	s_waitcnt vmcnt(20)
	v_fmac_f32_e32 v131, v115, v181
	s_waitcnt vmcnt(19) lgkmcnt(1)
	v_mul_f32_e32 v133, v116, v182
	v_fma_f32 v130, v114, v181, -v5
	v_mul_f32_e32 v5, v117, v182
	s_waitcnt vmcnt(18)
	v_fmac_f32_e32 v133, v117, v183
	v_fma_f32 v132, v116, v183, -v5
	v_pk_add_f32 v[16:17], v[124:125], v[130:131]
	v_pk_add_f32 v[16:17], v[16:17], v[132:133]
	ds_read_b128 v[6:9], v4 offset:528
	ds_read_b128 v[10:13], v4 offset:544
	ds_read_b64 v[14:15], v4 offset:560
	s_waitcnt vmcnt(13)
	v_mov_b32_e32 v18, v129
	v_pk_mul_f32 v[18:19], v[118:119], v[18:19] op_sel_hi:[1,0]
	s_waitcnt vmcnt(12)
	v_pk_fma_f32 v[20:21], v[118:119], v[128:129], v[18:19] op_sel:[0,0,1] op_sel_hi:[1,1,0] neg_lo:[0,0,1] neg_hi:[0,0,1]
	v_pk_fma_f32 v[18:19], v[118:119], v[128:129], v[18:19] op_sel:[0,0,1] op_sel_hi:[1,0,0]
	v_mov_b32_e32 v18, v127
	v_mov_b32_e32 v21, v19
	s_waitcnt lgkmcnt(3)
	v_pk_mul_f32 v[18:19], v[120:121], v[18:19] op_sel_hi:[1,0]
	v_pk_add_f32 v[16:17], v[16:17], v[20:21]
	v_pk_fma_f32 v[20:21], v[120:121], v[126:127], v[18:19] op_sel:[0,0,1] op_sel_hi:[1,1,0] neg_lo:[0,0,1] neg_hi:[0,0,1]
	v_pk_fma_f32 v[18:19], v[120:121], v[126:127], v[18:19] op_sel:[0,0,1] op_sel_hi:[1,0,0]
	s_waitcnt vmcnt(5)
	v_mov_b32_e32 v18, v141
	v_mov_b32_e32 v21, v19
	v_pk_mul_f32 v[18:19], v[122:123], v[18:19] op_sel_hi:[1,0]
	v_pk_add_f32 v[16:17], v[16:17], v[20:21]
	s_waitcnt vmcnt(4)
	v_pk_fma_f32 v[20:21], v[122:123], v[140:141], v[18:19] op_sel:[0,0,1] op_sel_hi:[1,1,0] neg_lo:[0,0,1] neg_hi:[0,0,1]
	v_pk_fma_f32 v[18:19], v[122:123], v[140:141], v[18:19] op_sel:[0,0,1] op_sel_hi:[1,0,0]
	v_mov_b32_e32 v18, v139
	v_mov_b32_e32 v21, v19
	s_waitcnt lgkmcnt(2)
	v_pk_mul_f32 v[18:19], v[6:7], v[18:19] op_sel_hi:[1,0]
	v_pk_add_f32 v[16:17], v[16:17], v[20:21]
	v_pk_fma_f32 v[20:21], v[6:7], v[138:139], v[18:19] op_sel:[0,0,1] op_sel_hi:[1,1,0] neg_lo:[0,0,1] neg_hi:[0,0,1]
	v_pk_fma_f32 v[6:7], v[6:7], v[138:139], v[18:19] op_sel:[0,0,1] op_sel_hi:[1,0,0]
	v_mov_b32_e32 v21, v7
	v_pk_add_f32 v[6:7], v[16:17], v[20:21]
	v_mov_b32_e32 v16, v137
	v_pk_mul_f32 v[16:17], v[8:9], v[16:17] op_sel_hi:[1,0]
	v_pk_fma_f32 v[18:19], v[8:9], v[136:137], v[16:17] op_sel:[0,0,1] op_sel_hi:[1,1,0] neg_lo:[0,0,1] neg_hi:[0,0,1]
	v_pk_fma_f32 v[8:9], v[8:9], v[136:137], v[16:17] op_sel:[0,0,1] op_sel_hi:[1,0,0]
	v_mov_b32_e32 v8, v135
	v_mov_b32_e32 v19, v9
	s_waitcnt lgkmcnt(1)
	v_pk_mul_f32 v[8:9], v[10:11], v[8:9] op_sel_hi:[1,0]
	v_pk_fma_f32 v[16:17], v[10:11], v[134:135], v[8:9] op_sel:[0,0,1] op_sel_hi:[1,1,0] neg_lo:[0,0,1] neg_hi:[0,0,1]
	v_pk_fma_f32 v[8:9], v[10:11], v[134:135], v[8:9] op_sel:[0,0,1] op_sel_hi:[1,0,0]
	s_waitcnt vmcnt(1)
	v_mov_b32_e32 v8, v145
	v_mov_b32_e32 v17, v9
	v_pk_mul_f32 v[8:9], v[12:13], v[8:9] op_sel_hi:[1,0]
	s_waitcnt vmcnt(0)
	v_pk_fma_f32 v[10:11], v[12:13], v[144:145], v[8:9] op_sel:[0,0,1] op_sel_hi:[1,1,0] neg_lo:[0,0,1] neg_hi:[0,0,1]
	v_pk_fma_f32 v[8:9], v[12:13], v[144:145], v[8:9] op_sel:[0,0,1] op_sel_hi:[1,0,0]
	v_pk_add_f32 v[6:7], v[6:7], v[18:19]
	v_mov_b32_e32 v8, v143
	v_pk_add_f32 v[6:7], v[6:7], v[16:17]
	v_mov_b32_e32 v11, v9
	s_waitcnt lgkmcnt(0)
	v_pk_mul_f32 v[8:9], v[14:15], v[8:9] op_sel_hi:[1,0]
	v_pk_add_f32 v[6:7], v[6:7], v[10:11]
	v_pk_fma_f32 v[10:11], v[14:15], v[142:143], v[8:9] op_sel:[0,0,1] op_sel_hi:[1,1,0] neg_lo:[0,0,1] neg_hi:[0,0,1]
	v_pk_fma_f32 v[8:9], v[14:15], v[142:143], v[8:9] op_sel:[0,0,1] op_sel_hi:[1,0,0]
	v_mov_b32_e32 v11, v9
	v_pk_add_f32 v[6:7], v[6:7], v[10:11]
	v_pk_add_f32 v[2:3], v[2:3], v[6:7] neg_lo:[0,1] neg_hi:[0,1]
	buffer_store_dword v3, off, s[0:3], 0 offset:44
	buffer_store_dword v2, off, s[0:3], 0 offset:40
	s_and_saveexec_b64 s[4:5], vcc
	s_cbranch_execz .LBB34_215
; %bb.214:
	buffer_load_dword v2, off, s[0:3], 0 offset:32
	buffer_load_dword v3, off, s[0:3], 0 offset:36
	s_waitcnt vmcnt(0)
	ds_write_b64 v1, v[2:3]
	buffer_store_dword v4, off, s[0:3], 0 offset:32
	buffer_store_dword v4, off, s[0:3], 0 offset:36
.LBB34_215:
	s_or_b64 exec, exec, s[4:5]
	s_waitcnt lgkmcnt(0)
	; wave barrier
	s_waitcnt lgkmcnt(0)
	buffer_load_dword v5, off, s[0:3], 0 offset:44
	buffer_load_dword v126, off, s[0:3], 0 offset:52
	;; [unrolled: 1-line block ×46, first 2 shown]
	ds_read2_b64 v[6:9], v4 offset0:41 offset1:42
	ds_read2_b64 v[10:13], v4 offset0:43 offset1:44
	;; [unrolled: 1-line block ×8, first 2 shown]
	v_cmp_lt_u32_e32 vcc, 3, v0
	s_waitcnt vmcnt(45) lgkmcnt(7)
	v_mul_f32_e32 v108, v6, v5
	s_waitcnt vmcnt(44)
	v_mul_f32_e32 v109, v8, v126
	s_waitcnt vmcnt(43) lgkmcnt(6)
	v_mul_f32_e32 v110, v10, v128
	s_waitcnt vmcnt(42)
	v_mul_f32_e32 v111, v12, v130
	;; [unrolled: 4-line block ×6, first 2 shown]
	s_waitcnt vmcnt(33) lgkmcnt(1)
	v_mul_f32_e32 v120, v100, v154
	s_waitcnt vmcnt(32)
	v_fmac_f32_e32 v108, v7, v155
	s_waitcnt vmcnt(31)
	v_fmac_f32_e32 v109, v9, v156
	v_add_f32_e32 v108, 0, v108
	s_waitcnt vmcnt(30)
	v_fmac_f32_e32 v110, v11, v157
	v_add_f32_e32 v108, v108, v109
	;; [unrolled: 3-line block ×12, first 2 shown]
	s_waitcnt vmcnt(19)
	v_mul_f32_e32 v109, v102, v168
	v_add_f32_e32 v108, v108, v120
	s_waitcnt vmcnt(18)
	v_fmac_f32_e32 v109, v103, v169
	v_add_f32_e32 v108, v108, v109
	s_waitcnt vmcnt(17) lgkmcnt(0)
	v_mul_f32_e32 v109, v104, v170
	s_waitcnt vmcnt(16)
	v_fmac_f32_e32 v109, v105, v171
	v_add_f32_e32 v112, v108, v109
	ds_read2_b64 v[108:111], v4 offset0:57 offset1:58
	s_waitcnt vmcnt(15)
	v_mul_f32_e32 v113, v106, v172
	s_waitcnt vmcnt(14)
	v_fmac_f32_e32 v113, v107, v173
	v_add_f32_e32 v116, v112, v113
	ds_read2_b64 v[112:115], v4 offset0:59 offset1:60
	buffer_load_dword v125, off, s[0:3], 0 offset:220
	buffer_load_dword v124, off, s[0:3], 0 offset:216
	s_waitcnt vmcnt(15) lgkmcnt(1)
	v_mul_f32_e32 v117, v108, v174
	s_waitcnt vmcnt(14)
	v_fmac_f32_e32 v117, v109, v175
	v_add_f32_e32 v116, v116, v117
	s_waitcnt vmcnt(13)
	v_mul_f32_e32 v117, v110, v176
	s_waitcnt vmcnt(12)
	v_fmac_f32_e32 v117, v111, v177
	v_add_f32_e32 v116, v116, v117
	s_waitcnt vmcnt(11) lgkmcnt(0)
	v_mul_f32_e32 v117, v112, v178
	s_waitcnt vmcnt(10)
	v_fmac_f32_e32 v117, v113, v179
	s_waitcnt vmcnt(9)
	v_mul_f32_e32 v121, v114, v180
	v_add_f32_e32 v120, v116, v117
	s_waitcnt vmcnt(8)
	v_fmac_f32_e32 v121, v115, v181
	ds_read2_b64 v[116:119], v4 offset0:61 offset1:62
	v_add_f32_e32 v127, v120, v121
	ds_read2_b64 v[120:123], v4 offset0:63 offset1:64
	buffer_load_dword v133, off, s[0:3], 0 offset:252
	buffer_load_dword v132, off, s[0:3], 0 offset:248
	;; [unrolled: 1-line block ×14, first 2 shown]
	v_mul_f32_e32 v5, v7, v5
	v_fma_f32 v5, v6, v155, -v5
	v_mul_f32_e32 v6, v9, v126
	v_add_f32_e32 v5, 0, v5
	v_fma_f32 v6, v8, v156, -v6
	v_add_f32_e32 v5, v5, v6
	v_mul_f32_e32 v6, v11, v128
	v_fma_f32 v6, v10, v157, -v6
	v_add_f32_e32 v5, v5, v6
	v_mul_f32_e32 v6, v13, v130
	;; [unrolled: 3-line block ×18, first 2 shown]
	v_fma_f32 v6, v114, v181, -v6
	s_waitcnt vmcnt(21) lgkmcnt(1)
	v_mul_f32_e32 v129, v116, v182
	v_add_f32_e32 v126, v5, v6
	v_mul_f32_e32 v5, v117, v182
	s_waitcnt vmcnt(20)
	v_fmac_f32_e32 v129, v117, v183
	s_waitcnt vmcnt(15)
	v_mov_b32_e32 v18, v125
	s_waitcnt lgkmcnt(0)
	v_pk_mul_f32 v[18:19], v[120:121], v[18:19] op_sel_hi:[1,0]
	v_mul_f32_e32 v131, v118, v184
	v_fma_f32 v128, v116, v183, -v5
	v_mul_f32_e32 v5, v119, v184
	s_waitcnt vmcnt(14)
	v_pk_fma_f32 v[20:21], v[120:121], v[124:125], v[18:19] op_sel:[0,0,1] op_sel_hi:[1,1,0] neg_lo:[0,0,1] neg_hi:[0,0,1]
	v_pk_fma_f32 v[18:19], v[120:121], v[124:125], v[18:19] op_sel:[0,0,1] op_sel_hi:[1,0,0]
	v_fmac_f32_e32 v131, v119, v185
	v_fma_f32 v130, v118, v185, -v5
	ds_read2_b64 v[6:9], v4 offset0:65 offset1:66
	ds_read2_b64 v[10:13], v4 offset0:67 offset1:68
	;; [unrolled: 1-line block ×3, first 2 shown]
	v_pk_add_f32 v[4:5], v[126:127], v[128:129]
	s_waitcnt vmcnt(7)
	v_mov_b32_e32 v18, v139
	v_pk_add_f32 v[4:5], v[4:5], v[130:131]
	v_mov_b32_e32 v21, v19
	v_pk_mul_f32 v[18:19], v[122:123], v[18:19] op_sel_hi:[1,0]
	v_pk_add_f32 v[4:5], v[4:5], v[20:21]
	s_waitcnt vmcnt(6)
	v_pk_fma_f32 v[20:21], v[122:123], v[138:139], v[18:19] op_sel:[0,0,1] op_sel_hi:[1,1,0] neg_lo:[0,0,1] neg_hi:[0,0,1]
	v_pk_fma_f32 v[18:19], v[122:123], v[138:139], v[18:19] op_sel:[0,0,1] op_sel_hi:[1,0,0]
	v_mov_b32_e32 v18, v137
	v_mov_b32_e32 v21, v19
	s_waitcnt lgkmcnt(2)
	v_pk_mul_f32 v[18:19], v[6:7], v[18:19] op_sel_hi:[1,0]
	v_pk_add_f32 v[4:5], v[4:5], v[20:21]
	v_pk_fma_f32 v[20:21], v[6:7], v[136:137], v[18:19] op_sel:[0,0,1] op_sel_hi:[1,1,0] neg_lo:[0,0,1] neg_hi:[0,0,1]
	v_pk_fma_f32 v[6:7], v[6:7], v[136:137], v[18:19] op_sel:[0,0,1] op_sel_hi:[1,0,0]
	v_mov_b32_e32 v6, v135
	v_mov_b32_e32 v21, v7
	v_pk_mul_f32 v[6:7], v[8:9], v[6:7] op_sel_hi:[1,0]
	v_pk_fma_f32 v[18:19], v[8:9], v[134:135], v[6:7] op_sel:[0,0,1] op_sel_hi:[1,1,0] neg_lo:[0,0,1] neg_hi:[0,0,1]
	v_pk_fma_f32 v[6:7], v[8:9], v[134:135], v[6:7] op_sel:[0,0,1] op_sel_hi:[1,0,0]
	v_mov_b32_e32 v6, v133
	v_mov_b32_e32 v19, v7
	s_waitcnt lgkmcnt(1)
	v_pk_mul_f32 v[6:7], v[10:11], v[6:7] op_sel_hi:[1,0]
	v_pk_fma_f32 v[8:9], v[10:11], v[132:133], v[6:7] op_sel:[0,0,1] op_sel_hi:[1,1,0] neg_lo:[0,0,1] neg_hi:[0,0,1]
	v_pk_fma_f32 v[6:7], v[10:11], v[132:133], v[6:7] op_sel:[0,0,1] op_sel_hi:[1,0,0]
	v_pk_add_f32 v[4:5], v[4:5], v[20:21]
	s_waitcnt vmcnt(1)
	v_mov_b32_e32 v6, v145
	v_pk_add_f32 v[4:5], v[4:5], v[18:19]
	v_mov_b32_e32 v9, v7
	v_pk_mul_f32 v[6:7], v[12:13], v[6:7] op_sel_hi:[1,0]
	v_pk_add_f32 v[4:5], v[4:5], v[8:9]
	s_waitcnt vmcnt(0)
	v_pk_fma_f32 v[8:9], v[12:13], v[144:145], v[6:7] op_sel:[0,0,1] op_sel_hi:[1,1,0] neg_lo:[0,0,1] neg_hi:[0,0,1]
	v_pk_fma_f32 v[6:7], v[12:13], v[144:145], v[6:7] op_sel:[0,0,1] op_sel_hi:[1,0,0]
	v_mov_b32_e32 v6, v143
	v_mov_b32_e32 v9, v7
	s_waitcnt lgkmcnt(0)
	v_pk_mul_f32 v[6:7], v[14:15], v[6:7] op_sel_hi:[1,0]
	v_pk_add_f32 v[4:5], v[4:5], v[8:9]
	v_pk_fma_f32 v[8:9], v[14:15], v[142:143], v[6:7] op_sel:[0,0,1] op_sel_hi:[1,1,0] neg_lo:[0,0,1] neg_hi:[0,0,1]
	v_pk_fma_f32 v[6:7], v[14:15], v[142:143], v[6:7] op_sel:[0,0,1] op_sel_hi:[1,0,0]
	v_mov_b32_e32 v6, v141
	v_mov_b32_e32 v9, v7
	v_pk_mul_f32 v[6:7], v[16:17], v[6:7] op_sel_hi:[1,0]
	v_pk_add_f32 v[4:5], v[4:5], v[8:9]
	v_pk_fma_f32 v[8:9], v[16:17], v[140:141], v[6:7] op_sel:[0,0,1] op_sel_hi:[1,1,0] neg_lo:[0,0,1] neg_hi:[0,0,1]
	v_pk_fma_f32 v[6:7], v[16:17], v[140:141], v[6:7] op_sel:[0,0,1] op_sel_hi:[1,0,0]
	v_mov_b32_e32 v9, v7
	v_pk_add_f32 v[4:5], v[4:5], v[8:9]
	v_pk_add_f32 v[2:3], v[2:3], v[4:5] neg_lo:[0,1] neg_hi:[0,1]
	buffer_store_dword v3, off, s[0:3], 0 offset:36
	buffer_store_dword v2, off, s[0:3], 0 offset:32
	s_and_saveexec_b64 s[4:5], vcc
	s_cbranch_execz .LBB34_217
; %bb.216:
	buffer_load_dword v2, off, s[0:3], 0 offset:24
	buffer_load_dword v3, off, s[0:3], 0 offset:28
	v_mov_b32_e32 v4, 0
	buffer_store_dword v4, off, s[0:3], 0 offset:24
	buffer_store_dword v4, off, s[0:3], 0 offset:28
	s_waitcnt vmcnt(2)
	ds_write_b64 v1, v[2:3]
.LBB34_217:
	s_or_b64 exec, exec, s[4:5]
	s_waitcnt lgkmcnt(0)
	; wave barrier
	s_waitcnt lgkmcnt(0)
	buffer_load_dword v5, off, s[0:3], 0 offset:36
	buffer_load_dword v124, off, s[0:3], 0 offset:44
	;; [unrolled: 1-line block ×48, first 2 shown]
	v_mov_b32_e32 v4, 0
	ds_read_b128 v[6:9], v4 offset:320
	ds_read_b128 v[10:13], v4 offset:336
	;; [unrolled: 1-line block ×6, first 2 shown]
	v_cmp_lt_u32_e32 vcc, 2, v0
	s_waitcnt vmcnt(47) lgkmcnt(5)
	v_mul_f32_e32 v100, v6, v5
	s_waitcnt vmcnt(46)
	v_mul_f32_e32 v101, v8, v124
	s_waitcnt vmcnt(45) lgkmcnt(4)
	v_mul_f32_e32 v102, v10, v126
	s_waitcnt vmcnt(44)
	v_mul_f32_e32 v103, v12, v128
	;; [unrolled: 4-line block ×6, first 2 shown]
	s_waitcnt vmcnt(35)
	v_fmac_f32_e32 v100, v7, v154
	s_waitcnt vmcnt(34)
	v_fmac_f32_e32 v101, v9, v155
	v_add_f32_e32 v100, 0, v100
	s_waitcnt vmcnt(33)
	v_fmac_f32_e32 v102, v11, v156
	v_add_f32_e32 v100, v100, v101
	;; [unrolled: 3-line block ×8, first 2 shown]
	v_add_f32_e32 v104, v100, v108
	ds_read_b128 v[100:103], v4 offset:416
	s_waitcnt vmcnt(26)
	v_fmac_f32_e32 v109, v95, v163
	s_waitcnt vmcnt(25)
	v_fmac_f32_e32 v110, v97, v164
	v_add_f32_e32 v104, v104, v109
	s_waitcnt vmcnt(24)
	v_fmac_f32_e32 v111, v99, v165
	v_add_f32_e32 v104, v104, v110
	v_add_f32_e32 v108, v104, v111
	ds_read_b128 v[104:107], v4 offset:432
	s_waitcnt vmcnt(23) lgkmcnt(1)
	v_mul_f32_e32 v109, v100, v166
	s_waitcnt vmcnt(22)
	v_fmac_f32_e32 v109, v101, v167
	v_add_f32_e32 v108, v108, v109
	s_waitcnt vmcnt(21)
	v_mul_f32_e32 v109, v102, v168
	s_waitcnt vmcnt(20)
	v_fmac_f32_e32 v109, v103, v169
	v_add_f32_e32 v108, v108, v109
	s_waitcnt vmcnt(19) lgkmcnt(0)
	v_mul_f32_e32 v109, v104, v170
	s_waitcnt vmcnt(18)
	v_fmac_f32_e32 v109, v105, v171
	v_add_f32_e32 v112, v108, v109
	ds_read_b128 v[108:111], v4 offset:448
	s_waitcnt vmcnt(17)
	v_mul_f32_e32 v113, v106, v172
	s_waitcnt vmcnt(16)
	v_fmac_f32_e32 v113, v107, v173
	v_add_f32_e32 v116, v112, v113
	ds_read_b128 v[112:115], v4 offset:464
	s_waitcnt vmcnt(15) lgkmcnt(1)
	v_mul_f32_e32 v117, v108, v174
	s_waitcnt vmcnt(14)
	v_fmac_f32_e32 v117, v109, v175
	v_add_f32_e32 v116, v116, v117
	s_waitcnt vmcnt(13)
	v_mul_f32_e32 v117, v110, v176
	s_waitcnt vmcnt(12)
	v_fmac_f32_e32 v117, v111, v177
	v_add_f32_e32 v116, v116, v117
	s_waitcnt vmcnt(11) lgkmcnt(0)
	v_mul_f32_e32 v117, v112, v178
	s_waitcnt vmcnt(10)
	v_fmac_f32_e32 v117, v113, v179
	s_waitcnt vmcnt(9)
	v_mul_f32_e32 v121, v114, v180
	v_add_f32_e32 v120, v116, v117
	s_waitcnt vmcnt(8)
	v_fmac_f32_e32 v121, v115, v181
	ds_read_b128 v[116:119], v4 offset:480
	v_add_f32_e32 v125, v120, v121
	ds_read_b128 v[120:123], v4 offset:496
	buffer_load_dword v131, off, s[0:3], 0 offset:244
	buffer_load_dword v130, off, s[0:3], 0 offset:240
	;; [unrolled: 1-line block ×16, first 2 shown]
	v_mul_f32_e32 v5, v7, v5
	v_fma_f32 v5, v6, v154, -v5
	v_mul_f32_e32 v6, v9, v124
	v_add_f32_e32 v5, 0, v5
	v_fma_f32 v6, v8, v155, -v6
	v_add_f32_e32 v5, v5, v6
	v_mul_f32_e32 v6, v11, v126
	v_fma_f32 v6, v10, v156, -v6
	v_add_f32_e32 v5, v5, v6
	v_mul_f32_e32 v6, v13, v128
	;; [unrolled: 3-line block ×18, first 2 shown]
	v_fma_f32 v6, v114, v181, -v6
	s_waitcnt vmcnt(22) lgkmcnt(1)
	v_mul_f32_e32 v127, v116, v183
	v_add_f32_e32 v5, v5, v6
	v_mul_f32_e32 v6, v117, v183
	v_fmac_f32_e32 v127, v117, v182
	v_fma_f32 v6, v116, v182, -v6
	v_add_f32_e32 v125, v125, v127
	s_waitcnt vmcnt(19)
	v_mul_f32_e32 v127, v118, v184
	v_add_f32_e32 v124, v5, v6
	v_mul_f32_e32 v5, v119, v184
	s_waitcnt vmcnt(18)
	v_fmac_f32_e32 v127, v119, v185
	s_waitcnt vmcnt(17) lgkmcnt(0)
	v_mul_f32_e32 v129, v120, v186
	s_waitcnt vmcnt(9)
	v_mov_b32_e32 v92, v137
	v_pk_mul_f32 v[92:93], v[122:123], v[92:93] op_sel_hi:[1,0]
	v_fma_f32 v126, v118, v185, -v5
	v_mul_f32_e32 v5, v121, v186
	ds_read_b128 v[6:9], v4 offset:512
	ds_read_b128 v[10:13], v4 offset:528
	;; [unrolled: 1-line block ×3, first 2 shown]
	ds_read_b64 v[18:19], v4 offset:560
	s_waitcnt vmcnt(8)
	v_pk_fma_f32 v[94:95], v[122:123], v[136:137], v[92:93] op_sel:[0,0,1] op_sel_hi:[1,1,0] neg_lo:[0,0,1] neg_hi:[0,0,1]
	v_pk_fma_f32 v[92:93], v[122:123], v[136:137], v[92:93] op_sel:[0,0,1] op_sel_hi:[1,0,0]
	v_fmac_f32_e32 v129, v121, v187
	v_fma_f32 v128, v120, v187, -v5
	v_pk_add_f32 v[20:21], v[124:125], v[126:127]
	v_mov_b32_e32 v92, v135
	v_pk_add_f32 v[20:21], v[20:21], v[128:129]
	v_mov_b32_e32 v95, v93
	s_waitcnt lgkmcnt(3)
	v_pk_mul_f32 v[92:93], v[6:7], v[92:93] op_sel_hi:[1,0]
	v_pk_add_f32 v[20:21], v[20:21], v[94:95]
	v_pk_fma_f32 v[94:95], v[6:7], v[134:135], v[92:93] op_sel:[0,0,1] op_sel_hi:[1,1,0] neg_lo:[0,0,1] neg_hi:[0,0,1]
	v_pk_fma_f32 v[6:7], v[6:7], v[134:135], v[92:93] op_sel:[0,0,1] op_sel_hi:[1,0,0]
	v_mov_b32_e32 v95, v7
	v_pk_add_f32 v[6:7], v[20:21], v[94:95]
	v_mov_b32_e32 v20, v133
	v_pk_mul_f32 v[20:21], v[8:9], v[20:21] op_sel_hi:[1,0]
	v_pk_fma_f32 v[92:93], v[8:9], v[132:133], v[20:21] op_sel:[0,0,1] op_sel_hi:[1,1,0] neg_lo:[0,0,1] neg_hi:[0,0,1]
	v_pk_fma_f32 v[8:9], v[8:9], v[132:133], v[20:21] op_sel:[0,0,1] op_sel_hi:[1,0,0]
	v_mov_b32_e32 v8, v131
	v_mov_b32_e32 v93, v9
	s_waitcnt lgkmcnt(2)
	v_pk_mul_f32 v[8:9], v[10:11], v[8:9] op_sel_hi:[1,0]
	v_pk_fma_f32 v[20:21], v[10:11], v[130:131], v[8:9] op_sel:[0,0,1] op_sel_hi:[1,1,0] neg_lo:[0,0,1] neg_hi:[0,0,1]
	v_pk_fma_f32 v[8:9], v[10:11], v[130:131], v[8:9] op_sel:[0,0,1] op_sel_hi:[1,0,0]
	s_waitcnt vmcnt(1)
	v_mov_b32_e32 v8, v145
	v_mov_b32_e32 v21, v9
	v_pk_mul_f32 v[8:9], v[12:13], v[8:9] op_sel_hi:[1,0]
	s_waitcnt vmcnt(0)
	v_pk_fma_f32 v[10:11], v[12:13], v[144:145], v[8:9] op_sel:[0,0,1] op_sel_hi:[1,1,0] neg_lo:[0,0,1] neg_hi:[0,0,1]
	v_pk_fma_f32 v[8:9], v[12:13], v[144:145], v[8:9] op_sel:[0,0,1] op_sel_hi:[1,0,0]
	v_pk_add_f32 v[6:7], v[6:7], v[92:93]
	v_mov_b32_e32 v8, v143
	v_pk_add_f32 v[6:7], v[6:7], v[20:21]
	v_mov_b32_e32 v11, v9
	s_waitcnt lgkmcnt(1)
	v_pk_mul_f32 v[8:9], v[14:15], v[8:9] op_sel_hi:[1,0]
	v_pk_add_f32 v[6:7], v[6:7], v[10:11]
	v_pk_fma_f32 v[10:11], v[14:15], v[142:143], v[8:9] op_sel:[0,0,1] op_sel_hi:[1,1,0] neg_lo:[0,0,1] neg_hi:[0,0,1]
	v_pk_fma_f32 v[8:9], v[14:15], v[142:143], v[8:9] op_sel:[0,0,1] op_sel_hi:[1,0,0]
	v_mov_b32_e32 v8, v141
	v_mov_b32_e32 v11, v9
	v_pk_mul_f32 v[8:9], v[16:17], v[8:9] op_sel_hi:[1,0]
	v_pk_add_f32 v[6:7], v[6:7], v[10:11]
	v_pk_fma_f32 v[10:11], v[16:17], v[140:141], v[8:9] op_sel:[0,0,1] op_sel_hi:[1,1,0] neg_lo:[0,0,1] neg_hi:[0,0,1]
	v_pk_fma_f32 v[8:9], v[16:17], v[140:141], v[8:9] op_sel:[0,0,1] op_sel_hi:[1,0,0]
	v_mov_b32_e32 v8, v139
	v_mov_b32_e32 v11, v9
	s_waitcnt lgkmcnt(0)
	v_pk_mul_f32 v[8:9], v[18:19], v[8:9] op_sel_hi:[1,0]
	v_pk_add_f32 v[6:7], v[6:7], v[10:11]
	v_pk_fma_f32 v[10:11], v[18:19], v[138:139], v[8:9] op_sel:[0,0,1] op_sel_hi:[1,1,0] neg_lo:[0,0,1] neg_hi:[0,0,1]
	v_pk_fma_f32 v[8:9], v[18:19], v[138:139], v[8:9] op_sel:[0,0,1] op_sel_hi:[1,0,0]
	v_mov_b32_e32 v11, v9
	v_pk_add_f32 v[6:7], v[6:7], v[10:11]
	v_pk_add_f32 v[2:3], v[2:3], v[6:7] neg_lo:[0,1] neg_hi:[0,1]
	buffer_store_dword v3, off, s[0:3], 0 offset:28
	buffer_store_dword v2, off, s[0:3], 0 offset:24
	s_and_saveexec_b64 s[4:5], vcc
	s_cbranch_execz .LBB34_219
; %bb.218:
	buffer_load_dword v2, off, s[0:3], 0 offset:16
	buffer_load_dword v3, off, s[0:3], 0 offset:20
	s_waitcnt vmcnt(0)
	ds_write_b64 v1, v[2:3]
	buffer_store_dword v4, off, s[0:3], 0 offset:16
	buffer_store_dword v4, off, s[0:3], 0 offset:20
.LBB34_219:
	s_or_b64 exec, exec, s[4:5]
	s_waitcnt lgkmcnt(0)
	; wave barrier
	s_waitcnt lgkmcnt(0)
	buffer_load_dword v5, off, s[0:3], 0 offset:28
	buffer_load_dword v124, off, s[0:3], 0 offset:36
	;; [unrolled: 1-line block ×48, first 2 shown]
	ds_read2_b64 v[6:9], v4 offset0:39 offset1:40
	ds_read2_b64 v[10:13], v4 offset0:41 offset1:42
	ds_read2_b64 v[14:17], v4 offset0:43 offset1:44
	ds_read2_b64 v[18:21], v4 offset0:45 offset1:46
	ds_read2_b64 v[92:95], v4 offset0:47 offset1:48
	ds_read2_b64 v[96:99], v4 offset0:49 offset1:50
	buffer_load_dword v188, off, s[0:3], 0 offset:208
	buffer_load_dword v189, off, s[0:3], 0 offset:212
	v_cmp_lt_u32_e32 vcc, 1, v0
	s_waitcnt vmcnt(49) lgkmcnt(5)
	v_mul_f32_e32 v100, v6, v5
	s_waitcnt vmcnt(48)
	v_mul_f32_e32 v101, v8, v124
	s_waitcnt vmcnt(47) lgkmcnt(4)
	v_mul_f32_e32 v102, v10, v126
	s_waitcnt vmcnt(46)
	v_mul_f32_e32 v103, v12, v134
	;; [unrolled: 4-line block ×6, first 2 shown]
	s_waitcnt vmcnt(37)
	v_fmac_f32_e32 v100, v7, v154
	s_waitcnt vmcnt(36)
	v_fmac_f32_e32 v101, v9, v155
	v_add_f32_e32 v100, 0, v100
	s_waitcnt vmcnt(35)
	v_fmac_f32_e32 v102, v11, v156
	v_add_f32_e32 v100, v100, v101
	;; [unrolled: 3-line block ×9, first 2 shown]
	v_add_f32_e32 v104, v100, v109
	ds_read2_b64 v[100:103], v4 offset0:51 offset1:52
	s_waitcnt vmcnt(27)
	v_fmac_f32_e32 v110, v97, v164
	v_add_f32_e32 v104, v104, v110
	s_waitcnt vmcnt(26)
	v_fmac_f32_e32 v111, v99, v165
	v_add_f32_e32 v108, v104, v111
	ds_read2_b64 v[104:107], v4 offset0:53 offset1:54
	s_waitcnt vmcnt(25) lgkmcnt(1)
	v_mul_f32_e32 v109, v100, v166
	s_waitcnt vmcnt(24)
	v_fmac_f32_e32 v109, v101, v167
	v_add_f32_e32 v108, v108, v109
	s_waitcnt vmcnt(23)
	v_mul_f32_e32 v109, v102, v168
	s_waitcnt vmcnt(22)
	v_fmac_f32_e32 v109, v103, v169
	v_add_f32_e32 v108, v108, v109
	s_waitcnt vmcnt(21) lgkmcnt(0)
	v_mul_f32_e32 v109, v104, v170
	s_waitcnt vmcnt(20)
	v_fmac_f32_e32 v109, v105, v171
	v_add_f32_e32 v112, v108, v109
	ds_read2_b64 v[108:111], v4 offset0:55 offset1:56
	s_waitcnt vmcnt(19)
	v_mul_f32_e32 v113, v106, v172
	s_waitcnt vmcnt(18)
	v_fmac_f32_e32 v113, v107, v173
	v_add_f32_e32 v116, v112, v113
	ds_read2_b64 v[112:115], v4 offset0:57 offset1:58
	s_waitcnt vmcnt(17) lgkmcnt(1)
	v_mul_f32_e32 v117, v108, v174
	s_waitcnt vmcnt(16)
	v_fmac_f32_e32 v117, v109, v175
	v_add_f32_e32 v116, v116, v117
	s_waitcnt vmcnt(15)
	v_mul_f32_e32 v117, v110, v176
	s_waitcnt vmcnt(14)
	v_fmac_f32_e32 v117, v111, v177
	v_add_f32_e32 v116, v116, v117
	s_waitcnt vmcnt(13) lgkmcnt(0)
	v_mul_f32_e32 v117, v112, v178
	s_waitcnt vmcnt(12)
	v_fmac_f32_e32 v117, v113, v179
	s_waitcnt vmcnt(11)
	v_mul_f32_e32 v121, v114, v180
	v_add_f32_e32 v120, v116, v117
	s_waitcnt vmcnt(10)
	v_fmac_f32_e32 v121, v115, v181
	ds_read2_b64 v[116:119], v4 offset0:59 offset1:60
	v_add_f32_e32 v125, v120, v121
	ds_read2_b64 v[120:123], v4 offset0:61 offset1:62
	buffer_load_dword v129, off, s[0:3], 0 offset:236
	buffer_load_dword v128, off, s[0:3], 0 offset:232
	;; [unrolled: 1-line block ×16, first 2 shown]
	v_mul_f32_e32 v5, v7, v5
	v_fma_f32 v5, v6, v154, -v5
	v_mul_f32_e32 v6, v9, v124
	v_add_f32_e32 v5, 0, v5
	v_fma_f32 v6, v8, v155, -v6
	v_add_f32_e32 v5, v5, v6
	v_mul_f32_e32 v6, v11, v126
	v_fma_f32 v6, v10, v156, -v6
	v_add_f32_e32 v5, v5, v6
	v_mul_f32_e32 v6, v13, v134
	;; [unrolled: 3-line block ×18, first 2 shown]
	v_fma_f32 v6, v114, v181, -v6
	v_add_f32_e32 v5, v5, v6
	s_waitcnt vmcnt(23) lgkmcnt(1)
	v_mul_f32_e32 v6, v117, v182
	s_waitcnt vmcnt(22)
	v_fma_f32 v6, v116, v183, -v6
	v_add_f32_e32 v5, v5, v6
	s_waitcnt vmcnt(20)
	v_mul_f32_e32 v6, v119, v185
	v_fma_f32 v6, v118, v184, -v6
	v_add_f32_e32 v124, v5, v6
	ds_read2_b64 v[6:9], v4 offset0:63 offset1:64
	ds_read2_b64 v[10:13], v4 offset0:65 offset1:66
	;; [unrolled: 1-line block ×4, first 2 shown]
	v_mul_f32_e32 v127, v116, v182
	v_fmac_f32_e32 v127, v117, v183
	v_add_f32_e32 v125, v125, v127
	v_mul_f32_e32 v127, v118, v185
	v_fmac_f32_e32 v127, v119, v184
	v_add_f32_e32 v125, v125, v127
	s_waitcnt vmcnt(18) lgkmcnt(4)
	v_mul_f32_e32 v127, v120, v187
	v_mul_f32_e32 v5, v121, v187
	v_fmac_f32_e32 v127, v121, v186
	s_waitcnt vmcnt(16)
	v_mul_f32_e32 v135, v122, v189
	s_waitcnt vmcnt(11)
	v_mov_b32_e32 v92, v133
	s_waitcnt lgkmcnt(3)
	v_pk_mul_f32 v[92:93], v[6:7], v[92:93] op_sel_hi:[1,0]
	s_waitcnt vmcnt(10)
	v_pk_fma_f32 v[94:95], v[6:7], v[132:133], v[92:93] op_sel:[0,0,1] op_sel_hi:[1,1,0] neg_lo:[0,0,1] neg_hi:[0,0,1]
	v_pk_fma_f32 v[6:7], v[6:7], v[132:133], v[92:93] op_sel:[0,0,1] op_sel_hi:[1,0,0]
	v_mov_b32_e32 v6, v131
	v_mov_b32_e32 v95, v7
	v_pk_mul_f32 v[6:7], v[8:9], v[6:7] op_sel_hi:[1,0]
	v_pk_fma_f32 v[92:93], v[8:9], v[130:131], v[6:7] op_sel:[0,0,1] op_sel_hi:[1,1,0] neg_lo:[0,0,1] neg_hi:[0,0,1]
	v_pk_fma_f32 v[6:7], v[8:9], v[130:131], v[6:7] op_sel:[0,0,1] op_sel_hi:[1,0,0]
	v_fma_f32 v126, v120, v186, -v5
	v_mul_f32_e32 v5, v123, v189
	v_mov_b32_e32 v6, v129
	v_fmac_f32_e32 v135, v123, v188
	v_fma_f32 v134, v122, v188, -v5
	v_pk_add_f32 v[4:5], v[124:125], v[126:127]
	v_mov_b32_e32 v93, v7
	s_waitcnt lgkmcnt(2)
	v_pk_mul_f32 v[6:7], v[10:11], v[6:7] op_sel_hi:[1,0]
	v_pk_add_f32 v[4:5], v[4:5], v[134:135]
	v_pk_fma_f32 v[8:9], v[10:11], v[128:129], v[6:7] op_sel:[0,0,1] op_sel_hi:[1,1,0] neg_lo:[0,0,1] neg_hi:[0,0,1]
	v_pk_fma_f32 v[6:7], v[10:11], v[128:129], v[6:7] op_sel:[0,0,1] op_sel_hi:[1,0,0]
	v_pk_add_f32 v[4:5], v[4:5], v[94:95]
	s_waitcnt vmcnt(3)
	v_mov_b32_e32 v6, v143
	v_pk_add_f32 v[4:5], v[4:5], v[92:93]
	v_mov_b32_e32 v9, v7
	v_pk_mul_f32 v[6:7], v[12:13], v[6:7] op_sel_hi:[1,0]
	v_pk_add_f32 v[4:5], v[4:5], v[8:9]
	s_waitcnt vmcnt(2)
	v_pk_fma_f32 v[8:9], v[12:13], v[142:143], v[6:7] op_sel:[0,0,1] op_sel_hi:[1,1,0] neg_lo:[0,0,1] neg_hi:[0,0,1]
	v_pk_fma_f32 v[6:7], v[12:13], v[142:143], v[6:7] op_sel:[0,0,1] op_sel_hi:[1,0,0]
	v_mov_b32_e32 v6, v141
	v_mov_b32_e32 v9, v7
	s_waitcnt lgkmcnt(1)
	v_pk_mul_f32 v[6:7], v[14:15], v[6:7] op_sel_hi:[1,0]
	v_pk_add_f32 v[4:5], v[4:5], v[8:9]
	v_pk_fma_f32 v[8:9], v[14:15], v[140:141], v[6:7] op_sel:[0,0,1] op_sel_hi:[1,1,0] neg_lo:[0,0,1] neg_hi:[0,0,1]
	v_pk_fma_f32 v[6:7], v[14:15], v[140:141], v[6:7] op_sel:[0,0,1] op_sel_hi:[1,0,0]
	v_mov_b32_e32 v6, v139
	v_mov_b32_e32 v9, v7
	v_pk_mul_f32 v[6:7], v[16:17], v[6:7] op_sel_hi:[1,0]
	v_pk_add_f32 v[4:5], v[4:5], v[8:9]
	v_pk_fma_f32 v[8:9], v[16:17], v[138:139], v[6:7] op_sel:[0,0,1] op_sel_hi:[1,1,0] neg_lo:[0,0,1] neg_hi:[0,0,1]
	v_pk_fma_f32 v[6:7], v[16:17], v[138:139], v[6:7] op_sel:[0,0,1] op_sel_hi:[1,0,0]
	v_mov_b32_e32 v6, v137
	v_mov_b32_e32 v9, v7
	s_waitcnt lgkmcnt(0)
	v_pk_mul_f32 v[6:7], v[18:19], v[6:7] op_sel_hi:[1,0]
	v_pk_add_f32 v[4:5], v[4:5], v[8:9]
	v_pk_fma_f32 v[8:9], v[18:19], v[136:137], v[6:7] op_sel:[0,0,1] op_sel_hi:[1,1,0] neg_lo:[0,0,1] neg_hi:[0,0,1]
	v_pk_fma_f32 v[6:7], v[18:19], v[136:137], v[6:7] op_sel:[0,0,1] op_sel_hi:[1,0,0]
	s_waitcnt vmcnt(1)
	v_mov_b32_e32 v6, v145
	v_mov_b32_e32 v9, v7
	v_pk_mul_f32 v[6:7], v[20:21], v[6:7] op_sel_hi:[1,0]
	v_pk_add_f32 v[4:5], v[4:5], v[8:9]
	s_waitcnt vmcnt(0)
	v_pk_fma_f32 v[8:9], v[20:21], v[144:145], v[6:7] op_sel:[0,0,1] op_sel_hi:[1,1,0] neg_lo:[0,0,1] neg_hi:[0,0,1]
	v_pk_fma_f32 v[6:7], v[20:21], v[144:145], v[6:7] op_sel:[0,0,1] op_sel_hi:[1,0,0]
	v_mov_b32_e32 v9, v7
	v_pk_add_f32 v[4:5], v[4:5], v[8:9]
	v_pk_add_f32 v[2:3], v[2:3], v[4:5] neg_lo:[0,1] neg_hi:[0,1]
	buffer_store_dword v3, off, s[0:3], 0 offset:20
	buffer_store_dword v2, off, s[0:3], 0 offset:16
	s_and_saveexec_b64 s[4:5], vcc
	s_cbranch_execz .LBB34_221
; %bb.220:
	buffer_load_dword v2, off, s[0:3], 0 offset:8
	buffer_load_dword v3, off, s[0:3], 0 offset:12
	v_mov_b32_e32 v4, 0
	buffer_store_dword v4, off, s[0:3], 0 offset:8
	buffer_store_dword v4, off, s[0:3], 0 offset:12
	s_waitcnt vmcnt(2)
	ds_write_b64 v1, v[2:3]
.LBB34_221:
	s_or_b64 exec, exec, s[4:5]
	s_waitcnt lgkmcnt(0)
	; wave barrier
	s_waitcnt lgkmcnt(0)
	buffer_load_dword v5, off, s[0:3], 0 offset:20
	buffer_load_dword v132, off, s[0:3], 0 offset:28
	;; [unrolled: 1-line block ×52, first 2 shown]
	v_mov_b32_e32 v4, 0
	ds_read_b128 v[6:9], v4 offset:304
	ds_read_b128 v[10:13], v4 offset:320
	;; [unrolled: 1-line block ×6, first 2 shown]
	v_cmp_ne_u32_e32 vcc, 0, v0
	s_waitcnt vmcnt(51) lgkmcnt(5)
	v_mul_f32_e32 v100, v6, v5
	s_waitcnt vmcnt(50)
	v_mul_f32_e32 v101, v8, v132
	s_waitcnt vmcnt(49) lgkmcnt(4)
	v_mul_f32_e32 v102, v10, v138
	s_waitcnt vmcnt(48)
	v_mul_f32_e32 v103, v12, v140
	;; [unrolled: 4-line block ×5, first 2 shown]
	s_waitcnt vmcnt(41) lgkmcnt(0)
	v_mul_f32_e32 v110, v96, v160
	s_waitcnt vmcnt(40)
	v_fmac_f32_e32 v100, v7, v161
	s_waitcnt vmcnt(39)
	v_fmac_f32_e32 v101, v9, v162
	v_add_f32_e32 v100, 0, v100
	s_waitcnt vmcnt(38)
	v_fmac_f32_e32 v102, v11, v163
	v_add_f32_e32 v100, v100, v101
	s_waitcnt vmcnt(37)
	v_fmac_f32_e32 v103, v13, v164
	v_add_f32_e32 v100, v100, v102
	s_waitcnt vmcnt(36)
	v_fmac_f32_e32 v104, v15, v165
	v_add_f32_e32 v100, v100, v103
	s_waitcnt vmcnt(35)
	v_fmac_f32_e32 v105, v17, v166
	v_add_f32_e32 v100, v100, v104
	s_waitcnt vmcnt(34)
	v_fmac_f32_e32 v106, v19, v167
	v_add_f32_e32 v100, v100, v105
	s_waitcnt vmcnt(33)
	v_fmac_f32_e32 v107, v21, v168
	v_add_f32_e32 v100, v100, v106
	s_waitcnt vmcnt(32)
	v_fmac_f32_e32 v108, v93, v169
	v_add_f32_e32 v100, v100, v107
	s_waitcnt vmcnt(31)
	v_fmac_f32_e32 v109, v95, v170
	v_add_f32_e32 v100, v100, v108
	v_add_f32_e32 v100, v100, v109
	s_waitcnt vmcnt(30)
	v_fmac_f32_e32 v110, v97, v171
	v_add_f32_e32 v104, v100, v110
	ds_read_b128 v[100:103], v4 offset:400
	s_waitcnt vmcnt(29)
	v_mul_f32_e32 v105, v98, v172
	s_waitcnt vmcnt(28)
	v_fmac_f32_e32 v105, v99, v173
	v_add_f32_e32 v108, v104, v105
	ds_read_b128 v[104:107], v4 offset:416
	s_waitcnt vmcnt(27) lgkmcnt(1)
	v_mul_f32_e32 v109, v100, v174
	s_waitcnt vmcnt(26)
	v_fmac_f32_e32 v109, v101, v175
	v_add_f32_e32 v108, v108, v109
	s_waitcnt vmcnt(25)
	v_mul_f32_e32 v109, v102, v176
	s_waitcnt vmcnt(24)
	v_fmac_f32_e32 v109, v103, v177
	v_add_f32_e32 v108, v108, v109
	s_waitcnt vmcnt(23) lgkmcnt(0)
	v_mul_f32_e32 v109, v104, v178
	s_waitcnt vmcnt(22)
	v_fmac_f32_e32 v109, v105, v179
	v_add_f32_e32 v112, v108, v109
	ds_read_b128 v[108:111], v4 offset:432
	s_waitcnt vmcnt(21)
	v_mul_f32_e32 v113, v106, v180
	s_waitcnt vmcnt(20)
	v_fmac_f32_e32 v113, v107, v181
	v_add_f32_e32 v116, v112, v113
	ds_read_b128 v[112:115], v4 offset:448
	s_waitcnt vmcnt(19) lgkmcnt(1)
	v_mul_f32_e32 v117, v108, v182
	s_waitcnt vmcnt(18)
	v_fmac_f32_e32 v117, v109, v183
	v_add_f32_e32 v116, v116, v117
	s_waitcnt vmcnt(17)
	v_mul_f32_e32 v117, v110, v184
	s_waitcnt vmcnt(16)
	v_fmac_f32_e32 v117, v111, v185
	v_add_f32_e32 v116, v116, v117
	s_waitcnt vmcnt(14) lgkmcnt(0)
	v_mul_f32_e32 v117, v112, v187
	v_fmac_f32_e32 v117, v113, v186
	v_add_f32_e32 v120, v116, v117
	ds_read_b128 v[116:119], v4 offset:464
	s_waitcnt vmcnt(10)
	v_mul_f32_e32 v121, v114, v189
	v_fmac_f32_e32 v121, v115, v188
	v_add_f32_e32 v124, v120, v121
	ds_read_b128 v[120:123], v4 offset:480
	s_waitcnt vmcnt(8) lgkmcnt(1)
	v_mul_f32_e32 v125, v116, v191
	v_fmac_f32_e32 v125, v117, v190
	v_add_f32_e32 v124, v124, v125
	s_waitcnt vmcnt(6)
	v_mul_f32_e32 v125, v118, v193
	v_fmac_f32_e32 v125, v119, v192
	v_add_f32_e32 v124, v124, v125
	s_waitcnt vmcnt(4) lgkmcnt(0)
	v_mul_f32_e32 v125, v120, v195
	v_fmac_f32_e32 v125, v121, v194
	v_add_f32_e32 v133, v124, v125
	ds_read_b128 v[124:127], v4 offset:496
	buffer_load_dword v135, off, s[0:3], 0 offset:228
	buffer_load_dword v134, off, s[0:3], 0 offset:224
	;; [unrolled: 1-line block ×4, first 2 shown]
	ds_read_b128 v[128:131], v4 offset:512
	buffer_load_dword v143, off, s[0:3], 0 offset:260
	buffer_load_dword v142, off, s[0:3], 0 offset:256
	;; [unrolled: 1-line block ×12, first 2 shown]
	v_mul_f32_e32 v5, v7, v5
	v_fma_f32 v5, v6, v161, -v5
	v_mul_f32_e32 v6, v9, v132
	v_add_f32_e32 v5, 0, v5
	v_fma_f32 v6, v8, v162, -v6
	v_add_f32_e32 v5, v5, v6
	v_mul_f32_e32 v6, v11, v138
	v_fma_f32 v6, v10, v163, -v6
	v_add_f32_e32 v5, v5, v6
	v_mul_f32_e32 v6, v13, v140
	;; [unrolled: 3-line block ×21, first 2 shown]
	v_fma_f32 v6, v120, v194, -v6
	s_waitcnt vmcnt(18)
	v_mul_f32_e32 v139, v122, v197
	v_add_f32_e32 v132, v5, v6
	v_mul_f32_e32 v5, v123, v197
	v_fmac_f32_e32 v139, v123, v196
	s_waitcnt vmcnt(16) lgkmcnt(1)
	v_mul_f32_e32 v141, v124, v199
	v_fma_f32 v138, v122, v196, -v5
	v_mul_f32_e32 v5, v125, v199
	v_fmac_f32_e32 v141, v125, v198
	s_waitcnt vmcnt(13)
	v_mov_b32_e32 v18, v137
	v_pk_mul_f32 v[18:19], v[126:127], v[18:19] op_sel_hi:[1,0]
	s_waitcnt vmcnt(12)
	v_pk_fma_f32 v[20:21], v[126:127], v[136:137], v[18:19] op_sel:[0,0,1] op_sel_hi:[1,1,0] neg_lo:[0,0,1] neg_hi:[0,0,1]
	v_pk_fma_f32 v[18:19], v[126:127], v[136:137], v[18:19] op_sel:[0,0,1] op_sel_hi:[1,0,0]
	v_fma_f32 v140, v124, v198, -v5
	v_pk_add_f32 v[16:17], v[132:133], v[138:139]
	v_mov_b32_e32 v18, v135
	v_pk_add_f32 v[16:17], v[16:17], v[140:141]
	v_mov_b32_e32 v21, v19
	s_waitcnt lgkmcnt(0)
	v_pk_mul_f32 v[18:19], v[128:129], v[18:19] op_sel_hi:[1,0]
	v_pk_add_f32 v[16:17], v[16:17], v[20:21]
	v_pk_fma_f32 v[20:21], v[128:129], v[134:135], v[18:19] op_sel:[0,0,1] op_sel_hi:[1,1,0] neg_lo:[0,0,1] neg_hi:[0,0,1]
	v_pk_fma_f32 v[18:19], v[128:129], v[134:135], v[18:19] op_sel:[0,0,1] op_sel_hi:[1,0,0]
	s_waitcnt vmcnt(5)
	v_mov_b32_e32 v18, v149
	ds_read_b128 v[6:9], v4 offset:528
	ds_read_b128 v[10:13], v4 offset:544
	ds_read_b64 v[14:15], v4 offset:560
	v_mov_b32_e32 v21, v19
	v_pk_mul_f32 v[18:19], v[130:131], v[18:19] op_sel_hi:[1,0]
	v_pk_add_f32 v[16:17], v[16:17], v[20:21]
	s_waitcnt vmcnt(4)
	v_pk_fma_f32 v[20:21], v[130:131], v[148:149], v[18:19] op_sel:[0,0,1] op_sel_hi:[1,1,0] neg_lo:[0,0,1] neg_hi:[0,0,1]
	v_pk_fma_f32 v[18:19], v[130:131], v[148:149], v[18:19] op_sel:[0,0,1] op_sel_hi:[1,0,0]
	v_mov_b32_e32 v18, v147
	v_mov_b32_e32 v21, v19
	s_waitcnt lgkmcnt(2)
	v_pk_mul_f32 v[18:19], v[6:7], v[18:19] op_sel_hi:[1,0]
	v_pk_add_f32 v[16:17], v[16:17], v[20:21]
	v_pk_fma_f32 v[20:21], v[6:7], v[146:147], v[18:19] op_sel:[0,0,1] op_sel_hi:[1,1,0] neg_lo:[0,0,1] neg_hi:[0,0,1]
	v_pk_fma_f32 v[6:7], v[6:7], v[146:147], v[18:19] op_sel:[0,0,1] op_sel_hi:[1,0,0]
	v_mov_b32_e32 v21, v7
	v_pk_add_f32 v[6:7], v[16:17], v[20:21]
	v_mov_b32_e32 v16, v145
	v_pk_mul_f32 v[16:17], v[8:9], v[16:17] op_sel_hi:[1,0]
	v_pk_fma_f32 v[18:19], v[8:9], v[144:145], v[16:17] op_sel:[0,0,1] op_sel_hi:[1,1,0] neg_lo:[0,0,1] neg_hi:[0,0,1]
	v_pk_fma_f32 v[8:9], v[8:9], v[144:145], v[16:17] op_sel:[0,0,1] op_sel_hi:[1,0,0]
	v_mov_b32_e32 v8, v143
	v_mov_b32_e32 v19, v9
	s_waitcnt lgkmcnt(1)
	v_pk_mul_f32 v[8:9], v[10:11], v[8:9] op_sel_hi:[1,0]
	v_pk_fma_f32 v[16:17], v[10:11], v[142:143], v[8:9] op_sel:[0,0,1] op_sel_hi:[1,1,0] neg_lo:[0,0,1] neg_hi:[0,0,1]
	v_pk_fma_f32 v[8:9], v[10:11], v[142:143], v[8:9] op_sel:[0,0,1] op_sel_hi:[1,0,0]
	s_waitcnt vmcnt(1)
	v_mov_b32_e32 v8, v153
	v_mov_b32_e32 v17, v9
	v_pk_mul_f32 v[8:9], v[12:13], v[8:9] op_sel_hi:[1,0]
	s_waitcnt vmcnt(0)
	v_pk_fma_f32 v[10:11], v[12:13], v[152:153], v[8:9] op_sel:[0,0,1] op_sel_hi:[1,1,0] neg_lo:[0,0,1] neg_hi:[0,0,1]
	v_pk_fma_f32 v[8:9], v[12:13], v[152:153], v[8:9] op_sel:[0,0,1] op_sel_hi:[1,0,0]
	v_pk_add_f32 v[6:7], v[6:7], v[18:19]
	v_mov_b32_e32 v8, v151
	v_pk_add_f32 v[6:7], v[6:7], v[16:17]
	v_mov_b32_e32 v11, v9
	s_waitcnt lgkmcnt(0)
	v_pk_mul_f32 v[8:9], v[14:15], v[8:9] op_sel_hi:[1,0]
	v_pk_add_f32 v[6:7], v[6:7], v[10:11]
	v_pk_fma_f32 v[10:11], v[14:15], v[150:151], v[8:9] op_sel:[0,0,1] op_sel_hi:[1,1,0] neg_lo:[0,0,1] neg_hi:[0,0,1]
	v_pk_fma_f32 v[8:9], v[14:15], v[150:151], v[8:9] op_sel:[0,0,1] op_sel_hi:[1,0,0]
	v_mov_b32_e32 v11, v9
	v_pk_add_f32 v[6:7], v[6:7], v[10:11]
	v_pk_add_f32 v[2:3], v[2:3], v[6:7] neg_lo:[0,1] neg_hi:[0,1]
	buffer_store_dword v3, off, s[0:3], 0 offset:12
	buffer_store_dword v2, off, s[0:3], 0 offset:8
	s_and_saveexec_b64 s[4:5], vcc
	s_cbranch_execz .LBB34_223
; %bb.222:
	buffer_load_dword v2, off, s[0:3], 0
	buffer_load_dword v3, off, s[0:3], 0 offset:4
	s_waitcnt vmcnt(0)
	ds_write_b64 v1, v[2:3]
	buffer_store_dword v4, off, s[0:3], 0
	buffer_store_dword v4, off, s[0:3], 0 offset:4
.LBB34_223:
	s_or_b64 exec, exec, s[4:5]
	s_waitcnt lgkmcnt(0)
	; wave barrier
	s_waitcnt lgkmcnt(0)
	buffer_load_dword v2, off, s[0:3], 0 offset:12
	buffer_load_dword v3, off, s[0:3], 0 offset:20
	;; [unrolled: 1-line block ×36, first 2 shown]
	buffer_load_dword v0, off, s[0:3], 0
	buffer_load_dword v1, off, s[0:3], 0 offset:4
	buffer_load_dword v184, off, s[0:3], 0 offset:156
	;; [unrolled: 1-line block ×5, first 2 shown]
	ds_read2_b64 v[6:9], v4 offset0:37 offset1:38
	ds_read2_b64 v[10:13], v4 offset0:39 offset1:40
	buffer_load_dword v188, off, s[0:3], 0 offset:168
	buffer_load_dword v189, off, s[0:3], 0 offset:172
	ds_read2_b64 v[14:17], v4 offset0:41 offset1:42
	ds_read2_b64 v[18:21], v4 offset0:43 offset1:44
	buffer_load_dword v190, off, s[0:3], 0 offset:176
	buffer_load_dword v191, off, s[0:3], 0 offset:180
	;; [unrolled: 1-line block ×4, first 2 shown]
	ds_read2_b64 v[92:95], v4 offset0:45 offset1:46
	ds_read2_b64 v[96:99], v4 offset0:47 offset1:48
	buffer_load_dword v194, off, s[0:3], 0 offset:192
	buffer_load_dword v195, off, s[0:3], 0 offset:196
	;; [unrolled: 1-line block ×6, first 2 shown]
	s_and_b64 vcc, exec, s[20:21]
	s_waitcnt vmcnt(53) lgkmcnt(5)
	v_mul_f32_e32 v100, v6, v2
	s_waitcnt vmcnt(52)
	v_mul_f32_e32 v101, v8, v3
	s_waitcnt vmcnt(51) lgkmcnt(4)
	v_mul_f32_e32 v102, v10, v5
	s_waitcnt vmcnt(50)
	v_mul_f32_e32 v103, v12, v134
	;; [unrolled: 4-line block ×5, first 2 shown]
	s_waitcnt vmcnt(43)
	v_fmac_f32_e32 v100, v7, v158
	s_waitcnt vmcnt(42)
	v_fmac_f32_e32 v101, v9, v159
	v_add_f32_e32 v100, 0, v100
	s_waitcnt vmcnt(41)
	v_fmac_f32_e32 v102, v11, v160
	v_add_f32_e32 v100, v100, v101
	s_waitcnt vmcnt(40)
	v_fmac_f32_e32 v103, v13, v161
	v_add_f32_e32 v100, v100, v102
	s_waitcnt vmcnt(39)
	v_fmac_f32_e32 v104, v15, v162
	v_add_f32_e32 v100, v100, v103
	s_waitcnt vmcnt(38)
	v_fmac_f32_e32 v105, v17, v163
	v_add_f32_e32 v100, v100, v104
	s_waitcnt vmcnt(37)
	v_fmac_f32_e32 v106, v19, v164
	v_add_f32_e32 v100, v100, v105
	s_waitcnt vmcnt(36)
	v_fmac_f32_e32 v107, v21, v165
	v_add_f32_e32 v100, v100, v106
	s_waitcnt vmcnt(35)
	v_fmac_f32_e32 v108, v93, v166
	v_add_f32_e32 v100, v100, v107
	s_waitcnt vmcnt(34)
	v_fmac_f32_e32 v109, v95, v167
	v_add_f32_e32 v100, v100, v108
	s_waitcnt vmcnt(33) lgkmcnt(0)
	v_mul_f32_e32 v101, v96, v168
	v_add_f32_e32 v100, v100, v109
	s_waitcnt vmcnt(32)
	v_fmac_f32_e32 v101, v97, v169
	v_add_f32_e32 v104, v100, v101
	ds_read2_b64 v[100:103], v4 offset0:49 offset1:50
	s_waitcnt vmcnt(31)
	v_mul_f32_e32 v105, v98, v170
	s_waitcnt vmcnt(30)
	v_fmac_f32_e32 v105, v99, v171
	v_add_f32_e32 v108, v104, v105
	ds_read2_b64 v[104:107], v4 offset0:51 offset1:52
	s_waitcnt vmcnt(29) lgkmcnt(1)
	v_mul_f32_e32 v109, v100, v172
	s_waitcnt vmcnt(28)
	v_fmac_f32_e32 v109, v101, v173
	v_add_f32_e32 v108, v108, v109
	s_waitcnt vmcnt(27)
	v_mul_f32_e32 v109, v102, v174
	s_waitcnt vmcnt(26)
	v_fmac_f32_e32 v109, v103, v175
	v_add_f32_e32 v108, v108, v109
	s_waitcnt vmcnt(25) lgkmcnt(0)
	v_mul_f32_e32 v109, v104, v176
	s_waitcnt vmcnt(24)
	v_fmac_f32_e32 v109, v105, v177
	v_add_f32_e32 v112, v108, v109
	ds_read2_b64 v[108:111], v4 offset0:53 offset1:54
	s_waitcnt vmcnt(23)
	v_mul_f32_e32 v113, v106, v178
	s_waitcnt vmcnt(22)
	v_fmac_f32_e32 v113, v107, v179
	v_add_f32_e32 v116, v112, v113
	ds_read2_b64 v[112:115], v4 offset0:55 offset1:56
	s_waitcnt vmcnt(21) lgkmcnt(1)
	v_mul_f32_e32 v117, v108, v180
	s_waitcnt vmcnt(20)
	v_fmac_f32_e32 v117, v109, v181
	v_add_f32_e32 v116, v116, v117
	s_waitcnt vmcnt(18)
	v_mul_f32_e32 v117, v110, v183
	v_fmac_f32_e32 v117, v111, v182
	v_add_f32_e32 v116, v116, v117
	s_waitcnt vmcnt(15) lgkmcnt(0)
	v_mul_f32_e32 v117, v112, v184
	s_waitcnt vmcnt(14)
	v_fmac_f32_e32 v117, v113, v185
	v_add_f32_e32 v120, v116, v117
	ds_read2_b64 v[116:119], v4 offset0:57 offset1:58
	s_waitcnt vmcnt(12)
	v_mul_f32_e32 v121, v114, v187
	v_fmac_f32_e32 v121, v115, v186
	v_add_f32_e32 v124, v120, v121
	ds_read2_b64 v[120:123], v4 offset0:59 offset1:60
	buffer_load_dword v133, off, s[0:3], 0 offset:220
	buffer_load_dword v132, off, s[0:3], 0 offset:216
	s_waitcnt vmcnt(12) lgkmcnt(1)
	v_mul_f32_e32 v125, v116, v189
	v_fmac_f32_e32 v125, v117, v188
	v_add_f32_e32 v124, v124, v125
	s_waitcnt vmcnt(10)
	v_mul_f32_e32 v125, v118, v191
	v_fmac_f32_e32 v125, v119, v190
	v_add_f32_e32 v124, v124, v125
	s_waitcnt vmcnt(8) lgkmcnt(0)
	v_mul_f32_e32 v125, v120, v193
	v_fmac_f32_e32 v125, v121, v192
	s_waitcnt vmcnt(6)
	v_mul_f32_e32 v129, v122, v195
	v_add_f32_e32 v128, v124, v125
	v_fmac_f32_e32 v129, v123, v194
	ds_read2_b64 v[124:127], v4 offset0:61 offset1:62
	v_add_f32_e32 v135, v128, v129
	ds_read2_b64 v[128:131], v4 offset0:63 offset1:64
	buffer_load_dword v141, off, s[0:3], 0 offset:252
	buffer_load_dword v140, off, s[0:3], 0 offset:248
	;; [unrolled: 1-line block ×14, first 2 shown]
	v_mul_f32_e32 v2, v7, v2
	v_fma_f32 v2, v6, v158, -v2
	v_mul_f32_e32 v3, v9, v3
	v_add_f32_e32 v2, 0, v2
	v_fma_f32 v3, v8, v159, -v3
	v_add_f32_e32 v2, v2, v3
	v_mul_f32_e32 v3, v11, v5
	v_fma_f32 v3, v10, v160, -v3
	v_add_f32_e32 v2, v2, v3
	v_mul_f32_e32 v3, v13, v134
	;; [unrolled: 3-line block ×22, first 2 shown]
	v_fma_f32 v3, v122, v194, -v3
	s_waitcnt vmcnt(15)
	v_mov_b32_e32 v16, v133
	s_waitcnt lgkmcnt(1)
	v_mul_f32_e32 v137, v124, v197
	v_add_f32_e32 v134, v2, v3
	v_mul_f32_e32 v2, v125, v197
	s_waitcnt lgkmcnt(0)
	v_pk_mul_f32 v[16:17], v[128:129], v[16:17] op_sel_hi:[1,0]
	v_fmac_f32_e32 v137, v125, v196
	v_mul_f32_e32 v139, v126, v199
	v_fma_f32 v136, v124, v196, -v2
	v_mul_f32_e32 v2, v127, v199
	s_waitcnt vmcnt(14)
	v_pk_fma_f32 v[18:19], v[128:129], v[132:133], v[16:17] op_sel:[0,0,1] op_sel_hi:[1,1,0] neg_lo:[0,0,1] neg_hi:[0,0,1]
	v_pk_fma_f32 v[16:17], v[128:129], v[132:133], v[16:17] op_sel:[0,0,1] op_sel_hi:[1,0,0]
	v_fmac_f32_e32 v139, v127, v198
	v_fma_f32 v138, v126, v198, -v2
	v_pk_add_f32 v[14:15], v[134:135], v[136:137]
	s_waitcnt vmcnt(7)
	v_mov_b32_e32 v16, v147
	ds_read2_b64 v[6:9], v4 offset0:65 offset1:66
	ds_read2_b64 v[10:13], v4 offset0:67 offset1:68
	;; [unrolled: 1-line block ×3, first 2 shown]
	v_pk_add_f32 v[14:15], v[14:15], v[138:139]
	v_mov_b32_e32 v19, v17
	v_pk_mul_f32 v[16:17], v[130:131], v[16:17] op_sel_hi:[1,0]
	v_pk_add_f32 v[14:15], v[14:15], v[18:19]
	s_waitcnt vmcnt(6)
	v_pk_fma_f32 v[18:19], v[130:131], v[146:147], v[16:17] op_sel:[0,0,1] op_sel_hi:[1,1,0] neg_lo:[0,0,1] neg_hi:[0,0,1]
	v_pk_fma_f32 v[16:17], v[130:131], v[146:147], v[16:17] op_sel:[0,0,1] op_sel_hi:[1,0,0]
	v_mov_b32_e32 v16, v145
	v_mov_b32_e32 v19, v17
	s_waitcnt lgkmcnt(2)
	v_pk_mul_f32 v[16:17], v[6:7], v[16:17] op_sel_hi:[1,0]
	v_pk_add_f32 v[14:15], v[14:15], v[18:19]
	v_pk_fma_f32 v[18:19], v[6:7], v[144:145], v[16:17] op_sel:[0,0,1] op_sel_hi:[1,1,0] neg_lo:[0,0,1] neg_hi:[0,0,1]
	v_pk_fma_f32 v[6:7], v[6:7], v[144:145], v[16:17] op_sel:[0,0,1] op_sel_hi:[1,0,0]
	v_mov_b32_e32 v19, v7
	v_pk_add_f32 v[6:7], v[14:15], v[18:19]
	v_mov_b32_e32 v14, v143
	v_pk_mul_f32 v[14:15], v[8:9], v[14:15] op_sel_hi:[1,0]
	v_pk_fma_f32 v[16:17], v[8:9], v[142:143], v[14:15] op_sel:[0,0,1] op_sel_hi:[1,1,0] neg_lo:[0,0,1] neg_hi:[0,0,1]
	v_pk_fma_f32 v[8:9], v[8:9], v[142:143], v[14:15] op_sel:[0,0,1] op_sel_hi:[1,0,0]
	v_mov_b32_e32 v8, v141
	v_mov_b32_e32 v17, v9
	s_waitcnt lgkmcnt(1)
	v_pk_mul_f32 v[8:9], v[10:11], v[8:9] op_sel_hi:[1,0]
	v_pk_fma_f32 v[14:15], v[10:11], v[140:141], v[8:9] op_sel:[0,0,1] op_sel_hi:[1,1,0] neg_lo:[0,0,1] neg_hi:[0,0,1]
	v_pk_fma_f32 v[8:9], v[10:11], v[140:141], v[8:9] op_sel:[0,0,1] op_sel_hi:[1,0,0]
	s_waitcnt vmcnt(1)
	v_mov_b32_e32 v8, v153
	v_mov_b32_e32 v15, v9
	v_pk_mul_f32 v[8:9], v[12:13], v[8:9] op_sel_hi:[1,0]
	s_waitcnt vmcnt(0)
	v_pk_fma_f32 v[10:11], v[12:13], v[152:153], v[8:9] op_sel:[0,0,1] op_sel_hi:[1,1,0] neg_lo:[0,0,1] neg_hi:[0,0,1]
	v_pk_fma_f32 v[8:9], v[12:13], v[152:153], v[8:9] op_sel:[0,0,1] op_sel_hi:[1,0,0]
	v_pk_add_f32 v[6:7], v[6:7], v[16:17]
	v_mov_b32_e32 v8, v151
	v_pk_add_f32 v[6:7], v[6:7], v[14:15]
	v_mov_b32_e32 v11, v9
	s_waitcnt lgkmcnt(0)
	v_pk_mul_f32 v[8:9], v[2:3], v[8:9] op_sel_hi:[1,0]
	v_pk_add_f32 v[6:7], v[6:7], v[10:11]
	v_pk_fma_f32 v[10:11], v[2:3], v[150:151], v[8:9] op_sel:[0,0,1] op_sel_hi:[1,1,0] neg_lo:[0,0,1] neg_hi:[0,0,1]
	v_pk_fma_f32 v[2:3], v[2:3], v[150:151], v[8:9] op_sel:[0,0,1] op_sel_hi:[1,0,0]
	v_mov_b32_e32 v11, v3
	v_pk_add_f32 v[2:3], v[6:7], v[10:11]
	v_mov_b32_e32 v6, v149
	v_pk_mul_f32 v[6:7], v[4:5], v[6:7] op_sel_hi:[1,0]
	v_pk_fma_f32 v[8:9], v[4:5], v[148:149], v[6:7] op_sel:[0,0,1] op_sel_hi:[1,1,0] neg_lo:[0,0,1] neg_hi:[0,0,1]
	v_pk_fma_f32 v[4:5], v[4:5], v[148:149], v[6:7] op_sel:[0,0,1] op_sel_hi:[1,0,0]
	v_mov_b32_e32 v9, v5
	v_pk_add_f32 v[2:3], v[2:3], v[8:9]
	v_pk_add_f32 v[0:1], v[0:1], v[2:3] neg_lo:[0,1] neg_hi:[0,1]
	buffer_store_dword v1, off, s[0:3], 0 offset:4
	buffer_store_dword v0, off, s[0:3], 0
	s_cbranch_vccz .LBB34_293
; %bb.224:
	v_pk_mov_b32 v[0:1], s[10:11], s[10:11] op_sel:[0,1]
	flat_load_dword v0, v[0:1] offset:132
	s_waitcnt vmcnt(0) lgkmcnt(0)
	v_add_u32_e32 v0, -1, v0
	v_cmp_ne_u32_e32 vcc, 33, v0
	s_and_saveexec_b64 s[4:5], vcc
	s_cbranch_execz .LBB34_226
; %bb.225:
	v_mov_b32_e32 v1, 0
	v_lshl_add_u32 v0, v0, 3, v1
	buffer_load_dword v1, v0, s[0:3], 0 offen
	buffer_load_dword v2, v0, s[0:3], 0 offen offset:4
	buffer_load_dword v3, off, s[0:3], 0 offset:264
	buffer_load_dword v4, off, s[0:3], 0 offset:268
	s_waitcnt vmcnt(3)
	buffer_store_dword v1, off, s[0:3], 0 offset:264
	s_waitcnt vmcnt(3)
	buffer_store_dword v2, off, s[0:3], 0 offset:268
	s_waitcnt vmcnt(3)
	buffer_store_dword v3, v0, s[0:3], 0 offen
	s_waitcnt vmcnt(3)
	buffer_store_dword v4, v0, s[0:3], 0 offen offset:4
.LBB34_226:
	s_or_b64 exec, exec, s[4:5]
	v_pk_mov_b32 v[0:1], s[10:11], s[10:11] op_sel:[0,1]
	flat_load_dword v0, v[0:1] offset:128
	s_waitcnt vmcnt(0) lgkmcnt(0)
	v_add_u32_e32 v0, -1, v0
	v_cmp_ne_u32_e32 vcc, 32, v0
	s_and_saveexec_b64 s[4:5], vcc
	s_cbranch_execz .LBB34_228
; %bb.227:
	v_mov_b32_e32 v1, 0
	v_lshl_add_u32 v0, v0, 3, v1
	buffer_load_dword v1, v0, s[0:3], 0 offen
	buffer_load_dword v2, v0, s[0:3], 0 offen offset:4
	buffer_load_dword v3, off, s[0:3], 0 offset:260
	buffer_load_dword v4, off, s[0:3], 0 offset:256
	s_waitcnt vmcnt(3)
	buffer_store_dword v1, off, s[0:3], 0 offset:256
	s_waitcnt vmcnt(3)
	buffer_store_dword v2, off, s[0:3], 0 offset:260
	s_waitcnt vmcnt(3)
	buffer_store_dword v3, v0, s[0:3], 0 offen offset:4
	s_waitcnt vmcnt(3)
	buffer_store_dword v4, v0, s[0:3], 0 offen
.LBB34_228:
	s_or_b64 exec, exec, s[4:5]
	v_pk_mov_b32 v[0:1], s[10:11], s[10:11] op_sel:[0,1]
	flat_load_dword v0, v[0:1] offset:124
	s_waitcnt vmcnt(0) lgkmcnt(0)
	v_add_u32_e32 v0, -1, v0
	v_cmp_ne_u32_e32 vcc, 31, v0
	s_and_saveexec_b64 s[4:5], vcc
	s_cbranch_execz .LBB34_230
; %bb.229:
	v_mov_b32_e32 v1, 0
	v_lshl_add_u32 v0, v0, 3, v1
	buffer_load_dword v1, v0, s[0:3], 0 offen
	buffer_load_dword v2, v0, s[0:3], 0 offen offset:4
	buffer_load_dword v3, off, s[0:3], 0 offset:248
	buffer_load_dword v4, off, s[0:3], 0 offset:252
	s_waitcnt vmcnt(3)
	buffer_store_dword v1, off, s[0:3], 0 offset:248
	s_waitcnt vmcnt(3)
	buffer_store_dword v2, off, s[0:3], 0 offset:252
	s_waitcnt vmcnt(3)
	buffer_store_dword v3, v0, s[0:3], 0 offen
	s_waitcnt vmcnt(3)
	buffer_store_dword v4, v0, s[0:3], 0 offen offset:4
.LBB34_230:
	s_or_b64 exec, exec, s[4:5]
	v_pk_mov_b32 v[0:1], s[10:11], s[10:11] op_sel:[0,1]
	flat_load_dword v0, v[0:1] offset:120
	s_waitcnt vmcnt(0) lgkmcnt(0)
	v_add_u32_e32 v0, -1, v0
	v_cmp_ne_u32_e32 vcc, 30, v0
	s_and_saveexec_b64 s[4:5], vcc
	s_cbranch_execz .LBB34_232
; %bb.231:
	v_mov_b32_e32 v1, 0
	v_lshl_add_u32 v0, v0, 3, v1
	buffer_load_dword v1, v0, s[0:3], 0 offen
	buffer_load_dword v2, v0, s[0:3], 0 offen offset:4
	buffer_load_dword v3, off, s[0:3], 0 offset:244
	buffer_load_dword v4, off, s[0:3], 0 offset:240
	s_waitcnt vmcnt(3)
	buffer_store_dword v1, off, s[0:3], 0 offset:240
	s_waitcnt vmcnt(3)
	buffer_store_dword v2, off, s[0:3], 0 offset:244
	s_waitcnt vmcnt(3)
	buffer_store_dword v3, v0, s[0:3], 0 offen offset:4
	s_waitcnt vmcnt(3)
	buffer_store_dword v4, v0, s[0:3], 0 offen
.LBB34_232:
	s_or_b64 exec, exec, s[4:5]
	;; [unrolled: 48-line block ×16, first 2 shown]
	v_pk_mov_b32 v[0:1], s[10:11], s[10:11] op_sel:[0,1]
	flat_load_dword v0, v[0:1] offset:4
	s_waitcnt vmcnt(0) lgkmcnt(0)
	v_add_u32_e32 v0, -1, v0
	v_cmp_ne_u32_e32 vcc, 1, v0
	s_and_saveexec_b64 s[4:5], vcc
	s_cbranch_execz .LBB34_290
; %bb.289:
	v_mov_b32_e32 v1, 0
	v_lshl_add_u32 v0, v0, 3, v1
	buffer_load_dword v1, v0, s[0:3], 0 offen
	buffer_load_dword v2, v0, s[0:3], 0 offen offset:4
	buffer_load_dword v3, off, s[0:3], 0 offset:8
	buffer_load_dword v4, off, s[0:3], 0 offset:12
	s_waitcnt vmcnt(3)
	buffer_store_dword v1, off, s[0:3], 0 offset:8
	s_waitcnt vmcnt(3)
	buffer_store_dword v2, off, s[0:3], 0 offset:12
	s_waitcnt vmcnt(3)
	buffer_store_dword v3, v0, s[0:3], 0 offen
	s_waitcnt vmcnt(3)
	buffer_store_dword v4, v0, s[0:3], 0 offen offset:4
.LBB34_290:
	s_or_b64 exec, exec, s[4:5]
	v_pk_mov_b32 v[0:1], s[10:11], s[10:11] op_sel:[0,1]
	flat_load_dword v2, v[0:1]
	s_nop 0
	buffer_load_dword v0, off, s[0:3], 0
	buffer_load_dword v1, off, s[0:3], 0 offset:4
	s_waitcnt vmcnt(0) lgkmcnt(0)
	v_add_u32_e32 v2, -1, v2
	v_cmp_ne_u32_e32 vcc, 0, v2
	s_and_saveexec_b64 s[4:5], vcc
	s_cbranch_execz .LBB34_292
; %bb.291:
	v_mov_b32_e32 v3, 0
	v_lshl_add_u32 v2, v2, 3, v3
	buffer_load_dword v3, v2, s[0:3], 0 offen offset:4
	buffer_load_dword v4, v2, s[0:3], 0 offen
	s_waitcnt vmcnt(1)
	buffer_store_dword v3, off, s[0:3], 0 offset:4
	s_waitcnt vmcnt(1)
	buffer_store_dword v4, off, s[0:3], 0
	buffer_store_dword v1, v2, s[0:3], 0 offen offset:4
	buffer_store_dword v0, v2, s[0:3], 0 offen
	buffer_load_dword v0, off, s[0:3], 0
	s_nop 0
	buffer_load_dword v1, off, s[0:3], 0 offset:4
.LBB34_292:
	s_or_b64 exec, exec, s[4:5]
.LBB34_293:
	buffer_load_dword v2, off, s[0:3], 0 offset:8
	buffer_load_dword v3, off, s[0:3], 0 offset:12
	;; [unrolled: 1-line block ×68, first 2 shown]
	s_waitcnt vmcnt(62)
	global_store_dwordx2 v[80:81], v[0:1], off
	global_store_dwordx2 v[82:83], v[2:3], off
	;; [unrolled: 1-line block ×4, first 2 shown]
	s_waitcnt vmcnt(62)
	global_store_dwordx2 v[26:27], v[8:9], off
	global_store_dwordx2 v[28:29], v[10:11], off
	s_waitcnt vmcnt(62)
	global_store_dwordx2 v[30:31], v[12:13], off
	s_waitcnt vmcnt(61)
	;; [unrolled: 2-line block ×29, first 2 shown]
	global_store_dwordx2 v[90:91], v[138:139], off
	s_endpgm
	.section	.rodata,"a",@progbits
	.p2align	6, 0x0
	.amdhsa_kernel _ZN9rocsolver6v33100L18getri_kernel_smallILi35E19rocblas_complex_numIfEPS3_EEvT1_iilPiilS6_bb
		.amdhsa_group_segment_fixed_size 568
		.amdhsa_private_segment_fixed_size 288
		.amdhsa_kernarg_size 60
		.amdhsa_user_sgpr_count 8
		.amdhsa_user_sgpr_private_segment_buffer 1
		.amdhsa_user_sgpr_dispatch_ptr 0
		.amdhsa_user_sgpr_queue_ptr 0
		.amdhsa_user_sgpr_kernarg_segment_ptr 1
		.amdhsa_user_sgpr_dispatch_id 0
		.amdhsa_user_sgpr_flat_scratch_init 1
		.amdhsa_user_sgpr_kernarg_preload_length 0
		.amdhsa_user_sgpr_kernarg_preload_offset 0
		.amdhsa_user_sgpr_private_segment_size 0
		.amdhsa_uses_dynamic_stack 0
		.amdhsa_system_sgpr_private_segment_wavefront_offset 1
		.amdhsa_system_sgpr_workgroup_id_x 1
		.amdhsa_system_sgpr_workgroup_id_y 0
		.amdhsa_system_sgpr_workgroup_id_z 0
		.amdhsa_system_sgpr_workgroup_info 0
		.amdhsa_system_vgpr_workitem_id 0
		.amdhsa_next_free_vgpr 200
		.amdhsa_next_free_sgpr 23
		.amdhsa_accum_offset 200
		.amdhsa_reserve_vcc 1
		.amdhsa_reserve_flat_scratch 1
		.amdhsa_float_round_mode_32 0
		.amdhsa_float_round_mode_16_64 0
		.amdhsa_float_denorm_mode_32 3
		.amdhsa_float_denorm_mode_16_64 3
		.amdhsa_dx10_clamp 1
		.amdhsa_ieee_mode 1
		.amdhsa_fp16_overflow 0
		.amdhsa_tg_split 0
		.amdhsa_exception_fp_ieee_invalid_op 0
		.amdhsa_exception_fp_denorm_src 0
		.amdhsa_exception_fp_ieee_div_zero 0
		.amdhsa_exception_fp_ieee_overflow 0
		.amdhsa_exception_fp_ieee_underflow 0
		.amdhsa_exception_fp_ieee_inexact 0
		.amdhsa_exception_int_div_zero 0
	.end_amdhsa_kernel
	.section	.text._ZN9rocsolver6v33100L18getri_kernel_smallILi35E19rocblas_complex_numIfEPS3_EEvT1_iilPiilS6_bb,"axG",@progbits,_ZN9rocsolver6v33100L18getri_kernel_smallILi35E19rocblas_complex_numIfEPS3_EEvT1_iilPiilS6_bb,comdat
.Lfunc_end34:
	.size	_ZN9rocsolver6v33100L18getri_kernel_smallILi35E19rocblas_complex_numIfEPS3_EEvT1_iilPiilS6_bb, .Lfunc_end34-_ZN9rocsolver6v33100L18getri_kernel_smallILi35E19rocblas_complex_numIfEPS3_EEvT1_iilPiilS6_bb
                                        ; -- End function
	.section	.AMDGPU.csdata,"",@progbits
; Kernel info:
; codeLenInByte = 55364
; NumSgprs: 29
; NumVgprs: 200
; NumAgprs: 0
; TotalNumVgprs: 200
; ScratchSize: 288
; MemoryBound: 0
; FloatMode: 240
; IeeeMode: 1
; LDSByteSize: 568 bytes/workgroup (compile time only)
; SGPRBlocks: 3
; VGPRBlocks: 24
; NumSGPRsForWavesPerEU: 29
; NumVGPRsForWavesPerEU: 200
; AccumOffset: 200
; Occupancy: 2
; WaveLimiterHint : 1
; COMPUTE_PGM_RSRC2:SCRATCH_EN: 1
; COMPUTE_PGM_RSRC2:USER_SGPR: 8
; COMPUTE_PGM_RSRC2:TRAP_HANDLER: 0
; COMPUTE_PGM_RSRC2:TGID_X_EN: 1
; COMPUTE_PGM_RSRC2:TGID_Y_EN: 0
; COMPUTE_PGM_RSRC2:TGID_Z_EN: 0
; COMPUTE_PGM_RSRC2:TIDIG_COMP_CNT: 0
; COMPUTE_PGM_RSRC3_GFX90A:ACCUM_OFFSET: 49
; COMPUTE_PGM_RSRC3_GFX90A:TG_SPLIT: 0
	.section	.text._ZN9rocsolver6v33100L18getri_kernel_smallILi36E19rocblas_complex_numIfEPS3_EEvT1_iilPiilS6_bb,"axG",@progbits,_ZN9rocsolver6v33100L18getri_kernel_smallILi36E19rocblas_complex_numIfEPS3_EEvT1_iilPiilS6_bb,comdat
	.globl	_ZN9rocsolver6v33100L18getri_kernel_smallILi36E19rocblas_complex_numIfEPS3_EEvT1_iilPiilS6_bb ; -- Begin function _ZN9rocsolver6v33100L18getri_kernel_smallILi36E19rocblas_complex_numIfEPS3_EEvT1_iilPiilS6_bb
	.p2align	8
	.type	_ZN9rocsolver6v33100L18getri_kernel_smallILi36E19rocblas_complex_numIfEPS3_EEvT1_iilPiilS6_bb,@function
_ZN9rocsolver6v33100L18getri_kernel_smallILi36E19rocblas_complex_numIfEPS3_EEvT1_iilPiilS6_bb: ; @_ZN9rocsolver6v33100L18getri_kernel_smallILi36E19rocblas_complex_numIfEPS3_EEvT1_iilPiilS6_bb
; %bb.0:
	s_add_u32 flat_scratch_lo, s6, s9
	s_addc_u32 flat_scratch_hi, s7, 0
	s_add_u32 s0, s0, s9
	s_addc_u32 s1, s1, 0
	v_cmp_gt_u32_e32 vcc, 36, v0
	s_and_saveexec_b64 s[6:7], vcc
	s_cbranch_execz .LBB35_158
; %bb.1:
	s_load_dword s22, s[4:5], 0x38
	s_load_dwordx4 s[16:19], s[4:5], 0x10
	s_load_dwordx4 s[12:15], s[4:5], 0x28
                                        ; implicit-def: $sgpr10_sgpr11
	s_waitcnt lgkmcnt(0)
	s_bitcmp1_b32 s22, 8
	s_cselect_b64 s[20:21], -1, 0
	s_ashr_i32 s9, s8, 31
	s_bfe_u32 s6, s22, 0x10008
	s_cmp_eq_u32 s6, 0
	s_cbranch_scc1 .LBB35_3
; %bb.2:
	s_load_dword s6, s[4:5], 0x20
	s_mul_i32 s7, s8, s13
	s_mul_hi_u32 s10, s8, s12
	s_mul_i32 s11, s9, s12
	s_add_i32 s10, s10, s7
	s_add_i32 s11, s10, s11
	s_mul_i32 s10, s8, s12
	s_waitcnt lgkmcnt(0)
	s_ashr_i32 s7, s6, 31
	s_lshl_b64 s[10:11], s[10:11], 2
	s_add_u32 s10, s18, s10
	s_addc_u32 s11, s19, s11
	s_lshl_b64 s[6:7], s[6:7], 2
	s_add_u32 s10, s10, s6
	s_addc_u32 s11, s11, s7
.LBB35_3:
	s_load_dwordx4 s[4:7], s[4:5], 0x0
	s_mul_i32 s12, s8, s17
	s_mul_hi_u32 s13, s8, s16
	s_add_i32 s17, s13, s12
	v_lshlrev_b32_e32 v6, 3, v0
	s_waitcnt lgkmcnt(0)
	s_ashr_i32 s13, s6, 31
	s_mov_b32 s12, s6
	s_mul_i32 s6, s9, s16
	s_add_i32 s17, s17, s6
	s_mul_i32 s16, s8, s16
	s_lshl_b64 s[16:17], s[16:17], 3
	s_add_u32 s6, s4, s16
	s_addc_u32 s16, s5, s17
	s_lshl_b64 s[4:5], s[12:13], 3
	s_add_u32 s4, s6, s4
	s_addc_u32 s5, s16, s5
	s_add_i32 s6, s7, s7
	v_add_u32_e32 v2, s6, v0
	v_ashrrev_i32_e32 v3, 31, v2
	v_lshlrev_b64 v[4:5], 3, v[2:3]
	v_add_u32_e32 v2, s7, v2
	v_mov_b32_e32 v1, s5
	v_add_co_u32_e32 v22, vcc, s4, v4
	v_ashrrev_i32_e32 v3, 31, v2
	v_addc_co_u32_e32 v23, vcc, v1, v5, vcc
	v_lshlrev_b64 v[4:5], 3, v[2:3]
	v_add_u32_e32 v2, s7, v2
	v_add_co_u32_e32 v24, vcc, s4, v4
	v_ashrrev_i32_e32 v3, 31, v2
	v_addc_co_u32_e32 v25, vcc, v1, v5, vcc
	v_lshlrev_b64 v[4:5], 3, v[2:3]
	v_add_u32_e32 v2, s7, v2
	;; [unrolled: 5-line block ×27, first 2 shown]
	v_add_co_u32_e32 v76, vcc, s4, v4
	v_ashrrev_i32_e32 v3, 31, v2
	v_addc_co_u32_e32 v77, vcc, v1, v5, vcc
	v_lshlrev_b64 v[4:5], 3, v[2:3]
	v_add_co_u32_e32 v78, vcc, s4, v4
	v_add_u32_e32 v2, s7, v2
	v_addc_co_u32_e32 v79, vcc, v1, v5, vcc
	v_ashrrev_i32_e32 v3, 31, v2
	v_lshlrev_b64 v[4:5], 3, v[2:3]
	v_mov_b32_e32 v3, s5
	v_add_co_u32_e32 v82, vcc, s4, v6
	s_ashr_i32 s13, s7, 31
	s_mov_b32 s12, s7
	v_addc_co_u32_e32 v83, vcc, 0, v3, vcc
	s_lshl_b64 s[12:13], s[12:13], 3
	v_mov_b32_e32 v3, s13
	v_add_co_u32_e32 v84, vcc, s12, v82
	v_addc_co_u32_e32 v85, vcc, v83, v3, vcc
	v_add_u32_e32 v2, s7, v2
	v_add_co_u32_e32 v80, vcc, s4, v4
	v_ashrrev_i32_e32 v3, 31, v2
	v_addc_co_u32_e32 v81, vcc, v1, v5, vcc
	v_lshlrev_b64 v[20:21], 3, v[2:3]
	v_add_u32_e32 v2, s7, v2
	v_add_co_u32_e32 v86, vcc, s4, v20
	v_ashrrev_i32_e32 v3, 31, v2
	v_addc_co_u32_e32 v87, vcc, v1, v21, vcc
	v_lshlrev_b64 v[88:89], 3, v[2:3]
	;; [unrolled: 5-line block ×3, first 2 shown]
	v_add_co_u32_e32 v90, vcc, s4, v90
	global_load_dwordx2 v[8:9], v6, s[4:5]
	global_load_dwordx2 v[10:11], v[84:85], off
	global_load_dwordx2 v[12:13], v[22:23], off
	;; [unrolled: 1-line block ×26, first 2 shown]
	v_addc_co_u32_e32 v91, vcc, v1, v91, vcc
	global_load_dwordx2 v[132:133], v[72:73], off
	global_load_dwordx2 v[134:135], v[74:75], off
	;; [unrolled: 1-line block ×8, first 2 shown]
	v_add_u32_e32 v2, s7, v2
	v_ashrrev_i32_e32 v3, 31, v2
	v_lshlrev_b64 v[2:3], 3, v[2:3]
	v_add_co_u32_e32 v92, vcc, s4, v2
	v_addc_co_u32_e32 v93, vcc, v1, v3, vcc
	global_load_dwordx2 v[2:3], v[92:93], off
	s_bitcmp0_b32 s22, 0
	s_mov_b64 s[6:7], -1
	s_waitcnt vmcnt(35)
	buffer_store_dword v9, off, s[0:3], 0 offset:4
	buffer_store_dword v8, off, s[0:3], 0
	s_waitcnt vmcnt(36)
	buffer_store_dword v11, off, s[0:3], 0 offset:12
	buffer_store_dword v10, off, s[0:3], 0 offset:8
	s_waitcnt vmcnt(37)
	buffer_store_dword v13, off, s[0:3], 0 offset:20
	buffer_store_dword v12, off, s[0:3], 0 offset:16
	;; [unrolled: 3-line block ×28, first 2 shown]
	buffer_store_dword v136, off, s[0:3], 0 offset:232
	buffer_store_dword v137, off, s[0:3], 0 offset:236
	s_waitcnt vmcnt(62)
	buffer_store_dword v138, off, s[0:3], 0 offset:240
	buffer_store_dword v139, off, s[0:3], 0 offset:244
	;; [unrolled: 1-line block ×8, first 2 shown]
	s_waitcnt vmcnt(62)
	buffer_store_dword v146, off, s[0:3], 0 offset:272
	buffer_store_dword v147, off, s[0:3], 0 offset:276
	;; [unrolled: 1-line block ×4, first 2 shown]
	s_cbranch_scc1 .LBB35_156
; %bb.4:
	v_cmp_eq_u32_e64 s[4:5], 0, v0
	s_and_saveexec_b64 s[6:7], s[4:5]
	s_cbranch_execz .LBB35_6
; %bb.5:
	v_mov_b32_e32 v1, 0
	ds_write_b32 v1, v1 offset:576
.LBB35_6:
	s_or_b64 exec, exec, s[6:7]
	v_mov_b32_e32 v1, 0
	v_lshl_add_u32 v7, v0, 3, v1
	s_waitcnt lgkmcnt(0)
	; wave barrier
	s_waitcnt lgkmcnt(0)
	buffer_load_dword v1, v7, s[0:3], 0 offen
	buffer_load_dword v2, v7, s[0:3], 0 offen offset:4
	s_waitcnt vmcnt(1)
	v_cmp_eq_f32_e32 vcc, 0, v1
	s_waitcnt vmcnt(0)
	v_cmp_eq_f32_e64 s[6:7], 0, v2
	s_and_b64 s[6:7], vcc, s[6:7]
	s_and_saveexec_b64 s[12:13], s[6:7]
	s_cbranch_execz .LBB35_10
; %bb.7:
	v_mov_b32_e32 v1, 0
	ds_read_b32 v3, v1 offset:576
	v_add_u32_e32 v2, 1, v0
	s_waitcnt lgkmcnt(0)
	v_readfirstlane_b32 s6, v3
	s_cmp_eq_u32 s6, 0
	s_cselect_b64 s[16:17], -1, 0
	v_cmp_gt_i32_e32 vcc, s6, v2
	s_or_b64 s[16:17], s[16:17], vcc
	s_and_b64 exec, exec, s[16:17]
	s_cbranch_execz .LBB35_10
; %bb.8:
	s_mov_b64 s[16:17], 0
	v_mov_b32_e32 v3, s6
.LBB35_9:                               ; =>This Inner Loop Header: Depth=1
	ds_cmpst_rtn_b32 v3, v1, v3, v2 offset:576
	s_waitcnt lgkmcnt(0)
	v_cmp_ne_u32_e32 vcc, 0, v3
	v_cmp_le_i32_e64 s[6:7], v3, v2
	s_and_b64 s[6:7], vcc, s[6:7]
	s_and_b64 s[6:7], exec, s[6:7]
	s_or_b64 s[16:17], s[6:7], s[16:17]
	s_andn2_b64 exec, exec, s[16:17]
	s_cbranch_execnz .LBB35_9
.LBB35_10:
	s_or_b64 exec, exec, s[12:13]
	v_mov_b32_e32 v2, 0
	s_waitcnt lgkmcnt(0)
	; wave barrier
	ds_read_b32 v1, v2 offset:576
	s_and_saveexec_b64 s[6:7], s[4:5]
	s_cbranch_execz .LBB35_12
; %bb.11:
	s_lshl_b64 s[12:13], s[8:9], 2
	s_add_u32 s12, s14, s12
	s_addc_u32 s13, s15, s13
	s_waitcnt lgkmcnt(0)
	global_store_dword v2, v1, s[12:13]
.LBB35_12:
	s_or_b64 exec, exec, s[6:7]
	s_waitcnt lgkmcnt(0)
	v_cmp_ne_u32_e32 vcc, 0, v1
	s_mov_b64 s[6:7], 0
	s_cbranch_vccnz .LBB35_156
; %bb.13:
	buffer_load_dword v8, v7, s[0:3], 0 offen offset:4
	buffer_load_dword v3, v7, s[0:3], 0 offen
	s_waitcnt vmcnt(1)
	v_cmp_gt_f32_e32 vcc, 0, v8
	v_cndmask_b32_e64 v1, v8, -v8, vcc
	s_waitcnt vmcnt(0)
	v_cmp_gt_f32_e32 vcc, 0, v3
	v_cndmask_b32_e64 v2, v3, -v3, vcc
	v_cmp_ngt_f32_e32 vcc, v2, v1
                                        ; implicit-def: $vgpr1
                                        ; implicit-def: $vgpr2
	s_and_saveexec_b64 s[6:7], vcc
	s_xor_b64 s[6:7], exec, s[6:7]
                                        ; implicit-def: $vgpr4_vgpr5
	s_cbranch_execz .LBB35_15
; %bb.14:
	v_div_scale_f32 v1, s[12:13], v8, v8, v3
	v_rcp_f32_e32 v2, v1
	v_div_scale_f32 v4, vcc, v3, v8, v3
	v_fma_f32 v5, -v1, v2, 1.0
	v_fmac_f32_e32 v2, v5, v2
	v_mul_f32_e32 v5, v4, v2
	v_fma_f32 v9, -v1, v5, v4
	v_fmac_f32_e32 v5, v9, v2
	v_fma_f32 v1, -v1, v5, v4
	v_div_fmas_f32 v1, v1, v2, v5
	v_div_fixup_f32 v2, v1, v8, v3
	v_fmac_f32_e32 v8, v3, v2
	v_div_scale_f32 v1, s[12:13], v8, v8, -1.0
	v_rcp_f32_e32 v3, v1
	v_fma_f32 v4, -v1, v3, 1.0
	v_fmac_f32_e32 v3, v4, v3
	v_div_scale_f32 v4, vcc, -1.0, v8, -1.0
	v_mul_f32_e32 v5, v4, v3
	v_fma_f32 v9, -v1, v5, v4
	v_fmac_f32_e32 v5, v9, v3
	v_fma_f32 v1, -v1, v5, v4
	v_div_fmas_f32 v1, v1, v3, v5
	v_div_fixup_f32 v1, v1, v8, -1.0
	v_mul_f32_e32 v2, v2, v1
	v_xor_b32_e32 v4, 0x80000000, v2
                                        ; implicit-def: $vgpr3
                                        ; implicit-def: $vgpr8
.LBB35_15:
	s_andn2_saveexec_b64 s[6:7], s[6:7]
	s_cbranch_execz .LBB35_17
; %bb.16:
	v_div_scale_f32 v1, s[12:13], v3, v3, v8
	v_rcp_f32_e32 v2, v1
	v_div_scale_f32 v4, vcc, v8, v3, v8
	v_fma_f32 v5, -v1, v2, 1.0
	v_fmac_f32_e32 v2, v5, v2
	v_mul_f32_e32 v5, v4, v2
	v_fma_f32 v9, -v1, v5, v4
	v_fmac_f32_e32 v5, v9, v2
	v_fma_f32 v1, -v1, v5, v4
	v_div_fmas_f32 v1, v1, v2, v5
	v_div_fixup_f32 v1, v1, v3, v8
	v_fmac_f32_e32 v3, v8, v1
	v_div_scale_f32 v2, s[12:13], v3, v3, 1.0
	v_rcp_f32_e32 v4, v2
	v_fma_f32 v5, -v2, v4, 1.0
	v_fmac_f32_e32 v4, v5, v4
	v_div_scale_f32 v5, vcc, 1.0, v3, 1.0
	v_mul_f32_e32 v8, v5, v4
	v_fma_f32 v9, -v2, v8, v5
	v_fmac_f32_e32 v8, v9, v4
	v_fma_f32 v2, -v2, v8, v5
	v_div_fmas_f32 v2, v2, v4, v8
	v_div_fixup_f32 v4, v2, v3, 1.0
	v_xor_b32_e32 v2, 0x80000000, v4
	v_mul_f32_e64 v1, v1, -v4
.LBB35_17:
	s_or_b64 exec, exec, s[6:7]
	buffer_store_dword v1, v7, s[0:3], 0 offen offset:4
	buffer_store_dword v4, v7, s[0:3], 0 offen
	buffer_load_dword v5, off, s[0:3], 0 offset:12
	s_nop 0
	buffer_load_dword v4, off, s[0:3], 0 offset:8
	v_xor_b32_e32 v3, 0x80000000, v1
	v_add_u32_e32 v1, 0x120, v6
	s_waitcnt vmcnt(0)
	ds_write2_b64 v6, v[2:3], v[4:5] offset1:36
	s_waitcnt lgkmcnt(0)
	; wave barrier
	s_waitcnt lgkmcnt(0)
	s_and_saveexec_b64 s[6:7], s[4:5]
	s_cbranch_execz .LBB35_19
; %bb.18:
	buffer_load_dword v8, v7, s[0:3], 0 offen offset:4
	buffer_load_dword v9, v7, s[0:3], 0 offen
	ds_read_b64 v[2:3], v1
	v_mov_b32_e32 v4, 0
	ds_read_b64 v[4:5], v4 offset:8
	s_waitcnt vmcnt(1) lgkmcnt(1)
	v_mul_f32_e32 v10, v3, v8
	v_mul_f32_e32 v8, v2, v8
	s_waitcnt vmcnt(0)
	v_fmac_f32_e32 v8, v3, v9
	v_fma_f32 v2, v2, v9, -v10
	v_add_f32_e32 v3, 0, v8
	v_add_f32_e32 v2, 0, v2
	s_waitcnt lgkmcnt(0)
	v_mul_f32_e32 v8, v3, v5
	v_mul_f32_e32 v5, v2, v5
	v_fma_f32 v2, v2, v4, -v8
	v_fmac_f32_e32 v5, v3, v4
	buffer_store_dword v2, off, s[0:3], 0 offset:8
	buffer_store_dword v5, off, s[0:3], 0 offset:12
.LBB35_19:
	s_or_b64 exec, exec, s[6:7]
	s_waitcnt lgkmcnt(0)
	; wave barrier
	buffer_load_dword v2, off, s[0:3], 0 offset:16
	buffer_load_dword v3, off, s[0:3], 0 offset:20
	v_cmp_gt_u32_e32 vcc, 2, v0
	s_waitcnt vmcnt(0)
	ds_write_b64 v1, v[2:3]
	s_waitcnt lgkmcnt(0)
	; wave barrier
	s_waitcnt lgkmcnt(0)
	s_and_saveexec_b64 s[6:7], vcc
	s_cbranch_execz .LBB35_23
; %bb.20:
	buffer_load_dword v4, v7, s[0:3], 0 offen offset:4
	buffer_load_dword v5, v7, s[0:3], 0 offen
	ds_read_b64 v[2:3], v1
	s_waitcnt vmcnt(1) lgkmcnt(0)
	v_mul_f32_e32 v7, v3, v4
	v_mul_f32_e32 v4, v2, v4
	s_waitcnt vmcnt(0)
	v_fma_f32 v2, v2, v5, -v7
	v_fmac_f32_e32 v4, v3, v5
	v_add_f32_e32 v3, 0, v2
	v_add_f32_e32 v2, 0, v4
	s_and_saveexec_b64 s[12:13], s[4:5]
	s_cbranch_execz .LBB35_22
; %bb.21:
	buffer_load_dword v7, off, s[0:3], 0 offset:12
	buffer_load_dword v8, off, s[0:3], 0 offset:8
	v_mov_b32_e32 v4, 0
	ds_read_b64 v[4:5], v4 offset:296
	s_waitcnt vmcnt(1) lgkmcnt(0)
	v_mul_f32_e32 v9, v4, v7
	v_mul_f32_e32 v7, v5, v7
	s_waitcnt vmcnt(0)
	v_fmac_f32_e32 v9, v5, v8
	v_fma_f32 v4, v4, v8, -v7
	v_add_f32_e32 v2, v2, v9
	v_add_f32_e32 v3, v3, v4
.LBB35_22:
	s_or_b64 exec, exec, s[12:13]
	v_mov_b32_e32 v4, 0
	ds_read_b64 v[4:5], v4 offset:16
	s_waitcnt lgkmcnt(0)
	v_mul_f32_e32 v7, v2, v5
	v_mul_f32_e32 v5, v3, v5
	v_fma_f32 v3, v3, v4, -v7
	v_fmac_f32_e32 v5, v2, v4
	buffer_store_dword v3, off, s[0:3], 0 offset:16
	buffer_store_dword v5, off, s[0:3], 0 offset:20
.LBB35_23:
	s_or_b64 exec, exec, s[6:7]
	s_waitcnt lgkmcnt(0)
	; wave barrier
	buffer_load_dword v2, off, s[0:3], 0 offset:24
	buffer_load_dword v3, off, s[0:3], 0 offset:28
	v_cmp_gt_u32_e32 vcc, 3, v0
	s_waitcnt vmcnt(0)
	ds_write_b64 v1, v[2:3]
	v_add_u32_e32 v2, -1, v0
	s_waitcnt lgkmcnt(0)
	; wave barrier
	s_waitcnt lgkmcnt(0)
	s_and_saveexec_b64 s[4:5], vcc
	s_cbranch_execz .LBB35_27
; %bb.24:
	v_add_u32_e32 v4, -1, v0
	v_add_u32_e32 v5, 0x120, v6
	v_add_u32_e32 v7, 0, v6
	s_mov_b64 s[6:7], 0
	v_mov_b32_e32 v3, 0
	v_mov_b32_e32 v8, 0
.LBB35_25:                              ; =>This Inner Loop Header: Depth=1
	buffer_load_dword v9, v7, s[0:3], 0 offen offset:4
	buffer_load_dword v12, v7, s[0:3], 0 offen
	ds_read_b64 v[10:11], v5
	v_add_u32_e32 v4, 1, v4
	v_cmp_lt_u32_e32 vcc, 1, v4
	v_add_u32_e32 v5, 8, v5
	v_add_u32_e32 v7, 8, v7
	s_or_b64 s[6:7], vcc, s[6:7]
	s_waitcnt vmcnt(1) lgkmcnt(0)
	v_mul_f32_e32 v13, v11, v9
	v_mul_f32_e32 v9, v10, v9
	s_waitcnt vmcnt(0)
	v_fma_f32 v10, v10, v12, -v13
	v_fmac_f32_e32 v9, v11, v12
	v_add_f32_e32 v8, v8, v10
	v_add_f32_e32 v3, v3, v9
	s_andn2_b64 exec, exec, s[6:7]
	s_cbranch_execnz .LBB35_25
; %bb.26:
	s_or_b64 exec, exec, s[6:7]
	v_mov_b32_e32 v4, 0
	ds_read_b64 v[4:5], v4 offset:24
	s_waitcnt lgkmcnt(0)
	v_mul_f32_e32 v7, v3, v5
	v_mul_f32_e32 v5, v8, v5
	v_fma_f32 v7, v8, v4, -v7
	v_fmac_f32_e32 v5, v3, v4
	buffer_store_dword v7, off, s[0:3], 0 offset:24
	buffer_store_dword v5, off, s[0:3], 0 offset:28
.LBB35_27:
	s_or_b64 exec, exec, s[4:5]
	s_waitcnt lgkmcnt(0)
	; wave barrier
	buffer_load_dword v4, off, s[0:3], 0 offset:32
	buffer_load_dword v5, off, s[0:3], 0 offset:36
	v_cmp_gt_u32_e32 vcc, 4, v0
	s_waitcnt vmcnt(0)
	ds_write_b64 v1, v[4:5]
	s_waitcnt lgkmcnt(0)
	; wave barrier
	s_waitcnt lgkmcnt(0)
	s_and_saveexec_b64 s[4:5], vcc
	s_cbranch_execz .LBB35_31
; %bb.28:
	v_add_u32_e32 v4, -1, v0
	v_add_u32_e32 v5, 0x120, v6
	v_add_u32_e32 v7, 0, v6
	s_mov_b64 s[6:7], 0
	v_mov_b32_e32 v3, 0
	v_mov_b32_e32 v8, 0
.LBB35_29:                              ; =>This Inner Loop Header: Depth=1
	buffer_load_dword v9, v7, s[0:3], 0 offen offset:4
	buffer_load_dword v12, v7, s[0:3], 0 offen
	ds_read_b64 v[10:11], v5
	v_add_u32_e32 v4, 1, v4
	v_cmp_lt_u32_e32 vcc, 2, v4
	v_add_u32_e32 v5, 8, v5
	v_add_u32_e32 v7, 8, v7
	s_or_b64 s[6:7], vcc, s[6:7]
	s_waitcnt vmcnt(1) lgkmcnt(0)
	v_mul_f32_e32 v13, v11, v9
	v_mul_f32_e32 v9, v10, v9
	s_waitcnt vmcnt(0)
	v_fma_f32 v10, v10, v12, -v13
	v_fmac_f32_e32 v9, v11, v12
	v_add_f32_e32 v8, v8, v10
	v_add_f32_e32 v3, v3, v9
	s_andn2_b64 exec, exec, s[6:7]
	s_cbranch_execnz .LBB35_29
; %bb.30:
	s_or_b64 exec, exec, s[6:7]
	v_mov_b32_e32 v4, 0
	ds_read_b64 v[4:5], v4 offset:32
	s_waitcnt lgkmcnt(0)
	v_mul_f32_e32 v7, v3, v5
	v_mul_f32_e32 v5, v8, v5
	v_fma_f32 v7, v8, v4, -v7
	v_fmac_f32_e32 v5, v3, v4
	buffer_store_dword v7, off, s[0:3], 0 offset:32
	buffer_store_dword v5, off, s[0:3], 0 offset:36
.LBB35_31:
	s_or_b64 exec, exec, s[4:5]
	s_waitcnt lgkmcnt(0)
	; wave barrier
	buffer_load_dword v4, off, s[0:3], 0 offset:40
	buffer_load_dword v5, off, s[0:3], 0 offset:44
	v_cmp_gt_u32_e32 vcc, 5, v0
	s_waitcnt vmcnt(0)
	ds_write_b64 v1, v[4:5]
	;; [unrolled: 51-line block ×19, first 2 shown]
	s_waitcnt lgkmcnt(0)
	; wave barrier
	s_waitcnt lgkmcnt(0)
	s_and_saveexec_b64 s[4:5], vcc
	s_cbranch_execz .LBB35_103
; %bb.100:
	v_add_u32_e32 v4, -1, v0
	v_add_u32_e32 v5, 0x120, v6
	v_add_u32_e32 v7, 0, v6
	s_mov_b64 s[6:7], 0
	v_mov_b32_e32 v3, 0
	v_mov_b32_e32 v8, 0
.LBB35_101:                             ; =>This Inner Loop Header: Depth=1
	buffer_load_dword v9, v7, s[0:3], 0 offen offset:4
	buffer_load_dword v12, v7, s[0:3], 0 offen
	ds_read_b64 v[10:11], v5
	v_add_u32_e32 v4, 1, v4
	v_cmp_lt_u32_e32 vcc, 20, v4
	v_add_u32_e32 v5, 8, v5
	v_add_u32_e32 v7, 8, v7
	s_or_b64 s[6:7], vcc, s[6:7]
	s_waitcnt vmcnt(1) lgkmcnt(0)
	v_mul_f32_e32 v13, v11, v9
	v_mul_f32_e32 v9, v10, v9
	s_waitcnt vmcnt(0)
	v_fma_f32 v10, v10, v12, -v13
	v_fmac_f32_e32 v9, v11, v12
	v_add_f32_e32 v8, v8, v10
	v_add_f32_e32 v3, v3, v9
	s_andn2_b64 exec, exec, s[6:7]
	s_cbranch_execnz .LBB35_101
; %bb.102:
	s_or_b64 exec, exec, s[6:7]
	v_mov_b32_e32 v4, 0
	ds_read_b64 v[4:5], v4 offset:176
	s_waitcnt lgkmcnt(0)
	v_mul_f32_e32 v7, v3, v5
	v_mul_f32_e32 v5, v8, v5
	v_fma_f32 v7, v8, v4, -v7
	v_fmac_f32_e32 v5, v3, v4
	buffer_store_dword v7, off, s[0:3], 0 offset:176
	buffer_store_dword v5, off, s[0:3], 0 offset:180
.LBB35_103:
	s_or_b64 exec, exec, s[4:5]
	s_waitcnt lgkmcnt(0)
	; wave barrier
	buffer_load_dword v4, off, s[0:3], 0 offset:184
	buffer_load_dword v5, off, s[0:3], 0 offset:188
	v_cmp_gt_u32_e32 vcc, 23, v0
	s_waitcnt vmcnt(0)
	ds_write_b64 v1, v[4:5]
	s_waitcnt lgkmcnt(0)
	; wave barrier
	s_waitcnt lgkmcnt(0)
	s_and_saveexec_b64 s[4:5], vcc
	s_cbranch_execz .LBB35_107
; %bb.104:
	v_add_u32_e32 v4, -1, v0
	v_add_u32_e32 v5, 0x120, v6
	v_add_u32_e32 v7, 0, v6
	s_mov_b64 s[6:7], 0
	v_mov_b32_e32 v3, 0
	v_mov_b32_e32 v8, 0
.LBB35_105:                             ; =>This Inner Loop Header: Depth=1
	buffer_load_dword v9, v7, s[0:3], 0 offen offset:4
	buffer_load_dword v12, v7, s[0:3], 0 offen
	ds_read_b64 v[10:11], v5
	v_add_u32_e32 v4, 1, v4
	v_cmp_lt_u32_e32 vcc, 21, v4
	v_add_u32_e32 v5, 8, v5
	v_add_u32_e32 v7, 8, v7
	s_or_b64 s[6:7], vcc, s[6:7]
	s_waitcnt vmcnt(1) lgkmcnt(0)
	v_mul_f32_e32 v13, v11, v9
	v_mul_f32_e32 v9, v10, v9
	s_waitcnt vmcnt(0)
	v_fma_f32 v10, v10, v12, -v13
	v_fmac_f32_e32 v9, v11, v12
	v_add_f32_e32 v8, v8, v10
	v_add_f32_e32 v3, v3, v9
	s_andn2_b64 exec, exec, s[6:7]
	s_cbranch_execnz .LBB35_105
; %bb.106:
	s_or_b64 exec, exec, s[6:7]
	v_mov_b32_e32 v4, 0
	ds_read_b64 v[4:5], v4 offset:184
	s_waitcnt lgkmcnt(0)
	v_mul_f32_e32 v7, v3, v5
	v_mul_f32_e32 v5, v8, v5
	v_fma_f32 v7, v8, v4, -v7
	v_fmac_f32_e32 v5, v3, v4
	buffer_store_dword v7, off, s[0:3], 0 offset:184
	buffer_store_dword v5, off, s[0:3], 0 offset:188
.LBB35_107:
	s_or_b64 exec, exec, s[4:5]
	s_waitcnt lgkmcnt(0)
	; wave barrier
	buffer_load_dword v4, off, s[0:3], 0 offset:192
	buffer_load_dword v5, off, s[0:3], 0 offset:196
	v_cmp_gt_u32_e32 vcc, 24, v0
	s_waitcnt vmcnt(0)
	ds_write_b64 v1, v[4:5]
	;; [unrolled: 51-line block ×12, first 2 shown]
	s_waitcnt lgkmcnt(0)
	; wave barrier
	s_waitcnt lgkmcnt(0)
	s_and_saveexec_b64 s[4:5], vcc
	s_cbranch_execz .LBB35_151
; %bb.148:
	v_add_u32_e32 v4, -1, v0
	v_add_u32_e32 v5, 0x120, v6
	v_add_u32_e32 v7, 0, v6
	s_mov_b64 s[6:7], 0
	v_mov_b32_e32 v3, 0
	v_mov_b32_e32 v8, 0
.LBB35_149:                             ; =>This Inner Loop Header: Depth=1
	buffer_load_dword v9, v7, s[0:3], 0 offen offset:4
	buffer_load_dword v12, v7, s[0:3], 0 offen
	ds_read_b64 v[10:11], v5
	v_add_u32_e32 v4, 1, v4
	v_cmp_lt_u32_e32 vcc, 32, v4
	v_add_u32_e32 v5, 8, v5
	v_add_u32_e32 v7, 8, v7
	s_or_b64 s[6:7], vcc, s[6:7]
	s_waitcnt vmcnt(1) lgkmcnt(0)
	v_mul_f32_e32 v13, v11, v9
	v_mul_f32_e32 v9, v10, v9
	s_waitcnt vmcnt(0)
	v_fma_f32 v10, v10, v12, -v13
	v_fmac_f32_e32 v9, v11, v12
	v_add_f32_e32 v8, v8, v10
	v_add_f32_e32 v3, v3, v9
	s_andn2_b64 exec, exec, s[6:7]
	s_cbranch_execnz .LBB35_149
; %bb.150:
	s_or_b64 exec, exec, s[6:7]
	v_mov_b32_e32 v4, 0
	ds_read_b64 v[4:5], v4 offset:272
	s_waitcnt lgkmcnt(0)
	v_mul_f32_e32 v7, v3, v5
	v_mul_f32_e32 v5, v8, v5
	v_fma_f32 v7, v8, v4, -v7
	v_fmac_f32_e32 v5, v3, v4
	buffer_store_dword v7, off, s[0:3], 0 offset:272
	buffer_store_dword v5, off, s[0:3], 0 offset:276
.LBB35_151:
	s_or_b64 exec, exec, s[4:5]
	s_waitcnt lgkmcnt(0)
	; wave barrier
	buffer_load_dword v4, off, s[0:3], 0 offset:280
	buffer_load_dword v5, off, s[0:3], 0 offset:284
	v_cmp_ne_u32_e32 vcc, 35, v0
	s_waitcnt vmcnt(0)
	ds_write_b64 v1, v[4:5]
	s_waitcnt lgkmcnt(0)
	; wave barrier
	s_waitcnt lgkmcnt(0)
	s_and_saveexec_b64 s[4:5], vcc
	s_cbranch_execz .LBB35_155
; %bb.152:
	v_add_u32_e32 v3, 0x120, v6
	v_add_u32_e32 v4, 0, v6
	s_mov_b64 s[6:7], 0
	v_mov_b32_e32 v1, 0
	v_mov_b32_e32 v5, 0
.LBB35_153:                             ; =>This Inner Loop Header: Depth=1
	buffer_load_dword v8, v4, s[0:3], 0 offen offset:4
	buffer_load_dword v9, v4, s[0:3], 0 offen
	ds_read_b64 v[6:7], v3
	v_add_u32_e32 v2, 1, v2
	v_cmp_lt_u32_e32 vcc, 33, v2
	v_add_u32_e32 v3, 8, v3
	v_add_u32_e32 v4, 8, v4
	s_or_b64 s[6:7], vcc, s[6:7]
	s_waitcnt vmcnt(1) lgkmcnt(0)
	v_mul_f32_e32 v10, v7, v8
	v_mul_f32_e32 v8, v6, v8
	s_waitcnt vmcnt(0)
	v_fma_f32 v6, v6, v9, -v10
	v_fmac_f32_e32 v8, v7, v9
	v_add_f32_e32 v5, v5, v6
	v_add_f32_e32 v1, v1, v8
	s_andn2_b64 exec, exec, s[6:7]
	s_cbranch_execnz .LBB35_153
; %bb.154:
	s_or_b64 exec, exec, s[6:7]
	v_mov_b32_e32 v2, 0
	ds_read_b64 v[2:3], v2 offset:280
	s_waitcnt lgkmcnt(0)
	v_mul_f32_e32 v4, v1, v3
	v_mul_f32_e32 v3, v5, v3
	v_fma_f32 v4, v5, v2, -v4
	v_fmac_f32_e32 v3, v1, v2
	buffer_store_dword v4, off, s[0:3], 0 offset:280
	buffer_store_dword v3, off, s[0:3], 0 offset:284
.LBB35_155:
	s_or_b64 exec, exec, s[4:5]
	s_mov_b64 s[6:7], -1
	s_waitcnt lgkmcnt(0)
	; wave barrier
.LBB35_156:
	s_and_b64 vcc, exec, s[6:7]
	s_cbranch_vccz .LBB35_158
; %bb.157:
	s_lshl_b64 s[4:5], s[8:9], 2
	s_add_u32 s4, s14, s4
	s_addc_u32 s5, s15, s5
	v_mov_b32_e32 v1, 0
	global_load_dword v1, v1, s[4:5]
	s_waitcnt vmcnt(0)
	v_cmp_ne_u32_e32 vcc, 0, v1
	s_cbranch_vccz .LBB35_159
.LBB35_158:
	s_endpgm
.LBB35_159:
	v_mov_b32_e32 v1, 0x120
	v_lshl_add_u32 v1, v0, 3, v1
	v_cmp_eq_u32_e32 vcc, 35, v0
	s_and_saveexec_b64 s[4:5], vcc
	s_cbranch_execz .LBB35_161
; %bb.160:
	buffer_load_dword v2, off, s[0:3], 0 offset:272
	buffer_load_dword v3, off, s[0:3], 0 offset:276
	v_mov_b32_e32 v4, 0
	buffer_store_dword v4, off, s[0:3], 0 offset:272
	buffer_store_dword v4, off, s[0:3], 0 offset:276
	s_waitcnt vmcnt(2)
	ds_write_b64 v1, v[2:3]
.LBB35_161:
	s_or_b64 exec, exec, s[4:5]
	s_waitcnt lgkmcnt(0)
	; wave barrier
	s_waitcnt lgkmcnt(0)
	buffer_load_dword v5, off, s[0:3], 0 offset:284
	buffer_load_dword v4, off, s[0:3], 0 offset:280
	;; [unrolled: 1-line block ×4, first 2 shown]
	v_mov_b32_e32 v2, 0
	ds_read_b64 v[8:9], v2 offset:568
	v_cmp_lt_u32_e32 vcc, 33, v0
	s_waitcnt vmcnt(3)
	v_mov_b32_e32 v10, v5
	s_waitcnt lgkmcnt(0)
	v_pk_mul_f32 v[10:11], v[8:9], v[10:11] op_sel_hi:[1,0]
	s_waitcnt vmcnt(2)
	v_pk_fma_f32 v[12:13], v[8:9], v[4:5], v[10:11] op_sel:[0,0,1] op_sel_hi:[1,1,0] neg_lo:[0,0,1] neg_hi:[0,0,1]
	v_pk_fma_f32 v[4:5], v[8:9], v[4:5], v[10:11] op_sel:[0,0,1] op_sel_hi:[1,0,0]
	v_mov_b32_e32 v13, v5
	v_pk_add_f32 v[4:5], v[12:13], 0 op_sel_hi:[1,0]
	s_waitcnt vmcnt(0)
	v_pk_add_f32 v[4:5], v[6:7], v[4:5] neg_lo:[0,1] neg_hi:[0,1]
	buffer_store_dword v4, off, s[0:3], 0 offset:272
	buffer_store_dword v5, off, s[0:3], 0 offset:276
	s_and_saveexec_b64 s[4:5], vcc
	s_cbranch_execz .LBB35_163
; %bb.162:
	buffer_load_dword v4, off, s[0:3], 0 offset:264
	buffer_load_dword v5, off, s[0:3], 0 offset:268
	s_waitcnt vmcnt(0)
	ds_write_b64 v1, v[4:5]
	buffer_store_dword v2, off, s[0:3], 0 offset:264
	buffer_store_dword v2, off, s[0:3], 0 offset:268
.LBB35_163:
	s_or_b64 exec, exec, s[4:5]
	s_waitcnt lgkmcnt(0)
	; wave barrier
	s_waitcnt lgkmcnt(0)
	buffer_load_dword v7, off, s[0:3], 0 offset:276
	buffer_load_dword v9, off, s[0:3], 0 offset:284
	buffer_load_dword v6, off, s[0:3], 0 offset:272
	buffer_load_dword v8, off, s[0:3], 0 offset:280
	buffer_load_dword v10, off, s[0:3], 0 offset:264
	buffer_load_dword v11, off, s[0:3], 0 offset:268
	ds_read_b128 v[2:5], v2 offset:560
	v_cmp_lt_u32_e32 vcc, 32, v0
	s_waitcnt vmcnt(5)
	v_mov_b32_e32 v12, v7
	s_waitcnt vmcnt(4)
	v_mov_b32_e32 v14, v9
	s_waitcnt lgkmcnt(0)
	v_pk_mul_f32 v[12:13], v[2:3], v[12:13] op_sel_hi:[1,0]
	v_pk_mul_f32 v[14:15], v[4:5], v[14:15] op_sel_hi:[1,0]
	s_waitcnt vmcnt(3)
	v_pk_fma_f32 v[16:17], v[2:3], v[6:7], v[12:13] op_sel:[0,0,1] op_sel_hi:[1,1,0] neg_lo:[0,0,1] neg_hi:[0,0,1]
	v_pk_fma_f32 v[2:3], v[2:3], v[6:7], v[12:13] op_sel:[0,0,1] op_sel_hi:[1,0,0]
	s_waitcnt vmcnt(2)
	v_pk_fma_f32 v[6:7], v[4:5], v[8:9], v[14:15] op_sel:[0,0,1] op_sel_hi:[1,1,0] neg_lo:[0,0,1] neg_hi:[0,0,1]
	v_pk_fma_f32 v[4:5], v[4:5], v[8:9], v[14:15] op_sel:[0,0,1] op_sel_hi:[1,0,0]
	v_mov_b32_e32 v17, v3
	v_mov_b32_e32 v7, v5
	v_pk_add_f32 v[2:3], v[16:17], 0 op_sel_hi:[1,0]
	v_pk_add_f32 v[2:3], v[2:3], v[6:7]
	s_waitcnt vmcnt(0)
	v_pk_add_f32 v[2:3], v[10:11], v[2:3] neg_lo:[0,1] neg_hi:[0,1]
	buffer_store_dword v2, off, s[0:3], 0 offset:264
	buffer_store_dword v3, off, s[0:3], 0 offset:268
	s_and_saveexec_b64 s[4:5], vcc
	s_cbranch_execz .LBB35_165
; %bb.164:
	buffer_load_dword v2, off, s[0:3], 0 offset:256
	buffer_load_dword v3, off, s[0:3], 0 offset:260
	v_mov_b32_e32 v4, 0
	buffer_store_dword v4, off, s[0:3], 0 offset:256
	buffer_store_dword v4, off, s[0:3], 0 offset:260
	s_waitcnt vmcnt(2)
	ds_write_b64 v1, v[2:3]
.LBB35_165:
	s_or_b64 exec, exec, s[4:5]
	s_waitcnt lgkmcnt(0)
	; wave barrier
	s_waitcnt lgkmcnt(0)
	buffer_load_dword v9, off, s[0:3], 0 offset:268
	buffer_load_dword v11, off, s[0:3], 0 offset:276
	;; [unrolled: 1-line block ×8, first 2 shown]
	v_mov_b32_e32 v2, 0
	ds_read2_b64 v[4:7], v2 offset0:69 offset1:70
	ds_read_b64 v[16:17], v2 offset:568
	v_cmp_lt_u32_e32 vcc, 31, v0
	s_waitcnt vmcnt(7)
	v_mov_b32_e32 v18, v9
	s_waitcnt vmcnt(6)
	v_mov_b32_e32 v20, v11
	s_waitcnt lgkmcnt(1)
	v_pk_mul_f32 v[18:19], v[4:5], v[18:19] op_sel_hi:[1,0]
	s_waitcnt vmcnt(5)
	v_mov_b32_e32 v94, v13
	v_pk_mul_f32 v[20:21], v[6:7], v[20:21] op_sel_hi:[1,0]
	s_waitcnt vmcnt(4)
	v_pk_fma_f32 v[96:97], v[4:5], v[8:9], v[18:19] op_sel:[0,0,1] op_sel_hi:[1,1,0] neg_lo:[0,0,1] neg_hi:[0,0,1]
	v_pk_fma_f32 v[4:5], v[4:5], v[8:9], v[18:19] op_sel:[0,0,1] op_sel_hi:[1,0,0]
	s_waitcnt lgkmcnt(0)
	v_pk_mul_f32 v[94:95], v[16:17], v[94:95] op_sel_hi:[1,0]
	s_waitcnt vmcnt(3)
	v_pk_fma_f32 v[8:9], v[6:7], v[10:11], v[20:21] op_sel:[0,0,1] op_sel_hi:[1,1,0] neg_lo:[0,0,1] neg_hi:[0,0,1]
	v_pk_fma_f32 v[6:7], v[6:7], v[10:11], v[20:21] op_sel:[0,0,1] op_sel_hi:[1,0,0]
	v_mov_b32_e32 v97, v5
	s_waitcnt vmcnt(2)
	v_pk_fma_f32 v[10:11], v[16:17], v[12:13], v[94:95] op_sel:[0,0,1] op_sel_hi:[1,1,0] neg_lo:[0,0,1] neg_hi:[0,0,1]
	v_pk_fma_f32 v[12:13], v[16:17], v[12:13], v[94:95] op_sel:[0,0,1] op_sel_hi:[1,0,0]
	v_mov_b32_e32 v9, v7
	v_pk_add_f32 v[4:5], v[96:97], 0 op_sel_hi:[1,0]
	v_mov_b32_e32 v11, v13
	v_pk_add_f32 v[4:5], v[4:5], v[8:9]
	v_pk_add_f32 v[4:5], v[4:5], v[10:11]
	s_waitcnt vmcnt(0)
	v_pk_add_f32 v[4:5], v[14:15], v[4:5] neg_lo:[0,1] neg_hi:[0,1]
	buffer_store_dword v4, off, s[0:3], 0 offset:256
	buffer_store_dword v5, off, s[0:3], 0 offset:260
	s_and_saveexec_b64 s[4:5], vcc
	s_cbranch_execz .LBB35_167
; %bb.166:
	buffer_load_dword v4, off, s[0:3], 0 offset:248
	buffer_load_dword v5, off, s[0:3], 0 offset:252
	s_waitcnt vmcnt(0)
	ds_write_b64 v1, v[4:5]
	buffer_store_dword v2, off, s[0:3], 0 offset:248
	buffer_store_dword v2, off, s[0:3], 0 offset:252
.LBB35_167:
	s_or_b64 exec, exec, s[4:5]
	s_waitcnt lgkmcnt(0)
	; wave barrier
	s_waitcnt lgkmcnt(0)
	buffer_load_dword v13, off, s[0:3], 0 offset:260
	buffer_load_dword v15, off, s[0:3], 0 offset:268
	;; [unrolled: 1-line block ×10, first 2 shown]
	ds_read_b128 v[4:7], v2 offset:544
	ds_read_b128 v[8:11], v2 offset:560
	v_cmp_lt_u32_e32 vcc, 30, v0
	s_waitcnt vmcnt(9)
	v_mov_b32_e32 v2, v13
	s_waitcnt vmcnt(8)
	v_mov_b32_e32 v94, v15
	s_waitcnt lgkmcnt(1)
	v_pk_mul_f32 v[2:3], v[4:5], v[2:3] op_sel_hi:[1,0]
	s_waitcnt vmcnt(7)
	v_mov_b32_e32 v96, v17
	v_pk_mul_f32 v[94:95], v[6:7], v[94:95] op_sel_hi:[1,0]
	s_waitcnt vmcnt(5)
	v_pk_fma_f32 v[100:101], v[4:5], v[12:13], v[2:3] op_sel:[0,0,1] op_sel_hi:[1,1,0] neg_lo:[0,0,1] neg_hi:[0,0,1]
	v_pk_fma_f32 v[2:3], v[4:5], v[12:13], v[2:3] op_sel:[0,0,1] op_sel_hi:[1,0,0]
	v_mov_b32_e32 v98, v19
	s_waitcnt lgkmcnt(0)
	v_pk_mul_f32 v[96:97], v[8:9], v[96:97] op_sel_hi:[1,0]
	s_waitcnt vmcnt(4)
	v_pk_fma_f32 v[4:5], v[6:7], v[14:15], v[94:95] op_sel:[0,0,1] op_sel_hi:[1,1,0] neg_lo:[0,0,1] neg_hi:[0,0,1]
	v_pk_fma_f32 v[6:7], v[6:7], v[14:15], v[94:95] op_sel:[0,0,1] op_sel_hi:[1,0,0]
	v_mov_b32_e32 v101, v3
	v_pk_mul_f32 v[98:99], v[10:11], v[98:99] op_sel_hi:[1,0]
	s_waitcnt vmcnt(3)
	v_pk_fma_f32 v[12:13], v[8:9], v[16:17], v[96:97] op_sel:[0,0,1] op_sel_hi:[1,1,0] neg_lo:[0,0,1] neg_hi:[0,0,1]
	v_pk_fma_f32 v[8:9], v[8:9], v[16:17], v[96:97] op_sel:[0,0,1] op_sel_hi:[1,0,0]
	v_mov_b32_e32 v5, v7
	v_pk_add_f32 v[2:3], v[100:101], 0 op_sel_hi:[1,0]
	s_waitcnt vmcnt(2)
	v_pk_fma_f32 v[14:15], v[10:11], v[18:19], v[98:99] op_sel:[0,0,1] op_sel_hi:[1,1,0] neg_lo:[0,0,1] neg_hi:[0,0,1]
	v_pk_fma_f32 v[10:11], v[10:11], v[18:19], v[98:99] op_sel:[0,0,1] op_sel_hi:[1,0,0]
	v_mov_b32_e32 v13, v9
	v_pk_add_f32 v[2:3], v[2:3], v[4:5]
	v_mov_b32_e32 v15, v11
	v_pk_add_f32 v[2:3], v[2:3], v[12:13]
	v_pk_add_f32 v[2:3], v[2:3], v[14:15]
	s_waitcnt vmcnt(0)
	v_pk_add_f32 v[2:3], v[20:21], v[2:3] neg_lo:[0,1] neg_hi:[0,1]
	buffer_store_dword v2, off, s[0:3], 0 offset:248
	buffer_store_dword v3, off, s[0:3], 0 offset:252
	s_and_saveexec_b64 s[4:5], vcc
	s_cbranch_execz .LBB35_169
; %bb.168:
	buffer_load_dword v2, off, s[0:3], 0 offset:240
	buffer_load_dword v3, off, s[0:3], 0 offset:244
	v_mov_b32_e32 v4, 0
	buffer_store_dword v4, off, s[0:3], 0 offset:240
	buffer_store_dword v4, off, s[0:3], 0 offset:244
	s_waitcnt vmcnt(2)
	ds_write_b64 v1, v[2:3]
.LBB35_169:
	s_or_b64 exec, exec, s[4:5]
	s_waitcnt lgkmcnt(0)
	; wave barrier
	s_waitcnt lgkmcnt(0)
	buffer_load_dword v13, off, s[0:3], 0 offset:252
	buffer_load_dword v15, off, s[0:3], 0 offset:260
	;; [unrolled: 1-line block ×12, first 2 shown]
	v_mov_b32_e32 v2, 0
	ds_read2_b64 v[4:7], v2 offset0:67 offset1:68
	ds_read2_b64 v[8:11], v2 offset0:69 offset1:70
	ds_read_b64 v[96:97], v2 offset:568
	v_cmp_lt_u32_e32 vcc, 29, v0
	s_waitcnt vmcnt(11)
	v_mov_b32_e32 v98, v13
	s_waitcnt vmcnt(10)
	v_mov_b32_e32 v100, v15
	s_waitcnt lgkmcnt(2)
	v_pk_mul_f32 v[98:99], v[4:5], v[98:99] op_sel_hi:[1,0]
	s_waitcnt vmcnt(9)
	v_mov_b32_e32 v102, v17
	v_pk_mul_f32 v[100:101], v[6:7], v[100:101] op_sel_hi:[1,0]
	s_waitcnt vmcnt(6)
	v_pk_fma_f32 v[108:109], v[4:5], v[12:13], v[98:99] op_sel:[0,0,1] op_sel_hi:[1,1,0] neg_lo:[0,0,1] neg_hi:[0,0,1]
	v_pk_fma_f32 v[4:5], v[4:5], v[12:13], v[98:99] op_sel:[0,0,1] op_sel_hi:[1,0,0]
	v_mov_b32_e32 v104, v19
	s_waitcnt lgkmcnt(1)
	v_pk_mul_f32 v[102:103], v[8:9], v[102:103] op_sel_hi:[1,0]
	s_waitcnt vmcnt(5)
	v_pk_fma_f32 v[12:13], v[6:7], v[14:15], v[100:101] op_sel:[0,0,1] op_sel_hi:[1,1,0] neg_lo:[0,0,1] neg_hi:[0,0,1]
	v_pk_fma_f32 v[6:7], v[6:7], v[14:15], v[100:101] op_sel:[0,0,1] op_sel_hi:[1,0,0]
	v_mov_b32_e32 v109, v5
	v_mov_b32_e32 v106, v21
	v_pk_mul_f32 v[104:105], v[10:11], v[104:105] op_sel_hi:[1,0]
	s_waitcnt vmcnt(4)
	v_pk_fma_f32 v[14:15], v[8:9], v[16:17], v[102:103] op_sel:[0,0,1] op_sel_hi:[1,1,0] neg_lo:[0,0,1] neg_hi:[0,0,1]
	v_pk_fma_f32 v[8:9], v[8:9], v[16:17], v[102:103] op_sel:[0,0,1] op_sel_hi:[1,0,0]
	v_mov_b32_e32 v13, v7
	v_pk_add_f32 v[4:5], v[108:109], 0 op_sel_hi:[1,0]
	s_waitcnt lgkmcnt(0)
	v_pk_mul_f32 v[106:107], v[96:97], v[106:107] op_sel_hi:[1,0]
	s_waitcnt vmcnt(3)
	v_pk_fma_f32 v[16:17], v[10:11], v[18:19], v[104:105] op_sel:[0,0,1] op_sel_hi:[1,1,0] neg_lo:[0,0,1] neg_hi:[0,0,1]
	v_pk_fma_f32 v[10:11], v[10:11], v[18:19], v[104:105] op_sel:[0,0,1] op_sel_hi:[1,0,0]
	v_mov_b32_e32 v15, v9
	v_pk_add_f32 v[4:5], v[4:5], v[12:13]
	s_waitcnt vmcnt(2)
	v_pk_fma_f32 v[18:19], v[96:97], v[20:21], v[106:107] op_sel:[0,0,1] op_sel_hi:[1,1,0] neg_lo:[0,0,1] neg_hi:[0,0,1]
	v_pk_fma_f32 v[20:21], v[96:97], v[20:21], v[106:107] op_sel:[0,0,1] op_sel_hi:[1,0,0]
	v_mov_b32_e32 v17, v11
	v_pk_add_f32 v[4:5], v[4:5], v[14:15]
	v_mov_b32_e32 v19, v21
	v_pk_add_f32 v[4:5], v[4:5], v[16:17]
	v_pk_add_f32 v[4:5], v[4:5], v[18:19]
	s_waitcnt vmcnt(0)
	v_pk_add_f32 v[4:5], v[94:95], v[4:5] neg_lo:[0,1] neg_hi:[0,1]
	buffer_store_dword v4, off, s[0:3], 0 offset:240
	buffer_store_dword v5, off, s[0:3], 0 offset:244
	s_and_saveexec_b64 s[4:5], vcc
	s_cbranch_execz .LBB35_171
; %bb.170:
	buffer_load_dword v4, off, s[0:3], 0 offset:232
	buffer_load_dword v5, off, s[0:3], 0 offset:236
	s_waitcnt vmcnt(0)
	ds_write_b64 v1, v[4:5]
	buffer_store_dword v2, off, s[0:3], 0 offset:232
	buffer_store_dword v2, off, s[0:3], 0 offset:236
.LBB35_171:
	s_or_b64 exec, exec, s[4:5]
	s_waitcnt lgkmcnt(0)
	; wave barrier
	s_waitcnt lgkmcnt(0)
	buffer_load_dword v17, off, s[0:3], 0 offset:244
	buffer_load_dword v19, off, s[0:3], 0 offset:252
	;; [unrolled: 1-line block ×14, first 2 shown]
	ds_read_b128 v[4:7], v2 offset:528
	ds_read_b128 v[8:11], v2 offset:544
	;; [unrolled: 1-line block ×3, first 2 shown]
	v_cmp_lt_u32_e32 vcc, 28, v0
	s_waitcnt vmcnt(13)
	v_mov_b32_e32 v2, v17
	s_waitcnt vmcnt(12)
	v_mov_b32_e32 v102, v19
	s_waitcnt lgkmcnt(2)
	v_pk_mul_f32 v[2:3], v[4:5], v[2:3] op_sel_hi:[1,0]
	s_waitcnt vmcnt(11)
	v_mov_b32_e32 v104, v21
	v_pk_mul_f32 v[102:103], v[6:7], v[102:103] op_sel_hi:[1,0]
	s_waitcnt vmcnt(10)
	v_mov_b32_e32 v106, v95
	s_waitcnt vmcnt(7)
	v_pk_fma_f32 v[112:113], v[4:5], v[16:17], v[2:3] op_sel:[0,0,1] op_sel_hi:[1,1,0] neg_lo:[0,0,1] neg_hi:[0,0,1]
	v_pk_fma_f32 v[2:3], v[4:5], v[16:17], v[2:3] op_sel:[0,0,1] op_sel_hi:[1,0,0]
	s_waitcnt lgkmcnt(1)
	v_pk_mul_f32 v[104:105], v[8:9], v[104:105] op_sel_hi:[1,0]
	s_waitcnt vmcnt(6)
	v_pk_fma_f32 v[4:5], v[6:7], v[18:19], v[102:103] op_sel:[0,0,1] op_sel_hi:[1,1,0] neg_lo:[0,0,1] neg_hi:[0,0,1]
	v_pk_fma_f32 v[6:7], v[6:7], v[18:19], v[102:103] op_sel:[0,0,1] op_sel_hi:[1,0,0]
	v_mov_b32_e32 v113, v3
	v_mov_b32_e32 v108, v97
	v_pk_mul_f32 v[106:107], v[10:11], v[106:107] op_sel_hi:[1,0]
	s_waitcnt vmcnt(5)
	v_pk_fma_f32 v[16:17], v[8:9], v[20:21], v[104:105] op_sel:[0,0,1] op_sel_hi:[1,1,0] neg_lo:[0,0,1] neg_hi:[0,0,1]
	v_pk_fma_f32 v[8:9], v[8:9], v[20:21], v[104:105] op_sel:[0,0,1] op_sel_hi:[1,0,0]
	v_mov_b32_e32 v5, v7
	v_pk_add_f32 v[2:3], v[112:113], 0 op_sel_hi:[1,0]
	v_mov_b32_e32 v110, v99
	s_waitcnt lgkmcnt(0)
	v_pk_mul_f32 v[108:109], v[12:13], v[108:109] op_sel_hi:[1,0]
	s_waitcnt vmcnt(4)
	v_pk_fma_f32 v[18:19], v[10:11], v[94:95], v[106:107] op_sel:[0,0,1] op_sel_hi:[1,1,0] neg_lo:[0,0,1] neg_hi:[0,0,1]
	v_pk_fma_f32 v[10:11], v[10:11], v[94:95], v[106:107] op_sel:[0,0,1] op_sel_hi:[1,0,0]
	v_mov_b32_e32 v17, v9
	v_pk_add_f32 v[2:3], v[2:3], v[4:5]
	v_pk_mul_f32 v[110:111], v[14:15], v[110:111] op_sel_hi:[1,0]
	s_waitcnt vmcnt(3)
	v_pk_fma_f32 v[20:21], v[12:13], v[96:97], v[108:109] op_sel:[0,0,1] op_sel_hi:[1,1,0] neg_lo:[0,0,1] neg_hi:[0,0,1]
	v_pk_fma_f32 v[12:13], v[12:13], v[96:97], v[108:109] op_sel:[0,0,1] op_sel_hi:[1,0,0]
	v_mov_b32_e32 v19, v11
	v_pk_add_f32 v[2:3], v[2:3], v[16:17]
	s_waitcnt vmcnt(2)
	v_pk_fma_f32 v[94:95], v[14:15], v[98:99], v[110:111] op_sel:[0,0,1] op_sel_hi:[1,1,0] neg_lo:[0,0,1] neg_hi:[0,0,1]
	v_pk_fma_f32 v[14:15], v[14:15], v[98:99], v[110:111] op_sel:[0,0,1] op_sel_hi:[1,0,0]
	v_mov_b32_e32 v21, v13
	v_pk_add_f32 v[2:3], v[2:3], v[18:19]
	v_mov_b32_e32 v95, v15
	v_pk_add_f32 v[2:3], v[2:3], v[20:21]
	v_pk_add_f32 v[2:3], v[2:3], v[94:95]
	s_waitcnt vmcnt(0)
	v_pk_add_f32 v[2:3], v[100:101], v[2:3] neg_lo:[0,1] neg_hi:[0,1]
	buffer_store_dword v2, off, s[0:3], 0 offset:232
	buffer_store_dword v3, off, s[0:3], 0 offset:236
	s_and_saveexec_b64 s[4:5], vcc
	s_cbranch_execz .LBB35_173
; %bb.172:
	buffer_load_dword v2, off, s[0:3], 0 offset:224
	buffer_load_dword v3, off, s[0:3], 0 offset:228
	v_mov_b32_e32 v4, 0
	buffer_store_dword v4, off, s[0:3], 0 offset:224
	buffer_store_dword v4, off, s[0:3], 0 offset:228
	s_waitcnt vmcnt(2)
	ds_write_b64 v1, v[2:3]
.LBB35_173:
	s_or_b64 exec, exec, s[4:5]
	s_waitcnt lgkmcnt(0)
	; wave barrier
	s_waitcnt lgkmcnt(0)
	buffer_load_dword v17, off, s[0:3], 0 offset:236
	buffer_load_dword v19, off, s[0:3], 0 offset:244
	buffer_load_dword v21, off, s[0:3], 0 offset:252
	buffer_load_dword v95, off, s[0:3], 0 offset:260
	buffer_load_dword v97, off, s[0:3], 0 offset:268
	buffer_load_dword v99, off, s[0:3], 0 offset:276
	buffer_load_dword v101, off, s[0:3], 0 offset:284
	buffer_load_dword v16, off, s[0:3], 0 offset:232
	buffer_load_dword v18, off, s[0:3], 0 offset:240
	buffer_load_dword v20, off, s[0:3], 0 offset:248
	buffer_load_dword v94, off, s[0:3], 0 offset:256
	buffer_load_dword v96, off, s[0:3], 0 offset:264
	buffer_load_dword v98, off, s[0:3], 0 offset:272
	buffer_load_dword v100, off, s[0:3], 0 offset:280
	buffer_load_dword v102, off, s[0:3], 0 offset:224
	buffer_load_dword v103, off, s[0:3], 0 offset:228
	v_mov_b32_e32 v2, 0
	ds_read2_b64 v[4:7], v2 offset0:65 offset1:66
	ds_read2_b64 v[8:11], v2 offset0:67 offset1:68
	;; [unrolled: 1-line block ×3, first 2 shown]
	ds_read_b64 v[104:105], v2 offset:568
	v_cmp_lt_u32_e32 vcc, 27, v0
	s_waitcnt vmcnt(15)
	v_mov_b32_e32 v106, v17
	s_waitcnt vmcnt(14)
	v_mov_b32_e32 v108, v19
	s_waitcnt lgkmcnt(3)
	v_pk_mul_f32 v[106:107], v[4:5], v[106:107] op_sel_hi:[1,0]
	s_waitcnt vmcnt(13)
	v_mov_b32_e32 v110, v21
	v_pk_mul_f32 v[108:109], v[6:7], v[108:109] op_sel_hi:[1,0]
	s_waitcnt vmcnt(12)
	v_mov_b32_e32 v112, v95
	s_waitcnt lgkmcnt(2)
	v_pk_mul_f32 v[110:111], v[8:9], v[110:111] op_sel_hi:[1,0]
	s_waitcnt vmcnt(8)
	v_pk_fma_f32 v[120:121], v[4:5], v[16:17], v[106:107] op_sel:[0,0,1] op_sel_hi:[1,1,0] neg_lo:[0,0,1] neg_hi:[0,0,1]
	v_pk_fma_f32 v[4:5], v[4:5], v[16:17], v[106:107] op_sel:[0,0,1] op_sel_hi:[1,0,0]
	s_waitcnt vmcnt(7)
	v_pk_fma_f32 v[16:17], v[6:7], v[18:19], v[108:109] op_sel:[0,0,1] op_sel_hi:[1,1,0] neg_lo:[0,0,1] neg_hi:[0,0,1]
	v_pk_fma_f32 v[6:7], v[6:7], v[18:19], v[108:109] op_sel:[0,0,1] op_sel_hi:[1,0,0]
	v_mov_b32_e32 v121, v5
	v_mov_b32_e32 v114, v97
	v_pk_mul_f32 v[112:113], v[10:11], v[112:113] op_sel_hi:[1,0]
	s_waitcnt vmcnt(6)
	v_pk_fma_f32 v[18:19], v[8:9], v[20:21], v[110:111] op_sel:[0,0,1] op_sel_hi:[1,1,0] neg_lo:[0,0,1] neg_hi:[0,0,1]
	v_pk_fma_f32 v[8:9], v[8:9], v[20:21], v[110:111] op_sel:[0,0,1] op_sel_hi:[1,0,0]
	v_mov_b32_e32 v17, v7
	v_pk_add_f32 v[4:5], v[120:121], 0 op_sel_hi:[1,0]
	v_mov_b32_e32 v116, v99
	s_waitcnt lgkmcnt(1)
	v_pk_mul_f32 v[114:115], v[12:13], v[114:115] op_sel_hi:[1,0]
	s_waitcnt vmcnt(5)
	v_pk_fma_f32 v[20:21], v[10:11], v[94:95], v[112:113] op_sel:[0,0,1] op_sel_hi:[1,1,0] neg_lo:[0,0,1] neg_hi:[0,0,1]
	v_pk_fma_f32 v[10:11], v[10:11], v[94:95], v[112:113] op_sel:[0,0,1] op_sel_hi:[1,0,0]
	v_mov_b32_e32 v19, v9
	v_pk_add_f32 v[4:5], v[4:5], v[16:17]
	v_mov_b32_e32 v118, v101
	v_pk_mul_f32 v[116:117], v[14:15], v[116:117] op_sel_hi:[1,0]
	s_waitcnt vmcnt(4)
	v_pk_fma_f32 v[94:95], v[12:13], v[96:97], v[114:115] op_sel:[0,0,1] op_sel_hi:[1,1,0] neg_lo:[0,0,1] neg_hi:[0,0,1]
	v_pk_fma_f32 v[12:13], v[12:13], v[96:97], v[114:115] op_sel:[0,0,1] op_sel_hi:[1,0,0]
	v_mov_b32_e32 v21, v11
	v_pk_add_f32 v[4:5], v[4:5], v[18:19]
	s_waitcnt lgkmcnt(0)
	v_pk_mul_f32 v[118:119], v[104:105], v[118:119] op_sel_hi:[1,0]
	s_waitcnt vmcnt(3)
	v_pk_fma_f32 v[96:97], v[14:15], v[98:99], v[116:117] op_sel:[0,0,1] op_sel_hi:[1,1,0] neg_lo:[0,0,1] neg_hi:[0,0,1]
	v_pk_fma_f32 v[14:15], v[14:15], v[98:99], v[116:117] op_sel:[0,0,1] op_sel_hi:[1,0,0]
	v_mov_b32_e32 v95, v13
	v_pk_add_f32 v[4:5], v[4:5], v[20:21]
	s_waitcnt vmcnt(2)
	v_pk_fma_f32 v[98:99], v[104:105], v[100:101], v[118:119] op_sel:[0,0,1] op_sel_hi:[1,1,0] neg_lo:[0,0,1] neg_hi:[0,0,1]
	v_pk_fma_f32 v[100:101], v[104:105], v[100:101], v[118:119] op_sel:[0,0,1] op_sel_hi:[1,0,0]
	v_mov_b32_e32 v97, v15
	v_pk_add_f32 v[4:5], v[4:5], v[94:95]
	v_mov_b32_e32 v99, v101
	v_pk_add_f32 v[4:5], v[4:5], v[96:97]
	v_pk_add_f32 v[4:5], v[4:5], v[98:99]
	s_waitcnt vmcnt(0)
	v_pk_add_f32 v[4:5], v[102:103], v[4:5] neg_lo:[0,1] neg_hi:[0,1]
	buffer_store_dword v4, off, s[0:3], 0 offset:224
	buffer_store_dword v5, off, s[0:3], 0 offset:228
	s_and_saveexec_b64 s[4:5], vcc
	s_cbranch_execz .LBB35_175
; %bb.174:
	buffer_load_dword v4, off, s[0:3], 0 offset:216
	buffer_load_dword v5, off, s[0:3], 0 offset:220
	s_waitcnt vmcnt(0)
	ds_write_b64 v1, v[4:5]
	buffer_store_dword v2, off, s[0:3], 0 offset:216
	buffer_store_dword v2, off, s[0:3], 0 offset:220
.LBB35_175:
	s_or_b64 exec, exec, s[4:5]
	s_waitcnt lgkmcnt(0)
	; wave barrier
	s_waitcnt lgkmcnt(0)
	buffer_load_dword v21, off, s[0:3], 0 offset:228
	buffer_load_dword v95, off, s[0:3], 0 offset:236
	;; [unrolled: 1-line block ×18, first 2 shown]
	ds_read_b128 v[4:7], v2 offset:512
	ds_read_b128 v[8:11], v2 offset:528
	;; [unrolled: 1-line block ×4, first 2 shown]
	v_cmp_lt_u32_e32 vcc, 26, v0
	s_waitcnt vmcnt(17)
	v_mov_b32_e32 v2, v21
	s_waitcnt vmcnt(16)
	v_mov_b32_e32 v110, v95
	s_waitcnt lgkmcnt(3)
	v_pk_mul_f32 v[2:3], v[4:5], v[2:3] op_sel_hi:[1,0]
	s_waitcnt vmcnt(15)
	v_mov_b32_e32 v112, v97
	v_pk_mul_f32 v[110:111], v[6:7], v[110:111] op_sel_hi:[1,0]
	s_waitcnt vmcnt(14)
	v_mov_b32_e32 v114, v99
	s_waitcnt lgkmcnt(2)
	v_pk_mul_f32 v[112:113], v[8:9], v[112:113] op_sel_hi:[1,0]
	s_waitcnt vmcnt(13)
	v_mov_b32_e32 v116, v101
	s_waitcnt vmcnt(9)
	v_pk_fma_f32 v[124:125], v[4:5], v[20:21], v[2:3] op_sel:[0,0,1] op_sel_hi:[1,1,0] neg_lo:[0,0,1] neg_hi:[0,0,1]
	v_pk_fma_f32 v[2:3], v[4:5], v[20:21], v[2:3] op_sel:[0,0,1] op_sel_hi:[1,0,0]
	s_waitcnt vmcnt(8)
	v_pk_fma_f32 v[4:5], v[6:7], v[94:95], v[110:111] op_sel:[0,0,1] op_sel_hi:[1,1,0] neg_lo:[0,0,1] neg_hi:[0,0,1]
	v_pk_fma_f32 v[6:7], v[6:7], v[94:95], v[110:111] op_sel:[0,0,1] op_sel_hi:[1,0,0]
	v_mov_b32_e32 v125, v3
	v_pk_mul_f32 v[114:115], v[10:11], v[114:115] op_sel_hi:[1,0]
	s_waitcnt vmcnt(7)
	v_pk_fma_f32 v[20:21], v[8:9], v[96:97], v[112:113] op_sel:[0,0,1] op_sel_hi:[1,1,0] neg_lo:[0,0,1] neg_hi:[0,0,1]
	v_pk_fma_f32 v[8:9], v[8:9], v[96:97], v[112:113] op_sel:[0,0,1] op_sel_hi:[1,0,0]
	v_mov_b32_e32 v5, v7
	v_pk_add_f32 v[2:3], v[124:125], 0 op_sel_hi:[1,0]
	v_mov_b32_e32 v118, v103
	s_waitcnt lgkmcnt(1)
	v_pk_mul_f32 v[116:117], v[12:13], v[116:117] op_sel_hi:[1,0]
	s_waitcnt vmcnt(6)
	v_pk_fma_f32 v[94:95], v[10:11], v[98:99], v[114:115] op_sel:[0,0,1] op_sel_hi:[1,1,0] neg_lo:[0,0,1] neg_hi:[0,0,1]
	v_pk_fma_f32 v[10:11], v[10:11], v[98:99], v[114:115] op_sel:[0,0,1] op_sel_hi:[1,0,0]
	v_mov_b32_e32 v21, v9
	v_pk_add_f32 v[2:3], v[2:3], v[4:5]
	v_mov_b32_e32 v120, v105
	v_pk_mul_f32 v[118:119], v[14:15], v[118:119] op_sel_hi:[1,0]
	s_waitcnt vmcnt(5)
	v_pk_fma_f32 v[96:97], v[12:13], v[100:101], v[116:117] op_sel:[0,0,1] op_sel_hi:[1,1,0] neg_lo:[0,0,1] neg_hi:[0,0,1]
	v_pk_fma_f32 v[12:13], v[12:13], v[100:101], v[116:117] op_sel:[0,0,1] op_sel_hi:[1,0,0]
	v_mov_b32_e32 v95, v11
	v_pk_add_f32 v[2:3], v[2:3], v[20:21]
	v_mov_b32_e32 v122, v107
	s_waitcnt lgkmcnt(0)
	v_pk_mul_f32 v[120:121], v[16:17], v[120:121] op_sel_hi:[1,0]
	s_waitcnt vmcnt(4)
	v_pk_fma_f32 v[98:99], v[14:15], v[102:103], v[118:119] op_sel:[0,0,1] op_sel_hi:[1,1,0] neg_lo:[0,0,1] neg_hi:[0,0,1]
	v_pk_fma_f32 v[14:15], v[14:15], v[102:103], v[118:119] op_sel:[0,0,1] op_sel_hi:[1,0,0]
	v_mov_b32_e32 v97, v13
	v_pk_add_f32 v[2:3], v[2:3], v[94:95]
	v_pk_mul_f32 v[122:123], v[18:19], v[122:123] op_sel_hi:[1,0]
	s_waitcnt vmcnt(3)
	v_pk_fma_f32 v[100:101], v[16:17], v[104:105], v[120:121] op_sel:[0,0,1] op_sel_hi:[1,1,0] neg_lo:[0,0,1] neg_hi:[0,0,1]
	v_pk_fma_f32 v[16:17], v[16:17], v[104:105], v[120:121] op_sel:[0,0,1] op_sel_hi:[1,0,0]
	v_mov_b32_e32 v99, v15
	v_pk_add_f32 v[2:3], v[2:3], v[96:97]
	s_waitcnt vmcnt(2)
	v_pk_fma_f32 v[102:103], v[18:19], v[106:107], v[122:123] op_sel:[0,0,1] op_sel_hi:[1,1,0] neg_lo:[0,0,1] neg_hi:[0,0,1]
	v_pk_fma_f32 v[18:19], v[18:19], v[106:107], v[122:123] op_sel:[0,0,1] op_sel_hi:[1,0,0]
	v_mov_b32_e32 v101, v17
	v_pk_add_f32 v[2:3], v[2:3], v[98:99]
	v_mov_b32_e32 v103, v19
	v_pk_add_f32 v[2:3], v[2:3], v[100:101]
	v_pk_add_f32 v[2:3], v[2:3], v[102:103]
	s_waitcnt vmcnt(0)
	v_pk_add_f32 v[2:3], v[108:109], v[2:3] neg_lo:[0,1] neg_hi:[0,1]
	buffer_store_dword v2, off, s[0:3], 0 offset:216
	buffer_store_dword v3, off, s[0:3], 0 offset:220
	s_and_saveexec_b64 s[4:5], vcc
	s_cbranch_execz .LBB35_177
; %bb.176:
	buffer_load_dword v2, off, s[0:3], 0 offset:208
	buffer_load_dword v3, off, s[0:3], 0 offset:212
	v_mov_b32_e32 v4, 0
	buffer_store_dword v4, off, s[0:3], 0 offset:208
	buffer_store_dword v4, off, s[0:3], 0 offset:212
	s_waitcnt vmcnt(2)
	ds_write_b64 v1, v[2:3]
.LBB35_177:
	s_or_b64 exec, exec, s[4:5]
	v_mov_b32_e32 v4, 0
	s_waitcnt lgkmcnt(0)
	; wave barrier
	s_waitcnt lgkmcnt(0)
	ds_read2_b64 v[6:9], v4 offset0:63 offset1:64
	buffer_load_dword v2, off, s[0:3], 0 offset:208
	buffer_load_dword v3, off, s[0:3], 0 offset:212
	;; [unrolled: 1-line block ×20, first 2 shown]
	v_cmp_lt_u32_e32 vcc, 25, v0
	s_waitcnt vmcnt(16) lgkmcnt(0)
	v_mul_f32_e32 v107, v6, v10
	v_fmac_f32_e32 v107, v7, v5
	v_mul_f32_e32 v7, v7, v10
	s_waitcnt vmcnt(14)
	v_mov_b32_e32 v112, v95
	v_fma_f32 v106, v6, v5, -v7
	ds_read2_b64 v[10:13], v4 offset0:65 offset1:66
	ds_read2_b64 v[14:17], v4 offset0:67 offset1:68
	;; [unrolled: 1-line block ×3, first 2 shown]
	ds_read_b64 v[6:7], v4 offset:568
	v_pk_mul_f32 v[112:113], v[8:9], v[112:113] op_sel_hi:[1,0]
	v_pk_fma_f32 v[114:115], v[8:9], v[94:95], v[112:113] op_sel:[0,0,1] op_sel_hi:[1,1,0] neg_lo:[0,0,1] neg_hi:[0,0,1]
	v_pk_fma_f32 v[8:9], v[8:9], v[94:95], v[112:113] op_sel:[0,0,1] op_sel_hi:[1,0,0]
	s_waitcnt vmcnt(12)
	v_mov_b32_e32 v94, v97
	v_pk_add_f32 v[106:107], v[106:107], 0 op_sel_hi:[1,0]
	v_mov_b32_e32 v115, v9
	s_waitcnt lgkmcnt(3)
	v_pk_mul_f32 v[94:95], v[10:11], v[94:95] op_sel_hi:[1,0]
	v_pk_add_f32 v[8:9], v[106:107], v[114:115]
	v_pk_fma_f32 v[106:107], v[10:11], v[96:97], v[94:95] op_sel:[0,0,1] op_sel_hi:[1,1,0] neg_lo:[0,0,1] neg_hi:[0,0,1]
	v_pk_fma_f32 v[10:11], v[10:11], v[96:97], v[94:95] op_sel:[0,0,1] op_sel_hi:[1,0,0]
	s_waitcnt vmcnt(10)
	v_mov_b32_e32 v10, v99
	v_mov_b32_e32 v107, v11
	v_pk_mul_f32 v[10:11], v[12:13], v[10:11] op_sel_hi:[1,0]
	v_pk_fma_f32 v[94:95], v[12:13], v[98:99], v[10:11] op_sel:[0,0,1] op_sel_hi:[1,1,0] neg_lo:[0,0,1] neg_hi:[0,0,1]
	v_pk_fma_f32 v[10:11], v[12:13], v[98:99], v[10:11] op_sel:[0,0,1] op_sel_hi:[1,0,0]
	s_waitcnt vmcnt(8)
	v_mov_b32_e32 v10, v101
	v_mov_b32_e32 v95, v11
	s_waitcnt lgkmcnt(2)
	v_pk_mul_f32 v[10:11], v[14:15], v[10:11] op_sel_hi:[1,0]
	v_pk_fma_f32 v[12:13], v[14:15], v[100:101], v[10:11] op_sel:[0,0,1] op_sel_hi:[1,1,0] neg_lo:[0,0,1] neg_hi:[0,0,1]
	v_pk_fma_f32 v[10:11], v[14:15], v[100:101], v[10:11] op_sel:[0,0,1] op_sel_hi:[1,0,0]
	v_pk_add_f32 v[8:9], v[8:9], v[106:107]
	s_waitcnt vmcnt(6)
	v_mov_b32_e32 v10, v103
	v_pk_add_f32 v[8:9], v[8:9], v[94:95]
	v_mov_b32_e32 v13, v11
	v_pk_mul_f32 v[10:11], v[16:17], v[10:11] op_sel_hi:[1,0]
	v_pk_add_f32 v[8:9], v[8:9], v[12:13]
	v_pk_fma_f32 v[12:13], v[16:17], v[102:103], v[10:11] op_sel:[0,0,1] op_sel_hi:[1,1,0] neg_lo:[0,0,1] neg_hi:[0,0,1]
	v_pk_fma_f32 v[10:11], v[16:17], v[102:103], v[10:11] op_sel:[0,0,1] op_sel_hi:[1,0,0]
	s_waitcnt vmcnt(4)
	v_mov_b32_e32 v10, v105
	v_mov_b32_e32 v13, v11
	s_waitcnt lgkmcnt(1)
	v_pk_mul_f32 v[10:11], v[18:19], v[10:11] op_sel_hi:[1,0]
	v_pk_add_f32 v[8:9], v[8:9], v[12:13]
	v_pk_fma_f32 v[12:13], v[18:19], v[104:105], v[10:11] op_sel:[0,0,1] op_sel_hi:[1,1,0] neg_lo:[0,0,1] neg_hi:[0,0,1]
	v_pk_fma_f32 v[10:11], v[18:19], v[104:105], v[10:11] op_sel:[0,0,1] op_sel_hi:[1,0,0]
	s_waitcnt vmcnt(3)
	v_mov_b32_e32 v10, v109
	v_mov_b32_e32 v13, v11
	v_pk_mul_f32 v[10:11], v[20:21], v[10:11] op_sel_hi:[1,0]
	v_pk_add_f32 v[8:9], v[8:9], v[12:13]
	s_waitcnt vmcnt(2)
	v_pk_fma_f32 v[12:13], v[20:21], v[108:109], v[10:11] op_sel:[0,0,1] op_sel_hi:[1,1,0] neg_lo:[0,0,1] neg_hi:[0,0,1]
	v_pk_fma_f32 v[10:11], v[20:21], v[108:109], v[10:11] op_sel:[0,0,1] op_sel_hi:[1,0,0]
	s_waitcnt vmcnt(1)
	v_mov_b32_e32 v10, v111
	v_mov_b32_e32 v13, v11
	s_waitcnt lgkmcnt(0)
	v_pk_mul_f32 v[10:11], v[6:7], v[10:11] op_sel_hi:[1,0]
	v_pk_add_f32 v[8:9], v[8:9], v[12:13]
	s_waitcnt vmcnt(0)
	v_pk_fma_f32 v[12:13], v[6:7], v[110:111], v[10:11] op_sel:[0,0,1] op_sel_hi:[1,1,0] neg_lo:[0,0,1] neg_hi:[0,0,1]
	v_pk_fma_f32 v[6:7], v[6:7], v[110:111], v[10:11] op_sel:[0,0,1] op_sel_hi:[1,0,0]
	v_mov_b32_e32 v13, v7
	v_pk_add_f32 v[6:7], v[8:9], v[12:13]
	v_pk_add_f32 v[2:3], v[2:3], v[6:7] neg_lo:[0,1] neg_hi:[0,1]
	buffer_store_dword v2, off, s[0:3], 0 offset:208
	buffer_store_dword v3, off, s[0:3], 0 offset:212
	s_and_saveexec_b64 s[4:5], vcc
	s_cbranch_execz .LBB35_179
; %bb.178:
	buffer_load_dword v2, off, s[0:3], 0 offset:200
	buffer_load_dword v3, off, s[0:3], 0 offset:204
	s_waitcnt vmcnt(0)
	ds_write_b64 v1, v[2:3]
	buffer_store_dword v4, off, s[0:3], 0 offset:200
	buffer_store_dword v4, off, s[0:3], 0 offset:204
.LBB35_179:
	s_or_b64 exec, exec, s[4:5]
	s_waitcnt lgkmcnt(0)
	; wave barrier
	s_waitcnt lgkmcnt(0)
	ds_read_b128 v[6:9], v4 offset:496
	ds_read_b128 v[10:13], v4 offset:512
	;; [unrolled: 1-line block ×4, first 2 shown]
	buffer_load_dword v2, off, s[0:3], 0 offset:200
	buffer_load_dword v3, off, s[0:3], 0 offset:204
	;; [unrolled: 1-line block ×22, first 2 shown]
	v_cmp_lt_u32_e32 vcc, 24, v0
	s_waitcnt vmcnt(18) lgkmcnt(3)
	v_mul_f32_e32 v105, v6, v104
	v_fmac_f32_e32 v105, v7, v5
	v_mul_f32_e32 v7, v7, v104
	s_waitcnt vmcnt(16)
	v_mul_f32_e32 v107, v8, v114
	v_fma_f32 v104, v6, v5, -v7
	v_mul_f32_e32 v5, v9, v114
	v_fmac_f32_e32 v107, v9, v106
	v_fma_f32 v106, v8, v106, -v5
	v_pk_add_f32 v[8:9], v[104:105], 0 op_sel_hi:[1,0]
	s_waitcnt vmcnt(14)
	v_mov_b32_e32 v104, v95
	s_waitcnt lgkmcnt(2)
	v_pk_mul_f32 v[104:105], v[10:11], v[104:105] op_sel_hi:[1,0]
	v_pk_add_f32 v[8:9], v[8:9], v[106:107]
	v_pk_fma_f32 v[106:107], v[10:11], v[94:95], v[104:105] op_sel:[0,0,1] op_sel_hi:[1,1,0] neg_lo:[0,0,1] neg_hi:[0,0,1]
	v_pk_fma_f32 v[10:11], v[10:11], v[94:95], v[104:105] op_sel:[0,0,1] op_sel_hi:[1,0,0]
	s_waitcnt vmcnt(12)
	v_mov_b32_e32 v10, v97
	v_mov_b32_e32 v107, v11
	v_pk_mul_f32 v[10:11], v[12:13], v[10:11] op_sel_hi:[1,0]
	v_pk_fma_f32 v[94:95], v[12:13], v[96:97], v[10:11] op_sel:[0,0,1] op_sel_hi:[1,1,0] neg_lo:[0,0,1] neg_hi:[0,0,1]
	v_pk_fma_f32 v[10:11], v[12:13], v[96:97], v[10:11] op_sel:[0,0,1] op_sel_hi:[1,0,0]
	s_waitcnt vmcnt(10)
	v_mov_b32_e32 v10, v99
	v_mov_b32_e32 v95, v11
	s_waitcnt lgkmcnt(1)
	v_pk_mul_f32 v[10:11], v[14:15], v[10:11] op_sel_hi:[1,0]
	v_pk_fma_f32 v[12:13], v[14:15], v[98:99], v[10:11] op_sel:[0,0,1] op_sel_hi:[1,1,0] neg_lo:[0,0,1] neg_hi:[0,0,1]
	v_pk_fma_f32 v[10:11], v[14:15], v[98:99], v[10:11] op_sel:[0,0,1] op_sel_hi:[1,0,0]
	v_pk_add_f32 v[8:9], v[8:9], v[106:107]
	s_waitcnt vmcnt(8)
	v_mov_b32_e32 v10, v101
	v_pk_add_f32 v[8:9], v[8:9], v[94:95]
	v_mov_b32_e32 v13, v11
	v_pk_mul_f32 v[10:11], v[16:17], v[10:11] op_sel_hi:[1,0]
	v_pk_add_f32 v[8:9], v[8:9], v[12:13]
	v_pk_fma_f32 v[12:13], v[16:17], v[100:101], v[10:11] op_sel:[0,0,1] op_sel_hi:[1,1,0] neg_lo:[0,0,1] neg_hi:[0,0,1]
	v_pk_fma_f32 v[10:11], v[16:17], v[100:101], v[10:11] op_sel:[0,0,1] op_sel_hi:[1,0,0]
	s_waitcnt vmcnt(6)
	v_mov_b32_e32 v10, v103
	v_mov_b32_e32 v13, v11
	s_waitcnt lgkmcnt(0)
	v_pk_mul_f32 v[10:11], v[18:19], v[10:11] op_sel_hi:[1,0]
	ds_read_b128 v[4:7], v4 offset:560
	v_pk_add_f32 v[8:9], v[8:9], v[12:13]
	v_pk_fma_f32 v[12:13], v[18:19], v[102:103], v[10:11] op_sel:[0,0,1] op_sel_hi:[1,1,0] neg_lo:[0,0,1] neg_hi:[0,0,1]
	v_pk_fma_f32 v[10:11], v[18:19], v[102:103], v[10:11] op_sel:[0,0,1] op_sel_hi:[1,0,0]
	s_waitcnt vmcnt(5)
	v_mov_b32_e32 v10, v109
	v_mov_b32_e32 v13, v11
	v_pk_mul_f32 v[10:11], v[20:21], v[10:11] op_sel_hi:[1,0]
	v_pk_add_f32 v[8:9], v[8:9], v[12:13]
	s_waitcnt vmcnt(4)
	v_pk_fma_f32 v[12:13], v[20:21], v[108:109], v[10:11] op_sel:[0,0,1] op_sel_hi:[1,1,0] neg_lo:[0,0,1] neg_hi:[0,0,1]
	v_pk_fma_f32 v[10:11], v[20:21], v[108:109], v[10:11] op_sel:[0,0,1] op_sel_hi:[1,0,0]
	s_waitcnt vmcnt(3)
	v_mov_b32_e32 v10, v111
	v_mov_b32_e32 v13, v11
	s_waitcnt lgkmcnt(0)
	v_pk_mul_f32 v[10:11], v[4:5], v[10:11] op_sel_hi:[1,0]
	v_pk_add_f32 v[8:9], v[8:9], v[12:13]
	s_waitcnt vmcnt(2)
	v_pk_fma_f32 v[12:13], v[4:5], v[110:111], v[10:11] op_sel:[0,0,1] op_sel_hi:[1,1,0] neg_lo:[0,0,1] neg_hi:[0,0,1]
	v_pk_fma_f32 v[4:5], v[4:5], v[110:111], v[10:11] op_sel:[0,0,1] op_sel_hi:[1,0,0]
	v_mov_b32_e32 v13, v5
	v_pk_add_f32 v[4:5], v[8:9], v[12:13]
	s_waitcnt vmcnt(1)
	v_mov_b32_e32 v8, v113
	v_pk_mul_f32 v[8:9], v[6:7], v[8:9] op_sel_hi:[1,0]
	s_waitcnt vmcnt(0)
	v_pk_fma_f32 v[10:11], v[6:7], v[112:113], v[8:9] op_sel:[0,0,1] op_sel_hi:[1,1,0] neg_lo:[0,0,1] neg_hi:[0,0,1]
	v_pk_fma_f32 v[6:7], v[6:7], v[112:113], v[8:9] op_sel:[0,0,1] op_sel_hi:[1,0,0]
	v_mov_b32_e32 v11, v7
	v_pk_add_f32 v[4:5], v[4:5], v[10:11]
	v_pk_add_f32 v[2:3], v[2:3], v[4:5] neg_lo:[0,1] neg_hi:[0,1]
	buffer_store_dword v2, off, s[0:3], 0 offset:200
	buffer_store_dword v3, off, s[0:3], 0 offset:204
	s_and_saveexec_b64 s[4:5], vcc
	s_cbranch_execz .LBB35_181
; %bb.180:
	buffer_load_dword v2, off, s[0:3], 0 offset:192
	buffer_load_dword v3, off, s[0:3], 0 offset:196
	v_mov_b32_e32 v4, 0
	buffer_store_dword v4, off, s[0:3], 0 offset:192
	buffer_store_dword v4, off, s[0:3], 0 offset:196
	s_waitcnt vmcnt(2)
	ds_write_b64 v1, v[2:3]
.LBB35_181:
	s_or_b64 exec, exec, s[4:5]
	v_mov_b32_e32 v4, 0
	s_waitcnt lgkmcnt(0)
	; wave barrier
	s_waitcnt lgkmcnt(0)
	ds_read2_b64 v[6:9], v4 offset0:61 offset1:62
	buffer_load_dword v2, off, s[0:3], 0 offset:192
	buffer_load_dword v3, off, s[0:3], 0 offset:196
	;; [unrolled: 1-line block ×16, first 2 shown]
	v_cmp_lt_u32_e32 vcc, 23, v0
	s_waitcnt vmcnt(12) lgkmcnt(0)
	v_mul_f32_e32 v10, v6, v14
	v_fmac_f32_e32 v10, v7, v5
	v_add_f32_e32 v103, 0, v10
	ds_read2_b64 v[10:13], v4 offset0:63 offset1:64
	buffer_load_dword v109, off, s[0:3], 0 offset:260
	buffer_load_dword v108, off, s[0:3], 0 offset:256
	;; [unrolled: 1-line block ×8, first 2 shown]
	v_mul_f32_e32 v7, v7, v14
	v_fma_f32 v5, v6, v5, -v7
	s_waitcnt vmcnt(18)
	v_mul_f32_e32 v105, v8, v16
	v_add_f32_e32 v102, 0, v5
	v_mul_f32_e32 v5, v9, v16
	v_fmac_f32_e32 v105, v9, v15
	v_fma_f32 v104, v8, v15, -v5
	s_waitcnt vmcnt(16) lgkmcnt(0)
	v_mul_f32_e32 v107, v10, v18
	v_mul_f32_e32 v5, v11, v18
	v_pk_add_f32 v[102:103], v[102:103], v[104:105]
	s_waitcnt vmcnt(14)
	v_mov_b32_e32 v104, v95
	v_fmac_f32_e32 v107, v11, v17
	v_fma_f32 v106, v10, v17, -v5
	ds_read2_b64 v[6:9], v4 offset0:65 offset1:66
	ds_read2_b64 v[14:17], v4 offset0:67 offset1:68
	;; [unrolled: 1-line block ×3, first 2 shown]
	ds_read_b64 v[10:11], v4 offset:568
	v_pk_mul_f32 v[104:105], v[12:13], v[104:105] op_sel_hi:[1,0]
	v_pk_add_f32 v[102:103], v[102:103], v[106:107]
	v_pk_fma_f32 v[106:107], v[12:13], v[94:95], v[104:105] op_sel:[0,0,1] op_sel_hi:[1,1,0] neg_lo:[0,0,1] neg_hi:[0,0,1]
	v_pk_fma_f32 v[12:13], v[12:13], v[94:95], v[104:105] op_sel:[0,0,1] op_sel_hi:[1,0,0]
	s_waitcnt vmcnt(12)
	v_mov_b32_e32 v94, v97
	v_mov_b32_e32 v107, v13
	s_waitcnt lgkmcnt(3)
	v_pk_mul_f32 v[94:95], v[6:7], v[94:95] op_sel_hi:[1,0]
	v_pk_add_f32 v[12:13], v[102:103], v[106:107]
	v_pk_fma_f32 v[102:103], v[6:7], v[96:97], v[94:95] op_sel:[0,0,1] op_sel_hi:[1,1,0] neg_lo:[0,0,1] neg_hi:[0,0,1]
	v_pk_fma_f32 v[6:7], v[6:7], v[96:97], v[94:95] op_sel:[0,0,1] op_sel_hi:[1,0,0]
	v_mov_b32_e32 v103, v7
	v_pk_add_f32 v[6:7], v[12:13], v[102:103]
	s_waitcnt vmcnt(10)
	v_mov_b32_e32 v12, v99
	v_pk_mul_f32 v[12:13], v[8:9], v[12:13] op_sel_hi:[1,0]
	v_pk_fma_f32 v[94:95], v[8:9], v[98:99], v[12:13] op_sel:[0,0,1] op_sel_hi:[1,1,0] neg_lo:[0,0,1] neg_hi:[0,0,1]
	v_pk_fma_f32 v[8:9], v[8:9], v[98:99], v[12:13] op_sel:[0,0,1] op_sel_hi:[1,0,0]
	s_waitcnt vmcnt(8)
	v_mov_b32_e32 v8, v101
	v_mov_b32_e32 v95, v9
	s_waitcnt lgkmcnt(2)
	v_pk_mul_f32 v[8:9], v[14:15], v[8:9] op_sel_hi:[1,0]
	v_pk_fma_f32 v[12:13], v[14:15], v[100:101], v[8:9] op_sel:[0,0,1] op_sel_hi:[1,1,0] neg_lo:[0,0,1] neg_hi:[0,0,1]
	v_pk_fma_f32 v[8:9], v[14:15], v[100:101], v[8:9] op_sel:[0,0,1] op_sel_hi:[1,0,0]
	v_pk_add_f32 v[6:7], v[6:7], v[94:95]
	v_mov_b32_e32 v13, v9
	v_pk_add_f32 v[6:7], v[6:7], v[12:13]
	s_waitcnt vmcnt(7)
	v_mov_b32_e32 v8, v109
	v_pk_mul_f32 v[8:9], v[16:17], v[8:9] op_sel_hi:[1,0]
	s_waitcnt vmcnt(6)
	v_pk_fma_f32 v[12:13], v[16:17], v[108:109], v[8:9] op_sel:[0,0,1] op_sel_hi:[1,1,0] neg_lo:[0,0,1] neg_hi:[0,0,1]
	v_pk_fma_f32 v[8:9], v[16:17], v[108:109], v[8:9] op_sel:[0,0,1] op_sel_hi:[1,0,0]
	s_waitcnt vmcnt(5)
	v_mov_b32_e32 v8, v111
	v_mov_b32_e32 v13, v9
	s_waitcnt lgkmcnt(1)
	v_pk_mul_f32 v[8:9], v[18:19], v[8:9] op_sel_hi:[1,0]
	v_pk_add_f32 v[6:7], v[6:7], v[12:13]
	s_waitcnt vmcnt(4)
	v_pk_fma_f32 v[12:13], v[18:19], v[110:111], v[8:9] op_sel:[0,0,1] op_sel_hi:[1,1,0] neg_lo:[0,0,1] neg_hi:[0,0,1]
	v_pk_fma_f32 v[8:9], v[18:19], v[110:111], v[8:9] op_sel:[0,0,1] op_sel_hi:[1,0,0]
	s_waitcnt vmcnt(3)
	v_mov_b32_e32 v8, v113
	v_mov_b32_e32 v13, v9
	v_pk_mul_f32 v[8:9], v[20:21], v[8:9] op_sel_hi:[1,0]
	v_pk_add_f32 v[6:7], v[6:7], v[12:13]
	s_waitcnt vmcnt(2)
	v_pk_fma_f32 v[12:13], v[20:21], v[112:113], v[8:9] op_sel:[0,0,1] op_sel_hi:[1,1,0] neg_lo:[0,0,1] neg_hi:[0,0,1]
	v_pk_fma_f32 v[8:9], v[20:21], v[112:113], v[8:9] op_sel:[0,0,1] op_sel_hi:[1,0,0]
	s_waitcnt vmcnt(1)
	v_mov_b32_e32 v8, v115
	v_mov_b32_e32 v13, v9
	s_waitcnt lgkmcnt(0)
	v_pk_mul_f32 v[8:9], v[10:11], v[8:9] op_sel_hi:[1,0]
	v_pk_add_f32 v[6:7], v[6:7], v[12:13]
	s_waitcnt vmcnt(0)
	v_pk_fma_f32 v[12:13], v[10:11], v[114:115], v[8:9] op_sel:[0,0,1] op_sel_hi:[1,1,0] neg_lo:[0,0,1] neg_hi:[0,0,1]
	v_pk_fma_f32 v[8:9], v[10:11], v[114:115], v[8:9] op_sel:[0,0,1] op_sel_hi:[1,0,0]
	v_mov_b32_e32 v13, v9
	v_pk_add_f32 v[6:7], v[6:7], v[12:13]
	v_pk_add_f32 v[2:3], v[2:3], v[6:7] neg_lo:[0,1] neg_hi:[0,1]
	buffer_store_dword v3, off, s[0:3], 0 offset:196
	buffer_store_dword v2, off, s[0:3], 0 offset:192
	s_and_saveexec_b64 s[4:5], vcc
	s_cbranch_execz .LBB35_183
; %bb.182:
	buffer_load_dword v2, off, s[0:3], 0 offset:184
	buffer_load_dword v3, off, s[0:3], 0 offset:188
	s_waitcnt vmcnt(0)
	ds_write_b64 v1, v[2:3]
	buffer_store_dword v4, off, s[0:3], 0 offset:184
	buffer_store_dword v4, off, s[0:3], 0 offset:188
.LBB35_183:
	s_or_b64 exec, exec, s[4:5]
	s_waitcnt lgkmcnt(0)
	; wave barrier
	s_waitcnt lgkmcnt(0)
	ds_read_b128 v[6:9], v4 offset:480
	ds_read_b128 v[10:13], v4 offset:496
	ds_read_b128 v[14:17], v4 offset:512
	ds_read_b128 v[18:21], v4 offset:528
	buffer_load_dword v2, off, s[0:3], 0 offset:184
	buffer_load_dword v3, off, s[0:3], 0 offset:188
	;; [unrolled: 1-line block ×26, first 2 shown]
	v_cmp_lt_u32_e32 vcc, 22, v0
	s_waitcnt vmcnt(22) lgkmcnt(3)
	v_mul_f32_e32 v101, v6, v100
	v_fmac_f32_e32 v101, v7, v5
	v_mul_f32_e32 v7, v7, v100
	s_waitcnt vmcnt(20)
	v_mul_f32_e32 v103, v8, v104
	v_fma_f32 v5, v6, v5, -v7
	v_mul_f32_e32 v6, v9, v104
	v_add_f32_e32 v101, 0, v101
	v_fmac_f32_e32 v103, v9, v102
	v_add_f32_e32 v5, 0, v5
	v_fma_f32 v6, v8, v102, -v6
	v_add_f32_e32 v101, v101, v103
	s_waitcnt vmcnt(18) lgkmcnt(2)
	v_mul_f32_e32 v103, v10, v117
	v_add_f32_e32 v100, v5, v6
	v_mul_f32_e32 v5, v11, v117
	v_fmac_f32_e32 v103, v11, v116
	s_waitcnt vmcnt(16)
	v_mul_f32_e32 v105, v12, v119
	v_fma_f32 v102, v10, v116, -v5
	v_mul_f32_e32 v5, v13, v119
	v_fmac_f32_e32 v105, v13, v118
	v_fma_f32 v104, v12, v118, -v5
	ds_read_b128 v[6:9], v4 offset:544
	ds_read_b128 v[10:13], v4 offset:560
	v_pk_add_f32 v[4:5], v[100:101], v[102:103]
	s_waitcnt vmcnt(14)
	v_mov_b32_e32 v100, v95
	s_waitcnt lgkmcnt(3)
	v_pk_mul_f32 v[100:101], v[14:15], v[100:101] op_sel_hi:[1,0]
	v_pk_fma_f32 v[102:103], v[14:15], v[94:95], v[100:101] op_sel:[0,0,1] op_sel_hi:[1,1,0] neg_lo:[0,0,1] neg_hi:[0,0,1]
	v_pk_fma_f32 v[14:15], v[14:15], v[94:95], v[100:101] op_sel:[0,0,1] op_sel_hi:[1,0,0]
	s_waitcnt vmcnt(12)
	v_mov_b32_e32 v14, v97
	v_mov_b32_e32 v103, v15
	v_pk_mul_f32 v[14:15], v[16:17], v[14:15] op_sel_hi:[1,0]
	v_pk_fma_f32 v[94:95], v[16:17], v[96:97], v[14:15] op_sel:[0,0,1] op_sel_hi:[1,1,0] neg_lo:[0,0,1] neg_hi:[0,0,1]
	v_pk_fma_f32 v[14:15], v[16:17], v[96:97], v[14:15] op_sel:[0,0,1] op_sel_hi:[1,0,0]
	s_waitcnt vmcnt(10)
	v_mov_b32_e32 v14, v99
	v_mov_b32_e32 v95, v15
	s_waitcnt lgkmcnt(2)
	v_pk_mul_f32 v[14:15], v[18:19], v[14:15] op_sel_hi:[1,0]
	v_pk_add_f32 v[4:5], v[4:5], v[104:105]
	v_pk_fma_f32 v[16:17], v[18:19], v[98:99], v[14:15] op_sel:[0,0,1] op_sel_hi:[1,1,0] neg_lo:[0,0,1] neg_hi:[0,0,1]
	v_pk_fma_f32 v[14:15], v[18:19], v[98:99], v[14:15] op_sel:[0,0,1] op_sel_hi:[1,0,0]
	v_pk_add_f32 v[4:5], v[4:5], v[102:103]
	s_waitcnt vmcnt(9)
	v_mov_b32_e32 v14, v107
	v_pk_add_f32 v[4:5], v[4:5], v[94:95]
	v_mov_b32_e32 v17, v15
	v_pk_mul_f32 v[14:15], v[20:21], v[14:15] op_sel_hi:[1,0]
	v_pk_add_f32 v[4:5], v[4:5], v[16:17]
	s_waitcnt vmcnt(8)
	v_pk_fma_f32 v[16:17], v[20:21], v[106:107], v[14:15] op_sel:[0,0,1] op_sel_hi:[1,1,0] neg_lo:[0,0,1] neg_hi:[0,0,1]
	v_pk_fma_f32 v[14:15], v[20:21], v[106:107], v[14:15] op_sel:[0,0,1] op_sel_hi:[1,0,0]
	s_waitcnt vmcnt(7)
	v_mov_b32_e32 v14, v109
	v_mov_b32_e32 v17, v15
	s_waitcnt lgkmcnt(1)
	v_pk_mul_f32 v[14:15], v[6:7], v[14:15] op_sel_hi:[1,0]
	v_pk_add_f32 v[4:5], v[4:5], v[16:17]
	s_waitcnt vmcnt(6)
	v_pk_fma_f32 v[16:17], v[6:7], v[108:109], v[14:15] op_sel:[0,0,1] op_sel_hi:[1,1,0] neg_lo:[0,0,1] neg_hi:[0,0,1]
	v_pk_fma_f32 v[6:7], v[6:7], v[108:109], v[14:15] op_sel:[0,0,1] op_sel_hi:[1,0,0]
	s_waitcnt vmcnt(5)
	v_mov_b32_e32 v6, v111
	v_mov_b32_e32 v17, v7
	v_pk_mul_f32 v[6:7], v[8:9], v[6:7] op_sel_hi:[1,0]
	s_waitcnt vmcnt(4)
	v_pk_fma_f32 v[14:15], v[8:9], v[110:111], v[6:7] op_sel:[0,0,1] op_sel_hi:[1,1,0] neg_lo:[0,0,1] neg_hi:[0,0,1]
	v_pk_fma_f32 v[6:7], v[8:9], v[110:111], v[6:7] op_sel:[0,0,1] op_sel_hi:[1,0,0]
	s_waitcnt vmcnt(3)
	v_mov_b32_e32 v6, v113
	v_mov_b32_e32 v15, v7
	s_waitcnt lgkmcnt(0)
	v_pk_mul_f32 v[6:7], v[10:11], v[6:7] op_sel_hi:[1,0]
	s_waitcnt vmcnt(2)
	v_pk_fma_f32 v[8:9], v[10:11], v[112:113], v[6:7] op_sel:[0,0,1] op_sel_hi:[1,1,0] neg_lo:[0,0,1] neg_hi:[0,0,1]
	v_pk_fma_f32 v[6:7], v[10:11], v[112:113], v[6:7] op_sel:[0,0,1] op_sel_hi:[1,0,0]
	v_pk_add_f32 v[4:5], v[4:5], v[16:17]
	s_waitcnt vmcnt(1)
	v_mov_b32_e32 v6, v115
	v_pk_add_f32 v[4:5], v[4:5], v[14:15]
	v_mov_b32_e32 v9, v7
	v_pk_mul_f32 v[6:7], v[12:13], v[6:7] op_sel_hi:[1,0]
	v_pk_add_f32 v[4:5], v[4:5], v[8:9]
	s_waitcnt vmcnt(0)
	v_pk_fma_f32 v[8:9], v[12:13], v[114:115], v[6:7] op_sel:[0,0,1] op_sel_hi:[1,1,0] neg_lo:[0,0,1] neg_hi:[0,0,1]
	v_pk_fma_f32 v[6:7], v[12:13], v[114:115], v[6:7] op_sel:[0,0,1] op_sel_hi:[1,0,0]
	v_mov_b32_e32 v9, v7
	v_pk_add_f32 v[4:5], v[4:5], v[8:9]
	v_pk_add_f32 v[2:3], v[2:3], v[4:5] neg_lo:[0,1] neg_hi:[0,1]
	buffer_store_dword v3, off, s[0:3], 0 offset:188
	buffer_store_dword v2, off, s[0:3], 0 offset:184
	s_and_saveexec_b64 s[4:5], vcc
	s_cbranch_execz .LBB35_185
; %bb.184:
	buffer_load_dword v2, off, s[0:3], 0 offset:176
	buffer_load_dword v3, off, s[0:3], 0 offset:180
	v_mov_b32_e32 v4, 0
	buffer_store_dword v4, off, s[0:3], 0 offset:176
	buffer_store_dword v4, off, s[0:3], 0 offset:180
	s_waitcnt vmcnt(2)
	ds_write_b64 v1, v[2:3]
.LBB35_185:
	s_or_b64 exec, exec, s[4:5]
	v_mov_b32_e32 v4, 0
	s_waitcnt lgkmcnt(0)
	; wave barrier
	s_waitcnt lgkmcnt(0)
	ds_read2_b64 v[6:9], v4 offset0:59 offset1:60
	buffer_load_dword v2, off, s[0:3], 0 offset:176
	buffer_load_dword v3, off, s[0:3], 0 offset:180
	;; [unrolled: 1-line block ×16, first 2 shown]
	v_cmp_lt_u32_e32 vcc, 21, v0
	s_waitcnt vmcnt(12) lgkmcnt(0)
	v_mul_f32_e32 v10, v6, v18
	v_fmac_f32_e32 v10, v7, v5
	s_waitcnt vmcnt(10)
	v_mul_f32_e32 v11, v8, v20
	v_add_f32_e32 v10, 0, v10
	v_fmac_f32_e32 v11, v9, v19
	v_add_f32_e32 v14, v10, v11
	ds_read2_b64 v[10:13], v4 offset0:61 offset1:62
	v_mul_f32_e32 v7, v7, v18
	v_fma_f32 v5, v6, v5, -v7
	v_mul_f32_e32 v6, v9, v20
	v_add_f32_e32 v5, 0, v5
	s_waitcnt vmcnt(8) lgkmcnt(0)
	v_mul_f32_e32 v15, v10, v98
	v_fmac_f32_e32 v15, v11, v21
	v_add_f32_e32 v99, v14, v15
	ds_read2_b64 v[14:17], v4 offset0:63 offset1:64
	buffer_load_dword v105, off, s[0:3], 0 offset:244
	buffer_load_dword v104, off, s[0:3], 0 offset:240
	;; [unrolled: 1-line block ×12, first 2 shown]
	v_fma_f32 v6, v8, v19, -v6
	v_add_f32_e32 v5, v5, v6
	v_mul_f32_e32 v6, v11, v98
	v_fma_f32 v6, v10, v21, -v6
	s_waitcnt vmcnt(18)
	v_mul_f32_e32 v101, v12, v102
	v_add_f32_e32 v98, v5, v6
	v_mul_f32_e32 v5, v13, v102
	v_fmac_f32_e32 v101, v13, v100
	v_fma_f32 v100, v12, v100, -v5
	s_waitcnt vmcnt(16) lgkmcnt(0)
	v_mul_f32_e32 v103, v14, v117
	v_mul_f32_e32 v5, v15, v117
	v_pk_add_f32 v[98:99], v[98:99], v[100:101]
	s_waitcnt vmcnt(14)
	v_mov_b32_e32 v100, v95
	v_fmac_f32_e32 v103, v15, v116
	v_fma_f32 v102, v14, v116, -v5
	ds_read2_b64 v[6:9], v4 offset0:65 offset1:66
	ds_read2_b64 v[10:13], v4 offset0:67 offset1:68
	;; [unrolled: 1-line block ×3, first 2 shown]
	ds_read_b64 v[14:15], v4 offset:568
	v_pk_mul_f32 v[100:101], v[16:17], v[100:101] op_sel_hi:[1,0]
	v_pk_add_f32 v[98:99], v[98:99], v[102:103]
	v_pk_fma_f32 v[102:103], v[16:17], v[94:95], v[100:101] op_sel:[0,0,1] op_sel_hi:[1,1,0] neg_lo:[0,0,1] neg_hi:[0,0,1]
	v_pk_fma_f32 v[16:17], v[16:17], v[94:95], v[100:101] op_sel:[0,0,1] op_sel_hi:[1,0,0]
	s_waitcnt vmcnt(12)
	v_mov_b32_e32 v94, v97
	v_mov_b32_e32 v103, v17
	s_waitcnt lgkmcnt(3)
	v_pk_mul_f32 v[94:95], v[6:7], v[94:95] op_sel_hi:[1,0]
	v_pk_add_f32 v[16:17], v[98:99], v[102:103]
	v_pk_fma_f32 v[98:99], v[6:7], v[96:97], v[94:95] op_sel:[0,0,1] op_sel_hi:[1,1,0] neg_lo:[0,0,1] neg_hi:[0,0,1]
	v_pk_fma_f32 v[6:7], v[6:7], v[96:97], v[94:95] op_sel:[0,0,1] op_sel_hi:[1,0,0]
	v_mov_b32_e32 v99, v7
	v_pk_add_f32 v[6:7], v[16:17], v[98:99]
	s_waitcnt vmcnt(11)
	v_mov_b32_e32 v16, v105
	v_pk_mul_f32 v[16:17], v[8:9], v[16:17] op_sel_hi:[1,0]
	s_waitcnt vmcnt(10)
	v_pk_fma_f32 v[94:95], v[8:9], v[104:105], v[16:17] op_sel:[0,0,1] op_sel_hi:[1,1,0] neg_lo:[0,0,1] neg_hi:[0,0,1]
	v_pk_fma_f32 v[8:9], v[8:9], v[104:105], v[16:17] op_sel:[0,0,1] op_sel_hi:[1,0,0]
	s_waitcnt vmcnt(9)
	v_mov_b32_e32 v8, v107
	v_mov_b32_e32 v95, v9
	s_waitcnt lgkmcnt(2)
	v_pk_mul_f32 v[8:9], v[10:11], v[8:9] op_sel_hi:[1,0]
	s_waitcnt vmcnt(8)
	v_pk_fma_f32 v[16:17], v[10:11], v[106:107], v[8:9] op_sel:[0,0,1] op_sel_hi:[1,1,0] neg_lo:[0,0,1] neg_hi:[0,0,1]
	v_pk_fma_f32 v[8:9], v[10:11], v[106:107], v[8:9] op_sel:[0,0,1] op_sel_hi:[1,0,0]
	s_waitcnt vmcnt(7)
	v_mov_b32_e32 v8, v109
	v_mov_b32_e32 v17, v9
	v_pk_mul_f32 v[8:9], v[12:13], v[8:9] op_sel_hi:[1,0]
	s_waitcnt vmcnt(6)
	v_pk_fma_f32 v[10:11], v[12:13], v[108:109], v[8:9] op_sel:[0,0,1] op_sel_hi:[1,1,0] neg_lo:[0,0,1] neg_hi:[0,0,1]
	v_pk_fma_f32 v[8:9], v[12:13], v[108:109], v[8:9] op_sel:[0,0,1] op_sel_hi:[1,0,0]
	v_pk_add_f32 v[6:7], v[6:7], v[94:95]
	s_waitcnt vmcnt(5)
	v_mov_b32_e32 v8, v111
	v_pk_add_f32 v[6:7], v[6:7], v[16:17]
	v_mov_b32_e32 v11, v9
	s_waitcnt lgkmcnt(1)
	v_pk_mul_f32 v[8:9], v[18:19], v[8:9] op_sel_hi:[1,0]
	v_pk_add_f32 v[6:7], v[6:7], v[10:11]
	s_waitcnt vmcnt(4)
	v_pk_fma_f32 v[10:11], v[18:19], v[110:111], v[8:9] op_sel:[0,0,1] op_sel_hi:[1,1,0] neg_lo:[0,0,1] neg_hi:[0,0,1]
	v_pk_fma_f32 v[8:9], v[18:19], v[110:111], v[8:9] op_sel:[0,0,1] op_sel_hi:[1,0,0]
	s_waitcnt vmcnt(3)
	v_mov_b32_e32 v8, v113
	v_mov_b32_e32 v11, v9
	v_pk_mul_f32 v[8:9], v[20:21], v[8:9] op_sel_hi:[1,0]
	v_pk_add_f32 v[6:7], v[6:7], v[10:11]
	s_waitcnt vmcnt(2)
	v_pk_fma_f32 v[10:11], v[20:21], v[112:113], v[8:9] op_sel:[0,0,1] op_sel_hi:[1,1,0] neg_lo:[0,0,1] neg_hi:[0,0,1]
	v_pk_fma_f32 v[8:9], v[20:21], v[112:113], v[8:9] op_sel:[0,0,1] op_sel_hi:[1,0,0]
	s_waitcnt vmcnt(1)
	v_mov_b32_e32 v8, v115
	v_mov_b32_e32 v11, v9
	s_waitcnt lgkmcnt(0)
	v_pk_mul_f32 v[8:9], v[14:15], v[8:9] op_sel_hi:[1,0]
	v_pk_add_f32 v[6:7], v[6:7], v[10:11]
	s_waitcnt vmcnt(0)
	v_pk_fma_f32 v[10:11], v[14:15], v[114:115], v[8:9] op_sel:[0,0,1] op_sel_hi:[1,1,0] neg_lo:[0,0,1] neg_hi:[0,0,1]
	v_pk_fma_f32 v[8:9], v[14:15], v[114:115], v[8:9] op_sel:[0,0,1] op_sel_hi:[1,0,0]
	v_mov_b32_e32 v11, v9
	v_pk_add_f32 v[6:7], v[6:7], v[10:11]
	v_pk_add_f32 v[2:3], v[2:3], v[6:7] neg_lo:[0,1] neg_hi:[0,1]
	buffer_store_dword v3, off, s[0:3], 0 offset:180
	buffer_store_dword v2, off, s[0:3], 0 offset:176
	s_and_saveexec_b64 s[4:5], vcc
	s_cbranch_execz .LBB35_187
; %bb.186:
	buffer_load_dword v2, off, s[0:3], 0 offset:168
	buffer_load_dword v3, off, s[0:3], 0 offset:172
	s_waitcnt vmcnt(0)
	ds_write_b64 v1, v[2:3]
	buffer_store_dword v4, off, s[0:3], 0 offset:168
	buffer_store_dword v4, off, s[0:3], 0 offset:172
.LBB35_187:
	s_or_b64 exec, exec, s[4:5]
	s_waitcnt lgkmcnt(0)
	; wave barrier
	s_waitcnt lgkmcnt(0)
	ds_read_b128 v[6:9], v4 offset:464
	ds_read_b128 v[10:13], v4 offset:480
	;; [unrolled: 1-line block ×4, first 2 shown]
	buffer_load_dword v2, off, s[0:3], 0 offset:168
	buffer_load_dword v3, off, s[0:3], 0 offset:172
	;; [unrolled: 1-line block ×30, first 2 shown]
	v_cmp_lt_u32_e32 vcc, 20, v0
	s_waitcnt vmcnt(26) lgkmcnt(3)
	v_mul_f32_e32 v97, v6, v96
	v_fmac_f32_e32 v97, v7, v5
	v_mul_f32_e32 v7, v7, v96
	s_waitcnt vmcnt(24)
	v_mul_f32_e32 v99, v8, v100
	v_fma_f32 v5, v6, v5, -v7
	v_mul_f32_e32 v6, v9, v100
	v_add_f32_e32 v97, 0, v97
	v_fmac_f32_e32 v99, v9, v98
	v_add_f32_e32 v5, 0, v5
	v_fma_f32 v6, v8, v98, -v6
	v_add_f32_e32 v97, v97, v99
	s_waitcnt vmcnt(22) lgkmcnt(2)
	v_mul_f32_e32 v99, v10, v117
	v_add_f32_e32 v5, v5, v6
	v_mul_f32_e32 v6, v11, v117
	v_fmac_f32_e32 v99, v11, v116
	v_fma_f32 v6, v10, v116, -v6
	v_add_f32_e32 v97, v97, v99
	s_waitcnt vmcnt(20)
	v_mul_f32_e32 v99, v12, v119
	v_add_f32_e32 v5, v5, v6
	v_mul_f32_e32 v6, v13, v119
	v_fmac_f32_e32 v99, v13, v118
	v_fma_f32 v6, v12, v118, -v6
	v_add_f32_e32 v97, v97, v99
	s_waitcnt vmcnt(18) lgkmcnt(1)
	v_mul_f32_e32 v99, v14, v121
	v_add_f32_e32 v96, v5, v6
	v_mul_f32_e32 v5, v15, v121
	v_fmac_f32_e32 v99, v15, v120
	s_waitcnt vmcnt(16)
	v_mul_f32_e32 v101, v16, v123
	v_fma_f32 v98, v14, v120, -v5
	v_mul_f32_e32 v5, v17, v123
	v_fmac_f32_e32 v101, v17, v122
	v_fma_f32 v100, v16, v122, -v5
	ds_read_b128 v[6:9], v4 offset:528
	ds_read_b128 v[10:13], v4 offset:544
	;; [unrolled: 1-line block ×3, first 2 shown]
	v_pk_add_f32 v[4:5], v[96:97], v[98:99]
	s_waitcnt vmcnt(14)
	v_mov_b32_e32 v96, v95
	s_waitcnt lgkmcnt(3)
	v_pk_mul_f32 v[96:97], v[18:19], v[96:97] op_sel_hi:[1,0]
	v_pk_fma_f32 v[98:99], v[18:19], v[94:95], v[96:97] op_sel:[0,0,1] op_sel_hi:[1,1,0] neg_lo:[0,0,1] neg_hi:[0,0,1]
	v_pk_fma_f32 v[18:19], v[18:19], v[94:95], v[96:97] op_sel:[0,0,1] op_sel_hi:[1,0,0]
	s_waitcnt vmcnt(13)
	v_mov_b32_e32 v18, v103
	v_mov_b32_e32 v99, v19
	v_pk_mul_f32 v[18:19], v[20:21], v[18:19] op_sel_hi:[1,0]
	s_waitcnt vmcnt(12)
	v_pk_fma_f32 v[94:95], v[20:21], v[102:103], v[18:19] op_sel:[0,0,1] op_sel_hi:[1,1,0] neg_lo:[0,0,1] neg_hi:[0,0,1]
	v_pk_fma_f32 v[18:19], v[20:21], v[102:103], v[18:19] op_sel:[0,0,1] op_sel_hi:[1,0,0]
	s_waitcnt vmcnt(11)
	v_mov_b32_e32 v18, v105
	v_mov_b32_e32 v95, v19
	s_waitcnt lgkmcnt(2)
	v_pk_mul_f32 v[18:19], v[6:7], v[18:19] op_sel_hi:[1,0]
	s_waitcnt vmcnt(10)
	v_pk_fma_f32 v[20:21], v[6:7], v[104:105], v[18:19] op_sel:[0,0,1] op_sel_hi:[1,1,0] neg_lo:[0,0,1] neg_hi:[0,0,1]
	v_pk_fma_f32 v[6:7], v[6:7], v[104:105], v[18:19] op_sel:[0,0,1] op_sel_hi:[1,0,0]
	s_waitcnt vmcnt(9)
	v_mov_b32_e32 v6, v107
	v_mov_b32_e32 v21, v7
	v_pk_mul_f32 v[6:7], v[8:9], v[6:7] op_sel_hi:[1,0]
	s_waitcnt vmcnt(8)
	v_pk_fma_f32 v[18:19], v[8:9], v[106:107], v[6:7] op_sel:[0,0,1] op_sel_hi:[1,1,0] neg_lo:[0,0,1] neg_hi:[0,0,1]
	v_pk_fma_f32 v[6:7], v[8:9], v[106:107], v[6:7] op_sel:[0,0,1] op_sel_hi:[1,0,0]
	v_pk_add_f32 v[4:5], v[4:5], v[100:101]
	s_waitcnt vmcnt(7)
	v_mov_b32_e32 v6, v109
	v_pk_add_f32 v[4:5], v[4:5], v[98:99]
	v_mov_b32_e32 v19, v7
	s_waitcnt lgkmcnt(1)
	v_pk_mul_f32 v[6:7], v[10:11], v[6:7] op_sel_hi:[1,0]
	v_pk_add_f32 v[4:5], v[4:5], v[94:95]
	s_waitcnt vmcnt(6)
	v_pk_fma_f32 v[8:9], v[10:11], v[108:109], v[6:7] op_sel:[0,0,1] op_sel_hi:[1,1,0] neg_lo:[0,0,1] neg_hi:[0,0,1]
	v_pk_fma_f32 v[6:7], v[10:11], v[108:109], v[6:7] op_sel:[0,0,1] op_sel_hi:[1,0,0]
	v_pk_add_f32 v[4:5], v[4:5], v[20:21]
	s_waitcnt vmcnt(5)
	v_mov_b32_e32 v6, v111
	v_pk_add_f32 v[4:5], v[4:5], v[18:19]
	v_mov_b32_e32 v9, v7
	v_pk_mul_f32 v[6:7], v[12:13], v[6:7] op_sel_hi:[1,0]
	v_pk_add_f32 v[4:5], v[4:5], v[8:9]
	s_waitcnt vmcnt(4)
	v_pk_fma_f32 v[8:9], v[12:13], v[110:111], v[6:7] op_sel:[0,0,1] op_sel_hi:[1,1,0] neg_lo:[0,0,1] neg_hi:[0,0,1]
	v_pk_fma_f32 v[6:7], v[12:13], v[110:111], v[6:7] op_sel:[0,0,1] op_sel_hi:[1,0,0]
	s_waitcnt vmcnt(3)
	v_mov_b32_e32 v6, v113
	v_mov_b32_e32 v9, v7
	s_waitcnt lgkmcnt(0)
	v_pk_mul_f32 v[6:7], v[14:15], v[6:7] op_sel_hi:[1,0]
	v_pk_add_f32 v[4:5], v[4:5], v[8:9]
	s_waitcnt vmcnt(2)
	v_pk_fma_f32 v[8:9], v[14:15], v[112:113], v[6:7] op_sel:[0,0,1] op_sel_hi:[1,1,0] neg_lo:[0,0,1] neg_hi:[0,0,1]
	v_pk_fma_f32 v[6:7], v[14:15], v[112:113], v[6:7] op_sel:[0,0,1] op_sel_hi:[1,0,0]
	s_waitcnt vmcnt(1)
	v_mov_b32_e32 v6, v115
	v_mov_b32_e32 v9, v7
	v_pk_mul_f32 v[6:7], v[16:17], v[6:7] op_sel_hi:[1,0]
	v_pk_add_f32 v[4:5], v[4:5], v[8:9]
	s_waitcnt vmcnt(0)
	v_pk_fma_f32 v[8:9], v[16:17], v[114:115], v[6:7] op_sel:[0,0,1] op_sel_hi:[1,1,0] neg_lo:[0,0,1] neg_hi:[0,0,1]
	v_pk_fma_f32 v[6:7], v[16:17], v[114:115], v[6:7] op_sel:[0,0,1] op_sel_hi:[1,0,0]
	v_mov_b32_e32 v9, v7
	v_pk_add_f32 v[4:5], v[4:5], v[8:9]
	v_pk_add_f32 v[2:3], v[2:3], v[4:5] neg_lo:[0,1] neg_hi:[0,1]
	buffer_store_dword v3, off, s[0:3], 0 offset:172
	buffer_store_dword v2, off, s[0:3], 0 offset:168
	s_and_saveexec_b64 s[4:5], vcc
	s_cbranch_execz .LBB35_189
; %bb.188:
	buffer_load_dword v2, off, s[0:3], 0 offset:160
	buffer_load_dword v3, off, s[0:3], 0 offset:164
	v_mov_b32_e32 v4, 0
	buffer_store_dword v4, off, s[0:3], 0 offset:160
	buffer_store_dword v4, off, s[0:3], 0 offset:164
	s_waitcnt vmcnt(2)
	ds_write_b64 v1, v[2:3]
.LBB35_189:
	s_or_b64 exec, exec, s[4:5]
	v_mov_b32_e32 v4, 0
	s_waitcnt lgkmcnt(0)
	; wave barrier
	s_waitcnt lgkmcnt(0)
	ds_read2_b64 v[6:9], v4 offset0:57 offset1:58
	buffer_load_dword v2, off, s[0:3], 0 offset:160
	buffer_load_dword v3, off, s[0:3], 0 offset:164
	;; [unrolled: 1-line block ×16, first 2 shown]
	v_cmp_lt_u32_e32 vcc, 19, v0
	s_waitcnt vmcnt(12) lgkmcnt(0)
	v_mul_f32_e32 v10, v6, v94
	v_fmac_f32_e32 v10, v7, v5
	s_waitcnt vmcnt(10)
	v_mul_f32_e32 v11, v8, v98
	v_add_f32_e32 v10, 0, v10
	v_fmac_f32_e32 v11, v9, v96
	v_add_f32_e32 v14, v10, v11
	ds_read2_b64 v[10:13], v4 offset0:59 offset1:60
	v_mul_f32_e32 v7, v7, v94
	v_fma_f32 v5, v6, v5, -v7
	v_mul_f32_e32 v6, v9, v98
	v_add_f32_e32 v5, 0, v5
	s_waitcnt vmcnt(8) lgkmcnt(0)
	v_mul_f32_e32 v15, v10, v117
	v_fmac_f32_e32 v15, v11, v116
	v_add_f32_e32 v14, v14, v15
	s_waitcnt vmcnt(6)
	v_mul_f32_e32 v15, v12, v119
	v_fmac_f32_e32 v15, v13, v118
	v_add_f32_e32 v18, v14, v15
	ds_read2_b64 v[14:17], v4 offset0:61 offset1:62
	v_fma_f32 v6, v8, v96, -v6
	v_add_f32_e32 v5, v5, v6
	v_mul_f32_e32 v6, v11, v117
	v_fma_f32 v6, v10, v116, -v6
	s_waitcnt vmcnt(4) lgkmcnt(0)
	v_mul_f32_e32 v19, v14, v121
	v_fmac_f32_e32 v19, v15, v120
	v_add_f32_e32 v95, v18, v19
	ds_read2_b64 v[18:21], v4 offset0:63 offset1:64
	buffer_load_dword v101, off, s[0:3], 0 offset:228
	buffer_load_dword v100, off, s[0:3], 0 offset:224
	;; [unrolled: 1-line block ×16, first 2 shown]
	v_add_f32_e32 v5, v5, v6
	v_mul_f32_e32 v6, v13, v119
	v_fma_f32 v6, v12, v118, -v6
	v_add_f32_e32 v5, v5, v6
	v_mul_f32_e32 v6, v15, v121
	v_fma_f32 v6, v14, v120, -v6
	s_waitcnt vmcnt(18)
	v_mul_f32_e32 v97, v16, v123
	v_add_f32_e32 v94, v5, v6
	v_mul_f32_e32 v5, v17, v123
	v_fmac_f32_e32 v97, v17, v122
	v_fma_f32 v96, v16, v122, -v5
	s_waitcnt vmcnt(16) lgkmcnt(0)
	v_mul_f32_e32 v99, v18, v125
	v_mul_f32_e32 v5, v19, v125
	v_pk_add_f32 v[94:95], v[94:95], v[96:97]
	v_fmac_f32_e32 v99, v19, v124
	v_fma_f32 v98, v18, v124, -v5
	v_pk_add_f32 v[94:95], v[94:95], v[98:99]
	ds_read2_b64 v[6:9], v4 offset0:65 offset1:66
	ds_read2_b64 v[10:13], v4 offset0:67 offset1:68
	;; [unrolled: 1-line block ×3, first 2 shown]
	ds_read_b64 v[18:19], v4 offset:568
	s_waitcnt vmcnt(15)
	v_mov_b32_e32 v96, v101
	v_pk_mul_f32 v[96:97], v[20:21], v[96:97] op_sel_hi:[1,0]
	s_waitcnt vmcnt(14)
	v_pk_fma_f32 v[98:99], v[20:21], v[100:101], v[96:97] op_sel:[0,0,1] op_sel_hi:[1,1,0] neg_lo:[0,0,1] neg_hi:[0,0,1]
	v_pk_fma_f32 v[20:21], v[20:21], v[100:101], v[96:97] op_sel:[0,0,1] op_sel_hi:[1,0,0]
	v_mov_b32_e32 v99, v21
	v_pk_add_f32 v[20:21], v[94:95], v[98:99]
	s_waitcnt vmcnt(13)
	v_mov_b32_e32 v94, v103
	s_waitcnt lgkmcnt(3)
	v_pk_mul_f32 v[94:95], v[6:7], v[94:95] op_sel_hi:[1,0]
	s_waitcnt vmcnt(12)
	v_pk_fma_f32 v[96:97], v[6:7], v[102:103], v[94:95] op_sel:[0,0,1] op_sel_hi:[1,1,0] neg_lo:[0,0,1] neg_hi:[0,0,1]
	v_pk_fma_f32 v[6:7], v[6:7], v[102:103], v[94:95] op_sel:[0,0,1] op_sel_hi:[1,0,0]
	v_mov_b32_e32 v97, v7
	v_pk_add_f32 v[6:7], v[20:21], v[96:97]
	s_waitcnt vmcnt(11)
	v_mov_b32_e32 v20, v105
	v_pk_mul_f32 v[20:21], v[8:9], v[20:21] op_sel_hi:[1,0]
	s_waitcnt vmcnt(10)
	v_pk_fma_f32 v[94:95], v[8:9], v[104:105], v[20:21] op_sel:[0,0,1] op_sel_hi:[1,1,0] neg_lo:[0,0,1] neg_hi:[0,0,1]
	v_pk_fma_f32 v[8:9], v[8:9], v[104:105], v[20:21] op_sel:[0,0,1] op_sel_hi:[1,0,0]
	s_waitcnt vmcnt(9)
	v_mov_b32_e32 v8, v107
	v_mov_b32_e32 v95, v9
	s_waitcnt lgkmcnt(2)
	v_pk_mul_f32 v[8:9], v[10:11], v[8:9] op_sel_hi:[1,0]
	s_waitcnt vmcnt(8)
	v_pk_fma_f32 v[20:21], v[10:11], v[106:107], v[8:9] op_sel:[0,0,1] op_sel_hi:[1,1,0] neg_lo:[0,0,1] neg_hi:[0,0,1]
	v_pk_fma_f32 v[8:9], v[10:11], v[106:107], v[8:9] op_sel:[0,0,1] op_sel_hi:[1,0,0]
	s_waitcnt vmcnt(7)
	v_mov_b32_e32 v8, v109
	v_mov_b32_e32 v21, v9
	v_pk_mul_f32 v[8:9], v[12:13], v[8:9] op_sel_hi:[1,0]
	s_waitcnt vmcnt(6)
	v_pk_fma_f32 v[10:11], v[12:13], v[108:109], v[8:9] op_sel:[0,0,1] op_sel_hi:[1,1,0] neg_lo:[0,0,1] neg_hi:[0,0,1]
	v_pk_fma_f32 v[8:9], v[12:13], v[108:109], v[8:9] op_sel:[0,0,1] op_sel_hi:[1,0,0]
	v_pk_add_f32 v[6:7], v[6:7], v[94:95]
	s_waitcnt vmcnt(5)
	v_mov_b32_e32 v8, v111
	v_pk_add_f32 v[6:7], v[6:7], v[20:21]
	v_mov_b32_e32 v11, v9
	s_waitcnt lgkmcnt(1)
	v_pk_mul_f32 v[8:9], v[14:15], v[8:9] op_sel_hi:[1,0]
	v_pk_add_f32 v[6:7], v[6:7], v[10:11]
	s_waitcnt vmcnt(4)
	v_pk_fma_f32 v[10:11], v[14:15], v[110:111], v[8:9] op_sel:[0,0,1] op_sel_hi:[1,1,0] neg_lo:[0,0,1] neg_hi:[0,0,1]
	v_pk_fma_f32 v[8:9], v[14:15], v[110:111], v[8:9] op_sel:[0,0,1] op_sel_hi:[1,0,0]
	s_waitcnt vmcnt(3)
	v_mov_b32_e32 v8, v113
	v_mov_b32_e32 v11, v9
	v_pk_mul_f32 v[8:9], v[16:17], v[8:9] op_sel_hi:[1,0]
	v_pk_add_f32 v[6:7], v[6:7], v[10:11]
	s_waitcnt vmcnt(2)
	v_pk_fma_f32 v[10:11], v[16:17], v[112:113], v[8:9] op_sel:[0,0,1] op_sel_hi:[1,1,0] neg_lo:[0,0,1] neg_hi:[0,0,1]
	v_pk_fma_f32 v[8:9], v[16:17], v[112:113], v[8:9] op_sel:[0,0,1] op_sel_hi:[1,0,0]
	s_waitcnt vmcnt(1)
	v_mov_b32_e32 v8, v115
	v_mov_b32_e32 v11, v9
	s_waitcnt lgkmcnt(0)
	v_pk_mul_f32 v[8:9], v[18:19], v[8:9] op_sel_hi:[1,0]
	v_pk_add_f32 v[6:7], v[6:7], v[10:11]
	s_waitcnt vmcnt(0)
	v_pk_fma_f32 v[10:11], v[18:19], v[114:115], v[8:9] op_sel:[0,0,1] op_sel_hi:[1,1,0] neg_lo:[0,0,1] neg_hi:[0,0,1]
	v_pk_fma_f32 v[8:9], v[18:19], v[114:115], v[8:9] op_sel:[0,0,1] op_sel_hi:[1,0,0]
	v_mov_b32_e32 v11, v9
	v_pk_add_f32 v[6:7], v[6:7], v[10:11]
	v_pk_add_f32 v[2:3], v[2:3], v[6:7] neg_lo:[0,1] neg_hi:[0,1]
	buffer_store_dword v3, off, s[0:3], 0 offset:164
	buffer_store_dword v2, off, s[0:3], 0 offset:160
	s_and_saveexec_b64 s[4:5], vcc
	s_cbranch_execz .LBB35_191
; %bb.190:
	buffer_load_dword v2, off, s[0:3], 0 offset:152
	buffer_load_dword v3, off, s[0:3], 0 offset:156
	s_waitcnt vmcnt(0)
	ds_write_b64 v1, v[2:3]
	buffer_store_dword v4, off, s[0:3], 0 offset:152
	buffer_store_dword v4, off, s[0:3], 0 offset:156
.LBB35_191:
	s_or_b64 exec, exec, s[4:5]
	s_waitcnt lgkmcnt(0)
	; wave barrier
	s_waitcnt lgkmcnt(0)
	buffer_load_dword v124, off, s[0:3], 0 offset:164
	buffer_load_dword v126, off, s[0:3], 0 offset:172
	;; [unrolled: 1-line block ×32, first 2 shown]
	ds_read_b128 v[6:9], v4 offset:448
	ds_read_b128 v[10:13], v4 offset:464
	;; [unrolled: 1-line block ×4, first 2 shown]
	buffer_load_dword v123, off, s[0:3], 0 offset:284
	buffer_load_dword v122, off, s[0:3], 0 offset:280
	ds_read_b128 v[94:97], v4 offset:512
	ds_read_b128 v[98:101], v4 offset:528
	;; [unrolled: 1-line block ×4, first 2 shown]
	v_cmp_lt_u32_e32 vcc, 18, v0
	s_waitcnt vmcnt(33) lgkmcnt(7)
	v_mul_f32_e32 v142, v6, v124
	v_mul_f32_e32 v124, v7, v124
	s_waitcnt vmcnt(32)
	v_mul_f32_e32 v143, v8, v126
	s_waitcnt vmcnt(30) lgkmcnt(6)
	v_mul_f32_e32 v145, v12, v129
	v_mul_f32_e32 v126, v9, v126
	;; [unrolled: 1-line block ×5, first 2 shown]
	s_waitcnt vmcnt(25)
	v_fmac_f32_e32 v142, v7, v134
	v_fma_f32 v6, v6, v134, -v124
	s_waitcnt vmcnt(24)
	v_fmac_f32_e32 v143, v9, v135
	v_fma_f32 v7, v8, v135, -v126
	s_waitcnt vmcnt(22)
	v_fma_f32 v9, v12, v137, -v129
	v_add_f32_e32 v12, 0, v142
	v_add_f32_e32 v6, 0, v6
	v_fmac_f32_e32 v144, v11, v136
	v_fma_f32 v8, v10, v136, -v128
	v_add_f32_e32 v12, v12, v143
	v_add_f32_e32 v6, v6, v7
	s_waitcnt lgkmcnt(5)
	v_mul_f32_e32 v146, v14, v130
	v_mul_f32_e32 v130, v15, v130
	v_fmac_f32_e32 v145, v13, v137
	v_add_f32_e32 v7, v12, v144
	v_add_f32_e32 v6, v6, v8
	v_mul_f32_e32 v147, v16, v131
	v_mul_f32_e32 v131, v17, v131
	s_waitcnt vmcnt(21)
	v_fmac_f32_e32 v146, v15, v138
	v_fma_f32 v10, v14, v138, -v130
	v_add_f32_e32 v7, v7, v145
	v_add_f32_e32 v6, v6, v9
	s_waitcnt vmcnt(17)
	v_mov_b32_e32 v8, v107
	s_waitcnt lgkmcnt(4)
	v_mul_f32_e32 v125, v18, v132
	v_mul_f32_e32 v132, v19, v132
	v_fmac_f32_e32 v147, v17, v139
	v_fma_f32 v11, v16, v139, -v131
	v_add_f32_e32 v7, v7, v146
	v_add_f32_e32 v6, v6, v10
	s_waitcnt lgkmcnt(3)
	v_pk_mul_f32 v[8:9], v[94:95], v[8:9] op_sel_hi:[1,0]
	v_mul_f32_e32 v127, v20, v133
	v_mul_f32_e32 v133, v21, v133
	v_fmac_f32_e32 v125, v19, v140
	v_fma_f32 v124, v18, v140, -v132
	v_add_f32_e32 v7, v7, v147
	v_add_f32_e32 v6, v6, v11
	s_waitcnt vmcnt(14)
	v_pk_fma_f32 v[10:11], v[94:95], v[106:107], v[8:9] op_sel:[0,0,1] op_sel_hi:[1,1,0] neg_lo:[0,0,1] neg_hi:[0,0,1]
	v_pk_fma_f32 v[8:9], v[94:95], v[106:107], v[8:9] op_sel:[0,0,1] op_sel_hi:[1,0,0]
	v_fmac_f32_e32 v127, v21, v141
	v_fma_f32 v126, v20, v141, -v133
	v_pk_add_f32 v[6:7], v[6:7], v[124:125]
	s_waitcnt vmcnt(13)
	v_mov_b32_e32 v8, v111
	v_pk_add_f32 v[6:7], v[6:7], v[126:127]
	v_mov_b32_e32 v11, v9
	v_pk_mul_f32 v[8:9], v[96:97], v[8:9] op_sel_hi:[1,0]
	v_pk_add_f32 v[6:7], v[6:7], v[10:11]
	v_pk_fma_f32 v[10:11], v[96:97], v[110:111], v[8:9] op_sel:[0,0,1] op_sel_hi:[1,1,0] neg_lo:[0,0,1] neg_hi:[0,0,1]
	v_pk_fma_f32 v[8:9], v[96:97], v[110:111], v[8:9] op_sel:[0,0,1] op_sel_hi:[1,0,0]
	s_waitcnt vmcnt(12)
	v_mov_b32_e32 v8, v109
	v_mov_b32_e32 v11, v9
	s_waitcnt lgkmcnt(2)
	v_pk_mul_f32 v[8:9], v[98:99], v[8:9] op_sel_hi:[1,0]
	v_pk_add_f32 v[6:7], v[6:7], v[10:11]
	v_pk_fma_f32 v[10:11], v[98:99], v[108:109], v[8:9] op_sel:[0,0,1] op_sel_hi:[1,1,0] neg_lo:[0,0,1] neg_hi:[0,0,1]
	v_pk_fma_f32 v[8:9], v[98:99], v[108:109], v[8:9] op_sel:[0,0,1] op_sel_hi:[1,0,0]
	s_waitcnt vmcnt(11)
	v_mov_b32_e32 v8, v113
	v_mov_b32_e32 v11, v9
	v_pk_mul_f32 v[8:9], v[100:101], v[8:9] op_sel_hi:[1,0]
	v_pk_add_f32 v[6:7], v[6:7], v[10:11]
	s_waitcnt vmcnt(5)
	v_pk_fma_f32 v[10:11], v[100:101], v[112:113], v[8:9] op_sel:[0,0,1] op_sel_hi:[1,1,0] neg_lo:[0,0,1] neg_hi:[0,0,1]
	v_pk_fma_f32 v[8:9], v[100:101], v[112:113], v[8:9] op_sel:[0,0,1] op_sel_hi:[1,0,0]
	v_mov_b32_e32 v8, v119
	v_mov_b32_e32 v11, v9
	s_waitcnt lgkmcnt(1)
	v_pk_mul_f32 v[8:9], v[102:103], v[8:9] op_sel_hi:[1,0]
	v_pk_add_f32 v[6:7], v[6:7], v[10:11]
	v_pk_fma_f32 v[10:11], v[102:103], v[118:119], v[8:9] op_sel:[0,0,1] op_sel_hi:[1,1,0] neg_lo:[0,0,1] neg_hi:[0,0,1]
	v_pk_fma_f32 v[8:9], v[102:103], v[118:119], v[8:9] op_sel:[0,0,1] op_sel_hi:[1,0,0]
	v_mov_b32_e32 v8, v117
	v_mov_b32_e32 v11, v9
	v_pk_mul_f32 v[8:9], v[104:105], v[8:9] op_sel_hi:[1,0]
	v_pk_add_f32 v[6:7], v[6:7], v[10:11]
	v_pk_fma_f32 v[10:11], v[104:105], v[116:117], v[8:9] op_sel:[0,0,1] op_sel_hi:[1,1,0] neg_lo:[0,0,1] neg_hi:[0,0,1]
	v_pk_fma_f32 v[8:9], v[104:105], v[116:117], v[8:9] op_sel:[0,0,1] op_sel_hi:[1,0,0]
	s_waitcnt vmcnt(2)
	v_mov_b32_e32 v8, v115
	v_mov_b32_e32 v11, v9
	s_waitcnt lgkmcnt(0)
	v_pk_mul_f32 v[8:9], v[2:3], v[8:9] op_sel_hi:[1,0]
	v_pk_add_f32 v[6:7], v[6:7], v[10:11]
	v_pk_fma_f32 v[10:11], v[2:3], v[114:115], v[8:9] op_sel:[0,0,1] op_sel_hi:[1,1,0] neg_lo:[0,0,1] neg_hi:[0,0,1]
	v_pk_fma_f32 v[2:3], v[2:3], v[114:115], v[8:9] op_sel:[0,0,1] op_sel_hi:[1,0,0]
	v_mov_b32_e32 v11, v3
	v_pk_add_f32 v[2:3], v[6:7], v[10:11]
	s_waitcnt vmcnt(1)
	v_mov_b32_e32 v6, v123
	v_pk_mul_f32 v[6:7], v[4:5], v[6:7] op_sel_hi:[1,0]
	s_waitcnt vmcnt(0)
	v_pk_fma_f32 v[8:9], v[4:5], v[122:123], v[6:7] op_sel:[0,0,1] op_sel_hi:[1,1,0] neg_lo:[0,0,1] neg_hi:[0,0,1]
	v_pk_fma_f32 v[4:5], v[4:5], v[122:123], v[6:7] op_sel:[0,0,1] op_sel_hi:[1,0,0]
	v_mov_b32_e32 v9, v5
	v_pk_add_f32 v[2:3], v[2:3], v[8:9]
	v_pk_add_f32 v[2:3], v[120:121], v[2:3] neg_lo:[0,1] neg_hi:[0,1]
	buffer_store_dword v3, off, s[0:3], 0 offset:156
	buffer_store_dword v2, off, s[0:3], 0 offset:152
	s_and_saveexec_b64 s[4:5], vcc
	s_cbranch_execz .LBB35_193
; %bb.192:
	buffer_load_dword v2, off, s[0:3], 0 offset:144
	buffer_load_dword v3, off, s[0:3], 0 offset:148
	v_mov_b32_e32 v4, 0
	buffer_store_dword v4, off, s[0:3], 0 offset:144
	buffer_store_dword v4, off, s[0:3], 0 offset:148
	s_waitcnt vmcnt(2)
	ds_write_b64 v1, v[2:3]
.LBB35_193:
	s_or_b64 exec, exec, s[4:5]
	s_waitcnt lgkmcnt(0)
	; wave barrier
	s_waitcnt lgkmcnt(0)
	buffer_load_dword v3, off, s[0:3], 0 offset:156
	buffer_load_dword v118, off, s[0:3], 0 offset:164
	;; [unrolled: 1-line block ×36, first 2 shown]
	v_mov_b32_e32 v2, 0
	ds_read2_b64 v[4:7], v2 offset0:55 offset1:56
	ds_read2_b64 v[8:11], v2 offset0:57 offset1:58
	;; [unrolled: 1-line block ×6, first 2 shown]
	v_cmp_lt_u32_e32 vcc, 17, v0
	s_waitcnt vmcnt(35) lgkmcnt(5)
	v_mul_f32_e32 v137, v4, v3
	s_waitcnt vmcnt(34)
	v_mul_f32_e32 v138, v6, v118
	s_waitcnt vmcnt(33) lgkmcnt(4)
	v_mul_f32_e32 v139, v8, v120
	v_mul_f32_e32 v3, v5, v3
	;; [unrolled: 1-line block ×4, first 2 shown]
	s_waitcnt vmcnt(32)
	v_mul_f32_e32 v140, v10, v122
	s_waitcnt vmcnt(31) lgkmcnt(3)
	v_mul_f32_e32 v141, v12, v123
	v_mul_f32_e32 v122, v11, v122
	s_waitcnt vmcnt(26)
	v_fmac_f32_e32 v137, v5, v128
	s_waitcnt vmcnt(25)
	v_fmac_f32_e32 v138, v7, v129
	;; [unrolled: 2-line block ×3, first 2 shown]
	v_fma_f32 v3, v4, v128, -v3
	v_add_f32_e32 v9, 0, v137
	v_fma_f32 v4, v6, v129, -v118
	v_add_f32_e32 v3, 0, v3
	v_add_f32_e32 v9, v9, v138
	s_waitcnt vmcnt(23)
	v_fmac_f32_e32 v140, v11, v131
	v_fma_f32 v5, v8, v130, -v120
	v_add_f32_e32 v3, v3, v4
	v_add_f32_e32 v4, v9, v139
	v_mul_f32_e32 v142, v14, v124
	v_mul_f32_e32 v123, v13, v123
	s_waitcnt vmcnt(22)
	v_fmac_f32_e32 v141, v13, v132
	v_fma_f32 v6, v10, v131, -v122
	v_add_f32_e32 v3, v3, v5
	v_add_f32_e32 v4, v4, v140
	s_waitcnt lgkmcnt(2)
	v_mul_f32_e32 v143, v16, v125
	v_mul_f32_e32 v124, v15, v124
	s_waitcnt vmcnt(21)
	v_fmac_f32_e32 v142, v15, v133
	v_fma_f32 v7, v12, v132, -v123
	v_add_f32_e32 v3, v3, v6
	v_add_f32_e32 v4, v4, v141
	v_mul_f32_e32 v125, v17, v125
	s_waitcnt vmcnt(20)
	v_fmac_f32_e32 v143, v17, v134
	v_fma_f32 v8, v14, v133, -v124
	v_add_f32_e32 v3, v3, v7
	v_add_f32_e32 v4, v4, v142
	;; [unrolled: 1-line block ×4, first 2 shown]
	v_fma_f32 v4, v16, v134, -v125
	s_waitcnt vmcnt(17)
	v_mov_b32_e32 v16, v21
	v_mul_f32_e32 v119, v18, v126
	v_add_f32_e32 v12, v3, v4
	v_mul_f32_e32 v3, v19, v126
	s_waitcnt lgkmcnt(1)
	v_pk_mul_f32 v[16:17], v[96:97], v[16:17] op_sel_hi:[1,0]
	v_mul_f32_e32 v121, v94, v127
	v_fmac_f32_e32 v119, v19, v135
	v_fma_f32 v118, v18, v135, -v3
	v_mul_f32_e32 v3, v95, v127
	s_waitcnt vmcnt(15)
	v_pk_fma_f32 v[18:19], v[96:97], v[20:21], v[16:17] op_sel:[0,0,1] op_sel_hi:[1,1,0] neg_lo:[0,0,1] neg_hi:[0,0,1]
	v_pk_fma_f32 v[16:17], v[96:97], v[20:21], v[16:17] op_sel:[0,0,1] op_sel_hi:[1,0,0]
	v_fmac_f32_e32 v121, v95, v136
	v_fma_f32 v120, v94, v136, -v3
	v_pk_add_f32 v[12:13], v[12:13], v[118:119]
	s_waitcnt vmcnt(12)
	v_mov_b32_e32 v16, v103
	v_pk_add_f32 v[12:13], v[12:13], v[120:121]
	v_mov_b32_e32 v19, v17
	s_waitcnt lgkmcnt(0)
	v_pk_mul_f32 v[16:17], v[98:99], v[16:17] op_sel_hi:[1,0]
	v_pk_add_f32 v[12:13], v[12:13], v[18:19]
	v_pk_fma_f32 v[18:19], v[98:99], v[102:103], v[16:17] op_sel:[0,0,1] op_sel_hi:[1,1,0] neg_lo:[0,0,1] neg_hi:[0,0,1]
	v_pk_fma_f32 v[16:17], v[98:99], v[102:103], v[16:17] op_sel:[0,0,1] op_sel_hi:[1,0,0]
	s_waitcnt vmcnt(11)
	v_mov_b32_e32 v16, v107
	ds_read2_b64 v[4:7], v2 offset0:67 offset1:68
	ds_read2_b64 v[8:11], v2 offset0:69 offset1:70
	ds_read_b64 v[14:15], v2 offset:568
	v_mov_b32_e32 v19, v17
	v_pk_mul_f32 v[16:17], v[100:101], v[16:17] op_sel_hi:[1,0]
	v_pk_add_f32 v[12:13], v[12:13], v[18:19]
	s_waitcnt vmcnt(4)
	v_pk_fma_f32 v[18:19], v[100:101], v[106:107], v[16:17] op_sel:[0,0,1] op_sel_hi:[1,1,0] neg_lo:[0,0,1] neg_hi:[0,0,1]
	v_pk_fma_f32 v[16:17], v[100:101], v[106:107], v[16:17] op_sel:[0,0,1] op_sel_hi:[1,0,0]
	v_mov_b32_e32 v16, v113
	v_mov_b32_e32 v19, v17
	s_waitcnt lgkmcnt(2)
	v_pk_mul_f32 v[16:17], v[4:5], v[16:17] op_sel_hi:[1,0]
	v_pk_add_f32 v[12:13], v[12:13], v[18:19]
	v_pk_fma_f32 v[18:19], v[4:5], v[112:113], v[16:17] op_sel:[0,0,1] op_sel_hi:[1,1,0] neg_lo:[0,0,1] neg_hi:[0,0,1]
	v_pk_fma_f32 v[4:5], v[4:5], v[112:113], v[16:17] op_sel:[0,0,1] op_sel_hi:[1,0,0]
	v_mov_b32_e32 v19, v5
	v_pk_add_f32 v[4:5], v[12:13], v[18:19]
	v_mov_b32_e32 v12, v111
	v_pk_mul_f32 v[12:13], v[6:7], v[12:13] op_sel_hi:[1,0]
	v_pk_fma_f32 v[16:17], v[6:7], v[110:111], v[12:13] op_sel:[0,0,1] op_sel_hi:[1,1,0] neg_lo:[0,0,1] neg_hi:[0,0,1]
	v_pk_fma_f32 v[6:7], v[6:7], v[110:111], v[12:13] op_sel:[0,0,1] op_sel_hi:[1,0,0]
	v_mov_b32_e32 v6, v109
	v_mov_b32_e32 v17, v7
	s_waitcnt lgkmcnt(1)
	v_pk_mul_f32 v[6:7], v[8:9], v[6:7] op_sel_hi:[1,0]
	v_pk_fma_f32 v[12:13], v[8:9], v[108:109], v[6:7] op_sel:[0,0,1] op_sel_hi:[1,1,0] neg_lo:[0,0,1] neg_hi:[0,0,1]
	v_pk_fma_f32 v[6:7], v[8:9], v[108:109], v[6:7] op_sel:[0,0,1] op_sel_hi:[1,0,0]
	s_waitcnt vmcnt(1)
	v_mov_b32_e32 v6, v117
	v_mov_b32_e32 v13, v7
	v_pk_mul_f32 v[6:7], v[10:11], v[6:7] op_sel_hi:[1,0]
	s_waitcnt vmcnt(0)
	v_pk_fma_f32 v[8:9], v[10:11], v[116:117], v[6:7] op_sel:[0,0,1] op_sel_hi:[1,1,0] neg_lo:[0,0,1] neg_hi:[0,0,1]
	v_pk_fma_f32 v[6:7], v[10:11], v[116:117], v[6:7] op_sel:[0,0,1] op_sel_hi:[1,0,0]
	v_pk_add_f32 v[4:5], v[4:5], v[16:17]
	v_mov_b32_e32 v6, v115
	v_pk_add_f32 v[4:5], v[4:5], v[12:13]
	v_mov_b32_e32 v9, v7
	s_waitcnt lgkmcnt(0)
	v_pk_mul_f32 v[6:7], v[14:15], v[6:7] op_sel_hi:[1,0]
	v_pk_add_f32 v[4:5], v[4:5], v[8:9]
	v_pk_fma_f32 v[8:9], v[14:15], v[114:115], v[6:7] op_sel:[0,0,1] op_sel_hi:[1,1,0] neg_lo:[0,0,1] neg_hi:[0,0,1]
	v_pk_fma_f32 v[6:7], v[14:15], v[114:115], v[6:7] op_sel:[0,0,1] op_sel_hi:[1,0,0]
	v_mov_b32_e32 v9, v7
	v_pk_add_f32 v[4:5], v[4:5], v[8:9]
	v_pk_add_f32 v[4:5], v[104:105], v[4:5] neg_lo:[0,1] neg_hi:[0,1]
	buffer_store_dword v5, off, s[0:3], 0 offset:148
	buffer_store_dword v4, off, s[0:3], 0 offset:144
	s_and_saveexec_b64 s[4:5], vcc
	s_cbranch_execz .LBB35_195
; %bb.194:
	buffer_load_dword v4, off, s[0:3], 0 offset:136
	buffer_load_dword v5, off, s[0:3], 0 offset:140
	s_waitcnt vmcnt(0)
	ds_write_b64 v1, v[4:5]
	buffer_store_dword v2, off, s[0:3], 0 offset:136
	buffer_store_dword v2, off, s[0:3], 0 offset:140
.LBB35_195:
	s_or_b64 exec, exec, s[4:5]
	s_waitcnt lgkmcnt(0)
	; wave barrier
	s_waitcnt lgkmcnt(0)
	buffer_load_dword v3, off, s[0:3], 0 offset:148
	buffer_load_dword v118, off, s[0:3], 0 offset:156
	;; [unrolled: 1-line block ×22, first 2 shown]
	ds_read_b128 v[4:7], v2 offset:432
	ds_read_b128 v[8:11], v2 offset:448
	buffer_load_dword v103, off, s[0:3], 0 offset:228
	buffer_load_dword v102, off, s[0:3], 0 offset:224
	;; [unrolled: 1-line block ×10, first 2 shown]
	ds_read_b128 v[12:15], v2 offset:464
	ds_read_b128 v[16:19], v2 offset:480
	;; [unrolled: 1-line block ×4, first 2 shown]
	buffer_load_dword v113, off, s[0:3], 0 offset:284
	buffer_load_dword v112, off, s[0:3], 0 offset:280
	;; [unrolled: 1-line block ×6, first 2 shown]
	v_cmp_lt_u32_e32 vcc, 16, v0
	s_waitcnt vmcnt(37) lgkmcnt(5)
	v_mul_f32_e32 v139, v4, v3
	s_waitcnt vmcnt(36)
	v_mul_f32_e32 v140, v6, v118
	s_waitcnt vmcnt(35) lgkmcnt(4)
	v_mul_f32_e32 v141, v8, v120
	v_mul_f32_e32 v3, v5, v3
	v_mul_f32_e32 v120, v9, v120
	v_mul_f32_e32 v118, v7, v118
	s_waitcnt vmcnt(34)
	v_mul_f32_e32 v142, v10, v122
	s_waitcnt vmcnt(33) lgkmcnt(3)
	v_mul_f32_e32 v143, v12, v123
	s_waitcnt vmcnt(32)
	v_mul_f32_e32 v144, v14, v124
	s_waitcnt vmcnt(31) lgkmcnt(2)
	v_mul_f32_e32 v145, v16, v125
	s_waitcnt vmcnt(27)
	v_fmac_f32_e32 v139, v5, v129
	s_waitcnt vmcnt(26)
	v_fmac_f32_e32 v140, v7, v130
	v_fma_f32 v3, v4, v129, -v3
	s_waitcnt vmcnt(25)
	v_fma_f32 v5, v8, v131, -v120
	v_add_f32_e32 v8, 0, v139
	v_fmac_f32_e32 v141, v9, v131
	v_fma_f32 v4, v6, v130, -v118
	v_add_f32_e32 v3, 0, v3
	v_add_f32_e32 v8, v8, v140
	s_waitcnt vmcnt(24)
	v_fmac_f32_e32 v142, v11, v132
	v_add_f32_e32 v3, v3, v4
	v_add_f32_e32 v4, v8, v141
	s_waitcnt vmcnt(23)
	v_fmac_f32_e32 v143, v13, v133
	v_add_f32_e32 v4, v4, v142
	v_mul_f32_e32 v122, v11, v122
	s_waitcnt vmcnt(22)
	v_fmac_f32_e32 v144, v15, v134
	v_add_f32_e32 v4, v4, v143
	v_mul_f32_e32 v146, v18, v126
	v_mul_f32_e32 v123, v13, v123
	s_waitcnt vmcnt(21)
	v_fmac_f32_e32 v145, v17, v135
	v_fma_f32 v6, v10, v132, -v122
	v_add_f32_e32 v3, v3, v5
	v_add_f32_e32 v4, v4, v144
	v_mul_f32_e32 v124, v15, v124
	s_waitcnt vmcnt(20)
	v_fmac_f32_e32 v146, v19, v136
	v_fma_f32 v7, v12, v133, -v123
	v_add_f32_e32 v3, v3, v6
	v_add_f32_e32 v4, v4, v145
	;; [unrolled: 1-line block ×4, first 2 shown]
	v_fma_f32 v4, v14, v134, -v124
	v_add_f32_e32 v3, v3, v4
	v_mul_f32_e32 v4, v17, v125
	v_fma_f32 v4, v16, v135, -v4
	v_add_f32_e32 v3, v3, v4
	v_mul_f32_e32 v4, v19, v126
	v_fma_f32 v4, v18, v136, -v4
	s_waitcnt vmcnt(15)
	v_mov_b32_e32 v16, v103
	s_waitcnt lgkmcnt(1)
	v_mul_f32_e32 v119, v94, v127
	v_add_f32_e32 v122, v3, v4
	v_mul_f32_e32 v3, v95, v127
	s_waitcnt lgkmcnt(0)
	v_pk_mul_f32 v[16:17], v[98:99], v[16:17] op_sel_hi:[1,0]
	v_mul_f32_e32 v121, v96, v128
	v_fmac_f32_e32 v119, v95, v137
	v_fma_f32 v118, v94, v137, -v3
	v_mul_f32_e32 v3, v97, v128
	s_waitcnt vmcnt(14)
	v_pk_fma_f32 v[18:19], v[98:99], v[102:103], v[16:17] op_sel:[0,0,1] op_sel_hi:[1,1,0] neg_lo:[0,0,1] neg_hi:[0,0,1]
	v_pk_fma_f32 v[16:17], v[98:99], v[102:103], v[16:17] op_sel:[0,0,1] op_sel_hi:[1,0,0]
	v_fmac_f32_e32 v121, v97, v138
	v_fma_f32 v120, v96, v138, -v3
	ds_read_b128 v[4:7], v2 offset:528
	ds_read_b128 v[8:11], v2 offset:544
	;; [unrolled: 1-line block ×3, first 2 shown]
	v_pk_add_f32 v[2:3], v[122:123], v[118:119]
	s_waitcnt vmcnt(13)
	v_mov_b32_e32 v16, v105
	v_pk_add_f32 v[2:3], v[2:3], v[120:121]
	v_mov_b32_e32 v19, v17
	v_pk_mul_f32 v[16:17], v[100:101], v[16:17] op_sel_hi:[1,0]
	v_pk_add_f32 v[2:3], v[2:3], v[18:19]
	s_waitcnt vmcnt(6)
	v_pk_fma_f32 v[18:19], v[100:101], v[104:105], v[16:17] op_sel:[0,0,1] op_sel_hi:[1,1,0] neg_lo:[0,0,1] neg_hi:[0,0,1]
	v_pk_fma_f32 v[16:17], v[100:101], v[104:105], v[16:17] op_sel:[0,0,1] op_sel_hi:[1,0,0]
	v_mov_b32_e32 v16, v111
	v_mov_b32_e32 v19, v17
	s_waitcnt lgkmcnt(2)
	v_pk_mul_f32 v[16:17], v[4:5], v[16:17] op_sel_hi:[1,0]
	v_pk_add_f32 v[2:3], v[2:3], v[18:19]
	v_pk_fma_f32 v[18:19], v[4:5], v[110:111], v[16:17] op_sel:[0,0,1] op_sel_hi:[1,1,0] neg_lo:[0,0,1] neg_hi:[0,0,1]
	v_pk_fma_f32 v[4:5], v[4:5], v[110:111], v[16:17] op_sel:[0,0,1] op_sel_hi:[1,0,0]
	v_mov_b32_e32 v4, v109
	v_mov_b32_e32 v19, v5
	v_pk_mul_f32 v[4:5], v[6:7], v[4:5] op_sel_hi:[1,0]
	v_pk_fma_f32 v[16:17], v[6:7], v[108:109], v[4:5] op_sel:[0,0,1] op_sel_hi:[1,1,0] neg_lo:[0,0,1] neg_hi:[0,0,1]
	v_pk_fma_f32 v[4:5], v[6:7], v[108:109], v[4:5] op_sel:[0,0,1] op_sel_hi:[1,0,0]
	v_mov_b32_e32 v4, v107
	v_mov_b32_e32 v17, v5
	s_waitcnt lgkmcnt(1)
	v_pk_mul_f32 v[4:5], v[8:9], v[4:5] op_sel_hi:[1,0]
	v_pk_fma_f32 v[6:7], v[8:9], v[106:107], v[4:5] op_sel:[0,0,1] op_sel_hi:[1,1,0] neg_lo:[0,0,1] neg_hi:[0,0,1]
	v_pk_fma_f32 v[4:5], v[8:9], v[106:107], v[4:5] op_sel:[0,0,1] op_sel_hi:[1,0,0]
	v_pk_add_f32 v[2:3], v[2:3], v[18:19]
	s_waitcnt vmcnt(1)
	v_mov_b32_e32 v4, v117
	v_pk_add_f32 v[2:3], v[2:3], v[16:17]
	v_mov_b32_e32 v7, v5
	v_pk_mul_f32 v[4:5], v[10:11], v[4:5] op_sel_hi:[1,0]
	v_pk_add_f32 v[2:3], v[2:3], v[6:7]
	s_waitcnt vmcnt(0)
	v_pk_fma_f32 v[6:7], v[10:11], v[116:117], v[4:5] op_sel:[0,0,1] op_sel_hi:[1,1,0] neg_lo:[0,0,1] neg_hi:[0,0,1]
	v_pk_fma_f32 v[4:5], v[10:11], v[116:117], v[4:5] op_sel:[0,0,1] op_sel_hi:[1,0,0]
	v_mov_b32_e32 v4, v115
	v_mov_b32_e32 v7, v5
	s_waitcnt lgkmcnt(0)
	v_pk_mul_f32 v[4:5], v[12:13], v[4:5] op_sel_hi:[1,0]
	v_pk_add_f32 v[2:3], v[2:3], v[6:7]
	v_pk_fma_f32 v[6:7], v[12:13], v[114:115], v[4:5] op_sel:[0,0,1] op_sel_hi:[1,1,0] neg_lo:[0,0,1] neg_hi:[0,0,1]
	v_pk_fma_f32 v[4:5], v[12:13], v[114:115], v[4:5] op_sel:[0,0,1] op_sel_hi:[1,0,0]
	v_mov_b32_e32 v4, v113
	v_mov_b32_e32 v7, v5
	v_pk_mul_f32 v[4:5], v[14:15], v[4:5] op_sel_hi:[1,0]
	v_pk_add_f32 v[2:3], v[2:3], v[6:7]
	v_pk_fma_f32 v[6:7], v[14:15], v[112:113], v[4:5] op_sel:[0,0,1] op_sel_hi:[1,1,0] neg_lo:[0,0,1] neg_hi:[0,0,1]
	v_pk_fma_f32 v[4:5], v[14:15], v[112:113], v[4:5] op_sel:[0,0,1] op_sel_hi:[1,0,0]
	v_mov_b32_e32 v7, v5
	v_pk_add_f32 v[2:3], v[2:3], v[6:7]
	v_pk_add_f32 v[2:3], v[20:21], v[2:3] neg_lo:[0,1] neg_hi:[0,1]
	buffer_store_dword v3, off, s[0:3], 0 offset:140
	buffer_store_dword v2, off, s[0:3], 0 offset:136
	s_and_saveexec_b64 s[4:5], vcc
	s_cbranch_execz .LBB35_197
; %bb.196:
	buffer_load_dword v2, off, s[0:3], 0 offset:128
	buffer_load_dword v3, off, s[0:3], 0 offset:132
	v_mov_b32_e32 v4, 0
	buffer_store_dword v4, off, s[0:3], 0 offset:128
	buffer_store_dword v4, off, s[0:3], 0 offset:132
	s_waitcnt vmcnt(2)
	ds_write_b64 v1, v[2:3]
.LBB35_197:
	s_or_b64 exec, exec, s[4:5]
	s_waitcnt lgkmcnt(0)
	; wave barrier
	s_waitcnt lgkmcnt(0)
	buffer_load_dword v3, off, s[0:3], 0 offset:140
	buffer_load_dword v118, off, s[0:3], 0 offset:148
	;; [unrolled: 1-line block ×40, first 2 shown]
	v_mov_b32_e32 v2, 0
	ds_read2_b64 v[4:7], v2 offset0:53 offset1:54
	ds_read2_b64 v[8:11], v2 offset0:55 offset1:56
	;; [unrolled: 1-line block ×6, first 2 shown]
	v_cmp_lt_u32_e32 vcc, 15, v0
	s_waitcnt vmcnt(39) lgkmcnt(5)
	v_mul_f32_e32 v141, v4, v3
	s_waitcnt vmcnt(38)
	v_mul_f32_e32 v142, v6, v118
	v_mul_f32_e32 v3, v5, v3
	s_waitcnt vmcnt(37) lgkmcnt(4)
	v_mul_f32_e32 v143, v8, v120
	v_mul_f32_e32 v118, v7, v118
	s_waitcnt vmcnt(36)
	v_mul_f32_e32 v144, v10, v122
	s_waitcnt vmcnt(35) lgkmcnt(3)
	v_mul_f32_e32 v145, v12, v124
	s_waitcnt vmcnt(34)
	v_mul_f32_e32 v146, v14, v125
	s_waitcnt vmcnt(33) lgkmcnt(2)
	;; [unrolled: 4-line block ×3, first 2 shown]
	v_mul_f32_e32 v149, v94, v128
	s_waitcnt vmcnt(28)
	v_fmac_f32_e32 v141, v5, v123
	s_waitcnt vmcnt(27)
	v_fmac_f32_e32 v142, v7, v131
	v_fma_f32 v3, v4, v123, -v3
	v_add_f32_e32 v7, 0, v141
	s_waitcnt vmcnt(26)
	v_fmac_f32_e32 v143, v9, v132
	v_fma_f32 v4, v6, v131, -v118
	v_add_f32_e32 v3, 0, v3
	v_add_f32_e32 v7, v7, v142
	s_waitcnt vmcnt(25)
	v_fmac_f32_e32 v144, v11, v133
	v_add_f32_e32 v3, v3, v4
	v_add_f32_e32 v4, v7, v143
	s_waitcnt vmcnt(24)
	v_fmac_f32_e32 v145, v13, v134
	v_add_f32_e32 v4, v4, v144
	s_waitcnt vmcnt(23)
	v_fmac_f32_e32 v146, v15, v135
	;; [unrolled: 3-line block ×3, first 2 shown]
	v_add_f32_e32 v4, v4, v146
	v_mul_f32_e32 v120, v9, v120
	s_waitcnt vmcnt(21)
	v_fmac_f32_e32 v148, v19, v137
	v_add_f32_e32 v4, v4, v147
	v_mul_f32_e32 v122, v11, v122
	s_waitcnt vmcnt(20)
	v_fmac_f32_e32 v149, v95, v138
	v_fma_f32 v5, v8, v132, -v120
	v_add_f32_e32 v4, v4, v148
	v_fma_f32 v6, v10, v133, -v122
	v_add_f32_e32 v3, v3, v5
	v_add_f32_e32 v123, v4, v149
	v_mul_f32_e32 v4, v13, v124
	v_add_f32_e32 v3, v3, v6
	v_fma_f32 v4, v12, v134, -v4
	v_add_f32_e32 v3, v3, v4
	v_mul_f32_e32 v4, v15, v125
	v_fma_f32 v4, v14, v135, -v4
	v_add_f32_e32 v3, v3, v4
	v_mul_f32_e32 v4, v17, v126
	;; [unrolled: 3-line block ×4, first 2 shown]
	v_fma_f32 v4, v94, v138, -v4
	s_waitcnt vmcnt(9)
	v_mov_b32_e32 v94, v109
	v_mul_f32_e32 v119, v96, v129
	v_add_f32_e32 v122, v3, v4
	v_mul_f32_e32 v3, v97, v129
	s_waitcnt lgkmcnt(0)
	v_pk_mul_f32 v[94:95], v[100:101], v[94:95] op_sel_hi:[1,0]
	v_mul_f32_e32 v121, v98, v130
	v_fmac_f32_e32 v119, v97, v139
	v_fma_f32 v118, v96, v139, -v3
	v_mul_f32_e32 v3, v99, v130
	ds_read2_b64 v[4:7], v2 offset0:65 offset1:66
	ds_read2_b64 v[8:11], v2 offset0:67 offset1:68
	;; [unrolled: 1-line block ×3, first 2 shown]
	ds_read_b64 v[16:17], v2 offset:568
	s_waitcnt vmcnt(8)
	v_pk_fma_f32 v[96:97], v[100:101], v[108:109], v[94:95] op_sel:[0,0,1] op_sel_hi:[1,1,0] neg_lo:[0,0,1] neg_hi:[0,0,1]
	v_pk_fma_f32 v[94:95], v[100:101], v[108:109], v[94:95] op_sel:[0,0,1] op_sel_hi:[1,0,0]
	v_fmac_f32_e32 v121, v99, v140
	v_fma_f32 v120, v98, v140, -v3
	v_pk_add_f32 v[18:19], v[122:123], v[118:119]
	v_mov_b32_e32 v94, v107
	v_pk_add_f32 v[18:19], v[18:19], v[120:121]
	v_mov_b32_e32 v97, v95
	s_waitcnt lgkmcnt(3)
	v_pk_mul_f32 v[94:95], v[4:5], v[94:95] op_sel_hi:[1,0]
	v_pk_add_f32 v[18:19], v[18:19], v[96:97]
	v_pk_fma_f32 v[96:97], v[4:5], v[106:107], v[94:95] op_sel:[0,0,1] op_sel_hi:[1,1,0] neg_lo:[0,0,1] neg_hi:[0,0,1]
	v_pk_fma_f32 v[4:5], v[4:5], v[106:107], v[94:95] op_sel:[0,0,1] op_sel_hi:[1,0,0]
	v_mov_b32_e32 v97, v5
	v_pk_add_f32 v[4:5], v[18:19], v[96:97]
	v_mov_b32_e32 v18, v105
	v_pk_mul_f32 v[18:19], v[6:7], v[18:19] op_sel_hi:[1,0]
	v_pk_fma_f32 v[94:95], v[6:7], v[104:105], v[18:19] op_sel:[0,0,1] op_sel_hi:[1,1,0] neg_lo:[0,0,1] neg_hi:[0,0,1]
	v_pk_fma_f32 v[6:7], v[6:7], v[104:105], v[18:19] op_sel:[0,0,1] op_sel_hi:[1,0,0]
	v_mov_b32_e32 v6, v103
	v_mov_b32_e32 v95, v7
	s_waitcnt lgkmcnt(2)
	v_pk_mul_f32 v[6:7], v[8:9], v[6:7] op_sel_hi:[1,0]
	v_pk_fma_f32 v[18:19], v[8:9], v[102:103], v[6:7] op_sel:[0,0,1] op_sel_hi:[1,1,0] neg_lo:[0,0,1] neg_hi:[0,0,1]
	v_pk_fma_f32 v[6:7], v[8:9], v[102:103], v[6:7] op_sel:[0,0,1] op_sel_hi:[1,0,0]
	s_waitcnt vmcnt(1)
	v_mov_b32_e32 v6, v117
	v_mov_b32_e32 v19, v7
	v_pk_mul_f32 v[6:7], v[10:11], v[6:7] op_sel_hi:[1,0]
	s_waitcnt vmcnt(0)
	v_pk_fma_f32 v[8:9], v[10:11], v[116:117], v[6:7] op_sel:[0,0,1] op_sel_hi:[1,1,0] neg_lo:[0,0,1] neg_hi:[0,0,1]
	v_pk_fma_f32 v[6:7], v[10:11], v[116:117], v[6:7] op_sel:[0,0,1] op_sel_hi:[1,0,0]
	v_pk_add_f32 v[4:5], v[4:5], v[94:95]
	v_mov_b32_e32 v6, v115
	v_pk_add_f32 v[4:5], v[4:5], v[18:19]
	v_mov_b32_e32 v9, v7
	s_waitcnt lgkmcnt(1)
	v_pk_mul_f32 v[6:7], v[12:13], v[6:7] op_sel_hi:[1,0]
	v_pk_add_f32 v[4:5], v[4:5], v[8:9]
	v_pk_fma_f32 v[8:9], v[12:13], v[114:115], v[6:7] op_sel:[0,0,1] op_sel_hi:[1,1,0] neg_lo:[0,0,1] neg_hi:[0,0,1]
	v_pk_fma_f32 v[6:7], v[12:13], v[114:115], v[6:7] op_sel:[0,0,1] op_sel_hi:[1,0,0]
	v_mov_b32_e32 v6, v113
	v_mov_b32_e32 v9, v7
	v_pk_mul_f32 v[6:7], v[14:15], v[6:7] op_sel_hi:[1,0]
	v_pk_add_f32 v[4:5], v[4:5], v[8:9]
	v_pk_fma_f32 v[8:9], v[14:15], v[112:113], v[6:7] op_sel:[0,0,1] op_sel_hi:[1,1,0] neg_lo:[0,0,1] neg_hi:[0,0,1]
	v_pk_fma_f32 v[6:7], v[14:15], v[112:113], v[6:7] op_sel:[0,0,1] op_sel_hi:[1,0,0]
	v_mov_b32_e32 v6, v111
	v_mov_b32_e32 v9, v7
	s_waitcnt lgkmcnt(0)
	v_pk_mul_f32 v[6:7], v[16:17], v[6:7] op_sel_hi:[1,0]
	v_pk_add_f32 v[4:5], v[4:5], v[8:9]
	v_pk_fma_f32 v[8:9], v[16:17], v[110:111], v[6:7] op_sel:[0,0,1] op_sel_hi:[1,1,0] neg_lo:[0,0,1] neg_hi:[0,0,1]
	v_pk_fma_f32 v[6:7], v[16:17], v[110:111], v[6:7] op_sel:[0,0,1] op_sel_hi:[1,0,0]
	v_mov_b32_e32 v9, v7
	v_pk_add_f32 v[4:5], v[4:5], v[8:9]
	v_pk_add_f32 v[4:5], v[20:21], v[4:5] neg_lo:[0,1] neg_hi:[0,1]
	buffer_store_dword v5, off, s[0:3], 0 offset:132
	buffer_store_dword v4, off, s[0:3], 0 offset:128
	s_and_saveexec_b64 s[4:5], vcc
	s_cbranch_execz .LBB35_199
; %bb.198:
	buffer_load_dword v4, off, s[0:3], 0 offset:120
	buffer_load_dword v5, off, s[0:3], 0 offset:124
	s_waitcnt vmcnt(0)
	ds_write_b64 v1, v[4:5]
	buffer_store_dword v2, off, s[0:3], 0 offset:120
	buffer_store_dword v2, off, s[0:3], 0 offset:124
.LBB35_199:
	s_or_b64 exec, exec, s[4:5]
	s_waitcnt lgkmcnt(0)
	; wave barrier
	s_waitcnt lgkmcnt(0)
	buffer_load_dword v3, off, s[0:3], 0 offset:132
	buffer_load_dword v118, off, s[0:3], 0 offset:140
	buffer_load_dword v120, off, s[0:3], 0 offset:148
	buffer_load_dword v122, off, s[0:3], 0 offset:156
	buffer_load_dword v124, off, s[0:3], 0 offset:164
	buffer_load_dword v125, off, s[0:3], 0 offset:172
	buffer_load_dword v126, off, s[0:3], 0 offset:180
	buffer_load_dword v127, off, s[0:3], 0 offset:188
	buffer_load_dword v128, off, s[0:3], 0 offset:196
	buffer_load_dword v129, off, s[0:3], 0 offset:204
	buffer_load_dword v130, off, s[0:3], 0 offset:212
	buffer_load_dword v131, off, s[0:3], 0 offset:220
	buffer_load_dword v123, off, s[0:3], 0 offset:128
	buffer_load_dword v132, off, s[0:3], 0 offset:136
	buffer_load_dword v133, off, s[0:3], 0 offset:144
	buffer_load_dword v134, off, s[0:3], 0 offset:152
	buffer_load_dword v135, off, s[0:3], 0 offset:160
	buffer_load_dword v136, off, s[0:3], 0 offset:168
	buffer_load_dword v137, off, s[0:3], 0 offset:176
	buffer_load_dword v138, off, s[0:3], 0 offset:184
	buffer_load_dword v139, off, s[0:3], 0 offset:192
	buffer_load_dword v140, off, s[0:3], 0 offset:200
	buffer_load_dword v141, off, s[0:3], 0 offset:208
	buffer_load_dword v142, off, s[0:3], 0 offset:216
	buffer_load_dword v20, off, s[0:3], 0 offset:120
	buffer_load_dword v21, off, s[0:3], 0 offset:124
	ds_read_b128 v[4:7], v2 offset:416
	ds_read_b128 v[8:11], v2 offset:432
	;; [unrolled: 1-line block ×6, first 2 shown]
	buffer_load_dword v103, off, s[0:3], 0 offset:244
	buffer_load_dword v102, off, s[0:3], 0 offset:240
	;; [unrolled: 1-line block ×16, first 2 shown]
	v_cmp_lt_u32_e32 vcc, 14, v0
	s_waitcnt vmcnt(41) lgkmcnt(5)
	v_mul_f32_e32 v143, v4, v3
	s_waitcnt vmcnt(40)
	v_mul_f32_e32 v144, v6, v118
	v_mul_f32_e32 v3, v5, v3
	;; [unrolled: 1-line block ×3, first 2 shown]
	s_waitcnt vmcnt(39) lgkmcnt(4)
	v_mul_f32_e32 v145, v8, v120
	s_waitcnt vmcnt(38)
	v_mul_f32_e32 v146, v10, v122
	s_waitcnt vmcnt(37) lgkmcnt(3)
	v_mul_f32_e32 v147, v12, v124
	s_waitcnt vmcnt(36)
	v_mul_f32_e32 v148, v14, v125
	;; [unrolled: 4-line block ×4, first 2 shown]
	s_waitcnt vmcnt(29)
	v_fmac_f32_e32 v143, v5, v123
	s_waitcnt vmcnt(28)
	v_fmac_f32_e32 v144, v7, v132
	v_fma_f32 v3, v4, v123, -v3
	v_fma_f32 v4, v6, v132, -v118
	v_add_f32_e32 v6, 0, v143
	s_waitcnt vmcnt(27)
	v_fmac_f32_e32 v145, v9, v133
	v_add_f32_e32 v3, 0, v3
	v_add_f32_e32 v6, v6, v144
	s_waitcnt vmcnt(26)
	v_fmac_f32_e32 v146, v11, v134
	v_add_f32_e32 v3, v3, v4
	v_add_f32_e32 v4, v6, v145
	s_waitcnt vmcnt(25)
	v_fmac_f32_e32 v147, v13, v135
	v_add_f32_e32 v4, v4, v146
	s_waitcnt vmcnt(24)
	v_fmac_f32_e32 v148, v15, v136
	v_add_f32_e32 v4, v4, v147
	s_waitcnt vmcnt(23)
	v_fmac_f32_e32 v149, v17, v137
	v_add_f32_e32 v4, v4, v148
	;; [unrolled: 3-line block ×4, first 2 shown]
	v_mul_f32_e32 v120, v9, v120
	s_waitcnt vmcnt(20)
	v_fmac_f32_e32 v152, v97, v140
	v_add_f32_e32 v4, v4, v151
	v_fma_f32 v5, v8, v133, -v120
	v_add_f32_e32 v123, v4, v152
	v_mul_f32_e32 v4, v11, v122
	v_add_f32_e32 v3, v3, v5
	v_fma_f32 v4, v10, v134, -v4
	v_add_f32_e32 v3, v3, v4
	v_mul_f32_e32 v4, v13, v124
	v_fma_f32 v4, v12, v135, -v4
	v_add_f32_e32 v3, v3, v4
	v_mul_f32_e32 v4, v15, v125
	;; [unrolled: 3-line block ×6, first 2 shown]
	v_fma_f32 v4, v96, v140, -v4
	v_add_f32_e32 v122, v3, v4
	ds_read_b128 v[4:7], v2 offset:512
	ds_read_b128 v[8:11], v2 offset:528
	;; [unrolled: 1-line block ×4, first 2 shown]
	s_waitcnt vmcnt(11)
	v_mov_b32_e32 v94, v107
	s_waitcnt lgkmcnt(3)
	v_pk_mul_f32 v[94:95], v[4:5], v[94:95] op_sel_hi:[1,0]
	s_waitcnt vmcnt(10)
	v_pk_fma_f32 v[96:97], v[4:5], v[106:107], v[94:95] op_sel:[0,0,1] op_sel_hi:[1,1,0] neg_lo:[0,0,1] neg_hi:[0,0,1]
	v_pk_fma_f32 v[4:5], v[4:5], v[106:107], v[94:95] op_sel:[0,0,1] op_sel_hi:[1,0,0]
	v_mov_b32_e32 v4, v105
	v_mov_b32_e32 v97, v5
	v_pk_mul_f32 v[4:5], v[6:7], v[4:5] op_sel_hi:[1,0]
	v_mul_f32_e32 v119, v98, v130
	v_mul_f32_e32 v3, v99, v130
	v_pk_fma_f32 v[94:95], v[6:7], v[104:105], v[4:5] op_sel:[0,0,1] op_sel_hi:[1,1,0] neg_lo:[0,0,1] neg_hi:[0,0,1]
	v_pk_fma_f32 v[4:5], v[6:7], v[104:105], v[4:5] op_sel:[0,0,1] op_sel_hi:[1,0,0]
	v_mul_f32_e32 v121, v100, v131
	v_fmac_f32_e32 v119, v99, v141
	v_fma_f32 v118, v98, v141, -v3
	v_mul_f32_e32 v3, v101, v131
	v_mov_b32_e32 v4, v103
	v_fmac_f32_e32 v121, v101, v142
	v_fma_f32 v120, v100, v142, -v3
	v_pk_add_f32 v[2:3], v[122:123], v[118:119]
	v_mov_b32_e32 v95, v5
	s_waitcnt lgkmcnt(2)
	v_pk_mul_f32 v[4:5], v[8:9], v[4:5] op_sel_hi:[1,0]
	v_pk_add_f32 v[2:3], v[2:3], v[120:121]
	v_pk_fma_f32 v[6:7], v[8:9], v[102:103], v[4:5] op_sel:[0,0,1] op_sel_hi:[1,1,0] neg_lo:[0,0,1] neg_hi:[0,0,1]
	v_pk_fma_f32 v[4:5], v[8:9], v[102:103], v[4:5] op_sel:[0,0,1] op_sel_hi:[1,0,0]
	v_pk_add_f32 v[2:3], v[2:3], v[96:97]
	s_waitcnt vmcnt(3)
	v_mov_b32_e32 v4, v115
	v_pk_add_f32 v[2:3], v[2:3], v[94:95]
	v_mov_b32_e32 v7, v5
	v_pk_mul_f32 v[4:5], v[10:11], v[4:5] op_sel_hi:[1,0]
	v_pk_add_f32 v[2:3], v[2:3], v[6:7]
	s_waitcnt vmcnt(2)
	v_pk_fma_f32 v[6:7], v[10:11], v[114:115], v[4:5] op_sel:[0,0,1] op_sel_hi:[1,1,0] neg_lo:[0,0,1] neg_hi:[0,0,1]
	v_pk_fma_f32 v[4:5], v[10:11], v[114:115], v[4:5] op_sel:[0,0,1] op_sel_hi:[1,0,0]
	v_mov_b32_e32 v4, v113
	v_mov_b32_e32 v7, v5
	s_waitcnt lgkmcnt(1)
	v_pk_mul_f32 v[4:5], v[12:13], v[4:5] op_sel_hi:[1,0]
	v_pk_add_f32 v[2:3], v[2:3], v[6:7]
	v_pk_fma_f32 v[6:7], v[12:13], v[112:113], v[4:5] op_sel:[0,0,1] op_sel_hi:[1,1,0] neg_lo:[0,0,1] neg_hi:[0,0,1]
	v_pk_fma_f32 v[4:5], v[12:13], v[112:113], v[4:5] op_sel:[0,0,1] op_sel_hi:[1,0,0]
	v_mov_b32_e32 v4, v111
	v_mov_b32_e32 v7, v5
	v_pk_mul_f32 v[4:5], v[14:15], v[4:5] op_sel_hi:[1,0]
	v_pk_add_f32 v[2:3], v[2:3], v[6:7]
	v_pk_fma_f32 v[6:7], v[14:15], v[110:111], v[4:5] op_sel:[0,0,1] op_sel_hi:[1,1,0] neg_lo:[0,0,1] neg_hi:[0,0,1]
	v_pk_fma_f32 v[4:5], v[14:15], v[110:111], v[4:5] op_sel:[0,0,1] op_sel_hi:[1,0,0]
	v_mov_b32_e32 v4, v109
	v_mov_b32_e32 v7, v5
	s_waitcnt lgkmcnt(0)
	v_pk_mul_f32 v[4:5], v[16:17], v[4:5] op_sel_hi:[1,0]
	v_pk_add_f32 v[2:3], v[2:3], v[6:7]
	v_pk_fma_f32 v[6:7], v[16:17], v[108:109], v[4:5] op_sel:[0,0,1] op_sel_hi:[1,1,0] neg_lo:[0,0,1] neg_hi:[0,0,1]
	v_pk_fma_f32 v[4:5], v[16:17], v[108:109], v[4:5] op_sel:[0,0,1] op_sel_hi:[1,0,0]
	s_waitcnt vmcnt(1)
	v_mov_b32_e32 v4, v117
	v_mov_b32_e32 v7, v5
	v_pk_mul_f32 v[4:5], v[18:19], v[4:5] op_sel_hi:[1,0]
	v_pk_add_f32 v[2:3], v[2:3], v[6:7]
	s_waitcnt vmcnt(0)
	v_pk_fma_f32 v[6:7], v[18:19], v[116:117], v[4:5] op_sel:[0,0,1] op_sel_hi:[1,1,0] neg_lo:[0,0,1] neg_hi:[0,0,1]
	v_pk_fma_f32 v[4:5], v[18:19], v[116:117], v[4:5] op_sel:[0,0,1] op_sel_hi:[1,0,0]
	v_mov_b32_e32 v7, v5
	v_pk_add_f32 v[2:3], v[2:3], v[6:7]
	v_pk_add_f32 v[2:3], v[20:21], v[2:3] neg_lo:[0,1] neg_hi:[0,1]
	buffer_store_dword v3, off, s[0:3], 0 offset:124
	buffer_store_dword v2, off, s[0:3], 0 offset:120
	s_and_saveexec_b64 s[4:5], vcc
	s_cbranch_execz .LBB35_201
; %bb.200:
	buffer_load_dword v2, off, s[0:3], 0 offset:112
	buffer_load_dword v3, off, s[0:3], 0 offset:116
	v_mov_b32_e32 v4, 0
	buffer_store_dword v4, off, s[0:3], 0 offset:112
	buffer_store_dword v4, off, s[0:3], 0 offset:116
	s_waitcnt vmcnt(2)
	ds_write_b64 v1, v[2:3]
.LBB35_201:
	s_or_b64 exec, exec, s[4:5]
	s_waitcnt lgkmcnt(0)
	; wave barrier
	s_waitcnt lgkmcnt(0)
	buffer_load_dword v3, off, s[0:3], 0 offset:124
	buffer_load_dword v126, off, s[0:3], 0 offset:132
	;; [unrolled: 1-line block ×44, first 2 shown]
	v_mov_b32_e32 v2, 0
	ds_read2_b64 v[4:7], v2 offset0:51 offset1:52
	ds_read2_b64 v[8:11], v2 offset0:53 offset1:54
	;; [unrolled: 1-line block ×8, first 2 shown]
	v_cmp_lt_u32_e32 vcc, 13, v0
	s_waitcnt vmcnt(43) lgkmcnt(7)
	v_mul_f32_e32 v131, v4, v3
	v_mul_f32_e32 v3, v5, v3
	s_waitcnt vmcnt(42)
	v_mul_f32_e32 v154, v6, v126
	s_waitcnt vmcnt(41) lgkmcnt(6)
	v_mul_f32_e32 v155, v8, v128
	s_waitcnt vmcnt(40)
	v_mul_f32_e32 v156, v10, v130
	s_waitcnt vmcnt(39) lgkmcnt(5)
	;; [unrolled: 4-line block ×5, first 2 shown]
	v_mul_f32_e32 v163, v98, v138
	s_waitcnt vmcnt(32)
	v_mul_f32_e32 v127, v100, v139
	s_waitcnt vmcnt(30)
	v_fma_f32 v3, v4, v141, -v3
	v_mul_f32_e32 v4, v7, v126
	v_add_f32_e32 v3, 0, v3
	s_waitcnt vmcnt(29)
	v_fma_f32 v4, v6, v142, -v4
	v_add_f32_e32 v3, v3, v4
	v_mul_f32_e32 v4, v9, v128
	s_waitcnt vmcnt(28)
	v_fma_f32 v4, v8, v143, -v4
	v_add_f32_e32 v3, v3, v4
	v_mul_f32_e32 v4, v11, v130
	;; [unrolled: 4-line block ×4, first 2 shown]
	s_waitcnt vmcnt(25)
	v_fma_f32 v4, v14, v146, -v4
	v_fmac_f32_e32 v131, v5, v141
	v_add_f32_e32 v3, v3, v4
	v_mul_f32_e32 v4, v17, v134
	v_fmac_f32_e32 v154, v7, v142
	v_add_f32_e32 v5, 0, v131
	s_waitcnt vmcnt(24)
	v_fma_f32 v4, v16, v147, -v4
	v_fmac_f32_e32 v155, v9, v143
	v_add_f32_e32 v5, v5, v154
	v_add_f32_e32 v3, v3, v4
	v_mul_f32_e32 v4, v19, v135
	v_fmac_f32_e32 v156, v11, v144
	v_add_f32_e32 v5, v5, v155
	s_waitcnt vmcnt(23)
	v_fma_f32 v4, v18, v148, -v4
	v_fmac_f32_e32 v157, v13, v145
	v_add_f32_e32 v5, v5, v156
	v_add_f32_e32 v3, v3, v4
	v_mul_f32_e32 v4, v95, v136
	v_fmac_f32_e32 v158, v15, v146
	v_add_f32_e32 v5, v5, v157
	s_waitcnt vmcnt(22)
	v_fma_f32 v4, v94, v149, -v4
	v_fmac_f32_e32 v159, v17, v147
	v_add_f32_e32 v5, v5, v158
	v_add_f32_e32 v3, v3, v4
	v_mul_f32_e32 v4, v97, v137
	v_fmac_f32_e32 v160, v19, v148
	v_add_f32_e32 v5, v5, v159
	s_waitcnt vmcnt(21)
	v_fma_f32 v4, v96, v150, -v4
	v_fmac_f32_e32 v161, v95, v149
	v_add_f32_e32 v5, v5, v160
	v_add_f32_e32 v3, v3, v4
	v_mul_f32_e32 v4, v99, v138
	v_fmac_f32_e32 v162, v97, v150
	v_add_f32_e32 v5, v5, v161
	s_waitcnt vmcnt(20)
	v_fma_f32 v4, v98, v151, -v4
	s_waitcnt vmcnt(13)
	v_mov_b32_e32 v16, v113
	v_fmac_f32_e32 v163, v99, v151
	v_add_f32_e32 v5, v5, v162
	v_add_f32_e32 v130, v3, v4
	v_mul_f32_e32 v3, v101, v139
	s_waitcnt lgkmcnt(1)
	v_pk_mul_f32 v[16:17], v[104:105], v[16:17] op_sel_hi:[1,0]
	v_mul_f32_e32 v129, v102, v140
	v_fmac_f32_e32 v127, v101, v152
	v_add_f32_e32 v131, v5, v163
	v_fma_f32 v126, v100, v152, -v3
	v_mul_f32_e32 v3, v103, v140
	s_waitcnt vmcnt(12)
	v_pk_fma_f32 v[18:19], v[104:105], v[112:113], v[16:17] op_sel:[0,0,1] op_sel_hi:[1,1,0] neg_lo:[0,0,1] neg_hi:[0,0,1]
	v_pk_fma_f32 v[16:17], v[104:105], v[112:113], v[16:17] op_sel:[0,0,1] op_sel_hi:[1,0,0]
	v_fmac_f32_e32 v129, v103, v153
	v_fma_f32 v128, v102, v153, -v3
	v_pk_add_f32 v[14:15], v[130:131], v[126:127]
	v_mov_b32_e32 v16, v111
	v_pk_add_f32 v[14:15], v[14:15], v[128:129]
	v_mov_b32_e32 v19, v17
	s_waitcnt lgkmcnt(0)
	v_pk_mul_f32 v[16:17], v[106:107], v[16:17] op_sel_hi:[1,0]
	v_pk_add_f32 v[14:15], v[14:15], v[18:19]
	v_pk_fma_f32 v[18:19], v[106:107], v[110:111], v[16:17] op_sel:[0,0,1] op_sel_hi:[1,1,0] neg_lo:[0,0,1] neg_hi:[0,0,1]
	v_pk_fma_f32 v[16:17], v[106:107], v[110:111], v[16:17] op_sel:[0,0,1] op_sel_hi:[1,0,0]
	s_waitcnt vmcnt(5)
	v_mov_b32_e32 v16, v121
	ds_read2_b64 v[4:7], v2 offset0:67 offset1:68
	ds_read2_b64 v[8:11], v2 offset0:69 offset1:70
	ds_read_b64 v[12:13], v2 offset:568
	v_mov_b32_e32 v19, v17
	v_pk_mul_f32 v[16:17], v[108:109], v[16:17] op_sel_hi:[1,0]
	v_pk_add_f32 v[14:15], v[14:15], v[18:19]
	s_waitcnt vmcnt(4)
	v_pk_fma_f32 v[18:19], v[108:109], v[120:121], v[16:17] op_sel:[0,0,1] op_sel_hi:[1,1,0] neg_lo:[0,0,1] neg_hi:[0,0,1]
	v_pk_fma_f32 v[16:17], v[108:109], v[120:121], v[16:17] op_sel:[0,0,1] op_sel_hi:[1,0,0]
	v_mov_b32_e32 v16, v119
	v_mov_b32_e32 v19, v17
	s_waitcnt lgkmcnt(2)
	v_pk_mul_f32 v[16:17], v[4:5], v[16:17] op_sel_hi:[1,0]
	v_pk_add_f32 v[14:15], v[14:15], v[18:19]
	v_pk_fma_f32 v[18:19], v[4:5], v[118:119], v[16:17] op_sel:[0,0,1] op_sel_hi:[1,1,0] neg_lo:[0,0,1] neg_hi:[0,0,1]
	v_pk_fma_f32 v[4:5], v[4:5], v[118:119], v[16:17] op_sel:[0,0,1] op_sel_hi:[1,0,0]
	v_mov_b32_e32 v19, v5
	v_pk_add_f32 v[4:5], v[14:15], v[18:19]
	v_mov_b32_e32 v14, v117
	v_pk_mul_f32 v[14:15], v[6:7], v[14:15] op_sel_hi:[1,0]
	v_pk_fma_f32 v[16:17], v[6:7], v[116:117], v[14:15] op_sel:[0,0,1] op_sel_hi:[1,1,0] neg_lo:[0,0,1] neg_hi:[0,0,1]
	v_pk_fma_f32 v[6:7], v[6:7], v[116:117], v[14:15] op_sel:[0,0,1] op_sel_hi:[1,0,0]
	v_mov_b32_e32 v6, v115
	v_mov_b32_e32 v17, v7
	s_waitcnt lgkmcnt(1)
	v_pk_mul_f32 v[6:7], v[8:9], v[6:7] op_sel_hi:[1,0]
	v_pk_fma_f32 v[14:15], v[8:9], v[114:115], v[6:7] op_sel:[0,0,1] op_sel_hi:[1,1,0] neg_lo:[0,0,1] neg_hi:[0,0,1]
	v_pk_fma_f32 v[6:7], v[8:9], v[114:115], v[6:7] op_sel:[0,0,1] op_sel_hi:[1,0,0]
	s_waitcnt vmcnt(1)
	v_mov_b32_e32 v6, v125
	v_mov_b32_e32 v15, v7
	v_pk_mul_f32 v[6:7], v[10:11], v[6:7] op_sel_hi:[1,0]
	s_waitcnt vmcnt(0)
	v_pk_fma_f32 v[8:9], v[10:11], v[124:125], v[6:7] op_sel:[0,0,1] op_sel_hi:[1,1,0] neg_lo:[0,0,1] neg_hi:[0,0,1]
	v_pk_fma_f32 v[6:7], v[10:11], v[124:125], v[6:7] op_sel:[0,0,1] op_sel_hi:[1,0,0]
	v_pk_add_f32 v[4:5], v[4:5], v[16:17]
	v_mov_b32_e32 v6, v123
	v_pk_add_f32 v[4:5], v[4:5], v[14:15]
	v_mov_b32_e32 v9, v7
	s_waitcnt lgkmcnt(0)
	v_pk_mul_f32 v[6:7], v[12:13], v[6:7] op_sel_hi:[1,0]
	v_pk_add_f32 v[4:5], v[4:5], v[8:9]
	v_pk_fma_f32 v[8:9], v[12:13], v[122:123], v[6:7] op_sel:[0,0,1] op_sel_hi:[1,1,0] neg_lo:[0,0,1] neg_hi:[0,0,1]
	v_pk_fma_f32 v[6:7], v[12:13], v[122:123], v[6:7] op_sel:[0,0,1] op_sel_hi:[1,0,0]
	v_mov_b32_e32 v9, v7
	v_pk_add_f32 v[4:5], v[4:5], v[8:9]
	v_pk_add_f32 v[4:5], v[20:21], v[4:5] neg_lo:[0,1] neg_hi:[0,1]
	buffer_store_dword v5, off, s[0:3], 0 offset:116
	buffer_store_dword v4, off, s[0:3], 0 offset:112
	s_and_saveexec_b64 s[4:5], vcc
	s_cbranch_execz .LBB35_203
; %bb.202:
	buffer_load_dword v4, off, s[0:3], 0 offset:104
	buffer_load_dword v5, off, s[0:3], 0 offset:108
	s_waitcnt vmcnt(0)
	ds_write_b64 v1, v[4:5]
	buffer_store_dword v2, off, s[0:3], 0 offset:104
	buffer_store_dword v2, off, s[0:3], 0 offset:108
.LBB35_203:
	s_or_b64 exec, exec, s[4:5]
	s_waitcnt lgkmcnt(0)
	; wave barrier
	s_waitcnt lgkmcnt(0)
	buffer_load_dword v3, off, s[0:3], 0 offset:116
	buffer_load_dword v126, off, s[0:3], 0 offset:124
	;; [unrolled: 1-line block ×30, first 2 shown]
	ds_read_b128 v[4:7], v2 offset:400
	ds_read_b128 v[8:11], v2 offset:416
	;; [unrolled: 1-line block ×6, first 2 shown]
	buffer_load_dword v111, off, s[0:3], 0 offset:228
	buffer_load_dword v110, off, s[0:3], 0 offset:224
	ds_read_b128 v[102:105], v2 offset:496
	ds_read_b128 v[106:109], v2 offset:512
	buffer_load_dword v113, off, s[0:3], 0 offset:260
	buffer_load_dword v112, off, s[0:3], 0 offset:256
	;; [unrolled: 1-line block ×14, first 2 shown]
	v_cmp_lt_u32_e32 vcc, 12, v0
	s_waitcnt vmcnt(45) lgkmcnt(7)
	v_mul_f32_e32 v129, v4, v3
	v_mul_f32_e32 v3, v5, v3
	s_waitcnt vmcnt(44)
	v_mul_f32_e32 v131, v6, v126
	s_waitcnt vmcnt(43) lgkmcnt(6)
	v_mul_f32_e32 v156, v8, v128
	s_waitcnt vmcnt(42)
	v_mul_f32_e32 v157, v10, v130
	s_waitcnt vmcnt(41) lgkmcnt(5)
	;; [unrolled: 4-line block ×5, first 2 shown]
	v_mul_f32_e32 v164, v98, v138
	s_waitcnt vmcnt(34)
	v_mul_f32_e32 v165, v100, v139
	s_waitcnt vmcnt(32)
	v_fma_f32 v3, v4, v141, -v3
	v_mul_f32_e32 v4, v7, v126
	v_add_f32_e32 v3, 0, v3
	s_waitcnt vmcnt(31)
	v_fma_f32 v4, v6, v142, -v4
	v_add_f32_e32 v3, v3, v4
	v_mul_f32_e32 v4, v9, v128
	s_waitcnt vmcnt(30)
	v_fma_f32 v4, v8, v143, -v4
	v_add_f32_e32 v3, v3, v4
	v_mul_f32_e32 v4, v11, v130
	;; [unrolled: 4-line block ×5, first 2 shown]
	v_fmac_f32_e32 v129, v5, v141
	s_waitcnt vmcnt(26)
	v_fma_f32 v4, v16, v147, -v4
	v_fmac_f32_e32 v131, v7, v142
	v_add_f32_e32 v129, 0, v129
	v_add_f32_e32 v3, v3, v4
	v_mul_f32_e32 v4, v19, v135
	v_fmac_f32_e32 v156, v9, v143
	v_add_f32_e32 v129, v129, v131
	s_waitcnt vmcnt(25)
	v_fma_f32 v4, v18, v148, -v4
	v_fmac_f32_e32 v157, v11, v144
	v_add_f32_e32 v129, v129, v156
	v_add_f32_e32 v3, v3, v4
	v_mul_f32_e32 v4, v95, v136
	v_fmac_f32_e32 v158, v13, v145
	v_add_f32_e32 v129, v129, v157
	;; [unrolled: 8-line block ×5, first 2 shown]
	s_waitcnt vmcnt(21)
	v_fma_f32 v4, v100, v152, -v4
	s_waitcnt vmcnt(15)
	v_mov_b32_e32 v16, v111
	s_waitcnt lgkmcnt(1)
	v_mul_f32_e32 v127, v102, v140
	v_fmac_f32_e32 v165, v101, v152
	v_add_f32_e32 v129, v129, v164
	v_add_f32_e32 v128, v3, v4
	v_mul_f32_e32 v3, v103, v140
	s_waitcnt lgkmcnt(0)
	v_pk_mul_f32 v[16:17], v[106:107], v[16:17] op_sel_hi:[1,0]
	v_fmac_f32_e32 v127, v103, v153
	v_add_f32_e32 v129, v129, v165
	v_mul_f32_e32 v131, v104, v154
	v_fma_f32 v126, v102, v153, -v3
	v_mul_f32_e32 v3, v105, v154
	s_waitcnt vmcnt(14)
	v_pk_fma_f32 v[18:19], v[106:107], v[110:111], v[16:17] op_sel:[0,0,1] op_sel_hi:[1,1,0] neg_lo:[0,0,1] neg_hi:[0,0,1]
	v_pk_fma_f32 v[16:17], v[106:107], v[110:111], v[16:17] op_sel:[0,0,1] op_sel_hi:[1,0,0]
	v_fmac_f32_e32 v131, v105, v155
	v_fma_f32 v130, v104, v155, -v3
	ds_read_b128 v[4:7], v2 offset:528
	ds_read_b128 v[8:11], v2 offset:544
	ds_read_b128 v[12:15], v2 offset:560
	v_pk_add_f32 v[2:3], v[128:129], v[126:127]
	s_waitcnt vmcnt(7)
	v_mov_b32_e32 v16, v119
	v_pk_add_f32 v[2:3], v[2:3], v[130:131]
	v_mov_b32_e32 v19, v17
	v_pk_mul_f32 v[16:17], v[108:109], v[16:17] op_sel_hi:[1,0]
	v_pk_add_f32 v[2:3], v[2:3], v[18:19]
	s_waitcnt vmcnt(6)
	v_pk_fma_f32 v[18:19], v[108:109], v[118:119], v[16:17] op_sel:[0,0,1] op_sel_hi:[1,1,0] neg_lo:[0,0,1] neg_hi:[0,0,1]
	v_pk_fma_f32 v[16:17], v[108:109], v[118:119], v[16:17] op_sel:[0,0,1] op_sel_hi:[1,0,0]
	v_mov_b32_e32 v16, v117
	v_mov_b32_e32 v19, v17
	s_waitcnt lgkmcnt(2)
	v_pk_mul_f32 v[16:17], v[4:5], v[16:17] op_sel_hi:[1,0]
	v_pk_add_f32 v[2:3], v[2:3], v[18:19]
	v_pk_fma_f32 v[18:19], v[4:5], v[116:117], v[16:17] op_sel:[0,0,1] op_sel_hi:[1,1,0] neg_lo:[0,0,1] neg_hi:[0,0,1]
	v_pk_fma_f32 v[4:5], v[4:5], v[116:117], v[16:17] op_sel:[0,0,1] op_sel_hi:[1,0,0]
	v_mov_b32_e32 v4, v115
	v_mov_b32_e32 v19, v5
	v_pk_mul_f32 v[4:5], v[6:7], v[4:5] op_sel_hi:[1,0]
	v_pk_fma_f32 v[16:17], v[6:7], v[114:115], v[4:5] op_sel:[0,0,1] op_sel_hi:[1,1,0] neg_lo:[0,0,1] neg_hi:[0,0,1]
	v_pk_fma_f32 v[4:5], v[6:7], v[114:115], v[4:5] op_sel:[0,0,1] op_sel_hi:[1,0,0]
	v_mov_b32_e32 v4, v113
	v_mov_b32_e32 v17, v5
	s_waitcnt lgkmcnt(1)
	v_pk_mul_f32 v[4:5], v[8:9], v[4:5] op_sel_hi:[1,0]
	v_pk_fma_f32 v[6:7], v[8:9], v[112:113], v[4:5] op_sel:[0,0,1] op_sel_hi:[1,1,0] neg_lo:[0,0,1] neg_hi:[0,0,1]
	v_pk_fma_f32 v[4:5], v[8:9], v[112:113], v[4:5] op_sel:[0,0,1] op_sel_hi:[1,0,0]
	v_pk_add_f32 v[2:3], v[2:3], v[18:19]
	s_waitcnt vmcnt(1)
	v_mov_b32_e32 v4, v125
	v_pk_add_f32 v[2:3], v[2:3], v[16:17]
	v_mov_b32_e32 v7, v5
	v_pk_mul_f32 v[4:5], v[10:11], v[4:5] op_sel_hi:[1,0]
	v_pk_add_f32 v[2:3], v[2:3], v[6:7]
	s_waitcnt vmcnt(0)
	v_pk_fma_f32 v[6:7], v[10:11], v[124:125], v[4:5] op_sel:[0,0,1] op_sel_hi:[1,1,0] neg_lo:[0,0,1] neg_hi:[0,0,1]
	v_pk_fma_f32 v[4:5], v[10:11], v[124:125], v[4:5] op_sel:[0,0,1] op_sel_hi:[1,0,0]
	v_mov_b32_e32 v4, v123
	v_mov_b32_e32 v7, v5
	s_waitcnt lgkmcnt(0)
	v_pk_mul_f32 v[4:5], v[12:13], v[4:5] op_sel_hi:[1,0]
	v_pk_add_f32 v[2:3], v[2:3], v[6:7]
	v_pk_fma_f32 v[6:7], v[12:13], v[122:123], v[4:5] op_sel:[0,0,1] op_sel_hi:[1,1,0] neg_lo:[0,0,1] neg_hi:[0,0,1]
	v_pk_fma_f32 v[4:5], v[12:13], v[122:123], v[4:5] op_sel:[0,0,1] op_sel_hi:[1,0,0]
	v_mov_b32_e32 v4, v121
	v_mov_b32_e32 v7, v5
	v_pk_mul_f32 v[4:5], v[14:15], v[4:5] op_sel_hi:[1,0]
	v_pk_add_f32 v[2:3], v[2:3], v[6:7]
	v_pk_fma_f32 v[6:7], v[14:15], v[120:121], v[4:5] op_sel:[0,0,1] op_sel_hi:[1,1,0] neg_lo:[0,0,1] neg_hi:[0,0,1]
	v_pk_fma_f32 v[4:5], v[14:15], v[120:121], v[4:5] op_sel:[0,0,1] op_sel_hi:[1,0,0]
	v_mov_b32_e32 v7, v5
	v_pk_add_f32 v[2:3], v[2:3], v[6:7]
	v_pk_add_f32 v[2:3], v[20:21], v[2:3] neg_lo:[0,1] neg_hi:[0,1]
	buffer_store_dword v3, off, s[0:3], 0 offset:108
	buffer_store_dword v2, off, s[0:3], 0 offset:104
	s_and_saveexec_b64 s[4:5], vcc
	s_cbranch_execz .LBB35_205
; %bb.204:
	buffer_load_dword v2, off, s[0:3], 0 offset:96
	buffer_load_dword v3, off, s[0:3], 0 offset:100
	v_mov_b32_e32 v4, 0
	buffer_store_dword v4, off, s[0:3], 0 offset:96
	buffer_store_dword v4, off, s[0:3], 0 offset:100
	s_waitcnt vmcnt(2)
	ds_write_b64 v1, v[2:3]
.LBB35_205:
	s_or_b64 exec, exec, s[4:5]
	s_waitcnt lgkmcnt(0)
	; wave barrier
	s_waitcnt lgkmcnt(0)
	buffer_load_dword v3, off, s[0:3], 0 offset:108
	buffer_load_dword v124, off, s[0:3], 0 offset:116
	;; [unrolled: 1-line block ×32, first 2 shown]
	v_mov_b32_e32 v2, 0
	buffer_load_dword v111, off, s[0:3], 0 offset:252
	buffer_load_dword v110, off, s[0:3], 0 offset:248
	;; [unrolled: 1-line block ×13, first 2 shown]
	ds_read2_b64 v[4:7], v2 offset0:49 offset1:50
	ds_read2_b64 v[8:11], v2 offset0:51 offset1:52
	;; [unrolled: 1-line block ×8, first 2 shown]
	v_cmp_lt_u32_e32 vcc, 11, v0
	s_waitcnt vmcnt(44) lgkmcnt(7)
	v_mul_f32_e32 v118, v4, v3
	s_waitcnt vmcnt(43)
	v_mul_f32_e32 v125, v6, v124
	s_waitcnt vmcnt(42) lgkmcnt(6)
	v_mul_f32_e32 v126, v8, v128
	s_waitcnt vmcnt(41)
	v_mul_f32_e32 v127, v10, v130
	;; [unrolled: 4-line block ×6, first 2 shown]
	s_waitcnt vmcnt(32) lgkmcnt(1)
	v_mul_f32_e32 v164, v102, v140
	s_waitcnt vmcnt(31)
	v_fmac_f32_e32 v118, v5, v141
	s_waitcnt vmcnt(30)
	v_fmac_f32_e32 v125, v7, v142
	v_add_f32_e32 v118, 0, v118
	s_waitcnt vmcnt(29)
	v_fmac_f32_e32 v126, v9, v143
	v_add_f32_e32 v118, v118, v125
	;; [unrolled: 3-line block ×12, first 2 shown]
	v_add_f32_e32 v125, v118, v164
	buffer_load_dword v127, off, s[0:3], 0 offset:268
	buffer_load_dword v126, off, s[0:3], 0 offset:264
	buffer_load_dword v118, off, s[0:3], 0 offset:256
	v_mul_f32_e32 v3, v5, v3
	v_fma_f32 v3, v4, v141, -v3
	v_mul_f32_e32 v4, v7, v124
	v_add_f32_e32 v3, 0, v3
	v_fma_f32 v4, v6, v142, -v4
	v_add_f32_e32 v3, v3, v4
	v_mul_f32_e32 v4, v9, v128
	v_fma_f32 v4, v8, v143, -v4
	v_add_f32_e32 v3, v3, v4
	v_mul_f32_e32 v4, v11, v130
	;; [unrolled: 3-line block ×11, first 2 shown]
	v_fma_f32 v4, v102, v153, -v4
	s_waitcnt vmcnt(9)
	v_mov_b32_e32 v94, v117
	v_mul_f32_e32 v129, v104, v154
	v_add_f32_e32 v124, v3, v4
	v_mul_f32_e32 v3, v105, v154
	s_waitcnt lgkmcnt(0)
	v_pk_mul_f32 v[94:95], v[108:109], v[94:95] op_sel_hi:[1,0]
	v_fmac_f32_e32 v129, v105, v155
	v_mul_f32_e32 v131, v106, v156
	v_fma_f32 v128, v104, v155, -v3
	v_mul_f32_e32 v3, v107, v156
	ds_read2_b64 v[4:7], v2 offset0:65 offset1:66
	ds_read2_b64 v[8:11], v2 offset0:67 offset1:68
	;; [unrolled: 1-line block ×3, first 2 shown]
	ds_read_b64 v[16:17], v2 offset:568
	s_waitcnt vmcnt(8)
	v_pk_fma_f32 v[96:97], v[108:109], v[116:117], v[94:95] op_sel:[0,0,1] op_sel_hi:[1,1,0] neg_lo:[0,0,1] neg_hi:[0,0,1]
	v_pk_fma_f32 v[94:95], v[108:109], v[116:117], v[94:95] op_sel:[0,0,1] op_sel_hi:[1,0,0]
	v_fmac_f32_e32 v131, v107, v157
	v_fma_f32 v130, v106, v157, -v3
	v_pk_add_f32 v[18:19], v[124:125], v[128:129]
	v_mov_b32_e32 v94, v115
	v_pk_add_f32 v[18:19], v[18:19], v[130:131]
	v_mov_b32_e32 v97, v95
	s_waitcnt lgkmcnt(3)
	v_pk_mul_f32 v[94:95], v[4:5], v[94:95] op_sel_hi:[1,0]
	v_pk_add_f32 v[18:19], v[18:19], v[96:97]
	v_pk_fma_f32 v[96:97], v[4:5], v[114:115], v[94:95] op_sel:[0,0,1] op_sel_hi:[1,1,0] neg_lo:[0,0,1] neg_hi:[0,0,1]
	v_pk_fma_f32 v[4:5], v[4:5], v[114:115], v[94:95] op_sel:[0,0,1] op_sel_hi:[1,0,0]
	v_mov_b32_e32 v97, v5
	v_pk_add_f32 v[4:5], v[18:19], v[96:97]
	v_mov_b32_e32 v18, v113
	v_pk_mul_f32 v[18:19], v[6:7], v[18:19] op_sel_hi:[1,0]
	v_pk_fma_f32 v[94:95], v[6:7], v[112:113], v[18:19] op_sel:[0,0,1] op_sel_hi:[1,1,0] neg_lo:[0,0,1] neg_hi:[0,0,1]
	v_pk_fma_f32 v[6:7], v[6:7], v[112:113], v[18:19] op_sel:[0,0,1] op_sel_hi:[1,0,0]
	v_mov_b32_e32 v6, v111
	v_mov_b32_e32 v95, v7
	s_waitcnt lgkmcnt(2)
	v_pk_mul_f32 v[6:7], v[8:9], v[6:7] op_sel_hi:[1,0]
	v_pk_fma_f32 v[18:19], v[8:9], v[110:111], v[6:7] op_sel:[0,0,1] op_sel_hi:[1,1,0] neg_lo:[0,0,1] neg_hi:[0,0,1]
	v_pk_fma_f32 v[6:7], v[8:9], v[110:111], v[6:7] op_sel:[0,0,1] op_sel_hi:[1,0,0]
	s_waitcnt vmcnt(7)
	v_mov_b32_e32 v6, v119
	v_mov_b32_e32 v19, v7
	v_pk_mul_f32 v[6:7], v[10:11], v[6:7] op_sel_hi:[1,0]
	v_pk_add_f32 v[4:5], v[4:5], v[94:95]
	v_pk_add_f32 v[4:5], v[4:5], v[18:19]
	s_waitcnt vmcnt(0)
	v_pk_fma_f32 v[8:9], v[10:11], v[118:119], v[6:7] op_sel:[0,0,1] op_sel_hi:[1,1,0] neg_lo:[0,0,1] neg_hi:[0,0,1]
	v_pk_fma_f32 v[6:7], v[10:11], v[118:119], v[6:7] op_sel:[0,0,1] op_sel_hi:[1,0,0]
	v_mov_b32_e32 v6, v127
	v_mov_b32_e32 v9, v7
	s_waitcnt lgkmcnt(1)
	v_pk_mul_f32 v[6:7], v[12:13], v[6:7] op_sel_hi:[1,0]
	v_pk_add_f32 v[4:5], v[4:5], v[8:9]
	v_pk_fma_f32 v[8:9], v[12:13], v[126:127], v[6:7] op_sel:[0,0,1] op_sel_hi:[1,1,0] neg_lo:[0,0,1] neg_hi:[0,0,1]
	v_pk_fma_f32 v[6:7], v[12:13], v[126:127], v[6:7] op_sel:[0,0,1] op_sel_hi:[1,0,0]
	v_mov_b32_e32 v6, v123
	v_mov_b32_e32 v9, v7
	v_pk_mul_f32 v[6:7], v[14:15], v[6:7] op_sel_hi:[1,0]
	v_pk_add_f32 v[4:5], v[4:5], v[8:9]
	v_pk_fma_f32 v[8:9], v[14:15], v[122:123], v[6:7] op_sel:[0,0,1] op_sel_hi:[1,1,0] neg_lo:[0,0,1] neg_hi:[0,0,1]
	v_pk_fma_f32 v[6:7], v[14:15], v[122:123], v[6:7] op_sel:[0,0,1] op_sel_hi:[1,0,0]
	v_mov_b32_e32 v6, v121
	v_mov_b32_e32 v9, v7
	s_waitcnt lgkmcnt(0)
	v_pk_mul_f32 v[6:7], v[16:17], v[6:7] op_sel_hi:[1,0]
	v_pk_add_f32 v[4:5], v[4:5], v[8:9]
	v_pk_fma_f32 v[8:9], v[16:17], v[120:121], v[6:7] op_sel:[0,0,1] op_sel_hi:[1,1,0] neg_lo:[0,0,1] neg_hi:[0,0,1]
	v_pk_fma_f32 v[6:7], v[16:17], v[120:121], v[6:7] op_sel:[0,0,1] op_sel_hi:[1,0,0]
	v_mov_b32_e32 v9, v7
	v_pk_add_f32 v[4:5], v[4:5], v[8:9]
	v_pk_add_f32 v[4:5], v[20:21], v[4:5] neg_lo:[0,1] neg_hi:[0,1]
	buffer_store_dword v5, off, s[0:3], 0 offset:100
	buffer_store_dword v4, off, s[0:3], 0 offset:96
	s_and_saveexec_b64 s[4:5], vcc
	s_cbranch_execz .LBB35_207
; %bb.206:
	buffer_load_dword v4, off, s[0:3], 0 offset:88
	buffer_load_dword v5, off, s[0:3], 0 offset:92
	s_waitcnt vmcnt(0)
	ds_write_b64 v1, v[4:5]
	buffer_store_dword v2, off, s[0:3], 0 offset:88
	buffer_store_dword v2, off, s[0:3], 0 offset:92
.LBB35_207:
	s_or_b64 exec, exec, s[4:5]
	s_waitcnt lgkmcnt(0)
	; wave barrier
	s_waitcnt lgkmcnt(0)
	buffer_load_dword v3, off, s[0:3], 0 offset:100
	buffer_load_dword v124, off, s[0:3], 0 offset:108
	;; [unrolled: 1-line block ×34, first 2 shown]
	ds_read_b128 v[4:7], v2 offset:384
	ds_read_b128 v[8:11], v2 offset:400
	;; [unrolled: 1-line block ×8, first 2 shown]
	buffer_load_dword v111, off, s[0:3], 0 offset:244
	buffer_load_dword v110, off, s[0:3], 0 offset:240
	;; [unrolled: 1-line block ×9, first 2 shown]
	v_cmp_lt_u32_e32 vcc, 10, v0
	s_waitcnt vmcnt(42) lgkmcnt(7)
	v_mul_f32_e32 v116, v4, v3
	s_waitcnt vmcnt(41)
	v_mul_f32_e32 v120, v6, v124
	s_waitcnt vmcnt(40) lgkmcnt(6)
	v_mul_f32_e32 v121, v8, v126
	s_waitcnt vmcnt(39)
	v_mul_f32_e32 v122, v10, v128
	;; [unrolled: 4-line block ×6, first 2 shown]
	s_waitcnt vmcnt(30) lgkmcnt(1)
	v_mul_f32_e32 v162, v102, v140
	v_mul_f32_e32 v3, v5, v3
	s_waitcnt vmcnt(28)
	v_fmac_f32_e32 v116, v5, v142
	s_waitcnt vmcnt(27)
	v_fmac_f32_e32 v120, v7, v143
	v_add_f32_e32 v116, 0, v116
	s_waitcnt vmcnt(26)
	v_fmac_f32_e32 v121, v9, v144
	v_add_f32_e32 v116, v116, v120
	;; [unrolled: 3-line block ×12, first 2 shown]
	v_add_f32_e32 v125, v116, v162
	buffer_load_dword v121, off, s[0:3], 0 offset:268
	buffer_load_dword v120, off, s[0:3], 0 offset:264
	;; [unrolled: 1-line block ×7, first 2 shown]
	v_fma_f32 v3, v4, v142, -v3
	v_mul_f32_e32 v4, v7, v124
	v_add_f32_e32 v3, 0, v3
	v_fma_f32 v4, v6, v143, -v4
	v_add_f32_e32 v3, v3, v4
	v_mul_f32_e32 v4, v9, v126
	v_fma_f32 v4, v8, v144, -v4
	v_add_f32_e32 v3, v3, v4
	v_mul_f32_e32 v4, v11, v128
	v_fma_f32 v4, v10, v145, -v4
	v_add_f32_e32 v3, v3, v4
	v_mul_f32_e32 v4, v13, v132
	v_fma_f32 v4, v12, v146, -v4
	v_add_f32_e32 v3, v3, v4
	v_mul_f32_e32 v4, v15, v133
	v_fma_f32 v4, v14, v147, -v4
	v_add_f32_e32 v3, v3, v4
	v_mul_f32_e32 v4, v17, v134
	v_fma_f32 v4, v16, v148, -v4
	v_add_f32_e32 v3, v3, v4
	v_mul_f32_e32 v4, v19, v135
	v_fma_f32 v4, v18, v149, -v4
	v_add_f32_e32 v3, v3, v4
	v_mul_f32_e32 v4, v95, v136
	v_fma_f32 v4, v94, v150, -v4
	v_add_f32_e32 v3, v3, v4
	v_mul_f32_e32 v4, v97, v137
	v_fma_f32 v4, v96, v151, -v4
	v_add_f32_e32 v3, v3, v4
	v_mul_f32_e32 v4, v99, v138
	v_fma_f32 v4, v98, v152, -v4
	v_add_f32_e32 v3, v3, v4
	v_mul_f32_e32 v4, v101, v139
	v_fma_f32 v4, v100, v153, -v4
	v_add_f32_e32 v3, v3, v4
	v_mul_f32_e32 v4, v103, v140
	v_fma_f32 v4, v102, v154, -v4
	v_add_f32_e32 v3, v3, v4
	v_mul_f32_e32 v4, v105, v141
	s_waitcnt vmcnt(22)
	v_fma_f32 v4, v104, v155, -v4
	v_add_f32_e32 v124, v3, v4
	ds_read_b128 v[4:7], v2 offset:512
	ds_read_b128 v[8:11], v2 offset:528
	ds_read_b128 v[12:15], v2 offset:544
	ds_read_b128 v[16:19], v2 offset:560
	s_waitcnt vmcnt(11)
	v_mov_b32_e32 v94, v115
	s_waitcnt lgkmcnt(3)
	v_pk_mul_f32 v[94:95], v[4:5], v[94:95] op_sel_hi:[1,0]
	s_waitcnt vmcnt(10)
	v_pk_fma_f32 v[96:97], v[4:5], v[114:115], v[94:95] op_sel:[0,0,1] op_sel_hi:[1,1,0] neg_lo:[0,0,1] neg_hi:[0,0,1]
	v_pk_fma_f32 v[4:5], v[4:5], v[114:115], v[94:95] op_sel:[0,0,1] op_sel_hi:[1,0,0]
	v_mov_b32_e32 v4, v113
	v_mul_f32_e32 v163, v104, v141
	v_mov_b32_e32 v97, v5
	v_pk_mul_f32 v[4:5], v[6:7], v[4:5] op_sel_hi:[1,0]
	v_fmac_f32_e32 v163, v105, v155
	v_mul_f32_e32 v127, v106, v156
	v_mul_f32_e32 v3, v107, v156
	v_pk_fma_f32 v[94:95], v[6:7], v[112:113], v[4:5] op_sel:[0,0,1] op_sel_hi:[1,1,0] neg_lo:[0,0,1] neg_hi:[0,0,1]
	v_pk_fma_f32 v[4:5], v[6:7], v[112:113], v[4:5] op_sel:[0,0,1] op_sel_hi:[1,0,0]
	v_add_f32_e32 v125, v125, v163
	v_fmac_f32_e32 v127, v107, v157
	v_mul_f32_e32 v129, v108, v158
	v_fma_f32 v126, v106, v157, -v3
	v_mul_f32_e32 v3, v109, v158
	v_mov_b32_e32 v4, v111
	v_fmac_f32_e32 v129, v109, v159
	v_fma_f32 v128, v108, v159, -v3
	v_pk_add_f32 v[2:3], v[124:125], v[126:127]
	v_mov_b32_e32 v95, v5
	s_waitcnt lgkmcnt(2)
	v_pk_mul_f32 v[4:5], v[8:9], v[4:5] op_sel_hi:[1,0]
	v_pk_add_f32 v[2:3], v[2:3], v[128:129]
	v_pk_fma_f32 v[6:7], v[8:9], v[110:111], v[4:5] op_sel:[0,0,1] op_sel_hi:[1,1,0] neg_lo:[0,0,1] neg_hi:[0,0,1]
	v_pk_fma_f32 v[4:5], v[8:9], v[110:111], v[4:5] op_sel:[0,0,1] op_sel_hi:[1,0,0]
	v_pk_add_f32 v[2:3], v[2:3], v[96:97]
	s_waitcnt vmcnt(9)
	v_mov_b32_e32 v4, v117
	v_pk_add_f32 v[2:3], v[2:3], v[94:95]
	v_mov_b32_e32 v7, v5
	v_pk_mul_f32 v[4:5], v[10:11], v[4:5] op_sel_hi:[1,0]
	v_pk_add_f32 v[2:3], v[2:3], v[6:7]
	s_waitcnt vmcnt(2)
	v_pk_fma_f32 v[6:7], v[10:11], v[116:117], v[4:5] op_sel:[0,0,1] op_sel_hi:[1,1,0] neg_lo:[0,0,1] neg_hi:[0,0,1]
	v_pk_fma_f32 v[4:5], v[10:11], v[116:117], v[4:5] op_sel:[0,0,1] op_sel_hi:[1,0,0]
	v_mov_b32_e32 v4, v123
	v_mov_b32_e32 v7, v5
	s_waitcnt lgkmcnt(1)
	v_pk_mul_f32 v[4:5], v[12:13], v[4:5] op_sel_hi:[1,0]
	v_pk_add_f32 v[2:3], v[2:3], v[6:7]
	v_pk_fma_f32 v[6:7], v[12:13], v[122:123], v[4:5] op_sel:[0,0,1] op_sel_hi:[1,1,0] neg_lo:[0,0,1] neg_hi:[0,0,1]
	v_pk_fma_f32 v[4:5], v[12:13], v[122:123], v[4:5] op_sel:[0,0,1] op_sel_hi:[1,0,0]
	v_mov_b32_e32 v4, v121
	v_mov_b32_e32 v7, v5
	v_pk_mul_f32 v[4:5], v[14:15], v[4:5] op_sel_hi:[1,0]
	v_pk_add_f32 v[2:3], v[2:3], v[6:7]
	v_pk_fma_f32 v[6:7], v[14:15], v[120:121], v[4:5] op_sel:[0,0,1] op_sel_hi:[1,1,0] neg_lo:[0,0,1] neg_hi:[0,0,1]
	v_pk_fma_f32 v[4:5], v[14:15], v[120:121], v[4:5] op_sel:[0,0,1] op_sel_hi:[1,0,0]
	v_mov_b32_e32 v4, v119
	v_mov_b32_e32 v7, v5
	s_waitcnt lgkmcnt(0)
	v_pk_mul_f32 v[4:5], v[16:17], v[4:5] op_sel_hi:[1,0]
	v_pk_add_f32 v[2:3], v[2:3], v[6:7]
	v_pk_fma_f32 v[6:7], v[16:17], v[118:119], v[4:5] op_sel:[0,0,1] op_sel_hi:[1,1,0] neg_lo:[0,0,1] neg_hi:[0,0,1]
	v_pk_fma_f32 v[4:5], v[16:17], v[118:119], v[4:5] op_sel:[0,0,1] op_sel_hi:[1,0,0]
	s_waitcnt vmcnt(1)
	v_mov_b32_e32 v4, v131
	v_mov_b32_e32 v7, v5
	v_pk_mul_f32 v[4:5], v[18:19], v[4:5] op_sel_hi:[1,0]
	v_pk_add_f32 v[2:3], v[2:3], v[6:7]
	s_waitcnt vmcnt(0)
	v_pk_fma_f32 v[6:7], v[18:19], v[130:131], v[4:5] op_sel:[0,0,1] op_sel_hi:[1,1,0] neg_lo:[0,0,1] neg_hi:[0,0,1]
	v_pk_fma_f32 v[4:5], v[18:19], v[130:131], v[4:5] op_sel:[0,0,1] op_sel_hi:[1,0,0]
	v_mov_b32_e32 v7, v5
	v_pk_add_f32 v[2:3], v[2:3], v[6:7]
	v_pk_add_f32 v[2:3], v[20:21], v[2:3] neg_lo:[0,1] neg_hi:[0,1]
	buffer_store_dword v3, off, s[0:3], 0 offset:92
	buffer_store_dword v2, off, s[0:3], 0 offset:88
	s_and_saveexec_b64 s[4:5], vcc
	s_cbranch_execz .LBB35_209
; %bb.208:
	buffer_load_dword v2, off, s[0:3], 0 offset:80
	buffer_load_dword v3, off, s[0:3], 0 offset:84
	v_mov_b32_e32 v4, 0
	buffer_store_dword v4, off, s[0:3], 0 offset:80
	buffer_store_dword v4, off, s[0:3], 0 offset:84
	s_waitcnt vmcnt(2)
	ds_write_b64 v1, v[2:3]
.LBB35_209:
	s_or_b64 exec, exec, s[4:5]
	v_mov_b32_e32 v114, 0
	s_waitcnt lgkmcnt(0)
	; wave barrier
	s_waitcnt lgkmcnt(0)
	ds_read2_b64 v[6:9], v114 offset0:47 offset1:48
	buffer_load_dword v94, off, s[0:3], 0 offset:80
	buffer_load_dword v95, off, s[0:3], 0 offset:84
	;; [unrolled: 1-line block ×16, first 2 shown]
	ds_read2_b64 v[10:13], v114 offset0:49 offset1:50
	ds_read2_b64 v[14:17], v114 offset0:51 offset1:52
	;; [unrolled: 1-line block ×3, first 2 shown]
	buffer_load_dword v146, off, s[0:3], 0 offset:144
	buffer_load_dword v147, off, s[0:3], 0 offset:148
	ds_read2_b64 v[116:119], v114 offset0:55 offset1:56
	buffer_load_dword v148, off, s[0:3], 0 offset:152
	buffer_load_dword v149, off, s[0:3], 0 offset:156
	buffer_load_dword v150, off, s[0:3], 0 offset:160
	buffer_load_dword v151, off, s[0:3], 0 offset:164
	ds_read2_b64 v[120:123], v114 offset0:57 offset1:58
	buffer_load_dword v152, off, s[0:3], 0 offset:168
	buffer_load_dword v153, off, s[0:3], 0 offset:172
	;; [unrolled: 5-line block ×4, first 2 shown]
	buffer_load_dword v162, off, s[0:3], 0 offset:208
	buffer_load_dword v163, off, s[0:3], 0 offset:212
	v_cmp_lt_u32_e32 vcc, 9, v0
	s_waitcnt vmcnt(30) lgkmcnt(7)
	v_mul_f32_e32 v2, v6, v100
	v_fmac_f32_e32 v2, v7, v96
	s_waitcnt vmcnt(28)
	v_mul_f32_e32 v3, v8, v115
	v_add_f32_e32 v2, 0, v2
	v_fmac_f32_e32 v3, v9, v108
	v_add_f32_e32 v2, v2, v3
	s_waitcnt vmcnt(26) lgkmcnt(6)
	v_mul_f32_e32 v3, v10, v137
	v_fmac_f32_e32 v3, v11, v136
	v_add_f32_e32 v2, v2, v3
	s_waitcnt vmcnt(24)
	v_mul_f32_e32 v3, v12, v139
	v_fmac_f32_e32 v3, v13, v138
	v_add_f32_e32 v2, v2, v3
	s_waitcnt vmcnt(22) lgkmcnt(5)
	v_mul_f32_e32 v3, v14, v141
	v_fmac_f32_e32 v3, v15, v140
	v_add_f32_e32 v2, v2, v3
	s_waitcnt vmcnt(20)
	v_mul_f32_e32 v3, v16, v143
	;; [unrolled: 8-line block ×6, first 2 shown]
	v_fmac_f32_e32 v3, v127, v158
	v_add_f32_e32 v2, v2, v3
	s_waitcnt vmcnt(2) lgkmcnt(0)
	v_mul_f32_e32 v3, v128, v161
	v_fmac_f32_e32 v3, v129, v160
	v_add_f32_e32 v97, v2, v3
	ds_read2_b64 v[2:5], v114 offset0:63 offset1:64
	buffer_load_dword v164, off, s[0:3], 0 offset:216
	buffer_load_dword v165, off, s[0:3], 0 offset:220
	;; [unrolled: 1-line block ×18, first 2 shown]
	v_mul_f32_e32 v7, v7, v100
	v_fma_f32 v6, v6, v96, -v7
	v_mul_f32_e32 v7, v9, v115
	v_add_f32_e32 v6, 0, v6
	v_fma_f32 v7, v8, v108, -v7
	v_add_f32_e32 v6, v6, v7
	v_mul_f32_e32 v7, v11, v137
	v_fma_f32 v7, v10, v136, -v7
	v_add_f32_e32 v6, v6, v7
	v_mul_f32_e32 v7, v13, v139
	;; [unrolled: 3-line block ×13, first 2 shown]
	v_fma_f32 v7, v128, v160, -v7
	s_waitcnt vmcnt(18)
	v_mul_f32_e32 v101, v130, v163
	v_add_f32_e32 v96, v6, v7
	v_mul_f32_e32 v6, v131, v163
	v_fmac_f32_e32 v101, v131, v162
	v_fma_f32 v100, v130, v162, -v6
	v_pk_add_f32 v[18:19], v[96:97], v[100:101]
	s_waitcnt vmcnt(15)
	v_mov_b32_e32 v20, v105
	s_waitcnt lgkmcnt(0)
	v_pk_mul_f32 v[20:21], v[4:5], v[20:21] op_sel_hi:[1,0]
	s_waitcnt vmcnt(14)
	v_pk_fma_f32 v[96:97], v[4:5], v[104:105], v[20:21] op_sel:[0,0,1] op_sel_hi:[1,1,0] neg_lo:[0,0,1] neg_hi:[0,0,1]
	v_pk_fma_f32 v[4:5], v[4:5], v[104:105], v[20:21] op_sel:[0,0,1] op_sel_hi:[1,0,0]
	v_mov_b32_e32 v97, v5
	v_mul_f32_e32 v109, v2, v165
	v_fmac_f32_e32 v109, v3, v164
	v_mul_f32_e32 v3, v3, v165
	v_fma_f32 v108, v2, v164, -v3
	ds_read2_b64 v[6:9], v114 offset0:65 offset1:66
	ds_read2_b64 v[10:13], v114 offset0:67 offset1:68
	;; [unrolled: 1-line block ×3, first 2 shown]
	ds_read_b64 v[2:3], v114 offset:568
	v_pk_add_f32 v[18:19], v[18:19], v[108:109]
	v_pk_add_f32 v[4:5], v[18:19], v[96:97]
	s_waitcnt vmcnt(13)
	v_mov_b32_e32 v18, v111
	s_waitcnt lgkmcnt(3)
	v_pk_mul_f32 v[18:19], v[6:7], v[18:19] op_sel_hi:[1,0]
	s_waitcnt vmcnt(12)
	v_pk_fma_f32 v[20:21], v[6:7], v[110:111], v[18:19] op_sel:[0,0,1] op_sel_hi:[1,1,0] neg_lo:[0,0,1] neg_hi:[0,0,1]
	v_pk_fma_f32 v[6:7], v[6:7], v[110:111], v[18:19] op_sel:[0,0,1] op_sel_hi:[1,0,0]
	s_waitcnt vmcnt(11)
	v_mov_b32_e32 v6, v107
	v_mov_b32_e32 v21, v7
	v_pk_mul_f32 v[6:7], v[8:9], v[6:7] op_sel_hi:[1,0]
	s_waitcnt vmcnt(10)
	v_pk_fma_f32 v[18:19], v[8:9], v[106:107], v[6:7] op_sel:[0,0,1] op_sel_hi:[1,1,0] neg_lo:[0,0,1] neg_hi:[0,0,1]
	v_pk_fma_f32 v[6:7], v[8:9], v[106:107], v[6:7] op_sel:[0,0,1] op_sel_hi:[1,0,0]
	s_waitcnt vmcnt(9)
	v_mov_b32_e32 v6, v103
	v_mov_b32_e32 v19, v7
	s_waitcnt lgkmcnt(2)
	v_pk_mul_f32 v[6:7], v[10:11], v[6:7] op_sel_hi:[1,0]
	s_waitcnt vmcnt(8)
	v_pk_fma_f32 v[8:9], v[10:11], v[102:103], v[6:7] op_sel:[0,0,1] op_sel_hi:[1,1,0] neg_lo:[0,0,1] neg_hi:[0,0,1]
	v_pk_fma_f32 v[6:7], v[10:11], v[102:103], v[6:7] op_sel:[0,0,1] op_sel_hi:[1,0,0]
	v_pk_add_f32 v[4:5], v[4:5], v[20:21]
	s_waitcnt vmcnt(7)
	v_mov_b32_e32 v6, v99
	v_pk_add_f32 v[4:5], v[4:5], v[18:19]
	v_mov_b32_e32 v9, v7
	v_pk_mul_f32 v[6:7], v[12:13], v[6:7] op_sel_hi:[1,0]
	v_pk_add_f32 v[4:5], v[4:5], v[8:9]
	s_waitcnt vmcnt(6)
	v_pk_fma_f32 v[8:9], v[12:13], v[98:99], v[6:7] op_sel:[0,0,1] op_sel_hi:[1,1,0] neg_lo:[0,0,1] neg_hi:[0,0,1]
	v_pk_fma_f32 v[6:7], v[12:13], v[98:99], v[6:7] op_sel:[0,0,1] op_sel_hi:[1,0,0]
	s_waitcnt vmcnt(5)
	v_mov_b32_e32 v6, v133
	v_mov_b32_e32 v9, v7
	s_waitcnt lgkmcnt(1)
	v_pk_mul_f32 v[6:7], v[14:15], v[6:7] op_sel_hi:[1,0]
	v_pk_add_f32 v[4:5], v[4:5], v[8:9]
	s_waitcnt vmcnt(4)
	v_pk_fma_f32 v[8:9], v[14:15], v[132:133], v[6:7] op_sel:[0,0,1] op_sel_hi:[1,1,0] neg_lo:[0,0,1] neg_hi:[0,0,1]
	v_pk_fma_f32 v[6:7], v[14:15], v[132:133], v[6:7] op_sel:[0,0,1] op_sel_hi:[1,0,0]
	s_waitcnt vmcnt(3)
	v_mov_b32_e32 v6, v135
	v_mov_b32_e32 v9, v7
	v_pk_mul_f32 v[6:7], v[16:17], v[6:7] op_sel_hi:[1,0]
	v_pk_add_f32 v[4:5], v[4:5], v[8:9]
	s_waitcnt vmcnt(2)
	v_pk_fma_f32 v[8:9], v[16:17], v[134:135], v[6:7] op_sel:[0,0,1] op_sel_hi:[1,1,0] neg_lo:[0,0,1] neg_hi:[0,0,1]
	v_pk_fma_f32 v[6:7], v[16:17], v[134:135], v[6:7] op_sel:[0,0,1] op_sel_hi:[1,0,0]
	s_waitcnt vmcnt(1)
	v_mov_b32_e32 v6, v113
	v_mov_b32_e32 v9, v7
	s_waitcnt lgkmcnt(0)
	v_pk_mul_f32 v[6:7], v[2:3], v[6:7] op_sel_hi:[1,0]
	v_pk_add_f32 v[4:5], v[4:5], v[8:9]
	s_waitcnt vmcnt(0)
	v_pk_fma_f32 v[8:9], v[2:3], v[112:113], v[6:7] op_sel:[0,0,1] op_sel_hi:[1,1,0] neg_lo:[0,0,1] neg_hi:[0,0,1]
	v_pk_fma_f32 v[2:3], v[2:3], v[112:113], v[6:7] op_sel:[0,0,1] op_sel_hi:[1,0,0]
	v_mov_b32_e32 v9, v3
	v_pk_add_f32 v[2:3], v[4:5], v[8:9]
	v_pk_add_f32 v[2:3], v[94:95], v[2:3] neg_lo:[0,1] neg_hi:[0,1]
	buffer_store_dword v3, off, s[0:3], 0 offset:84
	buffer_store_dword v2, off, s[0:3], 0 offset:80
	s_and_saveexec_b64 s[4:5], vcc
	s_cbranch_execz .LBB35_211
; %bb.210:
	buffer_load_dword v2, off, s[0:3], 0 offset:72
	buffer_load_dword v3, off, s[0:3], 0 offset:76
	s_waitcnt vmcnt(0)
	ds_write_b64 v1, v[2:3]
	buffer_store_dword v114, off, s[0:3], 0 offset:72
	buffer_store_dword v114, off, s[0:3], 0 offset:76
.LBB35_211:
	s_or_b64 exec, exec, s[4:5]
	s_waitcnt lgkmcnt(0)
	; wave barrier
	s_waitcnt lgkmcnt(0)
	buffer_load_dword v115, off, s[0:3], 0 offset:84
	buffer_load_dword v128, off, s[0:3], 0 offset:92
	;; [unrolled: 1-line block ×38, first 2 shown]
	ds_read_b128 v[2:5], v114 offset:368
	ds_read_b128 v[6:9], v114 offset:384
	;; [unrolled: 1-line block ×8, first 2 shown]
	buffer_load_dword v119, off, s[0:3], 0 offset:228
	buffer_load_dword v118, off, s[0:3], 0 offset:224
	;; [unrolled: 1-line block ×4, first 2 shown]
	v_cmp_lt_u32_e32 vcc, 8, v0
	s_waitcnt vmcnt(41) lgkmcnt(7)
	v_mul_f32_e32 v106, v2, v115
	s_waitcnt vmcnt(40)
	v_mul_f32_e32 v107, v4, v128
	s_waitcnt vmcnt(39) lgkmcnt(6)
	v_mul_f32_e32 v108, v6, v130
	s_waitcnt vmcnt(38)
	v_mul_f32_e32 v109, v8, v132
	;; [unrolled: 4-line block ×7, first 2 shown]
	s_waitcnt vmcnt(27) lgkmcnt(0)
	v_mul_f32_e32 v129, v102, v150
	s_waitcnt vmcnt(26)
	v_fmac_f32_e32 v106, v3, v151
	s_waitcnt vmcnt(25)
	v_fmac_f32_e32 v107, v5, v152
	v_add_f32_e32 v106, 0, v106
	s_waitcnt vmcnt(24)
	v_fmac_f32_e32 v108, v7, v153
	v_add_f32_e32 v106, v106, v107
	;; [unrolled: 3-line block ×13, first 2 shown]
	v_add_f32_e32 v106, v106, v127
	buffer_load_dword v123, off, s[0:3], 0 offset:252
	buffer_load_dword v122, off, s[0:3], 0 offset:248
	;; [unrolled: 1-line block ×6, first 2 shown]
	s_waitcnt vmcnt(18)
	v_fmac_f32_e32 v129, v103, v165
	s_waitcnt vmcnt(17)
	v_mul_f32_e32 v111, v104, v166
	v_add_f32_e32 v110, v106, v129
	s_waitcnt vmcnt(16)
	v_fmac_f32_e32 v111, v105, v167
	ds_read_b128 v[106:109], v114 offset:496
	v_add_f32_e32 v129, v110, v111
	ds_read_b128 v[110:113], v114 offset:512
	buffer_load_dword v135, off, s[0:3], 0 offset:284
	buffer_load_dword v134, off, s[0:3], 0 offset:280
	;; [unrolled: 1-line block ×6, first 2 shown]
	v_mul_f32_e32 v3, v3, v115
	v_fma_f32 v2, v2, v151, -v3
	v_mul_f32_e32 v3, v5, v128
	v_add_f32_e32 v2, 0, v2
	v_fma_f32 v3, v4, v152, -v3
	v_add_f32_e32 v2, v2, v3
	v_mul_f32_e32 v3, v7, v130
	v_fma_f32 v3, v6, v153, -v3
	v_add_f32_e32 v2, v2, v3
	v_mul_f32_e32 v3, v9, v132
	;; [unrolled: 3-line block ×14, first 2 shown]
	v_fma_f32 v3, v104, v167, -v3
	s_waitcnt vmcnt(15)
	v_mov_b32_e32 v16, v119
	s_waitcnt lgkmcnt(1)
	v_mul_f32_e32 v131, v106, v168
	v_add_f32_e32 v128, v2, v3
	v_mul_f32_e32 v2, v107, v168
	s_waitcnt lgkmcnt(0)
	v_pk_mul_f32 v[16:17], v[110:111], v[16:17] op_sel_hi:[1,0]
	v_fmac_f32_e32 v131, v107, v169
	v_mul_f32_e32 v133, v108, v170
	v_fma_f32 v130, v106, v169, -v2
	v_mul_f32_e32 v2, v109, v170
	s_waitcnt vmcnt(14)
	v_pk_fma_f32 v[18:19], v[110:111], v[118:119], v[16:17] op_sel:[0,0,1] op_sel_hi:[1,1,0] neg_lo:[0,0,1] neg_hi:[0,0,1]
	v_pk_fma_f32 v[16:17], v[110:111], v[118:119], v[16:17] op_sel:[0,0,1] op_sel_hi:[1,0,0]
	v_fmac_f32_e32 v133, v109, v171
	v_fma_f32 v132, v108, v171, -v2
	v_pk_add_f32 v[14:15], v[128:129], v[130:131]
	ds_read_b128 v[2:5], v114 offset:528
	ds_read_b128 v[6:9], v114 offset:544
	;; [unrolled: 1-line block ×3, first 2 shown]
	v_pk_add_f32 v[14:15], v[14:15], v[132:133]
	v_mov_b32_e32 v19, v17
	v_pk_add_f32 v[14:15], v[14:15], v[18:19]
	s_waitcnt vmcnt(7)
	v_mov_b32_e32 v16, v127
	v_pk_mul_f32 v[16:17], v[112:113], v[16:17] op_sel_hi:[1,0]
	s_waitcnt vmcnt(6)
	v_pk_fma_f32 v[18:19], v[112:113], v[126:127], v[16:17] op_sel:[0,0,1] op_sel_hi:[1,1,0] neg_lo:[0,0,1] neg_hi:[0,0,1]
	v_pk_fma_f32 v[16:17], v[112:113], v[126:127], v[16:17] op_sel:[0,0,1] op_sel_hi:[1,0,0]
	v_mov_b32_e32 v16, v125
	v_mov_b32_e32 v19, v17
	s_waitcnt lgkmcnt(2)
	v_pk_mul_f32 v[16:17], v[2:3], v[16:17] op_sel_hi:[1,0]
	v_pk_add_f32 v[14:15], v[14:15], v[18:19]
	v_pk_fma_f32 v[18:19], v[2:3], v[124:125], v[16:17] op_sel:[0,0,1] op_sel_hi:[1,1,0] neg_lo:[0,0,1] neg_hi:[0,0,1]
	v_pk_fma_f32 v[2:3], v[2:3], v[124:125], v[16:17] op_sel:[0,0,1] op_sel_hi:[1,0,0]
	v_mov_b32_e32 v19, v3
	v_pk_add_f32 v[2:3], v[14:15], v[18:19]
	v_mov_b32_e32 v14, v123
	v_pk_mul_f32 v[14:15], v[4:5], v[14:15] op_sel_hi:[1,0]
	v_pk_fma_f32 v[16:17], v[4:5], v[122:123], v[14:15] op_sel:[0,0,1] op_sel_hi:[1,1,0] neg_lo:[0,0,1] neg_hi:[0,0,1]
	v_pk_fma_f32 v[4:5], v[4:5], v[122:123], v[14:15] op_sel:[0,0,1] op_sel_hi:[1,0,0]
	v_mov_b32_e32 v4, v121
	v_mov_b32_e32 v17, v5
	s_waitcnt lgkmcnt(1)
	v_pk_mul_f32 v[4:5], v[6:7], v[4:5] op_sel_hi:[1,0]
	v_pk_fma_f32 v[14:15], v[6:7], v[120:121], v[4:5] op_sel:[0,0,1] op_sel_hi:[1,1,0] neg_lo:[0,0,1] neg_hi:[0,0,1]
	v_pk_fma_f32 v[4:5], v[6:7], v[120:121], v[4:5] op_sel:[0,0,1] op_sel_hi:[1,0,0]
	s_waitcnt vmcnt(1)
	v_mov_b32_e32 v4, v139
	v_mov_b32_e32 v15, v5
	v_pk_mul_f32 v[4:5], v[8:9], v[4:5] op_sel_hi:[1,0]
	s_waitcnt vmcnt(0)
	v_pk_fma_f32 v[6:7], v[8:9], v[138:139], v[4:5] op_sel:[0,0,1] op_sel_hi:[1,1,0] neg_lo:[0,0,1] neg_hi:[0,0,1]
	v_pk_fma_f32 v[4:5], v[8:9], v[138:139], v[4:5] op_sel:[0,0,1] op_sel_hi:[1,0,0]
	v_pk_add_f32 v[2:3], v[2:3], v[16:17]
	v_mov_b32_e32 v4, v137
	v_pk_add_f32 v[2:3], v[2:3], v[14:15]
	v_mov_b32_e32 v7, v5
	s_waitcnt lgkmcnt(0)
	v_pk_mul_f32 v[4:5], v[10:11], v[4:5] op_sel_hi:[1,0]
	v_pk_add_f32 v[2:3], v[2:3], v[6:7]
	v_pk_fma_f32 v[6:7], v[10:11], v[136:137], v[4:5] op_sel:[0,0,1] op_sel_hi:[1,1,0] neg_lo:[0,0,1] neg_hi:[0,0,1]
	v_pk_fma_f32 v[4:5], v[10:11], v[136:137], v[4:5] op_sel:[0,0,1] op_sel_hi:[1,0,0]
	v_mov_b32_e32 v4, v135
	v_mov_b32_e32 v7, v5
	v_pk_mul_f32 v[4:5], v[12:13], v[4:5] op_sel_hi:[1,0]
	v_pk_add_f32 v[2:3], v[2:3], v[6:7]
	v_pk_fma_f32 v[6:7], v[12:13], v[134:135], v[4:5] op_sel:[0,0,1] op_sel_hi:[1,1,0] neg_lo:[0,0,1] neg_hi:[0,0,1]
	v_pk_fma_f32 v[4:5], v[12:13], v[134:135], v[4:5] op_sel:[0,0,1] op_sel_hi:[1,0,0]
	v_mov_b32_e32 v7, v5
	v_pk_add_f32 v[2:3], v[2:3], v[6:7]
	v_pk_add_f32 v[2:3], v[116:117], v[2:3] neg_lo:[0,1] neg_hi:[0,1]
	buffer_store_dword v3, off, s[0:3], 0 offset:76
	buffer_store_dword v2, off, s[0:3], 0 offset:72
	s_and_saveexec_b64 s[4:5], vcc
	s_cbranch_execz .LBB35_213
; %bb.212:
	buffer_load_dword v2, off, s[0:3], 0 offset:64
	buffer_load_dword v3, off, s[0:3], 0 offset:68
	v_mov_b32_e32 v4, 0
	buffer_store_dword v4, off, s[0:3], 0 offset:64
	buffer_store_dword v4, off, s[0:3], 0 offset:68
	s_waitcnt vmcnt(2)
	ds_write_b64 v1, v[2:3]
.LBB35_213:
	s_or_b64 exec, exec, s[4:5]
	s_waitcnt lgkmcnt(0)
	; wave barrier
	s_waitcnt lgkmcnt(0)
	buffer_load_dword v5, off, s[0:3], 0 offset:76
	buffer_load_dword v126, off, s[0:3], 0 offset:84
	;; [unrolled: 1-line block ×40, first 2 shown]
	v_mov_b32_e32 v4, 0
	ds_read2_b64 v[6:9], v4 offset0:45 offset1:46
	ds_read2_b64 v[10:13], v4 offset0:47 offset1:48
	;; [unrolled: 1-line block ×8, first 2 shown]
	v_cmp_lt_u32_e32 vcc, 7, v0
	s_waitcnt vmcnt(39) lgkmcnt(7)
	v_mul_f32_e32 v110, v6, v5
	s_waitcnt vmcnt(38)
	v_mul_f32_e32 v111, v8, v126
	s_waitcnt vmcnt(37) lgkmcnt(6)
	v_mul_f32_e32 v112, v10, v128
	s_waitcnt vmcnt(36)
	v_mul_f32_e32 v113, v12, v130
	;; [unrolled: 4-line block ×8, first 2 shown]
	s_waitcnt vmcnt(23)
	v_fmac_f32_e32 v110, v7, v152
	s_waitcnt vmcnt(22)
	v_fmac_f32_e32 v111, v9, v153
	v_add_f32_e32 v110, 0, v110
	s_waitcnt vmcnt(21)
	v_fmac_f32_e32 v112, v11, v154
	v_add_f32_e32 v110, v110, v111
	;; [unrolled: 3-line block ×14, first 2 shown]
	v_add_f32_e32 v110, v110, v124
	s_waitcnt vmcnt(8)
	v_fmac_f32_e32 v125, v109, v167
	v_add_f32_e32 v127, v110, v125
	ds_read2_b64 v[110:113], v4 offset0:61 offset1:62
	buffer_load_dword v119, off, s[0:3], 0 offset:228
	buffer_load_dword v121, off, s[0:3], 0 offset:252
	;; [unrolled: 1-line block ×8, first 2 shown]
	ds_read2_b64 v[114:117], v4 offset0:63 offset1:64
	buffer_load_dword v133, off, s[0:3], 0 offset:284
	buffer_load_dword v132, off, s[0:3], 0 offset:280
	;; [unrolled: 1-line block ×8, first 2 shown]
	v_mul_f32_e32 v5, v7, v5
	v_fma_f32 v5, v6, v152, -v5
	v_mul_f32_e32 v6, v9, v126
	v_add_f32_e32 v5, 0, v5
	v_fma_f32 v6, v8, v153, -v6
	v_add_f32_e32 v5, v5, v6
	v_mul_f32_e32 v6, v11, v128
	v_fma_f32 v6, v10, v154, -v6
	v_add_f32_e32 v5, v5, v6
	v_mul_f32_e32 v6, v13, v130
	;; [unrolled: 3-line block ×14, first 2 shown]
	v_fma_f32 v6, v108, v167, -v6
	s_waitcnt vmcnt(23) lgkmcnt(1)
	v_mul_f32_e32 v129, v110, v168
	v_add_f32_e32 v5, v5, v6
	v_mul_f32_e32 v6, v111, v168
	s_waitcnt vmcnt(22)
	v_fmac_f32_e32 v129, v111, v169
	v_fma_f32 v6, v110, v169, -v6
	v_add_f32_e32 v127, v127, v129
	s_waitcnt vmcnt(21)
	v_mul_f32_e32 v129, v112, v170
	v_add_f32_e32 v126, v5, v6
	v_mul_f32_e32 v5, v113, v170
	s_waitcnt vmcnt(20)
	v_fmac_f32_e32 v129, v113, v171
	s_waitcnt vmcnt(19) lgkmcnt(0)
	v_mul_f32_e32 v131, v114, v172
	v_fma_f32 v128, v112, v171, -v5
	v_mul_f32_e32 v5, v115, v172
	ds_read2_b64 v[6:9], v4 offset0:65 offset1:66
	ds_read2_b64 v[10:13], v4 offset0:67 offset1:68
	;; [unrolled: 1-line block ×3, first 2 shown]
	ds_read_b64 v[18:19], v4 offset:568
	s_waitcnt vmcnt(18)
	v_fmac_f32_e32 v131, v115, v173
	v_fma_f32 v130, v114, v173, -v5
	v_pk_add_f32 v[20:21], v[126:127], v[128:129]
	v_pk_add_f32 v[20:21], v[20:21], v[130:131]
	s_waitcnt vmcnt(15)
	v_mov_b32_e32 v94, v119
	v_pk_mul_f32 v[94:95], v[116:117], v[94:95] op_sel_hi:[1,0]
	s_waitcnt vmcnt(8)
	v_pk_fma_f32 v[96:97], v[116:117], v[118:119], v[94:95] op_sel:[0,0,1] op_sel_hi:[1,1,0] neg_lo:[0,0,1] neg_hi:[0,0,1]
	v_pk_fma_f32 v[94:95], v[116:117], v[118:119], v[94:95] op_sel:[0,0,1] op_sel_hi:[1,0,0]
	v_mov_b32_e32 v94, v125
	v_mov_b32_e32 v97, v95
	s_waitcnt lgkmcnt(3)
	v_pk_mul_f32 v[94:95], v[6:7], v[94:95] op_sel_hi:[1,0]
	v_pk_add_f32 v[20:21], v[20:21], v[96:97]
	v_pk_fma_f32 v[96:97], v[6:7], v[124:125], v[94:95] op_sel:[0,0,1] op_sel_hi:[1,1,0] neg_lo:[0,0,1] neg_hi:[0,0,1]
	v_pk_fma_f32 v[6:7], v[6:7], v[124:125], v[94:95] op_sel:[0,0,1] op_sel_hi:[1,0,0]
	v_mov_b32_e32 v97, v7
	v_pk_add_f32 v[6:7], v[20:21], v[96:97]
	v_mov_b32_e32 v20, v123
	v_pk_mul_f32 v[20:21], v[8:9], v[20:21] op_sel_hi:[1,0]
	v_pk_fma_f32 v[94:95], v[8:9], v[122:123], v[20:21] op_sel:[0,0,1] op_sel_hi:[1,1,0] neg_lo:[0,0,1] neg_hi:[0,0,1]
	v_pk_fma_f32 v[8:9], v[8:9], v[122:123], v[20:21] op_sel:[0,0,1] op_sel_hi:[1,0,0]
	v_mov_b32_e32 v8, v121
	v_mov_b32_e32 v95, v9
	s_waitcnt lgkmcnt(2)
	v_pk_mul_f32 v[8:9], v[10:11], v[8:9] op_sel_hi:[1,0]
	v_pk_fma_f32 v[20:21], v[10:11], v[120:121], v[8:9] op_sel:[0,0,1] op_sel_hi:[1,1,0] neg_lo:[0,0,1] neg_hi:[0,0,1]
	v_pk_fma_f32 v[8:9], v[10:11], v[120:121], v[8:9] op_sel:[0,0,1] op_sel_hi:[1,0,0]
	s_waitcnt vmcnt(1)
	v_mov_b32_e32 v8, v139
	v_mov_b32_e32 v21, v9
	v_pk_mul_f32 v[8:9], v[12:13], v[8:9] op_sel_hi:[1,0]
	s_waitcnt vmcnt(0)
	v_pk_fma_f32 v[10:11], v[12:13], v[138:139], v[8:9] op_sel:[0,0,1] op_sel_hi:[1,1,0] neg_lo:[0,0,1] neg_hi:[0,0,1]
	v_pk_fma_f32 v[8:9], v[12:13], v[138:139], v[8:9] op_sel:[0,0,1] op_sel_hi:[1,0,0]
	v_pk_add_f32 v[6:7], v[6:7], v[94:95]
	v_mov_b32_e32 v8, v137
	v_pk_add_f32 v[6:7], v[6:7], v[20:21]
	v_mov_b32_e32 v11, v9
	s_waitcnt lgkmcnt(1)
	v_pk_mul_f32 v[8:9], v[14:15], v[8:9] op_sel_hi:[1,0]
	v_pk_add_f32 v[6:7], v[6:7], v[10:11]
	v_pk_fma_f32 v[10:11], v[14:15], v[136:137], v[8:9] op_sel:[0,0,1] op_sel_hi:[1,1,0] neg_lo:[0,0,1] neg_hi:[0,0,1]
	v_pk_fma_f32 v[8:9], v[14:15], v[136:137], v[8:9] op_sel:[0,0,1] op_sel_hi:[1,0,0]
	v_mov_b32_e32 v8, v135
	v_mov_b32_e32 v11, v9
	v_pk_mul_f32 v[8:9], v[16:17], v[8:9] op_sel_hi:[1,0]
	v_pk_add_f32 v[6:7], v[6:7], v[10:11]
	v_pk_fma_f32 v[10:11], v[16:17], v[134:135], v[8:9] op_sel:[0,0,1] op_sel_hi:[1,1,0] neg_lo:[0,0,1] neg_hi:[0,0,1]
	v_pk_fma_f32 v[8:9], v[16:17], v[134:135], v[8:9] op_sel:[0,0,1] op_sel_hi:[1,0,0]
	v_mov_b32_e32 v8, v133
	v_mov_b32_e32 v11, v9
	s_waitcnt lgkmcnt(0)
	v_pk_mul_f32 v[8:9], v[18:19], v[8:9] op_sel_hi:[1,0]
	v_pk_add_f32 v[6:7], v[6:7], v[10:11]
	v_pk_fma_f32 v[10:11], v[18:19], v[132:133], v[8:9] op_sel:[0,0,1] op_sel_hi:[1,1,0] neg_lo:[0,0,1] neg_hi:[0,0,1]
	v_pk_fma_f32 v[8:9], v[18:19], v[132:133], v[8:9] op_sel:[0,0,1] op_sel_hi:[1,0,0]
	v_mov_b32_e32 v11, v9
	v_pk_add_f32 v[6:7], v[6:7], v[10:11]
	v_pk_add_f32 v[2:3], v[2:3], v[6:7] neg_lo:[0,1] neg_hi:[0,1]
	buffer_store_dword v3, off, s[0:3], 0 offset:68
	buffer_store_dword v2, off, s[0:3], 0 offset:64
	s_and_saveexec_b64 s[4:5], vcc
	s_cbranch_execz .LBB35_215
; %bb.214:
	buffer_load_dword v2, off, s[0:3], 0 offset:56
	buffer_load_dword v3, off, s[0:3], 0 offset:60
	s_waitcnt vmcnt(0)
	ds_write_b64 v1, v[2:3]
	buffer_store_dword v4, off, s[0:3], 0 offset:56
	buffer_store_dword v4, off, s[0:3], 0 offset:60
.LBB35_215:
	s_or_b64 exec, exec, s[4:5]
	s_waitcnt lgkmcnt(0)
	; wave barrier
	s_waitcnt lgkmcnt(0)
	buffer_load_dword v5, off, s[0:3], 0 offset:68
	buffer_load_dword v118, off, s[0:3], 0 offset:76
	;; [unrolled: 1-line block ×42, first 2 shown]
	ds_read_b128 v[6:9], v4 offset:352
	ds_read_b128 v[10:13], v4 offset:368
	;; [unrolled: 1-line block ×8, first 2 shown]
	v_cmp_lt_u32_e32 vcc, 6, v0
	s_waitcnt vmcnt(41) lgkmcnt(7)
	v_mul_f32_e32 v110, v6, v5
	s_waitcnt vmcnt(40)
	v_mul_f32_e32 v111, v8, v118
	s_waitcnt vmcnt(39) lgkmcnt(6)
	v_mul_f32_e32 v112, v10, v120
	s_waitcnt vmcnt(38)
	v_mul_f32_e32 v113, v12, v128
	;; [unrolled: 4-line block ×7, first 2 shown]
	s_waitcnt vmcnt(27) lgkmcnt(0)
	v_mul_f32_e32 v126, v106, v150
	s_waitcnt vmcnt(26)
	v_fmac_f32_e32 v110, v7, v151
	s_waitcnt vmcnt(25)
	v_fmac_f32_e32 v111, v9, v152
	v_add_f32_e32 v110, 0, v110
	s_waitcnt vmcnt(24)
	v_fmac_f32_e32 v112, v11, v153
	v_add_f32_e32 v110, v110, v111
	s_waitcnt vmcnt(23)
	v_fmac_f32_e32 v113, v13, v154
	v_add_f32_e32 v110, v110, v112
	s_waitcnt vmcnt(22)
	v_fmac_f32_e32 v114, v15, v155
	v_add_f32_e32 v110, v110, v113
	s_waitcnt vmcnt(21)
	v_fmac_f32_e32 v115, v17, v156
	v_add_f32_e32 v110, v110, v114
	s_waitcnt vmcnt(20)
	v_fmac_f32_e32 v116, v19, v157
	v_add_f32_e32 v110, v110, v115
	s_waitcnt vmcnt(19)
	v_fmac_f32_e32 v117, v21, v158
	v_add_f32_e32 v110, v110, v116
	s_waitcnt vmcnt(18)
	v_fmac_f32_e32 v119, v95, v159
	v_add_f32_e32 v110, v110, v117
	s_waitcnt vmcnt(17)
	v_fmac_f32_e32 v121, v97, v160
	v_add_f32_e32 v110, v110, v119
	s_waitcnt vmcnt(16)
	v_fmac_f32_e32 v122, v99, v161
	v_add_f32_e32 v110, v110, v121
	s_waitcnt vmcnt(15)
	v_fmac_f32_e32 v123, v101, v162
	v_add_f32_e32 v110, v110, v122
	s_waitcnt vmcnt(14)
	v_fmac_f32_e32 v124, v103, v163
	v_add_f32_e32 v110, v110, v123
	s_waitcnt vmcnt(13)
	v_fmac_f32_e32 v125, v105, v164
	v_add_f32_e32 v110, v110, v124
	s_waitcnt vmcnt(12)
	v_fmac_f32_e32 v126, v107, v165
	v_add_f32_e32 v110, v110, v125
	s_waitcnt vmcnt(11)
	v_mul_f32_e32 v115, v108, v166
	v_add_f32_e32 v114, v110, v126
	s_waitcnt vmcnt(10)
	v_fmac_f32_e32 v115, v109, v167
	ds_read_b128 v[110:113], v4 offset:480
	v_add_f32_e32 v119, v114, v115
	ds_read_b128 v[114:117], v4 offset:496
	buffer_load_dword v123, off, s[0:3], 0 offset:228
	buffer_load_dword v125, off, s[0:3], 0 offset:244
	;; [unrolled: 1-line block ×16, first 2 shown]
	v_mul_f32_e32 v5, v7, v5
	v_fma_f32 v5, v6, v151, -v5
	v_mul_f32_e32 v6, v9, v118
	v_add_f32_e32 v5, 0, v5
	v_fma_f32 v6, v8, v152, -v6
	v_add_f32_e32 v5, v5, v6
	v_mul_f32_e32 v6, v11, v120
	v_fma_f32 v6, v10, v153, -v6
	v_add_f32_e32 v5, v5, v6
	v_mul_f32_e32 v6, v13, v128
	v_fma_f32 v6, v12, v154, -v6
	v_add_f32_e32 v5, v5, v6
	v_mul_f32_e32 v6, v15, v140
	v_fma_f32 v6, v14, v155, -v6
	v_add_f32_e32 v5, v5, v6
	v_mul_f32_e32 v6, v17, v141
	v_fma_f32 v6, v16, v156, -v6
	v_add_f32_e32 v5, v5, v6
	v_mul_f32_e32 v6, v19, v142
	v_fma_f32 v6, v18, v157, -v6
	v_add_f32_e32 v5, v5, v6
	v_mul_f32_e32 v6, v21, v143
	v_fma_f32 v6, v20, v158, -v6
	v_add_f32_e32 v5, v5, v6
	v_mul_f32_e32 v6, v95, v144
	v_fma_f32 v6, v94, v159, -v6
	v_add_f32_e32 v5, v5, v6
	v_mul_f32_e32 v6, v97, v145
	v_fma_f32 v6, v96, v160, -v6
	v_add_f32_e32 v5, v5, v6
	v_mul_f32_e32 v6, v99, v146
	v_fma_f32 v6, v98, v161, -v6
	v_add_f32_e32 v5, v5, v6
	v_mul_f32_e32 v6, v101, v147
	v_fma_f32 v6, v100, v162, -v6
	v_add_f32_e32 v5, v5, v6
	v_mul_f32_e32 v6, v103, v148
	v_fma_f32 v6, v102, v163, -v6
	v_add_f32_e32 v5, v5, v6
	v_mul_f32_e32 v6, v105, v149
	v_fma_f32 v6, v104, v164, -v6
	v_add_f32_e32 v5, v5, v6
	v_mul_f32_e32 v6, v107, v150
	v_fma_f32 v6, v106, v165, -v6
	v_add_f32_e32 v5, v5, v6
	v_mul_f32_e32 v6, v109, v166
	v_fma_f32 v6, v108, v167, -v6
	v_add_f32_e32 v5, v5, v6
	s_waitcnt vmcnt(25) lgkmcnt(1)
	v_mul_f32_e32 v6, v111, v168
	s_waitcnt vmcnt(24)
	v_fma_f32 v6, v110, v169, -v6
	v_add_f32_e32 v5, v5, v6
	s_waitcnt vmcnt(23)
	v_mul_f32_e32 v6, v113, v170
	s_waitcnt vmcnt(22)
	v_fma_f32 v6, v112, v171, -v6
	v_add_f32_e32 v118, v5, v6
	ds_read_b128 v[6:9], v4 offset:512
	ds_read_b128 v[10:13], v4 offset:528
	;; [unrolled: 1-line block ×4, first 2 shown]
	v_mul_f32_e32 v121, v110, v168
	v_fmac_f32_e32 v121, v111, v169
	v_add_f32_e32 v119, v119, v121
	v_mul_f32_e32 v121, v112, v170
	v_fmac_f32_e32 v121, v113, v171
	v_add_f32_e32 v119, v119, v121
	s_waitcnt vmcnt(21) lgkmcnt(4)
	v_mul_f32_e32 v121, v114, v172
	v_mul_f32_e32 v5, v115, v172
	s_waitcnt vmcnt(20)
	v_fmac_f32_e32 v121, v115, v173
	s_waitcnt vmcnt(19)
	v_mul_f32_e32 v129, v116, v174
	v_fma_f32 v120, v114, v173, -v5
	v_mul_f32_e32 v5, v117, v174
	s_waitcnt vmcnt(18)
	v_fmac_f32_e32 v129, v117, v175
	v_fma_f32 v128, v116, v175, -v5
	v_pk_add_f32 v[4:5], v[118:119], v[120:121]
	v_pk_add_f32 v[4:5], v[4:5], v[128:129]
	s_waitcnt vmcnt(15)
	v_mov_b32_e32 v94, v123
	s_waitcnt lgkmcnt(3)
	v_pk_mul_f32 v[94:95], v[6:7], v[94:95] op_sel_hi:[1,0]
	s_waitcnt vmcnt(10)
	v_pk_fma_f32 v[96:97], v[6:7], v[122:123], v[94:95] op_sel:[0,0,1] op_sel_hi:[1,1,0] neg_lo:[0,0,1] neg_hi:[0,0,1]
	v_pk_fma_f32 v[6:7], v[6:7], v[122:123], v[94:95] op_sel:[0,0,1] op_sel_hi:[1,0,0]
	v_mov_b32_e32 v6, v127
	v_mov_b32_e32 v97, v7
	v_pk_mul_f32 v[6:7], v[8:9], v[6:7] op_sel_hi:[1,0]
	v_pk_fma_f32 v[94:95], v[8:9], v[126:127], v[6:7] op_sel:[0,0,1] op_sel_hi:[1,1,0] neg_lo:[0,0,1] neg_hi:[0,0,1]
	v_pk_fma_f32 v[6:7], v[8:9], v[126:127], v[6:7] op_sel:[0,0,1] op_sel_hi:[1,0,0]
	v_mov_b32_e32 v6, v125
	v_mov_b32_e32 v95, v7
	s_waitcnt lgkmcnt(2)
	v_pk_mul_f32 v[6:7], v[10:11], v[6:7] op_sel_hi:[1,0]
	v_pk_fma_f32 v[8:9], v[10:11], v[124:125], v[6:7] op_sel:[0,0,1] op_sel_hi:[1,1,0] neg_lo:[0,0,1] neg_hi:[0,0,1]
	v_pk_fma_f32 v[6:7], v[10:11], v[124:125], v[6:7] op_sel:[0,0,1] op_sel_hi:[1,0,0]
	v_pk_add_f32 v[4:5], v[4:5], v[96:97]
	s_waitcnt vmcnt(3)
	v_mov_b32_e32 v6, v137
	v_pk_add_f32 v[4:5], v[4:5], v[94:95]
	v_mov_b32_e32 v9, v7
	v_pk_mul_f32 v[6:7], v[12:13], v[6:7] op_sel_hi:[1,0]
	v_pk_add_f32 v[4:5], v[4:5], v[8:9]
	s_waitcnt vmcnt(2)
	v_pk_fma_f32 v[8:9], v[12:13], v[136:137], v[6:7] op_sel:[0,0,1] op_sel_hi:[1,1,0] neg_lo:[0,0,1] neg_hi:[0,0,1]
	v_pk_fma_f32 v[6:7], v[12:13], v[136:137], v[6:7] op_sel:[0,0,1] op_sel_hi:[1,0,0]
	v_mov_b32_e32 v6, v135
	v_mov_b32_e32 v9, v7
	s_waitcnt lgkmcnt(1)
	v_pk_mul_f32 v[6:7], v[14:15], v[6:7] op_sel_hi:[1,0]
	v_pk_add_f32 v[4:5], v[4:5], v[8:9]
	v_pk_fma_f32 v[8:9], v[14:15], v[134:135], v[6:7] op_sel:[0,0,1] op_sel_hi:[1,1,0] neg_lo:[0,0,1] neg_hi:[0,0,1]
	v_pk_fma_f32 v[6:7], v[14:15], v[134:135], v[6:7] op_sel:[0,0,1] op_sel_hi:[1,0,0]
	v_mov_b32_e32 v6, v133
	v_mov_b32_e32 v9, v7
	v_pk_mul_f32 v[6:7], v[16:17], v[6:7] op_sel_hi:[1,0]
	v_pk_add_f32 v[4:5], v[4:5], v[8:9]
	v_pk_fma_f32 v[8:9], v[16:17], v[132:133], v[6:7] op_sel:[0,0,1] op_sel_hi:[1,1,0] neg_lo:[0,0,1] neg_hi:[0,0,1]
	v_pk_fma_f32 v[6:7], v[16:17], v[132:133], v[6:7] op_sel:[0,0,1] op_sel_hi:[1,0,0]
	v_mov_b32_e32 v6, v131
	v_mov_b32_e32 v9, v7
	s_waitcnt lgkmcnt(0)
	v_pk_mul_f32 v[6:7], v[18:19], v[6:7] op_sel_hi:[1,0]
	v_pk_add_f32 v[4:5], v[4:5], v[8:9]
	v_pk_fma_f32 v[8:9], v[18:19], v[130:131], v[6:7] op_sel:[0,0,1] op_sel_hi:[1,1,0] neg_lo:[0,0,1] neg_hi:[0,0,1]
	v_pk_fma_f32 v[6:7], v[18:19], v[130:131], v[6:7] op_sel:[0,0,1] op_sel_hi:[1,0,0]
	s_waitcnt vmcnt(1)
	v_mov_b32_e32 v6, v139
	v_mov_b32_e32 v9, v7
	v_pk_mul_f32 v[6:7], v[20:21], v[6:7] op_sel_hi:[1,0]
	v_pk_add_f32 v[4:5], v[4:5], v[8:9]
	s_waitcnt vmcnt(0)
	v_pk_fma_f32 v[8:9], v[20:21], v[138:139], v[6:7] op_sel:[0,0,1] op_sel_hi:[1,1,0] neg_lo:[0,0,1] neg_hi:[0,0,1]
	v_pk_fma_f32 v[6:7], v[20:21], v[138:139], v[6:7] op_sel:[0,0,1] op_sel_hi:[1,0,0]
	v_mov_b32_e32 v9, v7
	v_pk_add_f32 v[4:5], v[4:5], v[8:9]
	v_pk_add_f32 v[2:3], v[2:3], v[4:5] neg_lo:[0,1] neg_hi:[0,1]
	buffer_store_dword v3, off, s[0:3], 0 offset:60
	buffer_store_dword v2, off, s[0:3], 0 offset:56
	s_and_saveexec_b64 s[4:5], vcc
	s_cbranch_execz .LBB35_217
; %bb.216:
	buffer_load_dword v2, off, s[0:3], 0 offset:48
	buffer_load_dword v3, off, s[0:3], 0 offset:52
	v_mov_b32_e32 v4, 0
	buffer_store_dword v4, off, s[0:3], 0 offset:48
	buffer_store_dword v4, off, s[0:3], 0 offset:52
	s_waitcnt vmcnt(2)
	ds_write_b64 v1, v[2:3]
.LBB35_217:
	s_or_b64 exec, exec, s[4:5]
	s_waitcnt lgkmcnt(0)
	; wave barrier
	s_waitcnt lgkmcnt(0)
	buffer_load_dword v5, off, s[0:3], 0 offset:60
	buffer_load_dword v126, off, s[0:3], 0 offset:68
	;; [unrolled: 1-line block ×44, first 2 shown]
	v_mov_b32_e32 v4, 0
	ds_read2_b64 v[6:9], v4 offset0:43 offset1:44
	ds_read2_b64 v[10:13], v4 offset0:45 offset1:46
	;; [unrolled: 1-line block ×8, first 2 shown]
	v_cmp_lt_u32_e32 vcc, 5, v0
	s_waitcnt vmcnt(43) lgkmcnt(7)
	v_mul_f32_e32 v110, v6, v5
	s_waitcnt vmcnt(42)
	v_mul_f32_e32 v111, v8, v126
	s_waitcnt vmcnt(41) lgkmcnt(6)
	v_mul_f32_e32 v112, v10, v132
	s_waitcnt vmcnt(40)
	v_mul_f32_e32 v113, v12, v134
	;; [unrolled: 4-line block ×7, first 2 shown]
	s_waitcnt vmcnt(29)
	v_fmac_f32_e32 v110, v7, v158
	s_waitcnt vmcnt(28)
	v_fmac_f32_e32 v111, v9, v159
	v_add_f32_e32 v110, 0, v110
	s_waitcnt vmcnt(27)
	v_fmac_f32_e32 v112, v11, v160
	v_add_f32_e32 v110, v110, v111
	;; [unrolled: 3-line block ×12, first 2 shown]
	v_add_f32_e32 v110, v110, v122
	s_waitcnt vmcnt(16)
	v_fmac_f32_e32 v123, v105, v171
	s_waitcnt vmcnt(15) lgkmcnt(0)
	v_mul_f32_e32 v111, v106, v172
	v_add_f32_e32 v110, v110, v123
	s_waitcnt vmcnt(14)
	v_fmac_f32_e32 v111, v107, v173
	v_add_f32_e32 v114, v110, v111
	ds_read2_b64 v[110:113], v4 offset0:59 offset1:60
	s_waitcnt vmcnt(13)
	v_mul_f32_e32 v115, v108, v174
	s_waitcnt vmcnt(12)
	v_fmac_f32_e32 v115, v109, v175
	v_add_f32_e32 v118, v114, v115
	ds_read2_b64 v[114:117], v4 offset0:61 offset1:62
	s_waitcnt vmcnt(11) lgkmcnt(1)
	v_mul_f32_e32 v119, v110, v176
	s_waitcnt vmcnt(10)
	v_fmac_f32_e32 v119, v111, v177
	v_add_f32_e32 v118, v118, v119
	s_waitcnt vmcnt(9)
	v_mul_f32_e32 v119, v112, v178
	s_waitcnt vmcnt(8)
	v_fmac_f32_e32 v119, v113, v179
	v_add_f32_e32 v118, v118, v119
	s_waitcnt vmcnt(7) lgkmcnt(0)
	v_mul_f32_e32 v119, v114, v180
	s_waitcnt vmcnt(6)
	v_fmac_f32_e32 v119, v115, v181
	v_add_f32_e32 v127, v118, v119
	ds_read2_b64 v[118:121], v4 offset0:63 offset1:64
	buffer_load_dword v129, off, s[0:3], 0 offset:236
	buffer_load_dword v128, off, s[0:3], 0 offset:232
	buffer_load_dword v131, off, s[0:3], 0 offset:228
	buffer_load_dword v130, off, s[0:3], 0 offset:224
	ds_read2_b64 v[122:125], v4 offset0:65 offset1:66
	buffer_load_dword v137, off, s[0:3], 0 offset:268
	buffer_load_dword v136, off, s[0:3], 0 offset:264
	;; [unrolled: 1-line block ×12, first 2 shown]
	v_mul_f32_e32 v5, v7, v5
	v_fma_f32 v5, v6, v158, -v5
	v_mul_f32_e32 v6, v9, v126
	v_add_f32_e32 v5, 0, v5
	v_fma_f32 v6, v8, v159, -v6
	v_add_f32_e32 v5, v5, v6
	v_mul_f32_e32 v6, v11, v132
	v_fma_f32 v6, v10, v160, -v6
	v_add_f32_e32 v5, v5, v6
	v_mul_f32_e32 v6, v13, v134
	;; [unrolled: 3-line block ×17, first 2 shown]
	v_fma_f32 v6, v114, v181, -v6
	s_waitcnt vmcnt(21)
	v_mul_f32_e32 v133, v116, v182
	v_add_f32_e32 v126, v5, v6
	v_mul_f32_e32 v5, v117, v182
	s_waitcnt vmcnt(20)
	v_fmac_f32_e32 v133, v117, v183
	s_waitcnt vmcnt(19) lgkmcnt(1)
	v_mul_f32_e32 v135, v118, v184
	v_fma_f32 v132, v116, v183, -v5
	v_mul_f32_e32 v5, v119, v184
	s_waitcnt vmcnt(18)
	v_fmac_f32_e32 v135, v119, v185
	v_fma_f32 v134, v118, v185, -v5
	v_pk_add_f32 v[16:17], v[126:127], v[132:133]
	v_pk_add_f32 v[16:17], v[16:17], v[134:135]
	ds_read2_b64 v[6:9], v4 offset0:67 offset1:68
	ds_read2_b64 v[10:13], v4 offset0:69 offset1:70
	ds_read_b64 v[14:15], v4 offset:568
	s_waitcnt vmcnt(13)
	v_mov_b32_e32 v18, v131
	v_pk_mul_f32 v[18:19], v[120:121], v[18:19] op_sel_hi:[1,0]
	s_waitcnt vmcnt(12)
	v_pk_fma_f32 v[20:21], v[120:121], v[130:131], v[18:19] op_sel:[0,0,1] op_sel_hi:[1,1,0] neg_lo:[0,0,1] neg_hi:[0,0,1]
	v_pk_fma_f32 v[18:19], v[120:121], v[130:131], v[18:19] op_sel:[0,0,1] op_sel_hi:[1,0,0]
	v_mov_b32_e32 v18, v129
	v_mov_b32_e32 v21, v19
	s_waitcnt lgkmcnt(3)
	v_pk_mul_f32 v[18:19], v[122:123], v[18:19] op_sel_hi:[1,0]
	v_pk_add_f32 v[16:17], v[16:17], v[20:21]
	v_pk_fma_f32 v[20:21], v[122:123], v[128:129], v[18:19] op_sel:[0,0,1] op_sel_hi:[1,1,0] neg_lo:[0,0,1] neg_hi:[0,0,1]
	v_pk_fma_f32 v[18:19], v[122:123], v[128:129], v[18:19] op_sel:[0,0,1] op_sel_hi:[1,0,0]
	s_waitcnt vmcnt(5)
	v_mov_b32_e32 v18, v143
	v_mov_b32_e32 v21, v19
	v_pk_mul_f32 v[18:19], v[124:125], v[18:19] op_sel_hi:[1,0]
	v_pk_add_f32 v[16:17], v[16:17], v[20:21]
	s_waitcnt vmcnt(4)
	v_pk_fma_f32 v[20:21], v[124:125], v[142:143], v[18:19] op_sel:[0,0,1] op_sel_hi:[1,1,0] neg_lo:[0,0,1] neg_hi:[0,0,1]
	v_pk_fma_f32 v[18:19], v[124:125], v[142:143], v[18:19] op_sel:[0,0,1] op_sel_hi:[1,0,0]
	v_mov_b32_e32 v18, v141
	v_mov_b32_e32 v21, v19
	s_waitcnt lgkmcnt(2)
	v_pk_mul_f32 v[18:19], v[6:7], v[18:19] op_sel_hi:[1,0]
	v_pk_add_f32 v[16:17], v[16:17], v[20:21]
	v_pk_fma_f32 v[20:21], v[6:7], v[140:141], v[18:19] op_sel:[0,0,1] op_sel_hi:[1,1,0] neg_lo:[0,0,1] neg_hi:[0,0,1]
	v_pk_fma_f32 v[6:7], v[6:7], v[140:141], v[18:19] op_sel:[0,0,1] op_sel_hi:[1,0,0]
	v_mov_b32_e32 v21, v7
	v_pk_add_f32 v[6:7], v[16:17], v[20:21]
	v_mov_b32_e32 v16, v139
	v_pk_mul_f32 v[16:17], v[8:9], v[16:17] op_sel_hi:[1,0]
	v_pk_fma_f32 v[18:19], v[8:9], v[138:139], v[16:17] op_sel:[0,0,1] op_sel_hi:[1,1,0] neg_lo:[0,0,1] neg_hi:[0,0,1]
	v_pk_fma_f32 v[8:9], v[8:9], v[138:139], v[16:17] op_sel:[0,0,1] op_sel_hi:[1,0,0]
	v_mov_b32_e32 v8, v137
	v_mov_b32_e32 v19, v9
	s_waitcnt lgkmcnt(1)
	v_pk_mul_f32 v[8:9], v[10:11], v[8:9] op_sel_hi:[1,0]
	v_pk_fma_f32 v[16:17], v[10:11], v[136:137], v[8:9] op_sel:[0,0,1] op_sel_hi:[1,1,0] neg_lo:[0,0,1] neg_hi:[0,0,1]
	v_pk_fma_f32 v[8:9], v[10:11], v[136:137], v[8:9] op_sel:[0,0,1] op_sel_hi:[1,0,0]
	s_waitcnt vmcnt(1)
	v_mov_b32_e32 v8, v147
	v_mov_b32_e32 v17, v9
	v_pk_mul_f32 v[8:9], v[12:13], v[8:9] op_sel_hi:[1,0]
	s_waitcnt vmcnt(0)
	v_pk_fma_f32 v[10:11], v[12:13], v[146:147], v[8:9] op_sel:[0,0,1] op_sel_hi:[1,1,0] neg_lo:[0,0,1] neg_hi:[0,0,1]
	v_pk_fma_f32 v[8:9], v[12:13], v[146:147], v[8:9] op_sel:[0,0,1] op_sel_hi:[1,0,0]
	v_pk_add_f32 v[6:7], v[6:7], v[18:19]
	v_mov_b32_e32 v8, v145
	v_pk_add_f32 v[6:7], v[6:7], v[16:17]
	v_mov_b32_e32 v11, v9
	s_waitcnt lgkmcnt(0)
	v_pk_mul_f32 v[8:9], v[14:15], v[8:9] op_sel_hi:[1,0]
	v_pk_add_f32 v[6:7], v[6:7], v[10:11]
	v_pk_fma_f32 v[10:11], v[14:15], v[144:145], v[8:9] op_sel:[0,0,1] op_sel_hi:[1,1,0] neg_lo:[0,0,1] neg_hi:[0,0,1]
	v_pk_fma_f32 v[8:9], v[14:15], v[144:145], v[8:9] op_sel:[0,0,1] op_sel_hi:[1,0,0]
	v_mov_b32_e32 v11, v9
	v_pk_add_f32 v[6:7], v[6:7], v[10:11]
	v_pk_add_f32 v[2:3], v[2:3], v[6:7] neg_lo:[0,1] neg_hi:[0,1]
	buffer_store_dword v3, off, s[0:3], 0 offset:52
	buffer_store_dword v2, off, s[0:3], 0 offset:48
	s_and_saveexec_b64 s[4:5], vcc
	s_cbranch_execz .LBB35_219
; %bb.218:
	buffer_load_dword v2, off, s[0:3], 0 offset:40
	buffer_load_dword v3, off, s[0:3], 0 offset:44
	s_waitcnt vmcnt(0)
	ds_write_b64 v1, v[2:3]
	buffer_store_dword v4, off, s[0:3], 0 offset:40
	buffer_store_dword v4, off, s[0:3], 0 offset:44
.LBB35_219:
	s_or_b64 exec, exec, s[4:5]
	s_waitcnt lgkmcnt(0)
	; wave barrier
	s_waitcnt lgkmcnt(0)
	buffer_load_dword v5, off, s[0:3], 0 offset:52
	buffer_load_dword v128, off, s[0:3], 0 offset:60
	;; [unrolled: 1-line block ×46, first 2 shown]
	ds_read_b128 v[6:9], v4 offset:336
	ds_read_b128 v[10:13], v4 offset:352
	;; [unrolled: 1-line block ×8, first 2 shown]
	v_cmp_lt_u32_e32 vcc, 4, v0
	s_waitcnt vmcnt(45) lgkmcnt(7)
	v_mul_f32_e32 v110, v6, v5
	s_waitcnt vmcnt(44)
	v_mul_f32_e32 v111, v8, v128
	s_waitcnt vmcnt(43) lgkmcnt(6)
	v_mul_f32_e32 v112, v10, v130
	s_waitcnt vmcnt(42)
	v_mul_f32_e32 v113, v12, v132
	;; [unrolled: 4-line block ×6, first 2 shown]
	s_waitcnt vmcnt(33) lgkmcnt(1)
	v_mul_f32_e32 v122, v102, v156
	s_waitcnt vmcnt(32)
	v_fmac_f32_e32 v110, v7, v157
	s_waitcnt vmcnt(31)
	v_fmac_f32_e32 v111, v9, v158
	v_add_f32_e32 v110, 0, v110
	s_waitcnt vmcnt(30)
	v_fmac_f32_e32 v112, v11, v159
	v_add_f32_e32 v110, v110, v111
	;; [unrolled: 3-line block ×12, first 2 shown]
	s_waitcnt vmcnt(19)
	v_mul_f32_e32 v111, v104, v170
	v_add_f32_e32 v110, v110, v122
	s_waitcnt vmcnt(18)
	v_fmac_f32_e32 v111, v105, v171
	v_add_f32_e32 v110, v110, v111
	s_waitcnt vmcnt(17) lgkmcnt(0)
	v_mul_f32_e32 v111, v106, v172
	s_waitcnt vmcnt(16)
	v_fmac_f32_e32 v111, v107, v173
	v_add_f32_e32 v114, v110, v111
	ds_read_b128 v[110:113], v4 offset:464
	s_waitcnt vmcnt(15)
	v_mul_f32_e32 v115, v108, v174
	s_waitcnt vmcnt(14)
	v_fmac_f32_e32 v115, v109, v175
	v_add_f32_e32 v118, v114, v115
	ds_read_b128 v[114:117], v4 offset:480
	buffer_load_dword v127, off, s[0:3], 0 offset:228
	buffer_load_dword v126, off, s[0:3], 0 offset:224
	s_waitcnt vmcnt(15) lgkmcnt(1)
	v_mul_f32_e32 v119, v110, v176
	s_waitcnt vmcnt(14)
	v_fmac_f32_e32 v119, v111, v177
	v_add_f32_e32 v118, v118, v119
	s_waitcnt vmcnt(13)
	v_mul_f32_e32 v119, v112, v178
	s_waitcnt vmcnt(12)
	v_fmac_f32_e32 v119, v113, v179
	v_add_f32_e32 v118, v118, v119
	s_waitcnt vmcnt(11) lgkmcnt(0)
	v_mul_f32_e32 v119, v114, v180
	s_waitcnt vmcnt(10)
	v_fmac_f32_e32 v119, v115, v181
	s_waitcnt vmcnt(9)
	v_mul_f32_e32 v123, v116, v182
	v_add_f32_e32 v122, v118, v119
	s_waitcnt vmcnt(8)
	v_fmac_f32_e32 v123, v117, v183
	ds_read_b128 v[118:121], v4 offset:496
	v_add_f32_e32 v129, v122, v123
	ds_read_b128 v[122:125], v4 offset:512
	buffer_load_dword v135, off, s[0:3], 0 offset:260
	buffer_load_dword v134, off, s[0:3], 0 offset:256
	buffer_load_dword v137, off, s[0:3], 0 offset:252
	buffer_load_dword v136, off, s[0:3], 0 offset:248
	buffer_load_dword v139, off, s[0:3], 0 offset:244
	buffer_load_dword v138, off, s[0:3], 0 offset:240
	buffer_load_dword v141, off, s[0:3], 0 offset:236
	buffer_load_dword v140, off, s[0:3], 0 offset:232
	buffer_load_dword v143, off, s[0:3], 0 offset:284
	buffer_load_dword v142, off, s[0:3], 0 offset:280
	buffer_load_dword v145, off, s[0:3], 0 offset:276
	buffer_load_dword v144, off, s[0:3], 0 offset:272
	buffer_load_dword v147, off, s[0:3], 0 offset:268
	buffer_load_dword v146, off, s[0:3], 0 offset:264
	v_mul_f32_e32 v5, v7, v5
	v_fma_f32 v5, v6, v157, -v5
	v_mul_f32_e32 v6, v9, v128
	v_add_f32_e32 v5, 0, v5
	v_fma_f32 v6, v8, v158, -v6
	v_add_f32_e32 v5, v5, v6
	v_mul_f32_e32 v6, v11, v130
	v_fma_f32 v6, v10, v159, -v6
	v_add_f32_e32 v5, v5, v6
	v_mul_f32_e32 v6, v13, v132
	;; [unrolled: 3-line block ×18, first 2 shown]
	v_fma_f32 v6, v116, v183, -v6
	s_waitcnt vmcnt(21) lgkmcnt(1)
	v_mul_f32_e32 v131, v118, v184
	v_add_f32_e32 v128, v5, v6
	v_mul_f32_e32 v5, v119, v184
	s_waitcnt vmcnt(20)
	v_fmac_f32_e32 v131, v119, v185
	s_waitcnt vmcnt(15)
	v_mov_b32_e32 v18, v127
	s_waitcnt lgkmcnt(0)
	v_pk_mul_f32 v[18:19], v[122:123], v[18:19] op_sel_hi:[1,0]
	v_mul_f32_e32 v133, v120, v186
	v_fma_f32 v130, v118, v185, -v5
	v_mul_f32_e32 v5, v121, v186
	s_waitcnt vmcnt(14)
	v_pk_fma_f32 v[20:21], v[122:123], v[126:127], v[18:19] op_sel:[0,0,1] op_sel_hi:[1,1,0] neg_lo:[0,0,1] neg_hi:[0,0,1]
	v_pk_fma_f32 v[18:19], v[122:123], v[126:127], v[18:19] op_sel:[0,0,1] op_sel_hi:[1,0,0]
	v_fmac_f32_e32 v133, v121, v187
	v_fma_f32 v132, v120, v187, -v5
	ds_read_b128 v[6:9], v4 offset:528
	ds_read_b128 v[10:13], v4 offset:544
	;; [unrolled: 1-line block ×3, first 2 shown]
	v_pk_add_f32 v[4:5], v[128:129], v[130:131]
	s_waitcnt vmcnt(7)
	v_mov_b32_e32 v18, v141
	v_pk_add_f32 v[4:5], v[4:5], v[132:133]
	v_mov_b32_e32 v21, v19
	v_pk_mul_f32 v[18:19], v[124:125], v[18:19] op_sel_hi:[1,0]
	v_pk_add_f32 v[4:5], v[4:5], v[20:21]
	s_waitcnt vmcnt(6)
	v_pk_fma_f32 v[20:21], v[124:125], v[140:141], v[18:19] op_sel:[0,0,1] op_sel_hi:[1,1,0] neg_lo:[0,0,1] neg_hi:[0,0,1]
	v_pk_fma_f32 v[18:19], v[124:125], v[140:141], v[18:19] op_sel:[0,0,1] op_sel_hi:[1,0,0]
	v_mov_b32_e32 v18, v139
	v_mov_b32_e32 v21, v19
	s_waitcnt lgkmcnt(2)
	v_pk_mul_f32 v[18:19], v[6:7], v[18:19] op_sel_hi:[1,0]
	v_pk_add_f32 v[4:5], v[4:5], v[20:21]
	v_pk_fma_f32 v[20:21], v[6:7], v[138:139], v[18:19] op_sel:[0,0,1] op_sel_hi:[1,1,0] neg_lo:[0,0,1] neg_hi:[0,0,1]
	v_pk_fma_f32 v[6:7], v[6:7], v[138:139], v[18:19] op_sel:[0,0,1] op_sel_hi:[1,0,0]
	v_mov_b32_e32 v6, v137
	v_mov_b32_e32 v21, v7
	v_pk_mul_f32 v[6:7], v[8:9], v[6:7] op_sel_hi:[1,0]
	v_pk_fma_f32 v[18:19], v[8:9], v[136:137], v[6:7] op_sel:[0,0,1] op_sel_hi:[1,1,0] neg_lo:[0,0,1] neg_hi:[0,0,1]
	v_pk_fma_f32 v[6:7], v[8:9], v[136:137], v[6:7] op_sel:[0,0,1] op_sel_hi:[1,0,0]
	v_mov_b32_e32 v6, v135
	v_mov_b32_e32 v19, v7
	s_waitcnt lgkmcnt(1)
	v_pk_mul_f32 v[6:7], v[10:11], v[6:7] op_sel_hi:[1,0]
	v_pk_fma_f32 v[8:9], v[10:11], v[134:135], v[6:7] op_sel:[0,0,1] op_sel_hi:[1,1,0] neg_lo:[0,0,1] neg_hi:[0,0,1]
	v_pk_fma_f32 v[6:7], v[10:11], v[134:135], v[6:7] op_sel:[0,0,1] op_sel_hi:[1,0,0]
	v_pk_add_f32 v[4:5], v[4:5], v[20:21]
	s_waitcnt vmcnt(1)
	v_mov_b32_e32 v6, v147
	v_pk_add_f32 v[4:5], v[4:5], v[18:19]
	v_mov_b32_e32 v9, v7
	v_pk_mul_f32 v[6:7], v[12:13], v[6:7] op_sel_hi:[1,0]
	v_pk_add_f32 v[4:5], v[4:5], v[8:9]
	s_waitcnt vmcnt(0)
	v_pk_fma_f32 v[8:9], v[12:13], v[146:147], v[6:7] op_sel:[0,0,1] op_sel_hi:[1,1,0] neg_lo:[0,0,1] neg_hi:[0,0,1]
	v_pk_fma_f32 v[6:7], v[12:13], v[146:147], v[6:7] op_sel:[0,0,1] op_sel_hi:[1,0,0]
	v_mov_b32_e32 v6, v145
	v_mov_b32_e32 v9, v7
	s_waitcnt lgkmcnt(0)
	v_pk_mul_f32 v[6:7], v[14:15], v[6:7] op_sel_hi:[1,0]
	v_pk_add_f32 v[4:5], v[4:5], v[8:9]
	v_pk_fma_f32 v[8:9], v[14:15], v[144:145], v[6:7] op_sel:[0,0,1] op_sel_hi:[1,1,0] neg_lo:[0,0,1] neg_hi:[0,0,1]
	v_pk_fma_f32 v[6:7], v[14:15], v[144:145], v[6:7] op_sel:[0,0,1] op_sel_hi:[1,0,0]
	v_mov_b32_e32 v6, v143
	v_mov_b32_e32 v9, v7
	v_pk_mul_f32 v[6:7], v[16:17], v[6:7] op_sel_hi:[1,0]
	v_pk_add_f32 v[4:5], v[4:5], v[8:9]
	v_pk_fma_f32 v[8:9], v[16:17], v[142:143], v[6:7] op_sel:[0,0,1] op_sel_hi:[1,1,0] neg_lo:[0,0,1] neg_hi:[0,0,1]
	v_pk_fma_f32 v[6:7], v[16:17], v[142:143], v[6:7] op_sel:[0,0,1] op_sel_hi:[1,0,0]
	v_mov_b32_e32 v9, v7
	v_pk_add_f32 v[4:5], v[4:5], v[8:9]
	v_pk_add_f32 v[2:3], v[2:3], v[4:5] neg_lo:[0,1] neg_hi:[0,1]
	buffer_store_dword v3, off, s[0:3], 0 offset:44
	buffer_store_dword v2, off, s[0:3], 0 offset:40
	s_and_saveexec_b64 s[4:5], vcc
	s_cbranch_execz .LBB35_221
; %bb.220:
	buffer_load_dword v2, off, s[0:3], 0 offset:32
	buffer_load_dword v3, off, s[0:3], 0 offset:36
	v_mov_b32_e32 v4, 0
	buffer_store_dword v4, off, s[0:3], 0 offset:32
	buffer_store_dword v4, off, s[0:3], 0 offset:36
	s_waitcnt vmcnt(2)
	ds_write_b64 v1, v[2:3]
.LBB35_221:
	s_or_b64 exec, exec, s[4:5]
	s_waitcnt lgkmcnt(0)
	; wave barrier
	s_waitcnt lgkmcnt(0)
	buffer_load_dword v5, off, s[0:3], 0 offset:44
	buffer_load_dword v126, off, s[0:3], 0 offset:52
	;; [unrolled: 1-line block ×48, first 2 shown]
	v_mov_b32_e32 v4, 0
	ds_read2_b64 v[6:9], v4 offset0:41 offset1:42
	ds_read2_b64 v[10:13], v4 offset0:43 offset1:44
	;; [unrolled: 1-line block ×6, first 2 shown]
	v_cmp_lt_u32_e32 vcc, 3, v0
	s_waitcnt vmcnt(47) lgkmcnt(5)
	v_mul_f32_e32 v102, v6, v5
	s_waitcnt vmcnt(46)
	v_mul_f32_e32 v103, v8, v126
	s_waitcnt vmcnt(45) lgkmcnt(4)
	v_mul_f32_e32 v104, v10, v128
	s_waitcnt vmcnt(44)
	v_mul_f32_e32 v105, v12, v130
	;; [unrolled: 4-line block ×6, first 2 shown]
	s_waitcnt vmcnt(35)
	v_fmac_f32_e32 v102, v7, v156
	s_waitcnt vmcnt(34)
	v_fmac_f32_e32 v103, v9, v157
	v_add_f32_e32 v102, 0, v102
	s_waitcnt vmcnt(33)
	v_fmac_f32_e32 v104, v11, v158
	v_add_f32_e32 v102, v102, v103
	;; [unrolled: 3-line block ×8, first 2 shown]
	v_add_f32_e32 v106, v102, v110
	ds_read2_b64 v[102:105], v4 offset0:53 offset1:54
	s_waitcnt vmcnt(26)
	v_fmac_f32_e32 v111, v97, v165
	s_waitcnt vmcnt(25)
	v_fmac_f32_e32 v112, v99, v166
	v_add_f32_e32 v106, v106, v111
	s_waitcnt vmcnt(24)
	v_fmac_f32_e32 v113, v101, v167
	v_add_f32_e32 v106, v106, v112
	v_add_f32_e32 v110, v106, v113
	ds_read2_b64 v[106:109], v4 offset0:55 offset1:56
	s_waitcnt vmcnt(23) lgkmcnt(1)
	v_mul_f32_e32 v111, v102, v168
	s_waitcnt vmcnt(22)
	v_fmac_f32_e32 v111, v103, v169
	v_add_f32_e32 v110, v110, v111
	s_waitcnt vmcnt(21)
	v_mul_f32_e32 v111, v104, v170
	s_waitcnt vmcnt(20)
	v_fmac_f32_e32 v111, v105, v171
	v_add_f32_e32 v110, v110, v111
	s_waitcnt vmcnt(19) lgkmcnt(0)
	v_mul_f32_e32 v111, v106, v172
	s_waitcnt vmcnt(18)
	v_fmac_f32_e32 v111, v107, v173
	v_add_f32_e32 v114, v110, v111
	ds_read2_b64 v[110:113], v4 offset0:57 offset1:58
	s_waitcnt vmcnt(17)
	v_mul_f32_e32 v115, v108, v174
	s_waitcnt vmcnt(16)
	v_fmac_f32_e32 v115, v109, v175
	v_add_f32_e32 v118, v114, v115
	ds_read2_b64 v[114:117], v4 offset0:59 offset1:60
	s_waitcnt vmcnt(15) lgkmcnt(1)
	v_mul_f32_e32 v119, v110, v176
	s_waitcnt vmcnt(14)
	v_fmac_f32_e32 v119, v111, v177
	v_add_f32_e32 v118, v118, v119
	s_waitcnt vmcnt(13)
	v_mul_f32_e32 v119, v112, v178
	s_waitcnt vmcnt(12)
	v_fmac_f32_e32 v119, v113, v179
	v_add_f32_e32 v118, v118, v119
	s_waitcnt vmcnt(11) lgkmcnt(0)
	v_mul_f32_e32 v119, v114, v180
	s_waitcnt vmcnt(10)
	v_fmac_f32_e32 v119, v115, v181
	s_waitcnt vmcnt(9)
	v_mul_f32_e32 v123, v116, v182
	v_add_f32_e32 v122, v118, v119
	s_waitcnt vmcnt(8)
	v_fmac_f32_e32 v123, v117, v183
	ds_read2_b64 v[118:121], v4 offset0:61 offset1:62
	v_add_f32_e32 v127, v122, v123
	ds_read2_b64 v[122:125], v4 offset0:63 offset1:64
	buffer_load_dword v133, off, s[0:3], 0 offset:252
	buffer_load_dword v132, off, s[0:3], 0 offset:248
	;; [unrolled: 1-line block ×16, first 2 shown]
	v_mul_f32_e32 v5, v7, v5
	v_fma_f32 v5, v6, v156, -v5
	v_mul_f32_e32 v6, v9, v126
	v_add_f32_e32 v5, 0, v5
	v_fma_f32 v6, v8, v157, -v6
	v_add_f32_e32 v5, v5, v6
	v_mul_f32_e32 v6, v11, v128
	v_fma_f32 v6, v10, v158, -v6
	v_add_f32_e32 v5, v5, v6
	v_mul_f32_e32 v6, v13, v130
	;; [unrolled: 3-line block ×18, first 2 shown]
	v_fma_f32 v6, v116, v183, -v6
	s_waitcnt vmcnt(22) lgkmcnt(1)
	v_mul_f32_e32 v129, v118, v185
	v_add_f32_e32 v5, v5, v6
	v_mul_f32_e32 v6, v119, v185
	v_fmac_f32_e32 v129, v119, v184
	v_fma_f32 v6, v118, v184, -v6
	v_add_f32_e32 v127, v127, v129
	s_waitcnt vmcnt(19)
	v_mul_f32_e32 v129, v120, v186
	v_add_f32_e32 v126, v5, v6
	v_mul_f32_e32 v5, v121, v186
	s_waitcnt vmcnt(18)
	v_fmac_f32_e32 v129, v121, v187
	s_waitcnt vmcnt(17) lgkmcnt(0)
	v_mul_f32_e32 v131, v122, v188
	s_waitcnt vmcnt(9)
	v_mov_b32_e32 v94, v139
	v_pk_mul_f32 v[94:95], v[124:125], v[94:95] op_sel_hi:[1,0]
	v_fma_f32 v128, v120, v187, -v5
	v_mul_f32_e32 v5, v123, v188
	ds_read2_b64 v[6:9], v4 offset0:65 offset1:66
	ds_read2_b64 v[10:13], v4 offset0:67 offset1:68
	;; [unrolled: 1-line block ×3, first 2 shown]
	ds_read_b64 v[18:19], v4 offset:568
	s_waitcnt vmcnt(8)
	v_pk_fma_f32 v[96:97], v[124:125], v[138:139], v[94:95] op_sel:[0,0,1] op_sel_hi:[1,1,0] neg_lo:[0,0,1] neg_hi:[0,0,1]
	v_pk_fma_f32 v[94:95], v[124:125], v[138:139], v[94:95] op_sel:[0,0,1] op_sel_hi:[1,0,0]
	v_fmac_f32_e32 v131, v123, v189
	v_fma_f32 v130, v122, v189, -v5
	v_pk_add_f32 v[20:21], v[126:127], v[128:129]
	v_mov_b32_e32 v94, v137
	v_pk_add_f32 v[20:21], v[20:21], v[130:131]
	v_mov_b32_e32 v97, v95
	s_waitcnt lgkmcnt(3)
	v_pk_mul_f32 v[94:95], v[6:7], v[94:95] op_sel_hi:[1,0]
	v_pk_add_f32 v[20:21], v[20:21], v[96:97]
	v_pk_fma_f32 v[96:97], v[6:7], v[136:137], v[94:95] op_sel:[0,0,1] op_sel_hi:[1,1,0] neg_lo:[0,0,1] neg_hi:[0,0,1]
	v_pk_fma_f32 v[6:7], v[6:7], v[136:137], v[94:95] op_sel:[0,0,1] op_sel_hi:[1,0,0]
	v_mov_b32_e32 v97, v7
	v_pk_add_f32 v[6:7], v[20:21], v[96:97]
	v_mov_b32_e32 v20, v135
	v_pk_mul_f32 v[20:21], v[8:9], v[20:21] op_sel_hi:[1,0]
	v_pk_fma_f32 v[94:95], v[8:9], v[134:135], v[20:21] op_sel:[0,0,1] op_sel_hi:[1,1,0] neg_lo:[0,0,1] neg_hi:[0,0,1]
	v_pk_fma_f32 v[8:9], v[8:9], v[134:135], v[20:21] op_sel:[0,0,1] op_sel_hi:[1,0,0]
	v_mov_b32_e32 v8, v133
	v_mov_b32_e32 v95, v9
	s_waitcnt lgkmcnt(2)
	v_pk_mul_f32 v[8:9], v[10:11], v[8:9] op_sel_hi:[1,0]
	v_pk_fma_f32 v[20:21], v[10:11], v[132:133], v[8:9] op_sel:[0,0,1] op_sel_hi:[1,1,0] neg_lo:[0,0,1] neg_hi:[0,0,1]
	v_pk_fma_f32 v[8:9], v[10:11], v[132:133], v[8:9] op_sel:[0,0,1] op_sel_hi:[1,0,0]
	s_waitcnt vmcnt(1)
	v_mov_b32_e32 v8, v147
	v_mov_b32_e32 v21, v9
	v_pk_mul_f32 v[8:9], v[12:13], v[8:9] op_sel_hi:[1,0]
	s_waitcnt vmcnt(0)
	v_pk_fma_f32 v[10:11], v[12:13], v[146:147], v[8:9] op_sel:[0,0,1] op_sel_hi:[1,1,0] neg_lo:[0,0,1] neg_hi:[0,0,1]
	v_pk_fma_f32 v[8:9], v[12:13], v[146:147], v[8:9] op_sel:[0,0,1] op_sel_hi:[1,0,0]
	v_pk_add_f32 v[6:7], v[6:7], v[94:95]
	v_mov_b32_e32 v8, v145
	v_pk_add_f32 v[6:7], v[6:7], v[20:21]
	v_mov_b32_e32 v11, v9
	s_waitcnt lgkmcnt(1)
	v_pk_mul_f32 v[8:9], v[14:15], v[8:9] op_sel_hi:[1,0]
	v_pk_add_f32 v[6:7], v[6:7], v[10:11]
	v_pk_fma_f32 v[10:11], v[14:15], v[144:145], v[8:9] op_sel:[0,0,1] op_sel_hi:[1,1,0] neg_lo:[0,0,1] neg_hi:[0,0,1]
	v_pk_fma_f32 v[8:9], v[14:15], v[144:145], v[8:9] op_sel:[0,0,1] op_sel_hi:[1,0,0]
	v_mov_b32_e32 v8, v143
	v_mov_b32_e32 v11, v9
	v_pk_mul_f32 v[8:9], v[16:17], v[8:9] op_sel_hi:[1,0]
	v_pk_add_f32 v[6:7], v[6:7], v[10:11]
	v_pk_fma_f32 v[10:11], v[16:17], v[142:143], v[8:9] op_sel:[0,0,1] op_sel_hi:[1,1,0] neg_lo:[0,0,1] neg_hi:[0,0,1]
	v_pk_fma_f32 v[8:9], v[16:17], v[142:143], v[8:9] op_sel:[0,0,1] op_sel_hi:[1,0,0]
	v_mov_b32_e32 v8, v141
	v_mov_b32_e32 v11, v9
	s_waitcnt lgkmcnt(0)
	v_pk_mul_f32 v[8:9], v[18:19], v[8:9] op_sel_hi:[1,0]
	v_pk_add_f32 v[6:7], v[6:7], v[10:11]
	v_pk_fma_f32 v[10:11], v[18:19], v[140:141], v[8:9] op_sel:[0,0,1] op_sel_hi:[1,1,0] neg_lo:[0,0,1] neg_hi:[0,0,1]
	v_pk_fma_f32 v[8:9], v[18:19], v[140:141], v[8:9] op_sel:[0,0,1] op_sel_hi:[1,0,0]
	v_mov_b32_e32 v11, v9
	v_pk_add_f32 v[6:7], v[6:7], v[10:11]
	v_pk_add_f32 v[2:3], v[2:3], v[6:7] neg_lo:[0,1] neg_hi:[0,1]
	buffer_store_dword v3, off, s[0:3], 0 offset:36
	buffer_store_dword v2, off, s[0:3], 0 offset:32
	s_and_saveexec_b64 s[4:5], vcc
	s_cbranch_execz .LBB35_223
; %bb.222:
	buffer_load_dword v2, off, s[0:3], 0 offset:24
	buffer_load_dword v3, off, s[0:3], 0 offset:28
	s_waitcnt vmcnt(0)
	ds_write_b64 v1, v[2:3]
	buffer_store_dword v4, off, s[0:3], 0 offset:24
	buffer_store_dword v4, off, s[0:3], 0 offset:28
.LBB35_223:
	s_or_b64 exec, exec, s[4:5]
	s_waitcnt lgkmcnt(0)
	; wave barrier
	s_waitcnt lgkmcnt(0)
	buffer_load_dword v5, off, s[0:3], 0 offset:36
	buffer_load_dword v126, off, s[0:3], 0 offset:44
	;; [unrolled: 1-line block ×48, first 2 shown]
	ds_read_b128 v[6:9], v4 offset:320
	ds_read_b128 v[10:13], v4 offset:336
	;; [unrolled: 1-line block ×6, first 2 shown]
	buffer_load_dword v190, off, s[0:3], 0 offset:216
	buffer_load_dword v191, off, s[0:3], 0 offset:220
	v_cmp_lt_u32_e32 vcc, 2, v0
	s_waitcnt vmcnt(49) lgkmcnt(5)
	v_mul_f32_e32 v102, v6, v5
	s_waitcnt vmcnt(48)
	v_mul_f32_e32 v103, v8, v126
	s_waitcnt vmcnt(47) lgkmcnt(4)
	v_mul_f32_e32 v104, v10, v128
	s_waitcnt vmcnt(46)
	v_mul_f32_e32 v105, v12, v136
	;; [unrolled: 4-line block ×6, first 2 shown]
	s_waitcnt vmcnt(37)
	v_fmac_f32_e32 v102, v7, v156
	s_waitcnt vmcnt(36)
	v_fmac_f32_e32 v103, v9, v157
	v_add_f32_e32 v102, 0, v102
	s_waitcnt vmcnt(35)
	v_fmac_f32_e32 v104, v11, v158
	v_add_f32_e32 v102, v102, v103
	;; [unrolled: 3-line block ×9, first 2 shown]
	v_add_f32_e32 v106, v102, v111
	ds_read_b128 v[102:105], v4 offset:416
	s_waitcnt vmcnt(27)
	v_fmac_f32_e32 v112, v99, v166
	v_add_f32_e32 v106, v106, v112
	s_waitcnt vmcnt(26)
	v_fmac_f32_e32 v113, v101, v167
	v_add_f32_e32 v110, v106, v113
	ds_read_b128 v[106:109], v4 offset:432
	s_waitcnt vmcnt(25) lgkmcnt(1)
	v_mul_f32_e32 v111, v102, v168
	s_waitcnt vmcnt(24)
	v_fmac_f32_e32 v111, v103, v169
	v_add_f32_e32 v110, v110, v111
	s_waitcnt vmcnt(23)
	v_mul_f32_e32 v111, v104, v170
	s_waitcnt vmcnt(22)
	v_fmac_f32_e32 v111, v105, v171
	v_add_f32_e32 v110, v110, v111
	s_waitcnt vmcnt(21) lgkmcnt(0)
	v_mul_f32_e32 v111, v106, v172
	s_waitcnt vmcnt(20)
	v_fmac_f32_e32 v111, v107, v173
	v_add_f32_e32 v114, v110, v111
	ds_read_b128 v[110:113], v4 offset:448
	s_waitcnt vmcnt(19)
	v_mul_f32_e32 v115, v108, v174
	s_waitcnt vmcnt(18)
	v_fmac_f32_e32 v115, v109, v175
	v_add_f32_e32 v118, v114, v115
	ds_read_b128 v[114:117], v4 offset:464
	s_waitcnt vmcnt(17) lgkmcnt(1)
	v_mul_f32_e32 v119, v110, v176
	s_waitcnt vmcnt(16)
	v_fmac_f32_e32 v119, v111, v177
	v_add_f32_e32 v118, v118, v119
	s_waitcnt vmcnt(15)
	v_mul_f32_e32 v119, v112, v178
	s_waitcnt vmcnt(14)
	v_fmac_f32_e32 v119, v113, v179
	v_add_f32_e32 v118, v118, v119
	s_waitcnt vmcnt(13) lgkmcnt(0)
	v_mul_f32_e32 v119, v114, v180
	s_waitcnt vmcnt(12)
	v_fmac_f32_e32 v119, v115, v181
	s_waitcnt vmcnt(11)
	v_mul_f32_e32 v123, v116, v182
	v_add_f32_e32 v122, v118, v119
	s_waitcnt vmcnt(10)
	v_fmac_f32_e32 v123, v117, v183
	ds_read_b128 v[118:121], v4 offset:480
	v_add_f32_e32 v127, v122, v123
	ds_read_b128 v[122:125], v4 offset:496
	buffer_load_dword v131, off, s[0:3], 0 offset:244
	buffer_load_dword v130, off, s[0:3], 0 offset:240
	;; [unrolled: 1-line block ×16, first 2 shown]
	v_mul_f32_e32 v5, v7, v5
	v_fma_f32 v5, v6, v156, -v5
	v_mul_f32_e32 v6, v9, v126
	v_add_f32_e32 v5, 0, v5
	v_fma_f32 v6, v8, v157, -v6
	v_add_f32_e32 v5, v5, v6
	v_mul_f32_e32 v6, v11, v128
	v_fma_f32 v6, v10, v158, -v6
	v_add_f32_e32 v5, v5, v6
	v_mul_f32_e32 v6, v13, v136
	;; [unrolled: 3-line block ×18, first 2 shown]
	v_fma_f32 v6, v116, v183, -v6
	v_add_f32_e32 v5, v5, v6
	s_waitcnt vmcnt(23) lgkmcnt(1)
	v_mul_f32_e32 v6, v119, v184
	s_waitcnt vmcnt(22)
	v_fma_f32 v6, v118, v185, -v6
	v_add_f32_e32 v5, v5, v6
	s_waitcnt vmcnt(20)
	v_mul_f32_e32 v6, v121, v187
	v_fma_f32 v6, v120, v186, -v6
	v_add_f32_e32 v126, v5, v6
	ds_read_b128 v[6:9], v4 offset:512
	ds_read_b128 v[10:13], v4 offset:528
	;; [unrolled: 1-line block ×4, first 2 shown]
	v_mul_f32_e32 v129, v118, v184
	v_fmac_f32_e32 v129, v119, v185
	v_add_f32_e32 v127, v127, v129
	v_mul_f32_e32 v129, v120, v187
	v_fmac_f32_e32 v129, v121, v186
	v_add_f32_e32 v127, v127, v129
	s_waitcnt vmcnt(18) lgkmcnt(4)
	v_mul_f32_e32 v129, v122, v189
	v_mul_f32_e32 v5, v123, v189
	v_fmac_f32_e32 v129, v123, v188
	s_waitcnt vmcnt(16)
	v_mul_f32_e32 v137, v124, v191
	s_waitcnt vmcnt(11)
	v_mov_b32_e32 v94, v135
	s_waitcnt lgkmcnt(3)
	v_pk_mul_f32 v[94:95], v[6:7], v[94:95] op_sel_hi:[1,0]
	s_waitcnt vmcnt(10)
	v_pk_fma_f32 v[96:97], v[6:7], v[134:135], v[94:95] op_sel:[0,0,1] op_sel_hi:[1,1,0] neg_lo:[0,0,1] neg_hi:[0,0,1]
	v_pk_fma_f32 v[6:7], v[6:7], v[134:135], v[94:95] op_sel:[0,0,1] op_sel_hi:[1,0,0]
	v_mov_b32_e32 v6, v133
	v_mov_b32_e32 v97, v7
	v_pk_mul_f32 v[6:7], v[8:9], v[6:7] op_sel_hi:[1,0]
	v_pk_fma_f32 v[94:95], v[8:9], v[132:133], v[6:7] op_sel:[0,0,1] op_sel_hi:[1,1,0] neg_lo:[0,0,1] neg_hi:[0,0,1]
	v_pk_fma_f32 v[6:7], v[8:9], v[132:133], v[6:7] op_sel:[0,0,1] op_sel_hi:[1,0,0]
	v_fma_f32 v128, v122, v188, -v5
	v_mul_f32_e32 v5, v125, v191
	v_mov_b32_e32 v6, v131
	v_fmac_f32_e32 v137, v125, v190
	v_fma_f32 v136, v124, v190, -v5
	v_pk_add_f32 v[4:5], v[126:127], v[128:129]
	v_mov_b32_e32 v95, v7
	s_waitcnt lgkmcnt(2)
	v_pk_mul_f32 v[6:7], v[10:11], v[6:7] op_sel_hi:[1,0]
	v_pk_add_f32 v[4:5], v[4:5], v[136:137]
	v_pk_fma_f32 v[8:9], v[10:11], v[130:131], v[6:7] op_sel:[0,0,1] op_sel_hi:[1,1,0] neg_lo:[0,0,1] neg_hi:[0,0,1]
	v_pk_fma_f32 v[6:7], v[10:11], v[130:131], v[6:7] op_sel:[0,0,1] op_sel_hi:[1,0,0]
	v_pk_add_f32 v[4:5], v[4:5], v[96:97]
	s_waitcnt vmcnt(3)
	v_mov_b32_e32 v6, v145
	v_pk_add_f32 v[4:5], v[4:5], v[94:95]
	v_mov_b32_e32 v9, v7
	v_pk_mul_f32 v[6:7], v[12:13], v[6:7] op_sel_hi:[1,0]
	v_pk_add_f32 v[4:5], v[4:5], v[8:9]
	s_waitcnt vmcnt(2)
	v_pk_fma_f32 v[8:9], v[12:13], v[144:145], v[6:7] op_sel:[0,0,1] op_sel_hi:[1,1,0] neg_lo:[0,0,1] neg_hi:[0,0,1]
	v_pk_fma_f32 v[6:7], v[12:13], v[144:145], v[6:7] op_sel:[0,0,1] op_sel_hi:[1,0,0]
	v_mov_b32_e32 v6, v143
	v_mov_b32_e32 v9, v7
	s_waitcnt lgkmcnt(1)
	v_pk_mul_f32 v[6:7], v[14:15], v[6:7] op_sel_hi:[1,0]
	v_pk_add_f32 v[4:5], v[4:5], v[8:9]
	v_pk_fma_f32 v[8:9], v[14:15], v[142:143], v[6:7] op_sel:[0,0,1] op_sel_hi:[1,1,0] neg_lo:[0,0,1] neg_hi:[0,0,1]
	v_pk_fma_f32 v[6:7], v[14:15], v[142:143], v[6:7] op_sel:[0,0,1] op_sel_hi:[1,0,0]
	v_mov_b32_e32 v6, v141
	v_mov_b32_e32 v9, v7
	v_pk_mul_f32 v[6:7], v[16:17], v[6:7] op_sel_hi:[1,0]
	v_pk_add_f32 v[4:5], v[4:5], v[8:9]
	v_pk_fma_f32 v[8:9], v[16:17], v[140:141], v[6:7] op_sel:[0,0,1] op_sel_hi:[1,1,0] neg_lo:[0,0,1] neg_hi:[0,0,1]
	v_pk_fma_f32 v[6:7], v[16:17], v[140:141], v[6:7] op_sel:[0,0,1] op_sel_hi:[1,0,0]
	v_mov_b32_e32 v6, v139
	v_mov_b32_e32 v9, v7
	s_waitcnt lgkmcnt(0)
	v_pk_mul_f32 v[6:7], v[18:19], v[6:7] op_sel_hi:[1,0]
	v_pk_add_f32 v[4:5], v[4:5], v[8:9]
	v_pk_fma_f32 v[8:9], v[18:19], v[138:139], v[6:7] op_sel:[0,0,1] op_sel_hi:[1,1,0] neg_lo:[0,0,1] neg_hi:[0,0,1]
	v_pk_fma_f32 v[6:7], v[18:19], v[138:139], v[6:7] op_sel:[0,0,1] op_sel_hi:[1,0,0]
	s_waitcnt vmcnt(1)
	v_mov_b32_e32 v6, v147
	v_mov_b32_e32 v9, v7
	v_pk_mul_f32 v[6:7], v[20:21], v[6:7] op_sel_hi:[1,0]
	v_pk_add_f32 v[4:5], v[4:5], v[8:9]
	s_waitcnt vmcnt(0)
	v_pk_fma_f32 v[8:9], v[20:21], v[146:147], v[6:7] op_sel:[0,0,1] op_sel_hi:[1,1,0] neg_lo:[0,0,1] neg_hi:[0,0,1]
	v_pk_fma_f32 v[6:7], v[20:21], v[146:147], v[6:7] op_sel:[0,0,1] op_sel_hi:[1,0,0]
	v_mov_b32_e32 v9, v7
	v_pk_add_f32 v[4:5], v[4:5], v[8:9]
	v_pk_add_f32 v[2:3], v[2:3], v[4:5] neg_lo:[0,1] neg_hi:[0,1]
	buffer_store_dword v3, off, s[0:3], 0 offset:28
	buffer_store_dword v2, off, s[0:3], 0 offset:24
	s_and_saveexec_b64 s[4:5], vcc
	s_cbranch_execz .LBB35_225
; %bb.224:
	buffer_load_dword v2, off, s[0:3], 0 offset:16
	buffer_load_dword v3, off, s[0:3], 0 offset:20
	v_mov_b32_e32 v4, 0
	buffer_store_dword v4, off, s[0:3], 0 offset:16
	buffer_store_dword v4, off, s[0:3], 0 offset:20
	s_waitcnt vmcnt(2)
	ds_write_b64 v1, v[2:3]
.LBB35_225:
	s_or_b64 exec, exec, s[4:5]
	s_waitcnt lgkmcnt(0)
	; wave barrier
	s_waitcnt lgkmcnt(0)
	buffer_load_dword v5, off, s[0:3], 0 offset:28
	buffer_load_dword v134, off, s[0:3], 0 offset:36
	;; [unrolled: 1-line block ×52, first 2 shown]
	v_mov_b32_e32 v4, 0
	ds_read2_b64 v[6:9], v4 offset0:39 offset1:40
	ds_read2_b64 v[10:13], v4 offset0:41 offset1:42
	;; [unrolled: 1-line block ×6, first 2 shown]
	v_cmp_lt_u32_e32 vcc, 1, v0
	s_waitcnt vmcnt(51) lgkmcnt(5)
	v_mul_f32_e32 v102, v6, v5
	s_waitcnt vmcnt(50)
	v_mul_f32_e32 v103, v8, v134
	s_waitcnt vmcnt(49) lgkmcnt(4)
	v_mul_f32_e32 v104, v10, v140
	s_waitcnt vmcnt(48)
	v_mul_f32_e32 v105, v12, v142
	;; [unrolled: 4-line block ×5, first 2 shown]
	s_waitcnt vmcnt(41) lgkmcnt(0)
	v_mul_f32_e32 v112, v98, v162
	s_waitcnt vmcnt(40)
	v_fmac_f32_e32 v102, v7, v163
	s_waitcnt vmcnt(39)
	v_fmac_f32_e32 v103, v9, v164
	v_add_f32_e32 v102, 0, v102
	s_waitcnt vmcnt(38)
	v_fmac_f32_e32 v104, v11, v165
	v_add_f32_e32 v102, v102, v103
	;; [unrolled: 3-line block ×9, first 2 shown]
	v_add_f32_e32 v102, v102, v111
	s_waitcnt vmcnt(30)
	v_fmac_f32_e32 v112, v99, v173
	v_add_f32_e32 v106, v102, v112
	ds_read2_b64 v[102:105], v4 offset0:51 offset1:52
	s_waitcnt vmcnt(29)
	v_mul_f32_e32 v107, v100, v174
	s_waitcnt vmcnt(28)
	v_fmac_f32_e32 v107, v101, v175
	v_add_f32_e32 v110, v106, v107
	ds_read2_b64 v[106:109], v4 offset0:53 offset1:54
	s_waitcnt vmcnt(27) lgkmcnt(1)
	v_mul_f32_e32 v111, v102, v176
	s_waitcnt vmcnt(26)
	v_fmac_f32_e32 v111, v103, v177
	v_add_f32_e32 v110, v110, v111
	s_waitcnt vmcnt(25)
	v_mul_f32_e32 v111, v104, v178
	s_waitcnt vmcnt(24)
	v_fmac_f32_e32 v111, v105, v179
	v_add_f32_e32 v110, v110, v111
	s_waitcnt vmcnt(23) lgkmcnt(0)
	v_mul_f32_e32 v111, v106, v180
	s_waitcnt vmcnt(22)
	v_fmac_f32_e32 v111, v107, v181
	v_add_f32_e32 v114, v110, v111
	ds_read2_b64 v[110:113], v4 offset0:55 offset1:56
	s_waitcnt vmcnt(21)
	v_mul_f32_e32 v115, v108, v182
	s_waitcnt vmcnt(20)
	v_fmac_f32_e32 v115, v109, v183
	v_add_f32_e32 v118, v114, v115
	ds_read2_b64 v[114:117], v4 offset0:57 offset1:58
	s_waitcnt vmcnt(19) lgkmcnt(1)
	v_mul_f32_e32 v119, v110, v184
	s_waitcnt vmcnt(18)
	v_fmac_f32_e32 v119, v111, v185
	v_add_f32_e32 v118, v118, v119
	s_waitcnt vmcnt(17)
	v_mul_f32_e32 v119, v112, v186
	s_waitcnt vmcnt(16)
	v_fmac_f32_e32 v119, v113, v187
	v_add_f32_e32 v118, v118, v119
	s_waitcnt vmcnt(14) lgkmcnt(0)
	v_mul_f32_e32 v119, v114, v189
	v_fmac_f32_e32 v119, v115, v188
	v_add_f32_e32 v122, v118, v119
	ds_read2_b64 v[118:121], v4 offset0:59 offset1:60
	s_waitcnt vmcnt(10)
	v_mul_f32_e32 v123, v116, v191
	v_fmac_f32_e32 v123, v117, v190
	v_add_f32_e32 v126, v122, v123
	ds_read2_b64 v[122:125], v4 offset0:61 offset1:62
	s_waitcnt vmcnt(8) lgkmcnt(1)
	v_mul_f32_e32 v127, v118, v193
	v_fmac_f32_e32 v127, v119, v192
	v_add_f32_e32 v126, v126, v127
	s_waitcnt vmcnt(6)
	v_mul_f32_e32 v127, v120, v195
	v_fmac_f32_e32 v127, v121, v194
	v_add_f32_e32 v126, v126, v127
	s_waitcnt vmcnt(4) lgkmcnt(0)
	v_mul_f32_e32 v127, v122, v197
	v_fmac_f32_e32 v127, v123, v196
	v_add_f32_e32 v135, v126, v127
	ds_read2_b64 v[126:129], v4 offset0:63 offset1:64
	buffer_load_dword v137, off, s[0:3], 0 offset:236
	buffer_load_dword v136, off, s[0:3], 0 offset:232
	;; [unrolled: 1-line block ×4, first 2 shown]
	ds_read2_b64 v[130:133], v4 offset0:65 offset1:66
	buffer_load_dword v145, off, s[0:3], 0 offset:268
	buffer_load_dword v144, off, s[0:3], 0 offset:264
	;; [unrolled: 1-line block ×12, first 2 shown]
	v_mul_f32_e32 v5, v7, v5
	v_fma_f32 v5, v6, v163, -v5
	v_mul_f32_e32 v6, v9, v134
	v_add_f32_e32 v5, 0, v5
	v_fma_f32 v6, v8, v164, -v6
	v_add_f32_e32 v5, v5, v6
	v_mul_f32_e32 v6, v11, v140
	v_fma_f32 v6, v10, v165, -v6
	v_add_f32_e32 v5, v5, v6
	v_mul_f32_e32 v6, v13, v142
	;; [unrolled: 3-line block ×21, first 2 shown]
	v_fma_f32 v6, v122, v196, -v6
	s_waitcnt vmcnt(18)
	v_mul_f32_e32 v141, v124, v199
	v_add_f32_e32 v134, v5, v6
	v_mul_f32_e32 v5, v125, v199
	v_fmac_f32_e32 v141, v125, v198
	s_waitcnt vmcnt(16) lgkmcnt(1)
	v_mul_f32_e32 v143, v126, v201
	v_fma_f32 v140, v124, v198, -v5
	v_mul_f32_e32 v5, v127, v201
	v_fmac_f32_e32 v143, v127, v200
	s_waitcnt vmcnt(13)
	v_mov_b32_e32 v18, v139
	v_pk_mul_f32 v[18:19], v[128:129], v[18:19] op_sel_hi:[1,0]
	s_waitcnt vmcnt(12)
	v_pk_fma_f32 v[20:21], v[128:129], v[138:139], v[18:19] op_sel:[0,0,1] op_sel_hi:[1,1,0] neg_lo:[0,0,1] neg_hi:[0,0,1]
	v_pk_fma_f32 v[18:19], v[128:129], v[138:139], v[18:19] op_sel:[0,0,1] op_sel_hi:[1,0,0]
	v_fma_f32 v142, v126, v200, -v5
	v_pk_add_f32 v[16:17], v[134:135], v[140:141]
	v_mov_b32_e32 v18, v137
	v_pk_add_f32 v[16:17], v[16:17], v[142:143]
	v_mov_b32_e32 v21, v19
	s_waitcnt lgkmcnt(0)
	v_pk_mul_f32 v[18:19], v[130:131], v[18:19] op_sel_hi:[1,0]
	v_pk_add_f32 v[16:17], v[16:17], v[20:21]
	v_pk_fma_f32 v[20:21], v[130:131], v[136:137], v[18:19] op_sel:[0,0,1] op_sel_hi:[1,1,0] neg_lo:[0,0,1] neg_hi:[0,0,1]
	v_pk_fma_f32 v[18:19], v[130:131], v[136:137], v[18:19] op_sel:[0,0,1] op_sel_hi:[1,0,0]
	s_waitcnt vmcnt(5)
	v_mov_b32_e32 v18, v151
	ds_read2_b64 v[6:9], v4 offset0:67 offset1:68
	ds_read2_b64 v[10:13], v4 offset0:69 offset1:70
	ds_read_b64 v[14:15], v4 offset:568
	v_mov_b32_e32 v21, v19
	v_pk_mul_f32 v[18:19], v[132:133], v[18:19] op_sel_hi:[1,0]
	v_pk_add_f32 v[16:17], v[16:17], v[20:21]
	s_waitcnt vmcnt(4)
	v_pk_fma_f32 v[20:21], v[132:133], v[150:151], v[18:19] op_sel:[0,0,1] op_sel_hi:[1,1,0] neg_lo:[0,0,1] neg_hi:[0,0,1]
	v_pk_fma_f32 v[18:19], v[132:133], v[150:151], v[18:19] op_sel:[0,0,1] op_sel_hi:[1,0,0]
	v_mov_b32_e32 v18, v149
	v_mov_b32_e32 v21, v19
	s_waitcnt lgkmcnt(2)
	v_pk_mul_f32 v[18:19], v[6:7], v[18:19] op_sel_hi:[1,0]
	v_pk_add_f32 v[16:17], v[16:17], v[20:21]
	v_pk_fma_f32 v[20:21], v[6:7], v[148:149], v[18:19] op_sel:[0,0,1] op_sel_hi:[1,1,0] neg_lo:[0,0,1] neg_hi:[0,0,1]
	v_pk_fma_f32 v[6:7], v[6:7], v[148:149], v[18:19] op_sel:[0,0,1] op_sel_hi:[1,0,0]
	v_mov_b32_e32 v21, v7
	v_pk_add_f32 v[6:7], v[16:17], v[20:21]
	v_mov_b32_e32 v16, v147
	v_pk_mul_f32 v[16:17], v[8:9], v[16:17] op_sel_hi:[1,0]
	v_pk_fma_f32 v[18:19], v[8:9], v[146:147], v[16:17] op_sel:[0,0,1] op_sel_hi:[1,1,0] neg_lo:[0,0,1] neg_hi:[0,0,1]
	v_pk_fma_f32 v[8:9], v[8:9], v[146:147], v[16:17] op_sel:[0,0,1] op_sel_hi:[1,0,0]
	v_mov_b32_e32 v8, v145
	v_mov_b32_e32 v19, v9
	s_waitcnt lgkmcnt(1)
	v_pk_mul_f32 v[8:9], v[10:11], v[8:9] op_sel_hi:[1,0]
	v_pk_fma_f32 v[16:17], v[10:11], v[144:145], v[8:9] op_sel:[0,0,1] op_sel_hi:[1,1,0] neg_lo:[0,0,1] neg_hi:[0,0,1]
	v_pk_fma_f32 v[8:9], v[10:11], v[144:145], v[8:9] op_sel:[0,0,1] op_sel_hi:[1,0,0]
	s_waitcnt vmcnt(1)
	v_mov_b32_e32 v8, v155
	v_mov_b32_e32 v17, v9
	v_pk_mul_f32 v[8:9], v[12:13], v[8:9] op_sel_hi:[1,0]
	s_waitcnt vmcnt(0)
	v_pk_fma_f32 v[10:11], v[12:13], v[154:155], v[8:9] op_sel:[0,0,1] op_sel_hi:[1,1,0] neg_lo:[0,0,1] neg_hi:[0,0,1]
	v_pk_fma_f32 v[8:9], v[12:13], v[154:155], v[8:9] op_sel:[0,0,1] op_sel_hi:[1,0,0]
	v_pk_add_f32 v[6:7], v[6:7], v[18:19]
	v_mov_b32_e32 v8, v153
	v_pk_add_f32 v[6:7], v[6:7], v[16:17]
	v_mov_b32_e32 v11, v9
	s_waitcnt lgkmcnt(0)
	v_pk_mul_f32 v[8:9], v[14:15], v[8:9] op_sel_hi:[1,0]
	v_pk_add_f32 v[6:7], v[6:7], v[10:11]
	v_pk_fma_f32 v[10:11], v[14:15], v[152:153], v[8:9] op_sel:[0,0,1] op_sel_hi:[1,1,0] neg_lo:[0,0,1] neg_hi:[0,0,1]
	v_pk_fma_f32 v[8:9], v[14:15], v[152:153], v[8:9] op_sel:[0,0,1] op_sel_hi:[1,0,0]
	v_mov_b32_e32 v11, v9
	v_pk_add_f32 v[6:7], v[6:7], v[10:11]
	v_pk_add_f32 v[2:3], v[2:3], v[6:7] neg_lo:[0,1] neg_hi:[0,1]
	buffer_store_dword v3, off, s[0:3], 0 offset:20
	buffer_store_dword v2, off, s[0:3], 0 offset:16
	s_and_saveexec_b64 s[4:5], vcc
	s_cbranch_execz .LBB35_227
; %bb.226:
	buffer_load_dword v2, off, s[0:3], 0 offset:8
	buffer_load_dword v3, off, s[0:3], 0 offset:12
	s_waitcnt vmcnt(0)
	ds_write_b64 v1, v[2:3]
	buffer_store_dword v4, off, s[0:3], 0 offset:8
	buffer_store_dword v4, off, s[0:3], 0 offset:12
.LBB35_227:
	s_or_b64 exec, exec, s[4:5]
	s_waitcnt lgkmcnt(0)
	; wave barrier
	s_waitcnt lgkmcnt(0)
	buffer_load_dword v5, off, s[0:3], 0 offset:20
	buffer_load_dword v136, off, s[0:3], 0 offset:28
	;; [unrolled: 1-line block ×42, first 2 shown]
	ds_read_b128 v[6:9], v4 offset:304
	ds_read_b128 v[10:13], v4 offset:320
	buffer_load_dword v192, off, s[0:3], 0 offset:176
	buffer_load_dword v193, off, s[0:3], 0 offset:180
	ds_read_b128 v[14:17], v4 offset:336
	ds_read_b128 v[18:21], v4 offset:352
	buffer_load_dword v194, off, s[0:3], 0 offset:184
	buffer_load_dword v195, off, s[0:3], 0 offset:188
	;; [unrolled: 1-line block ×4, first 2 shown]
	ds_read_b128 v[94:97], v4 offset:368
	ds_read_b128 v[98:101], v4 offset:384
	buffer_load_dword v198, off, s[0:3], 0 offset:200
	buffer_load_dword v199, off, s[0:3], 0 offset:204
	;; [unrolled: 1-line block ×6, first 2 shown]
	v_cmp_ne_u32_e32 vcc, 0, v0
	s_waitcnt vmcnt(53) lgkmcnt(5)
	v_mul_f32_e32 v102, v6, v5
	s_waitcnt vmcnt(52)
	v_mul_f32_e32 v103, v8, v136
	s_waitcnt vmcnt(51) lgkmcnt(4)
	v_mul_f32_e32 v104, v10, v138
	s_waitcnt vmcnt(50)
	v_mul_f32_e32 v105, v12, v140
	;; [unrolled: 4-line block ×5, first 2 shown]
	s_waitcnt vmcnt(43)
	v_fmac_f32_e32 v102, v7, v162
	s_waitcnt vmcnt(42)
	v_fmac_f32_e32 v103, v9, v163
	v_add_f32_e32 v102, 0, v102
	s_waitcnt vmcnt(41)
	v_fmac_f32_e32 v104, v11, v164
	v_add_f32_e32 v102, v102, v103
	s_waitcnt vmcnt(40)
	v_fmac_f32_e32 v105, v13, v165
	v_add_f32_e32 v102, v102, v104
	s_waitcnt vmcnt(39)
	v_fmac_f32_e32 v106, v15, v166
	v_add_f32_e32 v102, v102, v105
	s_waitcnt vmcnt(38)
	v_fmac_f32_e32 v107, v17, v167
	v_add_f32_e32 v102, v102, v106
	s_waitcnt vmcnt(37)
	v_fmac_f32_e32 v108, v19, v168
	v_add_f32_e32 v102, v102, v107
	s_waitcnt vmcnt(36)
	v_fmac_f32_e32 v109, v21, v169
	v_add_f32_e32 v102, v102, v108
	s_waitcnt vmcnt(35)
	v_fmac_f32_e32 v110, v95, v170
	v_add_f32_e32 v102, v102, v109
	s_waitcnt vmcnt(34)
	v_fmac_f32_e32 v111, v97, v171
	v_add_f32_e32 v102, v102, v110
	s_waitcnt vmcnt(33) lgkmcnt(0)
	v_mul_f32_e32 v103, v98, v172
	v_add_f32_e32 v102, v102, v111
	s_waitcnt vmcnt(32)
	v_fmac_f32_e32 v103, v99, v173
	v_add_f32_e32 v106, v102, v103
	ds_read_b128 v[102:105], v4 offset:400
	s_waitcnt vmcnt(31)
	v_mul_f32_e32 v107, v100, v174
	s_waitcnt vmcnt(30)
	v_fmac_f32_e32 v107, v101, v175
	v_add_f32_e32 v110, v106, v107
	ds_read_b128 v[106:109], v4 offset:416
	s_waitcnt vmcnt(29) lgkmcnt(1)
	v_mul_f32_e32 v111, v102, v176
	s_waitcnt vmcnt(28)
	v_fmac_f32_e32 v111, v103, v177
	v_add_f32_e32 v110, v110, v111
	s_waitcnt vmcnt(27)
	v_mul_f32_e32 v111, v104, v178
	s_waitcnt vmcnt(26)
	v_fmac_f32_e32 v111, v105, v179
	v_add_f32_e32 v110, v110, v111
	s_waitcnt vmcnt(25) lgkmcnt(0)
	v_mul_f32_e32 v111, v106, v180
	s_waitcnt vmcnt(24)
	v_fmac_f32_e32 v111, v107, v181
	v_add_f32_e32 v114, v110, v111
	ds_read_b128 v[110:113], v4 offset:432
	s_waitcnt vmcnt(23)
	v_mul_f32_e32 v115, v108, v182
	s_waitcnt vmcnt(22)
	v_fmac_f32_e32 v115, v109, v183
	v_add_f32_e32 v118, v114, v115
	ds_read_b128 v[114:117], v4 offset:448
	s_waitcnt vmcnt(21) lgkmcnt(1)
	v_mul_f32_e32 v119, v110, v184
	s_waitcnt vmcnt(20)
	v_fmac_f32_e32 v119, v111, v185
	v_add_f32_e32 v118, v118, v119
	s_waitcnt vmcnt(18)
	v_mul_f32_e32 v119, v112, v187
	v_fmac_f32_e32 v119, v113, v186
	v_add_f32_e32 v118, v118, v119
	s_waitcnt vmcnt(15) lgkmcnt(0)
	v_mul_f32_e32 v119, v114, v188
	s_waitcnt vmcnt(14)
	v_fmac_f32_e32 v119, v115, v189
	v_add_f32_e32 v122, v118, v119
	ds_read_b128 v[118:121], v4 offset:464
	s_waitcnt vmcnt(12)
	v_mul_f32_e32 v123, v116, v191
	v_fmac_f32_e32 v123, v117, v190
	v_add_f32_e32 v126, v122, v123
	ds_read_b128 v[122:125], v4 offset:480
	buffer_load_dword v135, off, s[0:3], 0 offset:228
	buffer_load_dword v134, off, s[0:3], 0 offset:224
	s_waitcnt vmcnt(12) lgkmcnt(1)
	v_mul_f32_e32 v127, v118, v193
	v_fmac_f32_e32 v127, v119, v192
	v_add_f32_e32 v126, v126, v127
	s_waitcnt vmcnt(10)
	v_mul_f32_e32 v127, v120, v195
	v_fmac_f32_e32 v127, v121, v194
	v_add_f32_e32 v126, v126, v127
	s_waitcnt vmcnt(8) lgkmcnt(0)
	v_mul_f32_e32 v127, v122, v197
	v_fmac_f32_e32 v127, v123, v196
	s_waitcnt vmcnt(6)
	v_mul_f32_e32 v131, v124, v199
	v_add_f32_e32 v130, v126, v127
	v_fmac_f32_e32 v131, v125, v198
	ds_read_b128 v[126:129], v4 offset:496
	v_add_f32_e32 v137, v130, v131
	ds_read_b128 v[130:133], v4 offset:512
	buffer_load_dword v143, off, s[0:3], 0 offset:260
	buffer_load_dword v142, off, s[0:3], 0 offset:256
	;; [unrolled: 1-line block ×14, first 2 shown]
	v_mul_f32_e32 v5, v7, v5
	v_fma_f32 v5, v6, v162, -v5
	v_mul_f32_e32 v6, v9, v136
	v_add_f32_e32 v5, 0, v5
	v_fma_f32 v6, v8, v163, -v6
	v_add_f32_e32 v5, v5, v6
	v_mul_f32_e32 v6, v11, v138
	v_fma_f32 v6, v10, v164, -v6
	v_add_f32_e32 v5, v5, v6
	v_mul_f32_e32 v6, v13, v140
	;; [unrolled: 3-line block ×22, first 2 shown]
	v_fma_f32 v6, v124, v198, -v6
	s_waitcnt vmcnt(15)
	v_mov_b32_e32 v18, v135
	s_waitcnt lgkmcnt(1)
	v_mul_f32_e32 v139, v126, v201
	v_add_f32_e32 v136, v5, v6
	v_mul_f32_e32 v5, v127, v201
	s_waitcnt lgkmcnt(0)
	v_pk_mul_f32 v[18:19], v[130:131], v[18:19] op_sel_hi:[1,0]
	v_fmac_f32_e32 v139, v127, v200
	v_mul_f32_e32 v141, v128, v203
	v_fma_f32 v138, v126, v200, -v5
	v_mul_f32_e32 v5, v129, v203
	s_waitcnt vmcnt(14)
	v_pk_fma_f32 v[20:21], v[130:131], v[134:135], v[18:19] op_sel:[0,0,1] op_sel_hi:[1,1,0] neg_lo:[0,0,1] neg_hi:[0,0,1]
	v_pk_fma_f32 v[18:19], v[130:131], v[134:135], v[18:19] op_sel:[0,0,1] op_sel_hi:[1,0,0]
	v_fmac_f32_e32 v141, v129, v202
	v_fma_f32 v140, v128, v202, -v5
	ds_read_b128 v[6:9], v4 offset:528
	ds_read_b128 v[10:13], v4 offset:544
	;; [unrolled: 1-line block ×3, first 2 shown]
	v_pk_add_f32 v[4:5], v[136:137], v[138:139]
	s_waitcnt vmcnt(7)
	v_mov_b32_e32 v18, v149
	v_pk_add_f32 v[4:5], v[4:5], v[140:141]
	v_mov_b32_e32 v21, v19
	v_pk_mul_f32 v[18:19], v[132:133], v[18:19] op_sel_hi:[1,0]
	v_pk_add_f32 v[4:5], v[4:5], v[20:21]
	s_waitcnt vmcnt(6)
	v_pk_fma_f32 v[20:21], v[132:133], v[148:149], v[18:19] op_sel:[0,0,1] op_sel_hi:[1,1,0] neg_lo:[0,0,1] neg_hi:[0,0,1]
	v_pk_fma_f32 v[18:19], v[132:133], v[148:149], v[18:19] op_sel:[0,0,1] op_sel_hi:[1,0,0]
	v_mov_b32_e32 v18, v147
	v_mov_b32_e32 v21, v19
	s_waitcnt lgkmcnt(2)
	v_pk_mul_f32 v[18:19], v[6:7], v[18:19] op_sel_hi:[1,0]
	v_pk_add_f32 v[4:5], v[4:5], v[20:21]
	v_pk_fma_f32 v[20:21], v[6:7], v[146:147], v[18:19] op_sel:[0,0,1] op_sel_hi:[1,1,0] neg_lo:[0,0,1] neg_hi:[0,0,1]
	v_pk_fma_f32 v[6:7], v[6:7], v[146:147], v[18:19] op_sel:[0,0,1] op_sel_hi:[1,0,0]
	v_mov_b32_e32 v6, v145
	v_mov_b32_e32 v21, v7
	v_pk_mul_f32 v[6:7], v[8:9], v[6:7] op_sel_hi:[1,0]
	v_pk_fma_f32 v[18:19], v[8:9], v[144:145], v[6:7] op_sel:[0,0,1] op_sel_hi:[1,1,0] neg_lo:[0,0,1] neg_hi:[0,0,1]
	v_pk_fma_f32 v[6:7], v[8:9], v[144:145], v[6:7] op_sel:[0,0,1] op_sel_hi:[1,0,0]
	v_mov_b32_e32 v6, v143
	v_mov_b32_e32 v19, v7
	s_waitcnt lgkmcnt(1)
	v_pk_mul_f32 v[6:7], v[10:11], v[6:7] op_sel_hi:[1,0]
	v_pk_fma_f32 v[8:9], v[10:11], v[142:143], v[6:7] op_sel:[0,0,1] op_sel_hi:[1,1,0] neg_lo:[0,0,1] neg_hi:[0,0,1]
	v_pk_fma_f32 v[6:7], v[10:11], v[142:143], v[6:7] op_sel:[0,0,1] op_sel_hi:[1,0,0]
	v_pk_add_f32 v[4:5], v[4:5], v[20:21]
	s_waitcnt vmcnt(1)
	v_mov_b32_e32 v6, v155
	v_pk_add_f32 v[4:5], v[4:5], v[18:19]
	v_mov_b32_e32 v9, v7
	v_pk_mul_f32 v[6:7], v[12:13], v[6:7] op_sel_hi:[1,0]
	v_pk_add_f32 v[4:5], v[4:5], v[8:9]
	s_waitcnt vmcnt(0)
	v_pk_fma_f32 v[8:9], v[12:13], v[154:155], v[6:7] op_sel:[0,0,1] op_sel_hi:[1,1,0] neg_lo:[0,0,1] neg_hi:[0,0,1]
	v_pk_fma_f32 v[6:7], v[12:13], v[154:155], v[6:7] op_sel:[0,0,1] op_sel_hi:[1,0,0]
	v_mov_b32_e32 v6, v153
	v_mov_b32_e32 v9, v7
	s_waitcnt lgkmcnt(0)
	v_pk_mul_f32 v[6:7], v[14:15], v[6:7] op_sel_hi:[1,0]
	v_pk_add_f32 v[4:5], v[4:5], v[8:9]
	v_pk_fma_f32 v[8:9], v[14:15], v[152:153], v[6:7] op_sel:[0,0,1] op_sel_hi:[1,1,0] neg_lo:[0,0,1] neg_hi:[0,0,1]
	v_pk_fma_f32 v[6:7], v[14:15], v[152:153], v[6:7] op_sel:[0,0,1] op_sel_hi:[1,0,0]
	v_mov_b32_e32 v6, v151
	v_mov_b32_e32 v9, v7
	v_pk_mul_f32 v[6:7], v[16:17], v[6:7] op_sel_hi:[1,0]
	v_pk_add_f32 v[4:5], v[4:5], v[8:9]
	v_pk_fma_f32 v[8:9], v[16:17], v[150:151], v[6:7] op_sel:[0,0,1] op_sel_hi:[1,1,0] neg_lo:[0,0,1] neg_hi:[0,0,1]
	v_pk_fma_f32 v[6:7], v[16:17], v[150:151], v[6:7] op_sel:[0,0,1] op_sel_hi:[1,0,0]
	v_mov_b32_e32 v9, v7
	v_pk_add_f32 v[4:5], v[4:5], v[8:9]
	v_pk_add_f32 v[2:3], v[2:3], v[4:5] neg_lo:[0,1] neg_hi:[0,1]
	buffer_store_dword v3, off, s[0:3], 0 offset:12
	buffer_store_dword v2, off, s[0:3], 0 offset:8
	s_and_saveexec_b64 s[4:5], vcc
	s_cbranch_execz .LBB35_229
; %bb.228:
	buffer_load_dword v2, off, s[0:3], 0
	buffer_load_dword v3, off, s[0:3], 0 offset:4
	v_mov_b32_e32 v0, 0
	buffer_store_dword v0, off, s[0:3], 0
	buffer_store_dword v0, off, s[0:3], 0 offset:4
	s_waitcnt vmcnt(2)
	ds_write_b64 v1, v[2:3]
.LBB35_229:
	s_or_b64 exec, exec, s[4:5]
	s_waitcnt lgkmcnt(0)
	; wave barrier
	s_waitcnt lgkmcnt(0)
	buffer_load_dword v130, off, s[0:3], 0 offset:12
	buffer_load_dword v132, off, s[0:3], 0 offset:20
	;; [unrolled: 1-line block ×32, first 2 shown]
	buffer_load_dword v0, off, s[0:3], 0
	buffer_load_dword v1, off, s[0:3], 0 offset:4
	buffer_load_dword v181, off, s[0:3], 0 offset:136
	buffer_load_dword v182, off, s[0:3], 0 offset:140
	buffer_load_dword v184, off, s[0:3], 0 offset:144
	buffer_load_dword v185, off, s[0:3], 0 offset:148
	buffer_load_dword v186, off, s[0:3], 0 offset:152
	buffer_load_dword v187, off, s[0:3], 0 offset:156
	buffer_load_dword v188, off, s[0:3], 0 offset:160
	buffer_load_dword v189, off, s[0:3], 0 offset:164
	buffer_load_dword v190, off, s[0:3], 0 offset:168
	buffer_load_dword v191, off, s[0:3], 0 offset:172
	buffer_load_dword v192, off, s[0:3], 0 offset:176
	buffer_load_dword v193, off, s[0:3], 0 offset:180
	buffer_load_dword v194, off, s[0:3], 0 offset:184
	buffer_load_dword v195, off, s[0:3], 0 offset:188
	buffer_load_dword v196, off, s[0:3], 0 offset:192
	buffer_load_dword v197, off, s[0:3], 0 offset:196
	buffer_load_dword v198, off, s[0:3], 0 offset:200
	buffer_load_dword v199, off, s[0:3], 0 offset:204
	buffer_load_dword v200, off, s[0:3], 0 offset:208
	buffer_load_dword v201, off, s[0:3], 0 offset:212
	buffer_load_dword v202, off, s[0:3], 0 offset:216
	buffer_load_dword v203, off, s[0:3], 0 offset:220
	v_mov_b32_e32 v183, 0
	ds_read2_b64 v[2:5], v183 offset0:37 offset1:38
	ds_read2_b64 v[6:9], v183 offset0:39 offset1:40
	;; [unrolled: 1-line block ×6, first 2 shown]
	s_and_b64 vcc, exec, s[20:21]
	s_waitcnt vmcnt(55) lgkmcnt(5)
	v_mul_f32_e32 v98, v2, v130
	s_waitcnt vmcnt(54)
	v_mul_f32_e32 v99, v4, v132
	s_waitcnt vmcnt(53) lgkmcnt(4)
	v_mul_f32_e32 v100, v6, v134
	s_waitcnt vmcnt(52)
	v_mul_f32_e32 v101, v8, v152
	;; [unrolled: 4-line block ×4, first 2 shown]
	s_waitcnt vmcnt(47) lgkmcnt(1)
	v_mul_f32_e32 v106, v18, v157
	s_waitcnt vmcnt(46)
	v_fmac_f32_e32 v98, v3, v158
	s_waitcnt vmcnt(45)
	v_fmac_f32_e32 v99, v5, v159
	v_add_f32_e32 v98, 0, v98
	s_waitcnt vmcnt(44)
	v_fmac_f32_e32 v100, v7, v160
	v_add_f32_e32 v98, v98, v99
	;; [unrolled: 3-line block ×7, first 2 shown]
	v_add_f32_e32 v98, v98, v105
	s_waitcnt vmcnt(38)
	v_fmac_f32_e32 v106, v19, v166
	s_waitcnt vmcnt(37)
	v_mul_f32_e32 v99, v20, v167
	v_add_f32_e32 v98, v98, v106
	s_waitcnt vmcnt(36)
	v_fmac_f32_e32 v99, v21, v168
	v_add_f32_e32 v98, v98, v99
	s_waitcnt vmcnt(35) lgkmcnt(0)
	v_mul_f32_e32 v99, v94, v169
	s_waitcnt vmcnt(34)
	v_fmac_f32_e32 v99, v95, v170
	v_add_f32_e32 v102, v98, v99
	ds_read2_b64 v[98:101], v183 offset0:49 offset1:50
	s_waitcnt vmcnt(33)
	v_mul_f32_e32 v103, v96, v171
	s_waitcnt vmcnt(32)
	v_fmac_f32_e32 v103, v97, v172
	v_add_f32_e32 v106, v102, v103
	ds_read2_b64 v[102:105], v183 offset0:51 offset1:52
	s_waitcnt vmcnt(31) lgkmcnt(1)
	v_mul_f32_e32 v107, v98, v173
	s_waitcnt vmcnt(30)
	v_fmac_f32_e32 v107, v99, v174
	v_add_f32_e32 v106, v106, v107
	s_waitcnt vmcnt(29)
	v_mul_f32_e32 v107, v100, v175
	s_waitcnt vmcnt(28)
	v_fmac_f32_e32 v107, v101, v176
	v_add_f32_e32 v106, v106, v107
	s_waitcnt vmcnt(27) lgkmcnt(0)
	v_mul_f32_e32 v107, v102, v177
	s_waitcnt vmcnt(26)
	v_fmac_f32_e32 v107, v103, v178
	v_add_f32_e32 v110, v106, v107
	ds_read2_b64 v[106:109], v183 offset0:53 offset1:54
	s_waitcnt vmcnt(24)
	v_mul_f32_e32 v111, v104, v180
	v_fmac_f32_e32 v111, v105, v179
	v_add_f32_e32 v114, v110, v111
	ds_read2_b64 v[110:113], v183 offset0:55 offset1:56
	s_waitcnt vmcnt(20) lgkmcnt(1)
	v_mul_f32_e32 v115, v106, v182
	v_fmac_f32_e32 v115, v107, v181
	v_add_f32_e32 v114, v114, v115
	s_waitcnt vmcnt(18)
	v_mul_f32_e32 v115, v108, v185
	v_fmac_f32_e32 v115, v109, v184
	v_add_f32_e32 v114, v114, v115
	s_waitcnt vmcnt(16) lgkmcnt(0)
	v_mul_f32_e32 v115, v110, v187
	v_fmac_f32_e32 v115, v111, v186
	v_add_f32_e32 v118, v114, v115
	ds_read2_b64 v[114:117], v183 offset0:57 offset1:58
	s_waitcnt vmcnt(14)
	v_mul_f32_e32 v119, v112, v189
	v_fmac_f32_e32 v119, v113, v188
	v_add_f32_e32 v122, v118, v119
	ds_read2_b64 v[118:121], v183 offset0:59 offset1:60
	s_waitcnt vmcnt(12) lgkmcnt(1)
	v_mul_f32_e32 v123, v114, v191
	v_fmac_f32_e32 v123, v115, v190
	v_add_f32_e32 v122, v122, v123
	s_waitcnt vmcnt(10)
	v_mul_f32_e32 v123, v116, v193
	v_fmac_f32_e32 v123, v117, v192
	v_add_f32_e32 v122, v122, v123
	s_waitcnt vmcnt(8) lgkmcnt(0)
	v_mul_f32_e32 v123, v118, v195
	v_fmac_f32_e32 v123, v119, v194
	s_waitcnt vmcnt(6)
	v_mul_f32_e32 v127, v120, v197
	v_add_f32_e32 v126, v122, v123
	v_fmac_f32_e32 v127, v121, v196
	ds_read2_b64 v[122:125], v183 offset0:61 offset1:62
	v_add_f32_e32 v131, v126, v127
	ds_read2_b64 v[126:129], v183 offset0:63 offset1:64
	buffer_load_dword v137, off, s[0:3], 0 offset:252
	buffer_load_dword v136, off, s[0:3], 0 offset:248
	;; [unrolled: 1-line block ×16, first 2 shown]
	v_mul_f32_e32 v3, v3, v130
	v_fma_f32 v2, v2, v158, -v3
	v_mul_f32_e32 v3, v5, v132
	v_add_f32_e32 v2, 0, v2
	v_fma_f32 v3, v4, v159, -v3
	v_add_f32_e32 v2, v2, v3
	v_mul_f32_e32 v3, v7, v134
	v_fma_f32 v3, v6, v160, -v3
	v_add_f32_e32 v2, v2, v3
	v_mul_f32_e32 v3, v9, v152
	;; [unrolled: 3-line block ×22, first 2 shown]
	v_fma_f32 v3, v120, v196, -v3
	v_add_f32_e32 v2, v2, v3
	s_waitcnt vmcnt(20) lgkmcnt(1)
	v_mul_f32_e32 v3, v123, v199
	v_mul_f32_e32 v133, v122, v199
	v_fma_f32 v3, v122, v198, -v3
	v_fmac_f32_e32 v133, v123, v198
	v_add_f32_e32 v130, v2, v3
	s_waitcnt vmcnt(18)
	v_mul_f32_e32 v2, v125, v201
	s_waitcnt vmcnt(9)
	v_mov_b32_e32 v18, v143
	v_add_f32_e32 v131, v131, v133
	v_mul_f32_e32 v133, v124, v201
	v_fma_f32 v132, v124, v200, -v2
	s_waitcnt lgkmcnt(0)
	v_mul_f32_e32 v2, v127, v203
	v_pk_mul_f32 v[18:19], v[128:129], v[18:19] op_sel_hi:[1,0]
	v_fmac_f32_e32 v133, v125, v200
	v_mul_f32_e32 v135, v126, v203
	v_fma_f32 v134, v126, v202, -v2
	ds_read2_b64 v[2:5], v183 offset0:65 offset1:66
	ds_read2_b64 v[6:9], v183 offset0:67 offset1:68
	ds_read2_b64 v[10:13], v183 offset0:69 offset1:70
	ds_read_b64 v[14:15], v183 offset:568
	s_waitcnt vmcnt(8)
	v_pk_fma_f32 v[20:21], v[128:129], v[142:143], v[18:19] op_sel:[0,0,1] op_sel_hi:[1,1,0] neg_lo:[0,0,1] neg_hi:[0,0,1]
	v_pk_fma_f32 v[18:19], v[128:129], v[142:143], v[18:19] op_sel:[0,0,1] op_sel_hi:[1,0,0]
	v_fmac_f32_e32 v135, v127, v202
	v_pk_add_f32 v[16:17], v[130:131], v[132:133]
	v_mov_b32_e32 v18, v141
	v_pk_add_f32 v[16:17], v[16:17], v[134:135]
	v_mov_b32_e32 v21, v19
	s_waitcnt lgkmcnt(3)
	v_pk_mul_f32 v[18:19], v[2:3], v[18:19] op_sel_hi:[1,0]
	v_pk_add_f32 v[16:17], v[16:17], v[20:21]
	v_pk_fma_f32 v[20:21], v[2:3], v[140:141], v[18:19] op_sel:[0,0,1] op_sel_hi:[1,1,0] neg_lo:[0,0,1] neg_hi:[0,0,1]
	v_pk_fma_f32 v[2:3], v[2:3], v[140:141], v[18:19] op_sel:[0,0,1] op_sel_hi:[1,0,0]
	v_mov_b32_e32 v21, v3
	v_pk_add_f32 v[2:3], v[16:17], v[20:21]
	v_mov_b32_e32 v16, v139
	v_pk_mul_f32 v[16:17], v[4:5], v[16:17] op_sel_hi:[1,0]
	v_pk_fma_f32 v[18:19], v[4:5], v[138:139], v[16:17] op_sel:[0,0,1] op_sel_hi:[1,1,0] neg_lo:[0,0,1] neg_hi:[0,0,1]
	v_pk_fma_f32 v[4:5], v[4:5], v[138:139], v[16:17] op_sel:[0,0,1] op_sel_hi:[1,0,0]
	v_mov_b32_e32 v4, v137
	v_mov_b32_e32 v19, v5
	s_waitcnt lgkmcnt(2)
	v_pk_mul_f32 v[4:5], v[6:7], v[4:5] op_sel_hi:[1,0]
	v_pk_fma_f32 v[16:17], v[6:7], v[136:137], v[4:5] op_sel:[0,0,1] op_sel_hi:[1,1,0] neg_lo:[0,0,1] neg_hi:[0,0,1]
	v_pk_fma_f32 v[4:5], v[6:7], v[136:137], v[4:5] op_sel:[0,0,1] op_sel_hi:[1,0,0]
	s_waitcnt vmcnt(1)
	v_mov_b32_e32 v4, v151
	v_mov_b32_e32 v17, v5
	v_pk_mul_f32 v[4:5], v[8:9], v[4:5] op_sel_hi:[1,0]
	s_waitcnt vmcnt(0)
	v_pk_fma_f32 v[6:7], v[8:9], v[150:151], v[4:5] op_sel:[0,0,1] op_sel_hi:[1,1,0] neg_lo:[0,0,1] neg_hi:[0,0,1]
	v_pk_fma_f32 v[4:5], v[8:9], v[150:151], v[4:5] op_sel:[0,0,1] op_sel_hi:[1,0,0]
	v_pk_add_f32 v[2:3], v[2:3], v[18:19]
	v_mov_b32_e32 v4, v149
	v_pk_add_f32 v[2:3], v[2:3], v[16:17]
	v_mov_b32_e32 v7, v5
	s_waitcnt lgkmcnt(1)
	v_pk_mul_f32 v[4:5], v[10:11], v[4:5] op_sel_hi:[1,0]
	v_pk_add_f32 v[2:3], v[2:3], v[6:7]
	v_pk_fma_f32 v[6:7], v[10:11], v[148:149], v[4:5] op_sel:[0,0,1] op_sel_hi:[1,1,0] neg_lo:[0,0,1] neg_hi:[0,0,1]
	v_pk_fma_f32 v[4:5], v[10:11], v[148:149], v[4:5] op_sel:[0,0,1] op_sel_hi:[1,0,0]
	v_mov_b32_e32 v4, v147
	v_mov_b32_e32 v7, v5
	v_pk_mul_f32 v[4:5], v[12:13], v[4:5] op_sel_hi:[1,0]
	v_pk_add_f32 v[2:3], v[2:3], v[6:7]
	v_pk_fma_f32 v[6:7], v[12:13], v[146:147], v[4:5] op_sel:[0,0,1] op_sel_hi:[1,1,0] neg_lo:[0,0,1] neg_hi:[0,0,1]
	v_pk_fma_f32 v[4:5], v[12:13], v[146:147], v[4:5] op_sel:[0,0,1] op_sel_hi:[1,0,0]
	v_mov_b32_e32 v4, v145
	v_mov_b32_e32 v7, v5
	s_waitcnt lgkmcnt(0)
	v_pk_mul_f32 v[4:5], v[14:15], v[4:5] op_sel_hi:[1,0]
	v_pk_add_f32 v[2:3], v[2:3], v[6:7]
	v_pk_fma_f32 v[6:7], v[14:15], v[144:145], v[4:5] op_sel:[0,0,1] op_sel_hi:[1,1,0] neg_lo:[0,0,1] neg_hi:[0,0,1]
	v_pk_fma_f32 v[4:5], v[14:15], v[144:145], v[4:5] op_sel:[0,0,1] op_sel_hi:[1,0,0]
	v_mov_b32_e32 v7, v5
	v_pk_add_f32 v[2:3], v[2:3], v[6:7]
	v_pk_add_f32 v[0:1], v[0:1], v[2:3] neg_lo:[0,1] neg_hi:[0,1]
	buffer_store_dword v1, off, s[0:3], 0 offset:4
	buffer_store_dword v0, off, s[0:3], 0
	s_cbranch_vccz .LBB35_301
; %bb.230:
	v_pk_mov_b32 v[0:1], s[10:11], s[10:11] op_sel:[0,1]
	flat_load_dword v0, v[0:1] offset:136
	s_waitcnt vmcnt(0) lgkmcnt(0)
	v_add_u32_e32 v0, -1, v0
	v_cmp_ne_u32_e32 vcc, 34, v0
	s_and_saveexec_b64 s[4:5], vcc
	s_cbranch_execz .LBB35_232
; %bb.231:
	v_mov_b32_e32 v1, 0
	v_lshl_add_u32 v0, v0, 3, v1
	buffer_load_dword v1, v0, s[0:3], 0 offen
	buffer_load_dword v2, v0, s[0:3], 0 offen offset:4
	buffer_load_dword v3, off, s[0:3], 0 offset:276
	buffer_load_dword v4, off, s[0:3], 0 offset:272
	s_waitcnt vmcnt(3)
	buffer_store_dword v1, off, s[0:3], 0 offset:272
	s_waitcnt vmcnt(3)
	buffer_store_dword v2, off, s[0:3], 0 offset:276
	s_waitcnt vmcnt(3)
	buffer_store_dword v3, v0, s[0:3], 0 offen offset:4
	s_waitcnt vmcnt(3)
	buffer_store_dword v4, v0, s[0:3], 0 offen
.LBB35_232:
	s_or_b64 exec, exec, s[4:5]
	v_pk_mov_b32 v[0:1], s[10:11], s[10:11] op_sel:[0,1]
	flat_load_dword v0, v[0:1] offset:132
	s_waitcnt vmcnt(0) lgkmcnt(0)
	v_add_u32_e32 v0, -1, v0
	v_cmp_ne_u32_e32 vcc, 33, v0
	s_and_saveexec_b64 s[4:5], vcc
	s_cbranch_execz .LBB35_234
; %bb.233:
	v_mov_b32_e32 v1, 0
	v_lshl_add_u32 v0, v0, 3, v1
	buffer_load_dword v1, v0, s[0:3], 0 offen
	buffer_load_dword v2, v0, s[0:3], 0 offen offset:4
	buffer_load_dword v3, off, s[0:3], 0 offset:264
	buffer_load_dword v4, off, s[0:3], 0 offset:268
	s_waitcnt vmcnt(3)
	buffer_store_dword v1, off, s[0:3], 0 offset:264
	s_waitcnt vmcnt(3)
	buffer_store_dword v2, off, s[0:3], 0 offset:268
	s_waitcnt vmcnt(3)
	buffer_store_dword v3, v0, s[0:3], 0 offen
	s_waitcnt vmcnt(3)
	buffer_store_dword v4, v0, s[0:3], 0 offen offset:4
.LBB35_234:
	s_or_b64 exec, exec, s[4:5]
	v_pk_mov_b32 v[0:1], s[10:11], s[10:11] op_sel:[0,1]
	flat_load_dword v0, v[0:1] offset:128
	s_waitcnt vmcnt(0) lgkmcnt(0)
	v_add_u32_e32 v0, -1, v0
	v_cmp_ne_u32_e32 vcc, 32, v0
	s_and_saveexec_b64 s[4:5], vcc
	s_cbranch_execz .LBB35_236
; %bb.235:
	v_mov_b32_e32 v1, 0
	v_lshl_add_u32 v0, v0, 3, v1
	buffer_load_dword v1, v0, s[0:3], 0 offen
	buffer_load_dword v2, v0, s[0:3], 0 offen offset:4
	buffer_load_dword v3, off, s[0:3], 0 offset:260
	buffer_load_dword v4, off, s[0:3], 0 offset:256
	s_waitcnt vmcnt(3)
	buffer_store_dword v1, off, s[0:3], 0 offset:256
	s_waitcnt vmcnt(3)
	buffer_store_dword v2, off, s[0:3], 0 offset:260
	s_waitcnt vmcnt(3)
	buffer_store_dword v3, v0, s[0:3], 0 offen offset:4
	s_waitcnt vmcnt(3)
	buffer_store_dword v4, v0, s[0:3], 0 offen
.LBB35_236:
	s_or_b64 exec, exec, s[4:5]
	v_pk_mov_b32 v[0:1], s[10:11], s[10:11] op_sel:[0,1]
	flat_load_dword v0, v[0:1] offset:124
	s_waitcnt vmcnt(0) lgkmcnt(0)
	v_add_u32_e32 v0, -1, v0
	v_cmp_ne_u32_e32 vcc, 31, v0
	s_and_saveexec_b64 s[4:5], vcc
	s_cbranch_execz .LBB35_238
; %bb.237:
	v_mov_b32_e32 v1, 0
	v_lshl_add_u32 v0, v0, 3, v1
	buffer_load_dword v1, v0, s[0:3], 0 offen
	buffer_load_dword v2, v0, s[0:3], 0 offen offset:4
	buffer_load_dword v3, off, s[0:3], 0 offset:248
	buffer_load_dword v4, off, s[0:3], 0 offset:252
	s_waitcnt vmcnt(3)
	buffer_store_dword v1, off, s[0:3], 0 offset:248
	s_waitcnt vmcnt(3)
	buffer_store_dword v2, off, s[0:3], 0 offset:252
	s_waitcnt vmcnt(3)
	buffer_store_dword v3, v0, s[0:3], 0 offen
	s_waitcnt vmcnt(3)
	buffer_store_dword v4, v0, s[0:3], 0 offen offset:4
.LBB35_238:
	s_or_b64 exec, exec, s[4:5]
	;; [unrolled: 48-line block ×17, first 2 shown]
	v_pk_mov_b32 v[0:1], s[10:11], s[10:11] op_sel:[0,1]
	flat_load_dword v2, v[0:1]
	s_nop 0
	buffer_load_dword v0, off, s[0:3], 0
	buffer_load_dword v1, off, s[0:3], 0 offset:4
	s_waitcnt vmcnt(0) lgkmcnt(0)
	v_add_u32_e32 v2, -1, v2
	v_cmp_ne_u32_e32 vcc, 0, v2
	s_and_saveexec_b64 s[4:5], vcc
	s_cbranch_execz .LBB35_300
; %bb.299:
	v_mov_b32_e32 v3, 0
	v_lshl_add_u32 v2, v2, 3, v3
	buffer_load_dword v3, v2, s[0:3], 0 offen offset:4
	buffer_load_dword v4, v2, s[0:3], 0 offen
	s_waitcnt vmcnt(1)
	buffer_store_dword v3, off, s[0:3], 0 offset:4
	s_waitcnt vmcnt(1)
	buffer_store_dword v4, off, s[0:3], 0
	buffer_store_dword v1, v2, s[0:3], 0 offen offset:4
	buffer_store_dword v0, v2, s[0:3], 0 offen
	buffer_load_dword v0, off, s[0:3], 0
	s_nop 0
	buffer_load_dword v1, off, s[0:3], 0 offset:4
.LBB35_300:
	s_or_b64 exec, exec, s[4:5]
.LBB35_301:
	buffer_load_dword v2, off, s[0:3], 0 offset:8
	buffer_load_dword v3, off, s[0:3], 0 offset:12
	;; [unrolled: 1-line block ×70, first 2 shown]
	s_waitcnt vmcnt(62)
	global_store_dwordx2 v[82:83], v[0:1], off
	global_store_dwordx2 v[84:85], v[2:3], off
	;; [unrolled: 1-line block ×5, first 2 shown]
	s_waitcnt vmcnt(62)
	global_store_dwordx2 v[28:29], v[10:11], off
	global_store_dwordx2 v[30:31], v[12:13], off
	s_waitcnt vmcnt(62)
	global_store_dwordx2 v[32:33], v[14:15], off
	s_waitcnt vmcnt(62)
	;; [unrolled: 2-line block ×29, first 2 shown]
	global_store_dwordx2 v[92:93], v[142:143], off
	s_endpgm
	.section	.rodata,"a",@progbits
	.p2align	6, 0x0
	.amdhsa_kernel _ZN9rocsolver6v33100L18getri_kernel_smallILi36E19rocblas_complex_numIfEPS3_EEvT1_iilPiilS6_bb
		.amdhsa_group_segment_fixed_size 580
		.amdhsa_private_segment_fixed_size 304
		.amdhsa_kernarg_size 60
		.amdhsa_user_sgpr_count 8
		.amdhsa_user_sgpr_private_segment_buffer 1
		.amdhsa_user_sgpr_dispatch_ptr 0
		.amdhsa_user_sgpr_queue_ptr 0
		.amdhsa_user_sgpr_kernarg_segment_ptr 1
		.amdhsa_user_sgpr_dispatch_id 0
		.amdhsa_user_sgpr_flat_scratch_init 1
		.amdhsa_user_sgpr_kernarg_preload_length 0
		.amdhsa_user_sgpr_kernarg_preload_offset 0
		.amdhsa_user_sgpr_private_segment_size 0
		.amdhsa_uses_dynamic_stack 0
		.amdhsa_system_sgpr_private_segment_wavefront_offset 1
		.amdhsa_system_sgpr_workgroup_id_x 1
		.amdhsa_system_sgpr_workgroup_id_y 0
		.amdhsa_system_sgpr_workgroup_id_z 0
		.amdhsa_system_sgpr_workgroup_info 0
		.amdhsa_system_vgpr_workitem_id 0
		.amdhsa_next_free_vgpr 204
		.amdhsa_next_free_sgpr 23
		.amdhsa_accum_offset 204
		.amdhsa_reserve_vcc 1
		.amdhsa_reserve_flat_scratch 1
		.amdhsa_float_round_mode_32 0
		.amdhsa_float_round_mode_16_64 0
		.amdhsa_float_denorm_mode_32 3
		.amdhsa_float_denorm_mode_16_64 3
		.amdhsa_dx10_clamp 1
		.amdhsa_ieee_mode 1
		.amdhsa_fp16_overflow 0
		.amdhsa_tg_split 0
		.amdhsa_exception_fp_ieee_invalid_op 0
		.amdhsa_exception_fp_denorm_src 0
		.amdhsa_exception_fp_ieee_div_zero 0
		.amdhsa_exception_fp_ieee_overflow 0
		.amdhsa_exception_fp_ieee_underflow 0
		.amdhsa_exception_fp_ieee_inexact 0
		.amdhsa_exception_int_div_zero 0
	.end_amdhsa_kernel
	.section	.text._ZN9rocsolver6v33100L18getri_kernel_smallILi36E19rocblas_complex_numIfEPS3_EEvT1_iilPiilS6_bb,"axG",@progbits,_ZN9rocsolver6v33100L18getri_kernel_smallILi36E19rocblas_complex_numIfEPS3_EEvT1_iilPiilS6_bb,comdat
.Lfunc_end35:
	.size	_ZN9rocsolver6v33100L18getri_kernel_smallILi36E19rocblas_complex_numIfEPS3_EEvT1_iilPiilS6_bb, .Lfunc_end35-_ZN9rocsolver6v33100L18getri_kernel_smallILi36E19rocblas_complex_numIfEPS3_EEvT1_iilPiilS6_bb
                                        ; -- End function
	.section	.AMDGPU.csdata,"",@progbits
; Kernel info:
; codeLenInByte = 57868
; NumSgprs: 29
; NumVgprs: 204
; NumAgprs: 0
; TotalNumVgprs: 204
; ScratchSize: 304
; MemoryBound: 0
; FloatMode: 240
; IeeeMode: 1
; LDSByteSize: 580 bytes/workgroup (compile time only)
; SGPRBlocks: 3
; VGPRBlocks: 25
; NumSGPRsForWavesPerEU: 29
; NumVGPRsForWavesPerEU: 204
; AccumOffset: 204
; Occupancy: 2
; WaveLimiterHint : 1
; COMPUTE_PGM_RSRC2:SCRATCH_EN: 1
; COMPUTE_PGM_RSRC2:USER_SGPR: 8
; COMPUTE_PGM_RSRC2:TRAP_HANDLER: 0
; COMPUTE_PGM_RSRC2:TGID_X_EN: 1
; COMPUTE_PGM_RSRC2:TGID_Y_EN: 0
; COMPUTE_PGM_RSRC2:TGID_Z_EN: 0
; COMPUTE_PGM_RSRC2:TIDIG_COMP_CNT: 0
; COMPUTE_PGM_RSRC3_GFX90A:ACCUM_OFFSET: 50
; COMPUTE_PGM_RSRC3_GFX90A:TG_SPLIT: 0
	.section	.text._ZN9rocsolver6v33100L18getri_kernel_smallILi37E19rocblas_complex_numIfEPS3_EEvT1_iilPiilS6_bb,"axG",@progbits,_ZN9rocsolver6v33100L18getri_kernel_smallILi37E19rocblas_complex_numIfEPS3_EEvT1_iilPiilS6_bb,comdat
	.globl	_ZN9rocsolver6v33100L18getri_kernel_smallILi37E19rocblas_complex_numIfEPS3_EEvT1_iilPiilS6_bb ; -- Begin function _ZN9rocsolver6v33100L18getri_kernel_smallILi37E19rocblas_complex_numIfEPS3_EEvT1_iilPiilS6_bb
	.p2align	8
	.type	_ZN9rocsolver6v33100L18getri_kernel_smallILi37E19rocblas_complex_numIfEPS3_EEvT1_iilPiilS6_bb,@function
_ZN9rocsolver6v33100L18getri_kernel_smallILi37E19rocblas_complex_numIfEPS3_EEvT1_iilPiilS6_bb: ; @_ZN9rocsolver6v33100L18getri_kernel_smallILi37E19rocblas_complex_numIfEPS3_EEvT1_iilPiilS6_bb
; %bb.0:
	s_add_u32 flat_scratch_lo, s6, s9
	s_addc_u32 flat_scratch_hi, s7, 0
	s_add_u32 s0, s0, s9
	s_addc_u32 s1, s1, 0
	v_cmp_gt_u32_e32 vcc, 37, v0
	s_and_saveexec_b64 s[6:7], vcc
	s_cbranch_execz .LBB36_162
; %bb.1:
	s_load_dword s22, s[4:5], 0x38
	s_load_dwordx4 s[16:19], s[4:5], 0x10
	s_load_dwordx4 s[12:15], s[4:5], 0x28
                                        ; implicit-def: $sgpr10_sgpr11
	s_waitcnt lgkmcnt(0)
	s_bitcmp1_b32 s22, 8
	s_cselect_b64 s[20:21], -1, 0
	s_ashr_i32 s9, s8, 31
	s_bfe_u32 s6, s22, 0x10008
	s_cmp_eq_u32 s6, 0
	s_cbranch_scc1 .LBB36_3
; %bb.2:
	s_load_dword s6, s[4:5], 0x20
	s_mul_i32 s7, s8, s13
	s_mul_hi_u32 s10, s8, s12
	s_mul_i32 s11, s9, s12
	s_add_i32 s10, s10, s7
	s_add_i32 s11, s10, s11
	s_mul_i32 s10, s8, s12
	s_waitcnt lgkmcnt(0)
	s_ashr_i32 s7, s6, 31
	s_lshl_b64 s[10:11], s[10:11], 2
	s_add_u32 s10, s18, s10
	s_addc_u32 s11, s19, s11
	s_lshl_b64 s[6:7], s[6:7], 2
	s_add_u32 s10, s10, s6
	s_addc_u32 s11, s11, s7
.LBB36_3:
	s_load_dwordx4 s[4:7], s[4:5], 0x0
	s_mul_i32 s12, s8, s17
	s_mul_hi_u32 s13, s8, s16
	s_add_i32 s17, s13, s12
	v_lshlrev_b32_e32 v80, 3, v0
	s_waitcnt lgkmcnt(0)
	s_ashr_i32 s13, s6, 31
	s_mov_b32 s12, s6
	s_mul_i32 s6, s9, s16
	s_add_i32 s17, s17, s6
	s_mul_i32 s16, s8, s16
	s_lshl_b64 s[16:17], s[16:17], 3
	s_add_u32 s6, s4, s16
	s_addc_u32 s16, s5, s17
	s_lshl_b64 s[4:5], s[12:13], 3
	s_add_u32 s4, s6, s4
	s_addc_u32 s5, s16, s5
	s_add_i32 s6, s7, s7
	v_add_u32_e32 v2, s6, v0
	v_ashrrev_i32_e32 v3, 31, v2
	v_lshlrev_b64 v[4:5], 3, v[2:3]
	v_add_u32_e32 v2, s7, v2
	v_mov_b32_e32 v1, s5
	v_add_co_u32_e32 v6, vcc, s4, v4
	v_ashrrev_i32_e32 v3, 31, v2
	v_addc_co_u32_e32 v7, vcc, v1, v5, vcc
	v_lshlrev_b64 v[4:5], 3, v[2:3]
	v_add_u32_e32 v2, s7, v2
	v_add_co_u32_e32 v8, vcc, s4, v4
	v_ashrrev_i32_e32 v3, 31, v2
	v_addc_co_u32_e32 v9, vcc, v1, v5, vcc
	v_lshlrev_b64 v[4:5], 3, v[2:3]
	v_add_u32_e32 v2, s7, v2
	;; [unrolled: 5-line block ×28, first 2 shown]
	v_add_co_u32_e32 v62, vcc, s4, v4
	v_ashrrev_i32_e32 v3, 31, v2
	v_addc_co_u32_e32 v63, vcc, v1, v5, vcc
	v_lshlrev_b64 v[4:5], 3, v[2:3]
	v_add_co_u32_e32 v64, vcc, s4, v4
	v_add_u32_e32 v2, s7, v2
	v_addc_co_u32_e32 v65, vcc, v1, v5, vcc
	v_ashrrev_i32_e32 v3, 31, v2
	v_lshlrev_b64 v[4:5], 3, v[2:3]
	v_mov_b32_e32 v3, s5
	v_add_co_u32_e32 v68, vcc, s4, v80
	s_ashr_i32 s13, s7, 31
	s_mov_b32 s12, s7
	v_addc_co_u32_e32 v69, vcc, 0, v3, vcc
	s_lshl_b64 s[12:13], s[12:13], 3
	v_mov_b32_e32 v3, s13
	v_add_co_u32_e32 v70, vcc, s12, v68
	v_addc_co_u32_e32 v71, vcc, v69, v3, vcc
	v_add_u32_e32 v2, s7, v2
	v_add_co_u32_e32 v66, vcc, s4, v4
	v_ashrrev_i32_e32 v3, 31, v2
	v_addc_co_u32_e32 v67, vcc, v1, v5, vcc
	v_lshlrev_b64 v[72:73], 3, v[2:3]
	v_add_u32_e32 v2, s7, v2
	v_add_co_u32_e32 v72, vcc, s4, v72
	v_ashrrev_i32_e32 v3, 31, v2
	v_addc_co_u32_e32 v73, vcc, v1, v73, vcc
	v_lshlrev_b64 v[74:75], 3, v[2:3]
	;; [unrolled: 5-line block ×3, first 2 shown]
	v_add_co_u32_e32 v76, vcc, s4, v76
	global_load_dwordx2 v[82:83], v80, s[4:5]
	global_load_dwordx2 v[84:85], v[70:71], off
	global_load_dwordx2 v[86:87], v[6:7], off
	;; [unrolled: 1-line block ×27, first 2 shown]
	v_addc_co_u32_e32 v77, vcc, v1, v77, vcc
	global_load_dwordx2 v[136:137], v[58:59], off
	global_load_dwordx2 v[138:139], v[60:61], off
	;; [unrolled: 1-line block ×8, first 2 shown]
	v_add_u32_e32 v2, s7, v2
	v_ashrrev_i32_e32 v3, 31, v2
	v_lshlrev_b64 v[2:3], 3, v[2:3]
	v_add_co_u32_e32 v78, vcc, s4, v2
	v_addc_co_u32_e32 v79, vcc, v1, v3, vcc
	global_load_dwordx2 v[2:3], v[78:79], off
	s_bitcmp0_b32 s22, 0
	s_mov_b64 s[6:7], -1
	s_waitcnt vmcnt(36)
	buffer_store_dword v83, off, s[0:3], 0 offset:4
	buffer_store_dword v82, off, s[0:3], 0
	s_waitcnt vmcnt(37)
	buffer_store_dword v85, off, s[0:3], 0 offset:12
	buffer_store_dword v84, off, s[0:3], 0 offset:8
	s_waitcnt vmcnt(38)
	buffer_store_dword v87, off, s[0:3], 0 offset:20
	buffer_store_dword v86, off, s[0:3], 0 offset:16
	;; [unrolled: 3-line block ×27, first 2 shown]
	buffer_store_dword v136, off, s[0:3], 0 offset:224
	buffer_store_dword v137, off, s[0:3], 0 offset:228
	s_waitcnt vmcnt(62)
	buffer_store_dword v138, off, s[0:3], 0 offset:232
	buffer_store_dword v139, off, s[0:3], 0 offset:236
	;; [unrolled: 1-line block ×8, first 2 shown]
	s_waitcnt vmcnt(62)
	buffer_store_dword v146, off, s[0:3], 0 offset:264
	buffer_store_dword v147, off, s[0:3], 0 offset:268
	;; [unrolled: 1-line block ×8, first 2 shown]
	s_cbranch_scc1 .LBB36_160
; %bb.4:
	v_cmp_eq_u32_e64 s[4:5], 0, v0
	s_and_saveexec_b64 s[6:7], s[4:5]
	s_cbranch_execz .LBB36_6
; %bb.5:
	v_mov_b32_e32 v1, 0
	ds_write_b32 v1, v1 offset:296
.LBB36_6:
	s_or_b64 exec, exec, s[6:7]
	v_mov_b32_e32 v1, 0
	v_lshl_add_u32 v81, v0, 3, v1
	s_waitcnt lgkmcnt(0)
	; wave barrier
	s_waitcnt lgkmcnt(0)
	buffer_load_dword v1, v81, s[0:3], 0 offen
	buffer_load_dword v2, v81, s[0:3], 0 offen offset:4
	s_waitcnt vmcnt(1)
	v_cmp_eq_f32_e32 vcc, 0, v1
	s_waitcnt vmcnt(0)
	v_cmp_eq_f32_e64 s[6:7], 0, v2
	s_and_b64 s[6:7], vcc, s[6:7]
	s_and_saveexec_b64 s[12:13], s[6:7]
	s_cbranch_execz .LBB36_10
; %bb.7:
	v_mov_b32_e32 v1, 0
	ds_read_b32 v3, v1 offset:296
	v_add_u32_e32 v2, 1, v0
	s_waitcnt lgkmcnt(0)
	v_readfirstlane_b32 s6, v3
	s_cmp_eq_u32 s6, 0
	s_cselect_b64 s[16:17], -1, 0
	v_cmp_gt_i32_e32 vcc, s6, v2
	s_or_b64 s[16:17], s[16:17], vcc
	s_and_b64 exec, exec, s[16:17]
	s_cbranch_execz .LBB36_10
; %bb.8:
	s_mov_b64 s[16:17], 0
	v_mov_b32_e32 v3, s6
.LBB36_9:                               ; =>This Inner Loop Header: Depth=1
	ds_cmpst_rtn_b32 v3, v1, v3, v2 offset:296
	s_waitcnt lgkmcnt(0)
	v_cmp_ne_u32_e32 vcc, 0, v3
	v_cmp_le_i32_e64 s[6:7], v3, v2
	s_and_b64 s[6:7], vcc, s[6:7]
	s_and_b64 s[6:7], exec, s[6:7]
	s_or_b64 s[16:17], s[6:7], s[16:17]
	s_andn2_b64 exec, exec, s[16:17]
	s_cbranch_execnz .LBB36_9
.LBB36_10:
	s_or_b64 exec, exec, s[12:13]
	v_mov_b32_e32 v2, 0
	s_waitcnt lgkmcnt(0)
	; wave barrier
	ds_read_b32 v1, v2 offset:296
	s_and_saveexec_b64 s[6:7], s[4:5]
	s_cbranch_execz .LBB36_12
; %bb.11:
	s_lshl_b64 s[12:13], s[8:9], 2
	s_add_u32 s12, s14, s12
	s_addc_u32 s13, s15, s13
	s_waitcnt lgkmcnt(0)
	global_store_dword v2, v1, s[12:13]
.LBB36_12:
	s_or_b64 exec, exec, s[6:7]
	s_waitcnt lgkmcnt(0)
	v_cmp_ne_u32_e32 vcc, 0, v1
	s_mov_b64 s[6:7], 0
	s_cbranch_vccnz .LBB36_160
; %bb.13:
	buffer_load_dword v82, v81, s[0:3], 0 offen offset:4
	buffer_load_dword v3, v81, s[0:3], 0 offen
	s_waitcnt vmcnt(1)
	v_cmp_gt_f32_e32 vcc, 0, v82
	v_cndmask_b32_e64 v1, v82, -v82, vcc
	s_waitcnt vmcnt(0)
	v_cmp_gt_f32_e32 vcc, 0, v3
	v_cndmask_b32_e64 v2, v3, -v3, vcc
	v_cmp_ngt_f32_e32 vcc, v2, v1
                                        ; implicit-def: $vgpr1
                                        ; implicit-def: $vgpr2
	s_and_saveexec_b64 s[6:7], vcc
	s_xor_b64 s[6:7], exec, s[6:7]
                                        ; implicit-def: $vgpr4_vgpr5
	s_cbranch_execz .LBB36_15
; %bb.14:
	v_div_scale_f32 v1, s[12:13], v82, v82, v3
	v_rcp_f32_e32 v2, v1
	v_div_scale_f32 v4, vcc, v3, v82, v3
	v_fma_f32 v5, -v1, v2, 1.0
	v_fmac_f32_e32 v2, v5, v2
	v_mul_f32_e32 v5, v4, v2
	v_fma_f32 v83, -v1, v5, v4
	v_fmac_f32_e32 v5, v83, v2
	v_fma_f32 v1, -v1, v5, v4
	v_div_fmas_f32 v1, v1, v2, v5
	v_div_fixup_f32 v2, v1, v82, v3
	v_fmac_f32_e32 v82, v3, v2
	v_div_scale_f32 v1, s[12:13], v82, v82, -1.0
	v_rcp_f32_e32 v3, v1
	v_fma_f32 v4, -v1, v3, 1.0
	v_fmac_f32_e32 v3, v4, v3
	v_div_scale_f32 v4, vcc, -1.0, v82, -1.0
	v_mul_f32_e32 v5, v4, v3
	v_fma_f32 v83, -v1, v5, v4
	v_fmac_f32_e32 v5, v83, v3
	v_fma_f32 v1, -v1, v5, v4
	v_div_fmas_f32 v1, v1, v3, v5
	v_div_fixup_f32 v1, v1, v82, -1.0
	v_mul_f32_e32 v2, v2, v1
	v_xor_b32_e32 v4, 0x80000000, v2
                                        ; implicit-def: $vgpr3
                                        ; implicit-def: $vgpr82
.LBB36_15:
	s_andn2_saveexec_b64 s[6:7], s[6:7]
	s_cbranch_execz .LBB36_17
; %bb.16:
	v_div_scale_f32 v1, s[12:13], v3, v3, v82
	v_rcp_f32_e32 v2, v1
	v_div_scale_f32 v4, vcc, v82, v3, v82
	v_fma_f32 v5, -v1, v2, 1.0
	v_fmac_f32_e32 v2, v5, v2
	v_mul_f32_e32 v5, v4, v2
	v_fma_f32 v83, -v1, v5, v4
	v_fmac_f32_e32 v5, v83, v2
	v_fma_f32 v1, -v1, v5, v4
	v_div_fmas_f32 v1, v1, v2, v5
	v_div_fixup_f32 v1, v1, v3, v82
	v_fmac_f32_e32 v3, v82, v1
	v_div_scale_f32 v2, s[12:13], v3, v3, 1.0
	v_rcp_f32_e32 v4, v2
	v_fma_f32 v5, -v2, v4, 1.0
	v_fmac_f32_e32 v4, v5, v4
	v_div_scale_f32 v5, vcc, 1.0, v3, 1.0
	v_mul_f32_e32 v82, v5, v4
	v_fma_f32 v83, -v2, v82, v5
	v_fmac_f32_e32 v82, v83, v4
	v_fma_f32 v2, -v2, v82, v5
	v_div_fmas_f32 v2, v2, v4, v82
	v_div_fixup_f32 v4, v2, v3, 1.0
	v_xor_b32_e32 v2, 0x80000000, v4
	v_mul_f32_e64 v1, v1, -v4
.LBB36_17:
	s_or_b64 exec, exec, s[6:7]
	buffer_store_dword v1, v81, s[0:3], 0 offen offset:4
	buffer_store_dword v4, v81, s[0:3], 0 offen
	buffer_load_dword v5, off, s[0:3], 0 offset:12
	s_nop 0
	buffer_load_dword v4, off, s[0:3], 0 offset:8
	v_xor_b32_e32 v3, 0x80000000, v1
	v_add_u32_e32 v1, 0x130, v80
	s_waitcnt vmcnt(0)
	ds_write2_b64 v80, v[2:3], v[4:5] offset1:38
	s_waitcnt lgkmcnt(0)
	; wave barrier
	s_waitcnt lgkmcnt(0)
	s_and_saveexec_b64 s[6:7], s[4:5]
	s_cbranch_execz .LBB36_19
; %bb.18:
	buffer_load_dword v82, v81, s[0:3], 0 offen offset:4
	buffer_load_dword v83, v81, s[0:3], 0 offen
	ds_read_b64 v[2:3], v1
	v_mov_b32_e32 v4, 0
	ds_read_b64 v[4:5], v4 offset:8
	s_waitcnt vmcnt(1) lgkmcnt(1)
	v_mul_f32_e32 v84, v3, v82
	v_mul_f32_e32 v82, v2, v82
	s_waitcnt vmcnt(0)
	v_fmac_f32_e32 v82, v3, v83
	v_fma_f32 v2, v2, v83, -v84
	v_add_f32_e32 v3, 0, v82
	v_add_f32_e32 v2, 0, v2
	s_waitcnt lgkmcnt(0)
	v_mul_f32_e32 v82, v3, v5
	v_mul_f32_e32 v5, v2, v5
	v_fma_f32 v2, v2, v4, -v82
	v_fmac_f32_e32 v5, v3, v4
	buffer_store_dword v2, off, s[0:3], 0 offset:8
	buffer_store_dword v5, off, s[0:3], 0 offset:12
.LBB36_19:
	s_or_b64 exec, exec, s[6:7]
	s_waitcnt lgkmcnt(0)
	; wave barrier
	buffer_load_dword v2, off, s[0:3], 0 offset:16
	buffer_load_dword v3, off, s[0:3], 0 offset:20
	v_cmp_gt_u32_e32 vcc, 2, v0
	s_waitcnt vmcnt(0)
	ds_write_b64 v1, v[2:3]
	s_waitcnt lgkmcnt(0)
	; wave barrier
	s_waitcnt lgkmcnt(0)
	s_and_saveexec_b64 s[6:7], vcc
	s_cbranch_execz .LBB36_23
; %bb.20:
	buffer_load_dword v4, v81, s[0:3], 0 offen offset:4
	buffer_load_dword v5, v81, s[0:3], 0 offen
	ds_read_b64 v[2:3], v1
	s_waitcnt vmcnt(1) lgkmcnt(0)
	v_mul_f32_e32 v81, v3, v4
	v_mul_f32_e32 v4, v2, v4
	s_waitcnt vmcnt(0)
	v_fma_f32 v2, v2, v5, -v81
	v_fmac_f32_e32 v4, v3, v5
	v_add_f32_e32 v3, 0, v2
	v_add_f32_e32 v2, 0, v4
	s_and_saveexec_b64 s[12:13], s[4:5]
	s_cbranch_execz .LBB36_22
; %bb.21:
	buffer_load_dword v81, off, s[0:3], 0 offset:12
	buffer_load_dword v82, off, s[0:3], 0 offset:8
	v_mov_b32_e32 v4, 0
	ds_read_b64 v[4:5], v4 offset:312
	s_waitcnt vmcnt(1) lgkmcnt(0)
	v_mul_f32_e32 v83, v4, v81
	v_mul_f32_e32 v81, v5, v81
	s_waitcnt vmcnt(0)
	v_fmac_f32_e32 v83, v5, v82
	v_fma_f32 v4, v4, v82, -v81
	v_add_f32_e32 v2, v2, v83
	v_add_f32_e32 v3, v3, v4
.LBB36_22:
	s_or_b64 exec, exec, s[12:13]
	v_mov_b32_e32 v4, 0
	ds_read_b64 v[4:5], v4 offset:16
	s_waitcnt lgkmcnt(0)
	v_mul_f32_e32 v81, v2, v5
	v_mul_f32_e32 v5, v3, v5
	v_fma_f32 v3, v3, v4, -v81
	v_fmac_f32_e32 v5, v2, v4
	buffer_store_dword v3, off, s[0:3], 0 offset:16
	buffer_store_dword v5, off, s[0:3], 0 offset:20
.LBB36_23:
	s_or_b64 exec, exec, s[6:7]
	s_waitcnt lgkmcnt(0)
	; wave barrier
	buffer_load_dword v2, off, s[0:3], 0 offset:24
	buffer_load_dword v3, off, s[0:3], 0 offset:28
	v_cmp_gt_u32_e32 vcc, 3, v0
	s_waitcnt vmcnt(0)
	ds_write_b64 v1, v[2:3]
	v_add_u32_e32 v2, -1, v0
	s_waitcnt lgkmcnt(0)
	; wave barrier
	s_waitcnt lgkmcnt(0)
	s_and_saveexec_b64 s[4:5], vcc
	s_cbranch_execz .LBB36_27
; %bb.24:
	v_add_u32_e32 v4, -1, v0
	v_add_u32_e32 v5, 0x130, v80
	v_add_u32_e32 v81, 0, v80
	s_mov_b64 s[6:7], 0
	v_mov_b32_e32 v3, 0
	v_mov_b32_e32 v82, 0
.LBB36_25:                              ; =>This Inner Loop Header: Depth=1
	buffer_load_dword v83, v81, s[0:3], 0 offen offset:4
	buffer_load_dword v86, v81, s[0:3], 0 offen
	ds_read_b64 v[84:85], v5
	v_add_u32_e32 v4, 1, v4
	v_cmp_lt_u32_e32 vcc, 1, v4
	v_add_u32_e32 v5, 8, v5
	v_add_u32_e32 v81, 8, v81
	s_or_b64 s[6:7], vcc, s[6:7]
	s_waitcnt vmcnt(1) lgkmcnt(0)
	v_mul_f32_e32 v87, v85, v83
	v_mul_f32_e32 v83, v84, v83
	s_waitcnt vmcnt(0)
	v_fma_f32 v84, v84, v86, -v87
	v_fmac_f32_e32 v83, v85, v86
	v_add_f32_e32 v82, v82, v84
	v_add_f32_e32 v3, v3, v83
	s_andn2_b64 exec, exec, s[6:7]
	s_cbranch_execnz .LBB36_25
; %bb.26:
	s_or_b64 exec, exec, s[6:7]
	v_mov_b32_e32 v4, 0
	ds_read_b64 v[4:5], v4 offset:24
	s_waitcnt lgkmcnt(0)
	v_mul_f32_e32 v81, v3, v5
	v_mul_f32_e32 v5, v82, v5
	v_fma_f32 v81, v82, v4, -v81
	v_fmac_f32_e32 v5, v3, v4
	buffer_store_dword v81, off, s[0:3], 0 offset:24
	buffer_store_dword v5, off, s[0:3], 0 offset:28
.LBB36_27:
	s_or_b64 exec, exec, s[4:5]
	s_waitcnt lgkmcnt(0)
	; wave barrier
	buffer_load_dword v4, off, s[0:3], 0 offset:32
	buffer_load_dword v5, off, s[0:3], 0 offset:36
	v_cmp_gt_u32_e32 vcc, 4, v0
	s_waitcnt vmcnt(0)
	ds_write_b64 v1, v[4:5]
	s_waitcnt lgkmcnt(0)
	; wave barrier
	s_waitcnt lgkmcnt(0)
	s_and_saveexec_b64 s[4:5], vcc
	s_cbranch_execz .LBB36_31
; %bb.28:
	v_add_u32_e32 v4, -1, v0
	v_add_u32_e32 v5, 0x130, v80
	v_add_u32_e32 v81, 0, v80
	s_mov_b64 s[6:7], 0
	v_mov_b32_e32 v3, 0
	v_mov_b32_e32 v82, 0
.LBB36_29:                              ; =>This Inner Loop Header: Depth=1
	buffer_load_dword v83, v81, s[0:3], 0 offen offset:4
	buffer_load_dword v86, v81, s[0:3], 0 offen
	ds_read_b64 v[84:85], v5
	v_add_u32_e32 v4, 1, v4
	v_cmp_lt_u32_e32 vcc, 2, v4
	v_add_u32_e32 v5, 8, v5
	v_add_u32_e32 v81, 8, v81
	s_or_b64 s[6:7], vcc, s[6:7]
	s_waitcnt vmcnt(1) lgkmcnt(0)
	v_mul_f32_e32 v87, v85, v83
	v_mul_f32_e32 v83, v84, v83
	s_waitcnt vmcnt(0)
	v_fma_f32 v84, v84, v86, -v87
	v_fmac_f32_e32 v83, v85, v86
	v_add_f32_e32 v82, v82, v84
	v_add_f32_e32 v3, v3, v83
	s_andn2_b64 exec, exec, s[6:7]
	s_cbranch_execnz .LBB36_29
; %bb.30:
	s_or_b64 exec, exec, s[6:7]
	v_mov_b32_e32 v4, 0
	ds_read_b64 v[4:5], v4 offset:32
	s_waitcnt lgkmcnt(0)
	v_mul_f32_e32 v81, v3, v5
	v_mul_f32_e32 v5, v82, v5
	v_fma_f32 v81, v82, v4, -v81
	v_fmac_f32_e32 v5, v3, v4
	buffer_store_dword v81, off, s[0:3], 0 offset:32
	buffer_store_dword v5, off, s[0:3], 0 offset:36
.LBB36_31:
	s_or_b64 exec, exec, s[4:5]
	s_waitcnt lgkmcnt(0)
	; wave barrier
	buffer_load_dword v4, off, s[0:3], 0 offset:40
	buffer_load_dword v5, off, s[0:3], 0 offset:44
	v_cmp_gt_u32_e32 vcc, 5, v0
	s_waitcnt vmcnt(0)
	ds_write_b64 v1, v[4:5]
	;; [unrolled: 51-line block ×19, first 2 shown]
	s_waitcnt lgkmcnt(0)
	; wave barrier
	s_waitcnt lgkmcnt(0)
	s_and_saveexec_b64 s[4:5], vcc
	s_cbranch_execz .LBB36_103
; %bb.100:
	v_add_u32_e32 v4, -1, v0
	v_add_u32_e32 v5, 0x130, v80
	v_add_u32_e32 v81, 0, v80
	s_mov_b64 s[6:7], 0
	v_mov_b32_e32 v3, 0
	v_mov_b32_e32 v82, 0
.LBB36_101:                             ; =>This Inner Loop Header: Depth=1
	buffer_load_dword v83, v81, s[0:3], 0 offen offset:4
	buffer_load_dword v86, v81, s[0:3], 0 offen
	ds_read_b64 v[84:85], v5
	v_add_u32_e32 v4, 1, v4
	v_cmp_lt_u32_e32 vcc, 20, v4
	v_add_u32_e32 v5, 8, v5
	v_add_u32_e32 v81, 8, v81
	s_or_b64 s[6:7], vcc, s[6:7]
	s_waitcnt vmcnt(1) lgkmcnt(0)
	v_mul_f32_e32 v87, v85, v83
	v_mul_f32_e32 v83, v84, v83
	s_waitcnt vmcnt(0)
	v_fma_f32 v84, v84, v86, -v87
	v_fmac_f32_e32 v83, v85, v86
	v_add_f32_e32 v82, v82, v84
	v_add_f32_e32 v3, v3, v83
	s_andn2_b64 exec, exec, s[6:7]
	s_cbranch_execnz .LBB36_101
; %bb.102:
	s_or_b64 exec, exec, s[6:7]
	v_mov_b32_e32 v4, 0
	ds_read_b64 v[4:5], v4 offset:176
	s_waitcnt lgkmcnt(0)
	v_mul_f32_e32 v81, v3, v5
	v_mul_f32_e32 v5, v82, v5
	v_fma_f32 v81, v82, v4, -v81
	v_fmac_f32_e32 v5, v3, v4
	buffer_store_dword v81, off, s[0:3], 0 offset:176
	buffer_store_dword v5, off, s[0:3], 0 offset:180
.LBB36_103:
	s_or_b64 exec, exec, s[4:5]
	s_waitcnt lgkmcnt(0)
	; wave barrier
	buffer_load_dword v4, off, s[0:3], 0 offset:184
	buffer_load_dword v5, off, s[0:3], 0 offset:188
	v_cmp_gt_u32_e32 vcc, 23, v0
	s_waitcnt vmcnt(0)
	ds_write_b64 v1, v[4:5]
	s_waitcnt lgkmcnt(0)
	; wave barrier
	s_waitcnt lgkmcnt(0)
	s_and_saveexec_b64 s[4:5], vcc
	s_cbranch_execz .LBB36_107
; %bb.104:
	v_add_u32_e32 v4, -1, v0
	v_add_u32_e32 v5, 0x130, v80
	v_add_u32_e32 v81, 0, v80
	s_mov_b64 s[6:7], 0
	v_mov_b32_e32 v3, 0
	v_mov_b32_e32 v82, 0
.LBB36_105:                             ; =>This Inner Loop Header: Depth=1
	buffer_load_dword v83, v81, s[0:3], 0 offen offset:4
	buffer_load_dword v86, v81, s[0:3], 0 offen
	ds_read_b64 v[84:85], v5
	v_add_u32_e32 v4, 1, v4
	v_cmp_lt_u32_e32 vcc, 21, v4
	v_add_u32_e32 v5, 8, v5
	v_add_u32_e32 v81, 8, v81
	s_or_b64 s[6:7], vcc, s[6:7]
	s_waitcnt vmcnt(1) lgkmcnt(0)
	v_mul_f32_e32 v87, v85, v83
	v_mul_f32_e32 v83, v84, v83
	s_waitcnt vmcnt(0)
	v_fma_f32 v84, v84, v86, -v87
	v_fmac_f32_e32 v83, v85, v86
	v_add_f32_e32 v82, v82, v84
	v_add_f32_e32 v3, v3, v83
	s_andn2_b64 exec, exec, s[6:7]
	s_cbranch_execnz .LBB36_105
; %bb.106:
	s_or_b64 exec, exec, s[6:7]
	v_mov_b32_e32 v4, 0
	ds_read_b64 v[4:5], v4 offset:184
	s_waitcnt lgkmcnt(0)
	v_mul_f32_e32 v81, v3, v5
	v_mul_f32_e32 v5, v82, v5
	v_fma_f32 v81, v82, v4, -v81
	v_fmac_f32_e32 v5, v3, v4
	buffer_store_dword v81, off, s[0:3], 0 offset:184
	buffer_store_dword v5, off, s[0:3], 0 offset:188
.LBB36_107:
	s_or_b64 exec, exec, s[4:5]
	s_waitcnt lgkmcnt(0)
	; wave barrier
	buffer_load_dword v4, off, s[0:3], 0 offset:192
	buffer_load_dword v5, off, s[0:3], 0 offset:196
	v_cmp_gt_u32_e32 vcc, 24, v0
	s_waitcnt vmcnt(0)
	ds_write_b64 v1, v[4:5]
	;; [unrolled: 51-line block ×13, first 2 shown]
	s_waitcnt lgkmcnt(0)
	; wave barrier
	s_waitcnt lgkmcnt(0)
	s_and_saveexec_b64 s[4:5], vcc
	s_cbranch_execz .LBB36_155
; %bb.152:
	v_add_u32_e32 v4, -1, v0
	v_add_u32_e32 v5, 0x130, v80
	v_add_u32_e32 v81, 0, v80
	s_mov_b64 s[6:7], 0
	v_mov_b32_e32 v3, 0
	v_mov_b32_e32 v82, 0
.LBB36_153:                             ; =>This Inner Loop Header: Depth=1
	buffer_load_dword v83, v81, s[0:3], 0 offen offset:4
	buffer_load_dword v86, v81, s[0:3], 0 offen
	ds_read_b64 v[84:85], v5
	v_add_u32_e32 v4, 1, v4
	v_cmp_lt_u32_e32 vcc, 33, v4
	v_add_u32_e32 v5, 8, v5
	v_add_u32_e32 v81, 8, v81
	s_or_b64 s[6:7], vcc, s[6:7]
	s_waitcnt vmcnt(1) lgkmcnt(0)
	v_mul_f32_e32 v87, v85, v83
	v_mul_f32_e32 v83, v84, v83
	s_waitcnt vmcnt(0)
	v_fma_f32 v84, v84, v86, -v87
	v_fmac_f32_e32 v83, v85, v86
	v_add_f32_e32 v82, v82, v84
	v_add_f32_e32 v3, v3, v83
	s_andn2_b64 exec, exec, s[6:7]
	s_cbranch_execnz .LBB36_153
; %bb.154:
	s_or_b64 exec, exec, s[6:7]
	v_mov_b32_e32 v4, 0
	ds_read_b64 v[4:5], v4 offset:280
	s_waitcnt lgkmcnt(0)
	v_mul_f32_e32 v81, v3, v5
	v_mul_f32_e32 v5, v82, v5
	v_fma_f32 v81, v82, v4, -v81
	v_fmac_f32_e32 v5, v3, v4
	buffer_store_dword v81, off, s[0:3], 0 offset:280
	buffer_store_dword v5, off, s[0:3], 0 offset:284
.LBB36_155:
	s_or_b64 exec, exec, s[4:5]
	s_waitcnt lgkmcnt(0)
	; wave barrier
	buffer_load_dword v4, off, s[0:3], 0 offset:288
	buffer_load_dword v5, off, s[0:3], 0 offset:292
	v_cmp_ne_u32_e32 vcc, 36, v0
	s_waitcnt vmcnt(0)
	ds_write_b64 v1, v[4:5]
	s_waitcnt lgkmcnt(0)
	; wave barrier
	s_waitcnt lgkmcnt(0)
	s_and_saveexec_b64 s[4:5], vcc
	s_cbranch_execz .LBB36_159
; %bb.156:
	v_add_u32_e32 v3, 0x130, v80
	v_add_u32_e32 v4, 0, v80
	s_mov_b64 s[6:7], 0
	v_mov_b32_e32 v1, 0
	v_mov_b32_e32 v5, 0
.LBB36_157:                             ; =>This Inner Loop Header: Depth=1
	buffer_load_dword v82, v4, s[0:3], 0 offen offset:4
	buffer_load_dword v83, v4, s[0:3], 0 offen
	ds_read_b64 v[80:81], v3
	v_add_u32_e32 v2, 1, v2
	v_cmp_lt_u32_e32 vcc, 34, v2
	v_add_u32_e32 v3, 8, v3
	v_add_u32_e32 v4, 8, v4
	s_or_b64 s[6:7], vcc, s[6:7]
	s_waitcnt vmcnt(1) lgkmcnt(0)
	v_mul_f32_e32 v84, v81, v82
	v_mul_f32_e32 v82, v80, v82
	s_waitcnt vmcnt(0)
	v_fma_f32 v80, v80, v83, -v84
	v_fmac_f32_e32 v82, v81, v83
	v_add_f32_e32 v5, v5, v80
	v_add_f32_e32 v1, v1, v82
	s_andn2_b64 exec, exec, s[6:7]
	s_cbranch_execnz .LBB36_157
; %bb.158:
	s_or_b64 exec, exec, s[6:7]
	v_mov_b32_e32 v2, 0
	ds_read_b64 v[2:3], v2 offset:288
	s_waitcnt lgkmcnt(0)
	v_mul_f32_e32 v4, v1, v3
	v_mul_f32_e32 v3, v5, v3
	v_fma_f32 v4, v5, v2, -v4
	v_fmac_f32_e32 v3, v1, v2
	buffer_store_dword v4, off, s[0:3], 0 offset:288
	buffer_store_dword v3, off, s[0:3], 0 offset:292
.LBB36_159:
	s_or_b64 exec, exec, s[4:5]
	s_mov_b64 s[6:7], -1
	s_waitcnt lgkmcnt(0)
	; wave barrier
.LBB36_160:
	s_and_b64 vcc, exec, s[6:7]
	s_cbranch_vccz .LBB36_162
; %bb.161:
	s_lshl_b64 s[4:5], s[8:9], 2
	s_add_u32 s4, s14, s4
	s_addc_u32 s5, s15, s5
	v_mov_b32_e32 v1, 0
	global_load_dword v1, v1, s[4:5]
	s_waitcnt vmcnt(0)
	v_cmp_ne_u32_e32 vcc, 0, v1
	s_cbranch_vccz .LBB36_163
.LBB36_162:
	s_endpgm
.LBB36_163:
	v_mov_b32_e32 v1, 0x130
	v_lshl_add_u32 v1, v0, 3, v1
	v_cmp_eq_u32_e32 vcc, 36, v0
	s_and_saveexec_b64 s[4:5], vcc
	s_cbranch_execz .LBB36_165
; %bb.164:
	buffer_load_dword v2, off, s[0:3], 0 offset:280
	buffer_load_dword v3, off, s[0:3], 0 offset:284
	v_mov_b32_e32 v4, 0
	buffer_store_dword v4, off, s[0:3], 0 offset:280
	buffer_store_dword v4, off, s[0:3], 0 offset:284
	s_waitcnt vmcnt(2)
	ds_write_b64 v1, v[2:3]
.LBB36_165:
	s_or_b64 exec, exec, s[4:5]
	s_waitcnt lgkmcnt(0)
	; wave barrier
	s_waitcnt lgkmcnt(0)
	buffer_load_dword v5, off, s[0:3], 0 offset:292
	buffer_load_dword v4, off, s[0:3], 0 offset:288
	;; [unrolled: 1-line block ×4, first 2 shown]
	v_mov_b32_e32 v2, 0
	ds_read_b64 v[82:83], v2 offset:592
	v_cmp_lt_u32_e32 vcc, 34, v0
	s_waitcnt vmcnt(3)
	v_mov_b32_e32 v84, v5
	s_waitcnt lgkmcnt(0)
	v_pk_mul_f32 v[84:85], v[82:83], v[84:85] op_sel_hi:[1,0]
	s_waitcnt vmcnt(2)
	v_pk_fma_f32 v[86:87], v[82:83], v[4:5], v[84:85] op_sel:[0,0,1] op_sel_hi:[1,1,0] neg_lo:[0,0,1] neg_hi:[0,0,1]
	v_pk_fma_f32 v[4:5], v[82:83], v[4:5], v[84:85] op_sel:[0,0,1] op_sel_hi:[1,0,0]
	v_mov_b32_e32 v87, v5
	v_pk_add_f32 v[4:5], v[86:87], 0 op_sel_hi:[1,0]
	s_waitcnt vmcnt(0)
	v_pk_add_f32 v[4:5], v[80:81], v[4:5] neg_lo:[0,1] neg_hi:[0,1]
	buffer_store_dword v4, off, s[0:3], 0 offset:280
	buffer_store_dword v5, off, s[0:3], 0 offset:284
	s_and_saveexec_b64 s[4:5], vcc
	s_cbranch_execz .LBB36_167
; %bb.166:
	buffer_load_dword v4, off, s[0:3], 0 offset:272
	buffer_load_dword v5, off, s[0:3], 0 offset:276
	s_waitcnt vmcnt(0)
	ds_write_b64 v1, v[4:5]
	buffer_store_dword v2, off, s[0:3], 0 offset:272
	buffer_store_dword v2, off, s[0:3], 0 offset:276
.LBB36_167:
	s_or_b64 exec, exec, s[4:5]
	s_waitcnt lgkmcnt(0)
	; wave barrier
	s_waitcnt lgkmcnt(0)
	buffer_load_dword v81, off, s[0:3], 0 offset:284
	buffer_load_dword v83, off, s[0:3], 0 offset:292
	;; [unrolled: 1-line block ×6, first 2 shown]
	ds_read2_b64 v[2:5], v2 offset0:73 offset1:74
	v_cmp_lt_u32_e32 vcc, 33, v0
	s_waitcnt vmcnt(5)
	v_mov_b32_e32 v86, v81
	s_waitcnt vmcnt(4)
	v_mov_b32_e32 v88, v83
	s_waitcnt lgkmcnt(0)
	v_pk_mul_f32 v[86:87], v[2:3], v[86:87] op_sel_hi:[1,0]
	v_pk_mul_f32 v[88:89], v[4:5], v[88:89] op_sel_hi:[1,0]
	s_waitcnt vmcnt(3)
	v_pk_fma_f32 v[90:91], v[2:3], v[80:81], v[86:87] op_sel:[0,0,1] op_sel_hi:[1,1,0] neg_lo:[0,0,1] neg_hi:[0,0,1]
	v_pk_fma_f32 v[2:3], v[2:3], v[80:81], v[86:87] op_sel:[0,0,1] op_sel_hi:[1,0,0]
	s_waitcnt vmcnt(2)
	v_pk_fma_f32 v[80:81], v[4:5], v[82:83], v[88:89] op_sel:[0,0,1] op_sel_hi:[1,1,0] neg_lo:[0,0,1] neg_hi:[0,0,1]
	v_pk_fma_f32 v[4:5], v[4:5], v[82:83], v[88:89] op_sel:[0,0,1] op_sel_hi:[1,0,0]
	v_mov_b32_e32 v91, v3
	v_mov_b32_e32 v81, v5
	v_pk_add_f32 v[2:3], v[90:91], 0 op_sel_hi:[1,0]
	v_pk_add_f32 v[2:3], v[2:3], v[80:81]
	s_waitcnt vmcnt(0)
	v_pk_add_f32 v[2:3], v[84:85], v[2:3] neg_lo:[0,1] neg_hi:[0,1]
	buffer_store_dword v2, off, s[0:3], 0 offset:272
	buffer_store_dword v3, off, s[0:3], 0 offset:276
	s_and_saveexec_b64 s[4:5], vcc
	s_cbranch_execz .LBB36_169
; %bb.168:
	buffer_load_dword v2, off, s[0:3], 0 offset:264
	buffer_load_dword v3, off, s[0:3], 0 offset:268
	v_mov_b32_e32 v4, 0
	buffer_store_dword v4, off, s[0:3], 0 offset:264
	buffer_store_dword v4, off, s[0:3], 0 offset:268
	s_waitcnt vmcnt(2)
	ds_write_b64 v1, v[2:3]
.LBB36_169:
	s_or_b64 exec, exec, s[4:5]
	s_waitcnt lgkmcnt(0)
	; wave barrier
	s_waitcnt lgkmcnt(0)
	buffer_load_dword v5, off, s[0:3], 0 offset:276
	buffer_load_dword v85, off, s[0:3], 0 offset:284
	;; [unrolled: 1-line block ×8, first 2 shown]
	v_mov_b32_e32 v2, 0
	ds_read_b128 v[80:83], v2 offset:576
	ds_read_b64 v[90:91], v2 offset:592
	v_cmp_lt_u32_e32 vcc, 32, v0
	s_waitcnt vmcnt(7)
	v_mov_b32_e32 v92, v5
	s_waitcnt vmcnt(6)
	v_mov_b32_e32 v94, v85
	s_waitcnt lgkmcnt(1)
	v_pk_mul_f32 v[92:93], v[80:81], v[92:93] op_sel_hi:[1,0]
	s_waitcnt vmcnt(5)
	v_mov_b32_e32 v96, v87
	v_pk_mul_f32 v[94:95], v[82:83], v[94:95] op_sel_hi:[1,0]
	s_waitcnt vmcnt(4)
	v_pk_fma_f32 v[98:99], v[80:81], v[4:5], v[92:93] op_sel:[0,0,1] op_sel_hi:[1,1,0] neg_lo:[0,0,1] neg_hi:[0,0,1]
	v_pk_fma_f32 v[4:5], v[80:81], v[4:5], v[92:93] op_sel:[0,0,1] op_sel_hi:[1,0,0]
	s_waitcnt lgkmcnt(0)
	v_pk_mul_f32 v[96:97], v[90:91], v[96:97] op_sel_hi:[1,0]
	s_waitcnt vmcnt(3)
	v_pk_fma_f32 v[80:81], v[82:83], v[84:85], v[94:95] op_sel:[0,0,1] op_sel_hi:[1,1,0] neg_lo:[0,0,1] neg_hi:[0,0,1]
	v_pk_fma_f32 v[82:83], v[82:83], v[84:85], v[94:95] op_sel:[0,0,1] op_sel_hi:[1,0,0]
	v_mov_b32_e32 v99, v5
	s_waitcnt vmcnt(2)
	v_pk_fma_f32 v[84:85], v[90:91], v[86:87], v[96:97] op_sel:[0,0,1] op_sel_hi:[1,1,0] neg_lo:[0,0,1] neg_hi:[0,0,1]
	v_pk_fma_f32 v[86:87], v[90:91], v[86:87], v[96:97] op_sel:[0,0,1] op_sel_hi:[1,0,0]
	v_mov_b32_e32 v81, v83
	v_pk_add_f32 v[4:5], v[98:99], 0 op_sel_hi:[1,0]
	v_mov_b32_e32 v85, v87
	v_pk_add_f32 v[4:5], v[4:5], v[80:81]
	v_pk_add_f32 v[4:5], v[4:5], v[84:85]
	s_waitcnt vmcnt(0)
	v_pk_add_f32 v[4:5], v[88:89], v[4:5] neg_lo:[0,1] neg_hi:[0,1]
	buffer_store_dword v4, off, s[0:3], 0 offset:264
	buffer_store_dword v5, off, s[0:3], 0 offset:268
	s_and_saveexec_b64 s[4:5], vcc
	s_cbranch_execz .LBB36_171
; %bb.170:
	buffer_load_dword v4, off, s[0:3], 0 offset:256
	buffer_load_dword v5, off, s[0:3], 0 offset:260
	s_waitcnt vmcnt(0)
	ds_write_b64 v1, v[4:5]
	buffer_store_dword v2, off, s[0:3], 0 offset:256
	buffer_store_dword v2, off, s[0:3], 0 offset:260
.LBB36_171:
	s_or_b64 exec, exec, s[4:5]
	s_waitcnt lgkmcnt(0)
	; wave barrier
	s_waitcnt lgkmcnt(0)
	buffer_load_dword v85, off, s[0:3], 0 offset:268
	buffer_load_dword v87, off, s[0:3], 0 offset:276
	;; [unrolled: 1-line block ×10, first 2 shown]
	ds_read2_b64 v[80:83], v2 offset0:71 offset1:72
	ds_read2_b64 v[2:5], v2 offset0:73 offset1:74
	v_cmp_lt_u32_e32 vcc, 31, v0
	s_waitcnt vmcnt(9)
	v_mov_b32_e32 v94, v85
	s_waitcnt vmcnt(8)
	v_mov_b32_e32 v96, v87
	;; [unrolled: 2-line block ×3, first 2 shown]
	s_waitcnt lgkmcnt(1)
	v_pk_mul_f32 v[94:95], v[80:81], v[94:95] op_sel_hi:[1,0]
	v_pk_mul_f32 v[96:97], v[82:83], v[96:97] op_sel_hi:[1,0]
	s_waitcnt lgkmcnt(0)
	v_pk_mul_f32 v[98:99], v[2:3], v[98:99] op_sel_hi:[1,0]
	s_waitcnt vmcnt(5)
	v_pk_fma_f32 v[102:103], v[80:81], v[84:85], v[94:95] op_sel:[0,0,1] op_sel_hi:[1,1,0] neg_lo:[0,0,1] neg_hi:[0,0,1]
	v_pk_fma_f32 v[80:81], v[80:81], v[84:85], v[94:95] op_sel:[0,0,1] op_sel_hi:[1,0,0]
	v_mov_b32_e32 v100, v91
	s_waitcnt vmcnt(4)
	v_pk_fma_f32 v[84:85], v[82:83], v[86:87], v[96:97] op_sel:[0,0,1] op_sel_hi:[1,1,0] neg_lo:[0,0,1] neg_hi:[0,0,1]
	v_pk_fma_f32 v[82:83], v[82:83], v[86:87], v[96:97] op_sel:[0,0,1] op_sel_hi:[1,0,0]
	s_waitcnt vmcnt(3)
	v_pk_fma_f32 v[86:87], v[2:3], v[88:89], v[98:99] op_sel:[0,0,1] op_sel_hi:[1,1,0] neg_lo:[0,0,1] neg_hi:[0,0,1]
	v_pk_fma_f32 v[2:3], v[2:3], v[88:89], v[98:99] op_sel:[0,0,1] op_sel_hi:[1,0,0]
	v_mov_b32_e32 v103, v81
	v_pk_mul_f32 v[100:101], v[4:5], v[100:101] op_sel_hi:[1,0]
	v_mov_b32_e32 v85, v83
	v_mov_b32_e32 v87, v3
	v_pk_add_f32 v[2:3], v[102:103], 0 op_sel_hi:[1,0]
	s_waitcnt vmcnt(2)
	v_pk_fma_f32 v[88:89], v[4:5], v[90:91], v[100:101] op_sel:[0,0,1] op_sel_hi:[1,1,0] neg_lo:[0,0,1] neg_hi:[0,0,1]
	v_pk_fma_f32 v[4:5], v[4:5], v[90:91], v[100:101] op_sel:[0,0,1] op_sel_hi:[1,0,0]
	v_pk_add_f32 v[2:3], v[2:3], v[84:85]
	v_mov_b32_e32 v89, v5
	v_pk_add_f32 v[2:3], v[2:3], v[86:87]
	v_pk_add_f32 v[2:3], v[2:3], v[88:89]
	s_waitcnt vmcnt(0)
	v_pk_add_f32 v[2:3], v[92:93], v[2:3] neg_lo:[0,1] neg_hi:[0,1]
	buffer_store_dword v2, off, s[0:3], 0 offset:256
	buffer_store_dword v3, off, s[0:3], 0 offset:260
	s_and_saveexec_b64 s[4:5], vcc
	s_cbranch_execz .LBB36_173
; %bb.172:
	buffer_load_dword v2, off, s[0:3], 0 offset:248
	buffer_load_dword v3, off, s[0:3], 0 offset:252
	v_mov_b32_e32 v4, 0
	buffer_store_dword v4, off, s[0:3], 0 offset:248
	buffer_store_dword v4, off, s[0:3], 0 offset:252
	s_waitcnt vmcnt(2)
	ds_write_b64 v1, v[2:3]
.LBB36_173:
	s_or_b64 exec, exec, s[4:5]
	s_waitcnt lgkmcnt(0)
	; wave barrier
	s_waitcnt lgkmcnt(0)
	buffer_load_dword v5, off, s[0:3], 0 offset:260
	buffer_load_dword v89, off, s[0:3], 0 offset:268
	;; [unrolled: 1-line block ×12, first 2 shown]
	v_mov_b32_e32 v2, 0
	ds_read_b128 v[80:83], v2 offset:560
	ds_read_b128 v[84:87], v2 offset:576
	ds_read_b64 v[98:99], v2 offset:592
	v_cmp_lt_u32_e32 vcc, 30, v0
	s_waitcnt vmcnt(11)
	v_mov_b32_e32 v100, v5
	s_waitcnt vmcnt(10)
	v_mov_b32_e32 v102, v89
	s_waitcnt lgkmcnt(2)
	v_pk_mul_f32 v[100:101], v[80:81], v[100:101] op_sel_hi:[1,0]
	s_waitcnt vmcnt(9)
	v_mov_b32_e32 v104, v91
	v_pk_mul_f32 v[102:103], v[82:83], v[102:103] op_sel_hi:[1,0]
	s_waitcnt vmcnt(6)
	v_pk_fma_f32 v[110:111], v[80:81], v[4:5], v[100:101] op_sel:[0,0,1] op_sel_hi:[1,1,0] neg_lo:[0,0,1] neg_hi:[0,0,1]
	v_pk_fma_f32 v[4:5], v[80:81], v[4:5], v[100:101] op_sel:[0,0,1] op_sel_hi:[1,0,0]
	v_mov_b32_e32 v106, v93
	s_waitcnt lgkmcnt(1)
	v_pk_mul_f32 v[104:105], v[84:85], v[104:105] op_sel_hi:[1,0]
	s_waitcnt vmcnt(5)
	v_pk_fma_f32 v[80:81], v[82:83], v[88:89], v[102:103] op_sel:[0,0,1] op_sel_hi:[1,1,0] neg_lo:[0,0,1] neg_hi:[0,0,1]
	v_pk_fma_f32 v[82:83], v[82:83], v[88:89], v[102:103] op_sel:[0,0,1] op_sel_hi:[1,0,0]
	v_mov_b32_e32 v111, v5
	v_mov_b32_e32 v108, v95
	v_pk_mul_f32 v[106:107], v[86:87], v[106:107] op_sel_hi:[1,0]
	s_waitcnt vmcnt(4)
	v_pk_fma_f32 v[88:89], v[84:85], v[90:91], v[104:105] op_sel:[0,0,1] op_sel_hi:[1,1,0] neg_lo:[0,0,1] neg_hi:[0,0,1]
	v_pk_fma_f32 v[84:85], v[84:85], v[90:91], v[104:105] op_sel:[0,0,1] op_sel_hi:[1,0,0]
	v_mov_b32_e32 v81, v83
	v_pk_add_f32 v[4:5], v[110:111], 0 op_sel_hi:[1,0]
	s_waitcnt lgkmcnt(0)
	v_pk_mul_f32 v[108:109], v[98:99], v[108:109] op_sel_hi:[1,0]
	s_waitcnt vmcnt(3)
	v_pk_fma_f32 v[90:91], v[86:87], v[92:93], v[106:107] op_sel:[0,0,1] op_sel_hi:[1,1,0] neg_lo:[0,0,1] neg_hi:[0,0,1]
	v_pk_fma_f32 v[86:87], v[86:87], v[92:93], v[106:107] op_sel:[0,0,1] op_sel_hi:[1,0,0]
	v_mov_b32_e32 v89, v85
	v_pk_add_f32 v[4:5], v[4:5], v[80:81]
	s_waitcnt vmcnt(2)
	v_pk_fma_f32 v[92:93], v[98:99], v[94:95], v[108:109] op_sel:[0,0,1] op_sel_hi:[1,1,0] neg_lo:[0,0,1] neg_hi:[0,0,1]
	v_pk_fma_f32 v[94:95], v[98:99], v[94:95], v[108:109] op_sel:[0,0,1] op_sel_hi:[1,0,0]
	v_mov_b32_e32 v91, v87
	v_pk_add_f32 v[4:5], v[4:5], v[88:89]
	v_mov_b32_e32 v93, v95
	v_pk_add_f32 v[4:5], v[4:5], v[90:91]
	v_pk_add_f32 v[4:5], v[4:5], v[92:93]
	s_waitcnt vmcnt(0)
	v_pk_add_f32 v[4:5], v[96:97], v[4:5] neg_lo:[0,1] neg_hi:[0,1]
	buffer_store_dword v4, off, s[0:3], 0 offset:248
	buffer_store_dword v5, off, s[0:3], 0 offset:252
	s_and_saveexec_b64 s[4:5], vcc
	s_cbranch_execz .LBB36_175
; %bb.174:
	buffer_load_dword v4, off, s[0:3], 0 offset:240
	buffer_load_dword v5, off, s[0:3], 0 offset:244
	s_waitcnt vmcnt(0)
	ds_write_b64 v1, v[4:5]
	buffer_store_dword v2, off, s[0:3], 0 offset:240
	buffer_store_dword v2, off, s[0:3], 0 offset:244
.LBB36_175:
	s_or_b64 exec, exec, s[4:5]
	s_waitcnt lgkmcnt(0)
	; wave barrier
	s_waitcnt lgkmcnt(0)
	buffer_load_dword v89, off, s[0:3], 0 offset:252
	buffer_load_dword v91, off, s[0:3], 0 offset:260
	buffer_load_dword v93, off, s[0:3], 0 offset:268
	buffer_load_dword v95, off, s[0:3], 0 offset:276
	buffer_load_dword v97, off, s[0:3], 0 offset:284
	buffer_load_dword v99, off, s[0:3], 0 offset:292
	buffer_load_dword v88, off, s[0:3], 0 offset:248
	buffer_load_dword v90, off, s[0:3], 0 offset:256
	buffer_load_dword v92, off, s[0:3], 0 offset:264
	buffer_load_dword v94, off, s[0:3], 0 offset:272
	buffer_load_dword v96, off, s[0:3], 0 offset:280
	buffer_load_dword v98, off, s[0:3], 0 offset:288
	buffer_load_dword v100, off, s[0:3], 0 offset:240
	buffer_load_dword v101, off, s[0:3], 0 offset:244
	ds_read2_b64 v[80:83], v2 offset0:69 offset1:70
	ds_read2_b64 v[84:87], v2 offset0:71 offset1:72
	;; [unrolled: 1-line block ×3, first 2 shown]
	v_cmp_lt_u32_e32 vcc, 29, v0
	s_waitcnt vmcnt(13)
	v_mov_b32_e32 v102, v89
	s_waitcnt vmcnt(12)
	v_mov_b32_e32 v104, v91
	;; [unrolled: 2-line block ×5, first 2 shown]
	s_waitcnt lgkmcnt(2)
	v_pk_mul_f32 v[102:103], v[80:81], v[102:103] op_sel_hi:[1,0]
	v_pk_mul_f32 v[104:105], v[82:83], v[104:105] op_sel_hi:[1,0]
	s_waitcnt lgkmcnt(1)
	v_pk_mul_f32 v[106:107], v[84:85], v[106:107] op_sel_hi:[1,0]
	v_pk_mul_f32 v[108:109], v[86:87], v[108:109] op_sel_hi:[1,0]
	s_waitcnt lgkmcnt(0)
	v_pk_mul_f32 v[110:111], v[2:3], v[110:111] op_sel_hi:[1,0]
	s_waitcnt vmcnt(7)
	v_pk_fma_f32 v[114:115], v[80:81], v[88:89], v[102:103] op_sel:[0,0,1] op_sel_hi:[1,1,0] neg_lo:[0,0,1] neg_hi:[0,0,1]
	v_pk_fma_f32 v[80:81], v[80:81], v[88:89], v[102:103] op_sel:[0,0,1] op_sel_hi:[1,0,0]
	s_waitcnt vmcnt(6)
	v_pk_fma_f32 v[88:89], v[82:83], v[90:91], v[104:105] op_sel:[0,0,1] op_sel_hi:[1,1,0] neg_lo:[0,0,1] neg_hi:[0,0,1]
	v_pk_fma_f32 v[82:83], v[82:83], v[90:91], v[104:105] op_sel:[0,0,1] op_sel_hi:[1,0,0]
	;; [unrolled: 3-line block ×5, first 2 shown]
	v_mov_b32_e32 v115, v81
	v_mov_b32_e32 v89, v83
	;; [unrolled: 1-line block ×3, first 2 shown]
	v_pk_add_f32 v[2:3], v[114:115], 0 op_sel_hi:[1,0]
	v_mov_b32_e32 v112, v99
	v_mov_b32_e32 v91, v85
	v_pk_add_f32 v[2:3], v[2:3], v[88:89]
	v_pk_mul_f32 v[112:113], v[4:5], v[112:113] op_sel_hi:[1,0]
	v_mov_b32_e32 v93, v87
	v_pk_add_f32 v[2:3], v[2:3], v[90:91]
	s_waitcnt vmcnt(2)
	v_pk_fma_f32 v[96:97], v[4:5], v[98:99], v[112:113] op_sel:[0,0,1] op_sel_hi:[1,1,0] neg_lo:[0,0,1] neg_hi:[0,0,1]
	v_pk_fma_f32 v[4:5], v[4:5], v[98:99], v[112:113] op_sel:[0,0,1] op_sel_hi:[1,0,0]
	v_pk_add_f32 v[2:3], v[2:3], v[92:93]
	v_mov_b32_e32 v97, v5
	v_pk_add_f32 v[2:3], v[2:3], v[94:95]
	v_pk_add_f32 v[2:3], v[2:3], v[96:97]
	s_waitcnt vmcnt(0)
	v_pk_add_f32 v[2:3], v[100:101], v[2:3] neg_lo:[0,1] neg_hi:[0,1]
	buffer_store_dword v2, off, s[0:3], 0 offset:240
	buffer_store_dword v3, off, s[0:3], 0 offset:244
	s_and_saveexec_b64 s[4:5], vcc
	s_cbranch_execz .LBB36_177
; %bb.176:
	buffer_load_dword v2, off, s[0:3], 0 offset:232
	buffer_load_dword v3, off, s[0:3], 0 offset:236
	v_mov_b32_e32 v4, 0
	buffer_store_dword v4, off, s[0:3], 0 offset:232
	buffer_store_dword v4, off, s[0:3], 0 offset:236
	s_waitcnt vmcnt(2)
	ds_write_b64 v1, v[2:3]
.LBB36_177:
	s_or_b64 exec, exec, s[4:5]
	s_waitcnt lgkmcnt(0)
	; wave barrier
	s_waitcnt lgkmcnt(0)
	buffer_load_dword v5, off, s[0:3], 0 offset:244
	buffer_load_dword v93, off, s[0:3], 0 offset:252
	;; [unrolled: 1-line block ×16, first 2 shown]
	v_mov_b32_e32 v2, 0
	ds_read_b128 v[80:83], v2 offset:544
	ds_read_b128 v[84:87], v2 offset:560
	;; [unrolled: 1-line block ×3, first 2 shown]
	ds_read_b64 v[106:107], v2 offset:592
	v_cmp_lt_u32_e32 vcc, 28, v0
	s_waitcnt vmcnt(15)
	v_mov_b32_e32 v108, v5
	s_waitcnt vmcnt(14)
	v_mov_b32_e32 v110, v93
	s_waitcnt lgkmcnt(3)
	v_pk_mul_f32 v[108:109], v[80:81], v[108:109] op_sel_hi:[1,0]
	s_waitcnt vmcnt(13)
	v_mov_b32_e32 v112, v95
	v_pk_mul_f32 v[110:111], v[82:83], v[110:111] op_sel_hi:[1,0]
	s_waitcnt vmcnt(12)
	v_mov_b32_e32 v114, v97
	s_waitcnt lgkmcnt(2)
	v_pk_mul_f32 v[112:113], v[84:85], v[112:113] op_sel_hi:[1,0]
	s_waitcnt vmcnt(8)
	v_pk_fma_f32 v[122:123], v[80:81], v[4:5], v[108:109] op_sel:[0,0,1] op_sel_hi:[1,1,0] neg_lo:[0,0,1] neg_hi:[0,0,1]
	v_pk_fma_f32 v[4:5], v[80:81], v[4:5], v[108:109] op_sel:[0,0,1] op_sel_hi:[1,0,0]
	s_waitcnt vmcnt(7)
	v_pk_fma_f32 v[80:81], v[82:83], v[92:93], v[110:111] op_sel:[0,0,1] op_sel_hi:[1,1,0] neg_lo:[0,0,1] neg_hi:[0,0,1]
	v_pk_fma_f32 v[82:83], v[82:83], v[92:93], v[110:111] op_sel:[0,0,1] op_sel_hi:[1,0,0]
	v_mov_b32_e32 v123, v5
	v_mov_b32_e32 v116, v99
	v_pk_mul_f32 v[114:115], v[86:87], v[114:115] op_sel_hi:[1,0]
	s_waitcnt vmcnt(6)
	v_pk_fma_f32 v[92:93], v[84:85], v[94:95], v[112:113] op_sel:[0,0,1] op_sel_hi:[1,1,0] neg_lo:[0,0,1] neg_hi:[0,0,1]
	v_pk_fma_f32 v[84:85], v[84:85], v[94:95], v[112:113] op_sel:[0,0,1] op_sel_hi:[1,0,0]
	v_mov_b32_e32 v81, v83
	v_pk_add_f32 v[4:5], v[122:123], 0 op_sel_hi:[1,0]
	v_mov_b32_e32 v118, v101
	s_waitcnt lgkmcnt(1)
	v_pk_mul_f32 v[116:117], v[88:89], v[116:117] op_sel_hi:[1,0]
	s_waitcnt vmcnt(5)
	v_pk_fma_f32 v[94:95], v[86:87], v[96:97], v[114:115] op_sel:[0,0,1] op_sel_hi:[1,1,0] neg_lo:[0,0,1] neg_hi:[0,0,1]
	v_pk_fma_f32 v[86:87], v[86:87], v[96:97], v[114:115] op_sel:[0,0,1] op_sel_hi:[1,0,0]
	v_mov_b32_e32 v93, v85
	v_pk_add_f32 v[4:5], v[4:5], v[80:81]
	v_mov_b32_e32 v120, v103
	v_pk_mul_f32 v[118:119], v[90:91], v[118:119] op_sel_hi:[1,0]
	s_waitcnt vmcnt(4)
	v_pk_fma_f32 v[96:97], v[88:89], v[98:99], v[116:117] op_sel:[0,0,1] op_sel_hi:[1,1,0] neg_lo:[0,0,1] neg_hi:[0,0,1]
	v_pk_fma_f32 v[88:89], v[88:89], v[98:99], v[116:117] op_sel:[0,0,1] op_sel_hi:[1,0,0]
	v_mov_b32_e32 v95, v87
	v_pk_add_f32 v[4:5], v[4:5], v[92:93]
	s_waitcnt lgkmcnt(0)
	v_pk_mul_f32 v[120:121], v[106:107], v[120:121] op_sel_hi:[1,0]
	s_waitcnt vmcnt(3)
	v_pk_fma_f32 v[98:99], v[90:91], v[100:101], v[118:119] op_sel:[0,0,1] op_sel_hi:[1,1,0] neg_lo:[0,0,1] neg_hi:[0,0,1]
	v_pk_fma_f32 v[90:91], v[90:91], v[100:101], v[118:119] op_sel:[0,0,1] op_sel_hi:[1,0,0]
	v_mov_b32_e32 v97, v89
	v_pk_add_f32 v[4:5], v[4:5], v[94:95]
	s_waitcnt vmcnt(2)
	v_pk_fma_f32 v[100:101], v[106:107], v[102:103], v[120:121] op_sel:[0,0,1] op_sel_hi:[1,1,0] neg_lo:[0,0,1] neg_hi:[0,0,1]
	v_pk_fma_f32 v[102:103], v[106:107], v[102:103], v[120:121] op_sel:[0,0,1] op_sel_hi:[1,0,0]
	v_mov_b32_e32 v99, v91
	v_pk_add_f32 v[4:5], v[4:5], v[96:97]
	v_mov_b32_e32 v101, v103
	v_pk_add_f32 v[4:5], v[4:5], v[98:99]
	v_pk_add_f32 v[4:5], v[4:5], v[100:101]
	s_waitcnt vmcnt(0)
	v_pk_add_f32 v[4:5], v[104:105], v[4:5] neg_lo:[0,1] neg_hi:[0,1]
	buffer_store_dword v4, off, s[0:3], 0 offset:232
	buffer_store_dword v5, off, s[0:3], 0 offset:236
	s_and_saveexec_b64 s[4:5], vcc
	s_cbranch_execz .LBB36_179
; %bb.178:
	buffer_load_dword v4, off, s[0:3], 0 offset:224
	buffer_load_dword v5, off, s[0:3], 0 offset:228
	s_waitcnt vmcnt(0)
	ds_write_b64 v1, v[4:5]
	buffer_store_dword v2, off, s[0:3], 0 offset:224
	buffer_store_dword v2, off, s[0:3], 0 offset:228
.LBB36_179:
	s_or_b64 exec, exec, s[4:5]
	s_waitcnt lgkmcnt(0)
	; wave barrier
	s_waitcnt lgkmcnt(0)
	buffer_load_dword v93, off, s[0:3], 0 offset:236
	buffer_load_dword v95, off, s[0:3], 0 offset:244
	;; [unrolled: 1-line block ×18, first 2 shown]
	ds_read2_b64 v[80:83], v2 offset0:67 offset1:68
	ds_read2_b64 v[84:87], v2 offset0:69 offset1:70
	;; [unrolled: 1-line block ×4, first 2 shown]
	v_cmp_lt_u32_e32 vcc, 27, v0
	s_waitcnt vmcnt(17)
	v_mov_b32_e32 v110, v93
	s_waitcnt vmcnt(16)
	v_mov_b32_e32 v112, v95
	;; [unrolled: 2-line block ×7, first 2 shown]
	s_waitcnt lgkmcnt(3)
	v_pk_mul_f32 v[110:111], v[80:81], v[110:111] op_sel_hi:[1,0]
	v_pk_mul_f32 v[112:113], v[82:83], v[112:113] op_sel_hi:[1,0]
	s_waitcnt lgkmcnt(2)
	v_pk_mul_f32 v[114:115], v[84:85], v[114:115] op_sel_hi:[1,0]
	v_pk_mul_f32 v[116:117], v[86:87], v[116:117] op_sel_hi:[1,0]
	;; [unrolled: 3-line block ×3, first 2 shown]
	s_waitcnt lgkmcnt(0)
	v_pk_mul_f32 v[122:123], v[2:3], v[122:123] op_sel_hi:[1,0]
	s_waitcnt vmcnt(9)
	v_pk_fma_f32 v[126:127], v[80:81], v[92:93], v[110:111] op_sel:[0,0,1] op_sel_hi:[1,1,0] neg_lo:[0,0,1] neg_hi:[0,0,1]
	v_pk_fma_f32 v[80:81], v[80:81], v[92:93], v[110:111] op_sel:[0,0,1] op_sel_hi:[1,0,0]
	s_waitcnt vmcnt(8)
	v_pk_fma_f32 v[92:93], v[82:83], v[94:95], v[112:113] op_sel:[0,0,1] op_sel_hi:[1,1,0] neg_lo:[0,0,1] neg_hi:[0,0,1]
	v_pk_fma_f32 v[82:83], v[82:83], v[94:95], v[112:113] op_sel:[0,0,1] op_sel_hi:[1,0,0]
	s_waitcnt vmcnt(7)
	v_pk_fma_f32 v[94:95], v[84:85], v[96:97], v[114:115] op_sel:[0,0,1] op_sel_hi:[1,1,0] neg_lo:[0,0,1] neg_hi:[0,0,1]
	v_pk_fma_f32 v[84:85], v[84:85], v[96:97], v[114:115] op_sel:[0,0,1] op_sel_hi:[1,0,0]
	s_waitcnt vmcnt(6)
	v_pk_fma_f32 v[96:97], v[86:87], v[98:99], v[116:117] op_sel:[0,0,1] op_sel_hi:[1,1,0] neg_lo:[0,0,1] neg_hi:[0,0,1]
	v_pk_fma_f32 v[86:87], v[86:87], v[98:99], v[116:117] op_sel:[0,0,1] op_sel_hi:[1,0,0]
	s_waitcnt vmcnt(5)
	v_pk_fma_f32 v[98:99], v[88:89], v[100:101], v[118:119] op_sel:[0,0,1] op_sel_hi:[1,1,0] neg_lo:[0,0,1] neg_hi:[0,0,1]
	v_pk_fma_f32 v[88:89], v[88:89], v[100:101], v[118:119] op_sel:[0,0,1] op_sel_hi:[1,0,0]
	s_waitcnt vmcnt(4)
	v_pk_fma_f32 v[100:101], v[90:91], v[102:103], v[120:121] op_sel:[0,0,1] op_sel_hi:[1,1,0] neg_lo:[0,0,1] neg_hi:[0,0,1]
	v_pk_fma_f32 v[90:91], v[90:91], v[102:103], v[120:121] op_sel:[0,0,1] op_sel_hi:[1,0,0]
	s_waitcnt vmcnt(3)
	v_pk_fma_f32 v[102:103], v[2:3], v[104:105], v[122:123] op_sel:[0,0,1] op_sel_hi:[1,1,0] neg_lo:[0,0,1] neg_hi:[0,0,1]
	v_pk_fma_f32 v[2:3], v[2:3], v[104:105], v[122:123] op_sel:[0,0,1] op_sel_hi:[1,0,0]
	v_mov_b32_e32 v127, v81
	v_mov_b32_e32 v93, v83
	;; [unrolled: 1-line block ×3, first 2 shown]
	v_pk_add_f32 v[2:3], v[126:127], 0 op_sel_hi:[1,0]
	v_mov_b32_e32 v95, v85
	v_pk_add_f32 v[2:3], v[2:3], v[92:93]
	v_mov_b32_e32 v97, v87
	v_pk_add_f32 v[2:3], v[2:3], v[94:95]
	v_mov_b32_e32 v124, v107
	v_mov_b32_e32 v99, v89
	v_pk_add_f32 v[2:3], v[2:3], v[96:97]
	v_pk_mul_f32 v[124:125], v[4:5], v[124:125] op_sel_hi:[1,0]
	v_mov_b32_e32 v101, v91
	v_pk_add_f32 v[2:3], v[2:3], v[98:99]
	s_waitcnt vmcnt(2)
	v_pk_fma_f32 v[104:105], v[4:5], v[106:107], v[124:125] op_sel:[0,0,1] op_sel_hi:[1,1,0] neg_lo:[0,0,1] neg_hi:[0,0,1]
	v_pk_fma_f32 v[4:5], v[4:5], v[106:107], v[124:125] op_sel:[0,0,1] op_sel_hi:[1,0,0]
	v_pk_add_f32 v[2:3], v[2:3], v[100:101]
	v_mov_b32_e32 v105, v5
	v_pk_add_f32 v[2:3], v[2:3], v[102:103]
	v_pk_add_f32 v[2:3], v[2:3], v[104:105]
	s_waitcnt vmcnt(0)
	v_pk_add_f32 v[2:3], v[108:109], v[2:3] neg_lo:[0,1] neg_hi:[0,1]
	buffer_store_dword v2, off, s[0:3], 0 offset:224
	buffer_store_dword v3, off, s[0:3], 0 offset:228
	s_and_saveexec_b64 s[4:5], vcc
	s_cbranch_execz .LBB36_181
; %bb.180:
	buffer_load_dword v2, off, s[0:3], 0 offset:216
	buffer_load_dword v3, off, s[0:3], 0 offset:220
	v_mov_b32_e32 v4, 0
	buffer_store_dword v4, off, s[0:3], 0 offset:216
	buffer_store_dword v4, off, s[0:3], 0 offset:220
	s_waitcnt vmcnt(2)
	ds_write_b64 v1, v[2:3]
.LBB36_181:
	s_or_b64 exec, exec, s[4:5]
	v_mov_b32_e32 v2, 0
	s_waitcnt lgkmcnt(0)
	; wave barrier
	s_waitcnt lgkmcnt(0)
	ds_read_b128 v[80:83], v2 offset:528
	ds_read_b128 v[84:87], v2 offset:544
	;; [unrolled: 1-line block ×4, first 2 shown]
	buffer_load_dword v4, off, s[0:3], 0 offset:216
	buffer_load_dword v5, off, s[0:3], 0 offset:220
	;; [unrolled: 1-line block ×20, first 2 shown]
	v_cmp_lt_u32_e32 vcc, 26, v0
	s_waitcnt vmcnt(16) lgkmcnt(3)
	v_mul_f32_e32 v109, v80, v108
	v_fmac_f32_e32 v109, v81, v3
	s_waitcnt vmcnt(14)
	v_mov_b32_e32 v114, v97
	v_mul_f32_e32 v81, v81, v108
	v_pk_mul_f32 v[114:115], v[82:83], v[114:115] op_sel_hi:[1,0]
	v_fma_f32 v108, v80, v3, -v81
	v_pk_fma_f32 v[116:117], v[82:83], v[96:97], v[114:115] op_sel:[0,0,1] op_sel_hi:[1,1,0] neg_lo:[0,0,1] neg_hi:[0,0,1]
	v_pk_fma_f32 v[82:83], v[82:83], v[96:97], v[114:115] op_sel:[0,0,1] op_sel_hi:[1,0,0]
	s_waitcnt vmcnt(12)
	v_mov_b32_e32 v96, v99
	v_pk_add_f32 v[108:109], v[108:109], 0 op_sel_hi:[1,0]
	v_mov_b32_e32 v117, v83
	s_waitcnt lgkmcnt(2)
	v_pk_mul_f32 v[96:97], v[84:85], v[96:97] op_sel_hi:[1,0]
	v_pk_add_f32 v[82:83], v[108:109], v[116:117]
	v_pk_fma_f32 v[108:109], v[84:85], v[98:99], v[96:97] op_sel:[0,0,1] op_sel_hi:[1,1,0] neg_lo:[0,0,1] neg_hi:[0,0,1]
	v_pk_fma_f32 v[84:85], v[84:85], v[98:99], v[96:97] op_sel:[0,0,1] op_sel_hi:[1,0,0]
	s_waitcnt vmcnt(10)
	v_mov_b32_e32 v84, v101
	v_mov_b32_e32 v109, v85
	v_pk_mul_f32 v[84:85], v[86:87], v[84:85] op_sel_hi:[1,0]
	v_pk_fma_f32 v[96:97], v[86:87], v[100:101], v[84:85] op_sel:[0,0,1] op_sel_hi:[1,1,0] neg_lo:[0,0,1] neg_hi:[0,0,1]
	v_pk_fma_f32 v[84:85], v[86:87], v[100:101], v[84:85] op_sel:[0,0,1] op_sel_hi:[1,0,0]
	s_waitcnt vmcnt(8)
	v_mov_b32_e32 v84, v103
	v_mov_b32_e32 v97, v85
	s_waitcnt lgkmcnt(1)
	v_pk_mul_f32 v[84:85], v[88:89], v[84:85] op_sel_hi:[1,0]
	v_pk_fma_f32 v[86:87], v[88:89], v[102:103], v[84:85] op_sel:[0,0,1] op_sel_hi:[1,1,0] neg_lo:[0,0,1] neg_hi:[0,0,1]
	v_pk_fma_f32 v[84:85], v[88:89], v[102:103], v[84:85] op_sel:[0,0,1] op_sel_hi:[1,0,0]
	v_pk_add_f32 v[82:83], v[82:83], v[108:109]
	s_waitcnt vmcnt(6)
	v_mov_b32_e32 v84, v105
	v_pk_add_f32 v[82:83], v[82:83], v[96:97]
	v_mov_b32_e32 v87, v85
	v_pk_mul_f32 v[84:85], v[90:91], v[84:85] op_sel_hi:[1,0]
	v_pk_add_f32 v[82:83], v[82:83], v[86:87]
	v_pk_fma_f32 v[86:87], v[90:91], v[104:105], v[84:85] op_sel:[0,0,1] op_sel_hi:[1,1,0] neg_lo:[0,0,1] neg_hi:[0,0,1]
	v_pk_fma_f32 v[84:85], v[90:91], v[104:105], v[84:85] op_sel:[0,0,1] op_sel_hi:[1,0,0]
	s_waitcnt vmcnt(4)
	v_mov_b32_e32 v84, v107
	v_mov_b32_e32 v87, v85
	s_waitcnt lgkmcnt(0)
	v_pk_mul_f32 v[84:85], v[92:93], v[84:85] op_sel_hi:[1,0]
	ds_read_b64 v[80:81], v2 offset:592
	v_pk_add_f32 v[82:83], v[82:83], v[86:87]
	v_pk_fma_f32 v[86:87], v[92:93], v[106:107], v[84:85] op_sel:[0,0,1] op_sel_hi:[1,1,0] neg_lo:[0,0,1] neg_hi:[0,0,1]
	v_pk_fma_f32 v[84:85], v[92:93], v[106:107], v[84:85] op_sel:[0,0,1] op_sel_hi:[1,0,0]
	s_waitcnt vmcnt(3)
	v_mov_b32_e32 v84, v111
	v_mov_b32_e32 v87, v85
	v_pk_mul_f32 v[84:85], v[94:95], v[84:85] op_sel_hi:[1,0]
	v_pk_add_f32 v[82:83], v[82:83], v[86:87]
	s_waitcnt vmcnt(2)
	v_pk_fma_f32 v[86:87], v[94:95], v[110:111], v[84:85] op_sel:[0,0,1] op_sel_hi:[1,1,0] neg_lo:[0,0,1] neg_hi:[0,0,1]
	v_pk_fma_f32 v[84:85], v[94:95], v[110:111], v[84:85] op_sel:[0,0,1] op_sel_hi:[1,0,0]
	s_waitcnt vmcnt(1)
	v_mov_b32_e32 v84, v113
	v_mov_b32_e32 v87, v85
	s_waitcnt lgkmcnt(0)
	v_pk_mul_f32 v[84:85], v[80:81], v[84:85] op_sel_hi:[1,0]
	v_pk_add_f32 v[82:83], v[82:83], v[86:87]
	s_waitcnt vmcnt(0)
	v_pk_fma_f32 v[86:87], v[80:81], v[112:113], v[84:85] op_sel:[0,0,1] op_sel_hi:[1,1,0] neg_lo:[0,0,1] neg_hi:[0,0,1]
	v_pk_fma_f32 v[80:81], v[80:81], v[112:113], v[84:85] op_sel:[0,0,1] op_sel_hi:[1,0,0]
	v_mov_b32_e32 v87, v81
	v_pk_add_f32 v[80:81], v[82:83], v[86:87]
	v_pk_add_f32 v[4:5], v[4:5], v[80:81] neg_lo:[0,1] neg_hi:[0,1]
	buffer_store_dword v4, off, s[0:3], 0 offset:216
	buffer_store_dword v5, off, s[0:3], 0 offset:220
	s_and_saveexec_b64 s[4:5], vcc
	s_cbranch_execz .LBB36_183
; %bb.182:
	buffer_load_dword v4, off, s[0:3], 0 offset:208
	buffer_load_dword v5, off, s[0:3], 0 offset:212
	s_waitcnt vmcnt(0)
	ds_write_b64 v1, v[4:5]
	buffer_store_dword v2, off, s[0:3], 0 offset:208
	buffer_store_dword v2, off, s[0:3], 0 offset:212
.LBB36_183:
	s_or_b64 exec, exec, s[4:5]
	s_waitcnt lgkmcnt(0)
	; wave barrier
	s_waitcnt lgkmcnt(0)
	ds_read2_b64 v[80:83], v2 offset0:65 offset1:66
	buffer_load_dword v92, off, s[0:3], 0 offset:208
	buffer_load_dword v93, off, s[0:3], 0 offset:212
	;; [unrolled: 1-line block ×16, first 2 shown]
	ds_read2_b64 v[84:87], v2 offset0:67 offset1:68
	buffer_load_dword v109, off, s[0:3], 0 offset:276
	buffer_load_dword v108, off, s[0:3], 0 offset:272
	;; [unrolled: 1-line block ×6, first 2 shown]
	v_cmp_lt_u32_e32 vcc, 25, v0
	s_waitcnt vmcnt(18) lgkmcnt(1)
	v_mul_f32_e32 v105, v80, v4
	v_mul_f32_e32 v4, v81, v4
	v_fmac_f32_e32 v105, v81, v3
	s_waitcnt vmcnt(16)
	v_mul_f32_e32 v107, v82, v88
	v_fma_f32 v104, v80, v3, -v4
	v_mul_f32_e32 v3, v83, v88
	v_fmac_f32_e32 v107, v83, v5
	v_fma_f32 v106, v82, v5, -v3
	v_pk_add_f32 v[104:105], v[104:105], 0 op_sel_hi:[1,0]
	v_pk_add_f32 v[104:105], v[104:105], v[106:107]
	s_waitcnt vmcnt(14)
	v_mov_b32_e32 v106, v95
	s_waitcnt lgkmcnt(0)
	v_pk_mul_f32 v[106:107], v[84:85], v[106:107] op_sel_hi:[1,0]
	v_pk_fma_f32 v[114:115], v[84:85], v[94:95], v[106:107] op_sel:[0,0,1] op_sel_hi:[1,1,0] neg_lo:[0,0,1] neg_hi:[0,0,1]
	v_pk_fma_f32 v[84:85], v[84:85], v[94:95], v[106:107] op_sel:[0,0,1] op_sel_hi:[1,0,0]
	s_waitcnt vmcnt(12)
	v_mov_b32_e32 v94, v97
	ds_read2_b64 v[80:83], v2 offset0:69 offset1:70
	ds_read2_b64 v[88:91], v2 offset0:71 offset1:72
	;; [unrolled: 1-line block ×3, first 2 shown]
	v_mov_b32_e32 v115, v85
	v_pk_mul_f32 v[94:95], v[86:87], v[94:95] op_sel_hi:[1,0]
	v_pk_add_f32 v[84:85], v[104:105], v[114:115]
	v_pk_fma_f32 v[104:105], v[86:87], v[96:97], v[94:95] op_sel:[0,0,1] op_sel_hi:[1,1,0] neg_lo:[0,0,1] neg_hi:[0,0,1]
	v_pk_fma_f32 v[86:87], v[86:87], v[96:97], v[94:95] op_sel:[0,0,1] op_sel_hi:[1,0,0]
	s_waitcnt vmcnt(10)
	v_mov_b32_e32 v86, v99
	v_mov_b32_e32 v105, v87
	s_waitcnt lgkmcnt(2)
	v_pk_mul_f32 v[86:87], v[80:81], v[86:87] op_sel_hi:[1,0]
	v_pk_fma_f32 v[94:95], v[80:81], v[98:99], v[86:87] op_sel:[0,0,1] op_sel_hi:[1,1,0] neg_lo:[0,0,1] neg_hi:[0,0,1]
	v_pk_fma_f32 v[80:81], v[80:81], v[98:99], v[86:87] op_sel:[0,0,1] op_sel_hi:[1,0,0]
	v_pk_add_f32 v[84:85], v[84:85], v[104:105]
	v_mov_b32_e32 v95, v81
	v_pk_add_f32 v[80:81], v[84:85], v[94:95]
	s_waitcnt vmcnt(8)
	v_mov_b32_e32 v84, v101
	v_pk_mul_f32 v[84:85], v[82:83], v[84:85] op_sel_hi:[1,0]
	v_pk_fma_f32 v[86:87], v[82:83], v[100:101], v[84:85] op_sel:[0,0,1] op_sel_hi:[1,1,0] neg_lo:[0,0,1] neg_hi:[0,0,1]
	v_pk_fma_f32 v[82:83], v[82:83], v[100:101], v[84:85] op_sel:[0,0,1] op_sel_hi:[1,0,0]
	s_waitcnt vmcnt(6)
	v_mov_b32_e32 v82, v103
	v_mov_b32_e32 v87, v83
	s_waitcnt lgkmcnt(1)
	v_pk_mul_f32 v[82:83], v[88:89], v[82:83] op_sel_hi:[1,0]
	v_pk_fma_f32 v[84:85], v[88:89], v[102:103], v[82:83] op_sel:[0,0,1] op_sel_hi:[1,1,0] neg_lo:[0,0,1] neg_hi:[0,0,1]
	v_pk_fma_f32 v[82:83], v[88:89], v[102:103], v[82:83] op_sel:[0,0,1] op_sel_hi:[1,0,0]
	s_waitcnt vmcnt(5)
	v_mov_b32_e32 v82, v109
	v_pk_add_f32 v[80:81], v[80:81], v[86:87]
	v_mov_b32_e32 v85, v83
	v_pk_mul_f32 v[82:83], v[90:91], v[82:83] op_sel_hi:[1,0]
	v_pk_add_f32 v[80:81], v[80:81], v[84:85]
	s_waitcnt vmcnt(4)
	v_pk_fma_f32 v[84:85], v[90:91], v[108:109], v[82:83] op_sel:[0,0,1] op_sel_hi:[1,1,0] neg_lo:[0,0,1] neg_hi:[0,0,1]
	v_pk_fma_f32 v[82:83], v[90:91], v[108:109], v[82:83] op_sel:[0,0,1] op_sel_hi:[1,0,0]
	s_waitcnt vmcnt(3)
	v_mov_b32_e32 v82, v111
	v_mov_b32_e32 v85, v83
	s_waitcnt lgkmcnt(0)
	v_pk_mul_f32 v[82:83], v[2:3], v[82:83] op_sel_hi:[1,0]
	v_pk_add_f32 v[80:81], v[80:81], v[84:85]
	s_waitcnt vmcnt(2)
	v_pk_fma_f32 v[84:85], v[2:3], v[110:111], v[82:83] op_sel:[0,0,1] op_sel_hi:[1,1,0] neg_lo:[0,0,1] neg_hi:[0,0,1]
	v_pk_fma_f32 v[2:3], v[2:3], v[110:111], v[82:83] op_sel:[0,0,1] op_sel_hi:[1,0,0]
	v_mov_b32_e32 v85, v3
	v_pk_add_f32 v[2:3], v[80:81], v[84:85]
	s_waitcnt vmcnt(1)
	v_mov_b32_e32 v80, v113
	v_pk_mul_f32 v[80:81], v[4:5], v[80:81] op_sel_hi:[1,0]
	s_waitcnt vmcnt(0)
	v_pk_fma_f32 v[82:83], v[4:5], v[112:113], v[80:81] op_sel:[0,0,1] op_sel_hi:[1,1,0] neg_lo:[0,0,1] neg_hi:[0,0,1]
	v_pk_fma_f32 v[4:5], v[4:5], v[112:113], v[80:81] op_sel:[0,0,1] op_sel_hi:[1,0,0]
	v_mov_b32_e32 v83, v5
	v_pk_add_f32 v[2:3], v[2:3], v[82:83]
	v_pk_add_f32 v[2:3], v[92:93], v[2:3] neg_lo:[0,1] neg_hi:[0,1]
	buffer_store_dword v2, off, s[0:3], 0 offset:208
	buffer_store_dword v3, off, s[0:3], 0 offset:212
	s_and_saveexec_b64 s[4:5], vcc
	s_cbranch_execz .LBB36_185
; %bb.184:
	buffer_load_dword v2, off, s[0:3], 0 offset:200
	buffer_load_dword v3, off, s[0:3], 0 offset:204
	v_mov_b32_e32 v4, 0
	buffer_store_dword v4, off, s[0:3], 0 offset:200
	buffer_store_dword v4, off, s[0:3], 0 offset:204
	s_waitcnt vmcnt(2)
	ds_write_b64 v1, v[2:3]
.LBB36_185:
	s_or_b64 exec, exec, s[4:5]
	v_mov_b32_e32 v4, 0
	s_waitcnt lgkmcnt(0)
	; wave barrier
	s_waitcnt lgkmcnt(0)
	ds_read_b128 v[80:83], v4 offset:512
	ds_read_b128 v[84:87], v4 offset:528
	;; [unrolled: 1-line block ×4, first 2 shown]
	buffer_load_dword v2, off, s[0:3], 0 offset:200
	buffer_load_dword v3, off, s[0:3], 0 offset:204
	;; [unrolled: 1-line block ×24, first 2 shown]
	v_cmp_lt_u32_e32 vcc, 24, v0
	s_waitcnt vmcnt(20) lgkmcnt(3)
	v_mul_f32_e32 v105, v80, v104
	v_fmac_f32_e32 v105, v81, v5
	v_mul_f32_e32 v81, v81, v104
	v_fma_f32 v5, v80, v5, -v81
	s_waitcnt vmcnt(18)
	v_mul_f32_e32 v107, v82, v108
	v_add_f32_e32 v104, 0, v5
	v_mul_f32_e32 v5, v83, v108
	v_add_f32_e32 v105, 0, v105
	v_fmac_f32_e32 v107, v83, v106
	v_fma_f32 v106, v82, v106, -v5
	s_waitcnt vmcnt(16) lgkmcnt(2)
	v_mul_f32_e32 v109, v84, v119
	v_mul_f32_e32 v5, v85, v119
	v_pk_add_f32 v[104:105], v[104:105], v[106:107]
	s_waitcnt vmcnt(14)
	v_mov_b32_e32 v106, v97
	v_fmac_f32_e32 v109, v85, v118
	v_fma_f32 v108, v84, v118, -v5
	v_pk_mul_f32 v[106:107], v[86:87], v[106:107] op_sel_hi:[1,0]
	v_pk_add_f32 v[104:105], v[104:105], v[108:109]
	v_pk_fma_f32 v[108:109], v[86:87], v[96:97], v[106:107] op_sel:[0,0,1] op_sel_hi:[1,1,0] neg_lo:[0,0,1] neg_hi:[0,0,1]
	v_pk_fma_f32 v[86:87], v[86:87], v[96:97], v[106:107] op_sel:[0,0,1] op_sel_hi:[1,0,0]
	s_waitcnt vmcnt(12)
	v_mov_b32_e32 v96, v99
	v_mov_b32_e32 v109, v87
	s_waitcnt lgkmcnt(1)
	v_pk_mul_f32 v[96:97], v[88:89], v[96:97] op_sel_hi:[1,0]
	v_pk_add_f32 v[86:87], v[104:105], v[108:109]
	v_pk_fma_f32 v[104:105], v[88:89], v[98:99], v[96:97] op_sel:[0,0,1] op_sel_hi:[1,1,0] neg_lo:[0,0,1] neg_hi:[0,0,1]
	v_pk_fma_f32 v[88:89], v[88:89], v[98:99], v[96:97] op_sel:[0,0,1] op_sel_hi:[1,0,0]
	s_waitcnt vmcnt(10)
	v_mov_b32_e32 v88, v101
	v_mov_b32_e32 v105, v89
	v_pk_mul_f32 v[88:89], v[90:91], v[88:89] op_sel_hi:[1,0]
	v_pk_fma_f32 v[96:97], v[90:91], v[100:101], v[88:89] op_sel:[0,0,1] op_sel_hi:[1,1,0] neg_lo:[0,0,1] neg_hi:[0,0,1]
	v_pk_fma_f32 v[88:89], v[90:91], v[100:101], v[88:89] op_sel:[0,0,1] op_sel_hi:[1,0,0]
	s_waitcnt vmcnt(8)
	v_mov_b32_e32 v88, v103
	v_mov_b32_e32 v97, v89
	s_waitcnt lgkmcnt(0)
	v_pk_mul_f32 v[88:89], v[92:93], v[88:89] op_sel_hi:[1,0]
	v_pk_fma_f32 v[90:91], v[92:93], v[102:103], v[88:89] op_sel:[0,0,1] op_sel_hi:[1,1,0] neg_lo:[0,0,1] neg_hi:[0,0,1]
	v_pk_fma_f32 v[88:89], v[92:93], v[102:103], v[88:89] op_sel:[0,0,1] op_sel_hi:[1,0,0]
	ds_read_b128 v[80:83], v4 offset:576
	ds_read_b64 v[84:85], v4 offset:592
	v_pk_add_f32 v[86:87], v[86:87], v[104:105]
	s_waitcnt vmcnt(7)
	v_mov_b32_e32 v88, v111
	v_pk_add_f32 v[86:87], v[86:87], v[96:97]
	v_mov_b32_e32 v91, v89
	v_pk_mul_f32 v[88:89], v[94:95], v[88:89] op_sel_hi:[1,0]
	v_pk_add_f32 v[86:87], v[86:87], v[90:91]
	s_waitcnt vmcnt(6)
	v_pk_fma_f32 v[90:91], v[94:95], v[110:111], v[88:89] op_sel:[0,0,1] op_sel_hi:[1,1,0] neg_lo:[0,0,1] neg_hi:[0,0,1]
	v_pk_fma_f32 v[88:89], v[94:95], v[110:111], v[88:89] op_sel:[0,0,1] op_sel_hi:[1,0,0]
	s_waitcnt vmcnt(5)
	v_mov_b32_e32 v88, v113
	v_mov_b32_e32 v91, v89
	s_waitcnt lgkmcnt(1)
	v_pk_mul_f32 v[88:89], v[80:81], v[88:89] op_sel_hi:[1,0]
	v_pk_add_f32 v[86:87], v[86:87], v[90:91]
	s_waitcnt vmcnt(4)
	v_pk_fma_f32 v[90:91], v[80:81], v[112:113], v[88:89] op_sel:[0,0,1] op_sel_hi:[1,1,0] neg_lo:[0,0,1] neg_hi:[0,0,1]
	v_pk_fma_f32 v[80:81], v[80:81], v[112:113], v[88:89] op_sel:[0,0,1] op_sel_hi:[1,0,0]
	v_mov_b32_e32 v91, v81
	v_pk_add_f32 v[80:81], v[86:87], v[90:91]
	s_waitcnt vmcnt(3)
	v_mov_b32_e32 v86, v115
	v_pk_mul_f32 v[86:87], v[82:83], v[86:87] op_sel_hi:[1,0]
	s_waitcnt vmcnt(2)
	v_pk_fma_f32 v[88:89], v[82:83], v[114:115], v[86:87] op_sel:[0,0,1] op_sel_hi:[1,1,0] neg_lo:[0,0,1] neg_hi:[0,0,1]
	v_pk_fma_f32 v[82:83], v[82:83], v[114:115], v[86:87] op_sel:[0,0,1] op_sel_hi:[1,0,0]
	s_waitcnt vmcnt(1)
	v_mov_b32_e32 v82, v117
	v_mov_b32_e32 v89, v83
	s_waitcnt lgkmcnt(0)
	v_pk_mul_f32 v[82:83], v[84:85], v[82:83] op_sel_hi:[1,0]
	s_waitcnt vmcnt(0)
	v_pk_fma_f32 v[86:87], v[84:85], v[116:117], v[82:83] op_sel:[0,0,1] op_sel_hi:[1,1,0] neg_lo:[0,0,1] neg_hi:[0,0,1]
	v_pk_fma_f32 v[82:83], v[84:85], v[116:117], v[82:83] op_sel:[0,0,1] op_sel_hi:[1,0,0]
	v_pk_add_f32 v[80:81], v[80:81], v[88:89]
	v_mov_b32_e32 v87, v83
	v_pk_add_f32 v[80:81], v[80:81], v[86:87]
	v_pk_add_f32 v[2:3], v[2:3], v[80:81] neg_lo:[0,1] neg_hi:[0,1]
	buffer_store_dword v3, off, s[0:3], 0 offset:204
	buffer_store_dword v2, off, s[0:3], 0 offset:200
	s_and_saveexec_b64 s[4:5], vcc
	s_cbranch_execz .LBB36_187
; %bb.186:
	buffer_load_dword v2, off, s[0:3], 0 offset:192
	buffer_load_dword v3, off, s[0:3], 0 offset:196
	s_waitcnt vmcnt(0)
	ds_write_b64 v1, v[2:3]
	buffer_store_dword v4, off, s[0:3], 0 offset:192
	buffer_store_dword v4, off, s[0:3], 0 offset:196
.LBB36_187:
	s_or_b64 exec, exec, s[4:5]
	s_waitcnt lgkmcnt(0)
	; wave barrier
	s_waitcnt lgkmcnt(0)
	ds_read2_b64 v[80:83], v4 offset0:63 offset1:64
	buffer_load_dword v2, off, s[0:3], 0 offset:192
	buffer_load_dword v3, off, s[0:3], 0 offset:196
	buffer_load_dword v5, off, s[0:3], 0 offset:200
	buffer_load_dword v92, off, s[0:3], 0 offset:204
	buffer_load_dword v93, off, s[0:3], 0 offset:208
	buffer_load_dword v94, off, s[0:3], 0 offset:212
	buffer_load_dword v95, off, s[0:3], 0 offset:216
	buffer_load_dword v104, off, s[0:3], 0 offset:220
	buffer_load_dword v106, off, s[0:3], 0 offset:224
	buffer_load_dword v118, off, s[0:3], 0 offset:228
	buffer_load_dword v96, off, s[0:3], 0 offset:232
	buffer_load_dword v97, off, s[0:3], 0 offset:236
	buffer_load_dword v98, off, s[0:3], 0 offset:240
	buffer_load_dword v99, off, s[0:3], 0 offset:244
	buffer_load_dword v100, off, s[0:3], 0 offset:248
	buffer_load_dword v101, off, s[0:3], 0 offset:252
	v_cmp_lt_u32_e32 vcc, 23, v0
	ds_read2_b64 v[88:91], v4 offset0:67 offset1:68
	s_waitcnt vmcnt(12) lgkmcnt(1)
	v_mul_f32_e32 v84, v80, v92
	v_fmac_f32_e32 v84, v81, v5
	s_waitcnt vmcnt(10)
	v_mul_f32_e32 v85, v82, v94
	v_add_f32_e32 v84, 0, v84
	v_fmac_f32_e32 v85, v83, v93
	v_add_f32_e32 v103, v84, v85
	ds_read2_b64 v[84:87], v4 offset0:65 offset1:66
	buffer_load_dword v109, off, s[0:3], 0 offset:260
	buffer_load_dword v108, off, s[0:3], 0 offset:256
	;; [unrolled: 1-line block ×10, first 2 shown]
	v_mul_f32_e32 v81, v81, v92
	v_fma_f32 v5, v80, v5, -v81
	v_mul_f32_e32 v80, v83, v94
	v_add_f32_e32 v5, 0, v5
	v_fma_f32 v80, v82, v93, -v80
	s_waitcnt vmcnt(18) lgkmcnt(0)
	v_mul_f32_e32 v105, v84, v104
	v_add_f32_e32 v102, v5, v80
	v_mul_f32_e32 v5, v85, v104
	v_fmac_f32_e32 v105, v85, v95
	s_waitcnt vmcnt(16)
	v_mul_f32_e32 v107, v86, v118
	v_fma_f32 v104, v84, v95, -v5
	v_mul_f32_e32 v5, v87, v118
	v_fmac_f32_e32 v107, v87, v106
	v_fma_f32 v106, v86, v106, -v5
	ds_read2_b64 v[80:83], v4 offset0:69 offset1:70
	ds_read2_b64 v[84:87], v4 offset0:71 offset1:72
	;; [unrolled: 1-line block ×3, first 2 shown]
	v_pk_add_f32 v[4:5], v[102:103], v[104:105]
	s_waitcnt vmcnt(14)
	v_mov_b32_e32 v102, v97
	v_pk_mul_f32 v[102:103], v[88:89], v[102:103] op_sel_hi:[1,0]
	v_pk_fma_f32 v[104:105], v[88:89], v[96:97], v[102:103] op_sel:[0,0,1] op_sel_hi:[1,1,0] neg_lo:[0,0,1] neg_hi:[0,0,1]
	v_pk_fma_f32 v[88:89], v[88:89], v[96:97], v[102:103] op_sel:[0,0,1] op_sel_hi:[1,0,0]
	s_waitcnt vmcnt(12)
	v_mov_b32_e32 v88, v99
	v_mov_b32_e32 v105, v89
	v_pk_mul_f32 v[88:89], v[90:91], v[88:89] op_sel_hi:[1,0]
	v_pk_fma_f32 v[96:97], v[90:91], v[98:99], v[88:89] op_sel:[0,0,1] op_sel_hi:[1,1,0] neg_lo:[0,0,1] neg_hi:[0,0,1]
	v_pk_fma_f32 v[88:89], v[90:91], v[98:99], v[88:89] op_sel:[0,0,1] op_sel_hi:[1,0,0]
	s_waitcnt vmcnt(10)
	v_mov_b32_e32 v88, v101
	v_mov_b32_e32 v97, v89
	s_waitcnt lgkmcnt(2)
	v_pk_mul_f32 v[88:89], v[80:81], v[88:89] op_sel_hi:[1,0]
	v_pk_fma_f32 v[90:91], v[80:81], v[100:101], v[88:89] op_sel:[0,0,1] op_sel_hi:[1,1,0] neg_lo:[0,0,1] neg_hi:[0,0,1]
	v_pk_fma_f32 v[80:81], v[80:81], v[100:101], v[88:89] op_sel:[0,0,1] op_sel_hi:[1,0,0]
	v_mov_b32_e32 v91, v81
	v_pk_add_f32 v[4:5], v[4:5], v[106:107]
	v_pk_add_f32 v[4:5], v[4:5], v[104:105]
	;; [unrolled: 1-line block ×4, first 2 shown]
	s_waitcnt vmcnt(9)
	v_mov_b32_e32 v80, v109
	v_pk_mul_f32 v[80:81], v[82:83], v[80:81] op_sel_hi:[1,0]
	s_waitcnt vmcnt(8)
	v_pk_fma_f32 v[88:89], v[82:83], v[108:109], v[80:81] op_sel:[0,0,1] op_sel_hi:[1,1,0] neg_lo:[0,0,1] neg_hi:[0,0,1]
	v_pk_fma_f32 v[80:81], v[82:83], v[108:109], v[80:81] op_sel:[0,0,1] op_sel_hi:[1,0,0]
	s_waitcnt vmcnt(7)
	v_mov_b32_e32 v80, v111
	v_mov_b32_e32 v89, v81
	s_waitcnt lgkmcnt(1)
	v_pk_mul_f32 v[80:81], v[84:85], v[80:81] op_sel_hi:[1,0]
	s_waitcnt vmcnt(6)
	v_pk_fma_f32 v[82:83], v[84:85], v[110:111], v[80:81] op_sel:[0,0,1] op_sel_hi:[1,1,0] neg_lo:[0,0,1] neg_hi:[0,0,1]
	v_pk_fma_f32 v[80:81], v[84:85], v[110:111], v[80:81] op_sel:[0,0,1] op_sel_hi:[1,0,0]
	s_waitcnt vmcnt(5)
	v_mov_b32_e32 v80, v113
	v_pk_add_f32 v[4:5], v[4:5], v[88:89]
	v_mov_b32_e32 v83, v81
	v_pk_mul_f32 v[80:81], v[86:87], v[80:81] op_sel_hi:[1,0]
	v_pk_add_f32 v[4:5], v[4:5], v[82:83]
	s_waitcnt vmcnt(4)
	v_pk_fma_f32 v[82:83], v[86:87], v[112:113], v[80:81] op_sel:[0,0,1] op_sel_hi:[1,1,0] neg_lo:[0,0,1] neg_hi:[0,0,1]
	v_pk_fma_f32 v[80:81], v[86:87], v[112:113], v[80:81] op_sel:[0,0,1] op_sel_hi:[1,0,0]
	s_waitcnt vmcnt(3)
	v_mov_b32_e32 v80, v115
	v_mov_b32_e32 v83, v81
	s_waitcnt lgkmcnt(0)
	v_pk_mul_f32 v[80:81], v[92:93], v[80:81] op_sel_hi:[1,0]
	v_pk_add_f32 v[4:5], v[4:5], v[82:83]
	s_waitcnt vmcnt(2)
	v_pk_fma_f32 v[82:83], v[92:93], v[114:115], v[80:81] op_sel:[0,0,1] op_sel_hi:[1,1,0] neg_lo:[0,0,1] neg_hi:[0,0,1]
	v_pk_fma_f32 v[80:81], v[92:93], v[114:115], v[80:81] op_sel:[0,0,1] op_sel_hi:[1,0,0]
	s_waitcnt vmcnt(1)
	v_mov_b32_e32 v80, v117
	v_mov_b32_e32 v83, v81
	v_pk_mul_f32 v[80:81], v[94:95], v[80:81] op_sel_hi:[1,0]
	v_pk_add_f32 v[4:5], v[4:5], v[82:83]
	s_waitcnt vmcnt(0)
	v_pk_fma_f32 v[82:83], v[94:95], v[116:117], v[80:81] op_sel:[0,0,1] op_sel_hi:[1,1,0] neg_lo:[0,0,1] neg_hi:[0,0,1]
	v_pk_fma_f32 v[80:81], v[94:95], v[116:117], v[80:81] op_sel:[0,0,1] op_sel_hi:[1,0,0]
	v_mov_b32_e32 v83, v81
	v_pk_add_f32 v[4:5], v[4:5], v[82:83]
	v_pk_add_f32 v[2:3], v[2:3], v[4:5] neg_lo:[0,1] neg_hi:[0,1]
	buffer_store_dword v3, off, s[0:3], 0 offset:196
	buffer_store_dword v2, off, s[0:3], 0 offset:192
	s_and_saveexec_b64 s[4:5], vcc
	s_cbranch_execz .LBB36_189
; %bb.188:
	buffer_load_dword v2, off, s[0:3], 0 offset:184
	buffer_load_dword v3, off, s[0:3], 0 offset:188
	v_mov_b32_e32 v4, 0
	buffer_store_dword v4, off, s[0:3], 0 offset:184
	buffer_store_dword v4, off, s[0:3], 0 offset:188
	s_waitcnt vmcnt(2)
	ds_write_b64 v1, v[2:3]
.LBB36_189:
	s_or_b64 exec, exec, s[4:5]
	v_mov_b32_e32 v4, 0
	s_waitcnt lgkmcnt(0)
	; wave barrier
	s_waitcnt lgkmcnt(0)
	ds_read_b128 v[80:83], v4 offset:496
	ds_read_b128 v[84:87], v4 offset:512
	;; [unrolled: 1-line block ×4, first 2 shown]
	buffer_load_dword v2, off, s[0:3], 0 offset:184
	buffer_load_dword v3, off, s[0:3], 0 offset:188
	;; [unrolled: 1-line block ×28, first 2 shown]
	v_cmp_lt_u32_e32 vcc, 22, v0
	s_waitcnt vmcnt(24) lgkmcnt(3)
	v_mul_f32_e32 v101, v80, v100
	v_fmac_f32_e32 v101, v81, v5
	v_mul_f32_e32 v81, v81, v100
	s_waitcnt vmcnt(22)
	v_mul_f32_e32 v103, v82, v104
	v_fma_f32 v5, v80, v5, -v81
	v_mul_f32_e32 v80, v83, v104
	v_add_f32_e32 v101, 0, v101
	v_fmac_f32_e32 v103, v83, v102
	v_add_f32_e32 v5, 0, v5
	v_fma_f32 v80, v82, v102, -v80
	v_add_f32_e32 v101, v101, v103
	s_waitcnt vmcnt(20) lgkmcnt(2)
	v_mul_f32_e32 v103, v84, v119
	v_add_f32_e32 v5, v5, v80
	v_mul_f32_e32 v80, v85, v119
	v_fmac_f32_e32 v103, v85, v118
	v_fma_f32 v80, v84, v118, -v80
	v_add_f32_e32 v101, v101, v103
	s_waitcnt vmcnt(18)
	v_mul_f32_e32 v103, v86, v121
	v_add_f32_e32 v100, v5, v80
	v_mul_f32_e32 v5, v87, v121
	v_fmac_f32_e32 v103, v87, v120
	v_fma_f32 v102, v86, v120, -v5
	s_waitcnt vmcnt(16) lgkmcnt(1)
	v_mul_f32_e32 v105, v88, v123
	v_mul_f32_e32 v5, v89, v123
	v_pk_add_f32 v[100:101], v[100:101], v[102:103]
	s_waitcnt vmcnt(14)
	v_mov_b32_e32 v102, v97
	v_fmac_f32_e32 v105, v89, v122
	v_fma_f32 v104, v88, v122, -v5
	v_pk_mul_f32 v[102:103], v[90:91], v[102:103] op_sel_hi:[1,0]
	v_pk_add_f32 v[100:101], v[100:101], v[104:105]
	v_pk_fma_f32 v[104:105], v[90:91], v[96:97], v[102:103] op_sel:[0,0,1] op_sel_hi:[1,1,0] neg_lo:[0,0,1] neg_hi:[0,0,1]
	v_pk_fma_f32 v[90:91], v[90:91], v[96:97], v[102:103] op_sel:[0,0,1] op_sel_hi:[1,0,0]
	s_waitcnt vmcnt(12)
	v_mov_b32_e32 v96, v99
	v_mov_b32_e32 v105, v91
	s_waitcnt lgkmcnt(0)
	v_pk_mul_f32 v[96:97], v[92:93], v[96:97] op_sel_hi:[1,0]
	v_pk_add_f32 v[90:91], v[100:101], v[104:105]
	v_pk_fma_f32 v[100:101], v[92:93], v[98:99], v[96:97] op_sel:[0,0,1] op_sel_hi:[1,1,0] neg_lo:[0,0,1] neg_hi:[0,0,1]
	v_pk_fma_f32 v[92:93], v[92:93], v[98:99], v[96:97] op_sel:[0,0,1] op_sel_hi:[1,0,0]
	s_waitcnt vmcnt(11)
	v_mov_b32_e32 v92, v107
	ds_read_b128 v[80:83], v4 offset:560
	ds_read_b128 v[84:87], v4 offset:576
	ds_read_b64 v[88:89], v4 offset:592
	v_mov_b32_e32 v101, v93
	v_pk_mul_f32 v[92:93], v[94:95], v[92:93] op_sel_hi:[1,0]
	s_waitcnt vmcnt(10)
	v_pk_fma_f32 v[96:97], v[94:95], v[106:107], v[92:93] op_sel:[0,0,1] op_sel_hi:[1,1,0] neg_lo:[0,0,1] neg_hi:[0,0,1]
	v_pk_fma_f32 v[92:93], v[94:95], v[106:107], v[92:93] op_sel:[0,0,1] op_sel_hi:[1,0,0]
	s_waitcnt vmcnt(9)
	v_mov_b32_e32 v92, v109
	v_mov_b32_e32 v97, v93
	s_waitcnt lgkmcnt(2)
	v_pk_mul_f32 v[92:93], v[80:81], v[92:93] op_sel_hi:[1,0]
	v_pk_add_f32 v[90:91], v[90:91], v[100:101]
	s_waitcnt vmcnt(8)
	v_pk_fma_f32 v[94:95], v[80:81], v[108:109], v[92:93] op_sel:[0,0,1] op_sel_hi:[1,1,0] neg_lo:[0,0,1] neg_hi:[0,0,1]
	v_pk_fma_f32 v[80:81], v[80:81], v[108:109], v[92:93] op_sel:[0,0,1] op_sel_hi:[1,0,0]
	v_pk_add_f32 v[90:91], v[90:91], v[96:97]
	v_mov_b32_e32 v95, v81
	v_pk_add_f32 v[80:81], v[90:91], v[94:95]
	s_waitcnt vmcnt(7)
	v_mov_b32_e32 v90, v111
	v_pk_mul_f32 v[90:91], v[82:83], v[90:91] op_sel_hi:[1,0]
	s_waitcnt vmcnt(6)
	v_pk_fma_f32 v[92:93], v[82:83], v[110:111], v[90:91] op_sel:[0,0,1] op_sel_hi:[1,1,0] neg_lo:[0,0,1] neg_hi:[0,0,1]
	v_pk_fma_f32 v[82:83], v[82:83], v[110:111], v[90:91] op_sel:[0,0,1] op_sel_hi:[1,0,0]
	s_waitcnt vmcnt(5)
	v_mov_b32_e32 v82, v113
	v_mov_b32_e32 v93, v83
	s_waitcnt lgkmcnt(1)
	v_pk_mul_f32 v[82:83], v[84:85], v[82:83] op_sel_hi:[1,0]
	s_waitcnt vmcnt(4)
	v_pk_fma_f32 v[90:91], v[84:85], v[112:113], v[82:83] op_sel:[0,0,1] op_sel_hi:[1,1,0] neg_lo:[0,0,1] neg_hi:[0,0,1]
	v_pk_fma_f32 v[82:83], v[84:85], v[112:113], v[82:83] op_sel:[0,0,1] op_sel_hi:[1,0,0]
	s_waitcnt vmcnt(3)
	v_mov_b32_e32 v82, v115
	v_mov_b32_e32 v91, v83
	v_pk_mul_f32 v[82:83], v[86:87], v[82:83] op_sel_hi:[1,0]
	s_waitcnt vmcnt(2)
	v_pk_fma_f32 v[84:85], v[86:87], v[114:115], v[82:83] op_sel:[0,0,1] op_sel_hi:[1,1,0] neg_lo:[0,0,1] neg_hi:[0,0,1]
	v_pk_fma_f32 v[82:83], v[86:87], v[114:115], v[82:83] op_sel:[0,0,1] op_sel_hi:[1,0,0]
	v_pk_add_f32 v[80:81], v[80:81], v[92:93]
	s_waitcnt vmcnt(1)
	v_mov_b32_e32 v82, v117
	v_pk_add_f32 v[80:81], v[80:81], v[90:91]
	v_mov_b32_e32 v85, v83
	s_waitcnt lgkmcnt(0)
	v_pk_mul_f32 v[82:83], v[88:89], v[82:83] op_sel_hi:[1,0]
	v_pk_add_f32 v[80:81], v[80:81], v[84:85]
	s_waitcnt vmcnt(0)
	v_pk_fma_f32 v[84:85], v[88:89], v[116:117], v[82:83] op_sel:[0,0,1] op_sel_hi:[1,1,0] neg_lo:[0,0,1] neg_hi:[0,0,1]
	v_pk_fma_f32 v[82:83], v[88:89], v[116:117], v[82:83] op_sel:[0,0,1] op_sel_hi:[1,0,0]
	v_mov_b32_e32 v85, v83
	v_pk_add_f32 v[80:81], v[80:81], v[84:85]
	v_pk_add_f32 v[2:3], v[2:3], v[80:81] neg_lo:[0,1] neg_hi:[0,1]
	buffer_store_dword v3, off, s[0:3], 0 offset:188
	buffer_store_dword v2, off, s[0:3], 0 offset:184
	s_and_saveexec_b64 s[4:5], vcc
	s_cbranch_execz .LBB36_191
; %bb.190:
	buffer_load_dword v2, off, s[0:3], 0 offset:176
	buffer_load_dword v3, off, s[0:3], 0 offset:180
	s_waitcnt vmcnt(0)
	ds_write_b64 v1, v[2:3]
	buffer_store_dword v4, off, s[0:3], 0 offset:176
	buffer_store_dword v4, off, s[0:3], 0 offset:180
.LBB36_191:
	s_or_b64 exec, exec, s[4:5]
	s_waitcnt lgkmcnt(0)
	; wave barrier
	s_waitcnt lgkmcnt(0)
	ds_read2_b64 v[80:83], v4 offset0:61 offset1:62
	buffer_load_dword v2, off, s[0:3], 0 offset:176
	buffer_load_dword v3, off, s[0:3], 0 offset:180
	;; [unrolled: 1-line block ×16, first 2 shown]
	v_cmp_lt_u32_e32 vcc, 21, v0
	ds_read2_b64 v[92:95], v4 offset0:67 offset1:68
	s_waitcnt vmcnt(12) lgkmcnt(1)
	v_mul_f32_e32 v84, v80, v98
	v_fmac_f32_e32 v84, v81, v5
	s_waitcnt vmcnt(10)
	v_mul_f32_e32 v85, v82, v102
	v_add_f32_e32 v84, 0, v84
	v_fmac_f32_e32 v85, v83, v100
	v_add_f32_e32 v88, v84, v85
	ds_read2_b64 v[84:87], v4 offset0:63 offset1:64
	v_mul_f32_e32 v81, v81, v98
	v_fma_f32 v5, v80, v5, -v81
	v_mul_f32_e32 v80, v83, v102
	v_add_f32_e32 v5, 0, v5
	s_waitcnt vmcnt(8) lgkmcnt(0)
	v_mul_f32_e32 v89, v84, v119
	v_fmac_f32_e32 v89, v85, v118
	v_add_f32_e32 v88, v88, v89
	s_waitcnt vmcnt(6)
	v_mul_f32_e32 v89, v86, v121
	v_fmac_f32_e32 v89, v87, v120
	v_add_f32_e32 v99, v88, v89
	ds_read2_b64 v[88:91], v4 offset0:65 offset1:66
	buffer_load_dword v105, off, s[0:3], 0 offset:244
	buffer_load_dword v104, off, s[0:3], 0 offset:240
	;; [unrolled: 1-line block ×14, first 2 shown]
	v_fma_f32 v80, v82, v100, -v80
	v_add_f32_e32 v5, v5, v80
	v_mul_f32_e32 v80, v85, v119
	v_fma_f32 v80, v84, v118, -v80
	v_add_f32_e32 v5, v5, v80
	v_mul_f32_e32 v80, v87, v121
	v_fma_f32 v80, v86, v120, -v80
	s_waitcnt vmcnt(18) lgkmcnt(0)
	v_mul_f32_e32 v101, v88, v123
	v_add_f32_e32 v98, v5, v80
	v_mul_f32_e32 v5, v89, v123
	v_fmac_f32_e32 v101, v89, v122
	s_waitcnt vmcnt(16)
	v_mul_f32_e32 v103, v90, v125
	v_fma_f32 v100, v88, v122, -v5
	v_mul_f32_e32 v5, v91, v125
	v_fmac_f32_e32 v103, v91, v124
	v_fma_f32 v102, v90, v124, -v5
	ds_read2_b64 v[80:83], v4 offset0:69 offset1:70
	ds_read2_b64 v[84:87], v4 offset0:71 offset1:72
	;; [unrolled: 1-line block ×3, first 2 shown]
	v_pk_add_f32 v[4:5], v[98:99], v[100:101]
	s_waitcnt vmcnt(14)
	v_mov_b32_e32 v98, v97
	v_pk_mul_f32 v[98:99], v[92:93], v[98:99] op_sel_hi:[1,0]
	v_pk_fma_f32 v[100:101], v[92:93], v[96:97], v[98:99] op_sel:[0,0,1] op_sel_hi:[1,1,0] neg_lo:[0,0,1] neg_hi:[0,0,1]
	v_pk_fma_f32 v[92:93], v[92:93], v[96:97], v[98:99] op_sel:[0,0,1] op_sel_hi:[1,0,0]
	v_mov_b32_e32 v101, v93
	v_pk_add_f32 v[4:5], v[4:5], v[102:103]
	v_pk_add_f32 v[4:5], v[4:5], v[100:101]
	s_waitcnt vmcnt(13)
	v_mov_b32_e32 v92, v105
	v_pk_mul_f32 v[92:93], v[94:95], v[92:93] op_sel_hi:[1,0]
	s_waitcnt vmcnt(12)
	v_pk_fma_f32 v[96:97], v[94:95], v[104:105], v[92:93] op_sel:[0,0,1] op_sel_hi:[1,1,0] neg_lo:[0,0,1] neg_hi:[0,0,1]
	v_pk_fma_f32 v[92:93], v[94:95], v[104:105], v[92:93] op_sel:[0,0,1] op_sel_hi:[1,0,0]
	s_waitcnt vmcnt(11)
	v_mov_b32_e32 v92, v107
	v_mov_b32_e32 v97, v93
	s_waitcnt lgkmcnt(2)
	v_pk_mul_f32 v[92:93], v[80:81], v[92:93] op_sel_hi:[1,0]
	s_waitcnt vmcnt(10)
	v_pk_fma_f32 v[94:95], v[80:81], v[106:107], v[92:93] op_sel:[0,0,1] op_sel_hi:[1,1,0] neg_lo:[0,0,1] neg_hi:[0,0,1]
	v_pk_fma_f32 v[80:81], v[80:81], v[106:107], v[92:93] op_sel:[0,0,1] op_sel_hi:[1,0,0]
	s_waitcnt vmcnt(9)
	v_mov_b32_e32 v80, v109
	v_mov_b32_e32 v95, v81
	v_pk_mul_f32 v[80:81], v[82:83], v[80:81] op_sel_hi:[1,0]
	s_waitcnt vmcnt(8)
	v_pk_fma_f32 v[92:93], v[82:83], v[108:109], v[80:81] op_sel:[0,0,1] op_sel_hi:[1,1,0] neg_lo:[0,0,1] neg_hi:[0,0,1]
	v_pk_fma_f32 v[80:81], v[82:83], v[108:109], v[80:81] op_sel:[0,0,1] op_sel_hi:[1,0,0]
	s_waitcnt vmcnt(7)
	v_mov_b32_e32 v80, v111
	v_mov_b32_e32 v93, v81
	s_waitcnt lgkmcnt(1)
	v_pk_mul_f32 v[80:81], v[84:85], v[80:81] op_sel_hi:[1,0]
	v_pk_add_f32 v[4:5], v[4:5], v[96:97]
	s_waitcnt vmcnt(6)
	v_pk_fma_f32 v[82:83], v[84:85], v[110:111], v[80:81] op_sel:[0,0,1] op_sel_hi:[1,1,0] neg_lo:[0,0,1] neg_hi:[0,0,1]
	v_pk_fma_f32 v[80:81], v[84:85], v[110:111], v[80:81] op_sel:[0,0,1] op_sel_hi:[1,0,0]
	v_pk_add_f32 v[4:5], v[4:5], v[94:95]
	s_waitcnt vmcnt(5)
	v_mov_b32_e32 v80, v113
	v_pk_add_f32 v[4:5], v[4:5], v[92:93]
	v_mov_b32_e32 v83, v81
	v_pk_mul_f32 v[80:81], v[86:87], v[80:81] op_sel_hi:[1,0]
	v_pk_add_f32 v[4:5], v[4:5], v[82:83]
	s_waitcnt vmcnt(4)
	v_pk_fma_f32 v[82:83], v[86:87], v[112:113], v[80:81] op_sel:[0,0,1] op_sel_hi:[1,1,0] neg_lo:[0,0,1] neg_hi:[0,0,1]
	v_pk_fma_f32 v[80:81], v[86:87], v[112:113], v[80:81] op_sel:[0,0,1] op_sel_hi:[1,0,0]
	s_waitcnt vmcnt(3)
	v_mov_b32_e32 v80, v115
	v_mov_b32_e32 v83, v81
	s_waitcnt lgkmcnt(0)
	v_pk_mul_f32 v[80:81], v[88:89], v[80:81] op_sel_hi:[1,0]
	v_pk_add_f32 v[4:5], v[4:5], v[82:83]
	s_waitcnt vmcnt(2)
	v_pk_fma_f32 v[82:83], v[88:89], v[114:115], v[80:81] op_sel:[0,0,1] op_sel_hi:[1,1,0] neg_lo:[0,0,1] neg_hi:[0,0,1]
	v_pk_fma_f32 v[80:81], v[88:89], v[114:115], v[80:81] op_sel:[0,0,1] op_sel_hi:[1,0,0]
	s_waitcnt vmcnt(1)
	v_mov_b32_e32 v80, v117
	v_mov_b32_e32 v83, v81
	v_pk_mul_f32 v[80:81], v[90:91], v[80:81] op_sel_hi:[1,0]
	v_pk_add_f32 v[4:5], v[4:5], v[82:83]
	s_waitcnt vmcnt(0)
	v_pk_fma_f32 v[82:83], v[90:91], v[116:117], v[80:81] op_sel:[0,0,1] op_sel_hi:[1,1,0] neg_lo:[0,0,1] neg_hi:[0,0,1]
	v_pk_fma_f32 v[80:81], v[90:91], v[116:117], v[80:81] op_sel:[0,0,1] op_sel_hi:[1,0,0]
	v_mov_b32_e32 v83, v81
	v_pk_add_f32 v[4:5], v[4:5], v[82:83]
	v_pk_add_f32 v[2:3], v[2:3], v[4:5] neg_lo:[0,1] neg_hi:[0,1]
	buffer_store_dword v3, off, s[0:3], 0 offset:180
	buffer_store_dword v2, off, s[0:3], 0 offset:176
	s_and_saveexec_b64 s[4:5], vcc
	s_cbranch_execz .LBB36_193
; %bb.192:
	buffer_load_dword v2, off, s[0:3], 0 offset:168
	buffer_load_dword v3, off, s[0:3], 0 offset:172
	v_mov_b32_e32 v4, 0
	buffer_store_dword v4, off, s[0:3], 0 offset:168
	buffer_store_dword v4, off, s[0:3], 0 offset:172
	s_waitcnt vmcnt(2)
	ds_write_b64 v1, v[2:3]
.LBB36_193:
	s_or_b64 exec, exec, s[4:5]
	s_waitcnt lgkmcnt(0)
	; wave barrier
	s_waitcnt lgkmcnt(0)
	buffer_load_dword v3, off, s[0:3], 0 offset:180
	buffer_load_dword v126, off, s[0:3], 0 offset:188
	;; [unrolled: 1-line block ×32, first 2 shown]
	v_mov_b32_e32 v2, 0
	ds_read_b128 v[80:83], v2 offset:480
	ds_read_b128 v[84:87], v2 offset:496
	ds_read_b128 v[88:91], v2 offset:512
	ds_read_b128 v[92:95], v2 offset:528
	ds_read_b128 v[96:99], v2 offset:544
	ds_read_b128 v[100:103], v2 offset:560
	ds_read_b128 v[104:107], v2 offset:576
	ds_read_b64 v[124:125], v2 offset:592
	v_cmp_lt_u32_e32 vcc, 20, v0
	s_waitcnt vmcnt(31) lgkmcnt(7)
	v_mul_f32_e32 v141, v80, v3
	v_mul_f32_e32 v3, v81, v3
	s_waitcnt vmcnt(30)
	v_mul_f32_e32 v142, v82, v126
	s_waitcnt vmcnt(28) lgkmcnt(6)
	v_mul_f32_e32 v144, v86, v130
	s_waitcnt vmcnt(27) lgkmcnt(5)
	v_mul_f32_e32 v145, v88, v131
	v_mul_f32_e32 v146, v87, v130
	;; [unrolled: 1-line block ×3, first 2 shown]
	s_waitcnt vmcnt(24)
	v_mov_b32_e32 v130, v5
	v_mul_f32_e32 v143, v84, v128
	v_mul_f32_e32 v126, v83, v126
	s_waitcnt vmcnt(22)
	v_fmac_f32_e32 v141, v81, v134
	v_fma_f32 v3, v80, v134, -v3
	s_waitcnt lgkmcnt(4)
	v_pk_mul_f32 v[80:81], v[94:95], v[130:131] op_sel_hi:[1,0]
	v_mul_f32_e32 v128, v85, v128
	s_waitcnt vmcnt(21)
	v_fmac_f32_e32 v142, v83, v135
	s_waitcnt vmcnt(20)
	v_fmac_f32_e32 v143, v85, v136
	;; [unrolled: 2-line block ×3, first 2 shown]
	v_fma_f32 v85, v82, v135, -v126
	s_waitcnt vmcnt(18)
	v_fma_f32 v87, v88, v138, -v131
	v_add_f32_e32 v88, 0, v141
	v_add_f32_e32 v3, 0, v3
	s_waitcnt vmcnt(12)
	v_pk_fma_f32 v[82:83], v[94:95], v[4:5], v[80:81] op_sel:[0,0,1] op_sel_hi:[1,1,0] neg_lo:[0,0,1] neg_hi:[0,0,1]
	v_pk_fma_f32 v[4:5], v[94:95], v[4:5], v[80:81] op_sel:[0,0,1] op_sel_hi:[1,0,0]
	v_fma_f32 v84, v84, v136, -v128
	v_add_f32_e32 v4, v88, v142
	v_add_f32_e32 v3, v3, v85
	v_fma_f32 v86, v86, v137, -v146
	v_add_f32_e32 v4, v4, v143
	v_add_f32_e32 v3, v3, v84
	v_mul_f32_e32 v127, v90, v132
	v_mul_f32_e32 v147, v91, v132
	v_fmac_f32_e32 v145, v89, v138
	v_add_f32_e32 v4, v4, v144
	v_add_f32_e32 v3, v3, v86
	v_mul_f32_e32 v129, v92, v133
	v_mul_f32_e32 v133, v93, v133
	v_fmac_f32_e32 v127, v91, v139
	v_fma_f32 v126, v90, v139, -v147
	v_mov_b32_e32 v83, v5
	v_add_f32_e32 v5, v4, v145
	v_add_f32_e32 v4, v3, v87
	v_mov_b32_e32 v132, v109
	v_fmac_f32_e32 v129, v93, v140
	v_fma_f32 v128, v92, v140, -v133
	v_pk_add_f32 v[4:5], v[4:5], v[126:127]
	v_pk_add_f32 v[4:5], v[4:5], v[128:129]
	s_waitcnt lgkmcnt(3)
	v_pk_mul_f32 v[80:81], v[96:97], v[132:133] op_sel_hi:[1,0]
	v_pk_add_f32 v[4:5], v[4:5], v[82:83]
	v_pk_fma_f32 v[82:83], v[96:97], v[108:109], v[80:81] op_sel:[0,0,1] op_sel_hi:[1,1,0] neg_lo:[0,0,1] neg_hi:[0,0,1]
	v_pk_fma_f32 v[80:81], v[96:97], v[108:109], v[80:81] op_sel:[0,0,1] op_sel_hi:[1,0,0]
	s_waitcnt vmcnt(11)
	v_mov_b32_e32 v80, v113
	v_mov_b32_e32 v83, v81
	v_pk_mul_f32 v[80:81], v[98:99], v[80:81] op_sel_hi:[1,0]
	v_pk_add_f32 v[4:5], v[4:5], v[82:83]
	v_pk_fma_f32 v[82:83], v[98:99], v[112:113], v[80:81] op_sel:[0,0,1] op_sel_hi:[1,1,0] neg_lo:[0,0,1] neg_hi:[0,0,1]
	v_pk_fma_f32 v[80:81], v[98:99], v[112:113], v[80:81] op_sel:[0,0,1] op_sel_hi:[1,0,0]
	s_waitcnt vmcnt(10)
	v_mov_b32_e32 v80, v111
	v_mov_b32_e32 v83, v81
	s_waitcnt lgkmcnt(2)
	v_pk_mul_f32 v[80:81], v[100:101], v[80:81] op_sel_hi:[1,0]
	v_pk_add_f32 v[4:5], v[4:5], v[82:83]
	v_pk_fma_f32 v[82:83], v[100:101], v[110:111], v[80:81] op_sel:[0,0,1] op_sel_hi:[1,1,0] neg_lo:[0,0,1] neg_hi:[0,0,1]
	v_pk_fma_f32 v[80:81], v[100:101], v[110:111], v[80:81] op_sel:[0,0,1] op_sel_hi:[1,0,0]
	s_waitcnt vmcnt(9)
	v_mov_b32_e32 v80, v115
	v_mov_b32_e32 v83, v81
	v_pk_mul_f32 v[80:81], v[102:103], v[80:81] op_sel_hi:[1,0]
	v_pk_add_f32 v[4:5], v[4:5], v[82:83]
	s_waitcnt vmcnt(4)
	v_pk_fma_f32 v[82:83], v[102:103], v[114:115], v[80:81] op_sel:[0,0,1] op_sel_hi:[1,1,0] neg_lo:[0,0,1] neg_hi:[0,0,1]
	v_pk_fma_f32 v[80:81], v[102:103], v[114:115], v[80:81] op_sel:[0,0,1] op_sel_hi:[1,0,0]
	v_mov_b32_e32 v80, v121
	v_mov_b32_e32 v83, v81
	s_waitcnt lgkmcnt(1)
	v_pk_mul_f32 v[80:81], v[104:105], v[80:81] op_sel_hi:[1,0]
	v_pk_add_f32 v[4:5], v[4:5], v[82:83]
	v_pk_fma_f32 v[82:83], v[104:105], v[120:121], v[80:81] op_sel:[0,0,1] op_sel_hi:[1,1,0] neg_lo:[0,0,1] neg_hi:[0,0,1]
	v_pk_fma_f32 v[80:81], v[104:105], v[120:121], v[80:81] op_sel:[0,0,1] op_sel_hi:[1,0,0]
	s_waitcnt vmcnt(3)
	v_mov_b32_e32 v80, v119
	v_mov_b32_e32 v83, v81
	v_pk_mul_f32 v[80:81], v[106:107], v[80:81] op_sel_hi:[1,0]
	v_pk_add_f32 v[4:5], v[4:5], v[82:83]
	v_pk_fma_f32 v[82:83], v[106:107], v[118:119], v[80:81] op_sel:[0,0,1] op_sel_hi:[1,1,0] neg_lo:[0,0,1] neg_hi:[0,0,1]
	v_pk_fma_f32 v[80:81], v[106:107], v[118:119], v[80:81] op_sel:[0,0,1] op_sel_hi:[1,0,0]
	s_waitcnt vmcnt(0)
	v_mov_b32_e32 v80, v117
	v_mov_b32_e32 v83, v81
	s_waitcnt lgkmcnt(0)
	v_pk_mul_f32 v[80:81], v[124:125], v[80:81] op_sel_hi:[1,0]
	v_pk_add_f32 v[4:5], v[4:5], v[82:83]
	v_pk_fma_f32 v[82:83], v[124:125], v[116:117], v[80:81] op_sel:[0,0,1] op_sel_hi:[1,1,0] neg_lo:[0,0,1] neg_hi:[0,0,1]
	v_pk_fma_f32 v[80:81], v[124:125], v[116:117], v[80:81] op_sel:[0,0,1] op_sel_hi:[1,0,0]
	v_mov_b32_e32 v83, v81
	v_pk_add_f32 v[4:5], v[4:5], v[82:83]
	v_pk_add_f32 v[4:5], v[122:123], v[4:5] neg_lo:[0,1] neg_hi:[0,1]
	buffer_store_dword v5, off, s[0:3], 0 offset:172
	buffer_store_dword v4, off, s[0:3], 0 offset:168
	s_and_saveexec_b64 s[4:5], vcc
	s_cbranch_execz .LBB36_195
; %bb.194:
	buffer_load_dword v4, off, s[0:3], 0 offset:160
	buffer_load_dword v5, off, s[0:3], 0 offset:164
	s_waitcnt vmcnt(0)
	ds_write_b64 v1, v[4:5]
	buffer_store_dword v2, off, s[0:3], 0 offset:160
	buffer_store_dword v2, off, s[0:3], 0 offset:164
.LBB36_195:
	s_or_b64 exec, exec, s[4:5]
	s_waitcnt lgkmcnt(0)
	; wave barrier
	s_waitcnt lgkmcnt(0)
	buffer_load_dword v126, off, s[0:3], 0 offset:172
	buffer_load_dword v128, off, s[0:3], 0 offset:180
	;; [unrolled: 1-line block ×32, first 2 shown]
	ds_read2_b64 v[80:83], v2 offset0:59 offset1:60
	ds_read2_b64 v[84:87], v2 offset0:61 offset1:62
	;; [unrolled: 1-line block ×4, first 2 shown]
	buffer_load_dword v125, off, s[0:3], 0 offset:292
	buffer_load_dword v124, off, s[0:3], 0 offset:288
	ds_read2_b64 v[96:99], v2 offset0:67 offset1:68
	ds_read2_b64 v[100:103], v2 offset0:69 offset1:70
	ds_read2_b64 v[104:107], v2 offset0:71 offset1:72
	ds_read2_b64 v[2:5], v2 offset0:73 offset1:74
	v_cmp_lt_u32_e32 vcc, 19, v0
	s_waitcnt vmcnt(33) lgkmcnt(7)
	v_mul_f32_e32 v144, v80, v126
	v_mul_f32_e32 v126, v81, v126
	s_waitcnt vmcnt(32)
	v_mul_f32_e32 v145, v82, v128
	s_waitcnt vmcnt(30) lgkmcnt(6)
	v_mul_f32_e32 v147, v86, v131
	v_mul_f32_e32 v128, v83, v128
	;; [unrolled: 1-line block ×5, first 2 shown]
	s_waitcnt vmcnt(25)
	v_fmac_f32_e32 v144, v81, v136
	v_fma_f32 v80, v80, v136, -v126
	s_waitcnt vmcnt(24)
	v_fmac_f32_e32 v145, v83, v137
	v_fma_f32 v81, v82, v137, -v128
	s_waitcnt vmcnt(22)
	v_fma_f32 v83, v86, v139, -v131
	v_add_f32_e32 v86, 0, v144
	v_add_f32_e32 v80, 0, v80
	v_fmac_f32_e32 v146, v85, v138
	v_fma_f32 v82, v84, v138, -v130
	v_add_f32_e32 v86, v86, v145
	v_add_f32_e32 v80, v80, v81
	s_waitcnt lgkmcnt(5)
	v_mul_f32_e32 v148, v88, v132
	v_mul_f32_e32 v132, v89, v132
	v_fmac_f32_e32 v147, v87, v139
	v_add_f32_e32 v81, v86, v146
	v_add_f32_e32 v80, v80, v82
	v_mul_f32_e32 v149, v90, v133
	v_mul_f32_e32 v133, v91, v133
	s_waitcnt vmcnt(21)
	v_fmac_f32_e32 v148, v89, v140
	v_fma_f32 v84, v88, v140, -v132
	v_add_f32_e32 v81, v81, v147
	v_add_f32_e32 v80, v80, v83
	s_waitcnt vmcnt(17)
	v_mov_b32_e32 v82, v109
	s_waitcnt lgkmcnt(4)
	v_mul_f32_e32 v127, v92, v134
	v_mul_f32_e32 v134, v93, v134
	v_fmac_f32_e32 v149, v91, v141
	v_fma_f32 v85, v90, v141, -v133
	v_add_f32_e32 v81, v81, v148
	v_add_f32_e32 v80, v80, v84
	s_waitcnt lgkmcnt(3)
	v_pk_mul_f32 v[82:83], v[96:97], v[82:83] op_sel_hi:[1,0]
	v_mul_f32_e32 v129, v94, v135
	v_mul_f32_e32 v135, v95, v135
	v_fmac_f32_e32 v127, v93, v142
	v_fma_f32 v126, v92, v142, -v134
	v_add_f32_e32 v81, v81, v149
	v_add_f32_e32 v80, v80, v85
	s_waitcnt vmcnt(14)
	v_pk_fma_f32 v[84:85], v[96:97], v[108:109], v[82:83] op_sel:[0,0,1] op_sel_hi:[1,1,0] neg_lo:[0,0,1] neg_hi:[0,0,1]
	v_pk_fma_f32 v[82:83], v[96:97], v[108:109], v[82:83] op_sel:[0,0,1] op_sel_hi:[1,0,0]
	v_fmac_f32_e32 v129, v95, v143
	v_fma_f32 v128, v94, v143, -v135
	v_pk_add_f32 v[80:81], v[80:81], v[126:127]
	s_waitcnt vmcnt(13)
	v_mov_b32_e32 v82, v113
	v_pk_add_f32 v[80:81], v[80:81], v[128:129]
	v_mov_b32_e32 v85, v83
	v_pk_mul_f32 v[82:83], v[98:99], v[82:83] op_sel_hi:[1,0]
	v_pk_add_f32 v[80:81], v[80:81], v[84:85]
	v_pk_fma_f32 v[84:85], v[98:99], v[112:113], v[82:83] op_sel:[0,0,1] op_sel_hi:[1,1,0] neg_lo:[0,0,1] neg_hi:[0,0,1]
	v_pk_fma_f32 v[82:83], v[98:99], v[112:113], v[82:83] op_sel:[0,0,1] op_sel_hi:[1,0,0]
	s_waitcnt vmcnt(12)
	v_mov_b32_e32 v82, v111
	v_mov_b32_e32 v85, v83
	s_waitcnt lgkmcnt(2)
	v_pk_mul_f32 v[82:83], v[100:101], v[82:83] op_sel_hi:[1,0]
	v_pk_add_f32 v[80:81], v[80:81], v[84:85]
	v_pk_fma_f32 v[84:85], v[100:101], v[110:111], v[82:83] op_sel:[0,0,1] op_sel_hi:[1,1,0] neg_lo:[0,0,1] neg_hi:[0,0,1]
	v_pk_fma_f32 v[82:83], v[100:101], v[110:111], v[82:83] op_sel:[0,0,1] op_sel_hi:[1,0,0]
	s_waitcnt vmcnt(11)
	v_mov_b32_e32 v82, v115
	v_mov_b32_e32 v85, v83
	v_pk_mul_f32 v[82:83], v[102:103], v[82:83] op_sel_hi:[1,0]
	v_pk_add_f32 v[80:81], v[80:81], v[84:85]
	s_waitcnt vmcnt(5)
	v_pk_fma_f32 v[84:85], v[102:103], v[114:115], v[82:83] op_sel:[0,0,1] op_sel_hi:[1,1,0] neg_lo:[0,0,1] neg_hi:[0,0,1]
	v_pk_fma_f32 v[82:83], v[102:103], v[114:115], v[82:83] op_sel:[0,0,1] op_sel_hi:[1,0,0]
	v_mov_b32_e32 v82, v121
	v_mov_b32_e32 v85, v83
	s_waitcnt lgkmcnt(1)
	v_pk_mul_f32 v[82:83], v[104:105], v[82:83] op_sel_hi:[1,0]
	v_pk_add_f32 v[80:81], v[80:81], v[84:85]
	v_pk_fma_f32 v[84:85], v[104:105], v[120:121], v[82:83] op_sel:[0,0,1] op_sel_hi:[1,1,0] neg_lo:[0,0,1] neg_hi:[0,0,1]
	v_pk_fma_f32 v[82:83], v[104:105], v[120:121], v[82:83] op_sel:[0,0,1] op_sel_hi:[1,0,0]
	v_mov_b32_e32 v82, v119
	v_mov_b32_e32 v85, v83
	v_pk_mul_f32 v[82:83], v[106:107], v[82:83] op_sel_hi:[1,0]
	v_pk_add_f32 v[80:81], v[80:81], v[84:85]
	v_pk_fma_f32 v[84:85], v[106:107], v[118:119], v[82:83] op_sel:[0,0,1] op_sel_hi:[1,1,0] neg_lo:[0,0,1] neg_hi:[0,0,1]
	v_pk_fma_f32 v[82:83], v[106:107], v[118:119], v[82:83] op_sel:[0,0,1] op_sel_hi:[1,0,0]
	s_waitcnt vmcnt(2)
	v_mov_b32_e32 v82, v117
	v_mov_b32_e32 v85, v83
	s_waitcnt lgkmcnt(0)
	v_pk_mul_f32 v[82:83], v[2:3], v[82:83] op_sel_hi:[1,0]
	v_pk_add_f32 v[80:81], v[80:81], v[84:85]
	v_pk_fma_f32 v[84:85], v[2:3], v[116:117], v[82:83] op_sel:[0,0,1] op_sel_hi:[1,1,0] neg_lo:[0,0,1] neg_hi:[0,0,1]
	v_pk_fma_f32 v[2:3], v[2:3], v[116:117], v[82:83] op_sel:[0,0,1] op_sel_hi:[1,0,0]
	v_mov_b32_e32 v85, v3
	v_pk_add_f32 v[2:3], v[80:81], v[84:85]
	s_waitcnt vmcnt(1)
	v_mov_b32_e32 v80, v125
	v_pk_mul_f32 v[80:81], v[4:5], v[80:81] op_sel_hi:[1,0]
	s_waitcnt vmcnt(0)
	v_pk_fma_f32 v[82:83], v[4:5], v[124:125], v[80:81] op_sel:[0,0,1] op_sel_hi:[1,1,0] neg_lo:[0,0,1] neg_hi:[0,0,1]
	v_pk_fma_f32 v[4:5], v[4:5], v[124:125], v[80:81] op_sel:[0,0,1] op_sel_hi:[1,0,0]
	v_mov_b32_e32 v83, v5
	v_pk_add_f32 v[2:3], v[2:3], v[82:83]
	v_pk_add_f32 v[2:3], v[122:123], v[2:3] neg_lo:[0,1] neg_hi:[0,1]
	buffer_store_dword v3, off, s[0:3], 0 offset:164
	buffer_store_dword v2, off, s[0:3], 0 offset:160
	s_and_saveexec_b64 s[4:5], vcc
	s_cbranch_execz .LBB36_197
; %bb.196:
	buffer_load_dword v2, off, s[0:3], 0 offset:152
	buffer_load_dword v3, off, s[0:3], 0 offset:156
	v_mov_b32_e32 v4, 0
	buffer_store_dword v4, off, s[0:3], 0 offset:152
	buffer_store_dword v4, off, s[0:3], 0 offset:156
	s_waitcnt vmcnt(2)
	ds_write_b64 v1, v[2:3]
.LBB36_197:
	s_or_b64 exec, exec, s[4:5]
	s_waitcnt lgkmcnt(0)
	; wave barrier
	s_waitcnt lgkmcnt(0)
	buffer_load_dword v3, off, s[0:3], 0 offset:164
	buffer_load_dword v120, off, s[0:3], 0 offset:172
	;; [unrolled: 1-line block ×36, first 2 shown]
	v_mov_b32_e32 v2, 0
	ds_read_b128 v[80:83], v2 offset:464
	ds_read_b128 v[84:87], v2 offset:480
	ds_read_b128 v[88:91], v2 offset:496
	ds_read_b128 v[92:95], v2 offset:512
	ds_read_b128 v[96:99], v2 offset:528
	ds_read_b128 v[100:103], v2 offset:544
	v_cmp_lt_u32_e32 vcc, 18, v0
	s_waitcnt vmcnt(35) lgkmcnt(5)
	v_mul_f32_e32 v139, v80, v3
	s_waitcnt vmcnt(34)
	v_mul_f32_e32 v140, v82, v120
	s_waitcnt vmcnt(33) lgkmcnt(4)
	v_mul_f32_e32 v141, v84, v122
	v_mul_f32_e32 v3, v81, v3
	;; [unrolled: 1-line block ×4, first 2 shown]
	s_waitcnt vmcnt(32)
	v_mul_f32_e32 v142, v86, v124
	s_waitcnt vmcnt(31) lgkmcnt(3)
	v_mul_f32_e32 v143, v88, v125
	v_mul_f32_e32 v124, v87, v124
	s_waitcnt vmcnt(26)
	v_fmac_f32_e32 v139, v81, v130
	s_waitcnt vmcnt(25)
	v_fmac_f32_e32 v140, v83, v131
	;; [unrolled: 2-line block ×3, first 2 shown]
	v_fma_f32 v3, v80, v130, -v3
	v_add_f32_e32 v85, 0, v139
	v_fma_f32 v80, v82, v131, -v120
	v_add_f32_e32 v3, 0, v3
	v_add_f32_e32 v85, v85, v140
	s_waitcnt vmcnt(23)
	v_fmac_f32_e32 v142, v87, v133
	v_fma_f32 v81, v84, v132, -v122
	v_add_f32_e32 v3, v3, v80
	v_add_f32_e32 v80, v85, v141
	v_mul_f32_e32 v144, v90, v126
	v_mul_f32_e32 v125, v89, v125
	s_waitcnt vmcnt(22)
	v_fmac_f32_e32 v143, v89, v134
	v_fma_f32 v82, v86, v133, -v124
	v_add_f32_e32 v3, v3, v81
	v_add_f32_e32 v80, v80, v142
	s_waitcnt lgkmcnt(2)
	v_mul_f32_e32 v145, v92, v127
	v_mul_f32_e32 v126, v91, v126
	s_waitcnt vmcnt(21)
	v_fmac_f32_e32 v144, v91, v135
	v_fma_f32 v83, v88, v134, -v125
	v_add_f32_e32 v3, v3, v82
	v_add_f32_e32 v80, v80, v143
	v_mul_f32_e32 v127, v93, v127
	s_waitcnt vmcnt(20)
	v_fmac_f32_e32 v145, v93, v136
	v_fma_f32 v84, v90, v135, -v126
	v_add_f32_e32 v3, v3, v83
	v_add_f32_e32 v80, v80, v144
	;; [unrolled: 1-line block ×4, first 2 shown]
	v_fma_f32 v80, v92, v136, -v127
	v_mul_f32_e32 v121, v94, v128
	v_add_f32_e32 v88, v3, v80
	v_mul_f32_e32 v3, v95, v128
	s_waitcnt vmcnt(17)
	v_mov_b32_e32 v92, v5
	s_waitcnt lgkmcnt(1)
	v_mul_f32_e32 v123, v96, v129
	v_fmac_f32_e32 v121, v95, v137
	v_fma_f32 v120, v94, v137, -v3
	v_mul_f32_e32 v3, v97, v129
	v_pk_mul_f32 v[92:93], v[98:99], v[92:93] op_sel_hi:[1,0]
	v_fmac_f32_e32 v123, v97, v138
	v_fma_f32 v122, v96, v138, -v3
	v_pk_add_f32 v[88:89], v[88:89], v[120:121]
	s_waitcnt vmcnt(15)
	v_pk_fma_f32 v[94:95], v[98:99], v[4:5], v[92:93] op_sel:[0,0,1] op_sel_hi:[1,1,0] neg_lo:[0,0,1] neg_hi:[0,0,1]
	v_pk_fma_f32 v[4:5], v[98:99], v[4:5], v[92:93] op_sel:[0,0,1] op_sel_hi:[1,0,0]
	v_pk_add_f32 v[88:89], v[88:89], v[122:123]
	v_mov_b32_e32 v95, v5
	v_pk_add_f32 v[4:5], v[88:89], v[94:95]
	s_waitcnt vmcnt(12)
	v_mov_b32_e32 v88, v105
	s_waitcnt lgkmcnt(0)
	v_pk_mul_f32 v[88:89], v[100:101], v[88:89] op_sel_hi:[1,0]
	v_pk_fma_f32 v[92:93], v[100:101], v[104:105], v[88:89] op_sel:[0,0,1] op_sel_hi:[1,1,0] neg_lo:[0,0,1] neg_hi:[0,0,1]
	v_pk_fma_f32 v[88:89], v[100:101], v[104:105], v[88:89] op_sel:[0,0,1] op_sel_hi:[1,0,0]
	s_waitcnt vmcnt(11)
	v_mov_b32_e32 v88, v109
	ds_read_b128 v[80:83], v2 offset:560
	ds_read_b128 v[84:87], v2 offset:576
	ds_read_b64 v[90:91], v2 offset:592
	v_mov_b32_e32 v93, v89
	v_pk_mul_f32 v[88:89], v[102:103], v[88:89] op_sel_hi:[1,0]
	v_pk_add_f32 v[4:5], v[4:5], v[92:93]
	s_waitcnt vmcnt(4)
	v_pk_fma_f32 v[92:93], v[102:103], v[108:109], v[88:89] op_sel:[0,0,1] op_sel_hi:[1,1,0] neg_lo:[0,0,1] neg_hi:[0,0,1]
	v_pk_fma_f32 v[88:89], v[102:103], v[108:109], v[88:89] op_sel:[0,0,1] op_sel_hi:[1,0,0]
	v_mov_b32_e32 v88, v115
	v_mov_b32_e32 v93, v89
	s_waitcnt lgkmcnt(2)
	v_pk_mul_f32 v[88:89], v[80:81], v[88:89] op_sel_hi:[1,0]
	v_pk_add_f32 v[4:5], v[4:5], v[92:93]
	v_pk_fma_f32 v[92:93], v[80:81], v[114:115], v[88:89] op_sel:[0,0,1] op_sel_hi:[1,1,0] neg_lo:[0,0,1] neg_hi:[0,0,1]
	v_pk_fma_f32 v[80:81], v[80:81], v[114:115], v[88:89] op_sel:[0,0,1] op_sel_hi:[1,0,0]
	v_mov_b32_e32 v80, v113
	v_mov_b32_e32 v93, v81
	v_pk_mul_f32 v[80:81], v[82:83], v[80:81] op_sel_hi:[1,0]
	v_pk_fma_f32 v[88:89], v[82:83], v[112:113], v[80:81] op_sel:[0,0,1] op_sel_hi:[1,1,0] neg_lo:[0,0,1] neg_hi:[0,0,1]
	v_pk_fma_f32 v[80:81], v[82:83], v[112:113], v[80:81] op_sel:[0,0,1] op_sel_hi:[1,0,0]
	v_mov_b32_e32 v80, v111
	v_mov_b32_e32 v89, v81
	s_waitcnt lgkmcnt(1)
	v_pk_mul_f32 v[80:81], v[84:85], v[80:81] op_sel_hi:[1,0]
	v_pk_fma_f32 v[82:83], v[84:85], v[110:111], v[80:81] op_sel:[0,0,1] op_sel_hi:[1,1,0] neg_lo:[0,0,1] neg_hi:[0,0,1]
	v_pk_fma_f32 v[80:81], v[84:85], v[110:111], v[80:81] op_sel:[0,0,1] op_sel_hi:[1,0,0]
	v_pk_add_f32 v[4:5], v[4:5], v[92:93]
	s_waitcnt vmcnt(1)
	v_mov_b32_e32 v80, v119
	v_pk_add_f32 v[4:5], v[4:5], v[88:89]
	v_mov_b32_e32 v83, v81
	v_pk_mul_f32 v[80:81], v[86:87], v[80:81] op_sel_hi:[1,0]
	v_pk_add_f32 v[4:5], v[4:5], v[82:83]
	s_waitcnt vmcnt(0)
	v_pk_fma_f32 v[82:83], v[86:87], v[118:119], v[80:81] op_sel:[0,0,1] op_sel_hi:[1,1,0] neg_lo:[0,0,1] neg_hi:[0,0,1]
	v_pk_fma_f32 v[80:81], v[86:87], v[118:119], v[80:81] op_sel:[0,0,1] op_sel_hi:[1,0,0]
	v_mov_b32_e32 v80, v117
	v_mov_b32_e32 v83, v81
	s_waitcnt lgkmcnt(0)
	v_pk_mul_f32 v[80:81], v[90:91], v[80:81] op_sel_hi:[1,0]
	v_pk_add_f32 v[4:5], v[4:5], v[82:83]
	v_pk_fma_f32 v[82:83], v[90:91], v[116:117], v[80:81] op_sel:[0,0,1] op_sel_hi:[1,1,0] neg_lo:[0,0,1] neg_hi:[0,0,1]
	v_pk_fma_f32 v[80:81], v[90:91], v[116:117], v[80:81] op_sel:[0,0,1] op_sel_hi:[1,0,0]
	v_mov_b32_e32 v83, v81
	v_pk_add_f32 v[4:5], v[4:5], v[82:83]
	v_pk_add_f32 v[4:5], v[106:107], v[4:5] neg_lo:[0,1] neg_hi:[0,1]
	buffer_store_dword v5, off, s[0:3], 0 offset:156
	buffer_store_dword v4, off, s[0:3], 0 offset:152
	s_and_saveexec_b64 s[4:5], vcc
	s_cbranch_execz .LBB36_199
; %bb.198:
	buffer_load_dword v4, off, s[0:3], 0 offset:144
	buffer_load_dword v5, off, s[0:3], 0 offset:148
	s_waitcnt vmcnt(0)
	ds_write_b64 v1, v[4:5]
	buffer_store_dword v2, off, s[0:3], 0 offset:144
	buffer_store_dword v2, off, s[0:3], 0 offset:148
.LBB36_199:
	s_or_b64 exec, exec, s[4:5]
	s_waitcnt lgkmcnt(0)
	; wave barrier
	s_waitcnt lgkmcnt(0)
	buffer_load_dword v3, off, s[0:3], 0 offset:156
	buffer_load_dword v4, off, s[0:3], 0 offset:164
	;; [unrolled: 1-line block ×22, first 2 shown]
	ds_read2_b64 v[80:83], v2 offset0:57 offset1:58
	ds_read2_b64 v[84:87], v2 offset0:59 offset1:60
	buffer_load_dword v107, off, s[0:3], 0 offset:236
	buffer_load_dword v106, off, s[0:3], 0 offset:232
	;; [unrolled: 1-line block ×10, first 2 shown]
	ds_read2_b64 v[88:91], v2 offset0:61 offset1:62
	ds_read2_b64 v[92:95], v2 offset0:63 offset1:64
	;; [unrolled: 1-line block ×4, first 2 shown]
	buffer_load_dword v117, off, s[0:3], 0 offset:292
	buffer_load_dword v116, off, s[0:3], 0 offset:288
	;; [unrolled: 1-line block ×6, first 2 shown]
	v_cmp_lt_u32_e32 vcc, 17, v0
	s_waitcnt vmcnt(37) lgkmcnt(5)
	v_mul_f32_e32 v141, v80, v3
	s_waitcnt vmcnt(36)
	v_mul_f32_e32 v142, v82, v4
	v_mul_f32_e32 v3, v81, v3
	;; [unrolled: 1-line block ×3, first 2 shown]
	s_waitcnt vmcnt(35) lgkmcnt(4)
	v_mul_f32_e32 v143, v84, v5
	s_waitcnt vmcnt(34)
	v_mul_f32_e32 v144, v86, v122
	s_waitcnt vmcnt(33) lgkmcnt(3)
	v_mul_f32_e32 v145, v88, v124
	s_waitcnt vmcnt(32)
	v_mul_f32_e32 v146, v90, v126
	v_mul_f32_e32 v5, v85, v5
	s_waitcnt vmcnt(31) lgkmcnt(2)
	v_mul_f32_e32 v147, v92, v127
	s_waitcnt vmcnt(27)
	v_fmac_f32_e32 v141, v81, v131
	s_waitcnt vmcnt(26)
	v_fmac_f32_e32 v142, v83, v132
	v_fma_f32 v3, v80, v131, -v3
	v_fma_f32 v4, v82, v132, -v4
	v_add_f32_e32 v82, 0, v141
	s_waitcnt vmcnt(25)
	v_fmac_f32_e32 v143, v85, v133
	v_add_f32_e32 v3, 0, v3
	v_add_f32_e32 v82, v82, v142
	s_waitcnt vmcnt(24)
	v_fmac_f32_e32 v144, v87, v134
	v_add_f32_e32 v3, v3, v4
	v_add_f32_e32 v4, v82, v143
	s_waitcnt vmcnt(23)
	v_fmac_f32_e32 v145, v89, v135
	v_add_f32_e32 v4, v4, v144
	v_mul_f32_e32 v122, v87, v122
	s_waitcnt vmcnt(22)
	v_fmac_f32_e32 v146, v91, v136
	v_fma_f32 v5, v84, v133, -v5
	v_add_f32_e32 v4, v4, v145
	v_mul_f32_e32 v148, v94, v128
	v_mul_f32_e32 v124, v89, v124
	s_waitcnt vmcnt(21)
	v_fmac_f32_e32 v147, v93, v137
	v_fma_f32 v80, v86, v134, -v122
	v_add_f32_e32 v3, v3, v5
	v_add_f32_e32 v4, v4, v146
	v_mul_f32_e32 v126, v91, v126
	s_waitcnt vmcnt(20)
	v_fmac_f32_e32 v148, v95, v138
	v_fma_f32 v81, v88, v135, -v124
	v_add_f32_e32 v3, v3, v80
	v_add_f32_e32 v4, v4, v147
	;; [unrolled: 1-line block ×4, first 2 shown]
	v_fma_f32 v4, v90, v136, -v126
	v_add_f32_e32 v3, v3, v4
	v_mul_f32_e32 v4, v93, v127
	v_fma_f32 v4, v92, v137, -v4
	v_add_f32_e32 v3, v3, v4
	v_mul_f32_e32 v4, v95, v128
	v_fma_f32 v4, v94, v138, -v4
	s_waitcnt vmcnt(15)
	v_mov_b32_e32 v90, v107
	s_waitcnt lgkmcnt(1)
	v_mul_f32_e32 v123, v96, v129
	v_add_f32_e32 v88, v3, v4
	v_mul_f32_e32 v3, v97, v129
	s_waitcnt lgkmcnt(0)
	v_pk_mul_f32 v[90:91], v[100:101], v[90:91] op_sel_hi:[1,0]
	v_mul_f32_e32 v125, v98, v130
	v_fmac_f32_e32 v123, v97, v139
	v_fma_f32 v122, v96, v139, -v3
	v_mul_f32_e32 v3, v99, v130
	s_waitcnt vmcnt(14)
	v_pk_fma_f32 v[92:93], v[100:101], v[106:107], v[90:91] op_sel:[0,0,1] op_sel_hi:[1,1,0] neg_lo:[0,0,1] neg_hi:[0,0,1]
	v_pk_fma_f32 v[90:91], v[100:101], v[106:107], v[90:91] op_sel:[0,0,1] op_sel_hi:[1,0,0]
	v_fmac_f32_e32 v125, v99, v140
	v_fma_f32 v124, v98, v140, -v3
	v_pk_add_f32 v[88:89], v[88:89], v[122:123]
	s_waitcnt vmcnt(13)
	v_mov_b32_e32 v90, v109
	ds_read2_b64 v[80:83], v2 offset0:69 offset1:70
	ds_read2_b64 v[84:87], v2 offset0:71 offset1:72
	;; [unrolled: 1-line block ×3, first 2 shown]
	v_pk_add_f32 v[88:89], v[88:89], v[124:125]
	v_mov_b32_e32 v93, v91
	v_pk_mul_f32 v[90:91], v[102:103], v[90:91] op_sel_hi:[1,0]
	v_pk_add_f32 v[88:89], v[88:89], v[92:93]
	s_waitcnt vmcnt(6)
	v_pk_fma_f32 v[92:93], v[102:103], v[108:109], v[90:91] op_sel:[0,0,1] op_sel_hi:[1,1,0] neg_lo:[0,0,1] neg_hi:[0,0,1]
	v_pk_fma_f32 v[90:91], v[102:103], v[108:109], v[90:91] op_sel:[0,0,1] op_sel_hi:[1,0,0]
	v_mov_b32_e32 v90, v115
	v_mov_b32_e32 v93, v91
	s_waitcnt lgkmcnt(2)
	v_pk_mul_f32 v[90:91], v[80:81], v[90:91] op_sel_hi:[1,0]
	v_pk_add_f32 v[88:89], v[88:89], v[92:93]
	v_pk_fma_f32 v[92:93], v[80:81], v[114:115], v[90:91] op_sel:[0,0,1] op_sel_hi:[1,1,0] neg_lo:[0,0,1] neg_hi:[0,0,1]
	v_pk_fma_f32 v[80:81], v[80:81], v[114:115], v[90:91] op_sel:[0,0,1] op_sel_hi:[1,0,0]
	v_mov_b32_e32 v93, v81
	v_pk_add_f32 v[80:81], v[88:89], v[92:93]
	v_mov_b32_e32 v88, v113
	v_pk_mul_f32 v[88:89], v[82:83], v[88:89] op_sel_hi:[1,0]
	v_pk_fma_f32 v[90:91], v[82:83], v[112:113], v[88:89] op_sel:[0,0,1] op_sel_hi:[1,1,0] neg_lo:[0,0,1] neg_hi:[0,0,1]
	v_pk_fma_f32 v[82:83], v[82:83], v[112:113], v[88:89] op_sel:[0,0,1] op_sel_hi:[1,0,0]
	v_mov_b32_e32 v82, v111
	v_mov_b32_e32 v91, v83
	s_waitcnt lgkmcnt(1)
	v_pk_mul_f32 v[82:83], v[84:85], v[82:83] op_sel_hi:[1,0]
	v_pk_fma_f32 v[88:89], v[84:85], v[110:111], v[82:83] op_sel:[0,0,1] op_sel_hi:[1,1,0] neg_lo:[0,0,1] neg_hi:[0,0,1]
	v_pk_fma_f32 v[82:83], v[84:85], v[110:111], v[82:83] op_sel:[0,0,1] op_sel_hi:[1,0,0]
	s_waitcnt vmcnt(1)
	v_mov_b32_e32 v82, v121
	v_mov_b32_e32 v89, v83
	v_pk_mul_f32 v[82:83], v[86:87], v[82:83] op_sel_hi:[1,0]
	s_waitcnt vmcnt(0)
	v_pk_fma_f32 v[84:85], v[86:87], v[120:121], v[82:83] op_sel:[0,0,1] op_sel_hi:[1,1,0] neg_lo:[0,0,1] neg_hi:[0,0,1]
	v_pk_fma_f32 v[82:83], v[86:87], v[120:121], v[82:83] op_sel:[0,0,1] op_sel_hi:[1,0,0]
	v_pk_add_f32 v[80:81], v[80:81], v[90:91]
	v_mov_b32_e32 v82, v119
	v_pk_add_f32 v[80:81], v[80:81], v[88:89]
	v_mov_b32_e32 v85, v83
	s_waitcnt lgkmcnt(0)
	v_pk_mul_f32 v[82:83], v[2:3], v[82:83] op_sel_hi:[1,0]
	v_pk_add_f32 v[80:81], v[80:81], v[84:85]
	v_pk_fma_f32 v[84:85], v[2:3], v[118:119], v[82:83] op_sel:[0,0,1] op_sel_hi:[1,1,0] neg_lo:[0,0,1] neg_hi:[0,0,1]
	v_pk_fma_f32 v[2:3], v[2:3], v[118:119], v[82:83] op_sel:[0,0,1] op_sel_hi:[1,0,0]
	v_mov_b32_e32 v85, v3
	v_pk_add_f32 v[2:3], v[80:81], v[84:85]
	v_mov_b32_e32 v80, v117
	v_pk_mul_f32 v[80:81], v[4:5], v[80:81] op_sel_hi:[1,0]
	v_pk_fma_f32 v[82:83], v[4:5], v[116:117], v[80:81] op_sel:[0,0,1] op_sel_hi:[1,1,0] neg_lo:[0,0,1] neg_hi:[0,0,1]
	v_pk_fma_f32 v[4:5], v[4:5], v[116:117], v[80:81] op_sel:[0,0,1] op_sel_hi:[1,0,0]
	v_mov_b32_e32 v83, v5
	v_pk_add_f32 v[2:3], v[2:3], v[82:83]
	v_pk_add_f32 v[2:3], v[104:105], v[2:3] neg_lo:[0,1] neg_hi:[0,1]
	buffer_store_dword v3, off, s[0:3], 0 offset:148
	buffer_store_dword v2, off, s[0:3], 0 offset:144
	s_and_saveexec_b64 s[4:5], vcc
	s_cbranch_execz .LBB36_201
; %bb.200:
	buffer_load_dword v2, off, s[0:3], 0 offset:136
	buffer_load_dword v3, off, s[0:3], 0 offset:140
	v_mov_b32_e32 v4, 0
	buffer_store_dword v4, off, s[0:3], 0 offset:136
	buffer_store_dword v4, off, s[0:3], 0 offset:140
	s_waitcnt vmcnt(2)
	ds_write_b64 v1, v[2:3]
.LBB36_201:
	s_or_b64 exec, exec, s[4:5]
	s_waitcnt lgkmcnt(0)
	; wave barrier
	s_waitcnt lgkmcnt(0)
	buffer_load_dword v3, off, s[0:3], 0 offset:148
	buffer_load_dword v120, off, s[0:3], 0 offset:156
	;; [unrolled: 1-line block ×40, first 2 shown]
	v_mov_b32_e32 v2, 0
	ds_read_b128 v[80:83], v2 offset:448
	ds_read_b128 v[84:87], v2 offset:464
	;; [unrolled: 1-line block ×6, first 2 shown]
	v_cmp_lt_u32_e32 vcc, 16, v0
	s_waitcnt vmcnt(39) lgkmcnt(5)
	v_mul_f32_e32 v143, v80, v3
	s_waitcnt vmcnt(38)
	v_mul_f32_e32 v144, v82, v120
	v_mul_f32_e32 v3, v81, v3
	s_waitcnt vmcnt(37) lgkmcnt(4)
	v_mul_f32_e32 v145, v84, v122
	v_mul_f32_e32 v120, v83, v120
	s_waitcnt vmcnt(36)
	v_mul_f32_e32 v146, v86, v124
	s_waitcnt vmcnt(35) lgkmcnt(3)
	v_mul_f32_e32 v147, v88, v126
	s_waitcnt vmcnt(34)
	v_mul_f32_e32 v148, v90, v127
	s_waitcnt vmcnt(33) lgkmcnt(2)
	;; [unrolled: 4-line block ×3, first 2 shown]
	v_mul_f32_e32 v151, v96, v130
	s_waitcnt vmcnt(28)
	v_fmac_f32_e32 v143, v81, v125
	s_waitcnt vmcnt(27)
	v_fmac_f32_e32 v144, v83, v133
	v_fma_f32 v3, v80, v125, -v3
	v_add_f32_e32 v83, 0, v143
	s_waitcnt vmcnt(26)
	v_fmac_f32_e32 v145, v85, v134
	v_fma_f32 v80, v82, v133, -v120
	v_add_f32_e32 v3, 0, v3
	v_add_f32_e32 v83, v83, v144
	s_waitcnt vmcnt(25)
	v_fmac_f32_e32 v146, v87, v135
	v_add_f32_e32 v3, v3, v80
	v_add_f32_e32 v80, v83, v145
	s_waitcnt vmcnt(24)
	v_fmac_f32_e32 v147, v89, v136
	v_add_f32_e32 v80, v80, v146
	s_waitcnt vmcnt(23)
	v_fmac_f32_e32 v148, v91, v137
	;; [unrolled: 3-line block ×3, first 2 shown]
	v_add_f32_e32 v80, v80, v148
	v_mul_f32_e32 v122, v85, v122
	s_waitcnt vmcnt(21)
	v_fmac_f32_e32 v150, v95, v139
	v_add_f32_e32 v80, v80, v149
	v_mul_f32_e32 v124, v87, v124
	s_waitcnt vmcnt(20)
	v_fmac_f32_e32 v151, v97, v140
	v_fma_f32 v81, v84, v134, -v122
	v_add_f32_e32 v80, v80, v150
	v_fma_f32 v82, v86, v135, -v124
	v_add_f32_e32 v3, v3, v81
	v_add_f32_e32 v125, v80, v151
	v_mul_f32_e32 v80, v89, v126
	v_add_f32_e32 v3, v3, v82
	v_fma_f32 v80, v88, v136, -v80
	v_add_f32_e32 v3, v3, v80
	v_mul_f32_e32 v80, v91, v127
	v_fma_f32 v80, v90, v137, -v80
	v_add_f32_e32 v3, v3, v80
	v_mul_f32_e32 v80, v93, v128
	;; [unrolled: 3-line block ×4, first 2 shown]
	v_fma_f32 v80, v96, v140, -v80
	s_waitcnt vmcnt(9)
	v_mov_b32_e32 v96, v111
	v_mul_f32_e32 v121, v98, v131
	v_add_f32_e32 v124, v3, v80
	v_mul_f32_e32 v3, v99, v131
	s_waitcnt lgkmcnt(0)
	v_pk_mul_f32 v[96:97], v[102:103], v[96:97] op_sel_hi:[1,0]
	v_mul_f32_e32 v123, v100, v132
	v_fmac_f32_e32 v121, v99, v141
	v_fma_f32 v120, v98, v141, -v3
	v_mul_f32_e32 v3, v101, v132
	ds_read_b128 v[80:83], v2 offset:544
	ds_read_b128 v[84:87], v2 offset:560
	;; [unrolled: 1-line block ×3, first 2 shown]
	ds_read_b64 v[92:93], v2 offset:592
	s_waitcnt vmcnt(8)
	v_pk_fma_f32 v[98:99], v[102:103], v[110:111], v[96:97] op_sel:[0,0,1] op_sel_hi:[1,1,0] neg_lo:[0,0,1] neg_hi:[0,0,1]
	v_pk_fma_f32 v[96:97], v[102:103], v[110:111], v[96:97] op_sel:[0,0,1] op_sel_hi:[1,0,0]
	v_fmac_f32_e32 v123, v101, v142
	v_fma_f32 v122, v100, v142, -v3
	v_pk_add_f32 v[94:95], v[124:125], v[120:121]
	v_mov_b32_e32 v96, v109
	v_pk_add_f32 v[94:95], v[94:95], v[122:123]
	v_mov_b32_e32 v99, v97
	s_waitcnt lgkmcnt(3)
	v_pk_mul_f32 v[96:97], v[80:81], v[96:97] op_sel_hi:[1,0]
	v_pk_add_f32 v[94:95], v[94:95], v[98:99]
	v_pk_fma_f32 v[98:99], v[80:81], v[108:109], v[96:97] op_sel:[0,0,1] op_sel_hi:[1,1,0] neg_lo:[0,0,1] neg_hi:[0,0,1]
	v_pk_fma_f32 v[80:81], v[80:81], v[108:109], v[96:97] op_sel:[0,0,1] op_sel_hi:[1,0,0]
	v_mov_b32_e32 v99, v81
	v_pk_add_f32 v[80:81], v[94:95], v[98:99]
	v_mov_b32_e32 v94, v107
	v_pk_mul_f32 v[94:95], v[82:83], v[94:95] op_sel_hi:[1,0]
	v_pk_fma_f32 v[96:97], v[82:83], v[106:107], v[94:95] op_sel:[0,0,1] op_sel_hi:[1,1,0] neg_lo:[0,0,1] neg_hi:[0,0,1]
	v_pk_fma_f32 v[82:83], v[82:83], v[106:107], v[94:95] op_sel:[0,0,1] op_sel_hi:[1,0,0]
	v_mov_b32_e32 v82, v105
	v_mov_b32_e32 v97, v83
	s_waitcnt lgkmcnt(2)
	v_pk_mul_f32 v[82:83], v[84:85], v[82:83] op_sel_hi:[1,0]
	v_pk_fma_f32 v[94:95], v[84:85], v[104:105], v[82:83] op_sel:[0,0,1] op_sel_hi:[1,1,0] neg_lo:[0,0,1] neg_hi:[0,0,1]
	v_pk_fma_f32 v[82:83], v[84:85], v[104:105], v[82:83] op_sel:[0,0,1] op_sel_hi:[1,0,0]
	s_waitcnt vmcnt(1)
	v_mov_b32_e32 v82, v119
	v_mov_b32_e32 v95, v83
	v_pk_mul_f32 v[82:83], v[86:87], v[82:83] op_sel_hi:[1,0]
	s_waitcnt vmcnt(0)
	v_pk_fma_f32 v[84:85], v[86:87], v[118:119], v[82:83] op_sel:[0,0,1] op_sel_hi:[1,1,0] neg_lo:[0,0,1] neg_hi:[0,0,1]
	v_pk_fma_f32 v[82:83], v[86:87], v[118:119], v[82:83] op_sel:[0,0,1] op_sel_hi:[1,0,0]
	v_pk_add_f32 v[80:81], v[80:81], v[96:97]
	v_mov_b32_e32 v82, v117
	v_pk_add_f32 v[80:81], v[80:81], v[94:95]
	v_mov_b32_e32 v85, v83
	s_waitcnt lgkmcnt(1)
	v_pk_mul_f32 v[82:83], v[88:89], v[82:83] op_sel_hi:[1,0]
	v_pk_add_f32 v[80:81], v[80:81], v[84:85]
	v_pk_fma_f32 v[84:85], v[88:89], v[116:117], v[82:83] op_sel:[0,0,1] op_sel_hi:[1,1,0] neg_lo:[0,0,1] neg_hi:[0,0,1]
	v_pk_fma_f32 v[82:83], v[88:89], v[116:117], v[82:83] op_sel:[0,0,1] op_sel_hi:[1,0,0]
	v_mov_b32_e32 v82, v115
	v_mov_b32_e32 v85, v83
	v_pk_mul_f32 v[82:83], v[90:91], v[82:83] op_sel_hi:[1,0]
	v_pk_add_f32 v[80:81], v[80:81], v[84:85]
	v_pk_fma_f32 v[84:85], v[90:91], v[114:115], v[82:83] op_sel:[0,0,1] op_sel_hi:[1,1,0] neg_lo:[0,0,1] neg_hi:[0,0,1]
	v_pk_fma_f32 v[82:83], v[90:91], v[114:115], v[82:83] op_sel:[0,0,1] op_sel_hi:[1,0,0]
	v_mov_b32_e32 v82, v113
	v_mov_b32_e32 v85, v83
	s_waitcnt lgkmcnt(0)
	v_pk_mul_f32 v[82:83], v[92:93], v[82:83] op_sel_hi:[1,0]
	v_pk_add_f32 v[80:81], v[80:81], v[84:85]
	v_pk_fma_f32 v[84:85], v[92:93], v[112:113], v[82:83] op_sel:[0,0,1] op_sel_hi:[1,1,0] neg_lo:[0,0,1] neg_hi:[0,0,1]
	v_pk_fma_f32 v[82:83], v[92:93], v[112:113], v[82:83] op_sel:[0,0,1] op_sel_hi:[1,0,0]
	v_mov_b32_e32 v85, v83
	v_pk_add_f32 v[80:81], v[80:81], v[84:85]
	v_pk_add_f32 v[4:5], v[4:5], v[80:81] neg_lo:[0,1] neg_hi:[0,1]
	buffer_store_dword v5, off, s[0:3], 0 offset:140
	buffer_store_dword v4, off, s[0:3], 0 offset:136
	s_and_saveexec_b64 s[4:5], vcc
	s_cbranch_execz .LBB36_203
; %bb.202:
	buffer_load_dword v4, off, s[0:3], 0 offset:128
	buffer_load_dword v5, off, s[0:3], 0 offset:132
	s_waitcnt vmcnt(0)
	ds_write_b64 v1, v[4:5]
	buffer_store_dword v2, off, s[0:3], 0 offset:128
	buffer_store_dword v2, off, s[0:3], 0 offset:132
.LBB36_203:
	s_or_b64 exec, exec, s[4:5]
	s_waitcnt lgkmcnt(0)
	; wave barrier
	s_waitcnt lgkmcnt(0)
	buffer_load_dword v3, off, s[0:3], 0 offset:140
	buffer_load_dword v4, off, s[0:3], 0 offset:148
	;; [unrolled: 1-line block ×26, first 2 shown]
	ds_read2_b64 v[80:83], v2 offset0:55 offset1:56
	ds_read2_b64 v[84:87], v2 offset0:57 offset1:58
	;; [unrolled: 1-line block ×6, first 2 shown]
	buffer_load_dword v107, off, s[0:3], 0 offset:252
	buffer_load_dword v106, off, s[0:3], 0 offset:248
	;; [unrolled: 1-line block ×16, first 2 shown]
	v_cmp_lt_u32_e32 vcc, 15, v0
	s_waitcnt vmcnt(41) lgkmcnt(5)
	v_mul_f32_e32 v145, v80, v3
	s_waitcnt vmcnt(40)
	v_mul_f32_e32 v146, v82, v4
	v_mul_f32_e32 v3, v81, v3
	s_waitcnt vmcnt(39) lgkmcnt(4)
	v_mul_f32_e32 v147, v84, v5
	v_mul_f32_e32 v4, v83, v4
	s_waitcnt vmcnt(38)
	v_mul_f32_e32 v148, v86, v122
	s_waitcnt vmcnt(37) lgkmcnt(3)
	v_mul_f32_e32 v149, v88, v124
	s_waitcnt vmcnt(36)
	v_mul_f32_e32 v150, v90, v126
	s_waitcnt vmcnt(35) lgkmcnt(2)
	;; [unrolled: 4-line block ×3, first 2 shown]
	v_mul_f32_e32 v153, v96, v130
	s_waitcnt vmcnt(32)
	v_mul_f32_e32 v154, v98, v131
	s_waitcnt vmcnt(29)
	v_fmac_f32_e32 v145, v81, v127
	s_waitcnt vmcnt(28)
	v_fmac_f32_e32 v146, v83, v134
	v_fma_f32 v3, v80, v127, -v3
	v_add_f32_e32 v80, 0, v145
	s_waitcnt vmcnt(27)
	v_fmac_f32_e32 v147, v85, v135
	v_fma_f32 v4, v82, v134, -v4
	v_add_f32_e32 v3, 0, v3
	v_add_f32_e32 v80, v80, v146
	s_waitcnt vmcnt(26)
	v_fmac_f32_e32 v148, v87, v136
	v_add_f32_e32 v3, v3, v4
	v_add_f32_e32 v4, v80, v147
	s_waitcnt vmcnt(25)
	v_fmac_f32_e32 v149, v89, v137
	v_add_f32_e32 v4, v4, v148
	s_waitcnt vmcnt(24)
	v_fmac_f32_e32 v150, v91, v138
	;; [unrolled: 3-line block ×5, first 2 shown]
	v_add_f32_e32 v4, v4, v152
	v_mul_f32_e32 v5, v85, v5
	s_waitcnt vmcnt(20)
	v_fmac_f32_e32 v154, v99, v142
	v_add_f32_e32 v4, v4, v153
	v_fma_f32 v5, v84, v135, -v5
	v_add_f32_e32 v127, v4, v154
	v_mul_f32_e32 v4, v87, v122
	v_add_f32_e32 v3, v3, v5
	v_fma_f32 v4, v86, v136, -v4
	v_add_f32_e32 v3, v3, v4
	v_mul_f32_e32 v4, v89, v124
	v_fma_f32 v4, v88, v137, -v4
	v_add_f32_e32 v3, v3, v4
	v_mul_f32_e32 v4, v91, v126
	;; [unrolled: 3-line block ×6, first 2 shown]
	v_fma_f32 v4, v98, v142, -v4
	v_add_f32_e32 v126, v3, v4
	s_waitcnt lgkmcnt(0)
	v_mul_f32_e32 v3, v101, v132
	s_waitcnt vmcnt(19)
	v_fma_f32 v122, v100, v143, -v3
	v_mul_f32_e32 v3, v103, v133
	s_waitcnt vmcnt(18)
	v_fma_f32 v124, v102, v144, -v3
	ds_read2_b64 v[80:83], v2 offset0:67 offset1:68
	ds_read2_b64 v[84:87], v2 offset0:69 offset1:70
	;; [unrolled: 1-line block ×4, first 2 shown]
	v_mul_f32_e32 v123, v100, v132
	s_waitcnt vmcnt(11)
	v_mov_b32_e32 v94, v111
	v_mul_f32_e32 v125, v102, v133
	v_fmac_f32_e32 v123, v101, v143
	s_waitcnt lgkmcnt(3)
	v_pk_mul_f32 v[94:95], v[80:81], v[94:95] op_sel_hi:[1,0]
	v_fmac_f32_e32 v125, v103, v144
	v_pk_add_f32 v[92:93], v[126:127], v[122:123]
	s_waitcnt vmcnt(10)
	v_pk_fma_f32 v[96:97], v[80:81], v[110:111], v[94:95] op_sel:[0,0,1] op_sel_hi:[1,1,0] neg_lo:[0,0,1] neg_hi:[0,0,1]
	v_pk_fma_f32 v[80:81], v[80:81], v[110:111], v[94:95] op_sel:[0,0,1] op_sel_hi:[1,0,0]
	v_pk_add_f32 v[92:93], v[92:93], v[124:125]
	v_mov_b32_e32 v97, v81
	v_pk_add_f32 v[80:81], v[92:93], v[96:97]
	v_mov_b32_e32 v92, v109
	v_pk_mul_f32 v[92:93], v[82:83], v[92:93] op_sel_hi:[1,0]
	v_pk_fma_f32 v[94:95], v[82:83], v[108:109], v[92:93] op_sel:[0,0,1] op_sel_hi:[1,1,0] neg_lo:[0,0,1] neg_hi:[0,0,1]
	v_pk_fma_f32 v[82:83], v[82:83], v[108:109], v[92:93] op_sel:[0,0,1] op_sel_hi:[1,0,0]
	v_mov_b32_e32 v82, v107
	v_mov_b32_e32 v95, v83
	s_waitcnt lgkmcnt(2)
	v_pk_mul_f32 v[82:83], v[84:85], v[82:83] op_sel_hi:[1,0]
	v_pk_fma_f32 v[92:93], v[84:85], v[106:107], v[82:83] op_sel:[0,0,1] op_sel_hi:[1,1,0] neg_lo:[0,0,1] neg_hi:[0,0,1]
	v_pk_fma_f32 v[82:83], v[84:85], v[106:107], v[82:83] op_sel:[0,0,1] op_sel_hi:[1,0,0]
	s_waitcnt vmcnt(3)
	v_mov_b32_e32 v82, v119
	v_mov_b32_e32 v93, v83
	v_pk_mul_f32 v[82:83], v[86:87], v[82:83] op_sel_hi:[1,0]
	s_waitcnt vmcnt(2)
	v_pk_fma_f32 v[84:85], v[86:87], v[118:119], v[82:83] op_sel:[0,0,1] op_sel_hi:[1,1,0] neg_lo:[0,0,1] neg_hi:[0,0,1]
	v_pk_fma_f32 v[82:83], v[86:87], v[118:119], v[82:83] op_sel:[0,0,1] op_sel_hi:[1,0,0]
	v_pk_add_f32 v[80:81], v[80:81], v[94:95]
	v_mov_b32_e32 v82, v117
	v_pk_add_f32 v[80:81], v[80:81], v[92:93]
	v_mov_b32_e32 v85, v83
	s_waitcnt lgkmcnt(1)
	v_pk_mul_f32 v[82:83], v[88:89], v[82:83] op_sel_hi:[1,0]
	v_pk_add_f32 v[80:81], v[80:81], v[84:85]
	v_pk_fma_f32 v[84:85], v[88:89], v[116:117], v[82:83] op_sel:[0,0,1] op_sel_hi:[1,1,0] neg_lo:[0,0,1] neg_hi:[0,0,1]
	v_pk_fma_f32 v[82:83], v[88:89], v[116:117], v[82:83] op_sel:[0,0,1] op_sel_hi:[1,0,0]
	v_mov_b32_e32 v82, v115
	v_mov_b32_e32 v85, v83
	v_pk_mul_f32 v[82:83], v[90:91], v[82:83] op_sel_hi:[1,0]
	v_pk_add_f32 v[80:81], v[80:81], v[84:85]
	v_pk_fma_f32 v[84:85], v[90:91], v[114:115], v[82:83] op_sel:[0,0,1] op_sel_hi:[1,1,0] neg_lo:[0,0,1] neg_hi:[0,0,1]
	v_pk_fma_f32 v[82:83], v[90:91], v[114:115], v[82:83] op_sel:[0,0,1] op_sel_hi:[1,0,0]
	v_mov_b32_e32 v82, v113
	v_mov_b32_e32 v85, v83
	s_waitcnt lgkmcnt(0)
	v_pk_mul_f32 v[82:83], v[2:3], v[82:83] op_sel_hi:[1,0]
	v_pk_add_f32 v[80:81], v[80:81], v[84:85]
	v_pk_fma_f32 v[84:85], v[2:3], v[112:113], v[82:83] op_sel:[0,0,1] op_sel_hi:[1,1,0] neg_lo:[0,0,1] neg_hi:[0,0,1]
	v_pk_fma_f32 v[2:3], v[2:3], v[112:113], v[82:83] op_sel:[0,0,1] op_sel_hi:[1,0,0]
	v_mov_b32_e32 v85, v3
	v_pk_add_f32 v[2:3], v[80:81], v[84:85]
	s_waitcnt vmcnt(1)
	v_mov_b32_e32 v80, v121
	v_pk_mul_f32 v[80:81], v[4:5], v[80:81] op_sel_hi:[1,0]
	s_waitcnt vmcnt(0)
	v_pk_fma_f32 v[82:83], v[4:5], v[120:121], v[80:81] op_sel:[0,0,1] op_sel_hi:[1,1,0] neg_lo:[0,0,1] neg_hi:[0,0,1]
	v_pk_fma_f32 v[4:5], v[4:5], v[120:121], v[80:81] op_sel:[0,0,1] op_sel_hi:[1,0,0]
	v_mov_b32_e32 v83, v5
	v_pk_add_f32 v[2:3], v[2:3], v[82:83]
	v_pk_add_f32 v[2:3], v[104:105], v[2:3] neg_lo:[0,1] neg_hi:[0,1]
	buffer_store_dword v3, off, s[0:3], 0 offset:132
	buffer_store_dword v2, off, s[0:3], 0 offset:128
	s_and_saveexec_b64 s[4:5], vcc
	s_cbranch_execz .LBB36_205
; %bb.204:
	buffer_load_dword v2, off, s[0:3], 0 offset:120
	buffer_load_dword v3, off, s[0:3], 0 offset:124
	v_mov_b32_e32 v4, 0
	buffer_store_dword v4, off, s[0:3], 0 offset:120
	buffer_store_dword v4, off, s[0:3], 0 offset:124
	s_waitcnt vmcnt(2)
	ds_write_b64 v1, v[2:3]
.LBB36_205:
	s_or_b64 exec, exec, s[4:5]
	s_waitcnt lgkmcnt(0)
	; wave barrier
	s_waitcnt lgkmcnt(0)
	buffer_load_dword v83, off, s[0:3], 0 offset:132
	buffer_load_dword v128, off, s[0:3], 0 offset:140
	buffer_load_dword v130, off, s[0:3], 0 offset:148
	buffer_load_dword v132, off, s[0:3], 0 offset:156
	buffer_load_dword v134, off, s[0:3], 0 offset:164
	buffer_load_dword v135, off, s[0:3], 0 offset:172
	buffer_load_dword v136, off, s[0:3], 0 offset:180
	buffer_load_dword v137, off, s[0:3], 0 offset:188
	buffer_load_dword v138, off, s[0:3], 0 offset:196
	buffer_load_dword v139, off, s[0:3], 0 offset:204
	buffer_load_dword v140, off, s[0:3], 0 offset:212
	buffer_load_dword v141, off, s[0:3], 0 offset:220
	buffer_load_dword v142, off, s[0:3], 0 offset:228
	buffer_load_dword v143, off, s[0:3], 0 offset:128
	buffer_load_dword v144, off, s[0:3], 0 offset:136
	buffer_load_dword v145, off, s[0:3], 0 offset:144
	buffer_load_dword v146, off, s[0:3], 0 offset:152
	buffer_load_dword v147, off, s[0:3], 0 offset:160
	buffer_load_dword v148, off, s[0:3], 0 offset:168
	buffer_load_dword v149, off, s[0:3], 0 offset:176
	buffer_load_dword v150, off, s[0:3], 0 offset:184
	buffer_load_dword v151, off, s[0:3], 0 offset:192
	buffer_load_dword v152, off, s[0:3], 0 offset:200
	buffer_load_dword v153, off, s[0:3], 0 offset:208
	buffer_load_dword v154, off, s[0:3], 0 offset:216
	buffer_load_dword v155, off, s[0:3], 0 offset:224
	buffer_load_dword v80, off, s[0:3], 0 offset:120
	buffer_load_dword v81, off, s[0:3], 0 offset:124
	buffer_load_dword v113, off, s[0:3], 0 offset:244
	buffer_load_dword v112, off, s[0:3], 0 offset:240
	buffer_load_dword v115, off, s[0:3], 0 offset:236
	buffer_load_dword v114, off, s[0:3], 0 offset:232
	buffer_load_dword v117, off, s[0:3], 0 offset:276
	buffer_load_dword v116, off, s[0:3], 0 offset:272
	buffer_load_dword v119, off, s[0:3], 0 offset:268
	buffer_load_dword v118, off, s[0:3], 0 offset:264
	buffer_load_dword v121, off, s[0:3], 0 offset:260
	buffer_load_dword v120, off, s[0:3], 0 offset:256
	buffer_load_dword v123, off, s[0:3], 0 offset:252
	buffer_load_dword v122, off, s[0:3], 0 offset:248
	buffer_load_dword v125, off, s[0:3], 0 offset:292
	buffer_load_dword v124, off, s[0:3], 0 offset:288
	buffer_load_dword v127, off, s[0:3], 0 offset:284
	buffer_load_dword v126, off, s[0:3], 0 offset:280
	v_mov_b32_e32 v82, 0
	ds_read_b128 v[2:5], v82 offset:432
	ds_read_b128 v[84:87], v82 offset:448
	;; [unrolled: 1-line block ×8, first 2 shown]
	v_cmp_lt_u32_e32 vcc, 14, v0
	s_waitcnt vmcnt(43) lgkmcnt(7)
	v_mul_f32_e32 v133, v2, v83
	s_waitcnt vmcnt(42)
	v_mul_f32_e32 v156, v4, v128
	s_waitcnt vmcnt(41) lgkmcnt(6)
	v_mul_f32_e32 v157, v84, v130
	v_mul_f32_e32 v83, v3, v83
	s_waitcnt vmcnt(40)
	v_mul_f32_e32 v158, v86, v132
	s_waitcnt vmcnt(39) lgkmcnt(5)
	v_mul_f32_e32 v159, v88, v134
	s_waitcnt vmcnt(38)
	v_mul_f32_e32 v160, v90, v135
	s_waitcnt vmcnt(37) lgkmcnt(4)
	v_mul_f32_e32 v161, v92, v136
	s_waitcnt vmcnt(36)
	v_mul_f32_e32 v162, v94, v137
	s_waitcnt vmcnt(35) lgkmcnt(3)
	v_mul_f32_e32 v163, v96, v138
	s_waitcnt vmcnt(34)
	v_mul_f32_e32 v164, v98, v139
	s_waitcnt vmcnt(33) lgkmcnt(2)
	v_mul_f32_e32 v165, v100, v140
	s_waitcnt vmcnt(32)
	v_mul_f32_e32 v129, v102, v141
	s_waitcnt vmcnt(30)
	v_fmac_f32_e32 v133, v3, v143
	s_waitcnt vmcnt(29)
	v_fmac_f32_e32 v156, v5, v144
	v_add_f32_e32 v3, 0, v133
	s_waitcnt vmcnt(28)
	v_fmac_f32_e32 v157, v85, v145
	v_add_f32_e32 v3, v3, v156
	s_waitcnt vmcnt(27)
	v_fmac_f32_e32 v158, v87, v146
	v_add_f32_e32 v3, v3, v157
	s_waitcnt vmcnt(26)
	v_fmac_f32_e32 v159, v89, v147
	v_add_f32_e32 v3, v3, v158
	s_waitcnt vmcnt(25)
	v_fmac_f32_e32 v160, v91, v148
	v_add_f32_e32 v3, v3, v159
	s_waitcnt vmcnt(24)
	v_fmac_f32_e32 v161, v93, v149
	v_add_f32_e32 v3, v3, v160
	s_waitcnt vmcnt(23)
	v_fmac_f32_e32 v162, v95, v150
	v_add_f32_e32 v3, v3, v161
	s_waitcnt vmcnt(22)
	v_fmac_f32_e32 v163, v97, v151
	v_add_f32_e32 v3, v3, v162
	s_waitcnt vmcnt(21)
	v_fmac_f32_e32 v164, v99, v152
	v_add_f32_e32 v3, v3, v163
	s_waitcnt vmcnt(20)
	v_fmac_f32_e32 v165, v101, v153
	v_add_f32_e32 v3, v3, v164
	v_add_f32_e32 v133, v3, v165
	v_fma_f32 v2, v2, v143, -v83
	v_mul_f32_e32 v3, v5, v128
	v_add_f32_e32 v2, 0, v2
	v_fma_f32 v3, v4, v144, -v3
	v_add_f32_e32 v2, v2, v3
	v_mul_f32_e32 v3, v85, v130
	v_fma_f32 v3, v84, v145, -v3
	v_add_f32_e32 v2, v2, v3
	v_mul_f32_e32 v3, v87, v132
	;; [unrolled: 3-line block ×9, first 2 shown]
	v_fma_f32 v3, v100, v153, -v3
	s_waitcnt vmcnt(13)
	v_mov_b32_e32 v92, v115
	v_add_f32_e32 v132, v2, v3
	v_mul_f32_e32 v2, v103, v141
	s_waitcnt lgkmcnt(1)
	v_pk_mul_f32 v[92:93], v[106:107], v[92:93] op_sel_hi:[1,0]
	v_mul_f32_e32 v131, v104, v142
	v_fmac_f32_e32 v129, v103, v154
	v_fma_f32 v128, v102, v154, -v2
	v_mul_f32_e32 v2, v105, v142
	s_waitcnt vmcnt(12)
	v_pk_fma_f32 v[94:95], v[106:107], v[114:115], v[92:93] op_sel:[0,0,1] op_sel_hi:[1,1,0] neg_lo:[0,0,1] neg_hi:[0,0,1]
	v_pk_fma_f32 v[92:93], v[106:107], v[114:115], v[92:93] op_sel:[0,0,1] op_sel_hi:[1,0,0]
	v_fmac_f32_e32 v131, v105, v155
	v_fma_f32 v130, v104, v155, -v2
	v_pk_add_f32 v[90:91], v[132:133], v[128:129]
	v_mov_b32_e32 v92, v113
	v_pk_add_f32 v[90:91], v[90:91], v[130:131]
	v_mov_b32_e32 v95, v93
	s_waitcnt lgkmcnt(0)
	v_pk_mul_f32 v[92:93], v[108:109], v[92:93] op_sel_hi:[1,0]
	v_pk_add_f32 v[90:91], v[90:91], v[94:95]
	v_pk_fma_f32 v[94:95], v[108:109], v[112:113], v[92:93] op_sel:[0,0,1] op_sel_hi:[1,1,0] neg_lo:[0,0,1] neg_hi:[0,0,1]
	v_pk_fma_f32 v[92:93], v[108:109], v[112:113], v[92:93] op_sel:[0,0,1] op_sel_hi:[1,0,0]
	s_waitcnt vmcnt(5)
	v_mov_b32_e32 v92, v123
	ds_read_b128 v[2:5], v82 offset:560
	ds_read_b128 v[84:87], v82 offset:576
	ds_read_b64 v[88:89], v82 offset:592
	v_mov_b32_e32 v95, v93
	v_pk_mul_f32 v[92:93], v[110:111], v[92:93] op_sel_hi:[1,0]
	v_pk_add_f32 v[90:91], v[90:91], v[94:95]
	s_waitcnt vmcnt(4)
	v_pk_fma_f32 v[94:95], v[110:111], v[122:123], v[92:93] op_sel:[0,0,1] op_sel_hi:[1,1,0] neg_lo:[0,0,1] neg_hi:[0,0,1]
	v_pk_fma_f32 v[92:93], v[110:111], v[122:123], v[92:93] op_sel:[0,0,1] op_sel_hi:[1,0,0]
	v_mov_b32_e32 v92, v121
	v_mov_b32_e32 v95, v93
	s_waitcnt lgkmcnt(2)
	v_pk_mul_f32 v[92:93], v[2:3], v[92:93] op_sel_hi:[1,0]
	v_pk_add_f32 v[90:91], v[90:91], v[94:95]
	v_pk_fma_f32 v[94:95], v[2:3], v[120:121], v[92:93] op_sel:[0,0,1] op_sel_hi:[1,1,0] neg_lo:[0,0,1] neg_hi:[0,0,1]
	v_pk_fma_f32 v[2:3], v[2:3], v[120:121], v[92:93] op_sel:[0,0,1] op_sel_hi:[1,0,0]
	v_mov_b32_e32 v95, v3
	v_pk_add_f32 v[2:3], v[90:91], v[94:95]
	v_mov_b32_e32 v90, v119
	v_pk_mul_f32 v[90:91], v[4:5], v[90:91] op_sel_hi:[1,0]
	v_pk_fma_f32 v[92:93], v[4:5], v[118:119], v[90:91] op_sel:[0,0,1] op_sel_hi:[1,1,0] neg_lo:[0,0,1] neg_hi:[0,0,1]
	v_pk_fma_f32 v[4:5], v[4:5], v[118:119], v[90:91] op_sel:[0,0,1] op_sel_hi:[1,0,0]
	v_mov_b32_e32 v4, v117
	v_mov_b32_e32 v93, v5
	s_waitcnt lgkmcnt(1)
	v_pk_mul_f32 v[4:5], v[84:85], v[4:5] op_sel_hi:[1,0]
	v_pk_fma_f32 v[90:91], v[84:85], v[116:117], v[4:5] op_sel:[0,0,1] op_sel_hi:[1,1,0] neg_lo:[0,0,1] neg_hi:[0,0,1]
	v_pk_fma_f32 v[4:5], v[84:85], v[116:117], v[4:5] op_sel:[0,0,1] op_sel_hi:[1,0,0]
	s_waitcnt vmcnt(1)
	v_mov_b32_e32 v4, v127
	v_mov_b32_e32 v91, v5
	v_pk_mul_f32 v[4:5], v[86:87], v[4:5] op_sel_hi:[1,0]
	s_waitcnt vmcnt(0)
	v_pk_fma_f32 v[84:85], v[86:87], v[126:127], v[4:5] op_sel:[0,0,1] op_sel_hi:[1,1,0] neg_lo:[0,0,1] neg_hi:[0,0,1]
	v_pk_fma_f32 v[4:5], v[86:87], v[126:127], v[4:5] op_sel:[0,0,1] op_sel_hi:[1,0,0]
	v_pk_add_f32 v[2:3], v[2:3], v[92:93]
	v_mov_b32_e32 v4, v125
	v_pk_add_f32 v[2:3], v[2:3], v[90:91]
	v_mov_b32_e32 v85, v5
	s_waitcnt lgkmcnt(0)
	v_pk_mul_f32 v[4:5], v[88:89], v[4:5] op_sel_hi:[1,0]
	v_pk_add_f32 v[2:3], v[2:3], v[84:85]
	v_pk_fma_f32 v[84:85], v[88:89], v[124:125], v[4:5] op_sel:[0,0,1] op_sel_hi:[1,1,0] neg_lo:[0,0,1] neg_hi:[0,0,1]
	v_pk_fma_f32 v[4:5], v[88:89], v[124:125], v[4:5] op_sel:[0,0,1] op_sel_hi:[1,0,0]
	v_mov_b32_e32 v85, v5
	v_pk_add_f32 v[2:3], v[2:3], v[84:85]
	v_pk_add_f32 v[2:3], v[80:81], v[2:3] neg_lo:[0,1] neg_hi:[0,1]
	buffer_store_dword v3, off, s[0:3], 0 offset:124
	buffer_store_dword v2, off, s[0:3], 0 offset:120
	s_and_saveexec_b64 s[4:5], vcc
	s_cbranch_execz .LBB36_207
; %bb.206:
	buffer_load_dword v2, off, s[0:3], 0 offset:112
	buffer_load_dword v3, off, s[0:3], 0 offset:116
	s_waitcnt vmcnt(0)
	ds_write_b64 v1, v[2:3]
	buffer_store_dword v82, off, s[0:3], 0 offset:112
	buffer_store_dword v82, off, s[0:3], 0 offset:116
.LBB36_207:
	s_or_b64 exec, exec, s[4:5]
	s_waitcnt lgkmcnt(0)
	; wave barrier
	s_waitcnt lgkmcnt(0)
	ds_read2_b64 v[2:5], v82 offset0:53 offset1:54
	buffer_load_dword v80, off, s[0:3], 0 offset:112
	buffer_load_dword v81, off, s[0:3], 0 offset:116
	;; [unrolled: 1-line block ×16, first 2 shown]
	v_cmp_lt_u32_e32 vcc, 13, v0
	s_waitcnt vmcnt(12) lgkmcnt(0)
	v_mul_f32_e32 v84, v2, v112
	v_fmac_f32_e32 v84, v3, v83
	s_waitcnt vmcnt(10)
	v_mul_f32_e32 v85, v4, v116
	v_add_f32_e32 v84, 0, v84
	v_fmac_f32_e32 v85, v5, v114
	v_add_f32_e32 v88, v84, v85
	ds_read2_b64 v[84:87], v82 offset0:55 offset1:56
	v_mul_f32_e32 v3, v3, v112
	v_fma_f32 v2, v2, v83, -v3
	v_mul_f32_e32 v3, v5, v116
	v_add_f32_e32 v2, 0, v2
	s_waitcnt vmcnt(8) lgkmcnt(0)
	v_mul_f32_e32 v89, v84, v135
	v_fmac_f32_e32 v89, v85, v134
	v_add_f32_e32 v88, v88, v89
	s_waitcnt vmcnt(6)
	v_mul_f32_e32 v89, v86, v137
	v_fmac_f32_e32 v89, v87, v136
	v_add_f32_e32 v92, v88, v89
	ds_read2_b64 v[88:91], v82 offset0:57 offset1:58
	v_fma_f32 v3, v4, v114, -v3
	v_add_f32_e32 v2, v2, v3
	v_mul_f32_e32 v3, v85, v135
	v_fma_f32 v3, v84, v134, -v3
	s_waitcnt vmcnt(4) lgkmcnt(0)
	v_mul_f32_e32 v93, v88, v139
	v_fmac_f32_e32 v93, v89, v138
	v_add_f32_e32 v92, v92, v93
	s_waitcnt vmcnt(2)
	v_mul_f32_e32 v93, v90, v141
	v_fmac_f32_e32 v93, v91, v140
	v_add_f32_e32 v96, v92, v93
	ds_read2_b64 v[92:95], v82 offset0:59 offset1:60
	buffer_load_dword v144, off, s[0:3], 0 offset:176
	buffer_load_dword v145, off, s[0:3], 0 offset:180
	v_add_f32_e32 v2, v2, v3
	v_mul_f32_e32 v3, v87, v137
	v_fma_f32 v3, v86, v136, -v3
	s_waitcnt vmcnt(2) lgkmcnt(0)
	v_mul_f32_e32 v97, v92, v143
	v_fmac_f32_e32 v97, v93, v142
	v_add_f32_e32 v96, v96, v97
	v_add_f32_e32 v2, v2, v3
	v_mul_f32_e32 v3, v89, v139
	v_fma_f32 v3, v88, v138, -v3
	v_add_f32_e32 v2, v2, v3
	v_mul_f32_e32 v3, v91, v141
	v_fma_f32 v3, v90, v140, -v3
	;; [unrolled: 3-line block ×3, first 2 shown]
	v_add_f32_e32 v2, v2, v3
	s_waitcnt vmcnt(0)
	v_mul_f32_e32 v97, v94, v145
	v_fmac_f32_e32 v97, v95, v144
	v_add_f32_e32 v100, v96, v97
	ds_read2_b64 v[96:99], v82 offset0:61 offset1:62
	buffer_load_dword v146, off, s[0:3], 0 offset:184
	buffer_load_dword v147, off, s[0:3], 0 offset:188
	;; [unrolled: 1-line block ×4, first 2 shown]
	v_mul_f32_e32 v3, v95, v145
	v_fma_f32 v3, v94, v144, -v3
	v_add_f32_e32 v2, v2, v3
	s_waitcnt vmcnt(2) lgkmcnt(0)
	v_mul_f32_e32 v101, v96, v147
	v_fmac_f32_e32 v101, v97, v146
	v_add_f32_e32 v100, v100, v101
	s_waitcnt vmcnt(0)
	v_mul_f32_e32 v101, v98, v149
	v_fmac_f32_e32 v101, v99, v148
	v_add_f32_e32 v104, v100, v101
	ds_read2_b64 v[100:103], v82 offset0:63 offset1:64
	buffer_load_dword v150, off, s[0:3], 0 offset:200
	buffer_load_dword v151, off, s[0:3], 0 offset:204
	;; [unrolled: 1-line block ×4, first 2 shown]
	v_mul_f32_e32 v3, v97, v147
	v_fma_f32 v3, v96, v146, -v3
	v_add_f32_e32 v2, v2, v3
	v_mul_f32_e32 v3, v99, v149
	v_fma_f32 v3, v98, v148, -v3
	v_add_f32_e32 v2, v2, v3
	s_waitcnt vmcnt(2) lgkmcnt(0)
	v_mul_f32_e32 v105, v100, v151
	v_fmac_f32_e32 v105, v101, v150
	v_add_f32_e32 v104, v104, v105
	s_waitcnt vmcnt(0)
	v_mul_f32_e32 v105, v102, v153
	v_fmac_f32_e32 v105, v103, v152
	v_add_f32_e32 v113, v104, v105
	ds_read2_b64 v[104:107], v82 offset0:65 offset1:66
	buffer_load_dword v154, off, s[0:3], 0 offset:216
	buffer_load_dword v155, off, s[0:3], 0 offset:220
	;; [unrolled: 1-line block ×6, first 2 shown]
	ds_read2_b64 v[108:111], v82 offset0:67 offset1:68
	buffer_load_dword v121, off, s[0:3], 0 offset:244
	buffer_load_dword v120, off, s[0:3], 0 offset:240
	;; [unrolled: 1-line block ×14, first 2 shown]
	v_mul_f32_e32 v3, v101, v151
	v_fma_f32 v3, v100, v150, -v3
	v_add_f32_e32 v2, v2, v3
	v_mul_f32_e32 v3, v103, v153
	v_fma_f32 v3, v102, v152, -v3
	v_add_f32_e32 v112, v2, v3
	s_waitcnt vmcnt(18) lgkmcnt(1)
	v_mul_f32_e32 v115, v104, v155
	s_waitcnt vmcnt(15)
	v_mov_b32_e32 v92, v119
	v_mul_f32_e32 v2, v105, v155
	s_waitcnt lgkmcnt(0)
	v_pk_mul_f32 v[92:93], v[108:109], v[92:93] op_sel_hi:[1,0]
	v_fmac_f32_e32 v115, v105, v154
	v_mul_f32_e32 v117, v106, v157
	v_fma_f32 v114, v104, v154, -v2
	v_mul_f32_e32 v2, v107, v157
	s_waitcnt vmcnt(14)
	v_pk_fma_f32 v[94:95], v[108:109], v[118:119], v[92:93] op_sel:[0,0,1] op_sel_hi:[1,1,0] neg_lo:[0,0,1] neg_hi:[0,0,1]
	v_pk_fma_f32 v[92:93], v[108:109], v[118:119], v[92:93] op_sel:[0,0,1] op_sel_hi:[1,0,0]
	v_fmac_f32_e32 v117, v107, v156
	v_fma_f32 v116, v106, v156, -v2
	ds_read2_b64 v[2:5], v82 offset0:69 offset1:70
	ds_read2_b64 v[84:87], v82 offset0:71 offset1:72
	;; [unrolled: 1-line block ×3, first 2 shown]
	v_pk_add_f32 v[82:83], v[112:113], v[114:115]
	s_waitcnt vmcnt(13)
	v_mov_b32_e32 v92, v121
	v_pk_add_f32 v[82:83], v[82:83], v[116:117]
	v_mov_b32_e32 v95, v93
	v_pk_mul_f32 v[92:93], v[110:111], v[92:93] op_sel_hi:[1,0]
	v_pk_add_f32 v[82:83], v[82:83], v[94:95]
	s_waitcnt vmcnt(12)
	v_pk_fma_f32 v[94:95], v[110:111], v[120:121], v[92:93] op_sel:[0,0,1] op_sel_hi:[1,1,0] neg_lo:[0,0,1] neg_hi:[0,0,1]
	v_pk_fma_f32 v[92:93], v[110:111], v[120:121], v[92:93] op_sel:[0,0,1] op_sel_hi:[1,0,0]
	s_waitcnt vmcnt(11)
	v_mov_b32_e32 v92, v123
	v_mov_b32_e32 v95, v93
	s_waitcnt lgkmcnt(2)
	v_pk_mul_f32 v[92:93], v[2:3], v[92:93] op_sel_hi:[1,0]
	v_pk_add_f32 v[82:83], v[82:83], v[94:95]
	s_waitcnt vmcnt(10)
	v_pk_fma_f32 v[94:95], v[2:3], v[122:123], v[92:93] op_sel:[0,0,1] op_sel_hi:[1,1,0] neg_lo:[0,0,1] neg_hi:[0,0,1]
	v_pk_fma_f32 v[2:3], v[2:3], v[122:123], v[92:93] op_sel:[0,0,1] op_sel_hi:[1,0,0]
	v_mov_b32_e32 v95, v3
	v_pk_add_f32 v[2:3], v[82:83], v[94:95]
	s_waitcnt vmcnt(9)
	v_mov_b32_e32 v82, v125
	v_pk_mul_f32 v[82:83], v[4:5], v[82:83] op_sel_hi:[1,0]
	s_waitcnt vmcnt(8)
	v_pk_fma_f32 v[92:93], v[4:5], v[124:125], v[82:83] op_sel:[0,0,1] op_sel_hi:[1,1,0] neg_lo:[0,0,1] neg_hi:[0,0,1]
	v_pk_fma_f32 v[4:5], v[4:5], v[124:125], v[82:83] op_sel:[0,0,1] op_sel_hi:[1,0,0]
	s_waitcnt vmcnt(7)
	v_mov_b32_e32 v4, v127
	v_mov_b32_e32 v93, v5
	s_waitcnt lgkmcnt(1)
	v_pk_mul_f32 v[4:5], v[84:85], v[4:5] op_sel_hi:[1,0]
	s_waitcnt vmcnt(6)
	v_pk_fma_f32 v[82:83], v[84:85], v[126:127], v[4:5] op_sel:[0,0,1] op_sel_hi:[1,1,0] neg_lo:[0,0,1] neg_hi:[0,0,1]
	v_pk_fma_f32 v[4:5], v[84:85], v[126:127], v[4:5] op_sel:[0,0,1] op_sel_hi:[1,0,0]
	s_waitcnt vmcnt(5)
	v_mov_b32_e32 v4, v129
	v_pk_add_f32 v[2:3], v[2:3], v[92:93]
	v_mov_b32_e32 v83, v5
	v_pk_mul_f32 v[4:5], v[86:87], v[4:5] op_sel_hi:[1,0]
	v_pk_add_f32 v[2:3], v[2:3], v[82:83]
	s_waitcnt vmcnt(4)
	v_pk_fma_f32 v[82:83], v[86:87], v[128:129], v[4:5] op_sel:[0,0,1] op_sel_hi:[1,1,0] neg_lo:[0,0,1] neg_hi:[0,0,1]
	v_pk_fma_f32 v[4:5], v[86:87], v[128:129], v[4:5] op_sel:[0,0,1] op_sel_hi:[1,0,0]
	s_waitcnt vmcnt(3)
	v_mov_b32_e32 v4, v131
	v_mov_b32_e32 v83, v5
	s_waitcnt lgkmcnt(0)
	v_pk_mul_f32 v[4:5], v[88:89], v[4:5] op_sel_hi:[1,0]
	v_pk_add_f32 v[2:3], v[2:3], v[82:83]
	s_waitcnt vmcnt(2)
	v_pk_fma_f32 v[82:83], v[88:89], v[130:131], v[4:5] op_sel:[0,0,1] op_sel_hi:[1,1,0] neg_lo:[0,0,1] neg_hi:[0,0,1]
	v_pk_fma_f32 v[4:5], v[88:89], v[130:131], v[4:5] op_sel:[0,0,1] op_sel_hi:[1,0,0]
	s_waitcnt vmcnt(1)
	v_mov_b32_e32 v4, v133
	v_mov_b32_e32 v83, v5
	v_pk_mul_f32 v[4:5], v[90:91], v[4:5] op_sel_hi:[1,0]
	v_pk_add_f32 v[2:3], v[2:3], v[82:83]
	s_waitcnt vmcnt(0)
	v_pk_fma_f32 v[82:83], v[90:91], v[132:133], v[4:5] op_sel:[0,0,1] op_sel_hi:[1,1,0] neg_lo:[0,0,1] neg_hi:[0,0,1]
	v_pk_fma_f32 v[4:5], v[90:91], v[132:133], v[4:5] op_sel:[0,0,1] op_sel_hi:[1,0,0]
	v_mov_b32_e32 v83, v5
	v_pk_add_f32 v[2:3], v[2:3], v[82:83]
	v_pk_add_f32 v[2:3], v[80:81], v[2:3] neg_lo:[0,1] neg_hi:[0,1]
	buffer_store_dword v3, off, s[0:3], 0 offset:116
	buffer_store_dword v2, off, s[0:3], 0 offset:112
	s_and_saveexec_b64 s[4:5], vcc
	s_cbranch_execz .LBB36_209
; %bb.208:
	buffer_load_dword v2, off, s[0:3], 0 offset:104
	buffer_load_dword v3, off, s[0:3], 0 offset:108
	v_mov_b32_e32 v4, 0
	buffer_store_dword v4, off, s[0:3], 0 offset:104
	buffer_store_dword v4, off, s[0:3], 0 offset:108
	s_waitcnt vmcnt(2)
	ds_write_b64 v1, v[2:3]
.LBB36_209:
	s_or_b64 exec, exec, s[4:5]
	s_waitcnt lgkmcnt(0)
	; wave barrier
	s_waitcnt lgkmcnt(0)
	buffer_load_dword v3, off, s[0:3], 0 offset:116
	buffer_load_dword v126, off, s[0:3], 0 offset:124
	;; [unrolled: 1-line block ×32, first 2 shown]
	v_mov_b32_e32 v2, 0
	buffer_load_dword v113, off, s[0:3], 0 offset:260
	buffer_load_dword v112, off, s[0:3], 0 offset:256
	;; [unrolled: 1-line block ×13, first 2 shown]
	ds_read_b128 v[80:83], v2 offset:416
	ds_read_b128 v[84:87], v2 offset:432
	;; [unrolled: 1-line block ×8, first 2 shown]
	v_cmp_lt_u32_e32 vcc, 12, v0
	s_waitcnt vmcnt(44) lgkmcnt(7)
	v_mul_f32_e32 v120, v80, v3
	s_waitcnt vmcnt(43)
	v_mul_f32_e32 v127, v82, v126
	s_waitcnt vmcnt(42) lgkmcnt(6)
	v_mul_f32_e32 v128, v84, v130
	s_waitcnt vmcnt(41)
	v_mul_f32_e32 v129, v86, v132
	;; [unrolled: 4-line block ×6, first 2 shown]
	s_waitcnt vmcnt(32) lgkmcnt(1)
	v_mul_f32_e32 v166, v104, v142
	s_waitcnt vmcnt(31)
	v_fmac_f32_e32 v120, v81, v143
	s_waitcnt vmcnt(30)
	v_fmac_f32_e32 v127, v83, v144
	v_add_f32_e32 v120, 0, v120
	s_waitcnt vmcnt(29)
	v_fmac_f32_e32 v128, v85, v145
	v_add_f32_e32 v120, v120, v127
	;; [unrolled: 3-line block ×12, first 2 shown]
	v_add_f32_e32 v127, v120, v166
	buffer_load_dword v129, off, s[0:3], 0 offset:276
	buffer_load_dword v128, off, s[0:3], 0 offset:272
	;; [unrolled: 1-line block ×3, first 2 shown]
	v_mul_f32_e32 v3, v81, v3
	v_fma_f32 v3, v80, v143, -v3
	v_mul_f32_e32 v80, v83, v126
	v_add_f32_e32 v3, 0, v3
	v_fma_f32 v80, v82, v144, -v80
	v_add_f32_e32 v3, v3, v80
	v_mul_f32_e32 v80, v85, v130
	v_fma_f32 v80, v84, v145, -v80
	v_add_f32_e32 v3, v3, v80
	v_mul_f32_e32 v80, v87, v132
	;; [unrolled: 3-line block ×11, first 2 shown]
	v_fma_f32 v80, v104, v155, -v80
	s_waitcnt vmcnt(9)
	v_mov_b32_e32 v96, v119
	v_mul_f32_e32 v131, v106, v156
	v_add_f32_e32 v126, v3, v80
	v_mul_f32_e32 v3, v107, v156
	s_waitcnt lgkmcnt(0)
	v_pk_mul_f32 v[96:97], v[110:111], v[96:97] op_sel_hi:[1,0]
	v_fmac_f32_e32 v131, v107, v157
	v_mul_f32_e32 v133, v108, v158
	v_fma_f32 v130, v106, v157, -v3
	v_mul_f32_e32 v3, v109, v158
	ds_read_b128 v[80:83], v2 offset:544
	ds_read_b128 v[84:87], v2 offset:560
	;; [unrolled: 1-line block ×3, first 2 shown]
	ds_read_b64 v[92:93], v2 offset:592
	s_waitcnt vmcnt(8)
	v_pk_fma_f32 v[98:99], v[110:111], v[118:119], v[96:97] op_sel:[0,0,1] op_sel_hi:[1,1,0] neg_lo:[0,0,1] neg_hi:[0,0,1]
	v_pk_fma_f32 v[96:97], v[110:111], v[118:119], v[96:97] op_sel:[0,0,1] op_sel_hi:[1,0,0]
	v_fmac_f32_e32 v133, v109, v159
	v_fma_f32 v132, v108, v159, -v3
	v_pk_add_f32 v[94:95], v[126:127], v[130:131]
	v_mov_b32_e32 v96, v117
	v_pk_add_f32 v[94:95], v[94:95], v[132:133]
	v_mov_b32_e32 v99, v97
	s_waitcnt lgkmcnt(3)
	v_pk_mul_f32 v[96:97], v[80:81], v[96:97] op_sel_hi:[1,0]
	v_pk_add_f32 v[94:95], v[94:95], v[98:99]
	v_pk_fma_f32 v[98:99], v[80:81], v[116:117], v[96:97] op_sel:[0,0,1] op_sel_hi:[1,1,0] neg_lo:[0,0,1] neg_hi:[0,0,1]
	v_pk_fma_f32 v[80:81], v[80:81], v[116:117], v[96:97] op_sel:[0,0,1] op_sel_hi:[1,0,0]
	v_mov_b32_e32 v99, v81
	v_pk_add_f32 v[80:81], v[94:95], v[98:99]
	v_mov_b32_e32 v94, v115
	v_pk_mul_f32 v[94:95], v[82:83], v[94:95] op_sel_hi:[1,0]
	v_pk_fma_f32 v[96:97], v[82:83], v[114:115], v[94:95] op_sel:[0,0,1] op_sel_hi:[1,1,0] neg_lo:[0,0,1] neg_hi:[0,0,1]
	v_pk_fma_f32 v[82:83], v[82:83], v[114:115], v[94:95] op_sel:[0,0,1] op_sel_hi:[1,0,0]
	v_mov_b32_e32 v82, v113
	v_mov_b32_e32 v97, v83
	s_waitcnt lgkmcnt(2)
	v_pk_mul_f32 v[82:83], v[84:85], v[82:83] op_sel_hi:[1,0]
	v_pk_fma_f32 v[94:95], v[84:85], v[112:113], v[82:83] op_sel:[0,0,1] op_sel_hi:[1,1,0] neg_lo:[0,0,1] neg_hi:[0,0,1]
	v_pk_fma_f32 v[82:83], v[84:85], v[112:113], v[82:83] op_sel:[0,0,1] op_sel_hi:[1,0,0]
	s_waitcnt vmcnt(7)
	v_mov_b32_e32 v82, v121
	v_mov_b32_e32 v95, v83
	v_pk_mul_f32 v[82:83], v[86:87], v[82:83] op_sel_hi:[1,0]
	v_pk_add_f32 v[80:81], v[80:81], v[96:97]
	v_pk_add_f32 v[80:81], v[80:81], v[94:95]
	s_waitcnt vmcnt(0)
	v_pk_fma_f32 v[84:85], v[86:87], v[120:121], v[82:83] op_sel:[0,0,1] op_sel_hi:[1,1,0] neg_lo:[0,0,1] neg_hi:[0,0,1]
	v_pk_fma_f32 v[82:83], v[86:87], v[120:121], v[82:83] op_sel:[0,0,1] op_sel_hi:[1,0,0]
	v_mov_b32_e32 v82, v129
	v_mov_b32_e32 v85, v83
	s_waitcnt lgkmcnt(1)
	v_pk_mul_f32 v[82:83], v[88:89], v[82:83] op_sel_hi:[1,0]
	v_pk_add_f32 v[80:81], v[80:81], v[84:85]
	v_pk_fma_f32 v[84:85], v[88:89], v[128:129], v[82:83] op_sel:[0,0,1] op_sel_hi:[1,1,0] neg_lo:[0,0,1] neg_hi:[0,0,1]
	v_pk_fma_f32 v[82:83], v[88:89], v[128:129], v[82:83] op_sel:[0,0,1] op_sel_hi:[1,0,0]
	v_mov_b32_e32 v82, v125
	v_mov_b32_e32 v85, v83
	v_pk_mul_f32 v[82:83], v[90:91], v[82:83] op_sel_hi:[1,0]
	v_pk_add_f32 v[80:81], v[80:81], v[84:85]
	v_pk_fma_f32 v[84:85], v[90:91], v[124:125], v[82:83] op_sel:[0,0,1] op_sel_hi:[1,1,0] neg_lo:[0,0,1] neg_hi:[0,0,1]
	v_pk_fma_f32 v[82:83], v[90:91], v[124:125], v[82:83] op_sel:[0,0,1] op_sel_hi:[1,0,0]
	v_mov_b32_e32 v82, v123
	v_mov_b32_e32 v85, v83
	s_waitcnt lgkmcnt(0)
	v_pk_mul_f32 v[82:83], v[92:93], v[82:83] op_sel_hi:[1,0]
	v_pk_add_f32 v[80:81], v[80:81], v[84:85]
	v_pk_fma_f32 v[84:85], v[92:93], v[122:123], v[82:83] op_sel:[0,0,1] op_sel_hi:[1,1,0] neg_lo:[0,0,1] neg_hi:[0,0,1]
	v_pk_fma_f32 v[82:83], v[92:93], v[122:123], v[82:83] op_sel:[0,0,1] op_sel_hi:[1,0,0]
	v_mov_b32_e32 v85, v83
	v_pk_add_f32 v[80:81], v[80:81], v[84:85]
	v_pk_add_f32 v[4:5], v[4:5], v[80:81] neg_lo:[0,1] neg_hi:[0,1]
	buffer_store_dword v5, off, s[0:3], 0 offset:108
	buffer_store_dword v4, off, s[0:3], 0 offset:104
	s_and_saveexec_b64 s[4:5], vcc
	s_cbranch_execz .LBB36_211
; %bb.210:
	buffer_load_dword v4, off, s[0:3], 0 offset:96
	buffer_load_dword v5, off, s[0:3], 0 offset:100
	s_waitcnt vmcnt(0)
	ds_write_b64 v1, v[4:5]
	buffer_store_dword v2, off, s[0:3], 0 offset:96
	buffer_store_dword v2, off, s[0:3], 0 offset:100
.LBB36_211:
	s_or_b64 exec, exec, s[4:5]
	s_waitcnt lgkmcnt(0)
	; wave barrier
	s_waitcnt lgkmcnt(0)
	buffer_load_dword v3, off, s[0:3], 0 offset:108
	buffer_load_dword v4, off, s[0:3], 0 offset:116
	;; [unrolled: 1-line block ×34, first 2 shown]
	ds_read2_b64 v[80:83], v2 offset0:51 offset1:52
	ds_read2_b64 v[84:87], v2 offset0:53 offset1:54
	;; [unrolled: 1-line block ×8, first 2 shown]
	buffer_load_dword v115, off, s[0:3], 0 offset:252
	buffer_load_dword v114, off, s[0:3], 0 offset:248
	;; [unrolled: 1-line block ×9, first 2 shown]
	v_cmp_lt_u32_e32 vcc, 11, v0
	s_waitcnt vmcnt(42) lgkmcnt(7)
	v_mul_f32_e32 v120, v80, v3
	s_waitcnt vmcnt(41)
	v_mul_f32_e32 v124, v82, v4
	s_waitcnt vmcnt(40) lgkmcnt(6)
	v_mul_f32_e32 v125, v84, v5
	s_waitcnt vmcnt(39)
	v_mul_f32_e32 v126, v86, v128
	;; [unrolled: 4-line block ×6, first 2 shown]
	s_waitcnt vmcnt(30) lgkmcnt(1)
	v_mul_f32_e32 v164, v104, v142
	v_mul_f32_e32 v3, v81, v3
	s_waitcnt vmcnt(28)
	v_fmac_f32_e32 v120, v81, v144
	s_waitcnt vmcnt(27)
	v_fmac_f32_e32 v124, v83, v145
	v_add_f32_e32 v120, 0, v120
	s_waitcnt vmcnt(26)
	v_fmac_f32_e32 v125, v85, v146
	v_add_f32_e32 v120, v120, v124
	;; [unrolled: 3-line block ×12, first 2 shown]
	v_add_f32_e32 v129, v120, v164
	buffer_load_dword v125, off, s[0:3], 0 offset:276
	buffer_load_dword v124, off, s[0:3], 0 offset:272
	;; [unrolled: 1-line block ×7, first 2 shown]
	v_fma_f32 v3, v80, v144, -v3
	v_mul_f32_e32 v4, v83, v4
	v_add_f32_e32 v3, 0, v3
	v_fma_f32 v4, v82, v145, -v4
	v_add_f32_e32 v3, v3, v4
	v_mul_f32_e32 v4, v85, v5
	v_fma_f32 v4, v84, v146, -v4
	v_add_f32_e32 v3, v3, v4
	v_mul_f32_e32 v4, v87, v128
	v_fma_f32 v4, v86, v147, -v4
	v_add_f32_e32 v3, v3, v4
	v_mul_f32_e32 v4, v89, v130
	v_fma_f32 v4, v88, v148, -v4
	v_add_f32_e32 v3, v3, v4
	v_mul_f32_e32 v4, v91, v132
	v_fma_f32 v4, v90, v149, -v4
	v_add_f32_e32 v3, v3, v4
	v_mul_f32_e32 v4, v93, v136
	v_fma_f32 v4, v92, v150, -v4
	v_add_f32_e32 v3, v3, v4
	v_mul_f32_e32 v4, v95, v137
	v_fma_f32 v4, v94, v151, -v4
	v_add_f32_e32 v3, v3, v4
	v_mul_f32_e32 v4, v97, v138
	v_fma_f32 v4, v96, v152, -v4
	v_add_f32_e32 v3, v3, v4
	v_mul_f32_e32 v4, v99, v139
	v_fma_f32 v4, v98, v153, -v4
	v_add_f32_e32 v3, v3, v4
	v_mul_f32_e32 v4, v101, v140
	v_fma_f32 v4, v100, v154, -v4
	v_add_f32_e32 v3, v3, v4
	v_mul_f32_e32 v4, v103, v141
	v_fma_f32 v4, v102, v155, -v4
	v_add_f32_e32 v3, v3, v4
	v_mul_f32_e32 v4, v105, v142
	v_fma_f32 v4, v104, v156, -v4
	v_add_f32_e32 v3, v3, v4
	v_mul_f32_e32 v4, v107, v143
	s_waitcnt vmcnt(22)
	v_fma_f32 v4, v106, v157, -v4
	v_add_f32_e32 v128, v3, v4
	s_waitcnt vmcnt(21) lgkmcnt(0)
	v_mul_f32_e32 v3, v109, v158
	s_waitcnt vmcnt(20)
	v_fma_f32 v130, v108, v159, -v3
	s_waitcnt vmcnt(19)
	v_mul_f32_e32 v3, v111, v160
	v_mul_f32_e32 v165, v106, v143
	s_waitcnt vmcnt(18)
	v_fma_f32 v132, v110, v161, -v3
	ds_read2_b64 v[80:83], v2 offset0:67 offset1:68
	ds_read2_b64 v[84:87], v2 offset0:69 offset1:70
	;; [unrolled: 1-line block ×4, first 2 shown]
	v_fmac_f32_e32 v165, v107, v157
	v_mul_f32_e32 v131, v108, v158
	s_waitcnt vmcnt(11)
	v_mov_b32_e32 v94, v119
	v_add_f32_e32 v129, v129, v165
	v_fmac_f32_e32 v131, v109, v159
	v_mul_f32_e32 v133, v110, v160
	s_waitcnt lgkmcnt(3)
	v_pk_mul_f32 v[94:95], v[80:81], v[94:95] op_sel_hi:[1,0]
	v_fmac_f32_e32 v133, v111, v161
	v_pk_add_f32 v[92:93], v[128:129], v[130:131]
	s_waitcnt vmcnt(10)
	v_pk_fma_f32 v[96:97], v[80:81], v[118:119], v[94:95] op_sel:[0,0,1] op_sel_hi:[1,1,0] neg_lo:[0,0,1] neg_hi:[0,0,1]
	v_pk_fma_f32 v[80:81], v[80:81], v[118:119], v[94:95] op_sel:[0,0,1] op_sel_hi:[1,0,0]
	v_pk_add_f32 v[92:93], v[92:93], v[132:133]
	v_mov_b32_e32 v97, v81
	v_pk_add_f32 v[80:81], v[92:93], v[96:97]
	v_mov_b32_e32 v92, v117
	v_pk_mul_f32 v[92:93], v[82:83], v[92:93] op_sel_hi:[1,0]
	v_pk_fma_f32 v[94:95], v[82:83], v[116:117], v[92:93] op_sel:[0,0,1] op_sel_hi:[1,1,0] neg_lo:[0,0,1] neg_hi:[0,0,1]
	v_pk_fma_f32 v[82:83], v[82:83], v[116:117], v[92:93] op_sel:[0,0,1] op_sel_hi:[1,0,0]
	v_mov_b32_e32 v82, v115
	v_mov_b32_e32 v95, v83
	s_waitcnt lgkmcnt(2)
	v_pk_mul_f32 v[82:83], v[84:85], v[82:83] op_sel_hi:[1,0]
	v_pk_fma_f32 v[92:93], v[84:85], v[114:115], v[82:83] op_sel:[0,0,1] op_sel_hi:[1,1,0] neg_lo:[0,0,1] neg_hi:[0,0,1]
	v_pk_fma_f32 v[82:83], v[84:85], v[114:115], v[82:83] op_sel:[0,0,1] op_sel_hi:[1,0,0]
	s_waitcnt vmcnt(9)
	v_mov_b32_e32 v82, v121
	v_mov_b32_e32 v93, v83
	v_pk_mul_f32 v[82:83], v[86:87], v[82:83] op_sel_hi:[1,0]
	v_pk_add_f32 v[80:81], v[80:81], v[94:95]
	v_pk_add_f32 v[80:81], v[80:81], v[92:93]
	s_waitcnt vmcnt(2)
	v_pk_fma_f32 v[84:85], v[86:87], v[120:121], v[82:83] op_sel:[0,0,1] op_sel_hi:[1,1,0] neg_lo:[0,0,1] neg_hi:[0,0,1]
	v_pk_fma_f32 v[82:83], v[86:87], v[120:121], v[82:83] op_sel:[0,0,1] op_sel_hi:[1,0,0]
	v_mov_b32_e32 v82, v127
	v_mov_b32_e32 v85, v83
	s_waitcnt lgkmcnt(1)
	v_pk_mul_f32 v[82:83], v[88:89], v[82:83] op_sel_hi:[1,0]
	v_pk_add_f32 v[80:81], v[80:81], v[84:85]
	v_pk_fma_f32 v[84:85], v[88:89], v[126:127], v[82:83] op_sel:[0,0,1] op_sel_hi:[1,1,0] neg_lo:[0,0,1] neg_hi:[0,0,1]
	v_pk_fma_f32 v[82:83], v[88:89], v[126:127], v[82:83] op_sel:[0,0,1] op_sel_hi:[1,0,0]
	v_mov_b32_e32 v82, v125
	v_mov_b32_e32 v85, v83
	v_pk_mul_f32 v[82:83], v[90:91], v[82:83] op_sel_hi:[1,0]
	v_pk_add_f32 v[80:81], v[80:81], v[84:85]
	v_pk_fma_f32 v[84:85], v[90:91], v[124:125], v[82:83] op_sel:[0,0,1] op_sel_hi:[1,1,0] neg_lo:[0,0,1] neg_hi:[0,0,1]
	v_pk_fma_f32 v[82:83], v[90:91], v[124:125], v[82:83] op_sel:[0,0,1] op_sel_hi:[1,0,0]
	v_mov_b32_e32 v82, v123
	v_mov_b32_e32 v85, v83
	s_waitcnt lgkmcnt(0)
	v_pk_mul_f32 v[82:83], v[2:3], v[82:83] op_sel_hi:[1,0]
	v_pk_add_f32 v[80:81], v[80:81], v[84:85]
	v_pk_fma_f32 v[84:85], v[2:3], v[122:123], v[82:83] op_sel:[0,0,1] op_sel_hi:[1,1,0] neg_lo:[0,0,1] neg_hi:[0,0,1]
	v_pk_fma_f32 v[2:3], v[2:3], v[122:123], v[82:83] op_sel:[0,0,1] op_sel_hi:[1,0,0]
	v_mov_b32_e32 v85, v3
	v_pk_add_f32 v[2:3], v[80:81], v[84:85]
	s_waitcnt vmcnt(1)
	v_mov_b32_e32 v80, v135
	v_pk_mul_f32 v[80:81], v[4:5], v[80:81] op_sel_hi:[1,0]
	s_waitcnt vmcnt(0)
	v_pk_fma_f32 v[82:83], v[4:5], v[134:135], v[80:81] op_sel:[0,0,1] op_sel_hi:[1,1,0] neg_lo:[0,0,1] neg_hi:[0,0,1]
	v_pk_fma_f32 v[4:5], v[4:5], v[134:135], v[80:81] op_sel:[0,0,1] op_sel_hi:[1,0,0]
	v_mov_b32_e32 v83, v5
	v_pk_add_f32 v[2:3], v[2:3], v[82:83]
	v_pk_add_f32 v[2:3], v[112:113], v[2:3] neg_lo:[0,1] neg_hi:[0,1]
	buffer_store_dword v3, off, s[0:3], 0 offset:100
	buffer_store_dword v2, off, s[0:3], 0 offset:96
	s_and_saveexec_b64 s[4:5], vcc
	s_cbranch_execz .LBB36_213
; %bb.212:
	buffer_load_dword v2, off, s[0:3], 0 offset:88
	buffer_load_dword v3, off, s[0:3], 0 offset:92
	v_mov_b32_e32 v4, 0
	buffer_store_dword v4, off, s[0:3], 0 offset:88
	buffer_store_dword v4, off, s[0:3], 0 offset:92
	s_waitcnt vmcnt(2)
	ds_write_b64 v1, v[2:3]
.LBB36_213:
	s_or_b64 exec, exec, s[4:5]
	s_waitcnt lgkmcnt(0)
	; wave barrier
	s_waitcnt lgkmcnt(0)
	buffer_load_dword v5, off, s[0:3], 0 offset:100
	buffer_load_dword v132, off, s[0:3], 0 offset:108
	;; [unrolled: 1-line block ×36, first 2 shown]
	v_mov_b32_e32 v4, 0
	buffer_load_dword v121, off, s[0:3], 0 offset:244
	buffer_load_dword v120, off, s[0:3], 0 offset:240
	;; [unrolled: 1-line block ×5, first 2 shown]
	ds_read_b128 v[80:83], v4 offset:400
	ds_read_b128 v[84:87], v4 offset:416
	;; [unrolled: 1-line block ×8, first 2 shown]
	v_cmp_lt_u32_e32 vcc, 10, v0
	s_waitcnt vmcnt(40) lgkmcnt(7)
	v_mul_f32_e32 v112, v80, v5
	s_waitcnt vmcnt(39)
	v_mul_f32_e32 v113, v82, v132
	s_waitcnt vmcnt(38) lgkmcnt(6)
	v_mul_f32_e32 v114, v84, v134
	s_waitcnt vmcnt(37)
	v_mul_f32_e32 v115, v86, v136
	;; [unrolled: 4-line block ×7, first 2 shown]
	s_waitcnt vmcnt(26) lgkmcnt(0)
	v_mul_f32_e32 v133, v108, v152
	s_waitcnt vmcnt(25)
	v_fmac_f32_e32 v112, v81, v153
	s_waitcnt vmcnt(24)
	v_fmac_f32_e32 v113, v83, v154
	v_add_f32_e32 v112, 0, v112
	s_waitcnt vmcnt(23)
	v_fmac_f32_e32 v114, v85, v155
	v_add_f32_e32 v112, v112, v113
	;; [unrolled: 3-line block ×13, first 2 shown]
	v_add_f32_e32 v116, v112, v130
	buffer_load_dword v127, off, s[0:3], 0 offset:276
	buffer_load_dword v126, off, s[0:3], 0 offset:272
	;; [unrolled: 1-line block ×7, first 2 shown]
	s_waitcnt vmcnt(18)
	v_fmac_f32_e32 v133, v109, v167
	ds_read_b128 v[112:115], v4 offset:528
	v_add_f32_e32 v133, v116, v133
	ds_read_b128 v[116:119], v4 offset:544
	buffer_load_dword v139, off, s[0:3], 0 offset:292
	buffer_load_dword v138, off, s[0:3], 0 offset:288
	;; [unrolled: 1-line block ×4, first 2 shown]
	v_mul_f32_e32 v5, v81, v5
	v_fma_f32 v5, v80, v153, -v5
	v_mul_f32_e32 v80, v83, v132
	v_add_f32_e32 v5, 0, v5
	v_fma_f32 v80, v82, v154, -v80
	v_add_f32_e32 v5, v5, v80
	v_mul_f32_e32 v80, v85, v134
	v_fma_f32 v80, v84, v155, -v80
	v_add_f32_e32 v5, v5, v80
	v_mul_f32_e32 v80, v87, v136
	;; [unrolled: 3-line block ×13, first 2 shown]
	v_fma_f32 v80, v108, v167, -v80
	s_waitcnt vmcnt(13)
	v_mov_b32_e32 v92, v123
	v_mul_f32_e32 v135, v110, v168
	v_add_f32_e32 v132, v5, v80
	v_mul_f32_e32 v5, v111, v168
	s_waitcnt lgkmcnt(1)
	v_pk_mul_f32 v[92:93], v[114:115], v[92:93] op_sel_hi:[1,0]
	v_fmac_f32_e32 v135, v111, v169
	v_mul_f32_e32 v137, v112, v170
	v_fma_f32 v134, v110, v169, -v5
	v_mul_f32_e32 v5, v113, v170
	s_waitcnt vmcnt(12)
	v_pk_fma_f32 v[94:95], v[114:115], v[122:123], v[92:93] op_sel:[0,0,1] op_sel_hi:[1,1,0] neg_lo:[0,0,1] neg_hi:[0,0,1]
	v_pk_fma_f32 v[92:93], v[114:115], v[122:123], v[92:93] op_sel:[0,0,1] op_sel_hi:[1,0,0]
	v_fmac_f32_e32 v137, v113, v171
	v_fma_f32 v136, v112, v171, -v5
	v_pk_add_f32 v[90:91], v[132:133], v[134:135]
	v_mov_b32_e32 v92, v121
	v_pk_add_f32 v[90:91], v[90:91], v[136:137]
	v_mov_b32_e32 v95, v93
	s_waitcnt lgkmcnt(0)
	v_pk_mul_f32 v[92:93], v[116:117], v[92:93] op_sel_hi:[1,0]
	v_pk_add_f32 v[90:91], v[90:91], v[94:95]
	v_pk_fma_f32 v[94:95], v[116:117], v[120:121], v[92:93] op_sel:[0,0,1] op_sel_hi:[1,1,0] neg_lo:[0,0,1] neg_hi:[0,0,1]
	v_pk_fma_f32 v[92:93], v[116:117], v[120:121], v[92:93] op_sel:[0,0,1] op_sel_hi:[1,0,0]
	s_waitcnt vmcnt(11)
	v_mov_b32_e32 v92, v125
	ds_read_b128 v[80:83], v4 offset:560
	ds_read_b128 v[84:87], v4 offset:576
	ds_read_b64 v[88:89], v4 offset:592
	v_mov_b32_e32 v95, v93
	v_pk_mul_f32 v[92:93], v[118:119], v[92:93] op_sel_hi:[1,0]
	v_pk_add_f32 v[90:91], v[90:91], v[94:95]
	s_waitcnt vmcnt(4)
	v_pk_fma_f32 v[94:95], v[118:119], v[124:125], v[92:93] op_sel:[0,0,1] op_sel_hi:[1,1,0] neg_lo:[0,0,1] neg_hi:[0,0,1]
	v_pk_fma_f32 v[92:93], v[118:119], v[124:125], v[92:93] op_sel:[0,0,1] op_sel_hi:[1,0,0]
	v_mov_b32_e32 v92, v131
	v_mov_b32_e32 v95, v93
	s_waitcnt lgkmcnt(2)
	v_pk_mul_f32 v[92:93], v[80:81], v[92:93] op_sel_hi:[1,0]
	v_pk_add_f32 v[90:91], v[90:91], v[94:95]
	v_pk_fma_f32 v[94:95], v[80:81], v[130:131], v[92:93] op_sel:[0,0,1] op_sel_hi:[1,1,0] neg_lo:[0,0,1] neg_hi:[0,0,1]
	v_pk_fma_f32 v[80:81], v[80:81], v[130:131], v[92:93] op_sel:[0,0,1] op_sel_hi:[1,0,0]
	v_mov_b32_e32 v95, v81
	v_pk_add_f32 v[80:81], v[90:91], v[94:95]
	v_mov_b32_e32 v90, v129
	v_pk_mul_f32 v[90:91], v[82:83], v[90:91] op_sel_hi:[1,0]
	v_pk_fma_f32 v[92:93], v[82:83], v[128:129], v[90:91] op_sel:[0,0,1] op_sel_hi:[1,1,0] neg_lo:[0,0,1] neg_hi:[0,0,1]
	v_pk_fma_f32 v[82:83], v[82:83], v[128:129], v[90:91] op_sel:[0,0,1] op_sel_hi:[1,0,0]
	v_mov_b32_e32 v82, v127
	v_mov_b32_e32 v93, v83
	s_waitcnt lgkmcnt(1)
	v_pk_mul_f32 v[82:83], v[84:85], v[82:83] op_sel_hi:[1,0]
	v_pk_fma_f32 v[90:91], v[84:85], v[126:127], v[82:83] op_sel:[0,0,1] op_sel_hi:[1,1,0] neg_lo:[0,0,1] neg_hi:[0,0,1]
	v_pk_fma_f32 v[82:83], v[84:85], v[126:127], v[82:83] op_sel:[0,0,1] op_sel_hi:[1,0,0]
	s_waitcnt vmcnt(1)
	v_mov_b32_e32 v82, v141
	v_mov_b32_e32 v91, v83
	v_pk_mul_f32 v[82:83], v[86:87], v[82:83] op_sel_hi:[1,0]
	s_waitcnt vmcnt(0)
	v_pk_fma_f32 v[84:85], v[86:87], v[140:141], v[82:83] op_sel:[0,0,1] op_sel_hi:[1,1,0] neg_lo:[0,0,1] neg_hi:[0,0,1]
	v_pk_fma_f32 v[82:83], v[86:87], v[140:141], v[82:83] op_sel:[0,0,1] op_sel_hi:[1,0,0]
	v_pk_add_f32 v[80:81], v[80:81], v[92:93]
	v_mov_b32_e32 v82, v139
	v_pk_add_f32 v[80:81], v[80:81], v[90:91]
	v_mov_b32_e32 v85, v83
	s_waitcnt lgkmcnt(0)
	v_pk_mul_f32 v[82:83], v[88:89], v[82:83] op_sel_hi:[1,0]
	v_pk_add_f32 v[80:81], v[80:81], v[84:85]
	v_pk_fma_f32 v[84:85], v[88:89], v[138:139], v[82:83] op_sel:[0,0,1] op_sel_hi:[1,1,0] neg_lo:[0,0,1] neg_hi:[0,0,1]
	v_pk_fma_f32 v[82:83], v[88:89], v[138:139], v[82:83] op_sel:[0,0,1] op_sel_hi:[1,0,0]
	v_mov_b32_e32 v85, v83
	v_pk_add_f32 v[80:81], v[80:81], v[84:85]
	v_pk_add_f32 v[2:3], v[2:3], v[80:81] neg_lo:[0,1] neg_hi:[0,1]
	buffer_store_dword v3, off, s[0:3], 0 offset:92
	buffer_store_dword v2, off, s[0:3], 0 offset:88
	s_and_saveexec_b64 s[4:5], vcc
	s_cbranch_execz .LBB36_215
; %bb.214:
	buffer_load_dword v2, off, s[0:3], 0 offset:80
	buffer_load_dword v3, off, s[0:3], 0 offset:84
	s_waitcnt vmcnt(0)
	ds_write_b64 v1, v[2:3]
	buffer_store_dword v4, off, s[0:3], 0 offset:80
	buffer_store_dword v4, off, s[0:3], 0 offset:84
.LBB36_215:
	s_or_b64 exec, exec, s[4:5]
	s_waitcnt lgkmcnt(0)
	; wave barrier
	s_waitcnt lgkmcnt(0)
	buffer_load_dword v2, off, s[0:3], 0 offset:92
	buffer_load_dword v3, off, s[0:3], 0 offset:100
	buffer_load_dword v5, off, s[0:3], 0 offset:108
	buffer_load_dword v132, off, s[0:3], 0 offset:116
	buffer_load_dword v134, off, s[0:3], 0 offset:124
	buffer_load_dword v136, off, s[0:3], 0 offset:132
	buffer_load_dword v144, off, s[0:3], 0 offset:140
	buffer_load_dword v145, off, s[0:3], 0 offset:148
	buffer_load_dword v146, off, s[0:3], 0 offset:156
	buffer_load_dword v147, off, s[0:3], 0 offset:164
	buffer_load_dword v148, off, s[0:3], 0 offset:172
	buffer_load_dword v149, off, s[0:3], 0 offset:180
	buffer_load_dword v150, off, s[0:3], 0 offset:188
	buffer_load_dword v151, off, s[0:3], 0 offset:196
	buffer_load_dword v152, off, s[0:3], 0 offset:204
	buffer_load_dword v153, off, s[0:3], 0 offset:88
	buffer_load_dword v154, off, s[0:3], 0 offset:96
	buffer_load_dword v155, off, s[0:3], 0 offset:104
	buffer_load_dword v156, off, s[0:3], 0 offset:112
	buffer_load_dword v157, off, s[0:3], 0 offset:120
	buffer_load_dword v158, off, s[0:3], 0 offset:128
	buffer_load_dword v159, off, s[0:3], 0 offset:136
	buffer_load_dword v160, off, s[0:3], 0 offset:144
	buffer_load_dword v161, off, s[0:3], 0 offset:152
	buffer_load_dword v162, off, s[0:3], 0 offset:160
	buffer_load_dword v163, off, s[0:3], 0 offset:168
	buffer_load_dword v164, off, s[0:3], 0 offset:176
	buffer_load_dword v165, off, s[0:3], 0 offset:184
	buffer_load_dword v166, off, s[0:3], 0 offset:192
	buffer_load_dword v167, off, s[0:3], 0 offset:200
	buffer_load_dword v168, off, s[0:3], 0 offset:212
	buffer_load_dword v169, off, s[0:3], 0 offset:208
	buffer_load_dword v170, off, s[0:3], 0 offset:220
	buffer_load_dword v171, off, s[0:3], 0 offset:216
	buffer_load_dword v172, off, s[0:3], 0 offset:228
	buffer_load_dword v173, off, s[0:3], 0 offset:224
	buffer_load_dword v120, off, s[0:3], 0 offset:80
	buffer_load_dword v121, off, s[0:3], 0 offset:84
	ds_read2_b64 v[80:83], v4 offset0:49 offset1:50
	ds_read2_b64 v[84:87], v4 offset0:51 offset1:52
	;; [unrolled: 1-line block ×8, first 2 shown]
	buffer_load_dword v123, off, s[0:3], 0 offset:236
	buffer_load_dword v122, off, s[0:3], 0 offset:232
	;; [unrolled: 1-line block ×4, first 2 shown]
	v_cmp_lt_u32_e32 vcc, 9, v0
	s_waitcnt vmcnt(41) lgkmcnt(7)
	v_mul_f32_e32 v112, v80, v2
	s_waitcnt vmcnt(40)
	v_mul_f32_e32 v113, v82, v3
	s_waitcnt vmcnt(39) lgkmcnt(6)
	v_mul_f32_e32 v114, v84, v5
	s_waitcnt vmcnt(38)
	v_mul_f32_e32 v115, v86, v132
	;; [unrolled: 4-line block ×7, first 2 shown]
	s_waitcnt vmcnt(27) lgkmcnt(0)
	v_mul_f32_e32 v133, v108, v152
	s_waitcnt vmcnt(26)
	v_fmac_f32_e32 v112, v81, v153
	s_waitcnt vmcnt(25)
	v_fmac_f32_e32 v113, v83, v154
	v_add_f32_e32 v112, 0, v112
	s_waitcnt vmcnt(24)
	v_fmac_f32_e32 v114, v85, v155
	v_add_f32_e32 v112, v112, v113
	s_waitcnt vmcnt(23)
	v_fmac_f32_e32 v115, v87, v156
	v_add_f32_e32 v112, v112, v114
	s_waitcnt vmcnt(22)
	v_fmac_f32_e32 v116, v89, v157
	v_add_f32_e32 v112, v112, v115
	s_waitcnt vmcnt(21)
	v_fmac_f32_e32 v117, v91, v158
	v_add_f32_e32 v112, v112, v116
	s_waitcnt vmcnt(20)
	v_fmac_f32_e32 v118, v93, v159
	v_add_f32_e32 v112, v112, v117
	s_waitcnt vmcnt(19)
	v_fmac_f32_e32 v119, v95, v160
	v_add_f32_e32 v112, v112, v118
	s_waitcnt vmcnt(18)
	v_fmac_f32_e32 v126, v97, v161
	v_add_f32_e32 v112, v112, v119
	s_waitcnt vmcnt(17)
	v_fmac_f32_e32 v127, v99, v162
	v_add_f32_e32 v112, v112, v126
	s_waitcnt vmcnt(16)
	v_fmac_f32_e32 v128, v101, v163
	v_add_f32_e32 v112, v112, v127
	s_waitcnt vmcnt(15)
	v_fmac_f32_e32 v129, v103, v164
	v_add_f32_e32 v112, v112, v128
	s_waitcnt vmcnt(14)
	v_fmac_f32_e32 v130, v105, v165
	v_add_f32_e32 v112, v112, v129
	s_waitcnt vmcnt(13)
	v_fmac_f32_e32 v131, v107, v166
	v_add_f32_e32 v112, v112, v130
	v_add_f32_e32 v112, v112, v131
	buffer_load_dword v127, off, s[0:3], 0 offset:260
	buffer_load_dword v126, off, s[0:3], 0 offset:256
	buffer_load_dword v129, off, s[0:3], 0 offset:252
	buffer_load_dword v128, off, s[0:3], 0 offset:248
	buffer_load_dword v131, off, s[0:3], 0 offset:244
	buffer_load_dword v130, off, s[0:3], 0 offset:240
	s_waitcnt vmcnt(18)
	v_fmac_f32_e32 v133, v109, v167
	s_waitcnt vmcnt(17)
	v_mul_f32_e32 v117, v110, v168
	v_add_f32_e32 v116, v112, v133
	s_waitcnt vmcnt(16)
	v_fmac_f32_e32 v117, v111, v169
	ds_read2_b64 v[112:115], v4 offset0:65 offset1:66
	v_add_f32_e32 v133, v116, v117
	ds_read2_b64 v[116:119], v4 offset0:67 offset1:68
	buffer_load_dword v139, off, s[0:3], 0 offset:292
	buffer_load_dword v138, off, s[0:3], 0 offset:288
	;; [unrolled: 1-line block ×6, first 2 shown]
	v_mul_f32_e32 v2, v81, v2
	v_fma_f32 v2, v80, v153, -v2
	v_mul_f32_e32 v3, v83, v3
	v_add_f32_e32 v2, 0, v2
	v_fma_f32 v3, v82, v154, -v3
	v_add_f32_e32 v2, v2, v3
	v_mul_f32_e32 v3, v85, v5
	v_fma_f32 v3, v84, v155, -v3
	v_add_f32_e32 v2, v2, v3
	v_mul_f32_e32 v3, v87, v132
	;; [unrolled: 3-line block ×14, first 2 shown]
	v_fma_f32 v3, v110, v169, -v3
	s_waitcnt vmcnt(15)
	v_mov_b32_e32 v90, v123
	s_waitcnt lgkmcnt(1)
	v_mul_f32_e32 v135, v112, v170
	v_add_f32_e32 v132, v2, v3
	v_mul_f32_e32 v2, v113, v170
	s_waitcnt lgkmcnt(0)
	v_pk_mul_f32 v[90:91], v[116:117], v[90:91] op_sel_hi:[1,0]
	v_fmac_f32_e32 v135, v113, v171
	v_mul_f32_e32 v137, v114, v172
	v_fma_f32 v134, v112, v171, -v2
	v_mul_f32_e32 v2, v115, v172
	s_waitcnt vmcnt(14)
	v_pk_fma_f32 v[92:93], v[116:117], v[122:123], v[90:91] op_sel:[0,0,1] op_sel_hi:[1,1,0] neg_lo:[0,0,1] neg_hi:[0,0,1]
	v_pk_fma_f32 v[90:91], v[116:117], v[122:123], v[90:91] op_sel:[0,0,1] op_sel_hi:[1,0,0]
	v_fmac_f32_e32 v137, v115, v173
	v_fma_f32 v136, v114, v173, -v2
	v_pk_add_f32 v[88:89], v[132:133], v[134:135]
	ds_read2_b64 v[80:83], v4 offset0:69 offset1:70
	ds_read2_b64 v[84:87], v4 offset0:71 offset1:72
	;; [unrolled: 1-line block ×3, first 2 shown]
	v_pk_add_f32 v[88:89], v[88:89], v[136:137]
	v_mov_b32_e32 v93, v91
	v_pk_add_f32 v[88:89], v[88:89], v[92:93]
	s_waitcnt vmcnt(7)
	v_mov_b32_e32 v90, v131
	v_pk_mul_f32 v[90:91], v[118:119], v[90:91] op_sel_hi:[1,0]
	s_waitcnt vmcnt(6)
	v_pk_fma_f32 v[92:93], v[118:119], v[130:131], v[90:91] op_sel:[0,0,1] op_sel_hi:[1,1,0] neg_lo:[0,0,1] neg_hi:[0,0,1]
	v_pk_fma_f32 v[90:91], v[118:119], v[130:131], v[90:91] op_sel:[0,0,1] op_sel_hi:[1,0,0]
	v_mov_b32_e32 v90, v129
	v_mov_b32_e32 v93, v91
	s_waitcnt lgkmcnt(2)
	v_pk_mul_f32 v[90:91], v[80:81], v[90:91] op_sel_hi:[1,0]
	v_pk_add_f32 v[88:89], v[88:89], v[92:93]
	v_pk_fma_f32 v[92:93], v[80:81], v[128:129], v[90:91] op_sel:[0,0,1] op_sel_hi:[1,1,0] neg_lo:[0,0,1] neg_hi:[0,0,1]
	v_pk_fma_f32 v[80:81], v[80:81], v[128:129], v[90:91] op_sel:[0,0,1] op_sel_hi:[1,0,0]
	v_mov_b32_e32 v93, v81
	v_pk_add_f32 v[80:81], v[88:89], v[92:93]
	v_mov_b32_e32 v88, v127
	v_pk_mul_f32 v[88:89], v[82:83], v[88:89] op_sel_hi:[1,0]
	v_pk_fma_f32 v[90:91], v[82:83], v[126:127], v[88:89] op_sel:[0,0,1] op_sel_hi:[1,1,0] neg_lo:[0,0,1] neg_hi:[0,0,1]
	v_pk_fma_f32 v[82:83], v[82:83], v[126:127], v[88:89] op_sel:[0,0,1] op_sel_hi:[1,0,0]
	v_mov_b32_e32 v82, v125
	v_mov_b32_e32 v91, v83
	s_waitcnt lgkmcnt(1)
	v_pk_mul_f32 v[82:83], v[84:85], v[82:83] op_sel_hi:[1,0]
	v_pk_fma_f32 v[88:89], v[84:85], v[124:125], v[82:83] op_sel:[0,0,1] op_sel_hi:[1,1,0] neg_lo:[0,0,1] neg_hi:[0,0,1]
	v_pk_fma_f32 v[82:83], v[84:85], v[124:125], v[82:83] op_sel:[0,0,1] op_sel_hi:[1,0,0]
	s_waitcnt vmcnt(1)
	v_mov_b32_e32 v82, v143
	v_mov_b32_e32 v89, v83
	v_pk_mul_f32 v[82:83], v[86:87], v[82:83] op_sel_hi:[1,0]
	s_waitcnt vmcnt(0)
	v_pk_fma_f32 v[84:85], v[86:87], v[142:143], v[82:83] op_sel:[0,0,1] op_sel_hi:[1,1,0] neg_lo:[0,0,1] neg_hi:[0,0,1]
	v_pk_fma_f32 v[82:83], v[86:87], v[142:143], v[82:83] op_sel:[0,0,1] op_sel_hi:[1,0,0]
	v_pk_add_f32 v[80:81], v[80:81], v[90:91]
	v_mov_b32_e32 v82, v141
	v_pk_add_f32 v[80:81], v[80:81], v[88:89]
	v_mov_b32_e32 v85, v83
	s_waitcnt lgkmcnt(0)
	v_pk_mul_f32 v[82:83], v[2:3], v[82:83] op_sel_hi:[1,0]
	v_pk_add_f32 v[80:81], v[80:81], v[84:85]
	v_pk_fma_f32 v[84:85], v[2:3], v[140:141], v[82:83] op_sel:[0,0,1] op_sel_hi:[1,1,0] neg_lo:[0,0,1] neg_hi:[0,0,1]
	v_pk_fma_f32 v[2:3], v[2:3], v[140:141], v[82:83] op_sel:[0,0,1] op_sel_hi:[1,0,0]
	v_mov_b32_e32 v85, v3
	v_pk_add_f32 v[2:3], v[80:81], v[84:85]
	v_mov_b32_e32 v80, v139
	v_pk_mul_f32 v[80:81], v[4:5], v[80:81] op_sel_hi:[1,0]
	v_pk_fma_f32 v[82:83], v[4:5], v[138:139], v[80:81] op_sel:[0,0,1] op_sel_hi:[1,1,0] neg_lo:[0,0,1] neg_hi:[0,0,1]
	v_pk_fma_f32 v[4:5], v[4:5], v[138:139], v[80:81] op_sel:[0,0,1] op_sel_hi:[1,0,0]
	v_mov_b32_e32 v83, v5
	v_pk_add_f32 v[2:3], v[2:3], v[82:83]
	v_pk_add_f32 v[2:3], v[120:121], v[2:3] neg_lo:[0,1] neg_hi:[0,1]
	buffer_store_dword v3, off, s[0:3], 0 offset:84
	buffer_store_dword v2, off, s[0:3], 0 offset:80
	s_and_saveexec_b64 s[4:5], vcc
	s_cbranch_execz .LBB36_217
; %bb.216:
	buffer_load_dword v2, off, s[0:3], 0 offset:72
	buffer_load_dword v3, off, s[0:3], 0 offset:76
	v_mov_b32_e32 v4, 0
	buffer_store_dword v4, off, s[0:3], 0 offset:72
	buffer_store_dword v4, off, s[0:3], 0 offset:76
	s_waitcnt vmcnt(2)
	ds_write_b64 v1, v[2:3]
.LBB36_217:
	s_or_b64 exec, exec, s[4:5]
	s_waitcnt lgkmcnt(0)
	; wave barrier
	s_waitcnt lgkmcnt(0)
	buffer_load_dword v5, off, s[0:3], 0 offset:84
	buffer_load_dword v128, off, s[0:3], 0 offset:92
	buffer_load_dword v130, off, s[0:3], 0 offset:100
	buffer_load_dword v132, off, s[0:3], 0 offset:108
	buffer_load_dword v142, off, s[0:3], 0 offset:116
	buffer_load_dword v143, off, s[0:3], 0 offset:124
	buffer_load_dword v144, off, s[0:3], 0 offset:132
	buffer_load_dword v145, off, s[0:3], 0 offset:140
	buffer_load_dword v146, off, s[0:3], 0 offset:148
	buffer_load_dword v147, off, s[0:3], 0 offset:156
	buffer_load_dword v148, off, s[0:3], 0 offset:164
	buffer_load_dword v149, off, s[0:3], 0 offset:172
	buffer_load_dword v150, off, s[0:3], 0 offset:180
	buffer_load_dword v151, off, s[0:3], 0 offset:188
	buffer_load_dword v152, off, s[0:3], 0 offset:196
	buffer_load_dword v153, off, s[0:3], 0 offset:204
	buffer_load_dword v154, off, s[0:3], 0 offset:80
	buffer_load_dword v155, off, s[0:3], 0 offset:88
	buffer_load_dword v156, off, s[0:3], 0 offset:96
	buffer_load_dword v157, off, s[0:3], 0 offset:104
	buffer_load_dword v158, off, s[0:3], 0 offset:112
	buffer_load_dword v159, off, s[0:3], 0 offset:120
	buffer_load_dword v160, off, s[0:3], 0 offset:128
	buffer_load_dword v161, off, s[0:3], 0 offset:136
	buffer_load_dword v162, off, s[0:3], 0 offset:144
	buffer_load_dword v163, off, s[0:3], 0 offset:152
	buffer_load_dword v164, off, s[0:3], 0 offset:160
	buffer_load_dword v165, off, s[0:3], 0 offset:168
	buffer_load_dword v166, off, s[0:3], 0 offset:176
	buffer_load_dword v167, off, s[0:3], 0 offset:184
	buffer_load_dword v168, off, s[0:3], 0 offset:192
	buffer_load_dword v169, off, s[0:3], 0 offset:200
	buffer_load_dword v170, off, s[0:3], 0 offset:212
	buffer_load_dword v171, off, s[0:3], 0 offset:208
	buffer_load_dword v172, off, s[0:3], 0 offset:220
	buffer_load_dword v173, off, s[0:3], 0 offset:216
	buffer_load_dword v174, off, s[0:3], 0 offset:228
	buffer_load_dword v175, off, s[0:3], 0 offset:224
	buffer_load_dword v2, off, s[0:3], 0 offset:72
	buffer_load_dword v3, off, s[0:3], 0 offset:76
	v_mov_b32_e32 v4, 0
	ds_read_b128 v[80:83], v4 offset:384
	ds_read_b128 v[84:87], v4 offset:400
	;; [unrolled: 1-line block ×8, first 2 shown]
	v_cmp_lt_u32_e32 vcc, 8, v0
	s_waitcnt vmcnt(39) lgkmcnt(7)
	v_mul_f32_e32 v112, v80, v5
	s_waitcnt vmcnt(38)
	v_mul_f32_e32 v113, v82, v128
	s_waitcnt vmcnt(37) lgkmcnt(6)
	v_mul_f32_e32 v114, v84, v130
	s_waitcnt vmcnt(36)
	v_mul_f32_e32 v115, v86, v132
	;; [unrolled: 4-line block ×8, first 2 shown]
	s_waitcnt vmcnt(23)
	v_fmac_f32_e32 v112, v81, v154
	s_waitcnt vmcnt(22)
	v_fmac_f32_e32 v113, v83, v155
	v_add_f32_e32 v112, 0, v112
	s_waitcnt vmcnt(21)
	v_fmac_f32_e32 v114, v85, v156
	v_add_f32_e32 v112, v112, v113
	;; [unrolled: 3-line block ×14, first 2 shown]
	v_add_f32_e32 v112, v112, v126
	s_waitcnt vmcnt(8)
	v_fmac_f32_e32 v127, v111, v169
	v_add_f32_e32 v129, v112, v127
	ds_read_b128 v[112:115], v4 offset:512
	buffer_load_dword v121, off, s[0:3], 0 offset:236
	buffer_load_dword v123, off, s[0:3], 0 offset:260
	;; [unrolled: 1-line block ×8, first 2 shown]
	ds_read_b128 v[116:119], v4 offset:528
	buffer_load_dword v135, off, s[0:3], 0 offset:292
	buffer_load_dword v134, off, s[0:3], 0 offset:288
	buffer_load_dword v137, off, s[0:3], 0 offset:284
	buffer_load_dword v136, off, s[0:3], 0 offset:280
	buffer_load_dword v139, off, s[0:3], 0 offset:276
	buffer_load_dword v138, off, s[0:3], 0 offset:272
	buffer_load_dword v141, off, s[0:3], 0 offset:268
	buffer_load_dword v140, off, s[0:3], 0 offset:264
	v_mul_f32_e32 v5, v81, v5
	v_fma_f32 v5, v80, v154, -v5
	v_mul_f32_e32 v80, v83, v128
	v_add_f32_e32 v5, 0, v5
	v_fma_f32 v80, v82, v155, -v80
	v_add_f32_e32 v5, v5, v80
	v_mul_f32_e32 v80, v85, v130
	v_fma_f32 v80, v84, v156, -v80
	v_add_f32_e32 v5, v5, v80
	v_mul_f32_e32 v80, v87, v132
	;; [unrolled: 3-line block ×14, first 2 shown]
	v_fma_f32 v80, v110, v169, -v80
	s_waitcnt vmcnt(23) lgkmcnt(1)
	v_mul_f32_e32 v131, v112, v170
	v_add_f32_e32 v5, v5, v80
	v_mul_f32_e32 v80, v113, v170
	s_waitcnt vmcnt(22)
	v_fmac_f32_e32 v131, v113, v171
	v_fma_f32 v80, v112, v171, -v80
	v_add_f32_e32 v129, v129, v131
	s_waitcnt vmcnt(21)
	v_mul_f32_e32 v131, v114, v172
	v_add_f32_e32 v128, v5, v80
	v_mul_f32_e32 v5, v115, v172
	s_waitcnt vmcnt(20)
	v_fmac_f32_e32 v131, v115, v173
	s_waitcnt vmcnt(19) lgkmcnt(0)
	v_mul_f32_e32 v133, v116, v174
	v_fma_f32 v130, v114, v173, -v5
	v_mul_f32_e32 v5, v117, v174
	ds_read_b128 v[80:83], v4 offset:544
	ds_read_b128 v[84:87], v4 offset:560
	;; [unrolled: 1-line block ×3, first 2 shown]
	ds_read_b64 v[92:93], v4 offset:592
	s_waitcnt vmcnt(18)
	v_fmac_f32_e32 v133, v117, v175
	v_fma_f32 v132, v116, v175, -v5
	v_pk_add_f32 v[94:95], v[128:129], v[130:131]
	v_pk_add_f32 v[94:95], v[94:95], v[132:133]
	s_waitcnt vmcnt(15)
	v_mov_b32_e32 v96, v121
	v_pk_mul_f32 v[96:97], v[118:119], v[96:97] op_sel_hi:[1,0]
	s_waitcnt vmcnt(8)
	v_pk_fma_f32 v[98:99], v[118:119], v[120:121], v[96:97] op_sel:[0,0,1] op_sel_hi:[1,1,0] neg_lo:[0,0,1] neg_hi:[0,0,1]
	v_pk_fma_f32 v[96:97], v[118:119], v[120:121], v[96:97] op_sel:[0,0,1] op_sel_hi:[1,0,0]
	v_mov_b32_e32 v96, v127
	v_mov_b32_e32 v99, v97
	s_waitcnt lgkmcnt(3)
	v_pk_mul_f32 v[96:97], v[80:81], v[96:97] op_sel_hi:[1,0]
	v_pk_add_f32 v[94:95], v[94:95], v[98:99]
	v_pk_fma_f32 v[98:99], v[80:81], v[126:127], v[96:97] op_sel:[0,0,1] op_sel_hi:[1,1,0] neg_lo:[0,0,1] neg_hi:[0,0,1]
	v_pk_fma_f32 v[80:81], v[80:81], v[126:127], v[96:97] op_sel:[0,0,1] op_sel_hi:[1,0,0]
	v_mov_b32_e32 v99, v81
	v_pk_add_f32 v[80:81], v[94:95], v[98:99]
	v_mov_b32_e32 v94, v125
	v_pk_mul_f32 v[94:95], v[82:83], v[94:95] op_sel_hi:[1,0]
	v_pk_fma_f32 v[96:97], v[82:83], v[124:125], v[94:95] op_sel:[0,0,1] op_sel_hi:[1,1,0] neg_lo:[0,0,1] neg_hi:[0,0,1]
	v_pk_fma_f32 v[82:83], v[82:83], v[124:125], v[94:95] op_sel:[0,0,1] op_sel_hi:[1,0,0]
	v_mov_b32_e32 v82, v123
	v_mov_b32_e32 v97, v83
	s_waitcnt lgkmcnt(2)
	v_pk_mul_f32 v[82:83], v[84:85], v[82:83] op_sel_hi:[1,0]
	v_pk_fma_f32 v[94:95], v[84:85], v[122:123], v[82:83] op_sel:[0,0,1] op_sel_hi:[1,1,0] neg_lo:[0,0,1] neg_hi:[0,0,1]
	v_pk_fma_f32 v[82:83], v[84:85], v[122:123], v[82:83] op_sel:[0,0,1] op_sel_hi:[1,0,0]
	s_waitcnt vmcnt(1)
	v_mov_b32_e32 v82, v141
	v_mov_b32_e32 v95, v83
	v_pk_mul_f32 v[82:83], v[86:87], v[82:83] op_sel_hi:[1,0]
	s_waitcnt vmcnt(0)
	v_pk_fma_f32 v[84:85], v[86:87], v[140:141], v[82:83] op_sel:[0,0,1] op_sel_hi:[1,1,0] neg_lo:[0,0,1] neg_hi:[0,0,1]
	v_pk_fma_f32 v[82:83], v[86:87], v[140:141], v[82:83] op_sel:[0,0,1] op_sel_hi:[1,0,0]
	v_pk_add_f32 v[80:81], v[80:81], v[96:97]
	v_mov_b32_e32 v82, v139
	v_pk_add_f32 v[80:81], v[80:81], v[94:95]
	v_mov_b32_e32 v85, v83
	s_waitcnt lgkmcnt(1)
	v_pk_mul_f32 v[82:83], v[88:89], v[82:83] op_sel_hi:[1,0]
	v_pk_add_f32 v[80:81], v[80:81], v[84:85]
	v_pk_fma_f32 v[84:85], v[88:89], v[138:139], v[82:83] op_sel:[0,0,1] op_sel_hi:[1,1,0] neg_lo:[0,0,1] neg_hi:[0,0,1]
	v_pk_fma_f32 v[82:83], v[88:89], v[138:139], v[82:83] op_sel:[0,0,1] op_sel_hi:[1,0,0]
	v_mov_b32_e32 v82, v137
	v_mov_b32_e32 v85, v83
	v_pk_mul_f32 v[82:83], v[90:91], v[82:83] op_sel_hi:[1,0]
	v_pk_add_f32 v[80:81], v[80:81], v[84:85]
	v_pk_fma_f32 v[84:85], v[90:91], v[136:137], v[82:83] op_sel:[0,0,1] op_sel_hi:[1,1,0] neg_lo:[0,0,1] neg_hi:[0,0,1]
	v_pk_fma_f32 v[82:83], v[90:91], v[136:137], v[82:83] op_sel:[0,0,1] op_sel_hi:[1,0,0]
	v_mov_b32_e32 v82, v135
	v_mov_b32_e32 v85, v83
	s_waitcnt lgkmcnt(0)
	v_pk_mul_f32 v[82:83], v[92:93], v[82:83] op_sel_hi:[1,0]
	v_pk_add_f32 v[80:81], v[80:81], v[84:85]
	v_pk_fma_f32 v[84:85], v[92:93], v[134:135], v[82:83] op_sel:[0,0,1] op_sel_hi:[1,1,0] neg_lo:[0,0,1] neg_hi:[0,0,1]
	v_pk_fma_f32 v[82:83], v[92:93], v[134:135], v[82:83] op_sel:[0,0,1] op_sel_hi:[1,0,0]
	v_mov_b32_e32 v85, v83
	v_pk_add_f32 v[80:81], v[80:81], v[84:85]
	v_pk_add_f32 v[2:3], v[2:3], v[80:81] neg_lo:[0,1] neg_hi:[0,1]
	buffer_store_dword v3, off, s[0:3], 0 offset:76
	buffer_store_dword v2, off, s[0:3], 0 offset:72
	s_and_saveexec_b64 s[4:5], vcc
	s_cbranch_execz .LBB36_219
; %bb.218:
	buffer_load_dword v2, off, s[0:3], 0 offset:64
	buffer_load_dword v3, off, s[0:3], 0 offset:68
	s_waitcnt vmcnt(0)
	ds_write_b64 v1, v[2:3]
	buffer_store_dword v4, off, s[0:3], 0 offset:64
	buffer_store_dword v4, off, s[0:3], 0 offset:68
.LBB36_219:
	s_or_b64 exec, exec, s[4:5]
	s_waitcnt lgkmcnt(0)
	; wave barrier
	s_waitcnt lgkmcnt(0)
	buffer_load_dword v5, off, s[0:3], 0 offset:76
	buffer_load_dword v120, off, s[0:3], 0 offset:84
	;; [unrolled: 1-line block ×42, first 2 shown]
	ds_read2_b64 v[80:83], v4 offset0:47 offset1:48
	ds_read2_b64 v[84:87], v4 offset0:49 offset1:50
	;; [unrolled: 1-line block ×8, first 2 shown]
	v_cmp_lt_u32_e32 vcc, 7, v0
	s_waitcnt vmcnt(41) lgkmcnt(7)
	v_mul_f32_e32 v112, v80, v5
	s_waitcnt vmcnt(40)
	v_mul_f32_e32 v113, v82, v120
	s_waitcnt vmcnt(39) lgkmcnt(6)
	v_mul_f32_e32 v114, v84, v122
	s_waitcnt vmcnt(38)
	v_mul_f32_e32 v115, v86, v130
	;; [unrolled: 4-line block ×7, first 2 shown]
	s_waitcnt vmcnt(27) lgkmcnt(0)
	v_mul_f32_e32 v128, v108, v152
	s_waitcnt vmcnt(26)
	v_fmac_f32_e32 v112, v81, v153
	s_waitcnt vmcnt(25)
	v_fmac_f32_e32 v113, v83, v154
	v_add_f32_e32 v112, 0, v112
	s_waitcnt vmcnt(24)
	v_fmac_f32_e32 v114, v85, v155
	v_add_f32_e32 v112, v112, v113
	;; [unrolled: 3-line block ×14, first 2 shown]
	s_waitcnt vmcnt(11)
	v_mul_f32_e32 v117, v110, v168
	v_add_f32_e32 v116, v112, v128
	s_waitcnt vmcnt(10)
	v_fmac_f32_e32 v117, v111, v169
	ds_read2_b64 v[112:115], v4 offset0:63 offset1:64
	v_add_f32_e32 v121, v116, v117
	ds_read2_b64 v[116:119], v4 offset0:65 offset1:66
	buffer_load_dword v125, off, s[0:3], 0 offset:236
	buffer_load_dword v127, off, s[0:3], 0 offset:252
	;; [unrolled: 1-line block ×16, first 2 shown]
	v_mul_f32_e32 v5, v81, v5
	v_fma_f32 v5, v80, v153, -v5
	v_mul_f32_e32 v80, v83, v120
	v_add_f32_e32 v5, 0, v5
	v_fma_f32 v80, v82, v154, -v80
	v_add_f32_e32 v5, v5, v80
	v_mul_f32_e32 v80, v85, v122
	v_fma_f32 v80, v84, v155, -v80
	v_add_f32_e32 v5, v5, v80
	v_mul_f32_e32 v80, v87, v130
	;; [unrolled: 3-line block ×14, first 2 shown]
	v_fma_f32 v80, v110, v169, -v80
	v_add_f32_e32 v5, v5, v80
	s_waitcnt vmcnt(25) lgkmcnt(1)
	v_mul_f32_e32 v80, v113, v170
	s_waitcnt vmcnt(24)
	v_fma_f32 v80, v112, v171, -v80
	v_add_f32_e32 v5, v5, v80
	s_waitcnt vmcnt(23)
	v_mul_f32_e32 v80, v115, v172
	s_waitcnt vmcnt(22)
	v_fma_f32 v80, v114, v173, -v80
	v_add_f32_e32 v120, v5, v80
	ds_read2_b64 v[80:83], v4 offset0:67 offset1:68
	ds_read2_b64 v[84:87], v4 offset0:69 offset1:70
	;; [unrolled: 1-line block ×4, first 2 shown]
	v_mul_f32_e32 v123, v112, v170
	v_fmac_f32_e32 v123, v113, v171
	v_add_f32_e32 v121, v121, v123
	v_mul_f32_e32 v123, v114, v172
	v_fmac_f32_e32 v123, v115, v173
	v_add_f32_e32 v121, v121, v123
	s_waitcnt vmcnt(21) lgkmcnt(4)
	v_mul_f32_e32 v123, v116, v174
	v_mul_f32_e32 v5, v117, v174
	s_waitcnt vmcnt(20)
	v_fmac_f32_e32 v123, v117, v175
	s_waitcnt vmcnt(19)
	v_mul_f32_e32 v131, v118, v176
	v_fma_f32 v122, v116, v175, -v5
	v_mul_f32_e32 v5, v119, v176
	s_waitcnt vmcnt(18)
	v_fmac_f32_e32 v131, v119, v177
	v_fma_f32 v130, v118, v177, -v5
	v_pk_add_f32 v[4:5], v[120:121], v[122:123]
	v_pk_add_f32 v[4:5], v[4:5], v[130:131]
	s_waitcnt vmcnt(15)
	v_mov_b32_e32 v96, v125
	s_waitcnt lgkmcnt(3)
	v_pk_mul_f32 v[96:97], v[80:81], v[96:97] op_sel_hi:[1,0]
	s_waitcnt vmcnt(10)
	v_pk_fma_f32 v[98:99], v[80:81], v[124:125], v[96:97] op_sel:[0,0,1] op_sel_hi:[1,1,0] neg_lo:[0,0,1] neg_hi:[0,0,1]
	v_pk_fma_f32 v[80:81], v[80:81], v[124:125], v[96:97] op_sel:[0,0,1] op_sel_hi:[1,0,0]
	v_mov_b32_e32 v80, v129
	v_mov_b32_e32 v99, v81
	v_pk_mul_f32 v[80:81], v[82:83], v[80:81] op_sel_hi:[1,0]
	v_pk_fma_f32 v[96:97], v[82:83], v[128:129], v[80:81] op_sel:[0,0,1] op_sel_hi:[1,1,0] neg_lo:[0,0,1] neg_hi:[0,0,1]
	v_pk_fma_f32 v[80:81], v[82:83], v[128:129], v[80:81] op_sel:[0,0,1] op_sel_hi:[1,0,0]
	v_mov_b32_e32 v80, v127
	v_mov_b32_e32 v97, v81
	s_waitcnt lgkmcnt(2)
	v_pk_mul_f32 v[80:81], v[84:85], v[80:81] op_sel_hi:[1,0]
	v_pk_fma_f32 v[82:83], v[84:85], v[126:127], v[80:81] op_sel:[0,0,1] op_sel_hi:[1,1,0] neg_lo:[0,0,1] neg_hi:[0,0,1]
	v_pk_fma_f32 v[80:81], v[84:85], v[126:127], v[80:81] op_sel:[0,0,1] op_sel_hi:[1,0,0]
	v_pk_add_f32 v[4:5], v[4:5], v[98:99]
	s_waitcnt vmcnt(3)
	v_mov_b32_e32 v80, v139
	v_pk_add_f32 v[4:5], v[4:5], v[96:97]
	v_mov_b32_e32 v83, v81
	v_pk_mul_f32 v[80:81], v[86:87], v[80:81] op_sel_hi:[1,0]
	v_pk_add_f32 v[4:5], v[4:5], v[82:83]
	s_waitcnt vmcnt(2)
	v_pk_fma_f32 v[82:83], v[86:87], v[138:139], v[80:81] op_sel:[0,0,1] op_sel_hi:[1,1,0] neg_lo:[0,0,1] neg_hi:[0,0,1]
	v_pk_fma_f32 v[80:81], v[86:87], v[138:139], v[80:81] op_sel:[0,0,1] op_sel_hi:[1,0,0]
	v_mov_b32_e32 v80, v137
	v_mov_b32_e32 v83, v81
	s_waitcnt lgkmcnt(1)
	v_pk_mul_f32 v[80:81], v[88:89], v[80:81] op_sel_hi:[1,0]
	v_pk_add_f32 v[4:5], v[4:5], v[82:83]
	v_pk_fma_f32 v[82:83], v[88:89], v[136:137], v[80:81] op_sel:[0,0,1] op_sel_hi:[1,1,0] neg_lo:[0,0,1] neg_hi:[0,0,1]
	v_pk_fma_f32 v[80:81], v[88:89], v[136:137], v[80:81] op_sel:[0,0,1] op_sel_hi:[1,0,0]
	v_mov_b32_e32 v80, v135
	v_mov_b32_e32 v83, v81
	v_pk_mul_f32 v[80:81], v[90:91], v[80:81] op_sel_hi:[1,0]
	v_pk_add_f32 v[4:5], v[4:5], v[82:83]
	v_pk_fma_f32 v[82:83], v[90:91], v[134:135], v[80:81] op_sel:[0,0,1] op_sel_hi:[1,1,0] neg_lo:[0,0,1] neg_hi:[0,0,1]
	v_pk_fma_f32 v[80:81], v[90:91], v[134:135], v[80:81] op_sel:[0,0,1] op_sel_hi:[1,0,0]
	v_mov_b32_e32 v80, v133
	v_mov_b32_e32 v83, v81
	s_waitcnt lgkmcnt(0)
	v_pk_mul_f32 v[80:81], v[92:93], v[80:81] op_sel_hi:[1,0]
	v_pk_add_f32 v[4:5], v[4:5], v[82:83]
	v_pk_fma_f32 v[82:83], v[92:93], v[132:133], v[80:81] op_sel:[0,0,1] op_sel_hi:[1,1,0] neg_lo:[0,0,1] neg_hi:[0,0,1]
	v_pk_fma_f32 v[80:81], v[92:93], v[132:133], v[80:81] op_sel:[0,0,1] op_sel_hi:[1,0,0]
	s_waitcnt vmcnt(1)
	v_mov_b32_e32 v80, v141
	v_mov_b32_e32 v83, v81
	v_pk_mul_f32 v[80:81], v[94:95], v[80:81] op_sel_hi:[1,0]
	v_pk_add_f32 v[4:5], v[4:5], v[82:83]
	s_waitcnt vmcnt(0)
	v_pk_fma_f32 v[82:83], v[94:95], v[140:141], v[80:81] op_sel:[0,0,1] op_sel_hi:[1,1,0] neg_lo:[0,0,1] neg_hi:[0,0,1]
	v_pk_fma_f32 v[80:81], v[94:95], v[140:141], v[80:81] op_sel:[0,0,1] op_sel_hi:[1,0,0]
	v_mov_b32_e32 v83, v81
	v_pk_add_f32 v[4:5], v[4:5], v[82:83]
	v_pk_add_f32 v[2:3], v[2:3], v[4:5] neg_lo:[0,1] neg_hi:[0,1]
	buffer_store_dword v3, off, s[0:3], 0 offset:68
	buffer_store_dword v2, off, s[0:3], 0 offset:64
	s_and_saveexec_b64 s[4:5], vcc
	s_cbranch_execz .LBB36_221
; %bb.220:
	buffer_load_dword v2, off, s[0:3], 0 offset:56
	buffer_load_dword v3, off, s[0:3], 0 offset:60
	v_mov_b32_e32 v4, 0
	buffer_store_dword v4, off, s[0:3], 0 offset:56
	buffer_store_dword v4, off, s[0:3], 0 offset:60
	s_waitcnt vmcnt(2)
	ds_write_b64 v1, v[2:3]
.LBB36_221:
	s_or_b64 exec, exec, s[4:5]
	s_waitcnt lgkmcnt(0)
	; wave barrier
	s_waitcnt lgkmcnt(0)
	buffer_load_dword v5, off, s[0:3], 0 offset:68
	buffer_load_dword v128, off, s[0:3], 0 offset:76
	;; [unrolled: 1-line block ×44, first 2 shown]
	v_mov_b32_e32 v4, 0
	ds_read_b128 v[80:83], v4 offset:368
	ds_read_b128 v[84:87], v4 offset:384
	;; [unrolled: 1-line block ×8, first 2 shown]
	v_cmp_lt_u32_e32 vcc, 6, v0
	s_waitcnt vmcnt(43) lgkmcnt(7)
	v_mul_f32_e32 v112, v80, v5
	s_waitcnt vmcnt(42)
	v_mul_f32_e32 v113, v82, v128
	s_waitcnt vmcnt(41) lgkmcnt(6)
	v_mul_f32_e32 v114, v84, v134
	s_waitcnt vmcnt(40)
	v_mul_f32_e32 v115, v86, v136
	;; [unrolled: 4-line block ×7, first 2 shown]
	s_waitcnt vmcnt(29)
	v_fmac_f32_e32 v112, v81, v160
	s_waitcnt vmcnt(28)
	v_fmac_f32_e32 v113, v83, v161
	v_add_f32_e32 v112, 0, v112
	s_waitcnt vmcnt(27)
	v_fmac_f32_e32 v114, v85, v162
	v_add_f32_e32 v112, v112, v113
	;; [unrolled: 3-line block ×12, first 2 shown]
	v_add_f32_e32 v112, v112, v124
	s_waitcnt vmcnt(16)
	v_fmac_f32_e32 v125, v107, v173
	s_waitcnt vmcnt(15) lgkmcnt(0)
	v_mul_f32_e32 v113, v108, v174
	v_add_f32_e32 v112, v112, v125
	s_waitcnt vmcnt(14)
	v_fmac_f32_e32 v113, v109, v175
	v_add_f32_e32 v116, v112, v113
	ds_read_b128 v[112:115], v4 offset:496
	s_waitcnt vmcnt(13)
	v_mul_f32_e32 v117, v110, v176
	s_waitcnt vmcnt(12)
	v_fmac_f32_e32 v117, v111, v177
	v_add_f32_e32 v120, v116, v117
	ds_read_b128 v[116:119], v4 offset:512
	s_waitcnt vmcnt(11) lgkmcnt(1)
	v_mul_f32_e32 v121, v112, v178
	s_waitcnt vmcnt(10)
	v_fmac_f32_e32 v121, v113, v179
	v_add_f32_e32 v120, v120, v121
	s_waitcnt vmcnt(9)
	v_mul_f32_e32 v121, v114, v180
	s_waitcnt vmcnt(8)
	v_fmac_f32_e32 v121, v115, v181
	v_add_f32_e32 v120, v120, v121
	s_waitcnt vmcnt(7) lgkmcnt(0)
	v_mul_f32_e32 v121, v116, v182
	s_waitcnt vmcnt(6)
	v_fmac_f32_e32 v121, v117, v183
	v_add_f32_e32 v129, v120, v121
	ds_read_b128 v[120:123], v4 offset:528
	buffer_load_dword v131, off, s[0:3], 0 offset:244
	buffer_load_dword v130, off, s[0:3], 0 offset:240
	;; [unrolled: 1-line block ×4, first 2 shown]
	ds_read_b128 v[124:127], v4 offset:544
	buffer_load_dword v139, off, s[0:3], 0 offset:276
	buffer_load_dword v138, off, s[0:3], 0 offset:272
	;; [unrolled: 1-line block ×12, first 2 shown]
	v_mul_f32_e32 v5, v81, v5
	v_fma_f32 v5, v80, v160, -v5
	v_mul_f32_e32 v80, v83, v128
	v_add_f32_e32 v5, 0, v5
	v_fma_f32 v80, v82, v161, -v80
	v_add_f32_e32 v5, v5, v80
	v_mul_f32_e32 v80, v85, v134
	v_fma_f32 v80, v84, v162, -v80
	v_add_f32_e32 v5, v5, v80
	v_mul_f32_e32 v80, v87, v136
	;; [unrolled: 3-line block ×17, first 2 shown]
	v_fma_f32 v80, v116, v183, -v80
	s_waitcnt vmcnt(21)
	v_mul_f32_e32 v135, v118, v184
	v_add_f32_e32 v128, v5, v80
	v_mul_f32_e32 v5, v119, v184
	s_waitcnt vmcnt(20)
	v_fmac_f32_e32 v135, v119, v185
	s_waitcnt vmcnt(19) lgkmcnt(1)
	v_mul_f32_e32 v137, v120, v186
	v_fma_f32 v134, v118, v185, -v5
	v_mul_f32_e32 v5, v121, v186
	s_waitcnt vmcnt(18)
	v_fmac_f32_e32 v137, v121, v187
	v_fma_f32 v136, v120, v187, -v5
	v_pk_add_f32 v[90:91], v[128:129], v[134:135]
	v_pk_add_f32 v[90:91], v[90:91], v[136:137]
	ds_read_b128 v[80:83], v4 offset:560
	ds_read_b128 v[84:87], v4 offset:576
	ds_read_b64 v[88:89], v4 offset:592
	s_waitcnt vmcnt(13)
	v_mov_b32_e32 v92, v133
	v_pk_mul_f32 v[92:93], v[122:123], v[92:93] op_sel_hi:[1,0]
	s_waitcnt vmcnt(12)
	v_pk_fma_f32 v[94:95], v[122:123], v[132:133], v[92:93] op_sel:[0,0,1] op_sel_hi:[1,1,0] neg_lo:[0,0,1] neg_hi:[0,0,1]
	v_pk_fma_f32 v[92:93], v[122:123], v[132:133], v[92:93] op_sel:[0,0,1] op_sel_hi:[1,0,0]
	v_mov_b32_e32 v92, v131
	v_mov_b32_e32 v95, v93
	s_waitcnt lgkmcnt(3)
	v_pk_mul_f32 v[92:93], v[124:125], v[92:93] op_sel_hi:[1,0]
	v_pk_add_f32 v[90:91], v[90:91], v[94:95]
	v_pk_fma_f32 v[94:95], v[124:125], v[130:131], v[92:93] op_sel:[0,0,1] op_sel_hi:[1,1,0] neg_lo:[0,0,1] neg_hi:[0,0,1]
	v_pk_fma_f32 v[92:93], v[124:125], v[130:131], v[92:93] op_sel:[0,0,1] op_sel_hi:[1,0,0]
	s_waitcnt vmcnt(5)
	v_mov_b32_e32 v92, v145
	v_mov_b32_e32 v95, v93
	v_pk_mul_f32 v[92:93], v[126:127], v[92:93] op_sel_hi:[1,0]
	v_pk_add_f32 v[90:91], v[90:91], v[94:95]
	s_waitcnt vmcnt(4)
	v_pk_fma_f32 v[94:95], v[126:127], v[144:145], v[92:93] op_sel:[0,0,1] op_sel_hi:[1,1,0] neg_lo:[0,0,1] neg_hi:[0,0,1]
	v_pk_fma_f32 v[92:93], v[126:127], v[144:145], v[92:93] op_sel:[0,0,1] op_sel_hi:[1,0,0]
	v_mov_b32_e32 v92, v143
	v_mov_b32_e32 v95, v93
	s_waitcnt lgkmcnt(2)
	v_pk_mul_f32 v[92:93], v[80:81], v[92:93] op_sel_hi:[1,0]
	v_pk_add_f32 v[90:91], v[90:91], v[94:95]
	v_pk_fma_f32 v[94:95], v[80:81], v[142:143], v[92:93] op_sel:[0,0,1] op_sel_hi:[1,1,0] neg_lo:[0,0,1] neg_hi:[0,0,1]
	v_pk_fma_f32 v[80:81], v[80:81], v[142:143], v[92:93] op_sel:[0,0,1] op_sel_hi:[1,0,0]
	v_mov_b32_e32 v95, v81
	v_pk_add_f32 v[80:81], v[90:91], v[94:95]
	v_mov_b32_e32 v90, v141
	v_pk_mul_f32 v[90:91], v[82:83], v[90:91] op_sel_hi:[1,0]
	v_pk_fma_f32 v[92:93], v[82:83], v[140:141], v[90:91] op_sel:[0,0,1] op_sel_hi:[1,1,0] neg_lo:[0,0,1] neg_hi:[0,0,1]
	v_pk_fma_f32 v[82:83], v[82:83], v[140:141], v[90:91] op_sel:[0,0,1] op_sel_hi:[1,0,0]
	v_mov_b32_e32 v82, v139
	v_mov_b32_e32 v93, v83
	s_waitcnt lgkmcnt(1)
	v_pk_mul_f32 v[82:83], v[84:85], v[82:83] op_sel_hi:[1,0]
	v_pk_fma_f32 v[90:91], v[84:85], v[138:139], v[82:83] op_sel:[0,0,1] op_sel_hi:[1,1,0] neg_lo:[0,0,1] neg_hi:[0,0,1]
	v_pk_fma_f32 v[82:83], v[84:85], v[138:139], v[82:83] op_sel:[0,0,1] op_sel_hi:[1,0,0]
	s_waitcnt vmcnt(1)
	v_mov_b32_e32 v82, v149
	v_mov_b32_e32 v91, v83
	v_pk_mul_f32 v[82:83], v[86:87], v[82:83] op_sel_hi:[1,0]
	s_waitcnt vmcnt(0)
	v_pk_fma_f32 v[84:85], v[86:87], v[148:149], v[82:83] op_sel:[0,0,1] op_sel_hi:[1,1,0] neg_lo:[0,0,1] neg_hi:[0,0,1]
	v_pk_fma_f32 v[82:83], v[86:87], v[148:149], v[82:83] op_sel:[0,0,1] op_sel_hi:[1,0,0]
	v_pk_add_f32 v[80:81], v[80:81], v[92:93]
	v_mov_b32_e32 v82, v147
	v_pk_add_f32 v[80:81], v[80:81], v[90:91]
	v_mov_b32_e32 v85, v83
	s_waitcnt lgkmcnt(0)
	v_pk_mul_f32 v[82:83], v[88:89], v[82:83] op_sel_hi:[1,0]
	v_pk_add_f32 v[80:81], v[80:81], v[84:85]
	v_pk_fma_f32 v[84:85], v[88:89], v[146:147], v[82:83] op_sel:[0,0,1] op_sel_hi:[1,1,0] neg_lo:[0,0,1] neg_hi:[0,0,1]
	v_pk_fma_f32 v[82:83], v[88:89], v[146:147], v[82:83] op_sel:[0,0,1] op_sel_hi:[1,0,0]
	v_mov_b32_e32 v85, v83
	v_pk_add_f32 v[80:81], v[80:81], v[84:85]
	v_pk_add_f32 v[2:3], v[2:3], v[80:81] neg_lo:[0,1] neg_hi:[0,1]
	buffer_store_dword v3, off, s[0:3], 0 offset:60
	buffer_store_dword v2, off, s[0:3], 0 offset:56
	s_and_saveexec_b64 s[4:5], vcc
	s_cbranch_execz .LBB36_223
; %bb.222:
	buffer_load_dword v2, off, s[0:3], 0 offset:48
	buffer_load_dword v3, off, s[0:3], 0 offset:52
	s_waitcnt vmcnt(0)
	ds_write_b64 v1, v[2:3]
	buffer_store_dword v4, off, s[0:3], 0 offset:48
	buffer_store_dword v4, off, s[0:3], 0 offset:52
.LBB36_223:
	s_or_b64 exec, exec, s[4:5]
	s_waitcnt lgkmcnt(0)
	; wave barrier
	s_waitcnt lgkmcnt(0)
	buffer_load_dword v5, off, s[0:3], 0 offset:60
	buffer_load_dword v130, off, s[0:3], 0 offset:68
	buffer_load_dword v132, off, s[0:3], 0 offset:76
	buffer_load_dword v134, off, s[0:3], 0 offset:84
	buffer_load_dword v150, off, s[0:3], 0 offset:92
	buffer_load_dword v151, off, s[0:3], 0 offset:100
	buffer_load_dword v152, off, s[0:3], 0 offset:108
	buffer_load_dword v153, off, s[0:3], 0 offset:116
	buffer_load_dword v154, off, s[0:3], 0 offset:124
	buffer_load_dword v155, off, s[0:3], 0 offset:132
	buffer_load_dword v156, off, s[0:3], 0 offset:140
	buffer_load_dword v157, off, s[0:3], 0 offset:148
	buffer_load_dword v158, off, s[0:3], 0 offset:156
	buffer_load_dword v159, off, s[0:3], 0 offset:56
	buffer_load_dword v160, off, s[0:3], 0 offset:64
	buffer_load_dword v161, off, s[0:3], 0 offset:72
	buffer_load_dword v162, off, s[0:3], 0 offset:80
	buffer_load_dword v163, off, s[0:3], 0 offset:88
	buffer_load_dword v164, off, s[0:3], 0 offset:96
	buffer_load_dword v165, off, s[0:3], 0 offset:104
	buffer_load_dword v166, off, s[0:3], 0 offset:112
	buffer_load_dword v167, off, s[0:3], 0 offset:120
	buffer_load_dword v168, off, s[0:3], 0 offset:128
	buffer_load_dword v169, off, s[0:3], 0 offset:136
	buffer_load_dword v170, off, s[0:3], 0 offset:144
	buffer_load_dword v171, off, s[0:3], 0 offset:152
	buffer_load_dword v172, off, s[0:3], 0 offset:164
	buffer_load_dword v173, off, s[0:3], 0 offset:160
	buffer_load_dword v174, off, s[0:3], 0 offset:172
	buffer_load_dword v175, off, s[0:3], 0 offset:168
	buffer_load_dword v176, off, s[0:3], 0 offset:180
	buffer_load_dword v177, off, s[0:3], 0 offset:176
	buffer_load_dword v178, off, s[0:3], 0 offset:188
	buffer_load_dword v179, off, s[0:3], 0 offset:184
	buffer_load_dword v180, off, s[0:3], 0 offset:196
	buffer_load_dword v181, off, s[0:3], 0 offset:192
	buffer_load_dword v182, off, s[0:3], 0 offset:204
	buffer_load_dword v183, off, s[0:3], 0 offset:200
	buffer_load_dword v184, off, s[0:3], 0 offset:212
	buffer_load_dword v185, off, s[0:3], 0 offset:208
	buffer_load_dword v186, off, s[0:3], 0 offset:220
	buffer_load_dword v187, off, s[0:3], 0 offset:216
	buffer_load_dword v188, off, s[0:3], 0 offset:228
	buffer_load_dword v189, off, s[0:3], 0 offset:224
	buffer_load_dword v2, off, s[0:3], 0 offset:48
	buffer_load_dword v3, off, s[0:3], 0 offset:52
	ds_read2_b64 v[80:83], v4 offset0:45 offset1:46
	ds_read2_b64 v[84:87], v4 offset0:47 offset1:48
	;; [unrolled: 1-line block ×8, first 2 shown]
	v_cmp_lt_u32_e32 vcc, 5, v0
	s_waitcnt vmcnt(45) lgkmcnt(7)
	v_mul_f32_e32 v112, v80, v5
	s_waitcnt vmcnt(44)
	v_mul_f32_e32 v113, v82, v130
	s_waitcnt vmcnt(43) lgkmcnt(6)
	v_mul_f32_e32 v114, v84, v132
	s_waitcnt vmcnt(42)
	v_mul_f32_e32 v115, v86, v134
	s_waitcnt vmcnt(41) lgkmcnt(5)
	v_mul_f32_e32 v116, v88, v150
	s_waitcnt vmcnt(40)
	v_mul_f32_e32 v117, v90, v151
	s_waitcnt vmcnt(39) lgkmcnt(4)
	v_mul_f32_e32 v118, v92, v152
	s_waitcnt vmcnt(38)
	v_mul_f32_e32 v119, v94, v153
	s_waitcnt vmcnt(37) lgkmcnt(3)
	v_mul_f32_e32 v120, v96, v154
	s_waitcnt vmcnt(36)
	v_mul_f32_e32 v121, v98, v155
	s_waitcnt vmcnt(35) lgkmcnt(2)
	v_mul_f32_e32 v122, v100, v156
	s_waitcnt vmcnt(34)
	v_mul_f32_e32 v123, v102, v157
	s_waitcnt vmcnt(33) lgkmcnt(1)
	v_mul_f32_e32 v124, v104, v158
	s_waitcnt vmcnt(32)
	v_fmac_f32_e32 v112, v81, v159
	s_waitcnt vmcnt(31)
	v_fmac_f32_e32 v113, v83, v160
	v_add_f32_e32 v112, 0, v112
	s_waitcnt vmcnt(30)
	v_fmac_f32_e32 v114, v85, v161
	v_add_f32_e32 v112, v112, v113
	;; [unrolled: 3-line block ×12, first 2 shown]
	s_waitcnt vmcnt(19)
	v_mul_f32_e32 v113, v106, v172
	v_add_f32_e32 v112, v112, v124
	s_waitcnt vmcnt(18)
	v_fmac_f32_e32 v113, v107, v173
	v_add_f32_e32 v112, v112, v113
	s_waitcnt vmcnt(17) lgkmcnt(0)
	v_mul_f32_e32 v113, v108, v174
	s_waitcnt vmcnt(16)
	v_fmac_f32_e32 v113, v109, v175
	v_add_f32_e32 v116, v112, v113
	ds_read2_b64 v[112:115], v4 offset0:61 offset1:62
	s_waitcnt vmcnt(15)
	v_mul_f32_e32 v117, v110, v176
	s_waitcnt vmcnt(14)
	v_fmac_f32_e32 v117, v111, v177
	v_add_f32_e32 v120, v116, v117
	ds_read2_b64 v[116:119], v4 offset0:63 offset1:64
	buffer_load_dword v129, off, s[0:3], 0 offset:236
	buffer_load_dword v128, off, s[0:3], 0 offset:232
	s_waitcnt vmcnt(15) lgkmcnt(1)
	v_mul_f32_e32 v121, v112, v178
	s_waitcnt vmcnt(14)
	v_fmac_f32_e32 v121, v113, v179
	v_add_f32_e32 v120, v120, v121
	s_waitcnt vmcnt(13)
	v_mul_f32_e32 v121, v114, v180
	s_waitcnt vmcnt(12)
	v_fmac_f32_e32 v121, v115, v181
	v_add_f32_e32 v120, v120, v121
	s_waitcnt vmcnt(11) lgkmcnt(0)
	v_mul_f32_e32 v121, v116, v182
	s_waitcnt vmcnt(10)
	v_fmac_f32_e32 v121, v117, v183
	s_waitcnt vmcnt(9)
	v_mul_f32_e32 v125, v118, v184
	v_add_f32_e32 v124, v120, v121
	s_waitcnt vmcnt(8)
	v_fmac_f32_e32 v125, v119, v185
	ds_read2_b64 v[120:123], v4 offset0:65 offset1:66
	v_add_f32_e32 v131, v124, v125
	ds_read2_b64 v[124:127], v4 offset0:67 offset1:68
	buffer_load_dword v137, off, s[0:3], 0 offset:268
	buffer_load_dword v136, off, s[0:3], 0 offset:264
	;; [unrolled: 1-line block ×14, first 2 shown]
	v_mul_f32_e32 v5, v81, v5
	v_fma_f32 v5, v80, v159, -v5
	v_mul_f32_e32 v80, v83, v130
	v_add_f32_e32 v5, 0, v5
	v_fma_f32 v80, v82, v160, -v80
	v_add_f32_e32 v5, v5, v80
	v_mul_f32_e32 v80, v85, v132
	v_fma_f32 v80, v84, v161, -v80
	v_add_f32_e32 v5, v5, v80
	v_mul_f32_e32 v80, v87, v134
	;; [unrolled: 3-line block ×18, first 2 shown]
	v_fma_f32 v80, v118, v185, -v80
	s_waitcnt vmcnt(21) lgkmcnt(1)
	v_mul_f32_e32 v133, v120, v186
	v_add_f32_e32 v130, v5, v80
	v_mul_f32_e32 v5, v121, v186
	s_waitcnt vmcnt(20)
	v_fmac_f32_e32 v133, v121, v187
	s_waitcnt vmcnt(15)
	v_mov_b32_e32 v92, v129
	s_waitcnt lgkmcnt(0)
	v_pk_mul_f32 v[92:93], v[124:125], v[92:93] op_sel_hi:[1,0]
	v_mul_f32_e32 v135, v122, v188
	v_fma_f32 v132, v120, v187, -v5
	v_mul_f32_e32 v5, v123, v188
	s_waitcnt vmcnt(14)
	v_pk_fma_f32 v[94:95], v[124:125], v[128:129], v[92:93] op_sel:[0,0,1] op_sel_hi:[1,1,0] neg_lo:[0,0,1] neg_hi:[0,0,1]
	v_pk_fma_f32 v[92:93], v[124:125], v[128:129], v[92:93] op_sel:[0,0,1] op_sel_hi:[1,0,0]
	v_fmac_f32_e32 v135, v123, v189
	v_fma_f32 v134, v122, v189, -v5
	ds_read2_b64 v[80:83], v4 offset0:69 offset1:70
	ds_read2_b64 v[84:87], v4 offset0:71 offset1:72
	;; [unrolled: 1-line block ×3, first 2 shown]
	v_pk_add_f32 v[4:5], v[130:131], v[132:133]
	s_waitcnt vmcnt(7)
	v_mov_b32_e32 v92, v143
	v_pk_add_f32 v[4:5], v[4:5], v[134:135]
	v_mov_b32_e32 v95, v93
	v_pk_mul_f32 v[92:93], v[126:127], v[92:93] op_sel_hi:[1,0]
	v_pk_add_f32 v[4:5], v[4:5], v[94:95]
	s_waitcnt vmcnt(6)
	v_pk_fma_f32 v[94:95], v[126:127], v[142:143], v[92:93] op_sel:[0,0,1] op_sel_hi:[1,1,0] neg_lo:[0,0,1] neg_hi:[0,0,1]
	v_pk_fma_f32 v[92:93], v[126:127], v[142:143], v[92:93] op_sel:[0,0,1] op_sel_hi:[1,0,0]
	v_mov_b32_e32 v92, v141
	v_mov_b32_e32 v95, v93
	s_waitcnt lgkmcnt(2)
	v_pk_mul_f32 v[92:93], v[80:81], v[92:93] op_sel_hi:[1,0]
	v_pk_add_f32 v[4:5], v[4:5], v[94:95]
	v_pk_fma_f32 v[94:95], v[80:81], v[140:141], v[92:93] op_sel:[0,0,1] op_sel_hi:[1,1,0] neg_lo:[0,0,1] neg_hi:[0,0,1]
	v_pk_fma_f32 v[80:81], v[80:81], v[140:141], v[92:93] op_sel:[0,0,1] op_sel_hi:[1,0,0]
	v_mov_b32_e32 v80, v139
	v_mov_b32_e32 v95, v81
	v_pk_mul_f32 v[80:81], v[82:83], v[80:81] op_sel_hi:[1,0]
	v_pk_fma_f32 v[92:93], v[82:83], v[138:139], v[80:81] op_sel:[0,0,1] op_sel_hi:[1,1,0] neg_lo:[0,0,1] neg_hi:[0,0,1]
	v_pk_fma_f32 v[80:81], v[82:83], v[138:139], v[80:81] op_sel:[0,0,1] op_sel_hi:[1,0,0]
	v_mov_b32_e32 v80, v137
	v_mov_b32_e32 v93, v81
	s_waitcnt lgkmcnt(1)
	v_pk_mul_f32 v[80:81], v[84:85], v[80:81] op_sel_hi:[1,0]
	v_pk_fma_f32 v[82:83], v[84:85], v[136:137], v[80:81] op_sel:[0,0,1] op_sel_hi:[1,1,0] neg_lo:[0,0,1] neg_hi:[0,0,1]
	v_pk_fma_f32 v[80:81], v[84:85], v[136:137], v[80:81] op_sel:[0,0,1] op_sel_hi:[1,0,0]
	v_pk_add_f32 v[4:5], v[4:5], v[94:95]
	s_waitcnt vmcnt(1)
	v_mov_b32_e32 v80, v149
	v_pk_add_f32 v[4:5], v[4:5], v[92:93]
	v_mov_b32_e32 v83, v81
	v_pk_mul_f32 v[80:81], v[86:87], v[80:81] op_sel_hi:[1,0]
	v_pk_add_f32 v[4:5], v[4:5], v[82:83]
	s_waitcnt vmcnt(0)
	v_pk_fma_f32 v[82:83], v[86:87], v[148:149], v[80:81] op_sel:[0,0,1] op_sel_hi:[1,1,0] neg_lo:[0,0,1] neg_hi:[0,0,1]
	v_pk_fma_f32 v[80:81], v[86:87], v[148:149], v[80:81] op_sel:[0,0,1] op_sel_hi:[1,0,0]
	v_mov_b32_e32 v80, v147
	v_mov_b32_e32 v83, v81
	s_waitcnt lgkmcnt(0)
	v_pk_mul_f32 v[80:81], v[88:89], v[80:81] op_sel_hi:[1,0]
	v_pk_add_f32 v[4:5], v[4:5], v[82:83]
	v_pk_fma_f32 v[82:83], v[88:89], v[146:147], v[80:81] op_sel:[0,0,1] op_sel_hi:[1,1,0] neg_lo:[0,0,1] neg_hi:[0,0,1]
	v_pk_fma_f32 v[80:81], v[88:89], v[146:147], v[80:81] op_sel:[0,0,1] op_sel_hi:[1,0,0]
	v_mov_b32_e32 v80, v145
	v_mov_b32_e32 v83, v81
	v_pk_mul_f32 v[80:81], v[90:91], v[80:81] op_sel_hi:[1,0]
	v_pk_add_f32 v[4:5], v[4:5], v[82:83]
	v_pk_fma_f32 v[82:83], v[90:91], v[144:145], v[80:81] op_sel:[0,0,1] op_sel_hi:[1,1,0] neg_lo:[0,0,1] neg_hi:[0,0,1]
	v_pk_fma_f32 v[80:81], v[90:91], v[144:145], v[80:81] op_sel:[0,0,1] op_sel_hi:[1,0,0]
	v_mov_b32_e32 v83, v81
	v_pk_add_f32 v[4:5], v[4:5], v[82:83]
	v_pk_add_f32 v[2:3], v[2:3], v[4:5] neg_lo:[0,1] neg_hi:[0,1]
	buffer_store_dword v3, off, s[0:3], 0 offset:52
	buffer_store_dword v2, off, s[0:3], 0 offset:48
	s_and_saveexec_b64 s[4:5], vcc
	s_cbranch_execz .LBB36_225
; %bb.224:
	buffer_load_dword v2, off, s[0:3], 0 offset:40
	buffer_load_dword v3, off, s[0:3], 0 offset:44
	v_mov_b32_e32 v4, 0
	buffer_store_dword v4, off, s[0:3], 0 offset:40
	buffer_store_dword v4, off, s[0:3], 0 offset:44
	s_waitcnt vmcnt(2)
	ds_write_b64 v1, v[2:3]
.LBB36_225:
	s_or_b64 exec, exec, s[4:5]
	s_waitcnt lgkmcnt(0)
	; wave barrier
	s_waitcnt lgkmcnt(0)
	buffer_load_dword v5, off, s[0:3], 0 offset:52
	buffer_load_dword v128, off, s[0:3], 0 offset:60
	;; [unrolled: 1-line block ×48, first 2 shown]
	v_mov_b32_e32 v4, 0
	ds_read_b128 v[80:83], v4 offset:352
	ds_read_b128 v[84:87], v4 offset:368
	ds_read_b128 v[88:91], v4 offset:384
	ds_read_b128 v[92:95], v4 offset:400
	ds_read_b128 v[96:99], v4 offset:416
	ds_read_b128 v[100:103], v4 offset:432
	v_cmp_lt_u32_e32 vcc, 4, v0
	s_waitcnt vmcnt(47) lgkmcnt(5)
	v_mul_f32_e32 v104, v80, v5
	s_waitcnt vmcnt(46)
	v_mul_f32_e32 v105, v82, v128
	s_waitcnt vmcnt(45) lgkmcnt(4)
	v_mul_f32_e32 v106, v84, v130
	s_waitcnt vmcnt(44)
	v_mul_f32_e32 v107, v86, v132
	;; [unrolled: 4-line block ×6, first 2 shown]
	s_waitcnt vmcnt(35)
	v_fmac_f32_e32 v104, v81, v158
	s_waitcnt vmcnt(34)
	v_fmac_f32_e32 v105, v83, v159
	v_add_f32_e32 v104, 0, v104
	s_waitcnt vmcnt(33)
	v_fmac_f32_e32 v106, v85, v160
	v_add_f32_e32 v104, v104, v105
	;; [unrolled: 3-line block ×8, first 2 shown]
	v_add_f32_e32 v108, v104, v112
	ds_read_b128 v[104:107], v4 offset:448
	s_waitcnt vmcnt(26)
	v_fmac_f32_e32 v113, v99, v167
	s_waitcnt vmcnt(25)
	v_fmac_f32_e32 v114, v101, v168
	v_add_f32_e32 v108, v108, v113
	s_waitcnt vmcnt(24)
	v_fmac_f32_e32 v115, v103, v169
	v_add_f32_e32 v108, v108, v114
	v_add_f32_e32 v112, v108, v115
	ds_read_b128 v[108:111], v4 offset:464
	s_waitcnt vmcnt(23) lgkmcnt(1)
	v_mul_f32_e32 v113, v104, v170
	s_waitcnt vmcnt(22)
	v_fmac_f32_e32 v113, v105, v171
	v_add_f32_e32 v112, v112, v113
	s_waitcnt vmcnt(21)
	v_mul_f32_e32 v113, v106, v172
	s_waitcnt vmcnt(20)
	v_fmac_f32_e32 v113, v107, v173
	v_add_f32_e32 v112, v112, v113
	s_waitcnt vmcnt(19) lgkmcnt(0)
	v_mul_f32_e32 v113, v108, v174
	s_waitcnt vmcnt(18)
	v_fmac_f32_e32 v113, v109, v175
	v_add_f32_e32 v116, v112, v113
	ds_read_b128 v[112:115], v4 offset:480
	s_waitcnt vmcnt(17)
	v_mul_f32_e32 v117, v110, v176
	s_waitcnt vmcnt(16)
	v_fmac_f32_e32 v117, v111, v177
	v_add_f32_e32 v120, v116, v117
	ds_read_b128 v[116:119], v4 offset:496
	s_waitcnt vmcnt(15) lgkmcnt(1)
	v_mul_f32_e32 v121, v112, v178
	s_waitcnt vmcnt(14)
	v_fmac_f32_e32 v121, v113, v179
	v_add_f32_e32 v120, v120, v121
	s_waitcnt vmcnt(13)
	v_mul_f32_e32 v121, v114, v180
	s_waitcnt vmcnt(12)
	v_fmac_f32_e32 v121, v115, v181
	v_add_f32_e32 v120, v120, v121
	s_waitcnt vmcnt(11) lgkmcnt(0)
	v_mul_f32_e32 v121, v116, v182
	s_waitcnt vmcnt(10)
	v_fmac_f32_e32 v121, v117, v183
	s_waitcnt vmcnt(9)
	v_mul_f32_e32 v125, v118, v184
	v_add_f32_e32 v124, v120, v121
	s_waitcnt vmcnt(8)
	v_fmac_f32_e32 v125, v119, v185
	ds_read_b128 v[120:123], v4 offset:512
	v_add_f32_e32 v129, v124, v125
	ds_read_b128 v[124:127], v4 offset:528
	buffer_load_dword v135, off, s[0:3], 0 offset:260
	buffer_load_dword v134, off, s[0:3], 0 offset:256
	;; [unrolled: 1-line block ×16, first 2 shown]
	v_mul_f32_e32 v5, v81, v5
	v_fma_f32 v5, v80, v158, -v5
	v_mul_f32_e32 v80, v83, v128
	v_add_f32_e32 v5, 0, v5
	v_fma_f32 v80, v82, v159, -v80
	v_add_f32_e32 v5, v5, v80
	v_mul_f32_e32 v80, v85, v130
	v_fma_f32 v80, v84, v160, -v80
	v_add_f32_e32 v5, v5, v80
	v_mul_f32_e32 v80, v87, v132
	;; [unrolled: 3-line block ×18, first 2 shown]
	v_fma_f32 v80, v118, v185, -v80
	s_waitcnt vmcnt(22) lgkmcnt(1)
	v_mul_f32_e32 v131, v120, v187
	v_add_f32_e32 v5, v5, v80
	v_mul_f32_e32 v80, v121, v187
	v_fmac_f32_e32 v131, v121, v186
	v_fma_f32 v80, v120, v186, -v80
	v_add_f32_e32 v129, v129, v131
	s_waitcnt vmcnt(19)
	v_mul_f32_e32 v131, v122, v188
	v_add_f32_e32 v128, v5, v80
	v_mul_f32_e32 v5, v123, v188
	s_waitcnt vmcnt(18)
	v_fmac_f32_e32 v131, v123, v189
	s_waitcnt vmcnt(17) lgkmcnt(0)
	v_mul_f32_e32 v133, v124, v190
	s_waitcnt vmcnt(9)
	v_mov_b32_e32 v96, v141
	v_pk_mul_f32 v[96:97], v[126:127], v[96:97] op_sel_hi:[1,0]
	v_fma_f32 v130, v122, v189, -v5
	v_mul_f32_e32 v5, v125, v190
	ds_read_b128 v[80:83], v4 offset:544
	ds_read_b128 v[84:87], v4 offset:560
	;; [unrolled: 1-line block ×3, first 2 shown]
	ds_read_b64 v[92:93], v4 offset:592
	s_waitcnt vmcnt(8)
	v_pk_fma_f32 v[98:99], v[126:127], v[140:141], v[96:97] op_sel:[0,0,1] op_sel_hi:[1,1,0] neg_lo:[0,0,1] neg_hi:[0,0,1]
	v_pk_fma_f32 v[96:97], v[126:127], v[140:141], v[96:97] op_sel:[0,0,1] op_sel_hi:[1,0,0]
	v_fmac_f32_e32 v133, v125, v191
	v_fma_f32 v132, v124, v191, -v5
	v_pk_add_f32 v[94:95], v[128:129], v[130:131]
	v_mov_b32_e32 v96, v139
	v_pk_add_f32 v[94:95], v[94:95], v[132:133]
	v_mov_b32_e32 v99, v97
	s_waitcnt lgkmcnt(3)
	v_pk_mul_f32 v[96:97], v[80:81], v[96:97] op_sel_hi:[1,0]
	v_pk_add_f32 v[94:95], v[94:95], v[98:99]
	v_pk_fma_f32 v[98:99], v[80:81], v[138:139], v[96:97] op_sel:[0,0,1] op_sel_hi:[1,1,0] neg_lo:[0,0,1] neg_hi:[0,0,1]
	v_pk_fma_f32 v[80:81], v[80:81], v[138:139], v[96:97] op_sel:[0,0,1] op_sel_hi:[1,0,0]
	v_mov_b32_e32 v99, v81
	v_pk_add_f32 v[80:81], v[94:95], v[98:99]
	v_mov_b32_e32 v94, v137
	v_pk_mul_f32 v[94:95], v[82:83], v[94:95] op_sel_hi:[1,0]
	v_pk_fma_f32 v[96:97], v[82:83], v[136:137], v[94:95] op_sel:[0,0,1] op_sel_hi:[1,1,0] neg_lo:[0,0,1] neg_hi:[0,0,1]
	v_pk_fma_f32 v[82:83], v[82:83], v[136:137], v[94:95] op_sel:[0,0,1] op_sel_hi:[1,0,0]
	v_mov_b32_e32 v82, v135
	v_mov_b32_e32 v97, v83
	s_waitcnt lgkmcnt(2)
	v_pk_mul_f32 v[82:83], v[84:85], v[82:83] op_sel_hi:[1,0]
	v_pk_fma_f32 v[94:95], v[84:85], v[134:135], v[82:83] op_sel:[0,0,1] op_sel_hi:[1,1,0] neg_lo:[0,0,1] neg_hi:[0,0,1]
	v_pk_fma_f32 v[82:83], v[84:85], v[134:135], v[82:83] op_sel:[0,0,1] op_sel_hi:[1,0,0]
	s_waitcnt vmcnt(1)
	v_mov_b32_e32 v82, v149
	v_mov_b32_e32 v95, v83
	v_pk_mul_f32 v[82:83], v[86:87], v[82:83] op_sel_hi:[1,0]
	s_waitcnt vmcnt(0)
	v_pk_fma_f32 v[84:85], v[86:87], v[148:149], v[82:83] op_sel:[0,0,1] op_sel_hi:[1,1,0] neg_lo:[0,0,1] neg_hi:[0,0,1]
	v_pk_fma_f32 v[82:83], v[86:87], v[148:149], v[82:83] op_sel:[0,0,1] op_sel_hi:[1,0,0]
	v_pk_add_f32 v[80:81], v[80:81], v[96:97]
	v_mov_b32_e32 v82, v147
	v_pk_add_f32 v[80:81], v[80:81], v[94:95]
	v_mov_b32_e32 v85, v83
	s_waitcnt lgkmcnt(1)
	v_pk_mul_f32 v[82:83], v[88:89], v[82:83] op_sel_hi:[1,0]
	v_pk_add_f32 v[80:81], v[80:81], v[84:85]
	v_pk_fma_f32 v[84:85], v[88:89], v[146:147], v[82:83] op_sel:[0,0,1] op_sel_hi:[1,1,0] neg_lo:[0,0,1] neg_hi:[0,0,1]
	v_pk_fma_f32 v[82:83], v[88:89], v[146:147], v[82:83] op_sel:[0,0,1] op_sel_hi:[1,0,0]
	v_mov_b32_e32 v82, v145
	v_mov_b32_e32 v85, v83
	v_pk_mul_f32 v[82:83], v[90:91], v[82:83] op_sel_hi:[1,0]
	v_pk_add_f32 v[80:81], v[80:81], v[84:85]
	v_pk_fma_f32 v[84:85], v[90:91], v[144:145], v[82:83] op_sel:[0,0,1] op_sel_hi:[1,1,0] neg_lo:[0,0,1] neg_hi:[0,0,1]
	v_pk_fma_f32 v[82:83], v[90:91], v[144:145], v[82:83] op_sel:[0,0,1] op_sel_hi:[1,0,0]
	v_mov_b32_e32 v82, v143
	v_mov_b32_e32 v85, v83
	s_waitcnt lgkmcnt(0)
	v_pk_mul_f32 v[82:83], v[92:93], v[82:83] op_sel_hi:[1,0]
	v_pk_add_f32 v[80:81], v[80:81], v[84:85]
	v_pk_fma_f32 v[84:85], v[92:93], v[142:143], v[82:83] op_sel:[0,0,1] op_sel_hi:[1,1,0] neg_lo:[0,0,1] neg_hi:[0,0,1]
	v_pk_fma_f32 v[82:83], v[92:93], v[142:143], v[82:83] op_sel:[0,0,1] op_sel_hi:[1,0,0]
	v_mov_b32_e32 v85, v83
	v_pk_add_f32 v[80:81], v[80:81], v[84:85]
	v_pk_add_f32 v[2:3], v[2:3], v[80:81] neg_lo:[0,1] neg_hi:[0,1]
	buffer_store_dword v3, off, s[0:3], 0 offset:44
	buffer_store_dword v2, off, s[0:3], 0 offset:40
	s_and_saveexec_b64 s[4:5], vcc
	s_cbranch_execz .LBB36_227
; %bb.226:
	buffer_load_dword v2, off, s[0:3], 0 offset:32
	buffer_load_dword v3, off, s[0:3], 0 offset:36
	s_waitcnt vmcnt(0)
	ds_write_b64 v1, v[2:3]
	buffer_store_dword v4, off, s[0:3], 0 offset:32
	buffer_store_dword v4, off, s[0:3], 0 offset:36
.LBB36_227:
	s_or_b64 exec, exec, s[4:5]
	s_waitcnt lgkmcnt(0)
	; wave barrier
	s_waitcnt lgkmcnt(0)
	buffer_load_dword v5, off, s[0:3], 0 offset:44
	buffer_load_dword v128, off, s[0:3], 0 offset:52
	;; [unrolled: 1-line block ×48, first 2 shown]
	ds_read2_b64 v[80:83], v4 offset0:43 offset1:44
	ds_read2_b64 v[84:87], v4 offset0:45 offset1:46
	;; [unrolled: 1-line block ×6, first 2 shown]
	buffer_load_dword v192, off, s[0:3], 0 offset:224
	buffer_load_dword v193, off, s[0:3], 0 offset:228
	v_cmp_lt_u32_e32 vcc, 3, v0
	s_waitcnt vmcnt(49) lgkmcnt(5)
	v_mul_f32_e32 v104, v80, v5
	s_waitcnt vmcnt(48)
	v_mul_f32_e32 v105, v82, v128
	s_waitcnt vmcnt(47) lgkmcnt(4)
	v_mul_f32_e32 v106, v84, v130
	s_waitcnt vmcnt(46)
	v_mul_f32_e32 v107, v86, v138
	;; [unrolled: 4-line block ×6, first 2 shown]
	s_waitcnt vmcnt(37)
	v_fmac_f32_e32 v104, v81, v158
	s_waitcnt vmcnt(36)
	v_fmac_f32_e32 v105, v83, v159
	v_add_f32_e32 v104, 0, v104
	s_waitcnt vmcnt(35)
	v_fmac_f32_e32 v106, v85, v160
	v_add_f32_e32 v104, v104, v105
	;; [unrolled: 3-line block ×9, first 2 shown]
	v_add_f32_e32 v108, v104, v113
	ds_read2_b64 v[104:107], v4 offset0:55 offset1:56
	s_waitcnt vmcnt(27)
	v_fmac_f32_e32 v114, v101, v168
	v_add_f32_e32 v108, v108, v114
	s_waitcnt vmcnt(26)
	v_fmac_f32_e32 v115, v103, v169
	v_add_f32_e32 v112, v108, v115
	ds_read2_b64 v[108:111], v4 offset0:57 offset1:58
	s_waitcnt vmcnt(25) lgkmcnt(1)
	v_mul_f32_e32 v113, v104, v170
	s_waitcnt vmcnt(24)
	v_fmac_f32_e32 v113, v105, v171
	v_add_f32_e32 v112, v112, v113
	s_waitcnt vmcnt(23)
	v_mul_f32_e32 v113, v106, v172
	s_waitcnt vmcnt(22)
	v_fmac_f32_e32 v113, v107, v173
	v_add_f32_e32 v112, v112, v113
	s_waitcnt vmcnt(21) lgkmcnt(0)
	v_mul_f32_e32 v113, v108, v174
	s_waitcnt vmcnt(20)
	v_fmac_f32_e32 v113, v109, v175
	v_add_f32_e32 v116, v112, v113
	ds_read2_b64 v[112:115], v4 offset0:59 offset1:60
	s_waitcnt vmcnt(19)
	v_mul_f32_e32 v117, v110, v176
	s_waitcnt vmcnt(18)
	v_fmac_f32_e32 v117, v111, v177
	v_add_f32_e32 v120, v116, v117
	ds_read2_b64 v[116:119], v4 offset0:61 offset1:62
	s_waitcnt vmcnt(17) lgkmcnt(1)
	v_mul_f32_e32 v121, v112, v178
	s_waitcnt vmcnt(16)
	v_fmac_f32_e32 v121, v113, v179
	v_add_f32_e32 v120, v120, v121
	s_waitcnt vmcnt(15)
	v_mul_f32_e32 v121, v114, v180
	s_waitcnt vmcnt(14)
	v_fmac_f32_e32 v121, v115, v181
	v_add_f32_e32 v120, v120, v121
	s_waitcnt vmcnt(13) lgkmcnt(0)
	v_mul_f32_e32 v121, v116, v182
	s_waitcnt vmcnt(12)
	v_fmac_f32_e32 v121, v117, v183
	s_waitcnt vmcnt(11)
	v_mul_f32_e32 v125, v118, v184
	v_add_f32_e32 v124, v120, v121
	s_waitcnt vmcnt(10)
	v_fmac_f32_e32 v125, v119, v185
	ds_read2_b64 v[120:123], v4 offset0:63 offset1:64
	v_add_f32_e32 v129, v124, v125
	ds_read2_b64 v[124:127], v4 offset0:65 offset1:66
	buffer_load_dword v133, off, s[0:3], 0 offset:252
	buffer_load_dword v132, off, s[0:3], 0 offset:248
	;; [unrolled: 1-line block ×16, first 2 shown]
	v_mul_f32_e32 v5, v81, v5
	v_fma_f32 v5, v80, v158, -v5
	v_mul_f32_e32 v80, v83, v128
	v_add_f32_e32 v5, 0, v5
	v_fma_f32 v80, v82, v159, -v80
	v_add_f32_e32 v5, v5, v80
	v_mul_f32_e32 v80, v85, v130
	v_fma_f32 v80, v84, v160, -v80
	v_add_f32_e32 v5, v5, v80
	v_mul_f32_e32 v80, v87, v138
	;; [unrolled: 3-line block ×18, first 2 shown]
	v_fma_f32 v80, v118, v185, -v80
	v_add_f32_e32 v5, v5, v80
	s_waitcnt vmcnt(23) lgkmcnt(1)
	v_mul_f32_e32 v80, v121, v186
	s_waitcnt vmcnt(22)
	v_fma_f32 v80, v120, v187, -v80
	v_add_f32_e32 v5, v5, v80
	s_waitcnt vmcnt(20)
	v_mul_f32_e32 v80, v123, v189
	v_fma_f32 v80, v122, v188, -v80
	v_add_f32_e32 v128, v5, v80
	ds_read2_b64 v[80:83], v4 offset0:67 offset1:68
	ds_read2_b64 v[84:87], v4 offset0:69 offset1:70
	;; [unrolled: 1-line block ×4, first 2 shown]
	v_mul_f32_e32 v131, v120, v186
	v_fmac_f32_e32 v131, v121, v187
	v_add_f32_e32 v129, v129, v131
	v_mul_f32_e32 v131, v122, v189
	v_fmac_f32_e32 v131, v123, v188
	v_add_f32_e32 v129, v129, v131
	s_waitcnt vmcnt(18) lgkmcnt(4)
	v_mul_f32_e32 v131, v124, v191
	v_mul_f32_e32 v5, v125, v191
	v_fmac_f32_e32 v131, v125, v190
	s_waitcnt vmcnt(16)
	v_mul_f32_e32 v139, v126, v193
	s_waitcnt vmcnt(11)
	v_mov_b32_e32 v96, v137
	s_waitcnt lgkmcnt(3)
	v_pk_mul_f32 v[96:97], v[80:81], v[96:97] op_sel_hi:[1,0]
	s_waitcnt vmcnt(10)
	v_pk_fma_f32 v[98:99], v[80:81], v[136:137], v[96:97] op_sel:[0,0,1] op_sel_hi:[1,1,0] neg_lo:[0,0,1] neg_hi:[0,0,1]
	v_pk_fma_f32 v[80:81], v[80:81], v[136:137], v[96:97] op_sel:[0,0,1] op_sel_hi:[1,0,0]
	v_mov_b32_e32 v80, v135
	v_mov_b32_e32 v99, v81
	v_pk_mul_f32 v[80:81], v[82:83], v[80:81] op_sel_hi:[1,0]
	v_pk_fma_f32 v[96:97], v[82:83], v[134:135], v[80:81] op_sel:[0,0,1] op_sel_hi:[1,1,0] neg_lo:[0,0,1] neg_hi:[0,0,1]
	v_pk_fma_f32 v[80:81], v[82:83], v[134:135], v[80:81] op_sel:[0,0,1] op_sel_hi:[1,0,0]
	v_fma_f32 v130, v124, v190, -v5
	v_mul_f32_e32 v5, v127, v193
	v_mov_b32_e32 v80, v133
	v_fmac_f32_e32 v139, v127, v192
	v_fma_f32 v138, v126, v192, -v5
	v_pk_add_f32 v[4:5], v[128:129], v[130:131]
	v_mov_b32_e32 v97, v81
	s_waitcnt lgkmcnt(2)
	v_pk_mul_f32 v[80:81], v[84:85], v[80:81] op_sel_hi:[1,0]
	v_pk_add_f32 v[4:5], v[4:5], v[138:139]
	v_pk_fma_f32 v[82:83], v[84:85], v[132:133], v[80:81] op_sel:[0,0,1] op_sel_hi:[1,1,0] neg_lo:[0,0,1] neg_hi:[0,0,1]
	v_pk_fma_f32 v[80:81], v[84:85], v[132:133], v[80:81] op_sel:[0,0,1] op_sel_hi:[1,0,0]
	v_pk_add_f32 v[4:5], v[4:5], v[98:99]
	s_waitcnt vmcnt(3)
	v_mov_b32_e32 v80, v147
	v_pk_add_f32 v[4:5], v[4:5], v[96:97]
	v_mov_b32_e32 v83, v81
	v_pk_mul_f32 v[80:81], v[86:87], v[80:81] op_sel_hi:[1,0]
	v_pk_add_f32 v[4:5], v[4:5], v[82:83]
	s_waitcnt vmcnt(2)
	v_pk_fma_f32 v[82:83], v[86:87], v[146:147], v[80:81] op_sel:[0,0,1] op_sel_hi:[1,1,0] neg_lo:[0,0,1] neg_hi:[0,0,1]
	v_pk_fma_f32 v[80:81], v[86:87], v[146:147], v[80:81] op_sel:[0,0,1] op_sel_hi:[1,0,0]
	v_mov_b32_e32 v80, v145
	v_mov_b32_e32 v83, v81
	s_waitcnt lgkmcnt(1)
	v_pk_mul_f32 v[80:81], v[88:89], v[80:81] op_sel_hi:[1,0]
	v_pk_add_f32 v[4:5], v[4:5], v[82:83]
	v_pk_fma_f32 v[82:83], v[88:89], v[144:145], v[80:81] op_sel:[0,0,1] op_sel_hi:[1,1,0] neg_lo:[0,0,1] neg_hi:[0,0,1]
	v_pk_fma_f32 v[80:81], v[88:89], v[144:145], v[80:81] op_sel:[0,0,1] op_sel_hi:[1,0,0]
	v_mov_b32_e32 v80, v143
	v_mov_b32_e32 v83, v81
	v_pk_mul_f32 v[80:81], v[90:91], v[80:81] op_sel_hi:[1,0]
	v_pk_add_f32 v[4:5], v[4:5], v[82:83]
	v_pk_fma_f32 v[82:83], v[90:91], v[142:143], v[80:81] op_sel:[0,0,1] op_sel_hi:[1,1,0] neg_lo:[0,0,1] neg_hi:[0,0,1]
	v_pk_fma_f32 v[80:81], v[90:91], v[142:143], v[80:81] op_sel:[0,0,1] op_sel_hi:[1,0,0]
	v_mov_b32_e32 v80, v141
	v_mov_b32_e32 v83, v81
	s_waitcnt lgkmcnt(0)
	v_pk_mul_f32 v[80:81], v[92:93], v[80:81] op_sel_hi:[1,0]
	v_pk_add_f32 v[4:5], v[4:5], v[82:83]
	v_pk_fma_f32 v[82:83], v[92:93], v[140:141], v[80:81] op_sel:[0,0,1] op_sel_hi:[1,1,0] neg_lo:[0,0,1] neg_hi:[0,0,1]
	v_pk_fma_f32 v[80:81], v[92:93], v[140:141], v[80:81] op_sel:[0,0,1] op_sel_hi:[1,0,0]
	s_waitcnt vmcnt(1)
	v_mov_b32_e32 v80, v149
	v_mov_b32_e32 v83, v81
	v_pk_mul_f32 v[80:81], v[94:95], v[80:81] op_sel_hi:[1,0]
	v_pk_add_f32 v[4:5], v[4:5], v[82:83]
	s_waitcnt vmcnt(0)
	v_pk_fma_f32 v[82:83], v[94:95], v[148:149], v[80:81] op_sel:[0,0,1] op_sel_hi:[1,1,0] neg_lo:[0,0,1] neg_hi:[0,0,1]
	v_pk_fma_f32 v[80:81], v[94:95], v[148:149], v[80:81] op_sel:[0,0,1] op_sel_hi:[1,0,0]
	v_mov_b32_e32 v83, v81
	v_pk_add_f32 v[4:5], v[4:5], v[82:83]
	v_pk_add_f32 v[2:3], v[2:3], v[4:5] neg_lo:[0,1] neg_hi:[0,1]
	buffer_store_dword v3, off, s[0:3], 0 offset:36
	buffer_store_dword v2, off, s[0:3], 0 offset:32
	s_and_saveexec_b64 s[4:5], vcc
	s_cbranch_execz .LBB36_229
; %bb.228:
	buffer_load_dword v2, off, s[0:3], 0 offset:24
	buffer_load_dword v3, off, s[0:3], 0 offset:28
	v_mov_b32_e32 v4, 0
	buffer_store_dword v4, off, s[0:3], 0 offset:24
	buffer_store_dword v4, off, s[0:3], 0 offset:28
	s_waitcnt vmcnt(2)
	ds_write_b64 v1, v[2:3]
.LBB36_229:
	s_or_b64 exec, exec, s[4:5]
	s_waitcnt lgkmcnt(0)
	; wave barrier
	s_waitcnt lgkmcnt(0)
	buffer_load_dword v5, off, s[0:3], 0 offset:36
	buffer_load_dword v136, off, s[0:3], 0 offset:44
	;; [unrolled: 1-line block ×52, first 2 shown]
	v_mov_b32_e32 v4, 0
	ds_read_b128 v[80:83], v4 offset:336
	ds_read_b128 v[84:87], v4 offset:352
	;; [unrolled: 1-line block ×6, first 2 shown]
	v_cmp_lt_u32_e32 vcc, 2, v0
	s_waitcnt vmcnt(51) lgkmcnt(5)
	v_mul_f32_e32 v104, v80, v5
	s_waitcnt vmcnt(50)
	v_mul_f32_e32 v105, v82, v136
	s_waitcnt vmcnt(49) lgkmcnt(4)
	v_mul_f32_e32 v106, v84, v142
	s_waitcnt vmcnt(48)
	v_mul_f32_e32 v107, v86, v144
	;; [unrolled: 4-line block ×5, first 2 shown]
	s_waitcnt vmcnt(41) lgkmcnt(0)
	v_mul_f32_e32 v114, v100, v164
	s_waitcnt vmcnt(40)
	v_fmac_f32_e32 v104, v81, v165
	s_waitcnt vmcnt(39)
	v_fmac_f32_e32 v105, v83, v166
	v_add_f32_e32 v104, 0, v104
	s_waitcnt vmcnt(38)
	v_fmac_f32_e32 v106, v85, v167
	v_add_f32_e32 v104, v104, v105
	;; [unrolled: 3-line block ×9, first 2 shown]
	v_add_f32_e32 v104, v104, v113
	s_waitcnt vmcnt(30)
	v_fmac_f32_e32 v114, v101, v175
	v_add_f32_e32 v108, v104, v114
	ds_read_b128 v[104:107], v4 offset:432
	s_waitcnt vmcnt(29)
	v_mul_f32_e32 v109, v102, v176
	s_waitcnt vmcnt(28)
	v_fmac_f32_e32 v109, v103, v177
	v_add_f32_e32 v112, v108, v109
	ds_read_b128 v[108:111], v4 offset:448
	s_waitcnt vmcnt(27) lgkmcnt(1)
	v_mul_f32_e32 v113, v104, v178
	s_waitcnt vmcnt(26)
	v_fmac_f32_e32 v113, v105, v179
	v_add_f32_e32 v112, v112, v113
	s_waitcnt vmcnt(25)
	v_mul_f32_e32 v113, v106, v180
	s_waitcnt vmcnt(24)
	v_fmac_f32_e32 v113, v107, v181
	v_add_f32_e32 v112, v112, v113
	s_waitcnt vmcnt(23) lgkmcnt(0)
	v_mul_f32_e32 v113, v108, v182
	s_waitcnt vmcnt(22)
	v_fmac_f32_e32 v113, v109, v183
	v_add_f32_e32 v116, v112, v113
	ds_read_b128 v[112:115], v4 offset:464
	s_waitcnt vmcnt(21)
	v_mul_f32_e32 v117, v110, v184
	s_waitcnt vmcnt(20)
	v_fmac_f32_e32 v117, v111, v185
	v_add_f32_e32 v120, v116, v117
	ds_read_b128 v[116:119], v4 offset:480
	s_waitcnt vmcnt(19) lgkmcnt(1)
	v_mul_f32_e32 v121, v112, v186
	s_waitcnt vmcnt(18)
	v_fmac_f32_e32 v121, v113, v187
	v_add_f32_e32 v120, v120, v121
	s_waitcnt vmcnt(17)
	v_mul_f32_e32 v121, v114, v188
	s_waitcnt vmcnt(16)
	v_fmac_f32_e32 v121, v115, v189
	v_add_f32_e32 v120, v120, v121
	s_waitcnt vmcnt(14) lgkmcnt(0)
	v_mul_f32_e32 v121, v116, v191
	v_fmac_f32_e32 v121, v117, v190
	v_add_f32_e32 v124, v120, v121
	ds_read_b128 v[120:123], v4 offset:496
	s_waitcnt vmcnt(10)
	v_mul_f32_e32 v125, v118, v193
	v_fmac_f32_e32 v125, v119, v192
	v_add_f32_e32 v128, v124, v125
	ds_read_b128 v[124:127], v4 offset:512
	s_waitcnt vmcnt(8) lgkmcnt(1)
	v_mul_f32_e32 v129, v120, v195
	v_fmac_f32_e32 v129, v121, v194
	v_add_f32_e32 v128, v128, v129
	s_waitcnt vmcnt(6)
	v_mul_f32_e32 v129, v122, v197
	v_fmac_f32_e32 v129, v123, v196
	v_add_f32_e32 v128, v128, v129
	s_waitcnt vmcnt(4) lgkmcnt(0)
	v_mul_f32_e32 v129, v124, v199
	v_fmac_f32_e32 v129, v125, v198
	v_add_f32_e32 v137, v128, v129
	ds_read_b128 v[128:131], v4 offset:528
	buffer_load_dword v139, off, s[0:3], 0 offset:244
	buffer_load_dword v138, off, s[0:3], 0 offset:240
	;; [unrolled: 1-line block ×4, first 2 shown]
	ds_read_b128 v[132:135], v4 offset:544
	buffer_load_dword v147, off, s[0:3], 0 offset:276
	buffer_load_dword v146, off, s[0:3], 0 offset:272
	;; [unrolled: 1-line block ×12, first 2 shown]
	v_mul_f32_e32 v5, v81, v5
	v_fma_f32 v5, v80, v165, -v5
	v_mul_f32_e32 v80, v83, v136
	v_add_f32_e32 v5, 0, v5
	v_fma_f32 v80, v82, v166, -v80
	v_add_f32_e32 v5, v5, v80
	v_mul_f32_e32 v80, v85, v142
	v_fma_f32 v80, v84, v167, -v80
	v_add_f32_e32 v5, v5, v80
	v_mul_f32_e32 v80, v87, v144
	;; [unrolled: 3-line block ×21, first 2 shown]
	v_fma_f32 v80, v124, v198, -v80
	s_waitcnt vmcnt(18)
	v_mul_f32_e32 v143, v126, v201
	v_add_f32_e32 v136, v5, v80
	v_mul_f32_e32 v5, v127, v201
	v_fmac_f32_e32 v143, v127, v200
	s_waitcnt vmcnt(16) lgkmcnt(1)
	v_mul_f32_e32 v145, v128, v203
	v_fma_f32 v142, v126, v200, -v5
	v_mul_f32_e32 v5, v129, v203
	v_fmac_f32_e32 v145, v129, v202
	s_waitcnt vmcnt(13)
	v_mov_b32_e32 v92, v141
	v_pk_mul_f32 v[92:93], v[130:131], v[92:93] op_sel_hi:[1,0]
	s_waitcnt vmcnt(12)
	v_pk_fma_f32 v[94:95], v[130:131], v[140:141], v[92:93] op_sel:[0,0,1] op_sel_hi:[1,1,0] neg_lo:[0,0,1] neg_hi:[0,0,1]
	v_pk_fma_f32 v[92:93], v[130:131], v[140:141], v[92:93] op_sel:[0,0,1] op_sel_hi:[1,0,0]
	v_fma_f32 v144, v128, v202, -v5
	v_pk_add_f32 v[90:91], v[136:137], v[142:143]
	v_mov_b32_e32 v92, v139
	v_pk_add_f32 v[90:91], v[90:91], v[144:145]
	v_mov_b32_e32 v95, v93
	s_waitcnt lgkmcnt(0)
	v_pk_mul_f32 v[92:93], v[132:133], v[92:93] op_sel_hi:[1,0]
	v_pk_add_f32 v[90:91], v[90:91], v[94:95]
	v_pk_fma_f32 v[94:95], v[132:133], v[138:139], v[92:93] op_sel:[0,0,1] op_sel_hi:[1,1,0] neg_lo:[0,0,1] neg_hi:[0,0,1]
	v_pk_fma_f32 v[92:93], v[132:133], v[138:139], v[92:93] op_sel:[0,0,1] op_sel_hi:[1,0,0]
	s_waitcnt vmcnt(5)
	v_mov_b32_e32 v92, v153
	ds_read_b128 v[80:83], v4 offset:560
	ds_read_b128 v[84:87], v4 offset:576
	ds_read_b64 v[88:89], v4 offset:592
	v_mov_b32_e32 v95, v93
	v_pk_mul_f32 v[92:93], v[134:135], v[92:93] op_sel_hi:[1,0]
	v_pk_add_f32 v[90:91], v[90:91], v[94:95]
	s_waitcnt vmcnt(4)
	v_pk_fma_f32 v[94:95], v[134:135], v[152:153], v[92:93] op_sel:[0,0,1] op_sel_hi:[1,1,0] neg_lo:[0,0,1] neg_hi:[0,0,1]
	v_pk_fma_f32 v[92:93], v[134:135], v[152:153], v[92:93] op_sel:[0,0,1] op_sel_hi:[1,0,0]
	v_mov_b32_e32 v92, v151
	v_mov_b32_e32 v95, v93
	s_waitcnt lgkmcnt(2)
	v_pk_mul_f32 v[92:93], v[80:81], v[92:93] op_sel_hi:[1,0]
	v_pk_add_f32 v[90:91], v[90:91], v[94:95]
	v_pk_fma_f32 v[94:95], v[80:81], v[150:151], v[92:93] op_sel:[0,0,1] op_sel_hi:[1,1,0] neg_lo:[0,0,1] neg_hi:[0,0,1]
	v_pk_fma_f32 v[80:81], v[80:81], v[150:151], v[92:93] op_sel:[0,0,1] op_sel_hi:[1,0,0]
	v_mov_b32_e32 v95, v81
	v_pk_add_f32 v[80:81], v[90:91], v[94:95]
	v_mov_b32_e32 v90, v149
	v_pk_mul_f32 v[90:91], v[82:83], v[90:91] op_sel_hi:[1,0]
	v_pk_fma_f32 v[92:93], v[82:83], v[148:149], v[90:91] op_sel:[0,0,1] op_sel_hi:[1,1,0] neg_lo:[0,0,1] neg_hi:[0,0,1]
	v_pk_fma_f32 v[82:83], v[82:83], v[148:149], v[90:91] op_sel:[0,0,1] op_sel_hi:[1,0,0]
	v_mov_b32_e32 v82, v147
	v_mov_b32_e32 v93, v83
	s_waitcnt lgkmcnt(1)
	v_pk_mul_f32 v[82:83], v[84:85], v[82:83] op_sel_hi:[1,0]
	v_pk_fma_f32 v[90:91], v[84:85], v[146:147], v[82:83] op_sel:[0,0,1] op_sel_hi:[1,1,0] neg_lo:[0,0,1] neg_hi:[0,0,1]
	v_pk_fma_f32 v[82:83], v[84:85], v[146:147], v[82:83] op_sel:[0,0,1] op_sel_hi:[1,0,0]
	s_waitcnt vmcnt(1)
	v_mov_b32_e32 v82, v157
	v_mov_b32_e32 v91, v83
	v_pk_mul_f32 v[82:83], v[86:87], v[82:83] op_sel_hi:[1,0]
	s_waitcnt vmcnt(0)
	v_pk_fma_f32 v[84:85], v[86:87], v[156:157], v[82:83] op_sel:[0,0,1] op_sel_hi:[1,1,0] neg_lo:[0,0,1] neg_hi:[0,0,1]
	v_pk_fma_f32 v[82:83], v[86:87], v[156:157], v[82:83] op_sel:[0,0,1] op_sel_hi:[1,0,0]
	v_pk_add_f32 v[80:81], v[80:81], v[92:93]
	v_mov_b32_e32 v82, v155
	v_pk_add_f32 v[80:81], v[80:81], v[90:91]
	v_mov_b32_e32 v85, v83
	s_waitcnt lgkmcnt(0)
	v_pk_mul_f32 v[82:83], v[88:89], v[82:83] op_sel_hi:[1,0]
	v_pk_add_f32 v[80:81], v[80:81], v[84:85]
	v_pk_fma_f32 v[84:85], v[88:89], v[154:155], v[82:83] op_sel:[0,0,1] op_sel_hi:[1,1,0] neg_lo:[0,0,1] neg_hi:[0,0,1]
	v_pk_fma_f32 v[82:83], v[88:89], v[154:155], v[82:83] op_sel:[0,0,1] op_sel_hi:[1,0,0]
	v_mov_b32_e32 v85, v83
	v_pk_add_f32 v[80:81], v[80:81], v[84:85]
	v_pk_add_f32 v[2:3], v[2:3], v[80:81] neg_lo:[0,1] neg_hi:[0,1]
	buffer_store_dword v3, off, s[0:3], 0 offset:28
	buffer_store_dword v2, off, s[0:3], 0 offset:24
	s_and_saveexec_b64 s[4:5], vcc
	s_cbranch_execz .LBB36_231
; %bb.230:
	buffer_load_dword v2, off, s[0:3], 0 offset:16
	buffer_load_dword v3, off, s[0:3], 0 offset:20
	s_waitcnt vmcnt(0)
	ds_write_b64 v1, v[2:3]
	buffer_store_dword v4, off, s[0:3], 0 offset:16
	buffer_store_dword v4, off, s[0:3], 0 offset:20
.LBB36_231:
	s_or_b64 exec, exec, s[4:5]
	s_waitcnt lgkmcnt(0)
	; wave barrier
	s_waitcnt lgkmcnt(0)
	buffer_load_dword v5, off, s[0:3], 0 offset:28
	buffer_load_dword v138, off, s[0:3], 0 offset:36
	buffer_load_dword v140, off, s[0:3], 0 offset:44
	buffer_load_dword v142, off, s[0:3], 0 offset:52
	buffer_load_dword v158, off, s[0:3], 0 offset:60
	buffer_load_dword v159, off, s[0:3], 0 offset:68
	buffer_load_dword v160, off, s[0:3], 0 offset:76
	buffer_load_dword v161, off, s[0:3], 0 offset:84
	buffer_load_dword v162, off, s[0:3], 0 offset:92
	buffer_load_dword v163, off, s[0:3], 0 offset:100
	buffer_load_dword v164, off, s[0:3], 0 offset:24
	buffer_load_dword v165, off, s[0:3], 0 offset:32
	buffer_load_dword v166, off, s[0:3], 0 offset:40
	buffer_load_dword v167, off, s[0:3], 0 offset:48
	buffer_load_dword v168, off, s[0:3], 0 offset:56
	buffer_load_dword v169, off, s[0:3], 0 offset:64
	buffer_load_dword v170, off, s[0:3], 0 offset:72
	buffer_load_dword v171, off, s[0:3], 0 offset:80
	buffer_load_dword v172, off, s[0:3], 0 offset:88
	buffer_load_dword v173, off, s[0:3], 0 offset:96
	buffer_load_dword v174, off, s[0:3], 0 offset:108
	buffer_load_dword v175, off, s[0:3], 0 offset:104
	buffer_load_dword v176, off, s[0:3], 0 offset:116
	buffer_load_dword v177, off, s[0:3], 0 offset:112
	buffer_load_dword v178, off, s[0:3], 0 offset:124
	buffer_load_dword v179, off, s[0:3], 0 offset:120
	buffer_load_dword v180, off, s[0:3], 0 offset:132
	buffer_load_dword v181, off, s[0:3], 0 offset:128
	buffer_load_dword v182, off, s[0:3], 0 offset:140
	buffer_load_dword v183, off, s[0:3], 0 offset:136
	buffer_load_dword v184, off, s[0:3], 0 offset:148
	buffer_load_dword v185, off, s[0:3], 0 offset:144
	buffer_load_dword v186, off, s[0:3], 0 offset:156
	buffer_load_dword v187, off, s[0:3], 0 offset:152
	buffer_load_dword v188, off, s[0:3], 0 offset:160
	buffer_load_dword v189, off, s[0:3], 0 offset:164
	buffer_load_dword v2, off, s[0:3], 0 offset:16
	buffer_load_dword v3, off, s[0:3], 0 offset:20
	buffer_load_dword v190, off, s[0:3], 0 offset:172
	buffer_load_dword v191, off, s[0:3], 0 offset:168
	buffer_load_dword v192, off, s[0:3], 0 offset:176
	buffer_load_dword v193, off, s[0:3], 0 offset:180
	ds_read2_b64 v[80:83], v4 offset0:41 offset1:42
	ds_read2_b64 v[84:87], v4 offset0:43 offset1:44
	buffer_load_dword v194, off, s[0:3], 0 offset:184
	buffer_load_dword v195, off, s[0:3], 0 offset:188
	ds_read2_b64 v[88:91], v4 offset0:45 offset1:46
	ds_read2_b64 v[92:95], v4 offset0:47 offset1:48
	buffer_load_dword v196, off, s[0:3], 0 offset:192
	buffer_load_dword v197, off, s[0:3], 0 offset:196
	;; [unrolled: 1-line block ×4, first 2 shown]
	ds_read2_b64 v[96:99], v4 offset0:49 offset1:50
	ds_read2_b64 v[100:103], v4 offset0:51 offset1:52
	buffer_load_dword v200, off, s[0:3], 0 offset:208
	buffer_load_dword v201, off, s[0:3], 0 offset:212
	;; [unrolled: 1-line block ×6, first 2 shown]
	v_cmp_lt_u32_e32 vcc, 1, v0
	s_waitcnt vmcnt(53) lgkmcnt(5)
	v_mul_f32_e32 v104, v80, v5
	s_waitcnt vmcnt(52)
	v_mul_f32_e32 v105, v82, v138
	s_waitcnt vmcnt(51) lgkmcnt(4)
	v_mul_f32_e32 v106, v84, v140
	s_waitcnt vmcnt(50)
	v_mul_f32_e32 v107, v86, v142
	;; [unrolled: 4-line block ×5, first 2 shown]
	s_waitcnt vmcnt(43)
	v_fmac_f32_e32 v104, v81, v164
	s_waitcnt vmcnt(42)
	v_fmac_f32_e32 v105, v83, v165
	v_add_f32_e32 v104, 0, v104
	s_waitcnt vmcnt(41)
	v_fmac_f32_e32 v106, v85, v166
	v_add_f32_e32 v104, v104, v105
	;; [unrolled: 3-line block ×9, first 2 shown]
	s_waitcnt vmcnt(33) lgkmcnt(0)
	v_mul_f32_e32 v105, v100, v174
	v_add_f32_e32 v104, v104, v113
	s_waitcnt vmcnt(32)
	v_fmac_f32_e32 v105, v101, v175
	v_add_f32_e32 v108, v104, v105
	ds_read2_b64 v[104:107], v4 offset0:53 offset1:54
	s_waitcnt vmcnt(31)
	v_mul_f32_e32 v109, v102, v176
	s_waitcnt vmcnt(30)
	v_fmac_f32_e32 v109, v103, v177
	v_add_f32_e32 v112, v108, v109
	ds_read2_b64 v[108:111], v4 offset0:55 offset1:56
	s_waitcnt vmcnt(29) lgkmcnt(1)
	v_mul_f32_e32 v113, v104, v178
	s_waitcnt vmcnt(28)
	v_fmac_f32_e32 v113, v105, v179
	v_add_f32_e32 v112, v112, v113
	s_waitcnt vmcnt(27)
	v_mul_f32_e32 v113, v106, v180
	s_waitcnt vmcnt(26)
	v_fmac_f32_e32 v113, v107, v181
	v_add_f32_e32 v112, v112, v113
	s_waitcnt vmcnt(25) lgkmcnt(0)
	v_mul_f32_e32 v113, v108, v182
	s_waitcnt vmcnt(24)
	v_fmac_f32_e32 v113, v109, v183
	v_add_f32_e32 v116, v112, v113
	ds_read2_b64 v[112:115], v4 offset0:57 offset1:58
	s_waitcnt vmcnt(23)
	v_mul_f32_e32 v117, v110, v184
	s_waitcnt vmcnt(22)
	v_fmac_f32_e32 v117, v111, v185
	v_add_f32_e32 v120, v116, v117
	ds_read2_b64 v[116:119], v4 offset0:59 offset1:60
	s_waitcnt vmcnt(21) lgkmcnt(1)
	v_mul_f32_e32 v121, v112, v186
	s_waitcnt vmcnt(20)
	v_fmac_f32_e32 v121, v113, v187
	v_add_f32_e32 v120, v120, v121
	s_waitcnt vmcnt(18)
	v_mul_f32_e32 v121, v114, v189
	v_fmac_f32_e32 v121, v115, v188
	v_add_f32_e32 v120, v120, v121
	s_waitcnt vmcnt(15) lgkmcnt(0)
	v_mul_f32_e32 v121, v116, v190
	s_waitcnt vmcnt(14)
	v_fmac_f32_e32 v121, v117, v191
	v_add_f32_e32 v124, v120, v121
	ds_read2_b64 v[120:123], v4 offset0:61 offset1:62
	s_waitcnt vmcnt(12)
	v_mul_f32_e32 v125, v118, v193
	v_fmac_f32_e32 v125, v119, v192
	v_add_f32_e32 v128, v124, v125
	ds_read2_b64 v[124:127], v4 offset0:63 offset1:64
	buffer_load_dword v137, off, s[0:3], 0 offset:236
	buffer_load_dword v136, off, s[0:3], 0 offset:232
	s_waitcnt vmcnt(12) lgkmcnt(1)
	v_mul_f32_e32 v129, v120, v195
	v_fmac_f32_e32 v129, v121, v194
	v_add_f32_e32 v128, v128, v129
	s_waitcnt vmcnt(10)
	v_mul_f32_e32 v129, v122, v197
	v_fmac_f32_e32 v129, v123, v196
	v_add_f32_e32 v128, v128, v129
	s_waitcnt vmcnt(8) lgkmcnt(0)
	v_mul_f32_e32 v129, v124, v199
	v_fmac_f32_e32 v129, v125, v198
	s_waitcnt vmcnt(6)
	v_mul_f32_e32 v133, v126, v201
	v_add_f32_e32 v132, v128, v129
	v_fmac_f32_e32 v133, v127, v200
	ds_read2_b64 v[128:131], v4 offset0:65 offset1:66
	v_add_f32_e32 v139, v132, v133
	ds_read2_b64 v[132:135], v4 offset0:67 offset1:68
	buffer_load_dword v145, off, s[0:3], 0 offset:268
	buffer_load_dword v144, off, s[0:3], 0 offset:264
	;; [unrolled: 1-line block ×14, first 2 shown]
	v_mul_f32_e32 v5, v81, v5
	v_fma_f32 v5, v80, v164, -v5
	v_mul_f32_e32 v80, v83, v138
	v_add_f32_e32 v5, 0, v5
	v_fma_f32 v80, v82, v165, -v80
	v_add_f32_e32 v5, v5, v80
	v_mul_f32_e32 v80, v85, v140
	v_fma_f32 v80, v84, v166, -v80
	v_add_f32_e32 v5, v5, v80
	v_mul_f32_e32 v80, v87, v142
	;; [unrolled: 3-line block ×22, first 2 shown]
	v_fma_f32 v80, v126, v200, -v80
	s_waitcnt vmcnt(15)
	v_mov_b32_e32 v92, v137
	s_waitcnt lgkmcnt(1)
	v_mul_f32_e32 v141, v128, v203
	v_add_f32_e32 v138, v5, v80
	v_mul_f32_e32 v5, v129, v203
	s_waitcnt lgkmcnt(0)
	v_pk_mul_f32 v[92:93], v[132:133], v[92:93] op_sel_hi:[1,0]
	v_fmac_f32_e32 v141, v129, v202
	v_mul_f32_e32 v143, v130, v205
	v_fma_f32 v140, v128, v202, -v5
	v_mul_f32_e32 v5, v131, v205
	s_waitcnt vmcnt(14)
	v_pk_fma_f32 v[94:95], v[132:133], v[136:137], v[92:93] op_sel:[0,0,1] op_sel_hi:[1,1,0] neg_lo:[0,0,1] neg_hi:[0,0,1]
	v_pk_fma_f32 v[92:93], v[132:133], v[136:137], v[92:93] op_sel:[0,0,1] op_sel_hi:[1,0,0]
	v_fmac_f32_e32 v143, v131, v204
	v_fma_f32 v142, v130, v204, -v5
	ds_read2_b64 v[80:83], v4 offset0:69 offset1:70
	ds_read2_b64 v[84:87], v4 offset0:71 offset1:72
	;; [unrolled: 1-line block ×3, first 2 shown]
	v_pk_add_f32 v[4:5], v[138:139], v[140:141]
	s_waitcnt vmcnt(7)
	v_mov_b32_e32 v92, v151
	v_pk_add_f32 v[4:5], v[4:5], v[142:143]
	v_mov_b32_e32 v95, v93
	v_pk_mul_f32 v[92:93], v[134:135], v[92:93] op_sel_hi:[1,0]
	v_pk_add_f32 v[4:5], v[4:5], v[94:95]
	s_waitcnt vmcnt(6)
	v_pk_fma_f32 v[94:95], v[134:135], v[150:151], v[92:93] op_sel:[0,0,1] op_sel_hi:[1,1,0] neg_lo:[0,0,1] neg_hi:[0,0,1]
	v_pk_fma_f32 v[92:93], v[134:135], v[150:151], v[92:93] op_sel:[0,0,1] op_sel_hi:[1,0,0]
	v_mov_b32_e32 v92, v149
	v_mov_b32_e32 v95, v93
	s_waitcnt lgkmcnt(2)
	v_pk_mul_f32 v[92:93], v[80:81], v[92:93] op_sel_hi:[1,0]
	v_pk_add_f32 v[4:5], v[4:5], v[94:95]
	v_pk_fma_f32 v[94:95], v[80:81], v[148:149], v[92:93] op_sel:[0,0,1] op_sel_hi:[1,1,0] neg_lo:[0,0,1] neg_hi:[0,0,1]
	v_pk_fma_f32 v[80:81], v[80:81], v[148:149], v[92:93] op_sel:[0,0,1] op_sel_hi:[1,0,0]
	v_mov_b32_e32 v80, v147
	v_mov_b32_e32 v95, v81
	v_pk_mul_f32 v[80:81], v[82:83], v[80:81] op_sel_hi:[1,0]
	v_pk_fma_f32 v[92:93], v[82:83], v[146:147], v[80:81] op_sel:[0,0,1] op_sel_hi:[1,1,0] neg_lo:[0,0,1] neg_hi:[0,0,1]
	v_pk_fma_f32 v[80:81], v[82:83], v[146:147], v[80:81] op_sel:[0,0,1] op_sel_hi:[1,0,0]
	v_mov_b32_e32 v80, v145
	v_mov_b32_e32 v93, v81
	s_waitcnt lgkmcnt(1)
	v_pk_mul_f32 v[80:81], v[84:85], v[80:81] op_sel_hi:[1,0]
	v_pk_fma_f32 v[82:83], v[84:85], v[144:145], v[80:81] op_sel:[0,0,1] op_sel_hi:[1,1,0] neg_lo:[0,0,1] neg_hi:[0,0,1]
	v_pk_fma_f32 v[80:81], v[84:85], v[144:145], v[80:81] op_sel:[0,0,1] op_sel_hi:[1,0,0]
	v_pk_add_f32 v[4:5], v[4:5], v[94:95]
	s_waitcnt vmcnt(1)
	v_mov_b32_e32 v80, v157
	v_pk_add_f32 v[4:5], v[4:5], v[92:93]
	v_mov_b32_e32 v83, v81
	v_pk_mul_f32 v[80:81], v[86:87], v[80:81] op_sel_hi:[1,0]
	v_pk_add_f32 v[4:5], v[4:5], v[82:83]
	s_waitcnt vmcnt(0)
	v_pk_fma_f32 v[82:83], v[86:87], v[156:157], v[80:81] op_sel:[0,0,1] op_sel_hi:[1,1,0] neg_lo:[0,0,1] neg_hi:[0,0,1]
	v_pk_fma_f32 v[80:81], v[86:87], v[156:157], v[80:81] op_sel:[0,0,1] op_sel_hi:[1,0,0]
	v_mov_b32_e32 v80, v155
	v_mov_b32_e32 v83, v81
	s_waitcnt lgkmcnt(0)
	v_pk_mul_f32 v[80:81], v[88:89], v[80:81] op_sel_hi:[1,0]
	v_pk_add_f32 v[4:5], v[4:5], v[82:83]
	v_pk_fma_f32 v[82:83], v[88:89], v[154:155], v[80:81] op_sel:[0,0,1] op_sel_hi:[1,1,0] neg_lo:[0,0,1] neg_hi:[0,0,1]
	v_pk_fma_f32 v[80:81], v[88:89], v[154:155], v[80:81] op_sel:[0,0,1] op_sel_hi:[1,0,0]
	v_mov_b32_e32 v80, v153
	v_mov_b32_e32 v83, v81
	v_pk_mul_f32 v[80:81], v[90:91], v[80:81] op_sel_hi:[1,0]
	v_pk_add_f32 v[4:5], v[4:5], v[82:83]
	v_pk_fma_f32 v[82:83], v[90:91], v[152:153], v[80:81] op_sel:[0,0,1] op_sel_hi:[1,1,0] neg_lo:[0,0,1] neg_hi:[0,0,1]
	v_pk_fma_f32 v[80:81], v[90:91], v[152:153], v[80:81] op_sel:[0,0,1] op_sel_hi:[1,0,0]
	v_mov_b32_e32 v83, v81
	v_pk_add_f32 v[4:5], v[4:5], v[82:83]
	v_pk_add_f32 v[2:3], v[2:3], v[4:5] neg_lo:[0,1] neg_hi:[0,1]
	buffer_store_dword v3, off, s[0:3], 0 offset:20
	buffer_store_dword v2, off, s[0:3], 0 offset:16
	s_and_saveexec_b64 s[4:5], vcc
	s_cbranch_execz .LBB36_233
; %bb.232:
	buffer_load_dword v2, off, s[0:3], 0 offset:8
	buffer_load_dword v3, off, s[0:3], 0 offset:12
	v_mov_b32_e32 v4, 0
	buffer_store_dword v4, off, s[0:3], 0 offset:8
	buffer_store_dword v4, off, s[0:3], 0 offset:12
	s_waitcnt vmcnt(2)
	ds_write_b64 v1, v[2:3]
.LBB36_233:
	s_or_b64 exec, exec, s[4:5]
	s_waitcnt lgkmcnt(0)
	; wave barrier
	s_waitcnt lgkmcnt(0)
	buffer_load_dword v5, off, s[0:3], 0 offset:20
	buffer_load_dword v136, off, s[0:3], 0 offset:28
	;; [unrolled: 1-line block ×56, first 2 shown]
	v_mov_b32_e32 v4, 0
	ds_read_b128 v[80:83], v4 offset:320
	ds_read_b128 v[84:87], v4 offset:336
	;; [unrolled: 1-line block ×6, first 2 shown]
	v_cmp_ne_u32_e32 vcc, 0, v0
	s_waitcnt vmcnt(55) lgkmcnt(5)
	v_mul_f32_e32 v104, v80, v5
	s_waitcnt vmcnt(54)
	v_mul_f32_e32 v105, v82, v136
	s_waitcnt vmcnt(53) lgkmcnt(4)
	v_mul_f32_e32 v106, v84, v138
	s_waitcnt vmcnt(52)
	v_mul_f32_e32 v107, v86, v140
	s_waitcnt vmcnt(51) lgkmcnt(3)
	v_mul_f32_e32 v108, v88, v158
	s_waitcnt vmcnt(50)
	v_mul_f32_e32 v109, v90, v159
	s_waitcnt vmcnt(49) lgkmcnt(2)
	v_mul_f32_e32 v110, v92, v160
	s_waitcnt vmcnt(48)
	v_mul_f32_e32 v111, v94, v161
	s_waitcnt vmcnt(47) lgkmcnt(1)
	v_mul_f32_e32 v112, v96, v162
	s_waitcnt vmcnt(46)
	v_fmac_f32_e32 v104, v81, v163
	s_waitcnt vmcnt(45)
	v_fmac_f32_e32 v105, v83, v164
	v_add_f32_e32 v104, 0, v104
	s_waitcnt vmcnt(44)
	v_fmac_f32_e32 v106, v85, v165
	v_add_f32_e32 v104, v104, v105
	;; [unrolled: 3-line block ×7, first 2 shown]
	v_add_f32_e32 v104, v104, v111
	s_waitcnt vmcnt(38)
	v_fmac_f32_e32 v112, v97, v171
	s_waitcnt vmcnt(37)
	v_mul_f32_e32 v105, v98, v172
	v_add_f32_e32 v104, v104, v112
	s_waitcnt vmcnt(36)
	v_fmac_f32_e32 v105, v99, v173
	v_add_f32_e32 v104, v104, v105
	s_waitcnt vmcnt(35) lgkmcnt(0)
	v_mul_f32_e32 v105, v100, v174
	s_waitcnt vmcnt(34)
	v_fmac_f32_e32 v105, v101, v175
	v_add_f32_e32 v108, v104, v105
	ds_read_b128 v[104:107], v4 offset:416
	s_waitcnt vmcnt(33)
	v_mul_f32_e32 v109, v102, v176
	s_waitcnt vmcnt(32)
	v_fmac_f32_e32 v109, v103, v177
	v_add_f32_e32 v112, v108, v109
	ds_read_b128 v[108:111], v4 offset:432
	s_waitcnt vmcnt(31) lgkmcnt(1)
	v_mul_f32_e32 v113, v104, v178
	s_waitcnt vmcnt(30)
	v_fmac_f32_e32 v113, v105, v179
	v_add_f32_e32 v112, v112, v113
	s_waitcnt vmcnt(29)
	v_mul_f32_e32 v113, v106, v180
	s_waitcnt vmcnt(28)
	v_fmac_f32_e32 v113, v107, v181
	v_add_f32_e32 v112, v112, v113
	s_waitcnt vmcnt(27) lgkmcnt(0)
	v_mul_f32_e32 v113, v108, v182
	s_waitcnt vmcnt(26)
	v_fmac_f32_e32 v113, v109, v183
	v_add_f32_e32 v116, v112, v113
	ds_read_b128 v[112:115], v4 offset:448
	s_waitcnt vmcnt(24)
	v_mul_f32_e32 v117, v110, v185
	v_fmac_f32_e32 v117, v111, v184
	v_add_f32_e32 v120, v116, v117
	ds_read_b128 v[116:119], v4 offset:464
	s_waitcnt vmcnt(20) lgkmcnt(1)
	v_mul_f32_e32 v121, v112, v187
	v_fmac_f32_e32 v121, v113, v186
	v_add_f32_e32 v120, v120, v121
	s_waitcnt vmcnt(18)
	v_mul_f32_e32 v121, v114, v189
	v_fmac_f32_e32 v121, v115, v188
	v_add_f32_e32 v120, v120, v121
	s_waitcnt vmcnt(16) lgkmcnt(0)
	v_mul_f32_e32 v121, v116, v191
	v_fmac_f32_e32 v121, v117, v190
	v_add_f32_e32 v124, v120, v121
	ds_read_b128 v[120:123], v4 offset:480
	s_waitcnt vmcnt(14)
	v_mul_f32_e32 v125, v118, v193
	v_fmac_f32_e32 v125, v119, v192
	v_add_f32_e32 v128, v124, v125
	ds_read_b128 v[124:127], v4 offset:496
	s_waitcnt vmcnt(12) lgkmcnt(1)
	v_mul_f32_e32 v129, v120, v195
	v_fmac_f32_e32 v129, v121, v194
	v_add_f32_e32 v128, v128, v129
	s_waitcnt vmcnt(10)
	v_mul_f32_e32 v129, v122, v197
	v_fmac_f32_e32 v129, v123, v196
	v_add_f32_e32 v128, v128, v129
	s_waitcnt vmcnt(8) lgkmcnt(0)
	v_mul_f32_e32 v129, v124, v199
	v_fmac_f32_e32 v129, v125, v198
	s_waitcnt vmcnt(6)
	v_mul_f32_e32 v133, v126, v201
	v_add_f32_e32 v132, v128, v129
	v_fmac_f32_e32 v133, v127, v200
	ds_read_b128 v[128:131], v4 offset:512
	v_add_f32_e32 v137, v132, v133
	ds_read_b128 v[132:135], v4 offset:528
	buffer_load_dword v143, off, s[0:3], 0 offset:260
	buffer_load_dword v142, off, s[0:3], 0 offset:256
	;; [unrolled: 1-line block ×16, first 2 shown]
	v_mul_f32_e32 v5, v81, v5
	v_fma_f32 v5, v80, v163, -v5
	v_mul_f32_e32 v80, v83, v136
	v_add_f32_e32 v5, 0, v5
	v_fma_f32 v80, v82, v164, -v80
	v_add_f32_e32 v5, v5, v80
	v_mul_f32_e32 v80, v85, v138
	v_fma_f32 v80, v84, v165, -v80
	v_add_f32_e32 v5, v5, v80
	v_mul_f32_e32 v80, v87, v140
	;; [unrolled: 3-line block ×22, first 2 shown]
	v_fma_f32 v80, v126, v200, -v80
	s_waitcnt vmcnt(20) lgkmcnt(1)
	v_mul_f32_e32 v139, v128, v203
	v_add_f32_e32 v5, v5, v80
	v_mul_f32_e32 v80, v129, v203
	v_fmac_f32_e32 v139, v129, v202
	v_fma_f32 v80, v128, v202, -v80
	s_waitcnt vmcnt(9)
	v_mov_b32_e32 v96, v149
	v_add_f32_e32 v137, v137, v139
	v_mul_f32_e32 v139, v130, v205
	v_add_f32_e32 v136, v5, v80
	v_mul_f32_e32 v5, v131, v205
	s_waitcnt lgkmcnt(0)
	v_pk_mul_f32 v[96:97], v[134:135], v[96:97] op_sel_hi:[1,0]
	v_fmac_f32_e32 v139, v131, v204
	v_mul_f32_e32 v141, v132, v207
	v_fma_f32 v138, v130, v204, -v5
	v_mul_f32_e32 v5, v133, v207
	ds_read_b128 v[80:83], v4 offset:544
	ds_read_b128 v[84:87], v4 offset:560
	;; [unrolled: 1-line block ×3, first 2 shown]
	ds_read_b64 v[92:93], v4 offset:592
	s_waitcnt vmcnt(8)
	v_pk_fma_f32 v[98:99], v[134:135], v[148:149], v[96:97] op_sel:[0,0,1] op_sel_hi:[1,1,0] neg_lo:[0,0,1] neg_hi:[0,0,1]
	v_pk_fma_f32 v[96:97], v[134:135], v[148:149], v[96:97] op_sel:[0,0,1] op_sel_hi:[1,0,0]
	v_fmac_f32_e32 v141, v133, v206
	v_fma_f32 v140, v132, v206, -v5
	v_pk_add_f32 v[94:95], v[136:137], v[138:139]
	v_mov_b32_e32 v96, v147
	v_pk_add_f32 v[94:95], v[94:95], v[140:141]
	v_mov_b32_e32 v99, v97
	s_waitcnt lgkmcnt(3)
	v_pk_mul_f32 v[96:97], v[80:81], v[96:97] op_sel_hi:[1,0]
	v_pk_add_f32 v[94:95], v[94:95], v[98:99]
	v_pk_fma_f32 v[98:99], v[80:81], v[146:147], v[96:97] op_sel:[0,0,1] op_sel_hi:[1,1,0] neg_lo:[0,0,1] neg_hi:[0,0,1]
	v_pk_fma_f32 v[80:81], v[80:81], v[146:147], v[96:97] op_sel:[0,0,1] op_sel_hi:[1,0,0]
	v_mov_b32_e32 v99, v81
	v_pk_add_f32 v[80:81], v[94:95], v[98:99]
	v_mov_b32_e32 v94, v145
	v_pk_mul_f32 v[94:95], v[82:83], v[94:95] op_sel_hi:[1,0]
	v_pk_fma_f32 v[96:97], v[82:83], v[144:145], v[94:95] op_sel:[0,0,1] op_sel_hi:[1,1,0] neg_lo:[0,0,1] neg_hi:[0,0,1]
	v_pk_fma_f32 v[82:83], v[82:83], v[144:145], v[94:95] op_sel:[0,0,1] op_sel_hi:[1,0,0]
	v_mov_b32_e32 v82, v143
	v_mov_b32_e32 v97, v83
	s_waitcnt lgkmcnt(2)
	v_pk_mul_f32 v[82:83], v[84:85], v[82:83] op_sel_hi:[1,0]
	v_pk_fma_f32 v[94:95], v[84:85], v[142:143], v[82:83] op_sel:[0,0,1] op_sel_hi:[1,1,0] neg_lo:[0,0,1] neg_hi:[0,0,1]
	v_pk_fma_f32 v[82:83], v[84:85], v[142:143], v[82:83] op_sel:[0,0,1] op_sel_hi:[1,0,0]
	s_waitcnt vmcnt(1)
	v_mov_b32_e32 v82, v157
	v_mov_b32_e32 v95, v83
	v_pk_mul_f32 v[82:83], v[86:87], v[82:83] op_sel_hi:[1,0]
	s_waitcnt vmcnt(0)
	v_pk_fma_f32 v[84:85], v[86:87], v[156:157], v[82:83] op_sel:[0,0,1] op_sel_hi:[1,1,0] neg_lo:[0,0,1] neg_hi:[0,0,1]
	v_pk_fma_f32 v[82:83], v[86:87], v[156:157], v[82:83] op_sel:[0,0,1] op_sel_hi:[1,0,0]
	v_pk_add_f32 v[80:81], v[80:81], v[96:97]
	v_mov_b32_e32 v82, v155
	v_pk_add_f32 v[80:81], v[80:81], v[94:95]
	v_mov_b32_e32 v85, v83
	s_waitcnt lgkmcnt(1)
	v_pk_mul_f32 v[82:83], v[88:89], v[82:83] op_sel_hi:[1,0]
	v_pk_add_f32 v[80:81], v[80:81], v[84:85]
	v_pk_fma_f32 v[84:85], v[88:89], v[154:155], v[82:83] op_sel:[0,0,1] op_sel_hi:[1,1,0] neg_lo:[0,0,1] neg_hi:[0,0,1]
	v_pk_fma_f32 v[82:83], v[88:89], v[154:155], v[82:83] op_sel:[0,0,1] op_sel_hi:[1,0,0]
	v_mov_b32_e32 v82, v153
	v_mov_b32_e32 v85, v83
	v_pk_mul_f32 v[82:83], v[90:91], v[82:83] op_sel_hi:[1,0]
	v_pk_add_f32 v[80:81], v[80:81], v[84:85]
	v_pk_fma_f32 v[84:85], v[90:91], v[152:153], v[82:83] op_sel:[0,0,1] op_sel_hi:[1,1,0] neg_lo:[0,0,1] neg_hi:[0,0,1]
	v_pk_fma_f32 v[82:83], v[90:91], v[152:153], v[82:83] op_sel:[0,0,1] op_sel_hi:[1,0,0]
	v_mov_b32_e32 v82, v151
	v_mov_b32_e32 v85, v83
	s_waitcnt lgkmcnt(0)
	v_pk_mul_f32 v[82:83], v[92:93], v[82:83] op_sel_hi:[1,0]
	v_pk_add_f32 v[80:81], v[80:81], v[84:85]
	v_pk_fma_f32 v[84:85], v[92:93], v[150:151], v[82:83] op_sel:[0,0,1] op_sel_hi:[1,1,0] neg_lo:[0,0,1] neg_hi:[0,0,1]
	v_pk_fma_f32 v[82:83], v[92:93], v[150:151], v[82:83] op_sel:[0,0,1] op_sel_hi:[1,0,0]
	v_mov_b32_e32 v85, v83
	v_pk_add_f32 v[80:81], v[80:81], v[84:85]
	v_pk_add_f32 v[2:3], v[2:3], v[80:81] neg_lo:[0,1] neg_hi:[0,1]
	buffer_store_dword v3, off, s[0:3], 0 offset:12
	buffer_store_dword v2, off, s[0:3], 0 offset:8
	s_and_saveexec_b64 s[4:5], vcc
	s_cbranch_execz .LBB36_235
; %bb.234:
	buffer_load_dword v2, off, s[0:3], 0
	buffer_load_dword v3, off, s[0:3], 0 offset:4
	s_waitcnt vmcnt(0)
	ds_write_b64 v1, v[2:3]
	buffer_store_dword v4, off, s[0:3], 0
	buffer_store_dword v4, off, s[0:3], 0 offset:4
.LBB36_235:
	s_or_b64 exec, exec, s[4:5]
	s_waitcnt lgkmcnt(0)
	; wave barrier
	s_waitcnt lgkmcnt(0)
	buffer_load_dword v2, off, s[0:3], 0 offset:12
	buffer_load_dword v3, off, s[0:3], 0 offset:20
	;; [unrolled: 1-line block ×30, first 2 shown]
	buffer_load_dword v0, off, s[0:3], 0
	buffer_load_dword v1, off, s[0:3], 0 offset:4
	buffer_load_dword v182, off, s[0:3], 0 offset:132
	;; [unrolled: 1-line block ×5, first 2 shown]
	ds_read2_b64 v[80:83], v4 offset0:39 offset1:40
	ds_read2_b64 v[84:87], v4 offset0:41 offset1:42
	buffer_load_dword v186, off, s[0:3], 0 offset:144
	buffer_load_dword v187, off, s[0:3], 0 offset:148
	;; [unrolled: 1-line block ×4, first 2 shown]
	ds_read2_b64 v[88:91], v4 offset0:43 offset1:44
	ds_read2_b64 v[92:95], v4 offset0:45 offset1:46
	buffer_load_dword v190, off, s[0:3], 0 offset:160
	buffer_load_dword v191, off, s[0:3], 0 offset:164
	ds_read2_b64 v[96:99], v4 offset0:47 offset1:48
	ds_read2_b64 v[100:103], v4 offset0:49 offset1:50
	buffer_load_dword v192, off, s[0:3], 0 offset:168
	buffer_load_dword v193, off, s[0:3], 0 offset:172
	;; [unrolled: 1-line block ×16, first 2 shown]
	s_and_b64 vcc, exec, s[20:21]
	s_waitcnt vmcnt(57) lgkmcnt(5)
	v_mul_f32_e32 v104, v80, v2
	s_waitcnt vmcnt(56)
	v_mul_f32_e32 v105, v82, v3
	s_waitcnt vmcnt(55) lgkmcnt(4)
	v_mul_f32_e32 v106, v84, v5
	s_waitcnt vmcnt(54)
	v_mul_f32_e32 v107, v86, v136
	;; [unrolled: 4-line block ×4, first 2 shown]
	s_waitcnt vmcnt(49)
	v_fmac_f32_e32 v104, v81, v160
	s_waitcnt vmcnt(48)
	v_fmac_f32_e32 v105, v83, v161
	v_add_f32_e32 v104, 0, v104
	s_waitcnt vmcnt(47)
	v_fmac_f32_e32 v106, v85, v162
	v_add_f32_e32 v104, v104, v105
	;; [unrolled: 3-line block ×7, first 2 shown]
	s_waitcnt vmcnt(41) lgkmcnt(1)
	v_mul_f32_e32 v105, v96, v168
	v_add_f32_e32 v104, v104, v111
	s_waitcnt vmcnt(40)
	v_fmac_f32_e32 v105, v97, v169
	v_add_f32_e32 v104, v104, v105
	s_waitcnt vmcnt(39)
	v_mul_f32_e32 v105, v98, v170
	s_waitcnt vmcnt(38)
	v_fmac_f32_e32 v105, v99, v171
	v_add_f32_e32 v104, v104, v105
	s_waitcnt vmcnt(37) lgkmcnt(0)
	v_mul_f32_e32 v105, v100, v172
	s_waitcnt vmcnt(36)
	v_fmac_f32_e32 v105, v101, v173
	v_add_f32_e32 v108, v104, v105
	ds_read2_b64 v[104:107], v4 offset0:51 offset1:52
	s_waitcnt vmcnt(35)
	v_mul_f32_e32 v109, v102, v174
	s_waitcnt vmcnt(34)
	v_fmac_f32_e32 v109, v103, v175
	v_add_f32_e32 v112, v108, v109
	ds_read2_b64 v[108:111], v4 offset0:53 offset1:54
	s_waitcnt vmcnt(33) lgkmcnt(1)
	v_mul_f32_e32 v113, v104, v176
	s_waitcnt vmcnt(32)
	v_fmac_f32_e32 v113, v105, v177
	v_add_f32_e32 v112, v112, v113
	s_waitcnt vmcnt(31)
	v_mul_f32_e32 v113, v106, v178
	s_waitcnt vmcnt(30)
	v_fmac_f32_e32 v113, v107, v179
	v_add_f32_e32 v112, v112, v113
	s_waitcnt vmcnt(29) lgkmcnt(0)
	v_mul_f32_e32 v113, v108, v180
	s_waitcnt vmcnt(28)
	v_fmac_f32_e32 v113, v109, v181
	v_add_f32_e32 v116, v112, v113
	ds_read2_b64 v[112:115], v4 offset0:55 offset1:56
	s_waitcnt vmcnt(25)
	v_mul_f32_e32 v117, v110, v182
	s_waitcnt vmcnt(24)
	v_fmac_f32_e32 v117, v111, v183
	v_add_f32_e32 v120, v116, v117
	ds_read2_b64 v[116:119], v4 offset0:57 offset1:58
	s_waitcnt vmcnt(22) lgkmcnt(1)
	v_mul_f32_e32 v121, v112, v185
	v_fmac_f32_e32 v121, v113, v184
	v_add_f32_e32 v120, v120, v121
	s_waitcnt vmcnt(20)
	v_mul_f32_e32 v121, v114, v187
	v_fmac_f32_e32 v121, v115, v186
	v_add_f32_e32 v120, v120, v121
	s_waitcnt vmcnt(18) lgkmcnt(0)
	v_mul_f32_e32 v121, v116, v189
	v_fmac_f32_e32 v121, v117, v188
	v_add_f32_e32 v124, v120, v121
	ds_read2_b64 v[120:123], v4 offset0:59 offset1:60
	s_waitcnt vmcnt(16)
	v_mul_f32_e32 v125, v118, v191
	v_fmac_f32_e32 v125, v119, v190
	v_add_f32_e32 v128, v124, v125
	ds_read2_b64 v[124:127], v4 offset0:61 offset1:62
	s_waitcnt vmcnt(14) lgkmcnt(1)
	v_mul_f32_e32 v129, v120, v193
	v_fmac_f32_e32 v129, v121, v192
	v_add_f32_e32 v128, v128, v129
	s_waitcnt vmcnt(12)
	v_mul_f32_e32 v129, v122, v195
	v_fmac_f32_e32 v129, v123, v194
	v_add_f32_e32 v128, v128, v129
	s_waitcnt vmcnt(10) lgkmcnt(0)
	v_mul_f32_e32 v129, v124, v197
	v_fmac_f32_e32 v129, v125, v196
	s_waitcnt vmcnt(8)
	v_mul_f32_e32 v133, v126, v199
	v_add_f32_e32 v132, v128, v129
	v_fmac_f32_e32 v133, v127, v198
	ds_read2_b64 v[128:131], v4 offset0:63 offset1:64
	v_add_f32_e32 v137, v132, v133
	ds_read2_b64 v[132:135], v4 offset0:65 offset1:66
	buffer_load_dword v141, off, s[0:3], 0 offset:252
	buffer_load_dword v140, off, s[0:3], 0 offset:248
	;; [unrolled: 1-line block ×16, first 2 shown]
	v_mul_f32_e32 v2, v81, v2
	v_fma_f32 v2, v80, v160, -v2
	v_mul_f32_e32 v3, v83, v3
	v_add_f32_e32 v2, 0, v2
	v_fma_f32 v3, v82, v161, -v3
	v_add_f32_e32 v2, v2, v3
	v_mul_f32_e32 v3, v85, v5
	v_fma_f32 v3, v84, v162, -v3
	v_add_f32_e32 v2, v2, v3
	v_mul_f32_e32 v3, v87, v136
	;; [unrolled: 3-line block ×22, first 2 shown]
	v_fma_f32 v3, v126, v198, -v3
	v_add_f32_e32 v2, v2, v3
	s_waitcnt vmcnt(22) lgkmcnt(1)
	v_mul_f32_e32 v3, v129, v201
	v_fma_f32 v3, v128, v200, -v3
	v_add_f32_e32 v2, v2, v3
	s_waitcnt vmcnt(20)
	v_mul_f32_e32 v3, v131, v203
	v_mul_f32_e32 v139, v128, v201
	v_fma_f32 v3, v130, v202, -v3
	v_fmac_f32_e32 v139, v129, v200
	v_add_f32_e32 v136, v2, v3
	s_waitcnt vmcnt(18) lgkmcnt(0)
	v_mul_f32_e32 v2, v133, v205
	v_add_f32_e32 v137, v137, v139
	v_mul_f32_e32 v139, v130, v203
	v_fma_f32 v138, v132, v204, -v2
	s_waitcnt vmcnt(16)
	v_mul_f32_e32 v2, v135, v207
	v_fmac_f32_e32 v139, v131, v202
	v_fma_f32 v146, v134, v206, -v2
	ds_read2_b64 v[80:83], v4 offset0:67 offset1:68
	ds_read2_b64 v[84:87], v4 offset0:69 offset1:70
	;; [unrolled: 1-line block ×4, first 2 shown]
	v_add_f32_e32 v137, v137, v139
	v_mul_f32_e32 v139, v132, v205
	s_waitcnt vmcnt(11)
	v_mov_b32_e32 v94, v145
	v_fmac_f32_e32 v139, v133, v204
	v_mul_f32_e32 v147, v134, v207
	s_waitcnt lgkmcnt(3)
	v_pk_mul_f32 v[94:95], v[80:81], v[94:95] op_sel_hi:[1,0]
	v_fmac_f32_e32 v147, v135, v206
	v_pk_add_f32 v[92:93], v[136:137], v[138:139]
	s_waitcnt vmcnt(10)
	v_pk_fma_f32 v[96:97], v[80:81], v[144:145], v[94:95] op_sel:[0,0,1] op_sel_hi:[1,1,0] neg_lo:[0,0,1] neg_hi:[0,0,1]
	v_pk_fma_f32 v[80:81], v[80:81], v[144:145], v[94:95] op_sel:[0,0,1] op_sel_hi:[1,0,0]
	v_pk_add_f32 v[92:93], v[92:93], v[146:147]
	v_mov_b32_e32 v97, v81
	v_pk_add_f32 v[80:81], v[92:93], v[96:97]
	v_mov_b32_e32 v92, v143
	v_pk_mul_f32 v[92:93], v[82:83], v[92:93] op_sel_hi:[1,0]
	v_pk_fma_f32 v[94:95], v[82:83], v[142:143], v[92:93] op_sel:[0,0,1] op_sel_hi:[1,1,0] neg_lo:[0,0,1] neg_hi:[0,0,1]
	v_pk_fma_f32 v[82:83], v[82:83], v[142:143], v[92:93] op_sel:[0,0,1] op_sel_hi:[1,0,0]
	v_mov_b32_e32 v82, v141
	v_mov_b32_e32 v95, v83
	s_waitcnt lgkmcnt(2)
	v_pk_mul_f32 v[82:83], v[84:85], v[82:83] op_sel_hi:[1,0]
	v_pk_fma_f32 v[92:93], v[84:85], v[140:141], v[82:83] op_sel:[0,0,1] op_sel_hi:[1,1,0] neg_lo:[0,0,1] neg_hi:[0,0,1]
	v_pk_fma_f32 v[82:83], v[84:85], v[140:141], v[82:83] op_sel:[0,0,1] op_sel_hi:[1,0,0]
	s_waitcnt vmcnt(3)
	v_mov_b32_e32 v82, v155
	v_mov_b32_e32 v93, v83
	v_pk_mul_f32 v[82:83], v[86:87], v[82:83] op_sel_hi:[1,0]
	s_waitcnt vmcnt(2)
	v_pk_fma_f32 v[84:85], v[86:87], v[154:155], v[82:83] op_sel:[0,0,1] op_sel_hi:[1,1,0] neg_lo:[0,0,1] neg_hi:[0,0,1]
	v_pk_fma_f32 v[82:83], v[86:87], v[154:155], v[82:83] op_sel:[0,0,1] op_sel_hi:[1,0,0]
	v_pk_add_f32 v[80:81], v[80:81], v[94:95]
	v_mov_b32_e32 v82, v153
	v_pk_add_f32 v[80:81], v[80:81], v[92:93]
	v_mov_b32_e32 v85, v83
	s_waitcnt lgkmcnt(1)
	v_pk_mul_f32 v[82:83], v[88:89], v[82:83] op_sel_hi:[1,0]
	v_pk_add_f32 v[80:81], v[80:81], v[84:85]
	v_pk_fma_f32 v[84:85], v[88:89], v[152:153], v[82:83] op_sel:[0,0,1] op_sel_hi:[1,1,0] neg_lo:[0,0,1] neg_hi:[0,0,1]
	v_pk_fma_f32 v[82:83], v[88:89], v[152:153], v[82:83] op_sel:[0,0,1] op_sel_hi:[1,0,0]
	v_mov_b32_e32 v82, v151
	v_mov_b32_e32 v85, v83
	v_pk_mul_f32 v[82:83], v[90:91], v[82:83] op_sel_hi:[1,0]
	v_pk_add_f32 v[80:81], v[80:81], v[84:85]
	v_pk_fma_f32 v[84:85], v[90:91], v[150:151], v[82:83] op_sel:[0,0,1] op_sel_hi:[1,1,0] neg_lo:[0,0,1] neg_hi:[0,0,1]
	v_pk_fma_f32 v[82:83], v[90:91], v[150:151], v[82:83] op_sel:[0,0,1] op_sel_hi:[1,0,0]
	v_mov_b32_e32 v82, v149
	v_mov_b32_e32 v85, v83
	s_waitcnt lgkmcnt(0)
	v_pk_mul_f32 v[82:83], v[2:3], v[82:83] op_sel_hi:[1,0]
	v_pk_add_f32 v[80:81], v[80:81], v[84:85]
	v_pk_fma_f32 v[84:85], v[2:3], v[148:149], v[82:83] op_sel:[0,0,1] op_sel_hi:[1,1,0] neg_lo:[0,0,1] neg_hi:[0,0,1]
	v_pk_fma_f32 v[2:3], v[2:3], v[148:149], v[82:83] op_sel:[0,0,1] op_sel_hi:[1,0,0]
	v_mov_b32_e32 v85, v3
	v_pk_add_f32 v[2:3], v[80:81], v[84:85]
	s_waitcnt vmcnt(1)
	v_mov_b32_e32 v80, v157
	v_pk_mul_f32 v[80:81], v[4:5], v[80:81] op_sel_hi:[1,0]
	s_waitcnt vmcnt(0)
	v_pk_fma_f32 v[82:83], v[4:5], v[156:157], v[80:81] op_sel:[0,0,1] op_sel_hi:[1,1,0] neg_lo:[0,0,1] neg_hi:[0,0,1]
	v_pk_fma_f32 v[4:5], v[4:5], v[156:157], v[80:81] op_sel:[0,0,1] op_sel_hi:[1,0,0]
	v_mov_b32_e32 v83, v5
	v_pk_add_f32 v[2:3], v[2:3], v[82:83]
	v_pk_add_f32 v[0:1], v[0:1], v[2:3] neg_lo:[0,1] neg_hi:[0,1]
	buffer_store_dword v1, off, s[0:3], 0 offset:4
	buffer_store_dword v0, off, s[0:3], 0
	s_cbranch_vccz .LBB36_309
; %bb.236:
	v_pk_mov_b32 v[0:1], s[10:11], s[10:11] op_sel:[0,1]
	flat_load_dword v0, v[0:1] offset:140
	s_waitcnt vmcnt(0) lgkmcnt(0)
	v_add_u32_e32 v0, -1, v0
	v_cmp_ne_u32_e32 vcc, 35, v0
	s_and_saveexec_b64 s[4:5], vcc
	s_cbranch_execz .LBB36_238
; %bb.237:
	v_mov_b32_e32 v1, 0
	v_lshl_add_u32 v0, v0, 3, v1
	buffer_load_dword v1, v0, s[0:3], 0 offen
	buffer_load_dword v2, v0, s[0:3], 0 offen offset:4
	buffer_load_dword v3, off, s[0:3], 0 offset:280
	buffer_load_dword v4, off, s[0:3], 0 offset:284
	s_waitcnt vmcnt(3)
	buffer_store_dword v1, off, s[0:3], 0 offset:280
	s_waitcnt vmcnt(3)
	buffer_store_dword v2, off, s[0:3], 0 offset:284
	s_waitcnt vmcnt(3)
	buffer_store_dword v3, v0, s[0:3], 0 offen
	s_waitcnt vmcnt(3)
	buffer_store_dword v4, v0, s[0:3], 0 offen offset:4
.LBB36_238:
	s_or_b64 exec, exec, s[4:5]
	v_pk_mov_b32 v[0:1], s[10:11], s[10:11] op_sel:[0,1]
	flat_load_dword v0, v[0:1] offset:136
	s_waitcnt vmcnt(0) lgkmcnt(0)
	v_add_u32_e32 v0, -1, v0
	v_cmp_ne_u32_e32 vcc, 34, v0
	s_and_saveexec_b64 s[4:5], vcc
	s_cbranch_execz .LBB36_240
; %bb.239:
	v_mov_b32_e32 v1, 0
	v_lshl_add_u32 v0, v0, 3, v1
	buffer_load_dword v1, v0, s[0:3], 0 offen
	buffer_load_dword v2, v0, s[0:3], 0 offen offset:4
	buffer_load_dword v3, off, s[0:3], 0 offset:276
	buffer_load_dword v4, off, s[0:3], 0 offset:272
	s_waitcnt vmcnt(3)
	buffer_store_dword v1, off, s[0:3], 0 offset:272
	s_waitcnt vmcnt(3)
	buffer_store_dword v2, off, s[0:3], 0 offset:276
	s_waitcnt vmcnt(3)
	buffer_store_dword v3, v0, s[0:3], 0 offen offset:4
	s_waitcnt vmcnt(3)
	buffer_store_dword v4, v0, s[0:3], 0 offen
.LBB36_240:
	s_or_b64 exec, exec, s[4:5]
	v_pk_mov_b32 v[0:1], s[10:11], s[10:11] op_sel:[0,1]
	flat_load_dword v0, v[0:1] offset:132
	s_waitcnt vmcnt(0) lgkmcnt(0)
	v_add_u32_e32 v0, -1, v0
	v_cmp_ne_u32_e32 vcc, 33, v0
	s_and_saveexec_b64 s[4:5], vcc
	s_cbranch_execz .LBB36_242
; %bb.241:
	v_mov_b32_e32 v1, 0
	v_lshl_add_u32 v0, v0, 3, v1
	buffer_load_dword v1, v0, s[0:3], 0 offen
	buffer_load_dword v2, v0, s[0:3], 0 offen offset:4
	buffer_load_dword v3, off, s[0:3], 0 offset:264
	buffer_load_dword v4, off, s[0:3], 0 offset:268
	s_waitcnt vmcnt(3)
	buffer_store_dword v1, off, s[0:3], 0 offset:264
	s_waitcnt vmcnt(3)
	buffer_store_dword v2, off, s[0:3], 0 offset:268
	s_waitcnt vmcnt(3)
	buffer_store_dword v3, v0, s[0:3], 0 offen
	s_waitcnt vmcnt(3)
	buffer_store_dword v4, v0, s[0:3], 0 offen offset:4
.LBB36_242:
	s_or_b64 exec, exec, s[4:5]
	v_pk_mov_b32 v[0:1], s[10:11], s[10:11] op_sel:[0,1]
	flat_load_dword v0, v[0:1] offset:128
	s_waitcnt vmcnt(0) lgkmcnt(0)
	v_add_u32_e32 v0, -1, v0
	v_cmp_ne_u32_e32 vcc, 32, v0
	s_and_saveexec_b64 s[4:5], vcc
	s_cbranch_execz .LBB36_244
; %bb.243:
	v_mov_b32_e32 v1, 0
	v_lshl_add_u32 v0, v0, 3, v1
	buffer_load_dword v1, v0, s[0:3], 0 offen
	buffer_load_dword v2, v0, s[0:3], 0 offen offset:4
	buffer_load_dword v3, off, s[0:3], 0 offset:260
	buffer_load_dword v4, off, s[0:3], 0 offset:256
	s_waitcnt vmcnt(3)
	buffer_store_dword v1, off, s[0:3], 0 offset:256
	s_waitcnt vmcnt(3)
	buffer_store_dword v2, off, s[0:3], 0 offset:260
	s_waitcnt vmcnt(3)
	buffer_store_dword v3, v0, s[0:3], 0 offen offset:4
	s_waitcnt vmcnt(3)
	buffer_store_dword v4, v0, s[0:3], 0 offen
.LBB36_244:
	s_or_b64 exec, exec, s[4:5]
	;; [unrolled: 48-line block ×17, first 2 shown]
	v_pk_mov_b32 v[0:1], s[10:11], s[10:11] op_sel:[0,1]
	flat_load_dword v0, v[0:1] offset:4
	s_waitcnt vmcnt(0) lgkmcnt(0)
	v_add_u32_e32 v0, -1, v0
	v_cmp_ne_u32_e32 vcc, 1, v0
	s_and_saveexec_b64 s[4:5], vcc
	s_cbranch_execz .LBB36_306
; %bb.305:
	v_mov_b32_e32 v1, 0
	v_lshl_add_u32 v0, v0, 3, v1
	buffer_load_dword v1, v0, s[0:3], 0 offen
	buffer_load_dword v2, v0, s[0:3], 0 offen offset:4
	buffer_load_dword v3, off, s[0:3], 0 offset:8
	buffer_load_dword v4, off, s[0:3], 0 offset:12
	s_waitcnt vmcnt(3)
	buffer_store_dword v1, off, s[0:3], 0 offset:8
	s_waitcnt vmcnt(3)
	buffer_store_dword v2, off, s[0:3], 0 offset:12
	s_waitcnt vmcnt(3)
	buffer_store_dword v3, v0, s[0:3], 0 offen
	s_waitcnt vmcnt(3)
	buffer_store_dword v4, v0, s[0:3], 0 offen offset:4
.LBB36_306:
	s_or_b64 exec, exec, s[4:5]
	v_pk_mov_b32 v[0:1], s[10:11], s[10:11] op_sel:[0,1]
	flat_load_dword v2, v[0:1]
	s_nop 0
	buffer_load_dword v0, off, s[0:3], 0
	buffer_load_dword v1, off, s[0:3], 0 offset:4
	s_waitcnt vmcnt(0) lgkmcnt(0)
	v_add_u32_e32 v2, -1, v2
	v_cmp_ne_u32_e32 vcc, 0, v2
	s_and_saveexec_b64 s[4:5], vcc
	s_cbranch_execz .LBB36_308
; %bb.307:
	v_mov_b32_e32 v3, 0
	v_lshl_add_u32 v2, v2, 3, v3
	buffer_load_dword v3, v2, s[0:3], 0 offen offset:4
	buffer_load_dword v4, v2, s[0:3], 0 offen
	s_waitcnt vmcnt(1)
	buffer_store_dword v3, off, s[0:3], 0 offset:4
	s_waitcnt vmcnt(1)
	buffer_store_dword v4, off, s[0:3], 0
	buffer_store_dword v1, v2, s[0:3], 0 offen offset:4
	buffer_store_dword v0, v2, s[0:3], 0 offen
	buffer_load_dword v0, off, s[0:3], 0
	s_nop 0
	buffer_load_dword v1, off, s[0:3], 0 offset:4
.LBB36_308:
	s_or_b64 exec, exec, s[4:5]
.LBB36_309:
	buffer_load_dword v2, off, s[0:3], 0 offset:8
	buffer_load_dword v3, off, s[0:3], 0 offset:12
	;; [unrolled: 1-line block ×72, first 2 shown]
	s_waitcnt vmcnt(62)
	global_store_dwordx2 v[68:69], v[0:1], off
	global_store_dwordx2 v[70:71], v[2:3], off
	;; [unrolled: 1-line block ×6, first 2 shown]
	s_waitcnt vmcnt(62)
	global_store_dwordx2 v[14:15], v[86:87], off
	global_store_dwordx2 v[16:17], v[88:89], off
	;; [unrolled: 1-line block ×3, first 2 shown]
	s_waitcnt vmcnt(62)
	global_store_dwordx2 v[20:21], v[92:93], off
	s_waitcnt vmcnt(62)
	global_store_dwordx2 v[22:23], v[94:95], off
	s_waitcnt vmcnt(61)
	global_store_dwordx2 v[24:25], v[96:97], off
	s_waitcnt vmcnt(60)
	global_store_dwordx2 v[26:27], v[98:99], off
	s_waitcnt vmcnt(59)
	global_store_dwordx2 v[28:29], v[100:101], off
	s_waitcnt vmcnt(58)
	global_store_dwordx2 v[30:31], v[102:103], off
	s_waitcnt vmcnt(57)
	global_store_dwordx2 v[32:33], v[104:105], off
	s_waitcnt vmcnt(56)
	global_store_dwordx2 v[34:35], v[106:107], off
	s_waitcnt vmcnt(55)
	global_store_dwordx2 v[36:37], v[108:109], off
	s_waitcnt vmcnt(54)
	global_store_dwordx2 v[38:39], v[110:111], off
	s_waitcnt vmcnt(53)
	global_store_dwordx2 v[40:41], v[112:113], off
	s_waitcnt vmcnt(52)
	global_store_dwordx2 v[42:43], v[114:115], off
	s_waitcnt vmcnt(51)
	global_store_dwordx2 v[44:45], v[116:117], off
	s_waitcnt vmcnt(50)
	global_store_dwordx2 v[46:47], v[118:119], off
	s_waitcnt vmcnt(49)
	global_store_dwordx2 v[48:49], v[120:121], off
	s_waitcnt vmcnt(48)
	global_store_dwordx2 v[50:51], v[122:123], off
	s_waitcnt vmcnt(47)
	global_store_dwordx2 v[52:53], v[124:125], off
	s_waitcnt vmcnt(46)
	global_store_dwordx2 v[54:55], v[126:127], off
	s_waitcnt vmcnt(45)
	global_store_dwordx2 v[56:57], v[128:129], off
	s_waitcnt vmcnt(44)
	global_store_dwordx2 v[58:59], v[130:131], off
	s_waitcnt vmcnt(43)
	global_store_dwordx2 v[60:61], v[132:133], off
	s_waitcnt vmcnt(42)
	global_store_dwordx2 v[62:63], v[134:135], off
	s_waitcnt vmcnt(41)
	global_store_dwordx2 v[64:65], v[136:137], off
	s_waitcnt vmcnt(40)
	global_store_dwordx2 v[66:67], v[138:139], off
	s_waitcnt vmcnt(39)
	global_store_dwordx2 v[72:73], v[140:141], off
	s_waitcnt vmcnt(38)
	global_store_dwordx2 v[74:75], v[142:143], off
	s_waitcnt vmcnt(37)
	global_store_dwordx2 v[76:77], v[144:145], off
	s_waitcnt vmcnt(36)
	global_store_dwordx2 v[78:79], v[146:147], off
	s_endpgm
	.section	.rodata,"a",@progbits
	.p2align	6, 0x0
	.amdhsa_kernel _ZN9rocsolver6v33100L18getri_kernel_smallILi37E19rocblas_complex_numIfEPS3_EEvT1_iilPiilS6_bb
		.amdhsa_group_segment_fixed_size 600
		.amdhsa_private_segment_fixed_size 304
		.amdhsa_kernarg_size 60
		.amdhsa_user_sgpr_count 8
		.amdhsa_user_sgpr_private_segment_buffer 1
		.amdhsa_user_sgpr_dispatch_ptr 0
		.amdhsa_user_sgpr_queue_ptr 0
		.amdhsa_user_sgpr_kernarg_segment_ptr 1
		.amdhsa_user_sgpr_dispatch_id 0
		.amdhsa_user_sgpr_flat_scratch_init 1
		.amdhsa_user_sgpr_kernarg_preload_length 0
		.amdhsa_user_sgpr_kernarg_preload_offset 0
		.amdhsa_user_sgpr_private_segment_size 0
		.amdhsa_uses_dynamic_stack 0
		.amdhsa_system_sgpr_private_segment_wavefront_offset 1
		.amdhsa_system_sgpr_workgroup_id_x 1
		.amdhsa_system_sgpr_workgroup_id_y 0
		.amdhsa_system_sgpr_workgroup_id_z 0
		.amdhsa_system_sgpr_workgroup_info 0
		.amdhsa_system_vgpr_workitem_id 0
		.amdhsa_next_free_vgpr 208
		.amdhsa_next_free_sgpr 23
		.amdhsa_accum_offset 208
		.amdhsa_reserve_vcc 1
		.amdhsa_reserve_flat_scratch 1
		.amdhsa_float_round_mode_32 0
		.amdhsa_float_round_mode_16_64 0
		.amdhsa_float_denorm_mode_32 3
		.amdhsa_float_denorm_mode_16_64 3
		.amdhsa_dx10_clamp 1
		.amdhsa_ieee_mode 1
		.amdhsa_fp16_overflow 0
		.amdhsa_tg_split 0
		.amdhsa_exception_fp_ieee_invalid_op 0
		.amdhsa_exception_fp_denorm_src 0
		.amdhsa_exception_fp_ieee_div_zero 0
		.amdhsa_exception_fp_ieee_overflow 0
		.amdhsa_exception_fp_ieee_underflow 0
		.amdhsa_exception_fp_ieee_inexact 0
		.amdhsa_exception_int_div_zero 0
	.end_amdhsa_kernel
	.section	.text._ZN9rocsolver6v33100L18getri_kernel_smallILi37E19rocblas_complex_numIfEPS3_EEvT1_iilPiilS6_bb,"axG",@progbits,_ZN9rocsolver6v33100L18getri_kernel_smallILi37E19rocblas_complex_numIfEPS3_EEvT1_iilPiilS6_bb,comdat
.Lfunc_end36:
	.size	_ZN9rocsolver6v33100L18getri_kernel_smallILi37E19rocblas_complex_numIfEPS3_EEvT1_iilPiilS6_bb, .Lfunc_end36-_ZN9rocsolver6v33100L18getri_kernel_smallILi37E19rocblas_complex_numIfEPS3_EEvT1_iilPiilS6_bb
                                        ; -- End function
	.section	.AMDGPU.csdata,"",@progbits
; Kernel info:
; codeLenInByte = 60456
; NumSgprs: 29
; NumVgprs: 208
; NumAgprs: 0
; TotalNumVgprs: 208
; ScratchSize: 304
; MemoryBound: 0
; FloatMode: 240
; IeeeMode: 1
; LDSByteSize: 600 bytes/workgroup (compile time only)
; SGPRBlocks: 3
; VGPRBlocks: 25
; NumSGPRsForWavesPerEU: 29
; NumVGPRsForWavesPerEU: 208
; AccumOffset: 208
; Occupancy: 2
; WaveLimiterHint : 1
; COMPUTE_PGM_RSRC2:SCRATCH_EN: 1
; COMPUTE_PGM_RSRC2:USER_SGPR: 8
; COMPUTE_PGM_RSRC2:TRAP_HANDLER: 0
; COMPUTE_PGM_RSRC2:TGID_X_EN: 1
; COMPUTE_PGM_RSRC2:TGID_Y_EN: 0
; COMPUTE_PGM_RSRC2:TGID_Z_EN: 0
; COMPUTE_PGM_RSRC2:TIDIG_COMP_CNT: 0
; COMPUTE_PGM_RSRC3_GFX90A:ACCUM_OFFSET: 51
; COMPUTE_PGM_RSRC3_GFX90A:TG_SPLIT: 0
	.section	.text._ZN9rocsolver6v33100L18getri_kernel_smallILi38E19rocblas_complex_numIfEPS3_EEvT1_iilPiilS6_bb,"axG",@progbits,_ZN9rocsolver6v33100L18getri_kernel_smallILi38E19rocblas_complex_numIfEPS3_EEvT1_iilPiilS6_bb,comdat
	.globl	_ZN9rocsolver6v33100L18getri_kernel_smallILi38E19rocblas_complex_numIfEPS3_EEvT1_iilPiilS6_bb ; -- Begin function _ZN9rocsolver6v33100L18getri_kernel_smallILi38E19rocblas_complex_numIfEPS3_EEvT1_iilPiilS6_bb
	.p2align	8
	.type	_ZN9rocsolver6v33100L18getri_kernel_smallILi38E19rocblas_complex_numIfEPS3_EEvT1_iilPiilS6_bb,@function
_ZN9rocsolver6v33100L18getri_kernel_smallILi38E19rocblas_complex_numIfEPS3_EEvT1_iilPiilS6_bb: ; @_ZN9rocsolver6v33100L18getri_kernel_smallILi38E19rocblas_complex_numIfEPS3_EEvT1_iilPiilS6_bb
; %bb.0:
	s_add_u32 flat_scratch_lo, s6, s9
	s_addc_u32 flat_scratch_hi, s7, 0
	s_add_u32 s0, s0, s9
	s_addc_u32 s1, s1, 0
	v_cmp_gt_u32_e32 vcc, 38, v0
	s_and_saveexec_b64 s[6:7], vcc
	s_cbranch_execz .LBB37_166
; %bb.1:
	s_load_dword s22, s[4:5], 0x38
	s_load_dwordx4 s[16:19], s[4:5], 0x10
	s_load_dwordx4 s[12:15], s[4:5], 0x28
                                        ; implicit-def: $sgpr10_sgpr11
	s_waitcnt lgkmcnt(0)
	s_bitcmp1_b32 s22, 8
	s_cselect_b64 s[20:21], -1, 0
	s_ashr_i32 s9, s8, 31
	s_bfe_u32 s6, s22, 0x10008
	s_cmp_eq_u32 s6, 0
	s_cbranch_scc1 .LBB37_3
; %bb.2:
	s_load_dword s6, s[4:5], 0x20
	s_mul_i32 s7, s8, s13
	s_mul_hi_u32 s10, s8, s12
	s_mul_i32 s11, s9, s12
	s_add_i32 s10, s10, s7
	s_add_i32 s11, s10, s11
	s_mul_i32 s10, s8, s12
	s_waitcnt lgkmcnt(0)
	s_ashr_i32 s7, s6, 31
	s_lshl_b64 s[10:11], s[10:11], 2
	s_add_u32 s10, s18, s10
	s_addc_u32 s11, s19, s11
	s_lshl_b64 s[6:7], s[6:7], 2
	s_add_u32 s10, s10, s6
	s_addc_u32 s11, s11, s7
.LBB37_3:
	s_load_dwordx4 s[4:7], s[4:5], 0x0
	s_mul_i32 s12, s8, s17
	s_mul_hi_u32 s13, s8, s16
	s_add_i32 s17, s13, s12
	v_lshlrev_b32_e32 v6, 3, v0
	s_waitcnt lgkmcnt(0)
	s_ashr_i32 s13, s6, 31
	s_mov_b32 s12, s6
	s_mul_i32 s6, s9, s16
	s_add_i32 s17, s17, s6
	s_mul_i32 s16, s8, s16
	s_lshl_b64 s[16:17], s[16:17], 3
	s_add_u32 s6, s4, s16
	s_addc_u32 s16, s5, s17
	s_lshl_b64 s[4:5], s[12:13], 3
	s_add_u32 s4, s6, s4
	s_addc_u32 s5, s16, s5
	s_add_i32 s6, s7, s7
	v_add_u32_e32 v2, s6, v0
	v_ashrrev_i32_e32 v3, 31, v2
	v_lshlrev_b64 v[4:5], 3, v[2:3]
	v_add_u32_e32 v2, s7, v2
	v_mov_b32_e32 v1, s5
	v_add_co_u32_e32 v18, vcc, s4, v4
	v_ashrrev_i32_e32 v3, 31, v2
	v_addc_co_u32_e32 v19, vcc, v1, v5, vcc
	v_lshlrev_b64 v[4:5], 3, v[2:3]
	v_add_u32_e32 v2, s7, v2
	v_add_co_u32_e32 v20, vcc, s4, v4
	v_ashrrev_i32_e32 v3, 31, v2
	v_addc_co_u32_e32 v21, vcc, v1, v5, vcc
	v_lshlrev_b64 v[4:5], 3, v[2:3]
	v_add_u32_e32 v2, s7, v2
	;; [unrolled: 5-line block ×29, first 2 shown]
	v_add_co_u32_e32 v76, vcc, s4, v4
	v_ashrrev_i32_e32 v3, 31, v2
	v_addc_co_u32_e32 v77, vcc, v1, v5, vcc
	v_lshlrev_b64 v[4:5], 3, v[2:3]
	v_add_co_u32_e32 v78, vcc, s4, v4
	v_add_u32_e32 v2, s7, v2
	v_addc_co_u32_e32 v79, vcc, v1, v5, vcc
	v_ashrrev_i32_e32 v3, 31, v2
	v_lshlrev_b64 v[4:5], 3, v[2:3]
	v_mov_b32_e32 v3, s5
	v_add_co_u32_e32 v82, vcc, s4, v6
	s_ashr_i32 s13, s7, 31
	s_mov_b32 s12, s7
	v_addc_co_u32_e32 v83, vcc, 0, v3, vcc
	s_lshl_b64 s[12:13], s[12:13], 3
	v_mov_b32_e32 v3, s13
	v_add_co_u32_e32 v84, vcc, s12, v82
	v_addc_co_u32_e32 v85, vcc, v83, v3, vcc
	v_add_u32_e32 v2, s7, v2
	v_add_co_u32_e32 v80, vcc, s4, v4
	v_ashrrev_i32_e32 v3, 31, v2
	v_addc_co_u32_e32 v81, vcc, v1, v5, vcc
	v_lshlrev_b64 v[86:87], 3, v[2:3]
	v_add_u32_e32 v2, s7, v2
	v_add_co_u32_e32 v86, vcc, s4, v86
	v_ashrrev_i32_e32 v3, 31, v2
	v_addc_co_u32_e32 v87, vcc, v1, v87, vcc
	v_lshlrev_b64 v[88:89], 3, v[2:3]
	;; [unrolled: 5-line block ×3, first 2 shown]
	v_add_co_u32_e32 v90, vcc, s4, v90
	global_load_dwordx2 v[8:9], v6, s[4:5]
	global_load_dwordx2 v[10:11], v[84:85], off
	global_load_dwordx2 v[12:13], v[18:19], off
	;; [unrolled: 1-line block ×28, first 2 shown]
	v_addc_co_u32_e32 v91, vcc, v1, v91, vcc
	global_load_dwordx2 v[140:141], v[72:73], off
	global_load_dwordx2 v[142:143], v[74:75], off
	global_load_dwordx2 v[144:145], v[76:77], off
	global_load_dwordx2 v[146:147], v[78:79], off
	global_load_dwordx2 v[148:149], v[80:81], off
	global_load_dwordx2 v[150:151], v[86:87], off
	global_load_dwordx2 v[152:153], v[88:89], off
	global_load_dwordx2 v[154:155], v[90:91], off
	v_add_u32_e32 v2, s7, v2
	v_ashrrev_i32_e32 v3, 31, v2
	v_lshlrev_b64 v[2:3], 3, v[2:3]
	v_add_co_u32_e32 v92, vcc, s4, v2
	v_addc_co_u32_e32 v93, vcc, v1, v3, vcc
	global_load_dwordx2 v[2:3], v[92:93], off
	s_bitcmp0_b32 s22, 0
	s_mov_b64 s[6:7], -1
	s_waitcnt vmcnt(37)
	buffer_store_dword v9, off, s[0:3], 0 offset:4
	buffer_store_dword v8, off, s[0:3], 0
	s_waitcnt vmcnt(38)
	buffer_store_dword v11, off, s[0:3], 0 offset:12
	buffer_store_dword v10, off, s[0:3], 0 offset:8
	s_waitcnt vmcnt(39)
	buffer_store_dword v13, off, s[0:3], 0 offset:20
	buffer_store_dword v12, off, s[0:3], 0 offset:16
	;; [unrolled: 3-line block ×26, first 2 shown]
	buffer_store_dword v136, off, s[0:3], 0 offset:216
	buffer_store_dword v137, off, s[0:3], 0 offset:220
	s_waitcnt vmcnt(62)
	buffer_store_dword v138, off, s[0:3], 0 offset:224
	buffer_store_dword v139, off, s[0:3], 0 offset:228
	buffer_store_dword v140, off, s[0:3], 0 offset:232
	buffer_store_dword v141, off, s[0:3], 0 offset:236
	buffer_store_dword v142, off, s[0:3], 0 offset:240
	buffer_store_dword v143, off, s[0:3], 0 offset:244
	buffer_store_dword v145, off, s[0:3], 0 offset:252
	buffer_store_dword v144, off, s[0:3], 0 offset:248
	s_waitcnt vmcnt(62)
	buffer_store_dword v147, off, s[0:3], 0 offset:260
	buffer_store_dword v146, off, s[0:3], 0 offset:256
	;; [unrolled: 1-line block ×12, first 2 shown]
	s_cbranch_scc1 .LBB37_164
; %bb.4:
	v_cmp_eq_u32_e64 s[4:5], 0, v0
	s_and_saveexec_b64 s[6:7], s[4:5]
	s_cbranch_execz .LBB37_6
; %bb.5:
	v_mov_b32_e32 v1, 0
	ds_write_b32 v1, v1 offset:608
.LBB37_6:
	s_or_b64 exec, exec, s[6:7]
	v_mov_b32_e32 v1, 0
	v_lshl_add_u32 v7, v0, 3, v1
	s_waitcnt lgkmcnt(0)
	; wave barrier
	s_waitcnt lgkmcnt(0)
	buffer_load_dword v1, v7, s[0:3], 0 offen
	buffer_load_dword v2, v7, s[0:3], 0 offen offset:4
	s_waitcnt vmcnt(1)
	v_cmp_eq_f32_e32 vcc, 0, v1
	s_waitcnt vmcnt(0)
	v_cmp_eq_f32_e64 s[6:7], 0, v2
	s_and_b64 s[6:7], vcc, s[6:7]
	s_and_saveexec_b64 s[12:13], s[6:7]
	s_cbranch_execz .LBB37_10
; %bb.7:
	v_mov_b32_e32 v1, 0
	ds_read_b32 v3, v1 offset:608
	v_add_u32_e32 v2, 1, v0
	s_waitcnt lgkmcnt(0)
	v_readfirstlane_b32 s6, v3
	s_cmp_eq_u32 s6, 0
	s_cselect_b64 s[16:17], -1, 0
	v_cmp_gt_i32_e32 vcc, s6, v2
	s_or_b64 s[16:17], s[16:17], vcc
	s_and_b64 exec, exec, s[16:17]
	s_cbranch_execz .LBB37_10
; %bb.8:
	s_mov_b64 s[16:17], 0
	v_mov_b32_e32 v3, s6
.LBB37_9:                               ; =>This Inner Loop Header: Depth=1
	ds_cmpst_rtn_b32 v3, v1, v3, v2 offset:608
	s_waitcnt lgkmcnt(0)
	v_cmp_ne_u32_e32 vcc, 0, v3
	v_cmp_le_i32_e64 s[6:7], v3, v2
	s_and_b64 s[6:7], vcc, s[6:7]
	s_and_b64 s[6:7], exec, s[6:7]
	s_or_b64 s[16:17], s[6:7], s[16:17]
	s_andn2_b64 exec, exec, s[16:17]
	s_cbranch_execnz .LBB37_9
.LBB37_10:
	s_or_b64 exec, exec, s[12:13]
	v_mov_b32_e32 v2, 0
	s_waitcnt lgkmcnt(0)
	; wave barrier
	ds_read_b32 v1, v2 offset:608
	s_and_saveexec_b64 s[6:7], s[4:5]
	s_cbranch_execz .LBB37_12
; %bb.11:
	s_lshl_b64 s[12:13], s[8:9], 2
	s_add_u32 s12, s14, s12
	s_addc_u32 s13, s15, s13
	s_waitcnt lgkmcnt(0)
	global_store_dword v2, v1, s[12:13]
.LBB37_12:
	s_or_b64 exec, exec, s[6:7]
	s_waitcnt lgkmcnt(0)
	v_cmp_ne_u32_e32 vcc, 0, v1
	s_mov_b64 s[6:7], 0
	s_cbranch_vccnz .LBB37_164
; %bb.13:
	buffer_load_dword v8, v7, s[0:3], 0 offen offset:4
	buffer_load_dword v3, v7, s[0:3], 0 offen
	s_waitcnt vmcnt(1)
	v_cmp_gt_f32_e32 vcc, 0, v8
	v_cndmask_b32_e64 v1, v8, -v8, vcc
	s_waitcnt vmcnt(0)
	v_cmp_gt_f32_e32 vcc, 0, v3
	v_cndmask_b32_e64 v2, v3, -v3, vcc
	v_cmp_ngt_f32_e32 vcc, v2, v1
                                        ; implicit-def: $vgpr1
                                        ; implicit-def: $vgpr2
	s_and_saveexec_b64 s[6:7], vcc
	s_xor_b64 s[6:7], exec, s[6:7]
                                        ; implicit-def: $vgpr4_vgpr5
	s_cbranch_execz .LBB37_15
; %bb.14:
	v_div_scale_f32 v1, s[12:13], v8, v8, v3
	v_rcp_f32_e32 v2, v1
	v_div_scale_f32 v4, vcc, v3, v8, v3
	v_fma_f32 v5, -v1, v2, 1.0
	v_fmac_f32_e32 v2, v5, v2
	v_mul_f32_e32 v5, v4, v2
	v_fma_f32 v9, -v1, v5, v4
	v_fmac_f32_e32 v5, v9, v2
	v_fma_f32 v1, -v1, v5, v4
	v_div_fmas_f32 v1, v1, v2, v5
	v_div_fixup_f32 v2, v1, v8, v3
	v_fmac_f32_e32 v8, v3, v2
	v_div_scale_f32 v1, s[12:13], v8, v8, -1.0
	v_rcp_f32_e32 v3, v1
	v_fma_f32 v4, -v1, v3, 1.0
	v_fmac_f32_e32 v3, v4, v3
	v_div_scale_f32 v4, vcc, -1.0, v8, -1.0
	v_mul_f32_e32 v5, v4, v3
	v_fma_f32 v9, -v1, v5, v4
	v_fmac_f32_e32 v5, v9, v3
	v_fma_f32 v1, -v1, v5, v4
	v_div_fmas_f32 v1, v1, v3, v5
	v_div_fixup_f32 v1, v1, v8, -1.0
	v_mul_f32_e32 v2, v2, v1
	v_xor_b32_e32 v4, 0x80000000, v2
                                        ; implicit-def: $vgpr3
                                        ; implicit-def: $vgpr8
.LBB37_15:
	s_andn2_saveexec_b64 s[6:7], s[6:7]
	s_cbranch_execz .LBB37_17
; %bb.16:
	v_div_scale_f32 v1, s[12:13], v3, v3, v8
	v_rcp_f32_e32 v2, v1
	v_div_scale_f32 v4, vcc, v8, v3, v8
	v_fma_f32 v5, -v1, v2, 1.0
	v_fmac_f32_e32 v2, v5, v2
	v_mul_f32_e32 v5, v4, v2
	v_fma_f32 v9, -v1, v5, v4
	v_fmac_f32_e32 v5, v9, v2
	v_fma_f32 v1, -v1, v5, v4
	v_div_fmas_f32 v1, v1, v2, v5
	v_div_fixup_f32 v1, v1, v3, v8
	v_fmac_f32_e32 v3, v8, v1
	v_div_scale_f32 v2, s[12:13], v3, v3, 1.0
	v_rcp_f32_e32 v4, v2
	v_fma_f32 v5, -v2, v4, 1.0
	v_fmac_f32_e32 v4, v5, v4
	v_div_scale_f32 v5, vcc, 1.0, v3, 1.0
	v_mul_f32_e32 v8, v5, v4
	v_fma_f32 v9, -v2, v8, v5
	v_fmac_f32_e32 v8, v9, v4
	v_fma_f32 v2, -v2, v8, v5
	v_div_fmas_f32 v2, v2, v4, v8
	v_div_fixup_f32 v4, v2, v3, 1.0
	v_xor_b32_e32 v2, 0x80000000, v4
	v_mul_f32_e64 v1, v1, -v4
.LBB37_17:
	s_or_b64 exec, exec, s[6:7]
	buffer_store_dword v1, v7, s[0:3], 0 offen offset:4
	buffer_store_dword v4, v7, s[0:3], 0 offen
	buffer_load_dword v5, off, s[0:3], 0 offset:12
	s_nop 0
	buffer_load_dword v4, off, s[0:3], 0 offset:8
	v_xor_b32_e32 v3, 0x80000000, v1
	v_add_u32_e32 v1, 0x130, v6
	s_waitcnt vmcnt(0)
	ds_write2_b64 v6, v[2:3], v[4:5] offset1:38
	s_waitcnt lgkmcnt(0)
	; wave barrier
	s_waitcnt lgkmcnt(0)
	s_and_saveexec_b64 s[6:7], s[4:5]
	s_cbranch_execz .LBB37_19
; %bb.18:
	buffer_load_dword v8, v7, s[0:3], 0 offen offset:4
	buffer_load_dword v9, v7, s[0:3], 0 offen
	ds_read_b64 v[2:3], v1
	v_mov_b32_e32 v4, 0
	ds_read_b64 v[4:5], v4 offset:8
	s_waitcnt vmcnt(1) lgkmcnt(1)
	v_mul_f32_e32 v10, v3, v8
	v_mul_f32_e32 v8, v2, v8
	s_waitcnt vmcnt(0)
	v_fmac_f32_e32 v8, v3, v9
	v_fma_f32 v2, v2, v9, -v10
	v_add_f32_e32 v3, 0, v8
	v_add_f32_e32 v2, 0, v2
	s_waitcnt lgkmcnt(0)
	v_mul_f32_e32 v8, v3, v5
	v_mul_f32_e32 v5, v2, v5
	v_fma_f32 v2, v2, v4, -v8
	v_fmac_f32_e32 v5, v3, v4
	buffer_store_dword v2, off, s[0:3], 0 offset:8
	buffer_store_dword v5, off, s[0:3], 0 offset:12
.LBB37_19:
	s_or_b64 exec, exec, s[6:7]
	s_waitcnt lgkmcnt(0)
	; wave barrier
	buffer_load_dword v2, off, s[0:3], 0 offset:16
	buffer_load_dword v3, off, s[0:3], 0 offset:20
	v_cmp_gt_u32_e32 vcc, 2, v0
	s_waitcnt vmcnt(0)
	ds_write_b64 v1, v[2:3]
	s_waitcnt lgkmcnt(0)
	; wave barrier
	s_waitcnt lgkmcnt(0)
	s_and_saveexec_b64 s[6:7], vcc
	s_cbranch_execz .LBB37_23
; %bb.20:
	buffer_load_dword v4, v7, s[0:3], 0 offen offset:4
	buffer_load_dword v5, v7, s[0:3], 0 offen
	ds_read_b64 v[2:3], v1
	s_waitcnt vmcnt(1) lgkmcnt(0)
	v_mul_f32_e32 v7, v3, v4
	v_mul_f32_e32 v4, v2, v4
	s_waitcnt vmcnt(0)
	v_fma_f32 v2, v2, v5, -v7
	v_fmac_f32_e32 v4, v3, v5
	v_add_f32_e32 v3, 0, v2
	v_add_f32_e32 v2, 0, v4
	s_and_saveexec_b64 s[12:13], s[4:5]
	s_cbranch_execz .LBB37_22
; %bb.21:
	buffer_load_dword v7, off, s[0:3], 0 offset:12
	buffer_load_dword v8, off, s[0:3], 0 offset:8
	v_mov_b32_e32 v4, 0
	ds_read_b64 v[4:5], v4 offset:312
	s_waitcnt vmcnt(1) lgkmcnt(0)
	v_mul_f32_e32 v9, v4, v7
	v_mul_f32_e32 v7, v5, v7
	s_waitcnt vmcnt(0)
	v_fmac_f32_e32 v9, v5, v8
	v_fma_f32 v4, v4, v8, -v7
	v_add_f32_e32 v2, v2, v9
	v_add_f32_e32 v3, v3, v4
.LBB37_22:
	s_or_b64 exec, exec, s[12:13]
	v_mov_b32_e32 v4, 0
	ds_read_b64 v[4:5], v4 offset:16
	s_waitcnt lgkmcnt(0)
	v_mul_f32_e32 v7, v2, v5
	v_mul_f32_e32 v5, v3, v5
	v_fma_f32 v3, v3, v4, -v7
	v_fmac_f32_e32 v5, v2, v4
	buffer_store_dword v3, off, s[0:3], 0 offset:16
	buffer_store_dword v5, off, s[0:3], 0 offset:20
.LBB37_23:
	s_or_b64 exec, exec, s[6:7]
	s_waitcnt lgkmcnt(0)
	; wave barrier
	buffer_load_dword v2, off, s[0:3], 0 offset:24
	buffer_load_dword v3, off, s[0:3], 0 offset:28
	v_cmp_gt_u32_e32 vcc, 3, v0
	s_waitcnt vmcnt(0)
	ds_write_b64 v1, v[2:3]
	v_add_u32_e32 v2, -1, v0
	s_waitcnt lgkmcnt(0)
	; wave barrier
	s_waitcnt lgkmcnt(0)
	s_and_saveexec_b64 s[4:5], vcc
	s_cbranch_execz .LBB37_27
; %bb.24:
	v_add_u32_e32 v4, -1, v0
	v_add_u32_e32 v5, 0x130, v6
	v_add_u32_e32 v7, 0, v6
	s_mov_b64 s[6:7], 0
	v_mov_b32_e32 v3, 0
	v_mov_b32_e32 v8, 0
.LBB37_25:                              ; =>This Inner Loop Header: Depth=1
	buffer_load_dword v9, v7, s[0:3], 0 offen offset:4
	buffer_load_dword v12, v7, s[0:3], 0 offen
	ds_read_b64 v[10:11], v5
	v_add_u32_e32 v4, 1, v4
	v_cmp_lt_u32_e32 vcc, 1, v4
	v_add_u32_e32 v5, 8, v5
	v_add_u32_e32 v7, 8, v7
	s_or_b64 s[6:7], vcc, s[6:7]
	s_waitcnt vmcnt(1) lgkmcnt(0)
	v_mul_f32_e32 v13, v11, v9
	v_mul_f32_e32 v9, v10, v9
	s_waitcnt vmcnt(0)
	v_fma_f32 v10, v10, v12, -v13
	v_fmac_f32_e32 v9, v11, v12
	v_add_f32_e32 v8, v8, v10
	v_add_f32_e32 v3, v3, v9
	s_andn2_b64 exec, exec, s[6:7]
	s_cbranch_execnz .LBB37_25
; %bb.26:
	s_or_b64 exec, exec, s[6:7]
	v_mov_b32_e32 v4, 0
	ds_read_b64 v[4:5], v4 offset:24
	s_waitcnt lgkmcnt(0)
	v_mul_f32_e32 v7, v3, v5
	v_mul_f32_e32 v5, v8, v5
	v_fma_f32 v7, v8, v4, -v7
	v_fmac_f32_e32 v5, v3, v4
	buffer_store_dword v7, off, s[0:3], 0 offset:24
	buffer_store_dword v5, off, s[0:3], 0 offset:28
.LBB37_27:
	s_or_b64 exec, exec, s[4:5]
	s_waitcnt lgkmcnt(0)
	; wave barrier
	buffer_load_dword v4, off, s[0:3], 0 offset:32
	buffer_load_dword v5, off, s[0:3], 0 offset:36
	v_cmp_gt_u32_e32 vcc, 4, v0
	s_waitcnt vmcnt(0)
	ds_write_b64 v1, v[4:5]
	s_waitcnt lgkmcnt(0)
	; wave barrier
	s_waitcnt lgkmcnt(0)
	s_and_saveexec_b64 s[4:5], vcc
	s_cbranch_execz .LBB37_31
; %bb.28:
	v_add_u32_e32 v4, -1, v0
	v_add_u32_e32 v5, 0x130, v6
	v_add_u32_e32 v7, 0, v6
	s_mov_b64 s[6:7], 0
	v_mov_b32_e32 v3, 0
	v_mov_b32_e32 v8, 0
.LBB37_29:                              ; =>This Inner Loop Header: Depth=1
	buffer_load_dword v9, v7, s[0:3], 0 offen offset:4
	buffer_load_dword v12, v7, s[0:3], 0 offen
	ds_read_b64 v[10:11], v5
	v_add_u32_e32 v4, 1, v4
	v_cmp_lt_u32_e32 vcc, 2, v4
	v_add_u32_e32 v5, 8, v5
	v_add_u32_e32 v7, 8, v7
	s_or_b64 s[6:7], vcc, s[6:7]
	s_waitcnt vmcnt(1) lgkmcnt(0)
	v_mul_f32_e32 v13, v11, v9
	v_mul_f32_e32 v9, v10, v9
	s_waitcnt vmcnt(0)
	v_fma_f32 v10, v10, v12, -v13
	v_fmac_f32_e32 v9, v11, v12
	v_add_f32_e32 v8, v8, v10
	v_add_f32_e32 v3, v3, v9
	s_andn2_b64 exec, exec, s[6:7]
	s_cbranch_execnz .LBB37_29
; %bb.30:
	s_or_b64 exec, exec, s[6:7]
	v_mov_b32_e32 v4, 0
	ds_read_b64 v[4:5], v4 offset:32
	s_waitcnt lgkmcnt(0)
	v_mul_f32_e32 v7, v3, v5
	v_mul_f32_e32 v5, v8, v5
	v_fma_f32 v7, v8, v4, -v7
	v_fmac_f32_e32 v5, v3, v4
	buffer_store_dword v7, off, s[0:3], 0 offset:32
	buffer_store_dword v5, off, s[0:3], 0 offset:36
.LBB37_31:
	s_or_b64 exec, exec, s[4:5]
	s_waitcnt lgkmcnt(0)
	; wave barrier
	buffer_load_dword v4, off, s[0:3], 0 offset:40
	buffer_load_dword v5, off, s[0:3], 0 offset:44
	v_cmp_gt_u32_e32 vcc, 5, v0
	s_waitcnt vmcnt(0)
	ds_write_b64 v1, v[4:5]
	;; [unrolled: 51-line block ×19, first 2 shown]
	s_waitcnt lgkmcnt(0)
	; wave barrier
	s_waitcnt lgkmcnt(0)
	s_and_saveexec_b64 s[4:5], vcc
	s_cbranch_execz .LBB37_103
; %bb.100:
	v_add_u32_e32 v4, -1, v0
	v_add_u32_e32 v5, 0x130, v6
	v_add_u32_e32 v7, 0, v6
	s_mov_b64 s[6:7], 0
	v_mov_b32_e32 v3, 0
	v_mov_b32_e32 v8, 0
.LBB37_101:                             ; =>This Inner Loop Header: Depth=1
	buffer_load_dword v9, v7, s[0:3], 0 offen offset:4
	buffer_load_dword v12, v7, s[0:3], 0 offen
	ds_read_b64 v[10:11], v5
	v_add_u32_e32 v4, 1, v4
	v_cmp_lt_u32_e32 vcc, 20, v4
	v_add_u32_e32 v5, 8, v5
	v_add_u32_e32 v7, 8, v7
	s_or_b64 s[6:7], vcc, s[6:7]
	s_waitcnt vmcnt(1) lgkmcnt(0)
	v_mul_f32_e32 v13, v11, v9
	v_mul_f32_e32 v9, v10, v9
	s_waitcnt vmcnt(0)
	v_fma_f32 v10, v10, v12, -v13
	v_fmac_f32_e32 v9, v11, v12
	v_add_f32_e32 v8, v8, v10
	v_add_f32_e32 v3, v3, v9
	s_andn2_b64 exec, exec, s[6:7]
	s_cbranch_execnz .LBB37_101
; %bb.102:
	s_or_b64 exec, exec, s[6:7]
	v_mov_b32_e32 v4, 0
	ds_read_b64 v[4:5], v4 offset:176
	s_waitcnt lgkmcnt(0)
	v_mul_f32_e32 v7, v3, v5
	v_mul_f32_e32 v5, v8, v5
	v_fma_f32 v7, v8, v4, -v7
	v_fmac_f32_e32 v5, v3, v4
	buffer_store_dword v7, off, s[0:3], 0 offset:176
	buffer_store_dword v5, off, s[0:3], 0 offset:180
.LBB37_103:
	s_or_b64 exec, exec, s[4:5]
	s_waitcnt lgkmcnt(0)
	; wave barrier
	buffer_load_dword v4, off, s[0:3], 0 offset:184
	buffer_load_dword v5, off, s[0:3], 0 offset:188
	v_cmp_gt_u32_e32 vcc, 23, v0
	s_waitcnt vmcnt(0)
	ds_write_b64 v1, v[4:5]
	s_waitcnt lgkmcnt(0)
	; wave barrier
	s_waitcnt lgkmcnt(0)
	s_and_saveexec_b64 s[4:5], vcc
	s_cbranch_execz .LBB37_107
; %bb.104:
	v_add_u32_e32 v4, -1, v0
	v_add_u32_e32 v5, 0x130, v6
	v_add_u32_e32 v7, 0, v6
	s_mov_b64 s[6:7], 0
	v_mov_b32_e32 v3, 0
	v_mov_b32_e32 v8, 0
.LBB37_105:                             ; =>This Inner Loop Header: Depth=1
	buffer_load_dword v9, v7, s[0:3], 0 offen offset:4
	buffer_load_dword v12, v7, s[0:3], 0 offen
	ds_read_b64 v[10:11], v5
	v_add_u32_e32 v4, 1, v4
	v_cmp_lt_u32_e32 vcc, 21, v4
	v_add_u32_e32 v5, 8, v5
	v_add_u32_e32 v7, 8, v7
	s_or_b64 s[6:7], vcc, s[6:7]
	s_waitcnt vmcnt(1) lgkmcnt(0)
	v_mul_f32_e32 v13, v11, v9
	v_mul_f32_e32 v9, v10, v9
	s_waitcnt vmcnt(0)
	v_fma_f32 v10, v10, v12, -v13
	v_fmac_f32_e32 v9, v11, v12
	v_add_f32_e32 v8, v8, v10
	v_add_f32_e32 v3, v3, v9
	s_andn2_b64 exec, exec, s[6:7]
	s_cbranch_execnz .LBB37_105
; %bb.106:
	s_or_b64 exec, exec, s[6:7]
	v_mov_b32_e32 v4, 0
	ds_read_b64 v[4:5], v4 offset:184
	s_waitcnt lgkmcnt(0)
	v_mul_f32_e32 v7, v3, v5
	v_mul_f32_e32 v5, v8, v5
	v_fma_f32 v7, v8, v4, -v7
	v_fmac_f32_e32 v5, v3, v4
	buffer_store_dword v7, off, s[0:3], 0 offset:184
	buffer_store_dword v5, off, s[0:3], 0 offset:188
.LBB37_107:
	s_or_b64 exec, exec, s[4:5]
	s_waitcnt lgkmcnt(0)
	; wave barrier
	buffer_load_dword v4, off, s[0:3], 0 offset:192
	buffer_load_dword v5, off, s[0:3], 0 offset:196
	v_cmp_gt_u32_e32 vcc, 24, v0
	s_waitcnt vmcnt(0)
	ds_write_b64 v1, v[4:5]
	s_waitcnt lgkmcnt(0)
	; wave barrier
	s_waitcnt lgkmcnt(0)
	s_and_saveexec_b64 s[4:5], vcc
	s_cbranch_execz .LBB37_111
; %bb.108:
	v_add_u32_e32 v4, -1, v0
	v_add_u32_e32 v5, 0x130, v6
	v_add_u32_e32 v7, 0, v6
	s_mov_b64 s[6:7], 0
	v_mov_b32_e32 v3, 0
	v_mov_b32_e32 v8, 0
.LBB37_109:                             ; =>This Inner Loop Header: Depth=1
	buffer_load_dword v9, v7, s[0:3], 0 offen offset:4
	buffer_load_dword v12, v7, s[0:3], 0 offen
	ds_read_b64 v[10:11], v5
	v_add_u32_e32 v4, 1, v4
	v_cmp_lt_u32_e32 vcc, 22, v4
	v_add_u32_e32 v5, 8, v5
	v_add_u32_e32 v7, 8, v7
	s_or_b64 s[6:7], vcc, s[6:7]
	s_waitcnt vmcnt(1) lgkmcnt(0)
	v_mul_f32_e32 v13, v11, v9
	v_mul_f32_e32 v9, v10, v9
	s_waitcnt vmcnt(0)
	v_fma_f32 v10, v10, v12, -v13
	v_fmac_f32_e32 v9, v11, v12
	v_add_f32_e32 v8, v8, v10
	v_add_f32_e32 v3, v3, v9
	s_andn2_b64 exec, exec, s[6:7]
	s_cbranch_execnz .LBB37_109
; %bb.110:
	s_or_b64 exec, exec, s[6:7]
	v_mov_b32_e32 v4, 0
	ds_read_b64 v[4:5], v4 offset:192
	s_waitcnt lgkmcnt(0)
	v_mul_f32_e32 v7, v3, v5
	v_mul_f32_e32 v5, v8, v5
	v_fma_f32 v7, v8, v4, -v7
	v_fmac_f32_e32 v5, v3, v4
	buffer_store_dword v7, off, s[0:3], 0 offset:192
	buffer_store_dword v5, off, s[0:3], 0 offset:196
.LBB37_111:
	s_or_b64 exec, exec, s[4:5]
	s_waitcnt lgkmcnt(0)
	; wave barrier
	buffer_load_dword v4, off, s[0:3], 0 offset:200
	buffer_load_dword v5, off, s[0:3], 0 offset:204
	v_cmp_gt_u32_e32 vcc, 25, v0
	s_waitcnt vmcnt(0)
	ds_write_b64 v1, v[4:5]
	s_waitcnt lgkmcnt(0)
	; wave barrier
	s_waitcnt lgkmcnt(0)
	s_and_saveexec_b64 s[4:5], vcc
	s_cbranch_execz .LBB37_115
; %bb.112:
	v_add_u32_e32 v4, -1, v0
	v_add_u32_e32 v5, 0x130, v6
	v_add_u32_e32 v7, 0, v6
	s_mov_b64 s[6:7], 0
	v_mov_b32_e32 v3, 0
	v_mov_b32_e32 v8, 0
.LBB37_113:                             ; =>This Inner Loop Header: Depth=1
	buffer_load_dword v9, v7, s[0:3], 0 offen offset:4
	buffer_load_dword v12, v7, s[0:3], 0 offen
	ds_read_b64 v[10:11], v5
	v_add_u32_e32 v4, 1, v4
	v_cmp_lt_u32_e32 vcc, 23, v4
	v_add_u32_e32 v5, 8, v5
	v_add_u32_e32 v7, 8, v7
	s_or_b64 s[6:7], vcc, s[6:7]
	s_waitcnt vmcnt(1) lgkmcnt(0)
	v_mul_f32_e32 v13, v11, v9
	v_mul_f32_e32 v9, v10, v9
	s_waitcnt vmcnt(0)
	v_fma_f32 v10, v10, v12, -v13
	v_fmac_f32_e32 v9, v11, v12
	v_add_f32_e32 v8, v8, v10
	v_add_f32_e32 v3, v3, v9
	s_andn2_b64 exec, exec, s[6:7]
	s_cbranch_execnz .LBB37_113
; %bb.114:
	s_or_b64 exec, exec, s[6:7]
	v_mov_b32_e32 v4, 0
	ds_read_b64 v[4:5], v4 offset:200
	s_waitcnt lgkmcnt(0)
	v_mul_f32_e32 v7, v3, v5
	v_mul_f32_e32 v5, v8, v5
	v_fma_f32 v7, v8, v4, -v7
	v_fmac_f32_e32 v5, v3, v4
	buffer_store_dword v7, off, s[0:3], 0 offset:200
	buffer_store_dword v5, off, s[0:3], 0 offset:204
.LBB37_115:
	s_or_b64 exec, exec, s[4:5]
	s_waitcnt lgkmcnt(0)
	; wave barrier
	buffer_load_dword v4, off, s[0:3], 0 offset:208
	buffer_load_dword v5, off, s[0:3], 0 offset:212
	v_cmp_gt_u32_e32 vcc, 26, v0
	s_waitcnt vmcnt(0)
	ds_write_b64 v1, v[4:5]
	s_waitcnt lgkmcnt(0)
	; wave barrier
	s_waitcnt lgkmcnt(0)
	s_and_saveexec_b64 s[4:5], vcc
	s_cbranch_execz .LBB37_119
; %bb.116:
	v_add_u32_e32 v4, -1, v0
	v_add_u32_e32 v5, 0x130, v6
	v_add_u32_e32 v7, 0, v6
	s_mov_b64 s[6:7], 0
	v_mov_b32_e32 v3, 0
	v_mov_b32_e32 v8, 0
.LBB37_117:                             ; =>This Inner Loop Header: Depth=1
	buffer_load_dword v9, v7, s[0:3], 0 offen offset:4
	buffer_load_dword v12, v7, s[0:3], 0 offen
	ds_read_b64 v[10:11], v5
	v_add_u32_e32 v4, 1, v4
	v_cmp_lt_u32_e32 vcc, 24, v4
	v_add_u32_e32 v5, 8, v5
	v_add_u32_e32 v7, 8, v7
	s_or_b64 s[6:7], vcc, s[6:7]
	s_waitcnt vmcnt(1) lgkmcnt(0)
	v_mul_f32_e32 v13, v11, v9
	v_mul_f32_e32 v9, v10, v9
	s_waitcnt vmcnt(0)
	v_fma_f32 v10, v10, v12, -v13
	v_fmac_f32_e32 v9, v11, v12
	v_add_f32_e32 v8, v8, v10
	v_add_f32_e32 v3, v3, v9
	s_andn2_b64 exec, exec, s[6:7]
	s_cbranch_execnz .LBB37_117
; %bb.118:
	s_or_b64 exec, exec, s[6:7]
	v_mov_b32_e32 v4, 0
	ds_read_b64 v[4:5], v4 offset:208
	s_waitcnt lgkmcnt(0)
	v_mul_f32_e32 v7, v3, v5
	v_mul_f32_e32 v5, v8, v5
	v_fma_f32 v7, v8, v4, -v7
	v_fmac_f32_e32 v5, v3, v4
	buffer_store_dword v7, off, s[0:3], 0 offset:208
	buffer_store_dword v5, off, s[0:3], 0 offset:212
.LBB37_119:
	s_or_b64 exec, exec, s[4:5]
	s_waitcnt lgkmcnt(0)
	; wave barrier
	buffer_load_dword v4, off, s[0:3], 0 offset:216
	buffer_load_dword v5, off, s[0:3], 0 offset:220
	v_cmp_gt_u32_e32 vcc, 27, v0
	s_waitcnt vmcnt(0)
	ds_write_b64 v1, v[4:5]
	s_waitcnt lgkmcnt(0)
	; wave barrier
	s_waitcnt lgkmcnt(0)
	s_and_saveexec_b64 s[4:5], vcc
	s_cbranch_execz .LBB37_123
; %bb.120:
	v_add_u32_e32 v4, -1, v0
	v_add_u32_e32 v5, 0x130, v6
	v_add_u32_e32 v7, 0, v6
	s_mov_b64 s[6:7], 0
	v_mov_b32_e32 v3, 0
	v_mov_b32_e32 v8, 0
.LBB37_121:                             ; =>This Inner Loop Header: Depth=1
	buffer_load_dword v9, v7, s[0:3], 0 offen offset:4
	buffer_load_dword v12, v7, s[0:3], 0 offen
	ds_read_b64 v[10:11], v5
	v_add_u32_e32 v4, 1, v4
	v_cmp_lt_u32_e32 vcc, 25, v4
	v_add_u32_e32 v5, 8, v5
	v_add_u32_e32 v7, 8, v7
	s_or_b64 s[6:7], vcc, s[6:7]
	s_waitcnt vmcnt(1) lgkmcnt(0)
	v_mul_f32_e32 v13, v11, v9
	v_mul_f32_e32 v9, v10, v9
	s_waitcnt vmcnt(0)
	v_fma_f32 v10, v10, v12, -v13
	v_fmac_f32_e32 v9, v11, v12
	v_add_f32_e32 v8, v8, v10
	v_add_f32_e32 v3, v3, v9
	s_andn2_b64 exec, exec, s[6:7]
	s_cbranch_execnz .LBB37_121
; %bb.122:
	s_or_b64 exec, exec, s[6:7]
	v_mov_b32_e32 v4, 0
	ds_read_b64 v[4:5], v4 offset:216
	s_waitcnt lgkmcnt(0)
	v_mul_f32_e32 v7, v3, v5
	v_mul_f32_e32 v5, v8, v5
	v_fma_f32 v7, v8, v4, -v7
	v_fmac_f32_e32 v5, v3, v4
	buffer_store_dword v7, off, s[0:3], 0 offset:216
	buffer_store_dword v5, off, s[0:3], 0 offset:220
.LBB37_123:
	s_or_b64 exec, exec, s[4:5]
	s_waitcnt lgkmcnt(0)
	; wave barrier
	buffer_load_dword v4, off, s[0:3], 0 offset:224
	buffer_load_dword v5, off, s[0:3], 0 offset:228
	v_cmp_gt_u32_e32 vcc, 28, v0
	s_waitcnt vmcnt(0)
	ds_write_b64 v1, v[4:5]
	s_waitcnt lgkmcnt(0)
	; wave barrier
	s_waitcnt lgkmcnt(0)
	s_and_saveexec_b64 s[4:5], vcc
	s_cbranch_execz .LBB37_127
; %bb.124:
	v_add_u32_e32 v4, -1, v0
	v_add_u32_e32 v5, 0x130, v6
	v_add_u32_e32 v7, 0, v6
	s_mov_b64 s[6:7], 0
	v_mov_b32_e32 v3, 0
	v_mov_b32_e32 v8, 0
.LBB37_125:                             ; =>This Inner Loop Header: Depth=1
	buffer_load_dword v9, v7, s[0:3], 0 offen offset:4
	buffer_load_dword v12, v7, s[0:3], 0 offen
	ds_read_b64 v[10:11], v5
	v_add_u32_e32 v4, 1, v4
	v_cmp_lt_u32_e32 vcc, 26, v4
	v_add_u32_e32 v5, 8, v5
	v_add_u32_e32 v7, 8, v7
	s_or_b64 s[6:7], vcc, s[6:7]
	s_waitcnt vmcnt(1) lgkmcnt(0)
	v_mul_f32_e32 v13, v11, v9
	v_mul_f32_e32 v9, v10, v9
	s_waitcnt vmcnt(0)
	v_fma_f32 v10, v10, v12, -v13
	v_fmac_f32_e32 v9, v11, v12
	v_add_f32_e32 v8, v8, v10
	v_add_f32_e32 v3, v3, v9
	s_andn2_b64 exec, exec, s[6:7]
	s_cbranch_execnz .LBB37_125
; %bb.126:
	s_or_b64 exec, exec, s[6:7]
	v_mov_b32_e32 v4, 0
	ds_read_b64 v[4:5], v4 offset:224
	s_waitcnt lgkmcnt(0)
	v_mul_f32_e32 v7, v3, v5
	v_mul_f32_e32 v5, v8, v5
	v_fma_f32 v7, v8, v4, -v7
	v_fmac_f32_e32 v5, v3, v4
	buffer_store_dword v7, off, s[0:3], 0 offset:224
	buffer_store_dword v5, off, s[0:3], 0 offset:228
.LBB37_127:
	s_or_b64 exec, exec, s[4:5]
	s_waitcnt lgkmcnt(0)
	; wave barrier
	buffer_load_dword v4, off, s[0:3], 0 offset:232
	buffer_load_dword v5, off, s[0:3], 0 offset:236
	v_cmp_gt_u32_e32 vcc, 29, v0
	s_waitcnt vmcnt(0)
	ds_write_b64 v1, v[4:5]
	s_waitcnt lgkmcnt(0)
	; wave barrier
	s_waitcnt lgkmcnt(0)
	s_and_saveexec_b64 s[4:5], vcc
	s_cbranch_execz .LBB37_131
; %bb.128:
	v_add_u32_e32 v4, -1, v0
	v_add_u32_e32 v5, 0x130, v6
	v_add_u32_e32 v7, 0, v6
	s_mov_b64 s[6:7], 0
	v_mov_b32_e32 v3, 0
	v_mov_b32_e32 v8, 0
.LBB37_129:                             ; =>This Inner Loop Header: Depth=1
	buffer_load_dword v9, v7, s[0:3], 0 offen offset:4
	buffer_load_dword v12, v7, s[0:3], 0 offen
	ds_read_b64 v[10:11], v5
	v_add_u32_e32 v4, 1, v4
	v_cmp_lt_u32_e32 vcc, 27, v4
	v_add_u32_e32 v5, 8, v5
	v_add_u32_e32 v7, 8, v7
	s_or_b64 s[6:7], vcc, s[6:7]
	s_waitcnt vmcnt(1) lgkmcnt(0)
	v_mul_f32_e32 v13, v11, v9
	v_mul_f32_e32 v9, v10, v9
	s_waitcnt vmcnt(0)
	v_fma_f32 v10, v10, v12, -v13
	v_fmac_f32_e32 v9, v11, v12
	v_add_f32_e32 v8, v8, v10
	v_add_f32_e32 v3, v3, v9
	s_andn2_b64 exec, exec, s[6:7]
	s_cbranch_execnz .LBB37_129
; %bb.130:
	s_or_b64 exec, exec, s[6:7]
	v_mov_b32_e32 v4, 0
	ds_read_b64 v[4:5], v4 offset:232
	s_waitcnt lgkmcnt(0)
	v_mul_f32_e32 v7, v3, v5
	v_mul_f32_e32 v5, v8, v5
	v_fma_f32 v7, v8, v4, -v7
	v_fmac_f32_e32 v5, v3, v4
	buffer_store_dword v7, off, s[0:3], 0 offset:232
	buffer_store_dword v5, off, s[0:3], 0 offset:236
.LBB37_131:
	s_or_b64 exec, exec, s[4:5]
	s_waitcnt lgkmcnt(0)
	; wave barrier
	buffer_load_dword v4, off, s[0:3], 0 offset:240
	buffer_load_dword v5, off, s[0:3], 0 offset:244
	v_cmp_gt_u32_e32 vcc, 30, v0
	s_waitcnt vmcnt(0)
	ds_write_b64 v1, v[4:5]
	s_waitcnt lgkmcnt(0)
	; wave barrier
	s_waitcnt lgkmcnt(0)
	s_and_saveexec_b64 s[4:5], vcc
	s_cbranch_execz .LBB37_135
; %bb.132:
	v_add_u32_e32 v4, -1, v0
	v_add_u32_e32 v5, 0x130, v6
	v_add_u32_e32 v7, 0, v6
	s_mov_b64 s[6:7], 0
	v_mov_b32_e32 v3, 0
	v_mov_b32_e32 v8, 0
.LBB37_133:                             ; =>This Inner Loop Header: Depth=1
	buffer_load_dword v9, v7, s[0:3], 0 offen offset:4
	buffer_load_dword v12, v7, s[0:3], 0 offen
	ds_read_b64 v[10:11], v5
	v_add_u32_e32 v4, 1, v4
	v_cmp_lt_u32_e32 vcc, 28, v4
	v_add_u32_e32 v5, 8, v5
	v_add_u32_e32 v7, 8, v7
	s_or_b64 s[6:7], vcc, s[6:7]
	s_waitcnt vmcnt(1) lgkmcnt(0)
	v_mul_f32_e32 v13, v11, v9
	v_mul_f32_e32 v9, v10, v9
	s_waitcnt vmcnt(0)
	v_fma_f32 v10, v10, v12, -v13
	v_fmac_f32_e32 v9, v11, v12
	v_add_f32_e32 v8, v8, v10
	v_add_f32_e32 v3, v3, v9
	s_andn2_b64 exec, exec, s[6:7]
	s_cbranch_execnz .LBB37_133
; %bb.134:
	s_or_b64 exec, exec, s[6:7]
	v_mov_b32_e32 v4, 0
	ds_read_b64 v[4:5], v4 offset:240
	s_waitcnt lgkmcnt(0)
	v_mul_f32_e32 v7, v3, v5
	v_mul_f32_e32 v5, v8, v5
	v_fma_f32 v7, v8, v4, -v7
	v_fmac_f32_e32 v5, v3, v4
	buffer_store_dword v7, off, s[0:3], 0 offset:240
	buffer_store_dword v5, off, s[0:3], 0 offset:244
.LBB37_135:
	s_or_b64 exec, exec, s[4:5]
	s_waitcnt lgkmcnt(0)
	; wave barrier
	buffer_load_dword v4, off, s[0:3], 0 offset:248
	buffer_load_dword v5, off, s[0:3], 0 offset:252
	v_cmp_gt_u32_e32 vcc, 31, v0
	s_waitcnt vmcnt(0)
	ds_write_b64 v1, v[4:5]
	s_waitcnt lgkmcnt(0)
	; wave barrier
	s_waitcnt lgkmcnt(0)
	s_and_saveexec_b64 s[4:5], vcc
	s_cbranch_execz .LBB37_139
; %bb.136:
	v_add_u32_e32 v4, -1, v0
	v_add_u32_e32 v5, 0x130, v6
	v_add_u32_e32 v7, 0, v6
	s_mov_b64 s[6:7], 0
	v_mov_b32_e32 v3, 0
	v_mov_b32_e32 v8, 0
.LBB37_137:                             ; =>This Inner Loop Header: Depth=1
	buffer_load_dword v9, v7, s[0:3], 0 offen offset:4
	buffer_load_dword v12, v7, s[0:3], 0 offen
	ds_read_b64 v[10:11], v5
	v_add_u32_e32 v4, 1, v4
	v_cmp_lt_u32_e32 vcc, 29, v4
	v_add_u32_e32 v5, 8, v5
	v_add_u32_e32 v7, 8, v7
	s_or_b64 s[6:7], vcc, s[6:7]
	s_waitcnt vmcnt(1) lgkmcnt(0)
	v_mul_f32_e32 v13, v11, v9
	v_mul_f32_e32 v9, v10, v9
	s_waitcnt vmcnt(0)
	v_fma_f32 v10, v10, v12, -v13
	v_fmac_f32_e32 v9, v11, v12
	v_add_f32_e32 v8, v8, v10
	v_add_f32_e32 v3, v3, v9
	s_andn2_b64 exec, exec, s[6:7]
	s_cbranch_execnz .LBB37_137
; %bb.138:
	s_or_b64 exec, exec, s[6:7]
	v_mov_b32_e32 v4, 0
	ds_read_b64 v[4:5], v4 offset:248
	s_waitcnt lgkmcnt(0)
	v_mul_f32_e32 v7, v3, v5
	v_mul_f32_e32 v5, v8, v5
	v_fma_f32 v7, v8, v4, -v7
	v_fmac_f32_e32 v5, v3, v4
	buffer_store_dword v7, off, s[0:3], 0 offset:248
	buffer_store_dword v5, off, s[0:3], 0 offset:252
.LBB37_139:
	s_or_b64 exec, exec, s[4:5]
	s_waitcnt lgkmcnt(0)
	; wave barrier
	buffer_load_dword v4, off, s[0:3], 0 offset:256
	buffer_load_dword v5, off, s[0:3], 0 offset:260
	v_cmp_gt_u32_e32 vcc, 32, v0
	s_waitcnt vmcnt(0)
	ds_write_b64 v1, v[4:5]
	s_waitcnt lgkmcnt(0)
	; wave barrier
	s_waitcnt lgkmcnt(0)
	s_and_saveexec_b64 s[4:5], vcc
	s_cbranch_execz .LBB37_143
; %bb.140:
	v_add_u32_e32 v4, -1, v0
	v_add_u32_e32 v5, 0x130, v6
	v_add_u32_e32 v7, 0, v6
	s_mov_b64 s[6:7], 0
	v_mov_b32_e32 v3, 0
	v_mov_b32_e32 v8, 0
.LBB37_141:                             ; =>This Inner Loop Header: Depth=1
	buffer_load_dword v9, v7, s[0:3], 0 offen offset:4
	buffer_load_dword v12, v7, s[0:3], 0 offen
	ds_read_b64 v[10:11], v5
	v_add_u32_e32 v4, 1, v4
	v_cmp_lt_u32_e32 vcc, 30, v4
	v_add_u32_e32 v5, 8, v5
	v_add_u32_e32 v7, 8, v7
	s_or_b64 s[6:7], vcc, s[6:7]
	s_waitcnt vmcnt(1) lgkmcnt(0)
	v_mul_f32_e32 v13, v11, v9
	v_mul_f32_e32 v9, v10, v9
	s_waitcnt vmcnt(0)
	v_fma_f32 v10, v10, v12, -v13
	v_fmac_f32_e32 v9, v11, v12
	v_add_f32_e32 v8, v8, v10
	v_add_f32_e32 v3, v3, v9
	s_andn2_b64 exec, exec, s[6:7]
	s_cbranch_execnz .LBB37_141
; %bb.142:
	s_or_b64 exec, exec, s[6:7]
	v_mov_b32_e32 v4, 0
	ds_read_b64 v[4:5], v4 offset:256
	s_waitcnt lgkmcnt(0)
	v_mul_f32_e32 v7, v3, v5
	v_mul_f32_e32 v5, v8, v5
	v_fma_f32 v7, v8, v4, -v7
	v_fmac_f32_e32 v5, v3, v4
	buffer_store_dword v7, off, s[0:3], 0 offset:256
	buffer_store_dword v5, off, s[0:3], 0 offset:260
.LBB37_143:
	s_or_b64 exec, exec, s[4:5]
	s_waitcnt lgkmcnt(0)
	; wave barrier
	buffer_load_dword v4, off, s[0:3], 0 offset:264
	buffer_load_dword v5, off, s[0:3], 0 offset:268
	v_cmp_gt_u32_e32 vcc, 33, v0
	s_waitcnt vmcnt(0)
	ds_write_b64 v1, v[4:5]
	s_waitcnt lgkmcnt(0)
	; wave barrier
	s_waitcnt lgkmcnt(0)
	s_and_saveexec_b64 s[4:5], vcc
	s_cbranch_execz .LBB37_147
; %bb.144:
	v_add_u32_e32 v4, -1, v0
	v_add_u32_e32 v5, 0x130, v6
	v_add_u32_e32 v7, 0, v6
	s_mov_b64 s[6:7], 0
	v_mov_b32_e32 v3, 0
	v_mov_b32_e32 v8, 0
.LBB37_145:                             ; =>This Inner Loop Header: Depth=1
	buffer_load_dword v9, v7, s[0:3], 0 offen offset:4
	buffer_load_dword v12, v7, s[0:3], 0 offen
	ds_read_b64 v[10:11], v5
	v_add_u32_e32 v4, 1, v4
	v_cmp_lt_u32_e32 vcc, 31, v4
	v_add_u32_e32 v5, 8, v5
	v_add_u32_e32 v7, 8, v7
	s_or_b64 s[6:7], vcc, s[6:7]
	s_waitcnt vmcnt(1) lgkmcnt(0)
	v_mul_f32_e32 v13, v11, v9
	v_mul_f32_e32 v9, v10, v9
	s_waitcnt vmcnt(0)
	v_fma_f32 v10, v10, v12, -v13
	v_fmac_f32_e32 v9, v11, v12
	v_add_f32_e32 v8, v8, v10
	v_add_f32_e32 v3, v3, v9
	s_andn2_b64 exec, exec, s[6:7]
	s_cbranch_execnz .LBB37_145
; %bb.146:
	s_or_b64 exec, exec, s[6:7]
	v_mov_b32_e32 v4, 0
	ds_read_b64 v[4:5], v4 offset:264
	s_waitcnt lgkmcnt(0)
	v_mul_f32_e32 v7, v3, v5
	v_mul_f32_e32 v5, v8, v5
	v_fma_f32 v7, v8, v4, -v7
	v_fmac_f32_e32 v5, v3, v4
	buffer_store_dword v7, off, s[0:3], 0 offset:264
	buffer_store_dword v5, off, s[0:3], 0 offset:268
.LBB37_147:
	s_or_b64 exec, exec, s[4:5]
	s_waitcnt lgkmcnt(0)
	; wave barrier
	buffer_load_dword v4, off, s[0:3], 0 offset:272
	buffer_load_dword v5, off, s[0:3], 0 offset:276
	v_cmp_gt_u32_e32 vcc, 34, v0
	s_waitcnt vmcnt(0)
	ds_write_b64 v1, v[4:5]
	s_waitcnt lgkmcnt(0)
	; wave barrier
	s_waitcnt lgkmcnt(0)
	s_and_saveexec_b64 s[4:5], vcc
	s_cbranch_execz .LBB37_151
; %bb.148:
	v_add_u32_e32 v4, -1, v0
	v_add_u32_e32 v5, 0x130, v6
	v_add_u32_e32 v7, 0, v6
	s_mov_b64 s[6:7], 0
	v_mov_b32_e32 v3, 0
	v_mov_b32_e32 v8, 0
.LBB37_149:                             ; =>This Inner Loop Header: Depth=1
	buffer_load_dword v9, v7, s[0:3], 0 offen offset:4
	buffer_load_dword v12, v7, s[0:3], 0 offen
	ds_read_b64 v[10:11], v5
	v_add_u32_e32 v4, 1, v4
	v_cmp_lt_u32_e32 vcc, 32, v4
	v_add_u32_e32 v5, 8, v5
	v_add_u32_e32 v7, 8, v7
	s_or_b64 s[6:7], vcc, s[6:7]
	s_waitcnt vmcnt(1) lgkmcnt(0)
	v_mul_f32_e32 v13, v11, v9
	v_mul_f32_e32 v9, v10, v9
	s_waitcnt vmcnt(0)
	v_fma_f32 v10, v10, v12, -v13
	v_fmac_f32_e32 v9, v11, v12
	v_add_f32_e32 v8, v8, v10
	v_add_f32_e32 v3, v3, v9
	s_andn2_b64 exec, exec, s[6:7]
	s_cbranch_execnz .LBB37_149
; %bb.150:
	s_or_b64 exec, exec, s[6:7]
	v_mov_b32_e32 v4, 0
	ds_read_b64 v[4:5], v4 offset:272
	s_waitcnt lgkmcnt(0)
	v_mul_f32_e32 v7, v3, v5
	v_mul_f32_e32 v5, v8, v5
	v_fma_f32 v7, v8, v4, -v7
	v_fmac_f32_e32 v5, v3, v4
	buffer_store_dword v7, off, s[0:3], 0 offset:272
	buffer_store_dword v5, off, s[0:3], 0 offset:276
.LBB37_151:
	s_or_b64 exec, exec, s[4:5]
	s_waitcnt lgkmcnt(0)
	; wave barrier
	buffer_load_dword v4, off, s[0:3], 0 offset:280
	buffer_load_dword v5, off, s[0:3], 0 offset:284
	v_cmp_gt_u32_e32 vcc, 35, v0
	s_waitcnt vmcnt(0)
	ds_write_b64 v1, v[4:5]
	s_waitcnt lgkmcnt(0)
	; wave barrier
	s_waitcnt lgkmcnt(0)
	s_and_saveexec_b64 s[4:5], vcc
	s_cbranch_execz .LBB37_155
; %bb.152:
	v_add_u32_e32 v4, -1, v0
	v_add_u32_e32 v5, 0x130, v6
	v_add_u32_e32 v7, 0, v6
	s_mov_b64 s[6:7], 0
	v_mov_b32_e32 v3, 0
	v_mov_b32_e32 v8, 0
.LBB37_153:                             ; =>This Inner Loop Header: Depth=1
	buffer_load_dword v9, v7, s[0:3], 0 offen offset:4
	buffer_load_dword v12, v7, s[0:3], 0 offen
	ds_read_b64 v[10:11], v5
	v_add_u32_e32 v4, 1, v4
	v_cmp_lt_u32_e32 vcc, 33, v4
	v_add_u32_e32 v5, 8, v5
	v_add_u32_e32 v7, 8, v7
	s_or_b64 s[6:7], vcc, s[6:7]
	s_waitcnt vmcnt(1) lgkmcnt(0)
	v_mul_f32_e32 v13, v11, v9
	v_mul_f32_e32 v9, v10, v9
	s_waitcnt vmcnt(0)
	v_fma_f32 v10, v10, v12, -v13
	v_fmac_f32_e32 v9, v11, v12
	v_add_f32_e32 v8, v8, v10
	v_add_f32_e32 v3, v3, v9
	s_andn2_b64 exec, exec, s[6:7]
	s_cbranch_execnz .LBB37_153
; %bb.154:
	s_or_b64 exec, exec, s[6:7]
	v_mov_b32_e32 v4, 0
	ds_read_b64 v[4:5], v4 offset:280
	s_waitcnt lgkmcnt(0)
	v_mul_f32_e32 v7, v3, v5
	v_mul_f32_e32 v5, v8, v5
	v_fma_f32 v7, v8, v4, -v7
	v_fmac_f32_e32 v5, v3, v4
	buffer_store_dword v7, off, s[0:3], 0 offset:280
	buffer_store_dword v5, off, s[0:3], 0 offset:284
.LBB37_155:
	s_or_b64 exec, exec, s[4:5]
	s_waitcnt lgkmcnt(0)
	; wave barrier
	buffer_load_dword v4, off, s[0:3], 0 offset:288
	buffer_load_dword v5, off, s[0:3], 0 offset:292
	v_cmp_gt_u32_e32 vcc, 36, v0
	s_waitcnt vmcnt(0)
	ds_write_b64 v1, v[4:5]
	s_waitcnt lgkmcnt(0)
	; wave barrier
	s_waitcnt lgkmcnt(0)
	s_and_saveexec_b64 s[4:5], vcc
	s_cbranch_execz .LBB37_159
; %bb.156:
	v_add_u32_e32 v4, -1, v0
	v_add_u32_e32 v5, 0x130, v6
	v_add_u32_e32 v7, 0, v6
	s_mov_b64 s[6:7], 0
	v_mov_b32_e32 v3, 0
	v_mov_b32_e32 v8, 0
.LBB37_157:                             ; =>This Inner Loop Header: Depth=1
	buffer_load_dword v9, v7, s[0:3], 0 offen offset:4
	buffer_load_dword v12, v7, s[0:3], 0 offen
	ds_read_b64 v[10:11], v5
	v_add_u32_e32 v4, 1, v4
	v_cmp_lt_u32_e32 vcc, 34, v4
	v_add_u32_e32 v5, 8, v5
	v_add_u32_e32 v7, 8, v7
	s_or_b64 s[6:7], vcc, s[6:7]
	s_waitcnt vmcnt(1) lgkmcnt(0)
	v_mul_f32_e32 v13, v11, v9
	v_mul_f32_e32 v9, v10, v9
	s_waitcnt vmcnt(0)
	v_fma_f32 v10, v10, v12, -v13
	v_fmac_f32_e32 v9, v11, v12
	v_add_f32_e32 v8, v8, v10
	v_add_f32_e32 v3, v3, v9
	s_andn2_b64 exec, exec, s[6:7]
	s_cbranch_execnz .LBB37_157
; %bb.158:
	s_or_b64 exec, exec, s[6:7]
	v_mov_b32_e32 v4, 0
	ds_read_b64 v[4:5], v4 offset:288
	s_waitcnt lgkmcnt(0)
	v_mul_f32_e32 v7, v3, v5
	v_mul_f32_e32 v5, v8, v5
	v_fma_f32 v7, v8, v4, -v7
	v_fmac_f32_e32 v5, v3, v4
	buffer_store_dword v7, off, s[0:3], 0 offset:288
	buffer_store_dword v5, off, s[0:3], 0 offset:292
.LBB37_159:
	s_or_b64 exec, exec, s[4:5]
	s_waitcnt lgkmcnt(0)
	; wave barrier
	buffer_load_dword v4, off, s[0:3], 0 offset:296
	buffer_load_dword v5, off, s[0:3], 0 offset:300
	v_cmp_ne_u32_e32 vcc, 37, v0
	s_waitcnt vmcnt(0)
	ds_write_b64 v1, v[4:5]
	s_waitcnt lgkmcnt(0)
	; wave barrier
	s_waitcnt lgkmcnt(0)
	s_and_saveexec_b64 s[4:5], vcc
	s_cbranch_execz .LBB37_163
; %bb.160:
	v_add_u32_e32 v3, 0x130, v6
	v_add_u32_e32 v4, 0, v6
	s_mov_b64 s[6:7], 0
	v_mov_b32_e32 v1, 0
	v_mov_b32_e32 v5, 0
.LBB37_161:                             ; =>This Inner Loop Header: Depth=1
	buffer_load_dword v8, v4, s[0:3], 0 offen offset:4
	buffer_load_dword v9, v4, s[0:3], 0 offen
	ds_read_b64 v[6:7], v3
	v_add_u32_e32 v2, 1, v2
	v_cmp_lt_u32_e32 vcc, 35, v2
	v_add_u32_e32 v3, 8, v3
	v_add_u32_e32 v4, 8, v4
	s_or_b64 s[6:7], vcc, s[6:7]
	s_waitcnt vmcnt(1) lgkmcnt(0)
	v_mul_f32_e32 v10, v7, v8
	v_mul_f32_e32 v8, v6, v8
	s_waitcnt vmcnt(0)
	v_fma_f32 v6, v6, v9, -v10
	v_fmac_f32_e32 v8, v7, v9
	v_add_f32_e32 v5, v5, v6
	v_add_f32_e32 v1, v1, v8
	s_andn2_b64 exec, exec, s[6:7]
	s_cbranch_execnz .LBB37_161
; %bb.162:
	s_or_b64 exec, exec, s[6:7]
	v_mov_b32_e32 v2, 0
	ds_read_b64 v[2:3], v2 offset:296
	s_waitcnt lgkmcnt(0)
	v_mul_f32_e32 v4, v1, v3
	v_mul_f32_e32 v3, v5, v3
	v_fma_f32 v4, v5, v2, -v4
	v_fmac_f32_e32 v3, v1, v2
	buffer_store_dword v4, off, s[0:3], 0 offset:296
	buffer_store_dword v3, off, s[0:3], 0 offset:300
.LBB37_163:
	s_or_b64 exec, exec, s[4:5]
	s_mov_b64 s[6:7], -1
	s_waitcnt lgkmcnt(0)
	; wave barrier
.LBB37_164:
	s_and_b64 vcc, exec, s[6:7]
	s_cbranch_vccz .LBB37_166
; %bb.165:
	s_lshl_b64 s[4:5], s[8:9], 2
	s_add_u32 s4, s14, s4
	s_addc_u32 s5, s15, s5
	v_mov_b32_e32 v1, 0
	global_load_dword v1, v1, s[4:5]
	s_waitcnt vmcnt(0)
	v_cmp_ne_u32_e32 vcc, 0, v1
	s_cbranch_vccz .LBB37_167
.LBB37_166:
	s_endpgm
.LBB37_167:
	v_mov_b32_e32 v1, 0x130
	v_lshl_add_u32 v1, v0, 3, v1
	v_cmp_eq_u32_e32 vcc, 37, v0
	s_and_saveexec_b64 s[4:5], vcc
	s_cbranch_execz .LBB37_169
; %bb.168:
	buffer_load_dword v2, off, s[0:3], 0 offset:288
	buffer_load_dword v3, off, s[0:3], 0 offset:292
	v_mov_b32_e32 v4, 0
	buffer_store_dword v4, off, s[0:3], 0 offset:288
	buffer_store_dword v4, off, s[0:3], 0 offset:292
	s_waitcnt vmcnt(2)
	ds_write_b64 v1, v[2:3]
.LBB37_169:
	s_or_b64 exec, exec, s[4:5]
	s_waitcnt lgkmcnt(0)
	; wave barrier
	s_waitcnt lgkmcnt(0)
	buffer_load_dword v5, off, s[0:3], 0 offset:300
	buffer_load_dword v4, off, s[0:3], 0 offset:296
	;; [unrolled: 1-line block ×4, first 2 shown]
	v_mov_b32_e32 v2, 0
	ds_read_b64 v[8:9], v2 offset:600
	v_cmp_lt_u32_e32 vcc, 35, v0
	s_waitcnt vmcnt(3)
	v_mov_b32_e32 v10, v5
	s_waitcnt lgkmcnt(0)
	v_pk_mul_f32 v[10:11], v[8:9], v[10:11] op_sel_hi:[1,0]
	s_waitcnt vmcnt(2)
	v_pk_fma_f32 v[12:13], v[8:9], v[4:5], v[10:11] op_sel:[0,0,1] op_sel_hi:[1,1,0] neg_lo:[0,0,1] neg_hi:[0,0,1]
	v_pk_fma_f32 v[4:5], v[8:9], v[4:5], v[10:11] op_sel:[0,0,1] op_sel_hi:[1,0,0]
	v_mov_b32_e32 v13, v5
	v_pk_add_f32 v[4:5], v[12:13], 0 op_sel_hi:[1,0]
	s_waitcnt vmcnt(0)
	v_pk_add_f32 v[4:5], v[6:7], v[4:5] neg_lo:[0,1] neg_hi:[0,1]
	buffer_store_dword v4, off, s[0:3], 0 offset:288
	buffer_store_dword v5, off, s[0:3], 0 offset:292
	s_and_saveexec_b64 s[4:5], vcc
	s_cbranch_execz .LBB37_171
; %bb.170:
	buffer_load_dword v4, off, s[0:3], 0 offset:280
	buffer_load_dword v5, off, s[0:3], 0 offset:284
	s_waitcnt vmcnt(0)
	ds_write_b64 v1, v[4:5]
	buffer_store_dword v2, off, s[0:3], 0 offset:280
	buffer_store_dword v2, off, s[0:3], 0 offset:284
.LBB37_171:
	s_or_b64 exec, exec, s[4:5]
	s_waitcnt lgkmcnt(0)
	; wave barrier
	s_waitcnt lgkmcnt(0)
	buffer_load_dword v7, off, s[0:3], 0 offset:292
	buffer_load_dword v9, off, s[0:3], 0 offset:300
	;; [unrolled: 1-line block ×6, first 2 shown]
	ds_read_b128 v[2:5], v2 offset:592
	v_cmp_lt_u32_e32 vcc, 34, v0
	s_waitcnt vmcnt(5)
	v_mov_b32_e32 v12, v7
	s_waitcnt vmcnt(4)
	v_mov_b32_e32 v14, v9
	s_waitcnt lgkmcnt(0)
	v_pk_mul_f32 v[12:13], v[2:3], v[12:13] op_sel_hi:[1,0]
	v_pk_mul_f32 v[14:15], v[4:5], v[14:15] op_sel_hi:[1,0]
	s_waitcnt vmcnt(3)
	v_pk_fma_f32 v[16:17], v[2:3], v[6:7], v[12:13] op_sel:[0,0,1] op_sel_hi:[1,1,0] neg_lo:[0,0,1] neg_hi:[0,0,1]
	v_pk_fma_f32 v[2:3], v[2:3], v[6:7], v[12:13] op_sel:[0,0,1] op_sel_hi:[1,0,0]
	s_waitcnt vmcnt(2)
	v_pk_fma_f32 v[6:7], v[4:5], v[8:9], v[14:15] op_sel:[0,0,1] op_sel_hi:[1,1,0] neg_lo:[0,0,1] neg_hi:[0,0,1]
	v_pk_fma_f32 v[4:5], v[4:5], v[8:9], v[14:15] op_sel:[0,0,1] op_sel_hi:[1,0,0]
	v_mov_b32_e32 v17, v3
	v_mov_b32_e32 v7, v5
	v_pk_add_f32 v[2:3], v[16:17], 0 op_sel_hi:[1,0]
	v_pk_add_f32 v[2:3], v[2:3], v[6:7]
	s_waitcnt vmcnt(0)
	v_pk_add_f32 v[2:3], v[10:11], v[2:3] neg_lo:[0,1] neg_hi:[0,1]
	buffer_store_dword v2, off, s[0:3], 0 offset:280
	buffer_store_dword v3, off, s[0:3], 0 offset:284
	s_and_saveexec_b64 s[4:5], vcc
	s_cbranch_execz .LBB37_173
; %bb.172:
	buffer_load_dword v2, off, s[0:3], 0 offset:272
	buffer_load_dword v3, off, s[0:3], 0 offset:276
	v_mov_b32_e32 v4, 0
	buffer_store_dword v4, off, s[0:3], 0 offset:272
	buffer_store_dword v4, off, s[0:3], 0 offset:276
	s_waitcnt vmcnt(2)
	ds_write_b64 v1, v[2:3]
.LBB37_173:
	s_or_b64 exec, exec, s[4:5]
	s_waitcnt lgkmcnt(0)
	; wave barrier
	s_waitcnt lgkmcnt(0)
	buffer_load_dword v9, off, s[0:3], 0 offset:284
	buffer_load_dword v11, off, s[0:3], 0 offset:292
	;; [unrolled: 1-line block ×8, first 2 shown]
	v_mov_b32_e32 v2, 0
	ds_read2_b64 v[4:7], v2 offset0:73 offset1:74
	ds_read_b64 v[16:17], v2 offset:600
	v_cmp_lt_u32_e32 vcc, 33, v0
	s_waitcnt vmcnt(7)
	v_mov_b32_e32 v94, v9
	s_waitcnt vmcnt(6)
	v_mov_b32_e32 v96, v11
	s_waitcnt lgkmcnt(1)
	v_pk_mul_f32 v[94:95], v[4:5], v[94:95] op_sel_hi:[1,0]
	s_waitcnt vmcnt(5)
	v_mov_b32_e32 v98, v13
	v_pk_mul_f32 v[96:97], v[6:7], v[96:97] op_sel_hi:[1,0]
	s_waitcnt vmcnt(4)
	v_pk_fma_f32 v[100:101], v[4:5], v[8:9], v[94:95] op_sel:[0,0,1] op_sel_hi:[1,1,0] neg_lo:[0,0,1] neg_hi:[0,0,1]
	v_pk_fma_f32 v[4:5], v[4:5], v[8:9], v[94:95] op_sel:[0,0,1] op_sel_hi:[1,0,0]
	s_waitcnt lgkmcnt(0)
	v_pk_mul_f32 v[98:99], v[16:17], v[98:99] op_sel_hi:[1,0]
	s_waitcnt vmcnt(3)
	v_pk_fma_f32 v[8:9], v[6:7], v[10:11], v[96:97] op_sel:[0,0,1] op_sel_hi:[1,1,0] neg_lo:[0,0,1] neg_hi:[0,0,1]
	v_pk_fma_f32 v[6:7], v[6:7], v[10:11], v[96:97] op_sel:[0,0,1] op_sel_hi:[1,0,0]
	v_mov_b32_e32 v101, v5
	s_waitcnt vmcnt(2)
	v_pk_fma_f32 v[10:11], v[16:17], v[12:13], v[98:99] op_sel:[0,0,1] op_sel_hi:[1,1,0] neg_lo:[0,0,1] neg_hi:[0,0,1]
	v_pk_fma_f32 v[12:13], v[16:17], v[12:13], v[98:99] op_sel:[0,0,1] op_sel_hi:[1,0,0]
	v_mov_b32_e32 v9, v7
	v_pk_add_f32 v[4:5], v[100:101], 0 op_sel_hi:[1,0]
	v_mov_b32_e32 v11, v13
	v_pk_add_f32 v[4:5], v[4:5], v[8:9]
	v_pk_add_f32 v[4:5], v[4:5], v[10:11]
	s_waitcnt vmcnt(0)
	v_pk_add_f32 v[4:5], v[14:15], v[4:5] neg_lo:[0,1] neg_hi:[0,1]
	buffer_store_dword v4, off, s[0:3], 0 offset:272
	buffer_store_dword v5, off, s[0:3], 0 offset:276
	s_and_saveexec_b64 s[4:5], vcc
	s_cbranch_execz .LBB37_175
; %bb.174:
	buffer_load_dword v4, off, s[0:3], 0 offset:264
	buffer_load_dword v5, off, s[0:3], 0 offset:268
	s_waitcnt vmcnt(0)
	ds_write_b64 v1, v[4:5]
	buffer_store_dword v2, off, s[0:3], 0 offset:264
	buffer_store_dword v2, off, s[0:3], 0 offset:268
.LBB37_175:
	s_or_b64 exec, exec, s[4:5]
	s_waitcnt lgkmcnt(0)
	; wave barrier
	s_waitcnt lgkmcnt(0)
	buffer_load_dword v13, off, s[0:3], 0 offset:276
	buffer_load_dword v15, off, s[0:3], 0 offset:284
	;; [unrolled: 1-line block ×10, first 2 shown]
	ds_read_b128 v[4:7], v2 offset:576
	ds_read_b128 v[8:11], v2 offset:592
	v_cmp_lt_u32_e32 vcc, 32, v0
	s_waitcnt vmcnt(9)
	v_mov_b32_e32 v2, v13
	s_waitcnt vmcnt(8)
	v_mov_b32_e32 v98, v15
	s_waitcnt lgkmcnt(1)
	v_pk_mul_f32 v[2:3], v[4:5], v[2:3] op_sel_hi:[1,0]
	s_waitcnt vmcnt(7)
	v_mov_b32_e32 v100, v17
	v_pk_mul_f32 v[98:99], v[6:7], v[98:99] op_sel_hi:[1,0]
	s_waitcnt vmcnt(5)
	v_pk_fma_f32 v[104:105], v[4:5], v[12:13], v[2:3] op_sel:[0,0,1] op_sel_hi:[1,1,0] neg_lo:[0,0,1] neg_hi:[0,0,1]
	v_pk_fma_f32 v[2:3], v[4:5], v[12:13], v[2:3] op_sel:[0,0,1] op_sel_hi:[1,0,0]
	v_mov_b32_e32 v102, v95
	s_waitcnt lgkmcnt(0)
	v_pk_mul_f32 v[100:101], v[8:9], v[100:101] op_sel_hi:[1,0]
	s_waitcnt vmcnt(4)
	v_pk_fma_f32 v[4:5], v[6:7], v[14:15], v[98:99] op_sel:[0,0,1] op_sel_hi:[1,1,0] neg_lo:[0,0,1] neg_hi:[0,0,1]
	v_pk_fma_f32 v[6:7], v[6:7], v[14:15], v[98:99] op_sel:[0,0,1] op_sel_hi:[1,0,0]
	v_mov_b32_e32 v105, v3
	v_pk_mul_f32 v[102:103], v[10:11], v[102:103] op_sel_hi:[1,0]
	s_waitcnt vmcnt(3)
	v_pk_fma_f32 v[12:13], v[8:9], v[16:17], v[100:101] op_sel:[0,0,1] op_sel_hi:[1,1,0] neg_lo:[0,0,1] neg_hi:[0,0,1]
	v_pk_fma_f32 v[8:9], v[8:9], v[16:17], v[100:101] op_sel:[0,0,1] op_sel_hi:[1,0,0]
	v_mov_b32_e32 v5, v7
	v_pk_add_f32 v[2:3], v[104:105], 0 op_sel_hi:[1,0]
	s_waitcnt vmcnt(2)
	v_pk_fma_f32 v[14:15], v[10:11], v[94:95], v[102:103] op_sel:[0,0,1] op_sel_hi:[1,1,0] neg_lo:[0,0,1] neg_hi:[0,0,1]
	v_pk_fma_f32 v[10:11], v[10:11], v[94:95], v[102:103] op_sel:[0,0,1] op_sel_hi:[1,0,0]
	v_mov_b32_e32 v13, v9
	v_pk_add_f32 v[2:3], v[2:3], v[4:5]
	v_mov_b32_e32 v15, v11
	v_pk_add_f32 v[2:3], v[2:3], v[12:13]
	v_pk_add_f32 v[2:3], v[2:3], v[14:15]
	s_waitcnt vmcnt(0)
	v_pk_add_f32 v[2:3], v[96:97], v[2:3] neg_lo:[0,1] neg_hi:[0,1]
	buffer_store_dword v2, off, s[0:3], 0 offset:264
	buffer_store_dword v3, off, s[0:3], 0 offset:268
	s_and_saveexec_b64 s[4:5], vcc
	s_cbranch_execz .LBB37_177
; %bb.176:
	buffer_load_dword v2, off, s[0:3], 0 offset:256
	buffer_load_dword v3, off, s[0:3], 0 offset:260
	v_mov_b32_e32 v4, 0
	buffer_store_dword v4, off, s[0:3], 0 offset:256
	buffer_store_dword v4, off, s[0:3], 0 offset:260
	s_waitcnt vmcnt(2)
	ds_write_b64 v1, v[2:3]
.LBB37_177:
	s_or_b64 exec, exec, s[4:5]
	s_waitcnt lgkmcnt(0)
	; wave barrier
	s_waitcnt lgkmcnt(0)
	buffer_load_dword v13, off, s[0:3], 0 offset:268
	buffer_load_dword v15, off, s[0:3], 0 offset:276
	;; [unrolled: 1-line block ×12, first 2 shown]
	v_mov_b32_e32 v2, 0
	ds_read2_b64 v[4:7], v2 offset0:71 offset1:72
	ds_read2_b64 v[8:11], v2 offset0:73 offset1:74
	ds_read_b64 v[100:101], v2 offset:600
	v_cmp_lt_u32_e32 vcc, 31, v0
	s_waitcnt vmcnt(11)
	v_mov_b32_e32 v102, v13
	s_waitcnt vmcnt(10)
	v_mov_b32_e32 v104, v15
	s_waitcnt lgkmcnt(2)
	v_pk_mul_f32 v[102:103], v[4:5], v[102:103] op_sel_hi:[1,0]
	s_waitcnt vmcnt(9)
	v_mov_b32_e32 v106, v17
	v_pk_mul_f32 v[104:105], v[6:7], v[104:105] op_sel_hi:[1,0]
	s_waitcnt vmcnt(6)
	v_pk_fma_f32 v[112:113], v[4:5], v[12:13], v[102:103] op_sel:[0,0,1] op_sel_hi:[1,1,0] neg_lo:[0,0,1] neg_hi:[0,0,1]
	v_pk_fma_f32 v[4:5], v[4:5], v[12:13], v[102:103] op_sel:[0,0,1] op_sel_hi:[1,0,0]
	v_mov_b32_e32 v108, v95
	s_waitcnt lgkmcnt(1)
	v_pk_mul_f32 v[106:107], v[8:9], v[106:107] op_sel_hi:[1,0]
	s_waitcnt vmcnt(5)
	v_pk_fma_f32 v[12:13], v[6:7], v[14:15], v[104:105] op_sel:[0,0,1] op_sel_hi:[1,1,0] neg_lo:[0,0,1] neg_hi:[0,0,1]
	v_pk_fma_f32 v[6:7], v[6:7], v[14:15], v[104:105] op_sel:[0,0,1] op_sel_hi:[1,0,0]
	v_mov_b32_e32 v113, v5
	v_mov_b32_e32 v110, v97
	v_pk_mul_f32 v[108:109], v[10:11], v[108:109] op_sel_hi:[1,0]
	s_waitcnt vmcnt(4)
	v_pk_fma_f32 v[14:15], v[8:9], v[16:17], v[106:107] op_sel:[0,0,1] op_sel_hi:[1,1,0] neg_lo:[0,0,1] neg_hi:[0,0,1]
	v_pk_fma_f32 v[8:9], v[8:9], v[16:17], v[106:107] op_sel:[0,0,1] op_sel_hi:[1,0,0]
	v_mov_b32_e32 v13, v7
	v_pk_add_f32 v[4:5], v[112:113], 0 op_sel_hi:[1,0]
	s_waitcnt lgkmcnt(0)
	v_pk_mul_f32 v[110:111], v[100:101], v[110:111] op_sel_hi:[1,0]
	s_waitcnt vmcnt(3)
	v_pk_fma_f32 v[16:17], v[10:11], v[94:95], v[108:109] op_sel:[0,0,1] op_sel_hi:[1,1,0] neg_lo:[0,0,1] neg_hi:[0,0,1]
	v_pk_fma_f32 v[10:11], v[10:11], v[94:95], v[108:109] op_sel:[0,0,1] op_sel_hi:[1,0,0]
	v_mov_b32_e32 v15, v9
	v_pk_add_f32 v[4:5], v[4:5], v[12:13]
	s_waitcnt vmcnt(2)
	v_pk_fma_f32 v[94:95], v[100:101], v[96:97], v[110:111] op_sel:[0,0,1] op_sel_hi:[1,1,0] neg_lo:[0,0,1] neg_hi:[0,0,1]
	v_pk_fma_f32 v[96:97], v[100:101], v[96:97], v[110:111] op_sel:[0,0,1] op_sel_hi:[1,0,0]
	v_mov_b32_e32 v17, v11
	v_pk_add_f32 v[4:5], v[4:5], v[14:15]
	v_mov_b32_e32 v95, v97
	v_pk_add_f32 v[4:5], v[4:5], v[16:17]
	v_pk_add_f32 v[4:5], v[4:5], v[94:95]
	s_waitcnt vmcnt(0)
	v_pk_add_f32 v[4:5], v[98:99], v[4:5] neg_lo:[0,1] neg_hi:[0,1]
	buffer_store_dword v4, off, s[0:3], 0 offset:256
	buffer_store_dword v5, off, s[0:3], 0 offset:260
	s_and_saveexec_b64 s[4:5], vcc
	s_cbranch_execz .LBB37_179
; %bb.178:
	buffer_load_dword v4, off, s[0:3], 0 offset:248
	buffer_load_dword v5, off, s[0:3], 0 offset:252
	s_waitcnt vmcnt(0)
	ds_write_b64 v1, v[4:5]
	buffer_store_dword v2, off, s[0:3], 0 offset:248
	buffer_store_dword v2, off, s[0:3], 0 offset:252
.LBB37_179:
	s_or_b64 exec, exec, s[4:5]
	s_waitcnt lgkmcnt(0)
	; wave barrier
	s_waitcnt lgkmcnt(0)
	buffer_load_dword v17, off, s[0:3], 0 offset:260
	buffer_load_dword v95, off, s[0:3], 0 offset:268
	;; [unrolled: 1-line block ×14, first 2 shown]
	ds_read_b128 v[4:7], v2 offset:560
	ds_read_b128 v[8:11], v2 offset:576
	;; [unrolled: 1-line block ×3, first 2 shown]
	v_cmp_lt_u32_e32 vcc, 30, v0
	s_waitcnt vmcnt(13)
	v_mov_b32_e32 v2, v17
	s_waitcnt vmcnt(12)
	v_mov_b32_e32 v106, v95
	s_waitcnt lgkmcnt(2)
	v_pk_mul_f32 v[2:3], v[4:5], v[2:3] op_sel_hi:[1,0]
	s_waitcnt vmcnt(11)
	v_mov_b32_e32 v108, v97
	v_pk_mul_f32 v[106:107], v[6:7], v[106:107] op_sel_hi:[1,0]
	s_waitcnt vmcnt(10)
	v_mov_b32_e32 v110, v99
	s_waitcnt vmcnt(7)
	v_pk_fma_f32 v[116:117], v[4:5], v[16:17], v[2:3] op_sel:[0,0,1] op_sel_hi:[1,1,0] neg_lo:[0,0,1] neg_hi:[0,0,1]
	v_pk_fma_f32 v[2:3], v[4:5], v[16:17], v[2:3] op_sel:[0,0,1] op_sel_hi:[1,0,0]
	s_waitcnt lgkmcnt(1)
	v_pk_mul_f32 v[108:109], v[8:9], v[108:109] op_sel_hi:[1,0]
	s_waitcnt vmcnt(6)
	v_pk_fma_f32 v[4:5], v[6:7], v[94:95], v[106:107] op_sel:[0,0,1] op_sel_hi:[1,1,0] neg_lo:[0,0,1] neg_hi:[0,0,1]
	v_pk_fma_f32 v[6:7], v[6:7], v[94:95], v[106:107] op_sel:[0,0,1] op_sel_hi:[1,0,0]
	v_mov_b32_e32 v117, v3
	v_mov_b32_e32 v112, v101
	v_pk_mul_f32 v[110:111], v[10:11], v[110:111] op_sel_hi:[1,0]
	s_waitcnt vmcnt(5)
	v_pk_fma_f32 v[16:17], v[8:9], v[96:97], v[108:109] op_sel:[0,0,1] op_sel_hi:[1,1,0] neg_lo:[0,0,1] neg_hi:[0,0,1]
	v_pk_fma_f32 v[8:9], v[8:9], v[96:97], v[108:109] op_sel:[0,0,1] op_sel_hi:[1,0,0]
	v_mov_b32_e32 v5, v7
	v_pk_add_f32 v[2:3], v[116:117], 0 op_sel_hi:[1,0]
	v_mov_b32_e32 v114, v103
	s_waitcnt lgkmcnt(0)
	v_pk_mul_f32 v[112:113], v[12:13], v[112:113] op_sel_hi:[1,0]
	s_waitcnt vmcnt(4)
	v_pk_fma_f32 v[94:95], v[10:11], v[98:99], v[110:111] op_sel:[0,0,1] op_sel_hi:[1,1,0] neg_lo:[0,0,1] neg_hi:[0,0,1]
	v_pk_fma_f32 v[10:11], v[10:11], v[98:99], v[110:111] op_sel:[0,0,1] op_sel_hi:[1,0,0]
	v_mov_b32_e32 v17, v9
	v_pk_add_f32 v[2:3], v[2:3], v[4:5]
	v_pk_mul_f32 v[114:115], v[14:15], v[114:115] op_sel_hi:[1,0]
	s_waitcnt vmcnt(3)
	v_pk_fma_f32 v[96:97], v[12:13], v[100:101], v[112:113] op_sel:[0,0,1] op_sel_hi:[1,1,0] neg_lo:[0,0,1] neg_hi:[0,0,1]
	v_pk_fma_f32 v[12:13], v[12:13], v[100:101], v[112:113] op_sel:[0,0,1] op_sel_hi:[1,0,0]
	v_mov_b32_e32 v95, v11
	v_pk_add_f32 v[2:3], v[2:3], v[16:17]
	s_waitcnt vmcnt(2)
	v_pk_fma_f32 v[98:99], v[14:15], v[102:103], v[114:115] op_sel:[0,0,1] op_sel_hi:[1,1,0] neg_lo:[0,0,1] neg_hi:[0,0,1]
	v_pk_fma_f32 v[14:15], v[14:15], v[102:103], v[114:115] op_sel:[0,0,1] op_sel_hi:[1,0,0]
	v_mov_b32_e32 v97, v13
	v_pk_add_f32 v[2:3], v[2:3], v[94:95]
	v_mov_b32_e32 v99, v15
	v_pk_add_f32 v[2:3], v[2:3], v[96:97]
	v_pk_add_f32 v[2:3], v[2:3], v[98:99]
	s_waitcnt vmcnt(0)
	v_pk_add_f32 v[2:3], v[104:105], v[2:3] neg_lo:[0,1] neg_hi:[0,1]
	buffer_store_dword v2, off, s[0:3], 0 offset:248
	buffer_store_dword v3, off, s[0:3], 0 offset:252
	s_and_saveexec_b64 s[4:5], vcc
	s_cbranch_execz .LBB37_181
; %bb.180:
	buffer_load_dword v2, off, s[0:3], 0 offset:240
	buffer_load_dword v3, off, s[0:3], 0 offset:244
	v_mov_b32_e32 v4, 0
	buffer_store_dword v4, off, s[0:3], 0 offset:240
	buffer_store_dword v4, off, s[0:3], 0 offset:244
	s_waitcnt vmcnt(2)
	ds_write_b64 v1, v[2:3]
.LBB37_181:
	s_or_b64 exec, exec, s[4:5]
	s_waitcnt lgkmcnt(0)
	; wave barrier
	s_waitcnt lgkmcnt(0)
	buffer_load_dword v17, off, s[0:3], 0 offset:252
	buffer_load_dword v95, off, s[0:3], 0 offset:260
	;; [unrolled: 1-line block ×16, first 2 shown]
	v_mov_b32_e32 v2, 0
	ds_read2_b64 v[4:7], v2 offset0:69 offset1:70
	ds_read2_b64 v[8:11], v2 offset0:71 offset1:72
	;; [unrolled: 1-line block ×3, first 2 shown]
	ds_read_b64 v[108:109], v2 offset:600
	v_cmp_lt_u32_e32 vcc, 29, v0
	s_waitcnt vmcnt(15)
	v_mov_b32_e32 v110, v17
	s_waitcnt vmcnt(14)
	v_mov_b32_e32 v112, v95
	s_waitcnt lgkmcnt(3)
	v_pk_mul_f32 v[110:111], v[4:5], v[110:111] op_sel_hi:[1,0]
	s_waitcnt vmcnt(13)
	v_mov_b32_e32 v114, v97
	v_pk_mul_f32 v[112:113], v[6:7], v[112:113] op_sel_hi:[1,0]
	s_waitcnt vmcnt(12)
	v_mov_b32_e32 v116, v99
	s_waitcnt lgkmcnt(2)
	v_pk_mul_f32 v[114:115], v[8:9], v[114:115] op_sel_hi:[1,0]
	s_waitcnt vmcnt(8)
	v_pk_fma_f32 v[124:125], v[4:5], v[16:17], v[110:111] op_sel:[0,0,1] op_sel_hi:[1,1,0] neg_lo:[0,0,1] neg_hi:[0,0,1]
	v_pk_fma_f32 v[4:5], v[4:5], v[16:17], v[110:111] op_sel:[0,0,1] op_sel_hi:[1,0,0]
	s_waitcnt vmcnt(7)
	v_pk_fma_f32 v[16:17], v[6:7], v[94:95], v[112:113] op_sel:[0,0,1] op_sel_hi:[1,1,0] neg_lo:[0,0,1] neg_hi:[0,0,1]
	v_pk_fma_f32 v[6:7], v[6:7], v[94:95], v[112:113] op_sel:[0,0,1] op_sel_hi:[1,0,0]
	v_mov_b32_e32 v125, v5
	v_mov_b32_e32 v118, v101
	v_pk_mul_f32 v[116:117], v[10:11], v[116:117] op_sel_hi:[1,0]
	s_waitcnt vmcnt(6)
	v_pk_fma_f32 v[94:95], v[8:9], v[96:97], v[114:115] op_sel:[0,0,1] op_sel_hi:[1,1,0] neg_lo:[0,0,1] neg_hi:[0,0,1]
	v_pk_fma_f32 v[8:9], v[8:9], v[96:97], v[114:115] op_sel:[0,0,1] op_sel_hi:[1,0,0]
	v_mov_b32_e32 v17, v7
	v_pk_add_f32 v[4:5], v[124:125], 0 op_sel_hi:[1,0]
	v_mov_b32_e32 v120, v103
	s_waitcnt lgkmcnt(1)
	v_pk_mul_f32 v[118:119], v[12:13], v[118:119] op_sel_hi:[1,0]
	s_waitcnt vmcnt(5)
	v_pk_fma_f32 v[96:97], v[10:11], v[98:99], v[116:117] op_sel:[0,0,1] op_sel_hi:[1,1,0] neg_lo:[0,0,1] neg_hi:[0,0,1]
	v_pk_fma_f32 v[10:11], v[10:11], v[98:99], v[116:117] op_sel:[0,0,1] op_sel_hi:[1,0,0]
	v_mov_b32_e32 v95, v9
	v_pk_add_f32 v[4:5], v[4:5], v[16:17]
	v_mov_b32_e32 v122, v105
	v_pk_mul_f32 v[120:121], v[14:15], v[120:121] op_sel_hi:[1,0]
	s_waitcnt vmcnt(4)
	v_pk_fma_f32 v[98:99], v[12:13], v[100:101], v[118:119] op_sel:[0,0,1] op_sel_hi:[1,1,0] neg_lo:[0,0,1] neg_hi:[0,0,1]
	v_pk_fma_f32 v[12:13], v[12:13], v[100:101], v[118:119] op_sel:[0,0,1] op_sel_hi:[1,0,0]
	v_mov_b32_e32 v97, v11
	v_pk_add_f32 v[4:5], v[4:5], v[94:95]
	s_waitcnt lgkmcnt(0)
	v_pk_mul_f32 v[122:123], v[108:109], v[122:123] op_sel_hi:[1,0]
	s_waitcnt vmcnt(3)
	v_pk_fma_f32 v[100:101], v[14:15], v[102:103], v[120:121] op_sel:[0,0,1] op_sel_hi:[1,1,0] neg_lo:[0,0,1] neg_hi:[0,0,1]
	v_pk_fma_f32 v[14:15], v[14:15], v[102:103], v[120:121] op_sel:[0,0,1] op_sel_hi:[1,0,0]
	v_mov_b32_e32 v99, v13
	v_pk_add_f32 v[4:5], v[4:5], v[96:97]
	s_waitcnt vmcnt(2)
	v_pk_fma_f32 v[102:103], v[108:109], v[104:105], v[122:123] op_sel:[0,0,1] op_sel_hi:[1,1,0] neg_lo:[0,0,1] neg_hi:[0,0,1]
	v_pk_fma_f32 v[104:105], v[108:109], v[104:105], v[122:123] op_sel:[0,0,1] op_sel_hi:[1,0,0]
	v_mov_b32_e32 v101, v15
	v_pk_add_f32 v[4:5], v[4:5], v[98:99]
	v_mov_b32_e32 v103, v105
	v_pk_add_f32 v[4:5], v[4:5], v[100:101]
	v_pk_add_f32 v[4:5], v[4:5], v[102:103]
	s_waitcnt vmcnt(0)
	v_pk_add_f32 v[4:5], v[106:107], v[4:5] neg_lo:[0,1] neg_hi:[0,1]
	buffer_store_dword v4, off, s[0:3], 0 offset:240
	buffer_store_dword v5, off, s[0:3], 0 offset:244
	s_and_saveexec_b64 s[4:5], vcc
	s_cbranch_execz .LBB37_183
; %bb.182:
	buffer_load_dword v4, off, s[0:3], 0 offset:232
	buffer_load_dword v5, off, s[0:3], 0 offset:236
	s_waitcnt vmcnt(0)
	ds_write_b64 v1, v[4:5]
	buffer_store_dword v2, off, s[0:3], 0 offset:232
	buffer_store_dword v2, off, s[0:3], 0 offset:236
.LBB37_183:
	s_or_b64 exec, exec, s[4:5]
	s_waitcnt lgkmcnt(0)
	; wave barrier
	s_waitcnt lgkmcnt(0)
	buffer_load_dword v16, off, s[0:3], 0 offset:232
	buffer_load_dword v17, off, s[0:3], 0 offset:236
	;; [unrolled: 1-line block ×16, first 2 shown]
	ds_read_b128 v[4:7], v2 offset:544
	ds_read_b128 v[8:11], v2 offset:560
	;; [unrolled: 1-line block ×4, first 2 shown]
	buffer_load_dword v3, off, s[0:3], 0 offset:300
	buffer_load_dword v2, off, s[0:3], 0 offset:296
	v_cmp_lt_u32_e32 vcc, 28, v0
	s_waitcnt vmcnt(14)
	v_mov_b32_e32 v112, v99
	s_waitcnt lgkmcnt(3)
	v_pk_mul_f32 v[112:113], v[4:5], v[112:113] op_sel_hi:[1,0]
	v_pk_fma_f32 v[114:115], v[4:5], v[98:99], v[112:113] op_sel:[0,0,1] op_sel_hi:[1,1,0] neg_lo:[0,0,1] neg_hi:[0,0,1]
	v_pk_fma_f32 v[4:5], v[4:5], v[98:99], v[112:113] op_sel:[0,0,1] op_sel_hi:[1,0,0]
	s_waitcnt vmcnt(12)
	v_mov_b32_e32 v98, v101
	v_pk_mul_f32 v[98:99], v[6:7], v[98:99] op_sel_hi:[1,0]
	v_pk_fma_f32 v[112:113], v[6:7], v[100:101], v[98:99] op_sel:[0,0,1] op_sel_hi:[1,1,0] neg_lo:[0,0,1] neg_hi:[0,0,1]
	v_pk_fma_f32 v[6:7], v[6:7], v[100:101], v[98:99] op_sel:[0,0,1] op_sel_hi:[1,0,0]
	s_waitcnt vmcnt(10)
	v_mov_b32_e32 v6, v103
	v_mov_b32_e32 v113, v7
	s_waitcnt lgkmcnt(2)
	v_pk_mul_f32 v[6:7], v[8:9], v[6:7] op_sel_hi:[1,0]
	v_pk_fma_f32 v[98:99], v[8:9], v[102:103], v[6:7] op_sel:[0,0,1] op_sel_hi:[1,1,0] neg_lo:[0,0,1] neg_hi:[0,0,1]
	v_pk_fma_f32 v[6:7], v[8:9], v[102:103], v[6:7] op_sel:[0,0,1] op_sel_hi:[1,0,0]
	s_waitcnt vmcnt(8)
	v_mov_b32_e32 v6, v105
	v_mov_b32_e32 v115, v5
	;; [unrolled: 1-line block ×3, first 2 shown]
	v_pk_mul_f32 v[6:7], v[10:11], v[6:7] op_sel_hi:[1,0]
	v_pk_add_f32 v[4:5], v[114:115], 0 op_sel_hi:[1,0]
	v_pk_fma_f32 v[8:9], v[10:11], v[104:105], v[6:7] op_sel:[0,0,1] op_sel_hi:[1,1,0] neg_lo:[0,0,1] neg_hi:[0,0,1]
	v_pk_fma_f32 v[6:7], v[10:11], v[104:105], v[6:7] op_sel:[0,0,1] op_sel_hi:[1,0,0]
	v_pk_add_f32 v[4:5], v[4:5], v[112:113]
	s_waitcnt vmcnt(6)
	v_mov_b32_e32 v6, v107
	v_pk_add_f32 v[4:5], v[4:5], v[98:99]
	v_mov_b32_e32 v9, v7
	s_waitcnt lgkmcnt(1)
	v_pk_mul_f32 v[6:7], v[12:13], v[6:7] op_sel_hi:[1,0]
	v_pk_add_f32 v[4:5], v[4:5], v[8:9]
	v_pk_fma_f32 v[8:9], v[12:13], v[106:107], v[6:7] op_sel:[0,0,1] op_sel_hi:[1,1,0] neg_lo:[0,0,1] neg_hi:[0,0,1]
	v_pk_fma_f32 v[6:7], v[12:13], v[106:107], v[6:7] op_sel:[0,0,1] op_sel_hi:[1,0,0]
	s_waitcnt vmcnt(4)
	v_mov_b32_e32 v6, v109
	v_mov_b32_e32 v9, v7
	v_pk_mul_f32 v[6:7], v[14:15], v[6:7] op_sel_hi:[1,0]
	v_pk_add_f32 v[4:5], v[4:5], v[8:9]
	v_pk_fma_f32 v[8:9], v[14:15], v[108:109], v[6:7] op_sel:[0,0,1] op_sel_hi:[1,1,0] neg_lo:[0,0,1] neg_hi:[0,0,1]
	v_pk_fma_f32 v[6:7], v[14:15], v[108:109], v[6:7] op_sel:[0,0,1] op_sel_hi:[1,0,0]
	s_waitcnt vmcnt(2)
	v_mov_b32_e32 v6, v111
	v_mov_b32_e32 v9, v7
	s_waitcnt lgkmcnt(0)
	v_pk_mul_f32 v[6:7], v[94:95], v[6:7] op_sel_hi:[1,0]
	v_pk_add_f32 v[4:5], v[4:5], v[8:9]
	v_pk_fma_f32 v[8:9], v[94:95], v[110:111], v[6:7] op_sel:[0,0,1] op_sel_hi:[1,1,0] neg_lo:[0,0,1] neg_hi:[0,0,1]
	v_pk_fma_f32 v[6:7], v[94:95], v[110:111], v[6:7] op_sel:[0,0,1] op_sel_hi:[1,0,0]
	s_waitcnt vmcnt(1)
	v_mov_b32_e32 v6, v3
	v_mov_b32_e32 v9, v7
	v_pk_mul_f32 v[6:7], v[96:97], v[6:7] op_sel_hi:[1,0]
	v_pk_add_f32 v[4:5], v[4:5], v[8:9]
	s_waitcnt vmcnt(0)
	v_pk_fma_f32 v[8:9], v[96:97], v[2:3], v[6:7] op_sel:[0,0,1] op_sel_hi:[1,1,0] neg_lo:[0,0,1] neg_hi:[0,0,1]
	v_pk_fma_f32 v[2:3], v[96:97], v[2:3], v[6:7] op_sel:[0,0,1] op_sel_hi:[1,0,0]
	v_mov_b32_e32 v9, v3
	v_pk_add_f32 v[2:3], v[4:5], v[8:9]
	v_pk_add_f32 v[2:3], v[16:17], v[2:3] neg_lo:[0,1] neg_hi:[0,1]
	buffer_store_dword v2, off, s[0:3], 0 offset:232
	buffer_store_dword v3, off, s[0:3], 0 offset:236
	s_and_saveexec_b64 s[4:5], vcc
	s_cbranch_execz .LBB37_185
; %bb.184:
	buffer_load_dword v2, off, s[0:3], 0 offset:224
	buffer_load_dword v3, off, s[0:3], 0 offset:228
	v_mov_b32_e32 v4, 0
	buffer_store_dword v4, off, s[0:3], 0 offset:224
	buffer_store_dword v4, off, s[0:3], 0 offset:228
	s_waitcnt vmcnt(2)
	ds_write_b64 v1, v[2:3]
.LBB37_185:
	s_or_b64 exec, exec, s[4:5]
	v_mov_b32_e32 v4, 0
	s_waitcnt lgkmcnt(0)
	; wave barrier
	s_waitcnt lgkmcnt(0)
	ds_read2_b64 v[6:9], v4 offset0:67 offset1:68
	buffer_load_dword v2, off, s[0:3], 0 offset:224
	buffer_load_dword v3, off, s[0:3], 0 offset:228
	;; [unrolled: 1-line block ×20, first 2 shown]
	v_cmp_lt_u32_e32 vcc, 27, v0
	s_waitcnt vmcnt(16) lgkmcnt(0)
	v_mul_f32_e32 v111, v6, v10
	v_fmac_f32_e32 v111, v7, v5
	v_mul_f32_e32 v7, v7, v10
	s_waitcnt vmcnt(14)
	v_mov_b32_e32 v116, v99
	v_fma_f32 v110, v6, v5, -v7
	ds_read2_b64 v[10:13], v4 offset0:69 offset1:70
	ds_read2_b64 v[14:17], v4 offset0:71 offset1:72
	;; [unrolled: 1-line block ×3, first 2 shown]
	ds_read_b64 v[6:7], v4 offset:600
	v_pk_mul_f32 v[116:117], v[8:9], v[116:117] op_sel_hi:[1,0]
	v_pk_fma_f32 v[118:119], v[8:9], v[98:99], v[116:117] op_sel:[0,0,1] op_sel_hi:[1,1,0] neg_lo:[0,0,1] neg_hi:[0,0,1]
	v_pk_fma_f32 v[8:9], v[8:9], v[98:99], v[116:117] op_sel:[0,0,1] op_sel_hi:[1,0,0]
	s_waitcnt vmcnt(12)
	v_mov_b32_e32 v98, v101
	v_pk_add_f32 v[110:111], v[110:111], 0 op_sel_hi:[1,0]
	v_mov_b32_e32 v119, v9
	s_waitcnt lgkmcnt(3)
	v_pk_mul_f32 v[98:99], v[10:11], v[98:99] op_sel_hi:[1,0]
	v_pk_add_f32 v[8:9], v[110:111], v[118:119]
	v_pk_fma_f32 v[110:111], v[10:11], v[100:101], v[98:99] op_sel:[0,0,1] op_sel_hi:[1,1,0] neg_lo:[0,0,1] neg_hi:[0,0,1]
	v_pk_fma_f32 v[10:11], v[10:11], v[100:101], v[98:99] op_sel:[0,0,1] op_sel_hi:[1,0,0]
	s_waitcnt vmcnt(10)
	v_mov_b32_e32 v10, v103
	v_mov_b32_e32 v111, v11
	v_pk_mul_f32 v[10:11], v[12:13], v[10:11] op_sel_hi:[1,0]
	v_pk_fma_f32 v[98:99], v[12:13], v[102:103], v[10:11] op_sel:[0,0,1] op_sel_hi:[1,1,0] neg_lo:[0,0,1] neg_hi:[0,0,1]
	v_pk_fma_f32 v[10:11], v[12:13], v[102:103], v[10:11] op_sel:[0,0,1] op_sel_hi:[1,0,0]
	s_waitcnt vmcnt(8)
	v_mov_b32_e32 v10, v105
	v_mov_b32_e32 v99, v11
	s_waitcnt lgkmcnt(2)
	v_pk_mul_f32 v[10:11], v[14:15], v[10:11] op_sel_hi:[1,0]
	v_pk_fma_f32 v[12:13], v[14:15], v[104:105], v[10:11] op_sel:[0,0,1] op_sel_hi:[1,1,0] neg_lo:[0,0,1] neg_hi:[0,0,1]
	v_pk_fma_f32 v[10:11], v[14:15], v[104:105], v[10:11] op_sel:[0,0,1] op_sel_hi:[1,0,0]
	v_pk_add_f32 v[8:9], v[8:9], v[110:111]
	s_waitcnt vmcnt(6)
	v_mov_b32_e32 v10, v107
	v_pk_add_f32 v[8:9], v[8:9], v[98:99]
	v_mov_b32_e32 v13, v11
	v_pk_mul_f32 v[10:11], v[16:17], v[10:11] op_sel_hi:[1,0]
	v_pk_add_f32 v[8:9], v[8:9], v[12:13]
	v_pk_fma_f32 v[12:13], v[16:17], v[106:107], v[10:11] op_sel:[0,0,1] op_sel_hi:[1,1,0] neg_lo:[0,0,1] neg_hi:[0,0,1]
	v_pk_fma_f32 v[10:11], v[16:17], v[106:107], v[10:11] op_sel:[0,0,1] op_sel_hi:[1,0,0]
	s_waitcnt vmcnt(4)
	v_mov_b32_e32 v10, v109
	v_mov_b32_e32 v13, v11
	s_waitcnt lgkmcnt(1)
	v_pk_mul_f32 v[10:11], v[94:95], v[10:11] op_sel_hi:[1,0]
	v_pk_add_f32 v[8:9], v[8:9], v[12:13]
	v_pk_fma_f32 v[12:13], v[94:95], v[108:109], v[10:11] op_sel:[0,0,1] op_sel_hi:[1,1,0] neg_lo:[0,0,1] neg_hi:[0,0,1]
	v_pk_fma_f32 v[10:11], v[94:95], v[108:109], v[10:11] op_sel:[0,0,1] op_sel_hi:[1,0,0]
	s_waitcnt vmcnt(3)
	v_mov_b32_e32 v10, v113
	v_mov_b32_e32 v13, v11
	v_pk_mul_f32 v[10:11], v[96:97], v[10:11] op_sel_hi:[1,0]
	v_pk_add_f32 v[8:9], v[8:9], v[12:13]
	s_waitcnt vmcnt(2)
	v_pk_fma_f32 v[12:13], v[96:97], v[112:113], v[10:11] op_sel:[0,0,1] op_sel_hi:[1,1,0] neg_lo:[0,0,1] neg_hi:[0,0,1]
	v_pk_fma_f32 v[10:11], v[96:97], v[112:113], v[10:11] op_sel:[0,0,1] op_sel_hi:[1,0,0]
	s_waitcnt vmcnt(1)
	v_mov_b32_e32 v10, v115
	v_mov_b32_e32 v13, v11
	s_waitcnt lgkmcnt(0)
	v_pk_mul_f32 v[10:11], v[6:7], v[10:11] op_sel_hi:[1,0]
	v_pk_add_f32 v[8:9], v[8:9], v[12:13]
	s_waitcnt vmcnt(0)
	v_pk_fma_f32 v[12:13], v[6:7], v[114:115], v[10:11] op_sel:[0,0,1] op_sel_hi:[1,1,0] neg_lo:[0,0,1] neg_hi:[0,0,1]
	v_pk_fma_f32 v[6:7], v[6:7], v[114:115], v[10:11] op_sel:[0,0,1] op_sel_hi:[1,0,0]
	v_mov_b32_e32 v13, v7
	v_pk_add_f32 v[6:7], v[8:9], v[12:13]
	v_pk_add_f32 v[2:3], v[2:3], v[6:7] neg_lo:[0,1] neg_hi:[0,1]
	buffer_store_dword v2, off, s[0:3], 0 offset:224
	buffer_store_dword v3, off, s[0:3], 0 offset:228
	s_and_saveexec_b64 s[4:5], vcc
	s_cbranch_execz .LBB37_187
; %bb.186:
	buffer_load_dword v2, off, s[0:3], 0 offset:216
	buffer_load_dword v3, off, s[0:3], 0 offset:220
	s_waitcnt vmcnt(0)
	ds_write_b64 v1, v[2:3]
	buffer_store_dword v4, off, s[0:3], 0 offset:216
	buffer_store_dword v4, off, s[0:3], 0 offset:220
.LBB37_187:
	s_or_b64 exec, exec, s[4:5]
	s_waitcnt lgkmcnt(0)
	; wave barrier
	s_waitcnt lgkmcnt(0)
	ds_read_b128 v[6:9], v4 offset:528
	ds_read_b128 v[10:13], v4 offset:544
	;; [unrolled: 1-line block ×4, first 2 shown]
	buffer_load_dword v2, off, s[0:3], 0 offset:216
	buffer_load_dword v3, off, s[0:3], 0 offset:220
	;; [unrolled: 1-line block ×22, first 2 shown]
	v_cmp_lt_u32_e32 vcc, 26, v0
	s_waitcnt vmcnt(18) lgkmcnt(3)
	v_mul_f32_e32 v109, v6, v108
	v_fmac_f32_e32 v109, v7, v5
	v_mul_f32_e32 v7, v7, v108
	s_waitcnt vmcnt(16)
	v_mul_f32_e32 v111, v8, v118
	v_fma_f32 v108, v6, v5, -v7
	v_mul_f32_e32 v5, v9, v118
	v_fmac_f32_e32 v111, v9, v110
	v_fma_f32 v110, v8, v110, -v5
	v_pk_add_f32 v[8:9], v[108:109], 0 op_sel_hi:[1,0]
	s_waitcnt vmcnt(14)
	v_mov_b32_e32 v108, v99
	s_waitcnt lgkmcnt(2)
	v_pk_mul_f32 v[108:109], v[10:11], v[108:109] op_sel_hi:[1,0]
	v_pk_add_f32 v[8:9], v[8:9], v[110:111]
	v_pk_fma_f32 v[110:111], v[10:11], v[98:99], v[108:109] op_sel:[0,0,1] op_sel_hi:[1,1,0] neg_lo:[0,0,1] neg_hi:[0,0,1]
	v_pk_fma_f32 v[10:11], v[10:11], v[98:99], v[108:109] op_sel:[0,0,1] op_sel_hi:[1,0,0]
	s_waitcnt vmcnt(12)
	v_mov_b32_e32 v10, v101
	v_mov_b32_e32 v111, v11
	v_pk_mul_f32 v[10:11], v[12:13], v[10:11] op_sel_hi:[1,0]
	v_pk_fma_f32 v[98:99], v[12:13], v[100:101], v[10:11] op_sel:[0,0,1] op_sel_hi:[1,1,0] neg_lo:[0,0,1] neg_hi:[0,0,1]
	v_pk_fma_f32 v[10:11], v[12:13], v[100:101], v[10:11] op_sel:[0,0,1] op_sel_hi:[1,0,0]
	s_waitcnt vmcnt(10)
	v_mov_b32_e32 v10, v103
	v_mov_b32_e32 v99, v11
	s_waitcnt lgkmcnt(1)
	v_pk_mul_f32 v[10:11], v[14:15], v[10:11] op_sel_hi:[1,0]
	v_pk_fma_f32 v[12:13], v[14:15], v[102:103], v[10:11] op_sel:[0,0,1] op_sel_hi:[1,1,0] neg_lo:[0,0,1] neg_hi:[0,0,1]
	v_pk_fma_f32 v[10:11], v[14:15], v[102:103], v[10:11] op_sel:[0,0,1] op_sel_hi:[1,0,0]
	v_pk_add_f32 v[8:9], v[8:9], v[110:111]
	s_waitcnt vmcnt(8)
	v_mov_b32_e32 v10, v105
	v_pk_add_f32 v[8:9], v[8:9], v[98:99]
	v_mov_b32_e32 v13, v11
	v_pk_mul_f32 v[10:11], v[16:17], v[10:11] op_sel_hi:[1,0]
	v_pk_add_f32 v[8:9], v[8:9], v[12:13]
	v_pk_fma_f32 v[12:13], v[16:17], v[104:105], v[10:11] op_sel:[0,0,1] op_sel_hi:[1,1,0] neg_lo:[0,0,1] neg_hi:[0,0,1]
	v_pk_fma_f32 v[10:11], v[16:17], v[104:105], v[10:11] op_sel:[0,0,1] op_sel_hi:[1,0,0]
	s_waitcnt vmcnt(6)
	v_mov_b32_e32 v10, v107
	v_mov_b32_e32 v13, v11
	s_waitcnt lgkmcnt(0)
	v_pk_mul_f32 v[10:11], v[94:95], v[10:11] op_sel_hi:[1,0]
	ds_read_b128 v[4:7], v4 offset:592
	v_pk_add_f32 v[8:9], v[8:9], v[12:13]
	v_pk_fma_f32 v[12:13], v[94:95], v[106:107], v[10:11] op_sel:[0,0,1] op_sel_hi:[1,1,0] neg_lo:[0,0,1] neg_hi:[0,0,1]
	v_pk_fma_f32 v[10:11], v[94:95], v[106:107], v[10:11] op_sel:[0,0,1] op_sel_hi:[1,0,0]
	s_waitcnt vmcnt(5)
	v_mov_b32_e32 v10, v113
	v_mov_b32_e32 v13, v11
	v_pk_mul_f32 v[10:11], v[96:97], v[10:11] op_sel_hi:[1,0]
	v_pk_add_f32 v[8:9], v[8:9], v[12:13]
	s_waitcnt vmcnt(4)
	v_pk_fma_f32 v[12:13], v[96:97], v[112:113], v[10:11] op_sel:[0,0,1] op_sel_hi:[1,1,0] neg_lo:[0,0,1] neg_hi:[0,0,1]
	v_pk_fma_f32 v[10:11], v[96:97], v[112:113], v[10:11] op_sel:[0,0,1] op_sel_hi:[1,0,0]
	s_waitcnt vmcnt(3)
	v_mov_b32_e32 v10, v115
	v_mov_b32_e32 v13, v11
	s_waitcnt lgkmcnt(0)
	v_pk_mul_f32 v[10:11], v[4:5], v[10:11] op_sel_hi:[1,0]
	v_pk_add_f32 v[8:9], v[8:9], v[12:13]
	s_waitcnt vmcnt(2)
	v_pk_fma_f32 v[12:13], v[4:5], v[114:115], v[10:11] op_sel:[0,0,1] op_sel_hi:[1,1,0] neg_lo:[0,0,1] neg_hi:[0,0,1]
	v_pk_fma_f32 v[4:5], v[4:5], v[114:115], v[10:11] op_sel:[0,0,1] op_sel_hi:[1,0,0]
	v_mov_b32_e32 v13, v5
	v_pk_add_f32 v[4:5], v[8:9], v[12:13]
	s_waitcnt vmcnt(1)
	v_mov_b32_e32 v8, v117
	v_pk_mul_f32 v[8:9], v[6:7], v[8:9] op_sel_hi:[1,0]
	s_waitcnt vmcnt(0)
	v_pk_fma_f32 v[10:11], v[6:7], v[116:117], v[8:9] op_sel:[0,0,1] op_sel_hi:[1,1,0] neg_lo:[0,0,1] neg_hi:[0,0,1]
	v_pk_fma_f32 v[6:7], v[6:7], v[116:117], v[8:9] op_sel:[0,0,1] op_sel_hi:[1,0,0]
	v_mov_b32_e32 v11, v7
	v_pk_add_f32 v[4:5], v[4:5], v[10:11]
	v_pk_add_f32 v[2:3], v[2:3], v[4:5] neg_lo:[0,1] neg_hi:[0,1]
	buffer_store_dword v2, off, s[0:3], 0 offset:216
	buffer_store_dword v3, off, s[0:3], 0 offset:220
	s_and_saveexec_b64 s[4:5], vcc
	s_cbranch_execz .LBB37_189
; %bb.188:
	buffer_load_dword v2, off, s[0:3], 0 offset:208
	buffer_load_dword v3, off, s[0:3], 0 offset:212
	v_mov_b32_e32 v4, 0
	buffer_store_dword v4, off, s[0:3], 0 offset:208
	buffer_store_dword v4, off, s[0:3], 0 offset:212
	s_waitcnt vmcnt(2)
	ds_write_b64 v1, v[2:3]
.LBB37_189:
	s_or_b64 exec, exec, s[4:5]
	v_mov_b32_e32 v4, 0
	s_waitcnt lgkmcnt(0)
	; wave barrier
	s_waitcnt lgkmcnt(0)
	ds_read2_b64 v[6:9], v4 offset0:65 offset1:66
	buffer_load_dword v2, off, s[0:3], 0 offset:208
	buffer_load_dword v3, off, s[0:3], 0 offset:212
	;; [unrolled: 1-line block ×16, first 2 shown]
	v_cmp_lt_u32_e32 vcc, 25, v0
	s_waitcnt vmcnt(12) lgkmcnt(0)
	v_mul_f32_e32 v10, v6, v14
	v_fmac_f32_e32 v10, v7, v5
	v_add_f32_e32 v107, 0, v10
	ds_read2_b64 v[10:13], v4 offset0:67 offset1:68
	buffer_load_dword v113, off, s[0:3], 0 offset:276
	buffer_load_dword v112, off, s[0:3], 0 offset:272
	;; [unrolled: 1-line block ×8, first 2 shown]
	v_mul_f32_e32 v7, v7, v14
	v_fma_f32 v5, v6, v5, -v7
	s_waitcnt vmcnt(18)
	v_mul_f32_e32 v109, v8, v16
	v_add_f32_e32 v106, 0, v5
	v_mul_f32_e32 v5, v9, v16
	v_fmac_f32_e32 v109, v9, v15
	v_fma_f32 v108, v8, v15, -v5
	s_waitcnt vmcnt(16) lgkmcnt(0)
	v_mul_f32_e32 v111, v10, v94
	v_mul_f32_e32 v5, v11, v94
	v_pk_add_f32 v[106:107], v[106:107], v[108:109]
	s_waitcnt vmcnt(14)
	v_mov_b32_e32 v108, v99
	v_fmac_f32_e32 v111, v11, v17
	v_fma_f32 v110, v10, v17, -v5
	ds_read2_b64 v[6:9], v4 offset0:69 offset1:70
	ds_read2_b64 v[14:17], v4 offset0:71 offset1:72
	;; [unrolled: 1-line block ×3, first 2 shown]
	ds_read_b64 v[10:11], v4 offset:600
	v_pk_mul_f32 v[108:109], v[12:13], v[108:109] op_sel_hi:[1,0]
	v_pk_add_f32 v[106:107], v[106:107], v[110:111]
	v_pk_fma_f32 v[110:111], v[12:13], v[98:99], v[108:109] op_sel:[0,0,1] op_sel_hi:[1,1,0] neg_lo:[0,0,1] neg_hi:[0,0,1]
	v_pk_fma_f32 v[12:13], v[12:13], v[98:99], v[108:109] op_sel:[0,0,1] op_sel_hi:[1,0,0]
	s_waitcnt vmcnt(12)
	v_mov_b32_e32 v98, v101
	v_mov_b32_e32 v111, v13
	s_waitcnt lgkmcnt(3)
	v_pk_mul_f32 v[98:99], v[6:7], v[98:99] op_sel_hi:[1,0]
	v_pk_add_f32 v[12:13], v[106:107], v[110:111]
	v_pk_fma_f32 v[106:107], v[6:7], v[100:101], v[98:99] op_sel:[0,0,1] op_sel_hi:[1,1,0] neg_lo:[0,0,1] neg_hi:[0,0,1]
	v_pk_fma_f32 v[6:7], v[6:7], v[100:101], v[98:99] op_sel:[0,0,1] op_sel_hi:[1,0,0]
	v_mov_b32_e32 v107, v7
	v_pk_add_f32 v[6:7], v[12:13], v[106:107]
	s_waitcnt vmcnt(10)
	v_mov_b32_e32 v12, v103
	v_pk_mul_f32 v[12:13], v[8:9], v[12:13] op_sel_hi:[1,0]
	v_pk_fma_f32 v[98:99], v[8:9], v[102:103], v[12:13] op_sel:[0,0,1] op_sel_hi:[1,1,0] neg_lo:[0,0,1] neg_hi:[0,0,1]
	v_pk_fma_f32 v[8:9], v[8:9], v[102:103], v[12:13] op_sel:[0,0,1] op_sel_hi:[1,0,0]
	s_waitcnt vmcnt(8)
	v_mov_b32_e32 v8, v105
	v_mov_b32_e32 v99, v9
	s_waitcnt lgkmcnt(2)
	v_pk_mul_f32 v[8:9], v[14:15], v[8:9] op_sel_hi:[1,0]
	v_pk_fma_f32 v[12:13], v[14:15], v[104:105], v[8:9] op_sel:[0,0,1] op_sel_hi:[1,1,0] neg_lo:[0,0,1] neg_hi:[0,0,1]
	v_pk_fma_f32 v[8:9], v[14:15], v[104:105], v[8:9] op_sel:[0,0,1] op_sel_hi:[1,0,0]
	v_pk_add_f32 v[6:7], v[6:7], v[98:99]
	v_mov_b32_e32 v13, v9
	v_pk_add_f32 v[6:7], v[6:7], v[12:13]
	s_waitcnt vmcnt(7)
	v_mov_b32_e32 v8, v113
	v_pk_mul_f32 v[8:9], v[16:17], v[8:9] op_sel_hi:[1,0]
	s_waitcnt vmcnt(6)
	v_pk_fma_f32 v[12:13], v[16:17], v[112:113], v[8:9] op_sel:[0,0,1] op_sel_hi:[1,1,0] neg_lo:[0,0,1] neg_hi:[0,0,1]
	v_pk_fma_f32 v[8:9], v[16:17], v[112:113], v[8:9] op_sel:[0,0,1] op_sel_hi:[1,0,0]
	s_waitcnt vmcnt(5)
	v_mov_b32_e32 v8, v115
	v_mov_b32_e32 v13, v9
	s_waitcnt lgkmcnt(1)
	v_pk_mul_f32 v[8:9], v[94:95], v[8:9] op_sel_hi:[1,0]
	v_pk_add_f32 v[6:7], v[6:7], v[12:13]
	s_waitcnt vmcnt(4)
	v_pk_fma_f32 v[12:13], v[94:95], v[114:115], v[8:9] op_sel:[0,0,1] op_sel_hi:[1,1,0] neg_lo:[0,0,1] neg_hi:[0,0,1]
	v_pk_fma_f32 v[8:9], v[94:95], v[114:115], v[8:9] op_sel:[0,0,1] op_sel_hi:[1,0,0]
	s_waitcnt vmcnt(3)
	v_mov_b32_e32 v8, v117
	v_mov_b32_e32 v13, v9
	v_pk_mul_f32 v[8:9], v[96:97], v[8:9] op_sel_hi:[1,0]
	v_pk_add_f32 v[6:7], v[6:7], v[12:13]
	s_waitcnt vmcnt(2)
	v_pk_fma_f32 v[12:13], v[96:97], v[116:117], v[8:9] op_sel:[0,0,1] op_sel_hi:[1,1,0] neg_lo:[0,0,1] neg_hi:[0,0,1]
	v_pk_fma_f32 v[8:9], v[96:97], v[116:117], v[8:9] op_sel:[0,0,1] op_sel_hi:[1,0,0]
	s_waitcnt vmcnt(1)
	v_mov_b32_e32 v8, v119
	v_mov_b32_e32 v13, v9
	s_waitcnt lgkmcnt(0)
	v_pk_mul_f32 v[8:9], v[10:11], v[8:9] op_sel_hi:[1,0]
	v_pk_add_f32 v[6:7], v[6:7], v[12:13]
	s_waitcnt vmcnt(0)
	v_pk_fma_f32 v[12:13], v[10:11], v[118:119], v[8:9] op_sel:[0,0,1] op_sel_hi:[1,1,0] neg_lo:[0,0,1] neg_hi:[0,0,1]
	v_pk_fma_f32 v[8:9], v[10:11], v[118:119], v[8:9] op_sel:[0,0,1] op_sel_hi:[1,0,0]
	v_mov_b32_e32 v13, v9
	v_pk_add_f32 v[6:7], v[6:7], v[12:13]
	v_pk_add_f32 v[2:3], v[2:3], v[6:7] neg_lo:[0,1] neg_hi:[0,1]
	buffer_store_dword v3, off, s[0:3], 0 offset:212
	buffer_store_dword v2, off, s[0:3], 0 offset:208
	s_and_saveexec_b64 s[4:5], vcc
	s_cbranch_execz .LBB37_191
; %bb.190:
	buffer_load_dword v2, off, s[0:3], 0 offset:200
	buffer_load_dword v3, off, s[0:3], 0 offset:204
	s_waitcnt vmcnt(0)
	ds_write_b64 v1, v[2:3]
	buffer_store_dword v4, off, s[0:3], 0 offset:200
	buffer_store_dword v4, off, s[0:3], 0 offset:204
.LBB37_191:
	s_or_b64 exec, exec, s[4:5]
	s_waitcnt lgkmcnt(0)
	; wave barrier
	s_waitcnt lgkmcnt(0)
	ds_read_b128 v[6:9], v4 offset:512
	ds_read_b128 v[10:13], v4 offset:528
	;; [unrolled: 1-line block ×4, first 2 shown]
	buffer_load_dword v2, off, s[0:3], 0 offset:200
	buffer_load_dword v3, off, s[0:3], 0 offset:204
	;; [unrolled: 1-line block ×26, first 2 shown]
	v_cmp_lt_u32_e32 vcc, 24, v0
	s_waitcnt vmcnt(22) lgkmcnt(3)
	v_mul_f32_e32 v105, v6, v104
	v_fmac_f32_e32 v105, v7, v5
	v_mul_f32_e32 v7, v7, v104
	s_waitcnt vmcnt(20)
	v_mul_f32_e32 v107, v8, v108
	v_fma_f32 v5, v6, v5, -v7
	v_mul_f32_e32 v6, v9, v108
	v_add_f32_e32 v105, 0, v105
	v_fmac_f32_e32 v107, v9, v106
	v_add_f32_e32 v5, 0, v5
	v_fma_f32 v6, v8, v106, -v6
	v_add_f32_e32 v105, v105, v107
	s_waitcnt vmcnt(18) lgkmcnt(2)
	v_mul_f32_e32 v107, v10, v121
	v_add_f32_e32 v104, v5, v6
	v_mul_f32_e32 v5, v11, v121
	v_fmac_f32_e32 v107, v11, v120
	s_waitcnt vmcnt(16)
	v_mul_f32_e32 v109, v12, v123
	v_fma_f32 v106, v10, v120, -v5
	v_mul_f32_e32 v5, v13, v123
	v_fmac_f32_e32 v109, v13, v122
	v_fma_f32 v108, v12, v122, -v5
	ds_read_b128 v[6:9], v4 offset:576
	ds_read_b128 v[10:13], v4 offset:592
	v_pk_add_f32 v[4:5], v[104:105], v[106:107]
	s_waitcnt vmcnt(14)
	v_mov_b32_e32 v104, v99
	s_waitcnt lgkmcnt(3)
	v_pk_mul_f32 v[104:105], v[14:15], v[104:105] op_sel_hi:[1,0]
	v_pk_fma_f32 v[106:107], v[14:15], v[98:99], v[104:105] op_sel:[0,0,1] op_sel_hi:[1,1,0] neg_lo:[0,0,1] neg_hi:[0,0,1]
	v_pk_fma_f32 v[14:15], v[14:15], v[98:99], v[104:105] op_sel:[0,0,1] op_sel_hi:[1,0,0]
	s_waitcnt vmcnt(12)
	v_mov_b32_e32 v14, v101
	v_mov_b32_e32 v107, v15
	v_pk_mul_f32 v[14:15], v[16:17], v[14:15] op_sel_hi:[1,0]
	v_pk_fma_f32 v[98:99], v[16:17], v[100:101], v[14:15] op_sel:[0,0,1] op_sel_hi:[1,1,0] neg_lo:[0,0,1] neg_hi:[0,0,1]
	v_pk_fma_f32 v[14:15], v[16:17], v[100:101], v[14:15] op_sel:[0,0,1] op_sel_hi:[1,0,0]
	s_waitcnt vmcnt(10)
	v_mov_b32_e32 v14, v103
	v_mov_b32_e32 v99, v15
	s_waitcnt lgkmcnt(2)
	v_pk_mul_f32 v[14:15], v[94:95], v[14:15] op_sel_hi:[1,0]
	v_pk_add_f32 v[4:5], v[4:5], v[108:109]
	v_pk_fma_f32 v[16:17], v[94:95], v[102:103], v[14:15] op_sel:[0,0,1] op_sel_hi:[1,1,0] neg_lo:[0,0,1] neg_hi:[0,0,1]
	v_pk_fma_f32 v[14:15], v[94:95], v[102:103], v[14:15] op_sel:[0,0,1] op_sel_hi:[1,0,0]
	v_pk_add_f32 v[4:5], v[4:5], v[106:107]
	s_waitcnt vmcnt(9)
	v_mov_b32_e32 v14, v111
	v_pk_add_f32 v[4:5], v[4:5], v[98:99]
	v_mov_b32_e32 v17, v15
	v_pk_mul_f32 v[14:15], v[96:97], v[14:15] op_sel_hi:[1,0]
	v_pk_add_f32 v[4:5], v[4:5], v[16:17]
	s_waitcnt vmcnt(8)
	v_pk_fma_f32 v[16:17], v[96:97], v[110:111], v[14:15] op_sel:[0,0,1] op_sel_hi:[1,1,0] neg_lo:[0,0,1] neg_hi:[0,0,1]
	v_pk_fma_f32 v[14:15], v[96:97], v[110:111], v[14:15] op_sel:[0,0,1] op_sel_hi:[1,0,0]
	s_waitcnt vmcnt(7)
	v_mov_b32_e32 v14, v113
	v_mov_b32_e32 v17, v15
	s_waitcnt lgkmcnt(1)
	v_pk_mul_f32 v[14:15], v[6:7], v[14:15] op_sel_hi:[1,0]
	v_pk_add_f32 v[4:5], v[4:5], v[16:17]
	s_waitcnt vmcnt(6)
	v_pk_fma_f32 v[16:17], v[6:7], v[112:113], v[14:15] op_sel:[0,0,1] op_sel_hi:[1,1,0] neg_lo:[0,0,1] neg_hi:[0,0,1]
	v_pk_fma_f32 v[6:7], v[6:7], v[112:113], v[14:15] op_sel:[0,0,1] op_sel_hi:[1,0,0]
	s_waitcnt vmcnt(5)
	v_mov_b32_e32 v6, v115
	v_mov_b32_e32 v17, v7
	v_pk_mul_f32 v[6:7], v[8:9], v[6:7] op_sel_hi:[1,0]
	s_waitcnt vmcnt(4)
	v_pk_fma_f32 v[14:15], v[8:9], v[114:115], v[6:7] op_sel:[0,0,1] op_sel_hi:[1,1,0] neg_lo:[0,0,1] neg_hi:[0,0,1]
	v_pk_fma_f32 v[6:7], v[8:9], v[114:115], v[6:7] op_sel:[0,0,1] op_sel_hi:[1,0,0]
	s_waitcnt vmcnt(3)
	v_mov_b32_e32 v6, v117
	v_mov_b32_e32 v15, v7
	s_waitcnt lgkmcnt(0)
	v_pk_mul_f32 v[6:7], v[10:11], v[6:7] op_sel_hi:[1,0]
	s_waitcnt vmcnt(2)
	v_pk_fma_f32 v[8:9], v[10:11], v[116:117], v[6:7] op_sel:[0,0,1] op_sel_hi:[1,1,0] neg_lo:[0,0,1] neg_hi:[0,0,1]
	v_pk_fma_f32 v[6:7], v[10:11], v[116:117], v[6:7] op_sel:[0,0,1] op_sel_hi:[1,0,0]
	v_pk_add_f32 v[4:5], v[4:5], v[16:17]
	s_waitcnt vmcnt(1)
	v_mov_b32_e32 v6, v119
	v_pk_add_f32 v[4:5], v[4:5], v[14:15]
	v_mov_b32_e32 v9, v7
	v_pk_mul_f32 v[6:7], v[12:13], v[6:7] op_sel_hi:[1,0]
	v_pk_add_f32 v[4:5], v[4:5], v[8:9]
	s_waitcnt vmcnt(0)
	v_pk_fma_f32 v[8:9], v[12:13], v[118:119], v[6:7] op_sel:[0,0,1] op_sel_hi:[1,1,0] neg_lo:[0,0,1] neg_hi:[0,0,1]
	v_pk_fma_f32 v[6:7], v[12:13], v[118:119], v[6:7] op_sel:[0,0,1] op_sel_hi:[1,0,0]
	v_mov_b32_e32 v9, v7
	v_pk_add_f32 v[4:5], v[4:5], v[8:9]
	v_pk_add_f32 v[2:3], v[2:3], v[4:5] neg_lo:[0,1] neg_hi:[0,1]
	buffer_store_dword v3, off, s[0:3], 0 offset:204
	buffer_store_dword v2, off, s[0:3], 0 offset:200
	s_and_saveexec_b64 s[4:5], vcc
	s_cbranch_execz .LBB37_193
; %bb.192:
	buffer_load_dword v2, off, s[0:3], 0 offset:192
	buffer_load_dword v3, off, s[0:3], 0 offset:196
	v_mov_b32_e32 v4, 0
	buffer_store_dword v4, off, s[0:3], 0 offset:192
	buffer_store_dword v4, off, s[0:3], 0 offset:196
	s_waitcnt vmcnt(2)
	ds_write_b64 v1, v[2:3]
.LBB37_193:
	s_or_b64 exec, exec, s[4:5]
	v_mov_b32_e32 v4, 0
	s_waitcnt lgkmcnt(0)
	; wave barrier
	s_waitcnt lgkmcnt(0)
	ds_read2_b64 v[6:9], v4 offset0:63 offset1:64
	buffer_load_dword v2, off, s[0:3], 0 offset:192
	buffer_load_dword v3, off, s[0:3], 0 offset:196
	;; [unrolled: 1-line block ×16, first 2 shown]
	v_cmp_lt_u32_e32 vcc, 23, v0
	s_waitcnt vmcnt(12) lgkmcnt(0)
	v_mul_f32_e32 v10, v6, v94
	v_fmac_f32_e32 v10, v7, v5
	s_waitcnt vmcnt(10)
	v_mul_f32_e32 v11, v8, v96
	v_add_f32_e32 v10, 0, v10
	v_fmac_f32_e32 v11, v9, v95
	v_add_f32_e32 v14, v10, v11
	ds_read2_b64 v[10:13], v4 offset0:65 offset1:66
	v_mul_f32_e32 v7, v7, v94
	v_fma_f32 v5, v6, v5, -v7
	v_mul_f32_e32 v6, v9, v96
	v_add_f32_e32 v5, 0, v5
	s_waitcnt vmcnt(8) lgkmcnt(0)
	v_mul_f32_e32 v15, v10, v102
	v_fmac_f32_e32 v15, v11, v97
	v_add_f32_e32 v103, v14, v15
	ds_read2_b64 v[14:17], v4 offset0:67 offset1:68
	buffer_load_dword v109, off, s[0:3], 0 offset:260
	buffer_load_dword v108, off, s[0:3], 0 offset:256
	;; [unrolled: 1-line block ×12, first 2 shown]
	v_fma_f32 v6, v8, v95, -v6
	v_add_f32_e32 v5, v5, v6
	v_mul_f32_e32 v6, v11, v102
	v_fma_f32 v6, v10, v97, -v6
	s_waitcnt vmcnt(18)
	v_mul_f32_e32 v105, v12, v106
	v_add_f32_e32 v102, v5, v6
	v_mul_f32_e32 v5, v13, v106
	v_fmac_f32_e32 v105, v13, v104
	v_fma_f32 v104, v12, v104, -v5
	s_waitcnt vmcnt(16) lgkmcnt(0)
	v_mul_f32_e32 v107, v14, v121
	v_mul_f32_e32 v5, v15, v121
	v_pk_add_f32 v[102:103], v[102:103], v[104:105]
	s_waitcnt vmcnt(14)
	v_mov_b32_e32 v104, v99
	v_fmac_f32_e32 v107, v15, v120
	v_fma_f32 v106, v14, v120, -v5
	ds_read2_b64 v[6:9], v4 offset0:69 offset1:70
	ds_read2_b64 v[10:13], v4 offset0:71 offset1:72
	;; [unrolled: 1-line block ×3, first 2 shown]
	ds_read_b64 v[14:15], v4 offset:600
	v_pk_mul_f32 v[104:105], v[16:17], v[104:105] op_sel_hi:[1,0]
	v_pk_add_f32 v[102:103], v[102:103], v[106:107]
	v_pk_fma_f32 v[106:107], v[16:17], v[98:99], v[104:105] op_sel:[0,0,1] op_sel_hi:[1,1,0] neg_lo:[0,0,1] neg_hi:[0,0,1]
	v_pk_fma_f32 v[16:17], v[16:17], v[98:99], v[104:105] op_sel:[0,0,1] op_sel_hi:[1,0,0]
	s_waitcnt vmcnt(12)
	v_mov_b32_e32 v98, v101
	v_mov_b32_e32 v107, v17
	s_waitcnt lgkmcnt(3)
	v_pk_mul_f32 v[98:99], v[6:7], v[98:99] op_sel_hi:[1,0]
	v_pk_add_f32 v[16:17], v[102:103], v[106:107]
	v_pk_fma_f32 v[102:103], v[6:7], v[100:101], v[98:99] op_sel:[0,0,1] op_sel_hi:[1,1,0] neg_lo:[0,0,1] neg_hi:[0,0,1]
	v_pk_fma_f32 v[6:7], v[6:7], v[100:101], v[98:99] op_sel:[0,0,1] op_sel_hi:[1,0,0]
	v_mov_b32_e32 v103, v7
	v_pk_add_f32 v[6:7], v[16:17], v[102:103]
	s_waitcnt vmcnt(11)
	v_mov_b32_e32 v16, v109
	v_pk_mul_f32 v[16:17], v[8:9], v[16:17] op_sel_hi:[1,0]
	s_waitcnt vmcnt(10)
	v_pk_fma_f32 v[98:99], v[8:9], v[108:109], v[16:17] op_sel:[0,0,1] op_sel_hi:[1,1,0] neg_lo:[0,0,1] neg_hi:[0,0,1]
	v_pk_fma_f32 v[8:9], v[8:9], v[108:109], v[16:17] op_sel:[0,0,1] op_sel_hi:[1,0,0]
	s_waitcnt vmcnt(9)
	v_mov_b32_e32 v8, v111
	v_mov_b32_e32 v99, v9
	s_waitcnt lgkmcnt(2)
	v_pk_mul_f32 v[8:9], v[10:11], v[8:9] op_sel_hi:[1,0]
	s_waitcnt vmcnt(8)
	v_pk_fma_f32 v[16:17], v[10:11], v[110:111], v[8:9] op_sel:[0,0,1] op_sel_hi:[1,1,0] neg_lo:[0,0,1] neg_hi:[0,0,1]
	v_pk_fma_f32 v[8:9], v[10:11], v[110:111], v[8:9] op_sel:[0,0,1] op_sel_hi:[1,0,0]
	s_waitcnt vmcnt(7)
	v_mov_b32_e32 v8, v113
	v_mov_b32_e32 v17, v9
	v_pk_mul_f32 v[8:9], v[12:13], v[8:9] op_sel_hi:[1,0]
	s_waitcnt vmcnt(6)
	v_pk_fma_f32 v[10:11], v[12:13], v[112:113], v[8:9] op_sel:[0,0,1] op_sel_hi:[1,1,0] neg_lo:[0,0,1] neg_hi:[0,0,1]
	v_pk_fma_f32 v[8:9], v[12:13], v[112:113], v[8:9] op_sel:[0,0,1] op_sel_hi:[1,0,0]
	v_pk_add_f32 v[6:7], v[6:7], v[98:99]
	s_waitcnt vmcnt(5)
	v_mov_b32_e32 v8, v115
	v_pk_add_f32 v[6:7], v[6:7], v[16:17]
	v_mov_b32_e32 v11, v9
	s_waitcnt lgkmcnt(1)
	v_pk_mul_f32 v[8:9], v[94:95], v[8:9] op_sel_hi:[1,0]
	v_pk_add_f32 v[6:7], v[6:7], v[10:11]
	s_waitcnt vmcnt(4)
	v_pk_fma_f32 v[10:11], v[94:95], v[114:115], v[8:9] op_sel:[0,0,1] op_sel_hi:[1,1,0] neg_lo:[0,0,1] neg_hi:[0,0,1]
	v_pk_fma_f32 v[8:9], v[94:95], v[114:115], v[8:9] op_sel:[0,0,1] op_sel_hi:[1,0,0]
	s_waitcnt vmcnt(3)
	v_mov_b32_e32 v8, v117
	v_mov_b32_e32 v11, v9
	v_pk_mul_f32 v[8:9], v[96:97], v[8:9] op_sel_hi:[1,0]
	v_pk_add_f32 v[6:7], v[6:7], v[10:11]
	s_waitcnt vmcnt(2)
	v_pk_fma_f32 v[10:11], v[96:97], v[116:117], v[8:9] op_sel:[0,0,1] op_sel_hi:[1,1,0] neg_lo:[0,0,1] neg_hi:[0,0,1]
	v_pk_fma_f32 v[8:9], v[96:97], v[116:117], v[8:9] op_sel:[0,0,1] op_sel_hi:[1,0,0]
	s_waitcnt vmcnt(1)
	v_mov_b32_e32 v8, v119
	v_mov_b32_e32 v11, v9
	s_waitcnt lgkmcnt(0)
	v_pk_mul_f32 v[8:9], v[14:15], v[8:9] op_sel_hi:[1,0]
	v_pk_add_f32 v[6:7], v[6:7], v[10:11]
	s_waitcnt vmcnt(0)
	v_pk_fma_f32 v[10:11], v[14:15], v[118:119], v[8:9] op_sel:[0,0,1] op_sel_hi:[1,1,0] neg_lo:[0,0,1] neg_hi:[0,0,1]
	v_pk_fma_f32 v[8:9], v[14:15], v[118:119], v[8:9] op_sel:[0,0,1] op_sel_hi:[1,0,0]
	v_mov_b32_e32 v11, v9
	v_pk_add_f32 v[6:7], v[6:7], v[10:11]
	v_pk_add_f32 v[2:3], v[2:3], v[6:7] neg_lo:[0,1] neg_hi:[0,1]
	buffer_store_dword v3, off, s[0:3], 0 offset:196
	buffer_store_dword v2, off, s[0:3], 0 offset:192
	s_and_saveexec_b64 s[4:5], vcc
	s_cbranch_execz .LBB37_195
; %bb.194:
	buffer_load_dword v2, off, s[0:3], 0 offset:184
	buffer_load_dword v3, off, s[0:3], 0 offset:188
	s_waitcnt vmcnt(0)
	ds_write_b64 v1, v[2:3]
	buffer_store_dword v4, off, s[0:3], 0 offset:184
	buffer_store_dword v4, off, s[0:3], 0 offset:188
.LBB37_195:
	s_or_b64 exec, exec, s[4:5]
	s_waitcnt lgkmcnt(0)
	; wave barrier
	s_waitcnt lgkmcnt(0)
	buffer_load_dword v124, off, s[0:3], 0 offset:196
	buffer_load_dword v126, off, s[0:3], 0 offset:204
	;; [unrolled: 1-line block ×30, first 2 shown]
	ds_read_b128 v[6:9], v4 offset:496
	ds_read_b128 v[10:13], v4 offset:512
	;; [unrolled: 1-line block ×7, first 2 shown]
	v_cmp_lt_u32_e32 vcc, 22, v0
	s_waitcnt vmcnt(29) lgkmcnt(6)
	v_mul_f32_e32 v139, v6, v124
	s_waitcnt vmcnt(28)
	v_mul_f32_e32 v140, v8, v126
	s_waitcnt vmcnt(27) lgkmcnt(5)
	v_mul_f32_e32 v141, v10, v128
	s_waitcnt vmcnt(26)
	v_mul_f32_e32 v142, v12, v129
	v_mul_f32_e32 v129, v13, v129
	s_waitcnt vmcnt(25) lgkmcnt(4)
	v_mul_f32_e32 v125, v14, v130
	s_waitcnt vmcnt(24)
	v_mul_f32_e32 v127, v16, v131
	v_mul_f32_e32 v124, v7, v124
	;; [unrolled: 1-line block ×6, first 2 shown]
	s_waitcnt vmcnt(23)
	v_mov_b32_e32 v128, v107
	s_waitcnt vmcnt(22)
	v_mov_b32_e32 v130, v109
	s_waitcnt vmcnt(17)
	v_fma_f32 v129, v12, v136, -v129
	v_fmac_f32_e32 v139, v7, v133
	v_fmac_f32_e32 v140, v9, v134
	;; [unrolled: 1-line block ×3, first 2 shown]
	v_fma_f32 v13, v6, v133, -v124
	v_fma_f32 v133, v8, v134, -v126
	s_waitcnt lgkmcnt(3)
	v_pk_mul_f32 v[6:7], v[94:95], v[128:129] op_sel_hi:[1,0]
	v_pk_mul_f32 v[8:9], v[96:97], v[130:131] op_sel_hi:[1,0]
	s_waitcnt vmcnt(16)
	v_fmac_f32_e32 v125, v15, v137
	v_fma_f32 v124, v14, v137, -v144
	v_add_f32_e32 v128, 0, v139
	v_add_f32_e32 v130, 0, v13
	s_waitcnt vmcnt(14)
	v_pk_fma_f32 v[12:13], v[94:95], v[106:107], v[6:7] op_sel:[0,0,1] op_sel_hi:[1,1,0] neg_lo:[0,0,1] neg_hi:[0,0,1]
	v_pk_fma_f32 v[6:7], v[94:95], v[106:107], v[6:7] op_sel:[0,0,1] op_sel_hi:[1,0,0]
	s_waitcnt vmcnt(10)
	v_pk_fma_f32 v[14:15], v[96:97], v[108:109], v[8:9] op_sel:[0,0,1] op_sel_hi:[1,1,0] neg_lo:[0,0,1] neg_hi:[0,0,1]
	v_pk_fma_f32 v[8:9], v[96:97], v[108:109], v[8:9] op_sel:[0,0,1] op_sel_hi:[1,0,0]
	v_fmac_f32_e32 v141, v11, v135
	v_fma_f32 v134, v10, v135, -v143
	v_add_f32_e32 v6, v128, v140
	v_add_f32_e32 v8, v130, v133
	;; [unrolled: 1-line block ×4, first 2 shown]
	v_mov_b32_e32 v132, v111
	v_mov_b32_e32 v13, v7
	v_add_f32_e32 v7, v6, v142
	v_add_f32_e32 v6, v8, v129
	v_fmac_f32_e32 v127, v17, v138
	v_fma_f32 v126, v16, v138, -v131
	s_waitcnt lgkmcnt(2)
	v_pk_mul_f32 v[10:11], v[98:99], v[132:133] op_sel_hi:[1,0]
	v_pk_add_f32 v[6:7], v[6:7], v[124:125]
	s_waitcnt vmcnt(9)
	v_mov_b32_e32 v8, v115
	v_pk_fma_f32 v[16:17], v[98:99], v[110:111], v[10:11] op_sel:[0,0,1] op_sel_hi:[1,1,0] neg_lo:[0,0,1] neg_hi:[0,0,1]
	v_pk_fma_f32 v[10:11], v[98:99], v[110:111], v[10:11] op_sel:[0,0,1] op_sel_hi:[1,0,0]
	v_mov_b32_e32 v15, v9
	v_pk_add_f32 v[6:7], v[6:7], v[126:127]
	v_pk_mul_f32 v[8:9], v[100:101], v[8:9] op_sel_hi:[1,0]
	v_mov_b32_e32 v17, v11
	v_pk_add_f32 v[6:7], v[6:7], v[12:13]
	v_pk_fma_f32 v[10:11], v[100:101], v[114:115], v[8:9] op_sel:[0,0,1] op_sel_hi:[1,1,0] neg_lo:[0,0,1] neg_hi:[0,0,1]
	v_pk_fma_f32 v[8:9], v[100:101], v[114:115], v[8:9] op_sel:[0,0,1] op_sel_hi:[1,0,0]
	v_pk_add_f32 v[6:7], v[6:7], v[14:15]
	s_waitcnt vmcnt(8)
	v_mov_b32_e32 v8, v113
	v_pk_add_f32 v[6:7], v[6:7], v[16:17]
	v_mov_b32_e32 v11, v9
	s_waitcnt lgkmcnt(1)
	v_pk_mul_f32 v[8:9], v[102:103], v[8:9] op_sel_hi:[1,0]
	v_pk_add_f32 v[6:7], v[6:7], v[10:11]
	v_pk_fma_f32 v[10:11], v[102:103], v[112:113], v[8:9] op_sel:[0,0,1] op_sel_hi:[1,1,0] neg_lo:[0,0,1] neg_hi:[0,0,1]
	v_pk_fma_f32 v[8:9], v[102:103], v[112:113], v[8:9] op_sel:[0,0,1] op_sel_hi:[1,0,0]
	s_waitcnt vmcnt(7)
	v_mov_b32_e32 v8, v117
	v_mov_b32_e32 v11, v9
	v_pk_mul_f32 v[8:9], v[104:105], v[8:9] op_sel_hi:[1,0]
	v_pk_add_f32 v[6:7], v[6:7], v[10:11]
	s_waitcnt vmcnt(4)
	v_pk_fma_f32 v[10:11], v[104:105], v[116:117], v[8:9] op_sel:[0,0,1] op_sel_hi:[1,1,0] neg_lo:[0,0,1] neg_hi:[0,0,1]
	v_pk_fma_f32 v[8:9], v[104:105], v[116:117], v[8:9] op_sel:[0,0,1] op_sel_hi:[1,0,0]
	s_waitcnt vmcnt(3)
	v_mov_b32_e32 v8, v121
	v_mov_b32_e32 v11, v9
	s_waitcnt lgkmcnt(0)
	v_pk_mul_f32 v[8:9], v[2:3], v[8:9] op_sel_hi:[1,0]
	v_pk_add_f32 v[6:7], v[6:7], v[10:11]
	v_pk_fma_f32 v[10:11], v[2:3], v[120:121], v[8:9] op_sel:[0,0,1] op_sel_hi:[1,1,0] neg_lo:[0,0,1] neg_hi:[0,0,1]
	v_pk_fma_f32 v[2:3], v[2:3], v[120:121], v[8:9] op_sel:[0,0,1] op_sel_hi:[1,0,0]
	v_mov_b32_e32 v11, v3
	v_pk_add_f32 v[2:3], v[6:7], v[10:11]
	s_waitcnt vmcnt(0)
	v_mov_b32_e32 v6, v119
	v_pk_mul_f32 v[6:7], v[4:5], v[6:7] op_sel_hi:[1,0]
	v_pk_fma_f32 v[8:9], v[4:5], v[118:119], v[6:7] op_sel:[0,0,1] op_sel_hi:[1,1,0] neg_lo:[0,0,1] neg_hi:[0,0,1]
	v_pk_fma_f32 v[4:5], v[4:5], v[118:119], v[6:7] op_sel:[0,0,1] op_sel_hi:[1,0,0]
	v_mov_b32_e32 v9, v5
	v_pk_add_f32 v[2:3], v[2:3], v[8:9]
	v_pk_add_f32 v[2:3], v[122:123], v[2:3] neg_lo:[0,1] neg_hi:[0,1]
	buffer_store_dword v3, off, s[0:3], 0 offset:188
	buffer_store_dword v2, off, s[0:3], 0 offset:184
	s_and_saveexec_b64 s[4:5], vcc
	s_cbranch_execz .LBB37_197
; %bb.196:
	buffer_load_dword v2, off, s[0:3], 0 offset:176
	buffer_load_dword v3, off, s[0:3], 0 offset:180
	v_mov_b32_e32 v4, 0
	buffer_store_dword v4, off, s[0:3], 0 offset:176
	buffer_store_dword v4, off, s[0:3], 0 offset:180
	s_waitcnt vmcnt(2)
	ds_write_b64 v1, v[2:3]
.LBB37_197:
	s_or_b64 exec, exec, s[4:5]
	s_waitcnt lgkmcnt(0)
	; wave barrier
	s_waitcnt lgkmcnt(0)
	buffer_load_dword v3, off, s[0:3], 0 offset:188
	buffer_load_dword v128, off, s[0:3], 0 offset:196
	;; [unrolled: 1-line block ×32, first 2 shown]
	v_mov_b32_e32 v2, 0
	ds_read2_b64 v[4:7], v2 offset0:61 offset1:62
	ds_read2_b64 v[8:11], v2 offset0:63 offset1:64
	;; [unrolled: 1-line block ×7, first 2 shown]
	ds_read_b64 v[126:127], v2 offset:600
	v_cmp_lt_u32_e32 vcc, 21, v0
	s_waitcnt vmcnt(31) lgkmcnt(7)
	v_mul_f32_e32 v143, v4, v3
	v_mul_f32_e32 v3, v5, v3
	s_waitcnt vmcnt(30)
	v_mul_f32_e32 v144, v6, v128
	s_waitcnt vmcnt(28) lgkmcnt(6)
	v_mul_f32_e32 v146, v10, v132
	s_waitcnt vmcnt(27) lgkmcnt(5)
	v_mul_f32_e32 v147, v12, v133
	v_mul_f32_e32 v148, v11, v132
	;; [unrolled: 1-line block ×3, first 2 shown]
	s_waitcnt vmcnt(24)
	v_mov_b32_e32 v132, v17
	v_mul_f32_e32 v145, v8, v130
	v_mul_f32_e32 v128, v7, v128
	s_waitcnt vmcnt(22)
	v_fmac_f32_e32 v143, v5, v136
	v_fma_f32 v3, v4, v136, -v3
	s_waitcnt lgkmcnt(4)
	v_pk_mul_f32 v[4:5], v[96:97], v[132:133] op_sel_hi:[1,0]
	v_mul_f32_e32 v130, v9, v130
	s_waitcnt vmcnt(21)
	v_fmac_f32_e32 v144, v7, v137
	s_waitcnt vmcnt(20)
	v_fmac_f32_e32 v145, v9, v138
	;; [unrolled: 2-line block ×3, first 2 shown]
	v_fma_f32 v9, v6, v137, -v128
	s_waitcnt vmcnt(18)
	v_fma_f32 v11, v12, v140, -v133
	v_add_f32_e32 v12, 0, v143
	v_add_f32_e32 v3, 0, v3
	s_waitcnt vmcnt(12)
	v_pk_fma_f32 v[6:7], v[96:97], v[16:17], v[4:5] op_sel:[0,0,1] op_sel_hi:[1,1,0] neg_lo:[0,0,1] neg_hi:[0,0,1]
	v_pk_fma_f32 v[4:5], v[96:97], v[16:17], v[4:5] op_sel:[0,0,1] op_sel_hi:[1,0,0]
	v_fma_f32 v8, v8, v138, -v130
	v_add_f32_e32 v4, v12, v144
	v_add_f32_e32 v3, v3, v9
	v_fma_f32 v10, v10, v139, -v148
	v_add_f32_e32 v4, v4, v145
	v_add_f32_e32 v3, v3, v8
	v_mul_f32_e32 v129, v14, v134
	v_mul_f32_e32 v149, v15, v134
	v_fmac_f32_e32 v147, v13, v140
	v_add_f32_e32 v4, v4, v146
	v_add_f32_e32 v3, v3, v10
	v_mul_f32_e32 v131, v94, v135
	v_mul_f32_e32 v135, v95, v135
	v_fmac_f32_e32 v129, v15, v141
	v_fma_f32 v128, v14, v141, -v149
	v_mov_b32_e32 v7, v5
	v_add_f32_e32 v5, v4, v147
	v_add_f32_e32 v4, v3, v11
	v_fmac_f32_e32 v131, v95, v142
	v_fma_f32 v130, v94, v142, -v135
	v_pk_add_f32 v[4:5], v[4:5], v[128:129]
	v_mov_b32_e32 v134, v111
	v_pk_add_f32 v[4:5], v[4:5], v[130:131]
	v_pk_add_f32 v[4:5], v[4:5], v[6:7]
	s_waitcnt lgkmcnt(3)
	v_pk_mul_f32 v[6:7], v[98:99], v[134:135] op_sel_hi:[1,0]
	v_pk_fma_f32 v[8:9], v[98:99], v[110:111], v[6:7] op_sel:[0,0,1] op_sel_hi:[1,1,0] neg_lo:[0,0,1] neg_hi:[0,0,1]
	v_pk_fma_f32 v[6:7], v[98:99], v[110:111], v[6:7] op_sel:[0,0,1] op_sel_hi:[1,0,0]
	s_waitcnt vmcnt(11)
	v_mov_b32_e32 v6, v115
	v_mov_b32_e32 v9, v7
	v_pk_mul_f32 v[6:7], v[100:101], v[6:7] op_sel_hi:[1,0]
	v_pk_add_f32 v[4:5], v[4:5], v[8:9]
	v_pk_fma_f32 v[8:9], v[100:101], v[114:115], v[6:7] op_sel:[0,0,1] op_sel_hi:[1,1,0] neg_lo:[0,0,1] neg_hi:[0,0,1]
	v_pk_fma_f32 v[6:7], v[100:101], v[114:115], v[6:7] op_sel:[0,0,1] op_sel_hi:[1,0,0]
	s_waitcnt vmcnt(10)
	v_mov_b32_e32 v6, v113
	v_mov_b32_e32 v9, v7
	s_waitcnt lgkmcnt(2)
	v_pk_mul_f32 v[6:7], v[102:103], v[6:7] op_sel_hi:[1,0]
	v_pk_add_f32 v[4:5], v[4:5], v[8:9]
	v_pk_fma_f32 v[8:9], v[102:103], v[112:113], v[6:7] op_sel:[0,0,1] op_sel_hi:[1,1,0] neg_lo:[0,0,1] neg_hi:[0,0,1]
	v_pk_fma_f32 v[6:7], v[102:103], v[112:113], v[6:7] op_sel:[0,0,1] op_sel_hi:[1,0,0]
	s_waitcnt vmcnt(9)
	v_mov_b32_e32 v6, v117
	v_mov_b32_e32 v9, v7
	v_pk_mul_f32 v[6:7], v[104:105], v[6:7] op_sel_hi:[1,0]
	v_pk_add_f32 v[4:5], v[4:5], v[8:9]
	s_waitcnt vmcnt(4)
	v_pk_fma_f32 v[8:9], v[104:105], v[116:117], v[6:7] op_sel:[0,0,1] op_sel_hi:[1,1,0] neg_lo:[0,0,1] neg_hi:[0,0,1]
	v_pk_fma_f32 v[6:7], v[104:105], v[116:117], v[6:7] op_sel:[0,0,1] op_sel_hi:[1,0,0]
	v_mov_b32_e32 v6, v123
	v_mov_b32_e32 v9, v7
	s_waitcnt lgkmcnt(1)
	v_pk_mul_f32 v[6:7], v[106:107], v[6:7] op_sel_hi:[1,0]
	v_pk_add_f32 v[4:5], v[4:5], v[8:9]
	v_pk_fma_f32 v[8:9], v[106:107], v[122:123], v[6:7] op_sel:[0,0,1] op_sel_hi:[1,1,0] neg_lo:[0,0,1] neg_hi:[0,0,1]
	v_pk_fma_f32 v[6:7], v[106:107], v[122:123], v[6:7] op_sel:[0,0,1] op_sel_hi:[1,0,0]
	s_waitcnt vmcnt(3)
	v_mov_b32_e32 v6, v121
	v_mov_b32_e32 v9, v7
	v_pk_mul_f32 v[6:7], v[108:109], v[6:7] op_sel_hi:[1,0]
	v_pk_add_f32 v[4:5], v[4:5], v[8:9]
	v_pk_fma_f32 v[8:9], v[108:109], v[120:121], v[6:7] op_sel:[0,0,1] op_sel_hi:[1,1,0] neg_lo:[0,0,1] neg_hi:[0,0,1]
	v_pk_fma_f32 v[6:7], v[108:109], v[120:121], v[6:7] op_sel:[0,0,1] op_sel_hi:[1,0,0]
	s_waitcnt vmcnt(0)
	v_mov_b32_e32 v6, v119
	v_mov_b32_e32 v9, v7
	s_waitcnt lgkmcnt(0)
	v_pk_mul_f32 v[6:7], v[126:127], v[6:7] op_sel_hi:[1,0]
	v_pk_add_f32 v[4:5], v[4:5], v[8:9]
	v_pk_fma_f32 v[8:9], v[126:127], v[118:119], v[6:7] op_sel:[0,0,1] op_sel_hi:[1,1,0] neg_lo:[0,0,1] neg_hi:[0,0,1]
	v_pk_fma_f32 v[6:7], v[126:127], v[118:119], v[6:7] op_sel:[0,0,1] op_sel_hi:[1,0,0]
	v_mov_b32_e32 v9, v7
	v_pk_add_f32 v[4:5], v[4:5], v[8:9]
	v_pk_add_f32 v[4:5], v[124:125], v[4:5] neg_lo:[0,1] neg_hi:[0,1]
	buffer_store_dword v5, off, s[0:3], 0 offset:180
	buffer_store_dword v4, off, s[0:3], 0 offset:176
	s_and_saveexec_b64 s[4:5], vcc
	s_cbranch_execz .LBB37_199
; %bb.198:
	buffer_load_dword v4, off, s[0:3], 0 offset:168
	buffer_load_dword v5, off, s[0:3], 0 offset:172
	s_waitcnt vmcnt(0)
	ds_write_b64 v1, v[4:5]
	buffer_store_dword v2, off, s[0:3], 0 offset:168
	buffer_store_dword v2, off, s[0:3], 0 offset:172
.LBB37_199:
	s_or_b64 exec, exec, s[4:5]
	s_waitcnt lgkmcnt(0)
	; wave barrier
	s_waitcnt lgkmcnt(0)
	buffer_load_dword v130, off, s[0:3], 0 offset:180
	buffer_load_dword v132, off, s[0:3], 0 offset:188
	buffer_load_dword v133, off, s[0:3], 0 offset:196
	buffer_load_dword v134, off, s[0:3], 0 offset:204
	buffer_load_dword v135, off, s[0:3], 0 offset:212
	buffer_load_dword v136, off, s[0:3], 0 offset:220
	buffer_load_dword v137, off, s[0:3], 0 offset:228
	buffer_load_dword v138, off, s[0:3], 0 offset:236
	buffer_load_dword v139, off, s[0:3], 0 offset:176
	buffer_load_dword v140, off, s[0:3], 0 offset:184
	buffer_load_dword v141, off, s[0:3], 0 offset:192
	buffer_load_dword v142, off, s[0:3], 0 offset:200
	buffer_load_dword v143, off, s[0:3], 0 offset:208
	buffer_load_dword v144, off, s[0:3], 0 offset:216
	buffer_load_dword v145, off, s[0:3], 0 offset:224
	buffer_load_dword v146, off, s[0:3], 0 offset:232
	buffer_load_dword v17, off, s[0:3], 0 offset:244
	buffer_load_dword v114, off, s[0:3], 0 offset:256
	buffer_load_dword v116, off, s[0:3], 0 offset:248
	buffer_load_dword v16, off, s[0:3], 0 offset:240
	buffer_load_dword v117, off, s[0:3], 0 offset:252
	buffer_load_dword v115, off, s[0:3], 0 offset:260
	buffer_load_dword v119, off, s[0:3], 0 offset:268
	buffer_load_dword v120, off, s[0:3], 0 offset:288
	buffer_load_dword v123, off, s[0:3], 0 offset:284
	buffer_load_dword v122, off, s[0:3], 0 offset:280
	buffer_load_dword v125, off, s[0:3], 0 offset:276
	buffer_load_dword v124, off, s[0:3], 0 offset:272
	buffer_load_dword v118, off, s[0:3], 0 offset:264
	buffer_load_dword v126, off, s[0:3], 0 offset:168
	buffer_load_dword v127, off, s[0:3], 0 offset:172
	buffer_load_dword v121, off, s[0:3], 0 offset:292
	ds_read_b128 v[4:7], v2 offset:480
	ds_read_b128 v[8:11], v2 offset:496
	ds_read_b128 v[12:15], v2 offset:512
	ds_read_b128 v[94:97], v2 offset:528
	buffer_load_dword v129, off, s[0:3], 0 offset:300
	buffer_load_dword v128, off, s[0:3], 0 offset:296
	ds_read_b128 v[98:101], v2 offset:544
	ds_read_b128 v[102:105], v2 offset:560
	;; [unrolled: 1-line block ×4, first 2 shown]
	v_cmp_lt_u32_e32 vcc, 20, v0
	s_waitcnt vmcnt(33) lgkmcnt(7)
	v_mul_f32_e32 v147, v4, v130
	v_mul_f32_e32 v2, v5, v130
	s_waitcnt vmcnt(32)
	v_mul_f32_e32 v148, v6, v132
	s_waitcnt vmcnt(31) lgkmcnt(6)
	v_mul_f32_e32 v149, v8, v133
	v_mul_f32_e32 v130, v7, v132
	v_mul_f32_e32 v132, v9, v133
	s_waitcnt vmcnt(30)
	v_mul_f32_e32 v133, v11, v134
	v_mul_f32_e32 v150, v10, v134
	s_waitcnt vmcnt(25)
	v_fmac_f32_e32 v147, v5, v139
	v_fma_f32 v4, v4, v139, -v2
	s_waitcnt vmcnt(24)
	v_fmac_f32_e32 v148, v7, v140
	v_fma_f32 v5, v6, v140, -v130
	s_waitcnt vmcnt(22)
	v_fma_f32 v7, v10, v142, -v133
	v_add_f32_e32 v10, 0, v147
	v_add_f32_e32 v4, 0, v4
	v_fmac_f32_e32 v149, v9, v141
	v_fma_f32 v6, v8, v141, -v132
	v_add_f32_e32 v10, v10, v148
	v_add_f32_e32 v4, v4, v5
	s_waitcnt lgkmcnt(5)
	v_mul_f32_e32 v151, v12, v135
	v_mul_f32_e32 v134, v13, v135
	v_fmac_f32_e32 v150, v11, v142
	v_add_f32_e32 v5, v10, v149
	v_add_f32_e32 v4, v4, v6
	v_mul_f32_e32 v152, v14, v136
	v_mul_f32_e32 v135, v15, v136
	s_waitcnt vmcnt(21)
	v_fmac_f32_e32 v151, v13, v143
	v_fma_f32 v8, v12, v143, -v134
	v_add_f32_e32 v5, v5, v150
	v_add_f32_e32 v4, v4, v7
	s_waitcnt lgkmcnt(4)
	v_mul_f32_e32 v3, v94, v137
	v_mul_f32_e32 v136, v95, v137
	s_waitcnt vmcnt(20)
	v_fmac_f32_e32 v152, v15, v144
	v_fma_f32 v9, v14, v144, -v135
	v_add_f32_e32 v5, v5, v151
	v_add_f32_e32 v4, v4, v8
	s_waitcnt vmcnt(19)
	v_fmac_f32_e32 v3, v95, v145
	v_fma_f32 v2, v94, v145, -v136
	v_add_f32_e32 v5, v5, v152
	v_add_f32_e32 v4, v4, v9
	v_pk_add_f32 v[2:3], v[4:5], v[2:3]
	s_waitcnt vmcnt(17)
	v_mov_b32_e32 v4, v17
	s_waitcnt lgkmcnt(3)
	v_pk_mul_f32 v[4:5], v[98:99], v[4:5] op_sel_hi:[1,0]
	v_mul_f32_e32 v131, v96, v138
	v_mul_f32_e32 v137, v97, v138
	s_waitcnt vmcnt(14)
	v_pk_fma_f32 v[6:7], v[98:99], v[16:17], v[4:5] op_sel:[0,0,1] op_sel_hi:[1,1,0] neg_lo:[0,0,1] neg_hi:[0,0,1]
	v_pk_fma_f32 v[4:5], v[98:99], v[16:17], v[4:5] op_sel:[0,0,1] op_sel_hi:[1,0,0]
	v_fmac_f32_e32 v131, v97, v146
	v_fma_f32 v130, v96, v146, -v137
	s_waitcnt vmcnt(13)
	v_mov_b32_e32 v4, v117
	v_pk_add_f32 v[2:3], v[2:3], v[130:131]
	v_mov_b32_e32 v7, v5
	v_pk_mul_f32 v[4:5], v[100:101], v[4:5] op_sel_hi:[1,0]
	v_pk_add_f32 v[2:3], v[2:3], v[6:7]
	v_pk_fma_f32 v[6:7], v[100:101], v[116:117], v[4:5] op_sel:[0,0,1] op_sel_hi:[1,1,0] neg_lo:[0,0,1] neg_hi:[0,0,1]
	v_pk_fma_f32 v[4:5], v[100:101], v[116:117], v[4:5] op_sel:[0,0,1] op_sel_hi:[1,0,0]
	s_waitcnt vmcnt(12)
	v_mov_b32_e32 v4, v115
	v_mov_b32_e32 v7, v5
	s_waitcnt lgkmcnt(2)
	v_pk_mul_f32 v[4:5], v[102:103], v[4:5] op_sel_hi:[1,0]
	v_pk_add_f32 v[2:3], v[2:3], v[6:7]
	v_pk_fma_f32 v[6:7], v[102:103], v[114:115], v[4:5] op_sel:[0,0,1] op_sel_hi:[1,1,0] neg_lo:[0,0,1] neg_hi:[0,0,1]
	v_pk_fma_f32 v[4:5], v[102:103], v[114:115], v[4:5] op_sel:[0,0,1] op_sel_hi:[1,0,0]
	s_waitcnt vmcnt(11)
	v_mov_b32_e32 v4, v119
	v_mov_b32_e32 v7, v5
	v_pk_mul_f32 v[4:5], v[104:105], v[4:5] op_sel_hi:[1,0]
	v_pk_add_f32 v[2:3], v[2:3], v[6:7]
	s_waitcnt vmcnt(5)
	v_pk_fma_f32 v[6:7], v[104:105], v[118:119], v[4:5] op_sel:[0,0,1] op_sel_hi:[1,1,0] neg_lo:[0,0,1] neg_hi:[0,0,1]
	v_pk_fma_f32 v[4:5], v[104:105], v[118:119], v[4:5] op_sel:[0,0,1] op_sel_hi:[1,0,0]
	v_mov_b32_e32 v4, v125
	v_mov_b32_e32 v7, v5
	s_waitcnt lgkmcnt(1)
	v_pk_mul_f32 v[4:5], v[106:107], v[4:5] op_sel_hi:[1,0]
	v_pk_add_f32 v[2:3], v[2:3], v[6:7]
	v_pk_fma_f32 v[6:7], v[106:107], v[124:125], v[4:5] op_sel:[0,0,1] op_sel_hi:[1,1,0] neg_lo:[0,0,1] neg_hi:[0,0,1]
	v_pk_fma_f32 v[4:5], v[106:107], v[124:125], v[4:5] op_sel:[0,0,1] op_sel_hi:[1,0,0]
	v_mov_b32_e32 v4, v123
	v_mov_b32_e32 v7, v5
	v_pk_mul_f32 v[4:5], v[108:109], v[4:5] op_sel_hi:[1,0]
	v_pk_add_f32 v[2:3], v[2:3], v[6:7]
	v_pk_fma_f32 v[6:7], v[108:109], v[122:123], v[4:5] op_sel:[0,0,1] op_sel_hi:[1,1,0] neg_lo:[0,0,1] neg_hi:[0,0,1]
	v_pk_fma_f32 v[4:5], v[108:109], v[122:123], v[4:5] op_sel:[0,0,1] op_sel_hi:[1,0,0]
	s_waitcnt vmcnt(2)
	v_mov_b32_e32 v4, v121
	v_mov_b32_e32 v7, v5
	s_waitcnt lgkmcnt(0)
	v_pk_mul_f32 v[4:5], v[110:111], v[4:5] op_sel_hi:[1,0]
	v_pk_add_f32 v[2:3], v[2:3], v[6:7]
	v_pk_fma_f32 v[6:7], v[110:111], v[120:121], v[4:5] op_sel:[0,0,1] op_sel_hi:[1,1,0] neg_lo:[0,0,1] neg_hi:[0,0,1]
	v_pk_fma_f32 v[4:5], v[110:111], v[120:121], v[4:5] op_sel:[0,0,1] op_sel_hi:[1,0,0]
	s_waitcnt vmcnt(1)
	v_mov_b32_e32 v4, v129
	v_mov_b32_e32 v7, v5
	v_pk_mul_f32 v[4:5], v[112:113], v[4:5] op_sel_hi:[1,0]
	v_pk_add_f32 v[2:3], v[2:3], v[6:7]
	s_waitcnt vmcnt(0)
	v_pk_fma_f32 v[6:7], v[112:113], v[128:129], v[4:5] op_sel:[0,0,1] op_sel_hi:[1,1,0] neg_lo:[0,0,1] neg_hi:[0,0,1]
	v_pk_fma_f32 v[4:5], v[112:113], v[128:129], v[4:5] op_sel:[0,0,1] op_sel_hi:[1,0,0]
	v_mov_b32_e32 v7, v5
	v_pk_add_f32 v[2:3], v[2:3], v[6:7]
	v_pk_add_f32 v[2:3], v[126:127], v[2:3] neg_lo:[0,1] neg_hi:[0,1]
	buffer_store_dword v3, off, s[0:3], 0 offset:172
	buffer_store_dword v2, off, s[0:3], 0 offset:168
	s_and_saveexec_b64 s[4:5], vcc
	s_cbranch_execz .LBB37_201
; %bb.200:
	buffer_load_dword v2, off, s[0:3], 0 offset:160
	buffer_load_dword v3, off, s[0:3], 0 offset:164
	v_mov_b32_e32 v4, 0
	buffer_store_dword v4, off, s[0:3], 0 offset:160
	buffer_store_dword v4, off, s[0:3], 0 offset:164
	s_waitcnt vmcnt(2)
	ds_write_b64 v1, v[2:3]
.LBB37_201:
	s_or_b64 exec, exec, s[4:5]
	s_waitcnt lgkmcnt(0)
	; wave barrier
	s_waitcnt lgkmcnt(0)
	buffer_load_dword v3, off, s[0:3], 0 offset:172
	buffer_load_dword v122, off, s[0:3], 0 offset:180
	buffer_load_dword v124, off, s[0:3], 0 offset:188
	buffer_load_dword v126, off, s[0:3], 0 offset:196
	buffer_load_dword v127, off, s[0:3], 0 offset:204
	buffer_load_dword v128, off, s[0:3], 0 offset:212
	buffer_load_dword v129, off, s[0:3], 0 offset:220
	buffer_load_dword v130, off, s[0:3], 0 offset:228
	buffer_load_dword v131, off, s[0:3], 0 offset:236
	buffer_load_dword v132, off, s[0:3], 0 offset:168
	buffer_load_dword v133, off, s[0:3], 0 offset:176
	buffer_load_dword v134, off, s[0:3], 0 offset:184
	buffer_load_dword v135, off, s[0:3], 0 offset:192
	buffer_load_dword v136, off, s[0:3], 0 offset:200
	buffer_load_dword v137, off, s[0:3], 0 offset:208
	buffer_load_dword v138, off, s[0:3], 0 offset:216
	buffer_load_dword v139, off, s[0:3], 0 offset:224
	buffer_load_dword v140, off, s[0:3], 0 offset:232
	buffer_load_dword v17, off, s[0:3], 0 offset:244
	buffer_load_dword v106, off, s[0:3], 0 offset:248
	buffer_load_dword v16, off, s[0:3], 0 offset:240
	buffer_load_dword v108, off, s[0:3], 0 offset:160
	buffer_load_dword v109, off, s[0:3], 0 offset:164
	buffer_load_dword v107, off, s[0:3], 0 offset:252
	buffer_load_dword v111, off, s[0:3], 0 offset:260
	buffer_load_dword v113, off, s[0:3], 0 offset:284
	buffer_load_dword v112, off, s[0:3], 0 offset:280
	buffer_load_dword v115, off, s[0:3], 0 offset:276
	buffer_load_dword v114, off, s[0:3], 0 offset:272
	buffer_load_dword v117, off, s[0:3], 0 offset:268
	buffer_load_dword v116, off, s[0:3], 0 offset:264
	buffer_load_dword v110, off, s[0:3], 0 offset:256
	buffer_load_dword v119, off, s[0:3], 0 offset:300
	buffer_load_dword v118, off, s[0:3], 0 offset:296
	buffer_load_dword v121, off, s[0:3], 0 offset:292
	buffer_load_dword v120, off, s[0:3], 0 offset:288
	v_mov_b32_e32 v2, 0
	ds_read2_b64 v[4:7], v2 offset0:59 offset1:60
	ds_read2_b64 v[8:11], v2 offset0:61 offset1:62
	;; [unrolled: 1-line block ×6, first 2 shown]
	v_cmp_lt_u32_e32 vcc, 19, v0
	s_waitcnt vmcnt(35) lgkmcnt(5)
	v_mul_f32_e32 v141, v4, v3
	s_waitcnt vmcnt(34)
	v_mul_f32_e32 v142, v6, v122
	s_waitcnt vmcnt(33) lgkmcnt(4)
	v_mul_f32_e32 v143, v8, v124
	v_mul_f32_e32 v3, v5, v3
	;; [unrolled: 1-line block ×4, first 2 shown]
	s_waitcnt vmcnt(32)
	v_mul_f32_e32 v144, v10, v126
	s_waitcnt vmcnt(31) lgkmcnt(3)
	v_mul_f32_e32 v145, v12, v127
	v_mul_f32_e32 v126, v11, v126
	s_waitcnt vmcnt(26)
	v_fmac_f32_e32 v141, v5, v132
	s_waitcnt vmcnt(25)
	v_fmac_f32_e32 v142, v7, v133
	;; [unrolled: 2-line block ×3, first 2 shown]
	v_fma_f32 v3, v4, v132, -v3
	v_add_f32_e32 v9, 0, v141
	v_fma_f32 v4, v6, v133, -v122
	v_add_f32_e32 v3, 0, v3
	v_add_f32_e32 v9, v9, v142
	s_waitcnt vmcnt(23)
	v_fmac_f32_e32 v144, v11, v135
	v_fma_f32 v5, v8, v134, -v124
	v_add_f32_e32 v3, v3, v4
	v_add_f32_e32 v4, v9, v143
	v_mul_f32_e32 v146, v14, v128
	v_mul_f32_e32 v127, v13, v127
	s_waitcnt vmcnt(22)
	v_fmac_f32_e32 v145, v13, v136
	v_fma_f32 v6, v10, v135, -v126
	v_add_f32_e32 v3, v3, v5
	v_add_f32_e32 v4, v4, v144
	s_waitcnt lgkmcnt(2)
	v_mul_f32_e32 v147, v94, v129
	v_mul_f32_e32 v128, v15, v128
	s_waitcnt vmcnt(21)
	v_fmac_f32_e32 v146, v15, v137
	v_fma_f32 v7, v12, v136, -v127
	v_add_f32_e32 v3, v3, v6
	v_add_f32_e32 v4, v4, v145
	v_mul_f32_e32 v129, v95, v129
	s_waitcnt vmcnt(20)
	v_fmac_f32_e32 v147, v95, v138
	v_fma_f32 v8, v14, v137, -v128
	v_add_f32_e32 v3, v3, v7
	v_add_f32_e32 v4, v4, v146
	;; [unrolled: 1-line block ×4, first 2 shown]
	v_fma_f32 v4, v94, v138, -v129
	s_waitcnt vmcnt(17)
	v_mov_b32_e32 v94, v17
	v_mul_f32_e32 v123, v96, v130
	v_add_f32_e32 v12, v3, v4
	v_mul_f32_e32 v3, v97, v130
	s_waitcnt lgkmcnt(1)
	v_pk_mul_f32 v[94:95], v[100:101], v[94:95] op_sel_hi:[1,0]
	v_fmac_f32_e32 v123, v97, v139
	v_fma_f32 v122, v96, v139, -v3
	s_waitcnt vmcnt(15)
	v_pk_fma_f32 v[96:97], v[100:101], v[16:17], v[94:95] op_sel:[0,0,1] op_sel_hi:[1,1,0] neg_lo:[0,0,1] neg_hi:[0,0,1]
	v_pk_fma_f32 v[16:17], v[100:101], v[16:17], v[94:95] op_sel:[0,0,1] op_sel_hi:[1,0,0]
	s_waitcnt vmcnt(12)
	v_mov_b32_e32 v16, v107
	v_mul_f32_e32 v125, v98, v131
	v_mul_f32_e32 v3, v99, v131
	v_mov_b32_e32 v97, v17
	s_waitcnt lgkmcnt(0)
	v_pk_mul_f32 v[16:17], v[102:103], v[16:17] op_sel_hi:[1,0]
	v_fmac_f32_e32 v125, v99, v140
	v_fma_f32 v124, v98, v140, -v3
	v_pk_add_f32 v[12:13], v[12:13], v[122:123]
	v_pk_fma_f32 v[94:95], v[102:103], v[106:107], v[16:17] op_sel:[0,0,1] op_sel_hi:[1,1,0] neg_lo:[0,0,1] neg_hi:[0,0,1]
	v_pk_fma_f32 v[16:17], v[102:103], v[106:107], v[16:17] op_sel:[0,0,1] op_sel_hi:[1,0,0]
	v_pk_add_f32 v[12:13], v[12:13], v[124:125]
	s_waitcnt vmcnt(11)
	v_mov_b32_e32 v16, v111
	ds_read2_b64 v[4:7], v2 offset0:71 offset1:72
	ds_read2_b64 v[8:11], v2 offset0:73 offset1:74
	ds_read_b64 v[14:15], v2 offset:600
	v_pk_add_f32 v[12:13], v[12:13], v[96:97]
	v_mov_b32_e32 v95, v17
	v_pk_mul_f32 v[16:17], v[104:105], v[16:17] op_sel_hi:[1,0]
	v_pk_add_f32 v[12:13], v[12:13], v[94:95]
	s_waitcnt vmcnt(4)
	v_pk_fma_f32 v[94:95], v[104:105], v[110:111], v[16:17] op_sel:[0,0,1] op_sel_hi:[1,1,0] neg_lo:[0,0,1] neg_hi:[0,0,1]
	v_pk_fma_f32 v[16:17], v[104:105], v[110:111], v[16:17] op_sel:[0,0,1] op_sel_hi:[1,0,0]
	v_mov_b32_e32 v16, v117
	v_mov_b32_e32 v95, v17
	s_waitcnt lgkmcnt(2)
	v_pk_mul_f32 v[16:17], v[4:5], v[16:17] op_sel_hi:[1,0]
	v_pk_add_f32 v[12:13], v[12:13], v[94:95]
	v_pk_fma_f32 v[94:95], v[4:5], v[116:117], v[16:17] op_sel:[0,0,1] op_sel_hi:[1,1,0] neg_lo:[0,0,1] neg_hi:[0,0,1]
	v_pk_fma_f32 v[4:5], v[4:5], v[116:117], v[16:17] op_sel:[0,0,1] op_sel_hi:[1,0,0]
	v_mov_b32_e32 v95, v5
	v_pk_add_f32 v[4:5], v[12:13], v[94:95]
	v_mov_b32_e32 v12, v115
	v_pk_mul_f32 v[12:13], v[6:7], v[12:13] op_sel_hi:[1,0]
	v_pk_fma_f32 v[16:17], v[6:7], v[114:115], v[12:13] op_sel:[0,0,1] op_sel_hi:[1,1,0] neg_lo:[0,0,1] neg_hi:[0,0,1]
	v_pk_fma_f32 v[6:7], v[6:7], v[114:115], v[12:13] op_sel:[0,0,1] op_sel_hi:[1,0,0]
	v_mov_b32_e32 v6, v113
	v_mov_b32_e32 v17, v7
	s_waitcnt lgkmcnt(1)
	v_pk_mul_f32 v[6:7], v[8:9], v[6:7] op_sel_hi:[1,0]
	v_pk_fma_f32 v[12:13], v[8:9], v[112:113], v[6:7] op_sel:[0,0,1] op_sel_hi:[1,1,0] neg_lo:[0,0,1] neg_hi:[0,0,1]
	v_pk_fma_f32 v[6:7], v[8:9], v[112:113], v[6:7] op_sel:[0,0,1] op_sel_hi:[1,0,0]
	s_waitcnt vmcnt(1)
	v_mov_b32_e32 v6, v121
	v_mov_b32_e32 v13, v7
	v_pk_mul_f32 v[6:7], v[10:11], v[6:7] op_sel_hi:[1,0]
	s_waitcnt vmcnt(0)
	v_pk_fma_f32 v[8:9], v[10:11], v[120:121], v[6:7] op_sel:[0,0,1] op_sel_hi:[1,1,0] neg_lo:[0,0,1] neg_hi:[0,0,1]
	v_pk_fma_f32 v[6:7], v[10:11], v[120:121], v[6:7] op_sel:[0,0,1] op_sel_hi:[1,0,0]
	v_pk_add_f32 v[4:5], v[4:5], v[16:17]
	v_mov_b32_e32 v6, v119
	v_pk_add_f32 v[4:5], v[4:5], v[12:13]
	v_mov_b32_e32 v9, v7
	s_waitcnt lgkmcnt(0)
	v_pk_mul_f32 v[6:7], v[14:15], v[6:7] op_sel_hi:[1,0]
	v_pk_add_f32 v[4:5], v[4:5], v[8:9]
	v_pk_fma_f32 v[8:9], v[14:15], v[118:119], v[6:7] op_sel:[0,0,1] op_sel_hi:[1,1,0] neg_lo:[0,0,1] neg_hi:[0,0,1]
	v_pk_fma_f32 v[6:7], v[14:15], v[118:119], v[6:7] op_sel:[0,0,1] op_sel_hi:[1,0,0]
	v_mov_b32_e32 v9, v7
	v_pk_add_f32 v[4:5], v[4:5], v[8:9]
	v_pk_add_f32 v[4:5], v[108:109], v[4:5] neg_lo:[0,1] neg_hi:[0,1]
	buffer_store_dword v5, off, s[0:3], 0 offset:164
	buffer_store_dword v4, off, s[0:3], 0 offset:160
	s_and_saveexec_b64 s[4:5], vcc
	s_cbranch_execz .LBB37_203
; %bb.202:
	buffer_load_dword v4, off, s[0:3], 0 offset:152
	buffer_load_dword v5, off, s[0:3], 0 offset:156
	s_waitcnt vmcnt(0)
	ds_write_b64 v1, v[4:5]
	buffer_store_dword v2, off, s[0:3], 0 offset:152
	buffer_store_dword v2, off, s[0:3], 0 offset:156
.LBB37_203:
	s_or_b64 exec, exec, s[4:5]
	s_waitcnt lgkmcnt(0)
	; wave barrier
	s_waitcnt lgkmcnt(0)
	buffer_load_dword v3, off, s[0:3], 0 offset:164
	buffer_load_dword v122, off, s[0:3], 0 offset:172
	;; [unrolled: 1-line block ×22, first 2 shown]
	ds_read_b128 v[4:7], v2 offset:464
	ds_read_b128 v[8:11], v2 offset:480
	buffer_load_dword v107, off, s[0:3], 0 offset:244
	buffer_load_dword v106, off, s[0:3], 0 offset:240
	buffer_load_dword v109, off, s[0:3], 0 offset:252
	buffer_load_dword v111, off, s[0:3], 0 offset:276
	buffer_load_dword v110, off, s[0:3], 0 offset:272
	buffer_load_dword v113, off, s[0:3], 0 offset:268
	buffer_load_dword v112, off, s[0:3], 0 offset:264
	buffer_load_dword v115, off, s[0:3], 0 offset:260
	buffer_load_dword v114, off, s[0:3], 0 offset:256
	buffer_load_dword v108, off, s[0:3], 0 offset:248
	ds_read_b128 v[12:15], v2 offset:496
	ds_read_b128 v[94:97], v2 offset:512
	;; [unrolled: 1-line block ×4, first 2 shown]
	buffer_load_dword v117, off, s[0:3], 0 offset:300
	buffer_load_dword v116, off, s[0:3], 0 offset:296
	;; [unrolled: 1-line block ×6, first 2 shown]
	v_cmp_lt_u32_e32 vcc, 18, v0
	s_waitcnt vmcnt(37) lgkmcnt(5)
	v_mul_f32_e32 v143, v4, v3
	s_waitcnt vmcnt(36)
	v_mul_f32_e32 v144, v6, v122
	s_waitcnt vmcnt(35) lgkmcnt(4)
	v_mul_f32_e32 v145, v8, v124
	v_mul_f32_e32 v3, v5, v3
	;; [unrolled: 1-line block ×4, first 2 shown]
	s_waitcnt vmcnt(34)
	v_mul_f32_e32 v146, v10, v126
	s_waitcnt vmcnt(33) lgkmcnt(3)
	v_mul_f32_e32 v147, v12, v127
	s_waitcnt vmcnt(32)
	v_mul_f32_e32 v148, v14, v128
	s_waitcnt vmcnt(31) lgkmcnt(2)
	v_mul_f32_e32 v149, v94, v129
	s_waitcnt vmcnt(27)
	v_fmac_f32_e32 v143, v5, v133
	s_waitcnt vmcnt(26)
	v_fmac_f32_e32 v144, v7, v134
	v_fma_f32 v3, v4, v133, -v3
	s_waitcnt vmcnt(25)
	v_fma_f32 v5, v8, v135, -v124
	v_add_f32_e32 v8, 0, v143
	v_fmac_f32_e32 v145, v9, v135
	v_fma_f32 v4, v6, v134, -v122
	v_add_f32_e32 v3, 0, v3
	v_add_f32_e32 v8, v8, v144
	s_waitcnt vmcnt(24)
	v_fmac_f32_e32 v146, v11, v136
	v_add_f32_e32 v3, v3, v4
	v_add_f32_e32 v4, v8, v145
	s_waitcnt vmcnt(23)
	v_fmac_f32_e32 v147, v13, v137
	v_add_f32_e32 v4, v4, v146
	v_mul_f32_e32 v126, v11, v126
	s_waitcnt vmcnt(22)
	v_fmac_f32_e32 v148, v15, v138
	v_add_f32_e32 v4, v4, v147
	v_mul_f32_e32 v150, v96, v130
	v_mul_f32_e32 v127, v13, v127
	s_waitcnt vmcnt(21)
	v_fmac_f32_e32 v149, v95, v139
	v_fma_f32 v6, v10, v136, -v126
	v_add_f32_e32 v3, v3, v5
	v_add_f32_e32 v4, v4, v148
	v_mul_f32_e32 v128, v15, v128
	s_waitcnt vmcnt(20)
	v_fmac_f32_e32 v150, v97, v140
	v_fma_f32 v7, v12, v137, -v127
	v_add_f32_e32 v3, v3, v6
	v_add_f32_e32 v4, v4, v149
	;; [unrolled: 1-line block ×4, first 2 shown]
	v_fma_f32 v4, v14, v138, -v128
	v_add_f32_e32 v3, v3, v4
	v_mul_f32_e32 v4, v95, v129
	v_fma_f32 v4, v94, v139, -v4
	v_add_f32_e32 v3, v3, v4
	v_mul_f32_e32 v4, v97, v130
	v_fma_f32 v4, v96, v140, -v4
	s_waitcnt vmcnt(15)
	v_mov_b32_e32 v94, v107
	s_waitcnt lgkmcnt(1)
	v_mul_f32_e32 v123, v98, v131
	v_add_f32_e32 v126, v3, v4
	v_mul_f32_e32 v3, v99, v131
	s_waitcnt lgkmcnt(0)
	v_pk_mul_f32 v[94:95], v[102:103], v[94:95] op_sel_hi:[1,0]
	v_mul_f32_e32 v125, v100, v132
	v_fmac_f32_e32 v123, v99, v141
	v_fma_f32 v122, v98, v141, -v3
	v_mul_f32_e32 v3, v101, v132
	s_waitcnt vmcnt(14)
	v_pk_fma_f32 v[96:97], v[102:103], v[106:107], v[94:95] op_sel:[0,0,1] op_sel_hi:[1,1,0] neg_lo:[0,0,1] neg_hi:[0,0,1]
	v_pk_fma_f32 v[94:95], v[102:103], v[106:107], v[94:95] op_sel:[0,0,1] op_sel_hi:[1,0,0]
	v_fmac_f32_e32 v125, v101, v142
	v_fma_f32 v124, v100, v142, -v3
	ds_read_b128 v[4:7], v2 offset:560
	ds_read_b128 v[8:11], v2 offset:576
	;; [unrolled: 1-line block ×3, first 2 shown]
	v_pk_add_f32 v[2:3], v[126:127], v[122:123]
	s_waitcnt vmcnt(13)
	v_mov_b32_e32 v94, v109
	v_pk_add_f32 v[2:3], v[2:3], v[124:125]
	v_mov_b32_e32 v97, v95
	v_pk_mul_f32 v[94:95], v[104:105], v[94:95] op_sel_hi:[1,0]
	v_pk_add_f32 v[2:3], v[2:3], v[96:97]
	s_waitcnt vmcnt(6)
	v_pk_fma_f32 v[96:97], v[104:105], v[108:109], v[94:95] op_sel:[0,0,1] op_sel_hi:[1,1,0] neg_lo:[0,0,1] neg_hi:[0,0,1]
	v_pk_fma_f32 v[94:95], v[104:105], v[108:109], v[94:95] op_sel:[0,0,1] op_sel_hi:[1,0,0]
	v_mov_b32_e32 v94, v115
	v_mov_b32_e32 v97, v95
	s_waitcnt lgkmcnt(2)
	v_pk_mul_f32 v[94:95], v[4:5], v[94:95] op_sel_hi:[1,0]
	v_pk_add_f32 v[2:3], v[2:3], v[96:97]
	v_pk_fma_f32 v[96:97], v[4:5], v[114:115], v[94:95] op_sel:[0,0,1] op_sel_hi:[1,1,0] neg_lo:[0,0,1] neg_hi:[0,0,1]
	v_pk_fma_f32 v[4:5], v[4:5], v[114:115], v[94:95] op_sel:[0,0,1] op_sel_hi:[1,0,0]
	v_mov_b32_e32 v4, v113
	v_mov_b32_e32 v97, v5
	v_pk_mul_f32 v[4:5], v[6:7], v[4:5] op_sel_hi:[1,0]
	v_pk_fma_f32 v[94:95], v[6:7], v[112:113], v[4:5] op_sel:[0,0,1] op_sel_hi:[1,1,0] neg_lo:[0,0,1] neg_hi:[0,0,1]
	v_pk_fma_f32 v[4:5], v[6:7], v[112:113], v[4:5] op_sel:[0,0,1] op_sel_hi:[1,0,0]
	v_mov_b32_e32 v4, v111
	v_mov_b32_e32 v95, v5
	s_waitcnt lgkmcnt(1)
	v_pk_mul_f32 v[4:5], v[8:9], v[4:5] op_sel_hi:[1,0]
	v_pk_fma_f32 v[6:7], v[8:9], v[110:111], v[4:5] op_sel:[0,0,1] op_sel_hi:[1,1,0] neg_lo:[0,0,1] neg_hi:[0,0,1]
	v_pk_fma_f32 v[4:5], v[8:9], v[110:111], v[4:5] op_sel:[0,0,1] op_sel_hi:[1,0,0]
	v_pk_add_f32 v[2:3], v[2:3], v[96:97]
	s_waitcnt vmcnt(1)
	v_mov_b32_e32 v4, v121
	v_pk_add_f32 v[2:3], v[2:3], v[94:95]
	v_mov_b32_e32 v7, v5
	v_pk_mul_f32 v[4:5], v[10:11], v[4:5] op_sel_hi:[1,0]
	v_pk_add_f32 v[2:3], v[2:3], v[6:7]
	s_waitcnt vmcnt(0)
	v_pk_fma_f32 v[6:7], v[10:11], v[120:121], v[4:5] op_sel:[0,0,1] op_sel_hi:[1,1,0] neg_lo:[0,0,1] neg_hi:[0,0,1]
	v_pk_fma_f32 v[4:5], v[10:11], v[120:121], v[4:5] op_sel:[0,0,1] op_sel_hi:[1,0,0]
	v_mov_b32_e32 v4, v119
	v_mov_b32_e32 v7, v5
	s_waitcnt lgkmcnt(0)
	v_pk_mul_f32 v[4:5], v[12:13], v[4:5] op_sel_hi:[1,0]
	v_pk_add_f32 v[2:3], v[2:3], v[6:7]
	v_pk_fma_f32 v[6:7], v[12:13], v[118:119], v[4:5] op_sel:[0,0,1] op_sel_hi:[1,1,0] neg_lo:[0,0,1] neg_hi:[0,0,1]
	v_pk_fma_f32 v[4:5], v[12:13], v[118:119], v[4:5] op_sel:[0,0,1] op_sel_hi:[1,0,0]
	v_mov_b32_e32 v4, v117
	v_mov_b32_e32 v7, v5
	v_pk_mul_f32 v[4:5], v[14:15], v[4:5] op_sel_hi:[1,0]
	v_pk_add_f32 v[2:3], v[2:3], v[6:7]
	v_pk_fma_f32 v[6:7], v[14:15], v[116:117], v[4:5] op_sel:[0,0,1] op_sel_hi:[1,1,0] neg_lo:[0,0,1] neg_hi:[0,0,1]
	v_pk_fma_f32 v[4:5], v[14:15], v[116:117], v[4:5] op_sel:[0,0,1] op_sel_hi:[1,0,0]
	v_mov_b32_e32 v7, v5
	v_pk_add_f32 v[2:3], v[2:3], v[6:7]
	v_pk_add_f32 v[2:3], v[16:17], v[2:3] neg_lo:[0,1] neg_hi:[0,1]
	buffer_store_dword v3, off, s[0:3], 0 offset:156
	buffer_store_dword v2, off, s[0:3], 0 offset:152
	s_and_saveexec_b64 s[4:5], vcc
	s_cbranch_execz .LBB37_205
; %bb.204:
	buffer_load_dword v2, off, s[0:3], 0 offset:144
	buffer_load_dword v3, off, s[0:3], 0 offset:148
	v_mov_b32_e32 v4, 0
	buffer_store_dword v4, off, s[0:3], 0 offset:144
	buffer_store_dword v4, off, s[0:3], 0 offset:148
	s_waitcnt vmcnt(2)
	ds_write_b64 v1, v[2:3]
.LBB37_205:
	s_or_b64 exec, exec, s[4:5]
	s_waitcnt lgkmcnt(0)
	; wave barrier
	s_waitcnt lgkmcnt(0)
	buffer_load_dword v3, off, s[0:3], 0 offset:156
	buffer_load_dword v122, off, s[0:3], 0 offset:164
	;; [unrolled: 1-line block ×40, first 2 shown]
	v_mov_b32_e32 v2, 0
	ds_read2_b64 v[4:7], v2 offset0:57 offset1:58
	ds_read2_b64 v[8:11], v2 offset0:59 offset1:60
	;; [unrolled: 1-line block ×6, first 2 shown]
	v_cmp_lt_u32_e32 vcc, 17, v0
	s_waitcnt vmcnt(39) lgkmcnt(5)
	v_mul_f32_e32 v145, v4, v3
	s_waitcnt vmcnt(38)
	v_mul_f32_e32 v146, v6, v122
	v_mul_f32_e32 v3, v5, v3
	s_waitcnt vmcnt(37) lgkmcnt(4)
	v_mul_f32_e32 v147, v8, v124
	v_mul_f32_e32 v122, v7, v122
	s_waitcnt vmcnt(36)
	v_mul_f32_e32 v148, v10, v126
	s_waitcnt vmcnt(35) lgkmcnt(3)
	v_mul_f32_e32 v149, v12, v128
	s_waitcnt vmcnt(34)
	v_mul_f32_e32 v150, v14, v129
	s_waitcnt vmcnt(33) lgkmcnt(2)
	;; [unrolled: 4-line block ×3, first 2 shown]
	v_mul_f32_e32 v153, v98, v132
	s_waitcnt vmcnt(28)
	v_fmac_f32_e32 v145, v5, v127
	s_waitcnt vmcnt(27)
	v_fmac_f32_e32 v146, v7, v135
	v_fma_f32 v3, v4, v127, -v3
	v_add_f32_e32 v7, 0, v145
	s_waitcnt vmcnt(26)
	v_fmac_f32_e32 v147, v9, v136
	v_fma_f32 v4, v6, v135, -v122
	v_add_f32_e32 v3, 0, v3
	v_add_f32_e32 v7, v7, v146
	s_waitcnt vmcnt(25)
	v_fmac_f32_e32 v148, v11, v137
	v_add_f32_e32 v3, v3, v4
	v_add_f32_e32 v4, v7, v147
	s_waitcnt vmcnt(24)
	v_fmac_f32_e32 v149, v13, v138
	v_add_f32_e32 v4, v4, v148
	s_waitcnt vmcnt(23)
	v_fmac_f32_e32 v150, v15, v139
	;; [unrolled: 3-line block ×3, first 2 shown]
	v_add_f32_e32 v4, v4, v150
	v_mul_f32_e32 v124, v9, v124
	s_waitcnt vmcnt(21)
	v_fmac_f32_e32 v152, v97, v141
	v_add_f32_e32 v4, v4, v151
	v_mul_f32_e32 v126, v11, v126
	s_waitcnt vmcnt(20)
	v_fmac_f32_e32 v153, v99, v142
	v_fma_f32 v5, v8, v136, -v124
	v_add_f32_e32 v4, v4, v152
	v_fma_f32 v6, v10, v137, -v126
	v_add_f32_e32 v3, v3, v5
	v_add_f32_e32 v127, v4, v153
	v_mul_f32_e32 v4, v13, v128
	v_add_f32_e32 v3, v3, v6
	v_fma_f32 v4, v12, v138, -v4
	v_add_f32_e32 v3, v3, v4
	v_mul_f32_e32 v4, v15, v129
	v_fma_f32 v4, v14, v139, -v4
	v_add_f32_e32 v3, v3, v4
	v_mul_f32_e32 v4, v95, v130
	v_fma_f32 v4, v94, v140, -v4
	v_add_f32_e32 v3, v3, v4
	v_mul_f32_e32 v4, v97, v131
	v_fma_f32 v4, v96, v141, -v4
	v_add_f32_e32 v3, v3, v4
	v_mul_f32_e32 v4, v99, v132
	v_fma_f32 v4, v98, v142, -v4
	s_waitcnt vmcnt(9)
	v_mov_b32_e32 v98, v113
	v_mul_f32_e32 v123, v100, v133
	v_add_f32_e32 v126, v3, v4
	v_mul_f32_e32 v3, v101, v133
	s_waitcnt lgkmcnt(0)
	v_pk_mul_f32 v[98:99], v[104:105], v[98:99] op_sel_hi:[1,0]
	v_mul_f32_e32 v125, v102, v134
	v_fmac_f32_e32 v123, v101, v143
	v_fma_f32 v122, v100, v143, -v3
	v_mul_f32_e32 v3, v103, v134
	ds_read2_b64 v[4:7], v2 offset0:69 offset1:70
	ds_read2_b64 v[8:11], v2 offset0:71 offset1:72
	;; [unrolled: 1-line block ×3, first 2 shown]
	ds_read_b64 v[94:95], v2 offset:600
	s_waitcnt vmcnt(8)
	v_pk_fma_f32 v[100:101], v[104:105], v[112:113], v[98:99] op_sel:[0,0,1] op_sel_hi:[1,1,0] neg_lo:[0,0,1] neg_hi:[0,0,1]
	v_pk_fma_f32 v[98:99], v[104:105], v[112:113], v[98:99] op_sel:[0,0,1] op_sel_hi:[1,0,0]
	v_fmac_f32_e32 v125, v103, v144
	v_fma_f32 v124, v102, v144, -v3
	v_pk_add_f32 v[96:97], v[126:127], v[122:123]
	v_mov_b32_e32 v98, v111
	v_pk_add_f32 v[96:97], v[96:97], v[124:125]
	v_mov_b32_e32 v101, v99
	s_waitcnt lgkmcnt(3)
	v_pk_mul_f32 v[98:99], v[4:5], v[98:99] op_sel_hi:[1,0]
	v_pk_add_f32 v[96:97], v[96:97], v[100:101]
	v_pk_fma_f32 v[100:101], v[4:5], v[110:111], v[98:99] op_sel:[0,0,1] op_sel_hi:[1,1,0] neg_lo:[0,0,1] neg_hi:[0,0,1]
	v_pk_fma_f32 v[4:5], v[4:5], v[110:111], v[98:99] op_sel:[0,0,1] op_sel_hi:[1,0,0]
	v_mov_b32_e32 v101, v5
	v_pk_add_f32 v[4:5], v[96:97], v[100:101]
	v_mov_b32_e32 v96, v109
	v_pk_mul_f32 v[96:97], v[6:7], v[96:97] op_sel_hi:[1,0]
	v_pk_fma_f32 v[98:99], v[6:7], v[108:109], v[96:97] op_sel:[0,0,1] op_sel_hi:[1,1,0] neg_lo:[0,0,1] neg_hi:[0,0,1]
	v_pk_fma_f32 v[6:7], v[6:7], v[108:109], v[96:97] op_sel:[0,0,1] op_sel_hi:[1,0,0]
	v_mov_b32_e32 v6, v107
	v_mov_b32_e32 v99, v7
	s_waitcnt lgkmcnt(2)
	v_pk_mul_f32 v[6:7], v[8:9], v[6:7] op_sel_hi:[1,0]
	v_pk_fma_f32 v[96:97], v[8:9], v[106:107], v[6:7] op_sel:[0,0,1] op_sel_hi:[1,1,0] neg_lo:[0,0,1] neg_hi:[0,0,1]
	v_pk_fma_f32 v[6:7], v[8:9], v[106:107], v[6:7] op_sel:[0,0,1] op_sel_hi:[1,0,0]
	s_waitcnt vmcnt(1)
	v_mov_b32_e32 v6, v121
	v_mov_b32_e32 v97, v7
	v_pk_mul_f32 v[6:7], v[10:11], v[6:7] op_sel_hi:[1,0]
	s_waitcnt vmcnt(0)
	v_pk_fma_f32 v[8:9], v[10:11], v[120:121], v[6:7] op_sel:[0,0,1] op_sel_hi:[1,1,0] neg_lo:[0,0,1] neg_hi:[0,0,1]
	v_pk_fma_f32 v[6:7], v[10:11], v[120:121], v[6:7] op_sel:[0,0,1] op_sel_hi:[1,0,0]
	v_pk_add_f32 v[4:5], v[4:5], v[98:99]
	v_mov_b32_e32 v6, v119
	v_pk_add_f32 v[4:5], v[4:5], v[96:97]
	v_mov_b32_e32 v9, v7
	s_waitcnt lgkmcnt(1)
	v_pk_mul_f32 v[6:7], v[12:13], v[6:7] op_sel_hi:[1,0]
	v_pk_add_f32 v[4:5], v[4:5], v[8:9]
	v_pk_fma_f32 v[8:9], v[12:13], v[118:119], v[6:7] op_sel:[0,0,1] op_sel_hi:[1,1,0] neg_lo:[0,0,1] neg_hi:[0,0,1]
	v_pk_fma_f32 v[6:7], v[12:13], v[118:119], v[6:7] op_sel:[0,0,1] op_sel_hi:[1,0,0]
	v_mov_b32_e32 v6, v117
	v_mov_b32_e32 v9, v7
	v_pk_mul_f32 v[6:7], v[14:15], v[6:7] op_sel_hi:[1,0]
	v_pk_add_f32 v[4:5], v[4:5], v[8:9]
	v_pk_fma_f32 v[8:9], v[14:15], v[116:117], v[6:7] op_sel:[0,0,1] op_sel_hi:[1,1,0] neg_lo:[0,0,1] neg_hi:[0,0,1]
	v_pk_fma_f32 v[6:7], v[14:15], v[116:117], v[6:7] op_sel:[0,0,1] op_sel_hi:[1,0,0]
	v_mov_b32_e32 v6, v115
	v_mov_b32_e32 v9, v7
	s_waitcnt lgkmcnt(0)
	v_pk_mul_f32 v[6:7], v[94:95], v[6:7] op_sel_hi:[1,0]
	v_pk_add_f32 v[4:5], v[4:5], v[8:9]
	v_pk_fma_f32 v[8:9], v[94:95], v[114:115], v[6:7] op_sel:[0,0,1] op_sel_hi:[1,1,0] neg_lo:[0,0,1] neg_hi:[0,0,1]
	v_pk_fma_f32 v[6:7], v[94:95], v[114:115], v[6:7] op_sel:[0,0,1] op_sel_hi:[1,0,0]
	v_mov_b32_e32 v9, v7
	v_pk_add_f32 v[4:5], v[4:5], v[8:9]
	v_pk_add_f32 v[4:5], v[16:17], v[4:5] neg_lo:[0,1] neg_hi:[0,1]
	buffer_store_dword v5, off, s[0:3], 0 offset:148
	buffer_store_dword v4, off, s[0:3], 0 offset:144
	s_and_saveexec_b64 s[4:5], vcc
	s_cbranch_execz .LBB37_207
; %bb.206:
	buffer_load_dword v4, off, s[0:3], 0 offset:136
	buffer_load_dword v5, off, s[0:3], 0 offset:140
	s_waitcnt vmcnt(0)
	ds_write_b64 v1, v[4:5]
	buffer_store_dword v2, off, s[0:3], 0 offset:136
	buffer_store_dword v2, off, s[0:3], 0 offset:140
.LBB37_207:
	s_or_b64 exec, exec, s[4:5]
	s_waitcnt lgkmcnt(0)
	; wave barrier
	s_waitcnt lgkmcnt(0)
	buffer_load_dword v3, off, s[0:3], 0 offset:148
	buffer_load_dword v122, off, s[0:3], 0 offset:156
	;; [unrolled: 1-line block ×26, first 2 shown]
	ds_read_b128 v[4:7], v2 offset:448
	ds_read_b128 v[8:11], v2 offset:464
	;; [unrolled: 1-line block ×6, first 2 shown]
	buffer_load_dword v107, off, s[0:3], 0 offset:260
	buffer_load_dword v106, off, s[0:3], 0 offset:256
	buffer_load_dword v109, off, s[0:3], 0 offset:252
	buffer_load_dword v108, off, s[0:3], 0 offset:248
	buffer_load_dword v111, off, s[0:3], 0 offset:244
	buffer_load_dword v110, off, s[0:3], 0 offset:240
	buffer_load_dword v113, off, s[0:3], 0 offset:292
	buffer_load_dword v112, off, s[0:3], 0 offset:288
	buffer_load_dword v115, off, s[0:3], 0 offset:284
	buffer_load_dword v114, off, s[0:3], 0 offset:280
	buffer_load_dword v117, off, s[0:3], 0 offset:276
	buffer_load_dword v116, off, s[0:3], 0 offset:272
	buffer_load_dword v119, off, s[0:3], 0 offset:268
	buffer_load_dword v118, off, s[0:3], 0 offset:264
	buffer_load_dword v121, off, s[0:3], 0 offset:300
	buffer_load_dword v120, off, s[0:3], 0 offset:296
	v_cmp_lt_u32_e32 vcc, 16, v0
	s_waitcnt vmcnt(41) lgkmcnt(5)
	v_mul_f32_e32 v147, v4, v3
	s_waitcnt vmcnt(40)
	v_mul_f32_e32 v148, v6, v122
	v_mul_f32_e32 v3, v5, v3
	;; [unrolled: 1-line block ×3, first 2 shown]
	s_waitcnt vmcnt(39) lgkmcnt(4)
	v_mul_f32_e32 v149, v8, v124
	s_waitcnt vmcnt(38)
	v_mul_f32_e32 v150, v10, v126
	s_waitcnt vmcnt(37) lgkmcnt(3)
	v_mul_f32_e32 v151, v12, v128
	s_waitcnt vmcnt(36)
	v_mul_f32_e32 v152, v14, v129
	;; [unrolled: 4-line block ×4, first 2 shown]
	s_waitcnt vmcnt(29)
	v_fmac_f32_e32 v147, v5, v127
	s_waitcnt vmcnt(28)
	v_fmac_f32_e32 v148, v7, v136
	v_fma_f32 v3, v4, v127, -v3
	v_fma_f32 v4, v6, v136, -v122
	v_add_f32_e32 v6, 0, v147
	s_waitcnt vmcnt(27)
	v_fmac_f32_e32 v149, v9, v137
	v_add_f32_e32 v3, 0, v3
	v_add_f32_e32 v6, v6, v148
	s_waitcnt vmcnt(26)
	v_fmac_f32_e32 v150, v11, v138
	v_add_f32_e32 v3, v3, v4
	;; [unrolled: 4-line block ×3, first 2 shown]
	s_waitcnt vmcnt(24)
	v_fmac_f32_e32 v152, v15, v140
	v_add_f32_e32 v4, v4, v151
	s_waitcnt vmcnt(23)
	v_fmac_f32_e32 v153, v95, v141
	v_add_f32_e32 v4, v4, v152
	;; [unrolled: 3-line block ×4, first 2 shown]
	v_mul_f32_e32 v124, v9, v124
	s_waitcnt vmcnt(20)
	v_fmac_f32_e32 v156, v101, v144
	v_add_f32_e32 v4, v4, v155
	v_fma_f32 v5, v8, v137, -v124
	v_add_f32_e32 v127, v4, v156
	v_mul_f32_e32 v4, v11, v126
	v_add_f32_e32 v3, v3, v5
	v_fma_f32 v4, v10, v138, -v4
	v_add_f32_e32 v3, v3, v4
	v_mul_f32_e32 v4, v13, v128
	v_fma_f32 v4, v12, v139, -v4
	v_add_f32_e32 v3, v3, v4
	v_mul_f32_e32 v4, v15, v129
	;; [unrolled: 3-line block ×6, first 2 shown]
	v_fma_f32 v4, v100, v144, -v4
	v_add_f32_e32 v126, v3, v4
	ds_read_b128 v[4:7], v2 offset:544
	ds_read_b128 v[8:11], v2 offset:560
	ds_read_b128 v[12:15], v2 offset:576
	ds_read_b128 v[94:97], v2 offset:592
	s_waitcnt vmcnt(11)
	v_mov_b32_e32 v98, v111
	s_waitcnt lgkmcnt(3)
	v_pk_mul_f32 v[98:99], v[4:5], v[98:99] op_sel_hi:[1,0]
	s_waitcnt vmcnt(10)
	v_pk_fma_f32 v[100:101], v[4:5], v[110:111], v[98:99] op_sel:[0,0,1] op_sel_hi:[1,1,0] neg_lo:[0,0,1] neg_hi:[0,0,1]
	v_pk_fma_f32 v[4:5], v[4:5], v[110:111], v[98:99] op_sel:[0,0,1] op_sel_hi:[1,0,0]
	v_mov_b32_e32 v4, v109
	v_mov_b32_e32 v101, v5
	v_pk_mul_f32 v[4:5], v[6:7], v[4:5] op_sel_hi:[1,0]
	v_mul_f32_e32 v123, v102, v134
	v_mul_f32_e32 v3, v103, v134
	v_pk_fma_f32 v[98:99], v[6:7], v[108:109], v[4:5] op_sel:[0,0,1] op_sel_hi:[1,1,0] neg_lo:[0,0,1] neg_hi:[0,0,1]
	v_pk_fma_f32 v[4:5], v[6:7], v[108:109], v[4:5] op_sel:[0,0,1] op_sel_hi:[1,0,0]
	v_mul_f32_e32 v125, v104, v135
	v_fmac_f32_e32 v123, v103, v145
	v_fma_f32 v122, v102, v145, -v3
	v_mul_f32_e32 v3, v105, v135
	v_mov_b32_e32 v4, v107
	v_fmac_f32_e32 v125, v105, v146
	v_fma_f32 v124, v104, v146, -v3
	v_pk_add_f32 v[2:3], v[126:127], v[122:123]
	v_mov_b32_e32 v99, v5
	s_waitcnt lgkmcnt(2)
	v_pk_mul_f32 v[4:5], v[8:9], v[4:5] op_sel_hi:[1,0]
	v_pk_add_f32 v[2:3], v[2:3], v[124:125]
	v_pk_fma_f32 v[6:7], v[8:9], v[106:107], v[4:5] op_sel:[0,0,1] op_sel_hi:[1,1,0] neg_lo:[0,0,1] neg_hi:[0,0,1]
	v_pk_fma_f32 v[4:5], v[8:9], v[106:107], v[4:5] op_sel:[0,0,1] op_sel_hi:[1,0,0]
	v_pk_add_f32 v[2:3], v[2:3], v[100:101]
	s_waitcnt vmcnt(3)
	v_mov_b32_e32 v4, v119
	v_pk_add_f32 v[2:3], v[2:3], v[98:99]
	v_mov_b32_e32 v7, v5
	v_pk_mul_f32 v[4:5], v[10:11], v[4:5] op_sel_hi:[1,0]
	v_pk_add_f32 v[2:3], v[2:3], v[6:7]
	s_waitcnt vmcnt(2)
	v_pk_fma_f32 v[6:7], v[10:11], v[118:119], v[4:5] op_sel:[0,0,1] op_sel_hi:[1,1,0] neg_lo:[0,0,1] neg_hi:[0,0,1]
	v_pk_fma_f32 v[4:5], v[10:11], v[118:119], v[4:5] op_sel:[0,0,1] op_sel_hi:[1,0,0]
	v_mov_b32_e32 v4, v117
	v_mov_b32_e32 v7, v5
	s_waitcnt lgkmcnt(1)
	v_pk_mul_f32 v[4:5], v[12:13], v[4:5] op_sel_hi:[1,0]
	v_pk_add_f32 v[2:3], v[2:3], v[6:7]
	v_pk_fma_f32 v[6:7], v[12:13], v[116:117], v[4:5] op_sel:[0,0,1] op_sel_hi:[1,1,0] neg_lo:[0,0,1] neg_hi:[0,0,1]
	v_pk_fma_f32 v[4:5], v[12:13], v[116:117], v[4:5] op_sel:[0,0,1] op_sel_hi:[1,0,0]
	v_mov_b32_e32 v4, v115
	v_mov_b32_e32 v7, v5
	v_pk_mul_f32 v[4:5], v[14:15], v[4:5] op_sel_hi:[1,0]
	v_pk_add_f32 v[2:3], v[2:3], v[6:7]
	v_pk_fma_f32 v[6:7], v[14:15], v[114:115], v[4:5] op_sel:[0,0,1] op_sel_hi:[1,1,0] neg_lo:[0,0,1] neg_hi:[0,0,1]
	v_pk_fma_f32 v[4:5], v[14:15], v[114:115], v[4:5] op_sel:[0,0,1] op_sel_hi:[1,0,0]
	v_mov_b32_e32 v4, v113
	v_mov_b32_e32 v7, v5
	s_waitcnt lgkmcnt(0)
	v_pk_mul_f32 v[4:5], v[94:95], v[4:5] op_sel_hi:[1,0]
	v_pk_add_f32 v[2:3], v[2:3], v[6:7]
	v_pk_fma_f32 v[6:7], v[94:95], v[112:113], v[4:5] op_sel:[0,0,1] op_sel_hi:[1,1,0] neg_lo:[0,0,1] neg_hi:[0,0,1]
	v_pk_fma_f32 v[4:5], v[94:95], v[112:113], v[4:5] op_sel:[0,0,1] op_sel_hi:[1,0,0]
	s_waitcnt vmcnt(1)
	v_mov_b32_e32 v4, v121
	v_mov_b32_e32 v7, v5
	v_pk_mul_f32 v[4:5], v[96:97], v[4:5] op_sel_hi:[1,0]
	v_pk_add_f32 v[2:3], v[2:3], v[6:7]
	s_waitcnt vmcnt(0)
	v_pk_fma_f32 v[6:7], v[96:97], v[120:121], v[4:5] op_sel:[0,0,1] op_sel_hi:[1,1,0] neg_lo:[0,0,1] neg_hi:[0,0,1]
	v_pk_fma_f32 v[4:5], v[96:97], v[120:121], v[4:5] op_sel:[0,0,1] op_sel_hi:[1,0,0]
	v_mov_b32_e32 v7, v5
	v_pk_add_f32 v[2:3], v[2:3], v[6:7]
	v_pk_add_f32 v[2:3], v[16:17], v[2:3] neg_lo:[0,1] neg_hi:[0,1]
	buffer_store_dword v3, off, s[0:3], 0 offset:140
	buffer_store_dword v2, off, s[0:3], 0 offset:136
	s_and_saveexec_b64 s[4:5], vcc
	s_cbranch_execz .LBB37_209
; %bb.208:
	buffer_load_dword v2, off, s[0:3], 0 offset:128
	buffer_load_dword v3, off, s[0:3], 0 offset:132
	v_mov_b32_e32 v4, 0
	buffer_store_dword v4, off, s[0:3], 0 offset:128
	buffer_store_dword v4, off, s[0:3], 0 offset:132
	s_waitcnt vmcnt(2)
	ds_write_b64 v1, v[2:3]
.LBB37_209:
	s_or_b64 exec, exec, s[4:5]
	v_mov_b32_e32 v96, 0
	s_waitcnt lgkmcnt(0)
	; wave barrier
	s_waitcnt lgkmcnt(0)
	ds_read2_b64 v[12:15], v96 offset0:55 offset1:56
	buffer_load_dword v6, off, s[0:3], 0 offset:128
	buffer_load_dword v7, off, s[0:3], 0 offset:132
	;; [unrolled: 1-line block ×16, first 2 shown]
	ds_read2_b64 v[98:101], v96 offset0:57 offset1:58
	ds_read2_b64 v[102:105], v96 offset0:59 offset1:60
	;; [unrolled: 1-line block ×3, first 2 shown]
	buffer_load_dword v142, off, s[0:3], 0 offset:192
	buffer_load_dword v143, off, s[0:3], 0 offset:196
	ds_read2_b64 v[110:113], v96 offset0:63 offset1:64
	buffer_load_dword v144, off, s[0:3], 0 offset:200
	buffer_load_dword v145, off, s[0:3], 0 offset:204
	buffer_load_dword v146, off, s[0:3], 0 offset:208
	buffer_load_dword v147, off, s[0:3], 0 offset:212
	ds_read2_b64 v[114:117], v96 offset0:65 offset1:66
	buffer_load_dword v148, off, s[0:3], 0 offset:216
	buffer_load_dword v149, off, s[0:3], 0 offset:220
	;; [unrolled: 1-line block ×4, first 2 shown]
	v_cmp_lt_u32_e32 vcc, 15, v0
	s_waitcnt vmcnt(22) lgkmcnt(5)
	v_mul_f32_e32 v2, v12, v10
	v_fmac_f32_e32 v2, v13, v8
	s_waitcnt vmcnt(20)
	v_mul_f32_e32 v3, v14, v97
	v_add_f32_e32 v2, 0, v2
	v_fmac_f32_e32 v3, v15, v16
	v_add_f32_e32 v2, v2, v3
	s_waitcnt vmcnt(18) lgkmcnt(4)
	v_mul_f32_e32 v3, v98, v133
	v_fmac_f32_e32 v3, v99, v132
	v_add_f32_e32 v2, v2, v3
	s_waitcnt vmcnt(16)
	v_mul_f32_e32 v3, v100, v135
	v_fmac_f32_e32 v3, v101, v134
	v_add_f32_e32 v2, v2, v3
	s_waitcnt vmcnt(14) lgkmcnt(3)
	v_mul_f32_e32 v3, v102, v137
	v_fmac_f32_e32 v3, v103, v136
	v_add_f32_e32 v2, v2, v3
	s_waitcnt vmcnt(12)
	v_mul_f32_e32 v3, v104, v139
	;; [unrolled: 8-line block ×4, first 2 shown]
	v_fmac_f32_e32 v3, v113, v146
	v_add_f32_e32 v2, v2, v3
	s_waitcnt vmcnt(2) lgkmcnt(0)
	v_mul_f32_e32 v3, v114, v149
	v_fmac_f32_e32 v3, v115, v148
	v_add_f32_e32 v9, v2, v3
	ds_read2_b64 v[2:5], v96 offset0:67 offset1:68
	buffer_load_dword v152, off, s[0:3], 0 offset:232
	buffer_load_dword v153, off, s[0:3], 0 offset:236
	;; [unrolled: 1-line block ×18, first 2 shown]
	v_mul_f32_e32 v10, v13, v10
	v_fma_f32 v8, v12, v8, -v10
	v_mul_f32_e32 v10, v15, v97
	v_add_f32_e32 v8, 0, v8
	v_fma_f32 v10, v14, v16, -v10
	v_add_f32_e32 v8, v8, v10
	v_mul_f32_e32 v10, v99, v133
	v_fma_f32 v10, v98, v132, -v10
	v_add_f32_e32 v8, v8, v10
	v_mul_f32_e32 v10, v101, v135
	;; [unrolled: 3-line block ×9, first 2 shown]
	v_fma_f32 v10, v114, v148, -v10
	s_waitcnt vmcnt(18)
	v_mul_f32_e32 v11, v116, v151
	v_add_f32_e32 v8, v8, v10
	v_mul_f32_e32 v10, v117, v151
	v_fmac_f32_e32 v11, v117, v150
	v_fma_f32 v10, v116, v150, -v10
	v_pk_add_f32 v[8:9], v[8:9], v[10:11]
	s_waitcnt vmcnt(15)
	v_mov_b32_e32 v10, v95
	s_waitcnt lgkmcnt(0)
	v_pk_mul_f32 v[10:11], v[4:5], v[10:11] op_sel_hi:[1,0]
	v_mul_f32_e32 v17, v2, v153
	v_fmac_f32_e32 v17, v3, v152
	v_mul_f32_e32 v3, v3, v153
	v_fma_f32 v16, v2, v152, -v3
	v_pk_add_f32 v[8:9], v[8:9], v[16:17]
	s_waitcnt vmcnt(14)
	v_pk_fma_f32 v[16:17], v[4:5], v[94:95], v[10:11] op_sel:[0,0,1] op_sel_hi:[1,1,0] neg_lo:[0,0,1] neg_hi:[0,0,1]
	v_pk_fma_f32 v[4:5], v[4:5], v[94:95], v[10:11] op_sel:[0,0,1] op_sel_hi:[1,0,0]
	ds_read2_b64 v[12:15], v96 offset0:69 offset1:70
	ds_read2_b64 v[98:101], v96 offset0:71 offset1:72
	;; [unrolled: 1-line block ×3, first 2 shown]
	ds_read_b64 v[2:3], v96 offset:600
	v_mov_b32_e32 v17, v5
	v_pk_add_f32 v[4:5], v[8:9], v[16:17]
	s_waitcnt vmcnt(13)
	v_mov_b32_e32 v8, v119
	s_waitcnt lgkmcnt(3)
	v_pk_mul_f32 v[8:9], v[12:13], v[8:9] op_sel_hi:[1,0]
	s_waitcnt vmcnt(12)
	v_pk_fma_f32 v[10:11], v[12:13], v[118:119], v[8:9] op_sel:[0,0,1] op_sel_hi:[1,1,0] neg_lo:[0,0,1] neg_hi:[0,0,1]
	v_pk_fma_f32 v[8:9], v[12:13], v[118:119], v[8:9] op_sel:[0,0,1] op_sel_hi:[1,0,0]
	s_waitcnt vmcnt(11)
	v_mov_b32_e32 v8, v121
	v_mov_b32_e32 v11, v9
	v_pk_mul_f32 v[8:9], v[14:15], v[8:9] op_sel_hi:[1,0]
	v_pk_add_f32 v[4:5], v[4:5], v[10:11]
	s_waitcnt vmcnt(10)
	v_pk_fma_f32 v[10:11], v[14:15], v[120:121], v[8:9] op_sel:[0,0,1] op_sel_hi:[1,1,0] neg_lo:[0,0,1] neg_hi:[0,0,1]
	v_pk_fma_f32 v[8:9], v[14:15], v[120:121], v[8:9] op_sel:[0,0,1] op_sel_hi:[1,0,0]
	s_waitcnt vmcnt(9)
	v_mov_b32_e32 v8, v123
	v_mov_b32_e32 v11, v9
	s_waitcnt lgkmcnt(2)
	v_pk_mul_f32 v[8:9], v[98:99], v[8:9] op_sel_hi:[1,0]
	v_pk_add_f32 v[4:5], v[4:5], v[10:11]
	s_waitcnt vmcnt(8)
	v_pk_fma_f32 v[10:11], v[98:99], v[122:123], v[8:9] op_sel:[0,0,1] op_sel_hi:[1,1,0] neg_lo:[0,0,1] neg_hi:[0,0,1]
	v_pk_fma_f32 v[8:9], v[98:99], v[122:123], v[8:9] op_sel:[0,0,1] op_sel_hi:[1,0,0]
	s_waitcnt vmcnt(7)
	v_mov_b32_e32 v8, v125
	v_mov_b32_e32 v11, v9
	v_pk_mul_f32 v[8:9], v[100:101], v[8:9] op_sel_hi:[1,0]
	v_pk_add_f32 v[4:5], v[4:5], v[10:11]
	s_waitcnt vmcnt(6)
	v_pk_fma_f32 v[10:11], v[100:101], v[124:125], v[8:9] op_sel:[0,0,1] op_sel_hi:[1,1,0] neg_lo:[0,0,1] neg_hi:[0,0,1]
	v_pk_fma_f32 v[8:9], v[100:101], v[124:125], v[8:9] op_sel:[0,0,1] op_sel_hi:[1,0,0]
	s_waitcnt vmcnt(5)
	v_mov_b32_e32 v8, v127
	v_mov_b32_e32 v11, v9
	s_waitcnt lgkmcnt(1)
	v_pk_mul_f32 v[8:9], v[102:103], v[8:9] op_sel_hi:[1,0]
	v_pk_add_f32 v[4:5], v[4:5], v[10:11]
	;; [unrolled: 17-line block ×3, first 2 shown]
	s_waitcnt vmcnt(0)
	v_pk_fma_f32 v[10:11], v[2:3], v[130:131], v[8:9] op_sel:[0,0,1] op_sel_hi:[1,1,0] neg_lo:[0,0,1] neg_hi:[0,0,1]
	v_pk_fma_f32 v[2:3], v[2:3], v[130:131], v[8:9] op_sel:[0,0,1] op_sel_hi:[1,0,0]
	v_mov_b32_e32 v11, v3
	v_pk_add_f32 v[2:3], v[4:5], v[10:11]
	v_pk_add_f32 v[2:3], v[6:7], v[2:3] neg_lo:[0,1] neg_hi:[0,1]
	buffer_store_dword v3, off, s[0:3], 0 offset:132
	buffer_store_dword v2, off, s[0:3], 0 offset:128
	s_and_saveexec_b64 s[4:5], vcc
	s_cbranch_execz .LBB37_211
; %bb.210:
	buffer_load_dword v2, off, s[0:3], 0 offset:120
	buffer_load_dword v3, off, s[0:3], 0 offset:124
	s_waitcnt vmcnt(0)
	ds_write_b64 v1, v[2:3]
	buffer_store_dword v96, off, s[0:3], 0 offset:120
	buffer_store_dword v96, off, s[0:3], 0 offset:124
.LBB37_211:
	s_or_b64 exec, exec, s[4:5]
	s_waitcnt lgkmcnt(0)
	; wave barrier
	s_waitcnt lgkmcnt(0)
	ds_read_b128 v[14:17], v96 offset:432
	ds_read_b128 v[10:13], v96 offset:448
	;; [unrolled: 1-line block ×4, first 2 shown]
	buffer_load_dword v94, off, s[0:3], 0 offset:120
	buffer_load_dword v95, off, s[0:3], 0 offset:124
	buffer_load_dword v97, off, s[0:3], 0 offset:128
	buffer_load_dword v114, off, s[0:3], 0 offset:132
	buffer_load_dword v116, off, s[0:3], 0 offset:136
	buffer_load_dword v118, off, s[0:3], 0 offset:140
	buffer_load_dword v136, off, s[0:3], 0 offset:144
	buffer_load_dword v137, off, s[0:3], 0 offset:148
	buffer_load_dword v138, off, s[0:3], 0 offset:152
	buffer_load_dword v139, off, s[0:3], 0 offset:156
	buffer_load_dword v140, off, s[0:3], 0 offset:160
	buffer_load_dword v141, off, s[0:3], 0 offset:164
	buffer_load_dword v142, off, s[0:3], 0 offset:168
	buffer_load_dword v143, off, s[0:3], 0 offset:172
	buffer_load_dword v144, off, s[0:3], 0 offset:176
	buffer_load_dword v145, off, s[0:3], 0 offset:180
	buffer_load_dword v146, off, s[0:3], 0 offset:184
	buffer_load_dword v147, off, s[0:3], 0 offset:188
	v_cmp_lt_u32_e32 vcc, 14, v0
	s_waitcnt vmcnt(14) lgkmcnt(3)
	v_mul_f32_e32 v98, v14, v114
	v_fmac_f32_e32 v98, v15, v97
	s_waitcnt vmcnt(12)
	v_mul_f32_e32 v99, v16, v118
	v_add_f32_e32 v98, 0, v98
	v_fmac_f32_e32 v99, v17, v116
	v_add_f32_e32 v98, v98, v99
	s_waitcnt vmcnt(10) lgkmcnt(2)
	v_mul_f32_e32 v99, v10, v137
	v_fmac_f32_e32 v99, v11, v136
	v_add_f32_e32 v98, v98, v99
	s_waitcnt vmcnt(8)
	v_mul_f32_e32 v99, v12, v139
	v_fmac_f32_e32 v99, v13, v138
	v_add_f32_e32 v98, v98, v99
	s_waitcnt vmcnt(6) lgkmcnt(1)
	v_mul_f32_e32 v99, v6, v141
	v_fmac_f32_e32 v99, v7, v140
	v_add_f32_e32 v98, v98, v99
	s_waitcnt vmcnt(4)
	v_mul_f32_e32 v99, v8, v143
	;; [unrolled: 8-line block ×3, first 2 shown]
	v_fmac_f32_e32 v99, v5, v146
	v_add_f32_e32 v102, v98, v99
	ds_read_b128 v[98:101], v96 offset:496
	buffer_load_dword v148, off, s[0:3], 0 offset:192
	buffer_load_dword v149, off, s[0:3], 0 offset:196
	;; [unrolled: 1-line block ×4, first 2 shown]
	v_mul_f32_e32 v15, v15, v114
	v_fma_f32 v14, v14, v97, -v15
	v_mul_f32_e32 v15, v17, v118
	v_add_f32_e32 v14, 0, v14
	v_fma_f32 v15, v16, v116, -v15
	v_mul_f32_e32 v11, v11, v137
	v_add_f32_e32 v14, v14, v15
	;; [unrolled: 3-line block ×7, first 2 shown]
	v_fma_f32 v3, v4, v146, -v3
	v_add_f32_e32 v2, v2, v3
	s_waitcnt vmcnt(2) lgkmcnt(0)
	v_mul_f32_e32 v103, v98, v149
	v_fmac_f32_e32 v103, v99, v148
	v_add_f32_e32 v102, v102, v103
	s_waitcnt vmcnt(0)
	v_mul_f32_e32 v103, v100, v151
	v_fmac_f32_e32 v103, v101, v150
	v_add_f32_e32 v106, v102, v103
	ds_read_b128 v[102:105], v96 offset:512
	buffer_load_dword v152, off, s[0:3], 0 offset:208
	buffer_load_dword v153, off, s[0:3], 0 offset:212
	buffer_load_dword v154, off, s[0:3], 0 offset:216
	buffer_load_dword v155, off, s[0:3], 0 offset:220
	v_mul_f32_e32 v3, v99, v149
	v_fma_f32 v3, v98, v148, -v3
	v_add_f32_e32 v2, v2, v3
	v_mul_f32_e32 v3, v101, v151
	v_fma_f32 v3, v100, v150, -v3
	v_add_f32_e32 v2, v2, v3
	s_waitcnt vmcnt(2) lgkmcnt(0)
	v_mul_f32_e32 v107, v102, v153
	v_fmac_f32_e32 v107, v103, v152
	v_add_f32_e32 v106, v106, v107
	s_waitcnt vmcnt(0)
	v_mul_f32_e32 v107, v104, v155
	v_fmac_f32_e32 v107, v105, v154
	v_add_f32_e32 v115, v106, v107
	ds_read_b128 v[106:109], v96 offset:528
	buffer_load_dword v156, off, s[0:3], 0 offset:224
	buffer_load_dword v157, off, s[0:3], 0 offset:228
	buffer_load_dword v158, off, s[0:3], 0 offset:232
	buffer_load_dword v159, off, s[0:3], 0 offset:236
	buffer_load_dword v121, off, s[0:3], 0 offset:244
	buffer_load_dword v120, off, s[0:3], 0 offset:240
	ds_read_b128 v[110:113], v96 offset:544
	buffer_load_dword v123, off, s[0:3], 0 offset:252
	buffer_load_dword v122, off, s[0:3], 0 offset:248
	;; [unrolled: 1-line block ×14, first 2 shown]
	v_mul_f32_e32 v3, v103, v153
	v_fma_f32 v3, v102, v152, -v3
	v_add_f32_e32 v2, v2, v3
	v_mul_f32_e32 v3, v105, v155
	v_fma_f32 v3, v104, v154, -v3
	v_add_f32_e32 v114, v2, v3
	s_waitcnt vmcnt(18) lgkmcnt(1)
	v_mul_f32_e32 v2, v107, v157
	s_waitcnt vmcnt(15)
	v_mov_b32_e32 v16, v121
	v_mul_f32_e32 v117, v106, v157
	v_fma_f32 v116, v106, v156, -v2
	v_mul_f32_e32 v2, v109, v159
	s_waitcnt lgkmcnt(0)
	v_pk_mul_f32 v[16:17], v[110:111], v[16:17] op_sel_hi:[1,0]
	v_fmac_f32_e32 v117, v107, v156
	v_mul_f32_e32 v119, v108, v159
	v_fma_f32 v118, v108, v158, -v2
	ds_read_b128 v[2:5], v96 offset:560
	ds_read_b128 v[6:9], v96 offset:576
	;; [unrolled: 1-line block ×3, first 2 shown]
	s_waitcnt vmcnt(14)
	v_pk_fma_f32 v[96:97], v[110:111], v[120:121], v[16:17] op_sel:[0,0,1] op_sel_hi:[1,1,0] neg_lo:[0,0,1] neg_hi:[0,0,1]
	v_pk_fma_f32 v[16:17], v[110:111], v[120:121], v[16:17] op_sel:[0,0,1] op_sel_hi:[1,0,0]
	v_fmac_f32_e32 v119, v109, v158
	v_pk_add_f32 v[14:15], v[114:115], v[116:117]
	s_waitcnt vmcnt(13)
	v_mov_b32_e32 v16, v123
	v_pk_add_f32 v[14:15], v[14:15], v[118:119]
	v_mov_b32_e32 v97, v17
	v_pk_mul_f32 v[16:17], v[112:113], v[16:17] op_sel_hi:[1,0]
	v_pk_add_f32 v[14:15], v[14:15], v[96:97]
	s_waitcnt vmcnt(12)
	v_pk_fma_f32 v[96:97], v[112:113], v[122:123], v[16:17] op_sel:[0,0,1] op_sel_hi:[1,1,0] neg_lo:[0,0,1] neg_hi:[0,0,1]
	v_pk_fma_f32 v[16:17], v[112:113], v[122:123], v[16:17] op_sel:[0,0,1] op_sel_hi:[1,0,0]
	s_waitcnt vmcnt(11)
	v_mov_b32_e32 v16, v125
	v_mov_b32_e32 v97, v17
	s_waitcnt lgkmcnt(2)
	v_pk_mul_f32 v[16:17], v[2:3], v[16:17] op_sel_hi:[1,0]
	v_pk_add_f32 v[14:15], v[14:15], v[96:97]
	s_waitcnt vmcnt(10)
	v_pk_fma_f32 v[96:97], v[2:3], v[124:125], v[16:17] op_sel:[0,0,1] op_sel_hi:[1,1,0] neg_lo:[0,0,1] neg_hi:[0,0,1]
	v_pk_fma_f32 v[2:3], v[2:3], v[124:125], v[16:17] op_sel:[0,0,1] op_sel_hi:[1,0,0]
	v_mov_b32_e32 v97, v3
	v_pk_add_f32 v[2:3], v[14:15], v[96:97]
	s_waitcnt vmcnt(9)
	v_mov_b32_e32 v14, v127
	v_pk_mul_f32 v[14:15], v[4:5], v[14:15] op_sel_hi:[1,0]
	s_waitcnt vmcnt(8)
	v_pk_fma_f32 v[16:17], v[4:5], v[126:127], v[14:15] op_sel:[0,0,1] op_sel_hi:[1,1,0] neg_lo:[0,0,1] neg_hi:[0,0,1]
	v_pk_fma_f32 v[4:5], v[4:5], v[126:127], v[14:15] op_sel:[0,0,1] op_sel_hi:[1,0,0]
	s_waitcnt vmcnt(7)
	v_mov_b32_e32 v4, v129
	v_mov_b32_e32 v17, v5
	s_waitcnt lgkmcnt(1)
	v_pk_mul_f32 v[4:5], v[6:7], v[4:5] op_sel_hi:[1,0]
	s_waitcnt vmcnt(6)
	v_pk_fma_f32 v[14:15], v[6:7], v[128:129], v[4:5] op_sel:[0,0,1] op_sel_hi:[1,1,0] neg_lo:[0,0,1] neg_hi:[0,0,1]
	v_pk_fma_f32 v[4:5], v[6:7], v[128:129], v[4:5] op_sel:[0,0,1] op_sel_hi:[1,0,0]
	s_waitcnt vmcnt(5)
	v_mov_b32_e32 v4, v131
	v_mov_b32_e32 v15, v5
	v_pk_mul_f32 v[4:5], v[8:9], v[4:5] op_sel_hi:[1,0]
	s_waitcnt vmcnt(4)
	v_pk_fma_f32 v[6:7], v[8:9], v[130:131], v[4:5] op_sel:[0,0,1] op_sel_hi:[1,1,0] neg_lo:[0,0,1] neg_hi:[0,0,1]
	v_pk_fma_f32 v[4:5], v[8:9], v[130:131], v[4:5] op_sel:[0,0,1] op_sel_hi:[1,0,0]
	v_pk_add_f32 v[2:3], v[2:3], v[16:17]
	s_waitcnt vmcnt(3)
	v_mov_b32_e32 v4, v133
	v_pk_add_f32 v[2:3], v[2:3], v[14:15]
	v_mov_b32_e32 v7, v5
	s_waitcnt lgkmcnt(0)
	v_pk_mul_f32 v[4:5], v[10:11], v[4:5] op_sel_hi:[1,0]
	v_pk_add_f32 v[2:3], v[2:3], v[6:7]
	s_waitcnt vmcnt(2)
	v_pk_fma_f32 v[6:7], v[10:11], v[132:133], v[4:5] op_sel:[0,0,1] op_sel_hi:[1,1,0] neg_lo:[0,0,1] neg_hi:[0,0,1]
	v_pk_fma_f32 v[4:5], v[10:11], v[132:133], v[4:5] op_sel:[0,0,1] op_sel_hi:[1,0,0]
	s_waitcnt vmcnt(1)
	v_mov_b32_e32 v4, v135
	v_mov_b32_e32 v7, v5
	v_pk_mul_f32 v[4:5], v[12:13], v[4:5] op_sel_hi:[1,0]
	v_pk_add_f32 v[2:3], v[2:3], v[6:7]
	s_waitcnt vmcnt(0)
	v_pk_fma_f32 v[6:7], v[12:13], v[134:135], v[4:5] op_sel:[0,0,1] op_sel_hi:[1,1,0] neg_lo:[0,0,1] neg_hi:[0,0,1]
	v_pk_fma_f32 v[4:5], v[12:13], v[134:135], v[4:5] op_sel:[0,0,1] op_sel_hi:[1,0,0]
	v_mov_b32_e32 v7, v5
	v_pk_add_f32 v[2:3], v[2:3], v[6:7]
	v_pk_add_f32 v[2:3], v[94:95], v[2:3] neg_lo:[0,1] neg_hi:[0,1]
	buffer_store_dword v3, off, s[0:3], 0 offset:124
	buffer_store_dword v2, off, s[0:3], 0 offset:120
	s_and_saveexec_b64 s[4:5], vcc
	s_cbranch_execz .LBB37_213
; %bb.212:
	buffer_load_dword v2, off, s[0:3], 0 offset:112
	buffer_load_dword v3, off, s[0:3], 0 offset:116
	v_mov_b32_e32 v4, 0
	buffer_store_dword v4, off, s[0:3], 0 offset:112
	buffer_store_dword v4, off, s[0:3], 0 offset:116
	s_waitcnt vmcnt(2)
	ds_write_b64 v1, v[2:3]
.LBB37_213:
	s_or_b64 exec, exec, s[4:5]
	v_mov_b32_e32 v96, 0
	s_waitcnt lgkmcnt(0)
	; wave barrier
	s_waitcnt lgkmcnt(0)
	ds_read2_b64 v[2:5], v96 offset0:53 offset1:54
	buffer_load_dword v94, off, s[0:3], 0 offset:112
	buffer_load_dword v95, off, s[0:3], 0 offset:116
	;; [unrolled: 1-line block ×16, first 2 shown]
	v_cmp_lt_u32_e32 vcc, 13, v0
	s_waitcnt vmcnt(12) lgkmcnt(0)
	v_mul_f32_e32 v6, v2, v114
	v_fmac_f32_e32 v6, v3, v97
	s_waitcnt vmcnt(10)
	v_mul_f32_e32 v7, v4, v118
	v_add_f32_e32 v6, 0, v6
	v_fmac_f32_e32 v7, v5, v116
	v_add_f32_e32 v10, v6, v7
	ds_read2_b64 v[6:9], v96 offset0:55 offset1:56
	v_mul_f32_e32 v3, v3, v114
	v_fma_f32 v2, v2, v97, -v3
	v_mul_f32_e32 v3, v5, v118
	v_add_f32_e32 v2, 0, v2
	s_waitcnt vmcnt(8) lgkmcnt(0)
	v_mul_f32_e32 v11, v6, v137
	v_fmac_f32_e32 v11, v7, v136
	v_add_f32_e32 v10, v10, v11
	s_waitcnt vmcnt(6)
	v_mul_f32_e32 v11, v8, v139
	v_fmac_f32_e32 v11, v9, v138
	v_add_f32_e32 v14, v10, v11
	ds_read2_b64 v[10:13], v96 offset0:57 offset1:58
	v_fma_f32 v3, v4, v116, -v3
	v_add_f32_e32 v2, v2, v3
	v_mul_f32_e32 v3, v7, v137
	v_fma_f32 v3, v6, v136, -v3
	s_waitcnt vmcnt(4) lgkmcnt(0)
	v_mul_f32_e32 v15, v10, v141
	v_fmac_f32_e32 v15, v11, v140
	v_add_f32_e32 v14, v14, v15
	s_waitcnt vmcnt(2)
	v_mul_f32_e32 v15, v12, v143
	v_fmac_f32_e32 v15, v13, v142
	v_add_f32_e32 v98, v14, v15
	ds_read2_b64 v[14:17], v96 offset0:59 offset1:60
	buffer_load_dword v146, off, s[0:3], 0 offset:176
	buffer_load_dword v147, off, s[0:3], 0 offset:180
	v_add_f32_e32 v2, v2, v3
	v_mul_f32_e32 v3, v9, v139
	v_fma_f32 v3, v8, v138, -v3
	s_waitcnt vmcnt(2) lgkmcnt(0)
	v_mul_f32_e32 v99, v14, v145
	v_fmac_f32_e32 v99, v15, v144
	v_add_f32_e32 v98, v98, v99
	v_add_f32_e32 v2, v2, v3
	v_mul_f32_e32 v3, v11, v141
	v_fma_f32 v3, v10, v140, -v3
	v_add_f32_e32 v2, v2, v3
	v_mul_f32_e32 v3, v13, v143
	v_fma_f32 v3, v12, v142, -v3
	v_add_f32_e32 v2, v2, v3
	v_mul_f32_e32 v3, v15, v145
	v_fma_f32 v3, v14, v144, -v3
	v_add_f32_e32 v2, v2, v3
	s_waitcnt vmcnt(0)
	v_mul_f32_e32 v99, v16, v147
	v_fmac_f32_e32 v99, v17, v146
	v_add_f32_e32 v102, v98, v99
	ds_read2_b64 v[98:101], v96 offset0:61 offset1:62
	buffer_load_dword v148, off, s[0:3], 0 offset:184
	buffer_load_dword v149, off, s[0:3], 0 offset:188
	;; [unrolled: 1-line block ×4, first 2 shown]
	v_mul_f32_e32 v3, v17, v147
	v_fma_f32 v3, v16, v146, -v3
	v_add_f32_e32 v2, v2, v3
	s_waitcnt vmcnt(2) lgkmcnt(0)
	v_mul_f32_e32 v103, v98, v149
	v_fmac_f32_e32 v103, v99, v148
	v_add_f32_e32 v102, v102, v103
	s_waitcnt vmcnt(0)
	v_mul_f32_e32 v103, v100, v151
	v_fmac_f32_e32 v103, v101, v150
	v_add_f32_e32 v106, v102, v103
	ds_read2_b64 v[102:105], v96 offset0:63 offset1:64
	buffer_load_dword v152, off, s[0:3], 0 offset:200
	buffer_load_dword v153, off, s[0:3], 0 offset:204
	;; [unrolled: 1-line block ×4, first 2 shown]
	v_mul_f32_e32 v3, v99, v149
	v_fma_f32 v3, v98, v148, -v3
	v_add_f32_e32 v2, v2, v3
	v_mul_f32_e32 v3, v101, v151
	v_fma_f32 v3, v100, v150, -v3
	v_add_f32_e32 v2, v2, v3
	s_waitcnt vmcnt(2) lgkmcnt(0)
	v_mul_f32_e32 v107, v102, v153
	v_fmac_f32_e32 v107, v103, v152
	v_add_f32_e32 v106, v106, v107
	s_waitcnt vmcnt(0)
	v_mul_f32_e32 v107, v104, v155
	v_fmac_f32_e32 v107, v105, v154
	v_add_f32_e32 v110, v106, v107
	ds_read2_b64 v[106:109], v96 offset0:65 offset1:66
	buffer_load_dword v156, off, s[0:3], 0 offset:216
	buffer_load_dword v157, off, s[0:3], 0 offset:220
	;; [unrolled: 1-line block ×4, first 2 shown]
	v_mul_f32_e32 v3, v103, v153
	v_fma_f32 v3, v102, v152, -v3
	v_add_f32_e32 v2, v2, v3
	v_mul_f32_e32 v3, v105, v155
	v_fma_f32 v3, v104, v154, -v3
	v_add_f32_e32 v2, v2, v3
	s_waitcnt vmcnt(2) lgkmcnt(0)
	v_mul_f32_e32 v111, v106, v157
	v_fmac_f32_e32 v111, v107, v156
	v_add_f32_e32 v115, v110, v111
	ds_read2_b64 v[110:113], v96 offset0:67 offset1:68
	buffer_load_dword v160, off, s[0:3], 0 offset:232
	buffer_load_dword v161, off, s[0:3], 0 offset:236
	;; [unrolled: 1-line block ×18, first 2 shown]
	v_mul_f32_e32 v3, v107, v157
	v_fma_f32 v3, v106, v156, -v3
	v_add_f32_e32 v114, v2, v3
	s_waitcnt vmcnt(18)
	v_mul_f32_e32 v2, v109, v159
	v_mul_f32_e32 v117, v108, v159
	v_fma_f32 v116, v108, v158, -v2
	v_fmac_f32_e32 v117, v109, v158
	v_pk_add_f32 v[16:17], v[114:115], v[116:117]
	s_waitcnt vmcnt(15)
	v_mov_b32_e32 v98, v121
	s_waitcnt lgkmcnt(0)
	v_pk_mul_f32 v[98:99], v[112:113], v[98:99] op_sel_hi:[1,0]
	s_waitcnt vmcnt(14)
	v_pk_fma_f32 v[100:101], v[112:113], v[120:121], v[98:99] op_sel:[0,0,1] op_sel_hi:[1,1,0] neg_lo:[0,0,1] neg_hi:[0,0,1]
	v_pk_fma_f32 v[98:99], v[112:113], v[120:121], v[98:99] op_sel:[0,0,1] op_sel_hi:[1,0,0]
	s_waitcnt vmcnt(13)
	v_mov_b32_e32 v98, v123
	v_mov_b32_e32 v101, v99
	v_mul_f32_e32 v2, v111, v161
	v_mul_f32_e32 v119, v110, v161
	v_fma_f32 v118, v110, v160, -v2
	ds_read2_b64 v[2:5], v96 offset0:69 offset1:70
	ds_read2_b64 v[6:9], v96 offset0:71 offset1:72
	;; [unrolled: 1-line block ×3, first 2 shown]
	ds_read_b64 v[14:15], v96 offset:600
	v_fmac_f32_e32 v119, v111, v160
	v_pk_add_f32 v[16:17], v[16:17], v[118:119]
	s_waitcnt lgkmcnt(3)
	v_pk_mul_f32 v[98:99], v[2:3], v[98:99] op_sel_hi:[1,0]
	v_pk_add_f32 v[16:17], v[16:17], v[100:101]
	s_waitcnt vmcnt(12)
	v_pk_fma_f32 v[100:101], v[2:3], v[122:123], v[98:99] op_sel:[0,0,1] op_sel_hi:[1,1,0] neg_lo:[0,0,1] neg_hi:[0,0,1]
	v_pk_fma_f32 v[2:3], v[2:3], v[122:123], v[98:99] op_sel:[0,0,1] op_sel_hi:[1,0,0]
	v_mov_b32_e32 v101, v3
	v_pk_add_f32 v[2:3], v[16:17], v[100:101]
	s_waitcnt vmcnt(11)
	v_mov_b32_e32 v16, v125
	v_pk_mul_f32 v[16:17], v[4:5], v[16:17] op_sel_hi:[1,0]
	s_waitcnt vmcnt(10)
	v_pk_fma_f32 v[98:99], v[4:5], v[124:125], v[16:17] op_sel:[0,0,1] op_sel_hi:[1,1,0] neg_lo:[0,0,1] neg_hi:[0,0,1]
	v_pk_fma_f32 v[4:5], v[4:5], v[124:125], v[16:17] op_sel:[0,0,1] op_sel_hi:[1,0,0]
	s_waitcnt vmcnt(9)
	v_mov_b32_e32 v4, v127
	v_mov_b32_e32 v99, v5
	s_waitcnt lgkmcnt(2)
	v_pk_mul_f32 v[4:5], v[6:7], v[4:5] op_sel_hi:[1,0]
	s_waitcnt vmcnt(8)
	v_pk_fma_f32 v[16:17], v[6:7], v[126:127], v[4:5] op_sel:[0,0,1] op_sel_hi:[1,1,0] neg_lo:[0,0,1] neg_hi:[0,0,1]
	v_pk_fma_f32 v[4:5], v[6:7], v[126:127], v[4:5] op_sel:[0,0,1] op_sel_hi:[1,0,0]
	s_waitcnt vmcnt(7)
	v_mov_b32_e32 v4, v129
	v_mov_b32_e32 v17, v5
	v_pk_mul_f32 v[4:5], v[8:9], v[4:5] op_sel_hi:[1,0]
	s_waitcnt vmcnt(6)
	v_pk_fma_f32 v[6:7], v[8:9], v[128:129], v[4:5] op_sel:[0,0,1] op_sel_hi:[1,1,0] neg_lo:[0,0,1] neg_hi:[0,0,1]
	v_pk_fma_f32 v[4:5], v[8:9], v[128:129], v[4:5] op_sel:[0,0,1] op_sel_hi:[1,0,0]
	v_pk_add_f32 v[2:3], v[2:3], v[98:99]
	s_waitcnt vmcnt(5)
	v_mov_b32_e32 v4, v131
	v_pk_add_f32 v[2:3], v[2:3], v[16:17]
	v_mov_b32_e32 v7, v5
	s_waitcnt lgkmcnt(1)
	v_pk_mul_f32 v[4:5], v[10:11], v[4:5] op_sel_hi:[1,0]
	v_pk_add_f32 v[2:3], v[2:3], v[6:7]
	s_waitcnt vmcnt(4)
	v_pk_fma_f32 v[6:7], v[10:11], v[130:131], v[4:5] op_sel:[0,0,1] op_sel_hi:[1,1,0] neg_lo:[0,0,1] neg_hi:[0,0,1]
	v_pk_fma_f32 v[4:5], v[10:11], v[130:131], v[4:5] op_sel:[0,0,1] op_sel_hi:[1,0,0]
	s_waitcnt vmcnt(3)
	v_mov_b32_e32 v4, v133
	v_mov_b32_e32 v7, v5
	v_pk_mul_f32 v[4:5], v[12:13], v[4:5] op_sel_hi:[1,0]
	v_pk_add_f32 v[2:3], v[2:3], v[6:7]
	s_waitcnt vmcnt(2)
	v_pk_fma_f32 v[6:7], v[12:13], v[132:133], v[4:5] op_sel:[0,0,1] op_sel_hi:[1,1,0] neg_lo:[0,0,1] neg_hi:[0,0,1]
	v_pk_fma_f32 v[4:5], v[12:13], v[132:133], v[4:5] op_sel:[0,0,1] op_sel_hi:[1,0,0]
	s_waitcnt vmcnt(1)
	v_mov_b32_e32 v4, v135
	v_mov_b32_e32 v7, v5
	s_waitcnt lgkmcnt(0)
	v_pk_mul_f32 v[4:5], v[14:15], v[4:5] op_sel_hi:[1,0]
	v_pk_add_f32 v[2:3], v[2:3], v[6:7]
	s_waitcnt vmcnt(0)
	v_pk_fma_f32 v[6:7], v[14:15], v[134:135], v[4:5] op_sel:[0,0,1] op_sel_hi:[1,1,0] neg_lo:[0,0,1] neg_hi:[0,0,1]
	v_pk_fma_f32 v[4:5], v[14:15], v[134:135], v[4:5] op_sel:[0,0,1] op_sel_hi:[1,0,0]
	v_mov_b32_e32 v7, v5
	v_pk_add_f32 v[2:3], v[2:3], v[6:7]
	v_pk_add_f32 v[2:3], v[94:95], v[2:3] neg_lo:[0,1] neg_hi:[0,1]
	buffer_store_dword v3, off, s[0:3], 0 offset:116
	buffer_store_dword v2, off, s[0:3], 0 offset:112
	s_and_saveexec_b64 s[4:5], vcc
	s_cbranch_execz .LBB37_215
; %bb.214:
	buffer_load_dword v2, off, s[0:3], 0 offset:104
	buffer_load_dword v3, off, s[0:3], 0 offset:108
	s_waitcnt vmcnt(0)
	ds_write_b64 v1, v[2:3]
	buffer_store_dword v96, off, s[0:3], 0 offset:104
	buffer_store_dword v96, off, s[0:3], 0 offset:108
.LBB37_215:
	s_or_b64 exec, exec, s[4:5]
	s_waitcnt lgkmcnt(0)
	; wave barrier
	s_waitcnt lgkmcnt(0)
	buffer_load_dword v94, off, s[0:3], 0 offset:116
	buffer_load_dword v95, off, s[0:3], 0 offset:124
	;; [unrolled: 1-line block ×34, first 2 shown]
	ds_read_b128 v[4:7], v96 offset:416
	ds_read_b128 v[8:11], v96 offset:432
	ds_read_b128 v[12:15], v96 offset:448
	ds_read_b128 v[98:101], v96 offset:464
	ds_read_b128 v[102:105], v96 offset:480
	ds_read_b128 v[106:109], v96 offset:496
	ds_read_b128 v[110:113], v96 offset:512
	ds_read_b128 v[114:117], v96 offset:528
	buffer_load_dword v17, off, s[0:3], 0 offset:260
	buffer_load_dword v16, off, s[0:3], 0 offset:256
	;; [unrolled: 1-line block ×10, first 2 shown]
	v_cmp_lt_u32_e32 vcc, 12, v0
	s_waitcnt vmcnt(43) lgkmcnt(7)
	v_mul_f32_e32 v122, v4, v94
	s_waitcnt vmcnt(42)
	v_mul_f32_e32 v126, v6, v95
	s_waitcnt vmcnt(41) lgkmcnt(6)
	v_mul_f32_e32 v128, v8, v97
	s_waitcnt vmcnt(40)
	v_mul_f32_e32 v129, v10, v130
	;; [unrolled: 4-line block ×7, first 2 shown]
	s_waitcnt vmcnt(29)
	v_fmac_f32_e32 v122, v5, v146
	s_waitcnt vmcnt(28)
	v_fmac_f32_e32 v126, v7, v147
	v_add_f32_e32 v122, 0, v122
	s_waitcnt vmcnt(27)
	v_fmac_f32_e32 v128, v9, v148
	v_add_f32_e32 v122, v122, v126
	;; [unrolled: 3-line block ×12, first 2 shown]
	v_add_f32_e32 v131, v122, v167
	buffer_load_dword v126, off, s[0:3], 0 offset:280
	buffer_load_dword v129, off, s[0:3], 0 offset:276
	;; [unrolled: 1-line block ×6, first 2 shown]
	v_mul_f32_e32 v5, v5, v94
	v_fma_f32 v4, v4, v146, -v5
	v_mul_f32_e32 v5, v7, v95
	v_add_f32_e32 v4, 0, v4
	v_fma_f32 v5, v6, v147, -v5
	v_add_f32_e32 v4, v4, v5
	v_mul_f32_e32 v5, v9, v97
	v_fma_f32 v5, v8, v148, -v5
	v_add_f32_e32 v4, v4, v5
	v_mul_f32_e32 v5, v11, v130
	;; [unrolled: 3-line block ×12, first 2 shown]
	s_waitcnt vmcnt(22)
	v_fma_f32 v5, v112, v159, -v5
	v_add_f32_e32 v130, v4, v5
	s_waitcnt vmcnt(21) lgkmcnt(0)
	v_mul_f32_e32 v4, v115, v160
	s_waitcnt vmcnt(20)
	v_fma_f32 v132, v114, v161, -v4
	s_waitcnt vmcnt(19)
	v_mul_f32_e32 v4, v117, v162
	s_waitcnt vmcnt(18)
	v_fma_f32 v134, v116, v163, -v4
	ds_read_b128 v[4:7], v96 offset:544
	ds_read_b128 v[8:11], v96 offset:560
	;; [unrolled: 1-line block ×4, first 2 shown]
	v_fmac_f32_e32 v168, v113, v159
	v_mul_f32_e32 v133, v114, v160
	s_waitcnt vmcnt(11)
	v_mov_b32_e32 v100, v121
	v_add_f32_e32 v131, v131, v168
	v_fmac_f32_e32 v133, v115, v161
	v_mul_f32_e32 v135, v116, v162
	s_waitcnt lgkmcnt(3)
	v_pk_mul_f32 v[100:101], v[4:5], v[100:101] op_sel_hi:[1,0]
	v_fmac_f32_e32 v135, v117, v163
	v_pk_add_f32 v[98:99], v[130:131], v[132:133]
	s_waitcnt vmcnt(10)
	v_pk_fma_f32 v[102:103], v[4:5], v[120:121], v[100:101] op_sel:[0,0,1] op_sel_hi:[1,1,0] neg_lo:[0,0,1] neg_hi:[0,0,1]
	v_pk_fma_f32 v[4:5], v[4:5], v[120:121], v[100:101] op_sel:[0,0,1] op_sel_hi:[1,0,0]
	v_pk_add_f32 v[98:99], v[98:99], v[134:135]
	v_mov_b32_e32 v103, v5
	v_pk_add_f32 v[4:5], v[98:99], v[102:103]
	v_mov_b32_e32 v98, v119
	v_pk_mul_f32 v[98:99], v[6:7], v[98:99] op_sel_hi:[1,0]
	v_pk_fma_f32 v[100:101], v[6:7], v[118:119], v[98:99] op_sel:[0,0,1] op_sel_hi:[1,1,0] neg_lo:[0,0,1] neg_hi:[0,0,1]
	v_pk_fma_f32 v[6:7], v[6:7], v[118:119], v[98:99] op_sel:[0,0,1] op_sel_hi:[1,0,0]
	v_mov_b32_e32 v6, v17
	v_mov_b32_e32 v101, v7
	s_waitcnt lgkmcnt(2)
	v_pk_mul_f32 v[6:7], v[8:9], v[6:7] op_sel_hi:[1,0]
	v_pk_fma_f32 v[98:99], v[8:9], v[16:17], v[6:7] op_sel:[0,0,1] op_sel_hi:[1,1,0] neg_lo:[0,0,1] neg_hi:[0,0,1]
	v_pk_fma_f32 v[6:7], v[8:9], v[16:17], v[6:7] op_sel:[0,0,1] op_sel_hi:[1,0,0]
	s_waitcnt vmcnt(9)
	v_mov_b32_e32 v6, v123
	v_mov_b32_e32 v99, v7
	v_pk_mul_f32 v[6:7], v[10:11], v[6:7] op_sel_hi:[1,0]
	v_pk_add_f32 v[4:5], v[4:5], v[100:101]
	v_pk_add_f32 v[4:5], v[4:5], v[98:99]
	s_waitcnt vmcnt(2)
	v_pk_fma_f32 v[8:9], v[10:11], v[122:123], v[6:7] op_sel:[0,0,1] op_sel_hi:[1,1,0] neg_lo:[0,0,1] neg_hi:[0,0,1]
	v_pk_fma_f32 v[6:7], v[10:11], v[122:123], v[6:7] op_sel:[0,0,1] op_sel_hi:[1,0,0]
	v_mov_b32_e32 v6, v129
	v_mov_b32_e32 v9, v7
	s_waitcnt lgkmcnt(1)
	v_pk_mul_f32 v[6:7], v[12:13], v[6:7] op_sel_hi:[1,0]
	v_pk_add_f32 v[4:5], v[4:5], v[8:9]
	v_pk_fma_f32 v[8:9], v[12:13], v[128:129], v[6:7] op_sel:[0,0,1] op_sel_hi:[1,1,0] neg_lo:[0,0,1] neg_hi:[0,0,1]
	v_pk_fma_f32 v[6:7], v[12:13], v[128:129], v[6:7] op_sel:[0,0,1] op_sel_hi:[1,0,0]
	v_mov_b32_e32 v6, v127
	v_mov_b32_e32 v9, v7
	v_pk_mul_f32 v[6:7], v[14:15], v[6:7] op_sel_hi:[1,0]
	v_pk_add_f32 v[4:5], v[4:5], v[8:9]
	v_pk_fma_f32 v[8:9], v[14:15], v[126:127], v[6:7] op_sel:[0,0,1] op_sel_hi:[1,1,0] neg_lo:[0,0,1] neg_hi:[0,0,1]
	v_pk_fma_f32 v[6:7], v[14:15], v[126:127], v[6:7] op_sel:[0,0,1] op_sel_hi:[1,0,0]
	v_mov_b32_e32 v6, v125
	v_mov_b32_e32 v9, v7
	s_waitcnt lgkmcnt(0)
	v_pk_mul_f32 v[6:7], v[94:95], v[6:7] op_sel_hi:[1,0]
	v_pk_add_f32 v[4:5], v[4:5], v[8:9]
	v_pk_fma_f32 v[8:9], v[94:95], v[124:125], v[6:7] op_sel:[0,0,1] op_sel_hi:[1,1,0] neg_lo:[0,0,1] neg_hi:[0,0,1]
	v_pk_fma_f32 v[6:7], v[94:95], v[124:125], v[6:7] op_sel:[0,0,1] op_sel_hi:[1,0,0]
	s_waitcnt vmcnt(1)
	v_mov_b32_e32 v6, v137
	v_mov_b32_e32 v9, v7
	v_pk_mul_f32 v[6:7], v[96:97], v[6:7] op_sel_hi:[1,0]
	v_pk_add_f32 v[4:5], v[4:5], v[8:9]
	s_waitcnt vmcnt(0)
	v_pk_fma_f32 v[8:9], v[96:97], v[136:137], v[6:7] op_sel:[0,0,1] op_sel_hi:[1,1,0] neg_lo:[0,0,1] neg_hi:[0,0,1]
	v_pk_fma_f32 v[6:7], v[96:97], v[136:137], v[6:7] op_sel:[0,0,1] op_sel_hi:[1,0,0]
	v_mov_b32_e32 v9, v7
	v_pk_add_f32 v[4:5], v[4:5], v[8:9]
	v_pk_add_f32 v[2:3], v[2:3], v[4:5] neg_lo:[0,1] neg_hi:[0,1]
	buffer_store_dword v3, off, s[0:3], 0 offset:108
	buffer_store_dword v2, off, s[0:3], 0 offset:104
	s_and_saveexec_b64 s[4:5], vcc
	s_cbranch_execz .LBB37_217
; %bb.216:
	buffer_load_dword v2, off, s[0:3], 0 offset:96
	buffer_load_dword v3, off, s[0:3], 0 offset:100
	v_mov_b32_e32 v4, 0
	buffer_store_dword v4, off, s[0:3], 0 offset:96
	buffer_store_dword v4, off, s[0:3], 0 offset:100
	s_waitcnt vmcnt(2)
	ds_write_b64 v1, v[2:3]
.LBB37_217:
	s_or_b64 exec, exec, s[4:5]
	s_waitcnt lgkmcnt(0)
	; wave barrier
	s_waitcnt lgkmcnt(0)
	buffer_load_dword v5, off, s[0:3], 0 offset:108
	buffer_load_dword v134, off, s[0:3], 0 offset:116
	;; [unrolled: 1-line block ×36, first 2 shown]
	v_mov_b32_e32 v4, 0
	buffer_load_dword v123, off, s[0:3], 0 offset:252
	buffer_load_dword v122, off, s[0:3], 0 offset:248
	;; [unrolled: 1-line block ×5, first 2 shown]
	ds_read2_b64 v[6:9], v4 offset0:51 offset1:52
	ds_read2_b64 v[10:13], v4 offset0:53 offset1:54
	ds_read2_b64 v[14:17], v4 offset0:55 offset1:56
	ds_read2_b64 v[94:97], v4 offset0:57 offset1:58
	ds_read2_b64 v[98:101], v4 offset0:59 offset1:60
	ds_read2_b64 v[102:105], v4 offset0:61 offset1:62
	ds_read2_b64 v[106:109], v4 offset0:63 offset1:64
	ds_read2_b64 v[110:113], v4 offset0:65 offset1:66
	v_cmp_lt_u32_e32 vcc, 11, v0
	s_waitcnt vmcnt(40) lgkmcnt(7)
	v_mul_f32_e32 v114, v6, v5
	s_waitcnt vmcnt(39)
	v_mul_f32_e32 v115, v8, v134
	s_waitcnt vmcnt(38) lgkmcnt(6)
	v_mul_f32_e32 v116, v10, v136
	s_waitcnt vmcnt(37)
	v_mul_f32_e32 v117, v12, v138
	;; [unrolled: 4-line block ×7, first 2 shown]
	s_waitcnt vmcnt(26) lgkmcnt(0)
	v_mul_f32_e32 v135, v110, v154
	s_waitcnt vmcnt(25)
	v_fmac_f32_e32 v114, v7, v155
	s_waitcnt vmcnt(24)
	v_fmac_f32_e32 v115, v9, v156
	v_add_f32_e32 v114, 0, v114
	s_waitcnt vmcnt(23)
	v_fmac_f32_e32 v116, v11, v157
	v_add_f32_e32 v114, v114, v115
	;; [unrolled: 3-line block ×13, first 2 shown]
	v_add_f32_e32 v118, v114, v132
	buffer_load_dword v129, off, s[0:3], 0 offset:284
	buffer_load_dword v128, off, s[0:3], 0 offset:280
	;; [unrolled: 1-line block ×7, first 2 shown]
	s_waitcnt vmcnt(18)
	v_fmac_f32_e32 v135, v111, v169
	ds_read2_b64 v[114:117], v4 offset0:67 offset1:68
	v_add_f32_e32 v135, v118, v135
	ds_read2_b64 v[118:121], v4 offset0:69 offset1:70
	buffer_load_dword v141, off, s[0:3], 0 offset:300
	buffer_load_dword v140, off, s[0:3], 0 offset:296
	;; [unrolled: 1-line block ×4, first 2 shown]
	v_mul_f32_e32 v5, v7, v5
	v_fma_f32 v5, v6, v155, -v5
	v_mul_f32_e32 v6, v9, v134
	v_add_f32_e32 v5, 0, v5
	v_fma_f32 v6, v8, v156, -v6
	v_add_f32_e32 v5, v5, v6
	v_mul_f32_e32 v6, v11, v136
	v_fma_f32 v6, v10, v157, -v6
	v_add_f32_e32 v5, v5, v6
	v_mul_f32_e32 v6, v13, v138
	;; [unrolled: 3-line block ×13, first 2 shown]
	v_fma_f32 v6, v110, v169, -v6
	s_waitcnt vmcnt(13)
	v_mov_b32_e32 v94, v125
	v_mul_f32_e32 v137, v112, v170
	v_add_f32_e32 v134, v5, v6
	v_mul_f32_e32 v5, v113, v170
	s_waitcnt lgkmcnt(1)
	v_pk_mul_f32 v[94:95], v[116:117], v[94:95] op_sel_hi:[1,0]
	v_fmac_f32_e32 v137, v113, v171
	v_mul_f32_e32 v139, v114, v172
	v_fma_f32 v136, v112, v171, -v5
	v_mul_f32_e32 v5, v115, v172
	s_waitcnt vmcnt(12)
	v_pk_fma_f32 v[96:97], v[116:117], v[124:125], v[94:95] op_sel:[0,0,1] op_sel_hi:[1,1,0] neg_lo:[0,0,1] neg_hi:[0,0,1]
	v_pk_fma_f32 v[94:95], v[116:117], v[124:125], v[94:95] op_sel:[0,0,1] op_sel_hi:[1,0,0]
	v_fmac_f32_e32 v139, v115, v173
	v_fma_f32 v138, v114, v173, -v5
	v_pk_add_f32 v[16:17], v[134:135], v[136:137]
	v_mov_b32_e32 v94, v123
	v_pk_add_f32 v[16:17], v[16:17], v[138:139]
	v_mov_b32_e32 v97, v95
	s_waitcnt lgkmcnt(0)
	v_pk_mul_f32 v[94:95], v[118:119], v[94:95] op_sel_hi:[1,0]
	v_pk_add_f32 v[16:17], v[16:17], v[96:97]
	v_pk_fma_f32 v[96:97], v[118:119], v[122:123], v[94:95] op_sel:[0,0,1] op_sel_hi:[1,1,0] neg_lo:[0,0,1] neg_hi:[0,0,1]
	v_pk_fma_f32 v[94:95], v[118:119], v[122:123], v[94:95] op_sel:[0,0,1] op_sel_hi:[1,0,0]
	s_waitcnt vmcnt(11)
	v_mov_b32_e32 v94, v127
	ds_read2_b64 v[6:9], v4 offset0:71 offset1:72
	ds_read2_b64 v[10:13], v4 offset0:73 offset1:74
	ds_read_b64 v[14:15], v4 offset:600
	v_mov_b32_e32 v97, v95
	v_pk_mul_f32 v[94:95], v[120:121], v[94:95] op_sel_hi:[1,0]
	v_pk_add_f32 v[16:17], v[16:17], v[96:97]
	s_waitcnt vmcnt(4)
	v_pk_fma_f32 v[96:97], v[120:121], v[126:127], v[94:95] op_sel:[0,0,1] op_sel_hi:[1,1,0] neg_lo:[0,0,1] neg_hi:[0,0,1]
	v_pk_fma_f32 v[94:95], v[120:121], v[126:127], v[94:95] op_sel:[0,0,1] op_sel_hi:[1,0,0]
	v_mov_b32_e32 v94, v133
	v_mov_b32_e32 v97, v95
	s_waitcnt lgkmcnt(2)
	v_pk_mul_f32 v[94:95], v[6:7], v[94:95] op_sel_hi:[1,0]
	v_pk_add_f32 v[16:17], v[16:17], v[96:97]
	v_pk_fma_f32 v[96:97], v[6:7], v[132:133], v[94:95] op_sel:[0,0,1] op_sel_hi:[1,1,0] neg_lo:[0,0,1] neg_hi:[0,0,1]
	v_pk_fma_f32 v[6:7], v[6:7], v[132:133], v[94:95] op_sel:[0,0,1] op_sel_hi:[1,0,0]
	v_mov_b32_e32 v97, v7
	v_pk_add_f32 v[6:7], v[16:17], v[96:97]
	v_mov_b32_e32 v16, v131
	v_pk_mul_f32 v[16:17], v[8:9], v[16:17] op_sel_hi:[1,0]
	v_pk_fma_f32 v[94:95], v[8:9], v[130:131], v[16:17] op_sel:[0,0,1] op_sel_hi:[1,1,0] neg_lo:[0,0,1] neg_hi:[0,0,1]
	v_pk_fma_f32 v[8:9], v[8:9], v[130:131], v[16:17] op_sel:[0,0,1] op_sel_hi:[1,0,0]
	v_mov_b32_e32 v8, v129
	v_mov_b32_e32 v95, v9
	s_waitcnt lgkmcnt(1)
	v_pk_mul_f32 v[8:9], v[10:11], v[8:9] op_sel_hi:[1,0]
	v_pk_fma_f32 v[16:17], v[10:11], v[128:129], v[8:9] op_sel:[0,0,1] op_sel_hi:[1,1,0] neg_lo:[0,0,1] neg_hi:[0,0,1]
	v_pk_fma_f32 v[8:9], v[10:11], v[128:129], v[8:9] op_sel:[0,0,1] op_sel_hi:[1,0,0]
	s_waitcnt vmcnt(1)
	v_mov_b32_e32 v8, v143
	v_mov_b32_e32 v17, v9
	v_pk_mul_f32 v[8:9], v[12:13], v[8:9] op_sel_hi:[1,0]
	s_waitcnt vmcnt(0)
	v_pk_fma_f32 v[10:11], v[12:13], v[142:143], v[8:9] op_sel:[0,0,1] op_sel_hi:[1,1,0] neg_lo:[0,0,1] neg_hi:[0,0,1]
	v_pk_fma_f32 v[8:9], v[12:13], v[142:143], v[8:9] op_sel:[0,0,1] op_sel_hi:[1,0,0]
	v_pk_add_f32 v[6:7], v[6:7], v[94:95]
	v_mov_b32_e32 v8, v141
	v_pk_add_f32 v[6:7], v[6:7], v[16:17]
	v_mov_b32_e32 v11, v9
	s_waitcnt lgkmcnt(0)
	v_pk_mul_f32 v[8:9], v[14:15], v[8:9] op_sel_hi:[1,0]
	v_pk_add_f32 v[6:7], v[6:7], v[10:11]
	v_pk_fma_f32 v[10:11], v[14:15], v[140:141], v[8:9] op_sel:[0,0,1] op_sel_hi:[1,1,0] neg_lo:[0,0,1] neg_hi:[0,0,1]
	v_pk_fma_f32 v[8:9], v[14:15], v[140:141], v[8:9] op_sel:[0,0,1] op_sel_hi:[1,0,0]
	v_mov_b32_e32 v11, v9
	v_pk_add_f32 v[6:7], v[6:7], v[10:11]
	v_pk_add_f32 v[2:3], v[2:3], v[6:7] neg_lo:[0,1] neg_hi:[0,1]
	buffer_store_dword v3, off, s[0:3], 0 offset:100
	buffer_store_dword v2, off, s[0:3], 0 offset:96
	s_and_saveexec_b64 s[4:5], vcc
	s_cbranch_execz .LBB37_219
; %bb.218:
	buffer_load_dword v2, off, s[0:3], 0 offset:88
	buffer_load_dword v3, off, s[0:3], 0 offset:92
	s_waitcnt vmcnt(0)
	ds_write_b64 v1, v[2:3]
	buffer_store_dword v4, off, s[0:3], 0 offset:88
	buffer_store_dword v4, off, s[0:3], 0 offset:92
.LBB37_219:
	s_or_b64 exec, exec, s[4:5]
	s_waitcnt lgkmcnt(0)
	; wave barrier
	s_waitcnt lgkmcnt(0)
	buffer_load_dword v2, off, s[0:3], 0 offset:100
	buffer_load_dword v3, off, s[0:3], 0 offset:108
	;; [unrolled: 1-line block ×38, first 2 shown]
	ds_read_b128 v[6:9], v4 offset:400
	ds_read_b128 v[10:13], v4 offset:416
	;; [unrolled: 1-line block ×8, first 2 shown]
	buffer_load_dword v125, off, s[0:3], 0 offset:244
	buffer_load_dword v124, off, s[0:3], 0 offset:240
	;; [unrolled: 1-line block ×4, first 2 shown]
	v_cmp_lt_u32_e32 vcc, 10, v0
	s_waitcnt vmcnt(41) lgkmcnt(7)
	v_mul_f32_e32 v114, v6, v2
	s_waitcnt vmcnt(40)
	v_mul_f32_e32 v115, v8, v3
	s_waitcnt vmcnt(39) lgkmcnt(6)
	v_mul_f32_e32 v116, v10, v5
	s_waitcnt vmcnt(38)
	v_mul_f32_e32 v117, v12, v134
	;; [unrolled: 4-line block ×7, first 2 shown]
	s_waitcnt vmcnt(27) lgkmcnt(0)
	v_mul_f32_e32 v135, v110, v154
	s_waitcnt vmcnt(26)
	v_fmac_f32_e32 v114, v7, v155
	s_waitcnt vmcnt(25)
	v_fmac_f32_e32 v115, v9, v156
	v_add_f32_e32 v114, 0, v114
	s_waitcnt vmcnt(24)
	v_fmac_f32_e32 v116, v11, v157
	v_add_f32_e32 v114, v114, v115
	;; [unrolled: 3-line block ×13, first 2 shown]
	v_add_f32_e32 v114, v114, v133
	buffer_load_dword v129, off, s[0:3], 0 offset:268
	buffer_load_dword v128, off, s[0:3], 0 offset:264
	;; [unrolled: 1-line block ×6, first 2 shown]
	s_waitcnt vmcnt(18)
	v_fmac_f32_e32 v135, v111, v169
	s_waitcnt vmcnt(17)
	v_mul_f32_e32 v119, v112, v170
	v_add_f32_e32 v118, v114, v135
	s_waitcnt vmcnt(16)
	v_fmac_f32_e32 v119, v113, v171
	ds_read_b128 v[114:117], v4 offset:528
	v_add_f32_e32 v135, v118, v119
	ds_read_b128 v[118:121], v4 offset:544
	buffer_load_dword v141, off, s[0:3], 0 offset:300
	buffer_load_dword v140, off, s[0:3], 0 offset:296
	;; [unrolled: 1-line block ×6, first 2 shown]
	v_mul_f32_e32 v2, v7, v2
	v_fma_f32 v2, v6, v155, -v2
	v_mul_f32_e32 v3, v9, v3
	v_add_f32_e32 v2, 0, v2
	v_fma_f32 v3, v8, v156, -v3
	v_add_f32_e32 v2, v2, v3
	v_mul_f32_e32 v3, v11, v5
	v_fma_f32 v3, v10, v157, -v3
	v_add_f32_e32 v2, v2, v3
	v_mul_f32_e32 v3, v13, v134
	;; [unrolled: 3-line block ×14, first 2 shown]
	v_fma_f32 v3, v112, v171, -v3
	s_waitcnt vmcnt(15)
	v_mov_b32_e32 v16, v125
	s_waitcnt lgkmcnt(1)
	v_mul_f32_e32 v137, v114, v172
	v_add_f32_e32 v134, v2, v3
	v_mul_f32_e32 v2, v115, v172
	s_waitcnt lgkmcnt(0)
	v_pk_mul_f32 v[16:17], v[118:119], v[16:17] op_sel_hi:[1,0]
	v_fmac_f32_e32 v137, v115, v173
	v_mul_f32_e32 v139, v116, v174
	v_fma_f32 v136, v114, v173, -v2
	v_mul_f32_e32 v2, v117, v174
	s_waitcnt vmcnt(14)
	v_pk_fma_f32 v[94:95], v[118:119], v[124:125], v[16:17] op_sel:[0,0,1] op_sel_hi:[1,1,0] neg_lo:[0,0,1] neg_hi:[0,0,1]
	v_pk_fma_f32 v[16:17], v[118:119], v[124:125], v[16:17] op_sel:[0,0,1] op_sel_hi:[1,0,0]
	v_fmac_f32_e32 v139, v117, v175
	v_fma_f32 v138, v116, v175, -v2
	v_pk_add_f32 v[14:15], v[134:135], v[136:137]
	ds_read_b128 v[6:9], v4 offset:560
	ds_read_b128 v[10:13], v4 offset:576
	;; [unrolled: 1-line block ×3, first 2 shown]
	v_pk_add_f32 v[14:15], v[14:15], v[138:139]
	v_mov_b32_e32 v95, v17
	v_pk_add_f32 v[14:15], v[14:15], v[94:95]
	s_waitcnt vmcnt(7)
	v_mov_b32_e32 v16, v133
	v_pk_mul_f32 v[16:17], v[120:121], v[16:17] op_sel_hi:[1,0]
	s_waitcnt vmcnt(6)
	v_pk_fma_f32 v[94:95], v[120:121], v[132:133], v[16:17] op_sel:[0,0,1] op_sel_hi:[1,1,0] neg_lo:[0,0,1] neg_hi:[0,0,1]
	v_pk_fma_f32 v[16:17], v[120:121], v[132:133], v[16:17] op_sel:[0,0,1] op_sel_hi:[1,0,0]
	v_mov_b32_e32 v16, v131
	v_mov_b32_e32 v95, v17
	s_waitcnt lgkmcnt(2)
	v_pk_mul_f32 v[16:17], v[6:7], v[16:17] op_sel_hi:[1,0]
	v_pk_add_f32 v[14:15], v[14:15], v[94:95]
	v_pk_fma_f32 v[94:95], v[6:7], v[130:131], v[16:17] op_sel:[0,0,1] op_sel_hi:[1,1,0] neg_lo:[0,0,1] neg_hi:[0,0,1]
	v_pk_fma_f32 v[6:7], v[6:7], v[130:131], v[16:17] op_sel:[0,0,1] op_sel_hi:[1,0,0]
	v_mov_b32_e32 v95, v7
	v_pk_add_f32 v[6:7], v[14:15], v[94:95]
	v_mov_b32_e32 v14, v129
	v_pk_mul_f32 v[14:15], v[8:9], v[14:15] op_sel_hi:[1,0]
	v_pk_fma_f32 v[16:17], v[8:9], v[128:129], v[14:15] op_sel:[0,0,1] op_sel_hi:[1,1,0] neg_lo:[0,0,1] neg_hi:[0,0,1]
	v_pk_fma_f32 v[8:9], v[8:9], v[128:129], v[14:15] op_sel:[0,0,1] op_sel_hi:[1,0,0]
	v_mov_b32_e32 v8, v127
	v_mov_b32_e32 v17, v9
	s_waitcnt lgkmcnt(1)
	v_pk_mul_f32 v[8:9], v[10:11], v[8:9] op_sel_hi:[1,0]
	v_pk_fma_f32 v[14:15], v[10:11], v[126:127], v[8:9] op_sel:[0,0,1] op_sel_hi:[1,1,0] neg_lo:[0,0,1] neg_hi:[0,0,1]
	v_pk_fma_f32 v[8:9], v[10:11], v[126:127], v[8:9] op_sel:[0,0,1] op_sel_hi:[1,0,0]
	s_waitcnt vmcnt(1)
	v_mov_b32_e32 v8, v145
	v_mov_b32_e32 v15, v9
	v_pk_mul_f32 v[8:9], v[12:13], v[8:9] op_sel_hi:[1,0]
	s_waitcnt vmcnt(0)
	v_pk_fma_f32 v[10:11], v[12:13], v[144:145], v[8:9] op_sel:[0,0,1] op_sel_hi:[1,1,0] neg_lo:[0,0,1] neg_hi:[0,0,1]
	v_pk_fma_f32 v[8:9], v[12:13], v[144:145], v[8:9] op_sel:[0,0,1] op_sel_hi:[1,0,0]
	v_pk_add_f32 v[6:7], v[6:7], v[16:17]
	v_mov_b32_e32 v8, v143
	v_pk_add_f32 v[6:7], v[6:7], v[14:15]
	v_mov_b32_e32 v11, v9
	s_waitcnt lgkmcnt(0)
	v_pk_mul_f32 v[8:9], v[2:3], v[8:9] op_sel_hi:[1,0]
	v_pk_add_f32 v[6:7], v[6:7], v[10:11]
	v_pk_fma_f32 v[10:11], v[2:3], v[142:143], v[8:9] op_sel:[0,0,1] op_sel_hi:[1,1,0] neg_lo:[0,0,1] neg_hi:[0,0,1]
	v_pk_fma_f32 v[2:3], v[2:3], v[142:143], v[8:9] op_sel:[0,0,1] op_sel_hi:[1,0,0]
	v_mov_b32_e32 v11, v3
	v_pk_add_f32 v[2:3], v[6:7], v[10:11]
	v_mov_b32_e32 v6, v141
	v_pk_mul_f32 v[6:7], v[4:5], v[6:7] op_sel_hi:[1,0]
	v_pk_fma_f32 v[8:9], v[4:5], v[140:141], v[6:7] op_sel:[0,0,1] op_sel_hi:[1,1,0] neg_lo:[0,0,1] neg_hi:[0,0,1]
	v_pk_fma_f32 v[4:5], v[4:5], v[140:141], v[6:7] op_sel:[0,0,1] op_sel_hi:[1,0,0]
	v_mov_b32_e32 v9, v5
	v_pk_add_f32 v[2:3], v[2:3], v[8:9]
	v_pk_add_f32 v[2:3], v[122:123], v[2:3] neg_lo:[0,1] neg_hi:[0,1]
	buffer_store_dword v3, off, s[0:3], 0 offset:92
	buffer_store_dword v2, off, s[0:3], 0 offset:88
	s_and_saveexec_b64 s[4:5], vcc
	s_cbranch_execz .LBB37_221
; %bb.220:
	buffer_load_dword v2, off, s[0:3], 0 offset:80
	buffer_load_dword v3, off, s[0:3], 0 offset:84
	v_mov_b32_e32 v4, 0
	buffer_store_dword v4, off, s[0:3], 0 offset:80
	buffer_store_dword v4, off, s[0:3], 0 offset:84
	s_waitcnt vmcnt(2)
	ds_write_b64 v1, v[2:3]
.LBB37_221:
	s_or_b64 exec, exec, s[4:5]
	s_waitcnt lgkmcnt(0)
	; wave barrier
	s_waitcnt lgkmcnt(0)
	buffer_load_dword v5, off, s[0:3], 0 offset:92
	buffer_load_dword v130, off, s[0:3], 0 offset:100
	;; [unrolled: 1-line block ×40, first 2 shown]
	v_mov_b32_e32 v4, 0
	ds_read2_b64 v[6:9], v4 offset0:49 offset1:50
	ds_read2_b64 v[10:13], v4 offset0:51 offset1:52
	;; [unrolled: 1-line block ×8, first 2 shown]
	v_cmp_lt_u32_e32 vcc, 9, v0
	s_waitcnt vmcnt(39) lgkmcnt(7)
	v_mul_f32_e32 v114, v6, v5
	s_waitcnt vmcnt(38)
	v_mul_f32_e32 v115, v8, v130
	s_waitcnt vmcnt(37) lgkmcnt(6)
	v_mul_f32_e32 v116, v10, v132
	s_waitcnt vmcnt(36)
	v_mul_f32_e32 v117, v12, v134
	;; [unrolled: 4-line block ×8, first 2 shown]
	s_waitcnt vmcnt(23)
	v_fmac_f32_e32 v114, v7, v156
	s_waitcnt vmcnt(22)
	v_fmac_f32_e32 v115, v9, v157
	v_add_f32_e32 v114, 0, v114
	s_waitcnt vmcnt(21)
	v_fmac_f32_e32 v116, v11, v158
	v_add_f32_e32 v114, v114, v115
	;; [unrolled: 3-line block ×14, first 2 shown]
	v_add_f32_e32 v114, v114, v128
	s_waitcnt vmcnt(8)
	v_fmac_f32_e32 v129, v113, v171
	v_add_f32_e32 v131, v114, v129
	ds_read2_b64 v[114:117], v4 offset0:65 offset1:66
	buffer_load_dword v123, off, s[0:3], 0 offset:244
	buffer_load_dword v125, off, s[0:3], 0 offset:268
	;; [unrolled: 1-line block ×8, first 2 shown]
	ds_read2_b64 v[118:121], v4 offset0:67 offset1:68
	buffer_load_dword v137, off, s[0:3], 0 offset:300
	buffer_load_dword v136, off, s[0:3], 0 offset:296
	;; [unrolled: 1-line block ×8, first 2 shown]
	v_mul_f32_e32 v5, v7, v5
	v_fma_f32 v5, v6, v156, -v5
	v_mul_f32_e32 v6, v9, v130
	v_add_f32_e32 v5, 0, v5
	v_fma_f32 v6, v8, v157, -v6
	v_add_f32_e32 v5, v5, v6
	v_mul_f32_e32 v6, v11, v132
	v_fma_f32 v6, v10, v158, -v6
	v_add_f32_e32 v5, v5, v6
	v_mul_f32_e32 v6, v13, v134
	;; [unrolled: 3-line block ×14, first 2 shown]
	v_fma_f32 v6, v112, v171, -v6
	s_waitcnt vmcnt(23) lgkmcnt(1)
	v_mul_f32_e32 v133, v114, v172
	v_add_f32_e32 v5, v5, v6
	v_mul_f32_e32 v6, v115, v172
	s_waitcnt vmcnt(22)
	v_fmac_f32_e32 v133, v115, v173
	v_fma_f32 v6, v114, v173, -v6
	v_add_f32_e32 v131, v131, v133
	s_waitcnt vmcnt(21)
	v_mul_f32_e32 v133, v116, v174
	v_add_f32_e32 v130, v5, v6
	v_mul_f32_e32 v5, v117, v174
	s_waitcnt vmcnt(20)
	v_fmac_f32_e32 v133, v117, v175
	s_waitcnt vmcnt(19) lgkmcnt(0)
	v_mul_f32_e32 v135, v118, v176
	v_fma_f32 v132, v116, v175, -v5
	v_mul_f32_e32 v5, v119, v176
	ds_read2_b64 v[6:9], v4 offset0:69 offset1:70
	ds_read2_b64 v[10:13], v4 offset0:71 offset1:72
	;; [unrolled: 1-line block ×3, first 2 shown]
	ds_read_b64 v[94:95], v4 offset:600
	s_waitcnt vmcnt(18)
	v_fmac_f32_e32 v135, v119, v177
	v_fma_f32 v134, v118, v177, -v5
	v_pk_add_f32 v[96:97], v[130:131], v[132:133]
	v_pk_add_f32 v[96:97], v[96:97], v[134:135]
	s_waitcnt vmcnt(15)
	v_mov_b32_e32 v98, v123
	v_pk_mul_f32 v[98:99], v[120:121], v[98:99] op_sel_hi:[1,0]
	s_waitcnt vmcnt(8)
	v_pk_fma_f32 v[100:101], v[120:121], v[122:123], v[98:99] op_sel:[0,0,1] op_sel_hi:[1,1,0] neg_lo:[0,0,1] neg_hi:[0,0,1]
	v_pk_fma_f32 v[98:99], v[120:121], v[122:123], v[98:99] op_sel:[0,0,1] op_sel_hi:[1,0,0]
	v_mov_b32_e32 v98, v129
	v_mov_b32_e32 v101, v99
	s_waitcnt lgkmcnt(3)
	v_pk_mul_f32 v[98:99], v[6:7], v[98:99] op_sel_hi:[1,0]
	v_pk_add_f32 v[96:97], v[96:97], v[100:101]
	v_pk_fma_f32 v[100:101], v[6:7], v[128:129], v[98:99] op_sel:[0,0,1] op_sel_hi:[1,1,0] neg_lo:[0,0,1] neg_hi:[0,0,1]
	v_pk_fma_f32 v[6:7], v[6:7], v[128:129], v[98:99] op_sel:[0,0,1] op_sel_hi:[1,0,0]
	v_mov_b32_e32 v101, v7
	v_pk_add_f32 v[6:7], v[96:97], v[100:101]
	v_mov_b32_e32 v96, v127
	v_pk_mul_f32 v[96:97], v[8:9], v[96:97] op_sel_hi:[1,0]
	v_pk_fma_f32 v[98:99], v[8:9], v[126:127], v[96:97] op_sel:[0,0,1] op_sel_hi:[1,1,0] neg_lo:[0,0,1] neg_hi:[0,0,1]
	v_pk_fma_f32 v[8:9], v[8:9], v[126:127], v[96:97] op_sel:[0,0,1] op_sel_hi:[1,0,0]
	v_mov_b32_e32 v8, v125
	v_mov_b32_e32 v99, v9
	s_waitcnt lgkmcnt(2)
	v_pk_mul_f32 v[8:9], v[10:11], v[8:9] op_sel_hi:[1,0]
	v_pk_fma_f32 v[96:97], v[10:11], v[124:125], v[8:9] op_sel:[0,0,1] op_sel_hi:[1,1,0] neg_lo:[0,0,1] neg_hi:[0,0,1]
	v_pk_fma_f32 v[8:9], v[10:11], v[124:125], v[8:9] op_sel:[0,0,1] op_sel_hi:[1,0,0]
	s_waitcnt vmcnt(1)
	v_mov_b32_e32 v8, v143
	v_mov_b32_e32 v97, v9
	v_pk_mul_f32 v[8:9], v[12:13], v[8:9] op_sel_hi:[1,0]
	s_waitcnt vmcnt(0)
	v_pk_fma_f32 v[10:11], v[12:13], v[142:143], v[8:9] op_sel:[0,0,1] op_sel_hi:[1,1,0] neg_lo:[0,0,1] neg_hi:[0,0,1]
	v_pk_fma_f32 v[8:9], v[12:13], v[142:143], v[8:9] op_sel:[0,0,1] op_sel_hi:[1,0,0]
	v_pk_add_f32 v[6:7], v[6:7], v[98:99]
	v_mov_b32_e32 v8, v141
	v_pk_add_f32 v[6:7], v[6:7], v[96:97]
	v_mov_b32_e32 v11, v9
	s_waitcnt lgkmcnt(1)
	v_pk_mul_f32 v[8:9], v[14:15], v[8:9] op_sel_hi:[1,0]
	v_pk_add_f32 v[6:7], v[6:7], v[10:11]
	v_pk_fma_f32 v[10:11], v[14:15], v[140:141], v[8:9] op_sel:[0,0,1] op_sel_hi:[1,1,0] neg_lo:[0,0,1] neg_hi:[0,0,1]
	v_pk_fma_f32 v[8:9], v[14:15], v[140:141], v[8:9] op_sel:[0,0,1] op_sel_hi:[1,0,0]
	v_mov_b32_e32 v8, v139
	v_mov_b32_e32 v11, v9
	v_pk_mul_f32 v[8:9], v[16:17], v[8:9] op_sel_hi:[1,0]
	v_pk_add_f32 v[6:7], v[6:7], v[10:11]
	v_pk_fma_f32 v[10:11], v[16:17], v[138:139], v[8:9] op_sel:[0,0,1] op_sel_hi:[1,1,0] neg_lo:[0,0,1] neg_hi:[0,0,1]
	v_pk_fma_f32 v[8:9], v[16:17], v[138:139], v[8:9] op_sel:[0,0,1] op_sel_hi:[1,0,0]
	v_mov_b32_e32 v8, v137
	v_mov_b32_e32 v11, v9
	s_waitcnt lgkmcnt(0)
	v_pk_mul_f32 v[8:9], v[94:95], v[8:9] op_sel_hi:[1,0]
	v_pk_add_f32 v[6:7], v[6:7], v[10:11]
	v_pk_fma_f32 v[10:11], v[94:95], v[136:137], v[8:9] op_sel:[0,0,1] op_sel_hi:[1,1,0] neg_lo:[0,0,1] neg_hi:[0,0,1]
	v_pk_fma_f32 v[8:9], v[94:95], v[136:137], v[8:9] op_sel:[0,0,1] op_sel_hi:[1,0,0]
	v_mov_b32_e32 v11, v9
	v_pk_add_f32 v[6:7], v[6:7], v[10:11]
	v_pk_add_f32 v[2:3], v[2:3], v[6:7] neg_lo:[0,1] neg_hi:[0,1]
	buffer_store_dword v3, off, s[0:3], 0 offset:84
	buffer_store_dword v2, off, s[0:3], 0 offset:80
	s_and_saveexec_b64 s[4:5], vcc
	s_cbranch_execz .LBB37_223
; %bb.222:
	buffer_load_dword v2, off, s[0:3], 0 offset:72
	buffer_load_dword v3, off, s[0:3], 0 offset:76
	s_waitcnt vmcnt(0)
	ds_write_b64 v1, v[2:3]
	buffer_store_dword v4, off, s[0:3], 0 offset:72
	buffer_store_dword v4, off, s[0:3], 0 offset:76
.LBB37_223:
	s_or_b64 exec, exec, s[4:5]
	s_waitcnt lgkmcnt(0)
	; wave barrier
	s_waitcnt lgkmcnt(0)
	buffer_load_dword v5, off, s[0:3], 0 offset:84
	buffer_load_dword v122, off, s[0:3], 0 offset:92
	;; [unrolled: 1-line block ×42, first 2 shown]
	ds_read_b128 v[6:9], v4 offset:384
	ds_read_b128 v[10:13], v4 offset:400
	;; [unrolled: 1-line block ×8, first 2 shown]
	v_cmp_lt_u32_e32 vcc, 8, v0
	s_waitcnt vmcnt(41) lgkmcnt(7)
	v_mul_f32_e32 v114, v6, v5
	s_waitcnt vmcnt(40)
	v_mul_f32_e32 v115, v8, v122
	s_waitcnt vmcnt(39) lgkmcnt(6)
	v_mul_f32_e32 v116, v10, v124
	s_waitcnt vmcnt(38)
	v_mul_f32_e32 v117, v12, v132
	;; [unrolled: 4-line block ×7, first 2 shown]
	s_waitcnt vmcnt(27) lgkmcnt(0)
	v_mul_f32_e32 v130, v110, v154
	s_waitcnt vmcnt(26)
	v_fmac_f32_e32 v114, v7, v155
	s_waitcnt vmcnt(25)
	v_fmac_f32_e32 v115, v9, v156
	v_add_f32_e32 v114, 0, v114
	s_waitcnt vmcnt(24)
	v_fmac_f32_e32 v116, v11, v157
	v_add_f32_e32 v114, v114, v115
	;; [unrolled: 3-line block ×14, first 2 shown]
	s_waitcnt vmcnt(11)
	v_mul_f32_e32 v119, v112, v170
	v_add_f32_e32 v118, v114, v130
	s_waitcnt vmcnt(10)
	v_fmac_f32_e32 v119, v113, v171
	ds_read_b128 v[114:117], v4 offset:512
	v_add_f32_e32 v123, v118, v119
	ds_read_b128 v[118:121], v4 offset:528
	buffer_load_dword v127, off, s[0:3], 0 offset:244
	buffer_load_dword v129, off, s[0:3], 0 offset:260
	;; [unrolled: 1-line block ×16, first 2 shown]
	v_mul_f32_e32 v5, v7, v5
	v_fma_f32 v5, v6, v155, -v5
	v_mul_f32_e32 v6, v9, v122
	v_add_f32_e32 v5, 0, v5
	v_fma_f32 v6, v8, v156, -v6
	v_add_f32_e32 v5, v5, v6
	v_mul_f32_e32 v6, v11, v124
	v_fma_f32 v6, v10, v157, -v6
	v_add_f32_e32 v5, v5, v6
	v_mul_f32_e32 v6, v13, v132
	;; [unrolled: 3-line block ×14, first 2 shown]
	v_fma_f32 v6, v112, v171, -v6
	v_add_f32_e32 v5, v5, v6
	s_waitcnt vmcnt(25) lgkmcnt(1)
	v_mul_f32_e32 v6, v115, v172
	s_waitcnt vmcnt(24)
	v_fma_f32 v6, v114, v173, -v6
	v_add_f32_e32 v5, v5, v6
	s_waitcnt vmcnt(23)
	v_mul_f32_e32 v6, v117, v174
	s_waitcnt vmcnt(22)
	v_fma_f32 v6, v116, v175, -v6
	v_add_f32_e32 v122, v5, v6
	ds_read_b128 v[6:9], v4 offset:544
	ds_read_b128 v[10:13], v4 offset:560
	;; [unrolled: 1-line block ×4, first 2 shown]
	v_mul_f32_e32 v125, v114, v172
	v_fmac_f32_e32 v125, v115, v173
	v_add_f32_e32 v123, v123, v125
	v_mul_f32_e32 v125, v116, v174
	v_fmac_f32_e32 v125, v117, v175
	v_add_f32_e32 v123, v123, v125
	s_waitcnt vmcnt(21) lgkmcnt(4)
	v_mul_f32_e32 v125, v118, v176
	v_mul_f32_e32 v5, v119, v176
	s_waitcnt vmcnt(20)
	v_fmac_f32_e32 v125, v119, v177
	s_waitcnt vmcnt(19)
	v_mul_f32_e32 v133, v120, v178
	v_fma_f32 v124, v118, v177, -v5
	v_mul_f32_e32 v5, v121, v178
	s_waitcnt vmcnt(18)
	v_fmac_f32_e32 v133, v121, v179
	v_fma_f32 v132, v120, v179, -v5
	v_pk_add_f32 v[4:5], v[122:123], v[124:125]
	v_pk_add_f32 v[4:5], v[4:5], v[132:133]
	s_waitcnt vmcnt(15)
	v_mov_b32_e32 v98, v127
	s_waitcnt lgkmcnt(3)
	v_pk_mul_f32 v[98:99], v[6:7], v[98:99] op_sel_hi:[1,0]
	s_waitcnt vmcnt(10)
	v_pk_fma_f32 v[100:101], v[6:7], v[126:127], v[98:99] op_sel:[0,0,1] op_sel_hi:[1,1,0] neg_lo:[0,0,1] neg_hi:[0,0,1]
	v_pk_fma_f32 v[6:7], v[6:7], v[126:127], v[98:99] op_sel:[0,0,1] op_sel_hi:[1,0,0]
	v_mov_b32_e32 v6, v131
	v_mov_b32_e32 v101, v7
	v_pk_mul_f32 v[6:7], v[8:9], v[6:7] op_sel_hi:[1,0]
	v_pk_fma_f32 v[98:99], v[8:9], v[130:131], v[6:7] op_sel:[0,0,1] op_sel_hi:[1,1,0] neg_lo:[0,0,1] neg_hi:[0,0,1]
	v_pk_fma_f32 v[6:7], v[8:9], v[130:131], v[6:7] op_sel:[0,0,1] op_sel_hi:[1,0,0]
	v_mov_b32_e32 v6, v129
	v_mov_b32_e32 v99, v7
	s_waitcnt lgkmcnt(2)
	v_pk_mul_f32 v[6:7], v[10:11], v[6:7] op_sel_hi:[1,0]
	v_pk_fma_f32 v[8:9], v[10:11], v[128:129], v[6:7] op_sel:[0,0,1] op_sel_hi:[1,1,0] neg_lo:[0,0,1] neg_hi:[0,0,1]
	v_pk_fma_f32 v[6:7], v[10:11], v[128:129], v[6:7] op_sel:[0,0,1] op_sel_hi:[1,0,0]
	v_pk_add_f32 v[4:5], v[4:5], v[100:101]
	s_waitcnt vmcnt(3)
	v_mov_b32_e32 v6, v141
	v_pk_add_f32 v[4:5], v[4:5], v[98:99]
	v_mov_b32_e32 v9, v7
	v_pk_mul_f32 v[6:7], v[12:13], v[6:7] op_sel_hi:[1,0]
	v_pk_add_f32 v[4:5], v[4:5], v[8:9]
	s_waitcnt vmcnt(2)
	v_pk_fma_f32 v[8:9], v[12:13], v[140:141], v[6:7] op_sel:[0,0,1] op_sel_hi:[1,1,0] neg_lo:[0,0,1] neg_hi:[0,0,1]
	v_pk_fma_f32 v[6:7], v[12:13], v[140:141], v[6:7] op_sel:[0,0,1] op_sel_hi:[1,0,0]
	v_mov_b32_e32 v6, v139
	v_mov_b32_e32 v9, v7
	s_waitcnt lgkmcnt(1)
	v_pk_mul_f32 v[6:7], v[14:15], v[6:7] op_sel_hi:[1,0]
	v_pk_add_f32 v[4:5], v[4:5], v[8:9]
	v_pk_fma_f32 v[8:9], v[14:15], v[138:139], v[6:7] op_sel:[0,0,1] op_sel_hi:[1,1,0] neg_lo:[0,0,1] neg_hi:[0,0,1]
	v_pk_fma_f32 v[6:7], v[14:15], v[138:139], v[6:7] op_sel:[0,0,1] op_sel_hi:[1,0,0]
	v_mov_b32_e32 v6, v137
	v_mov_b32_e32 v9, v7
	v_pk_mul_f32 v[6:7], v[16:17], v[6:7] op_sel_hi:[1,0]
	v_pk_add_f32 v[4:5], v[4:5], v[8:9]
	v_pk_fma_f32 v[8:9], v[16:17], v[136:137], v[6:7] op_sel:[0,0,1] op_sel_hi:[1,1,0] neg_lo:[0,0,1] neg_hi:[0,0,1]
	v_pk_fma_f32 v[6:7], v[16:17], v[136:137], v[6:7] op_sel:[0,0,1] op_sel_hi:[1,0,0]
	v_mov_b32_e32 v6, v135
	v_mov_b32_e32 v9, v7
	s_waitcnt lgkmcnt(0)
	v_pk_mul_f32 v[6:7], v[94:95], v[6:7] op_sel_hi:[1,0]
	v_pk_add_f32 v[4:5], v[4:5], v[8:9]
	v_pk_fma_f32 v[8:9], v[94:95], v[134:135], v[6:7] op_sel:[0,0,1] op_sel_hi:[1,1,0] neg_lo:[0,0,1] neg_hi:[0,0,1]
	v_pk_fma_f32 v[6:7], v[94:95], v[134:135], v[6:7] op_sel:[0,0,1] op_sel_hi:[1,0,0]
	s_waitcnt vmcnt(1)
	v_mov_b32_e32 v6, v143
	v_mov_b32_e32 v9, v7
	v_pk_mul_f32 v[6:7], v[96:97], v[6:7] op_sel_hi:[1,0]
	v_pk_add_f32 v[4:5], v[4:5], v[8:9]
	s_waitcnt vmcnt(0)
	v_pk_fma_f32 v[8:9], v[96:97], v[142:143], v[6:7] op_sel:[0,0,1] op_sel_hi:[1,1,0] neg_lo:[0,0,1] neg_hi:[0,0,1]
	v_pk_fma_f32 v[6:7], v[96:97], v[142:143], v[6:7] op_sel:[0,0,1] op_sel_hi:[1,0,0]
	v_mov_b32_e32 v9, v7
	v_pk_add_f32 v[4:5], v[4:5], v[8:9]
	v_pk_add_f32 v[2:3], v[2:3], v[4:5] neg_lo:[0,1] neg_hi:[0,1]
	buffer_store_dword v3, off, s[0:3], 0 offset:76
	buffer_store_dword v2, off, s[0:3], 0 offset:72
	s_and_saveexec_b64 s[4:5], vcc
	s_cbranch_execz .LBB37_225
; %bb.224:
	buffer_load_dword v2, off, s[0:3], 0 offset:64
	buffer_load_dword v3, off, s[0:3], 0 offset:68
	v_mov_b32_e32 v4, 0
	buffer_store_dword v4, off, s[0:3], 0 offset:64
	buffer_store_dword v4, off, s[0:3], 0 offset:68
	s_waitcnt vmcnt(2)
	ds_write_b64 v1, v[2:3]
.LBB37_225:
	s_or_b64 exec, exec, s[4:5]
	s_waitcnt lgkmcnt(0)
	; wave barrier
	s_waitcnt lgkmcnt(0)
	buffer_load_dword v5, off, s[0:3], 0 offset:76
	buffer_load_dword v130, off, s[0:3], 0 offset:84
	buffer_load_dword v136, off, s[0:3], 0 offset:92
	buffer_load_dword v138, off, s[0:3], 0 offset:100
	buffer_load_dword v152, off, s[0:3], 0 offset:108
	buffer_load_dword v153, off, s[0:3], 0 offset:116
	buffer_load_dword v154, off, s[0:3], 0 offset:124
	buffer_load_dword v155, off, s[0:3], 0 offset:132
	buffer_load_dword v156, off, s[0:3], 0 offset:140
	buffer_load_dword v157, off, s[0:3], 0 offset:148
	buffer_load_dword v158, off, s[0:3], 0 offset:156
	buffer_load_dword v159, off, s[0:3], 0 offset:164
	buffer_load_dword v160, off, s[0:3], 0 offset:172
	buffer_load_dword v161, off, s[0:3], 0 offset:180
	buffer_load_dword v162, off, s[0:3], 0 offset:72
	buffer_load_dword v163, off, s[0:3], 0 offset:80
	buffer_load_dword v164, off, s[0:3], 0 offset:88
	buffer_load_dword v165, off, s[0:3], 0 offset:96
	buffer_load_dword v166, off, s[0:3], 0 offset:104
	buffer_load_dword v167, off, s[0:3], 0 offset:112
	buffer_load_dword v168, off, s[0:3], 0 offset:120
	buffer_load_dword v169, off, s[0:3], 0 offset:128
	buffer_load_dword v170, off, s[0:3], 0 offset:136
	buffer_load_dword v171, off, s[0:3], 0 offset:144
	buffer_load_dword v172, off, s[0:3], 0 offset:152
	buffer_load_dword v173, off, s[0:3], 0 offset:160
	buffer_load_dword v174, off, s[0:3], 0 offset:168
	buffer_load_dword v175, off, s[0:3], 0 offset:176
	buffer_load_dword v176, off, s[0:3], 0 offset:188
	buffer_load_dword v177, off, s[0:3], 0 offset:184
	buffer_load_dword v178, off, s[0:3], 0 offset:196
	buffer_load_dword v179, off, s[0:3], 0 offset:192
	buffer_load_dword v180, off, s[0:3], 0 offset:204
	buffer_load_dword v181, off, s[0:3], 0 offset:200
	buffer_load_dword v182, off, s[0:3], 0 offset:212
	buffer_load_dword v183, off, s[0:3], 0 offset:208
	buffer_load_dword v184, off, s[0:3], 0 offset:220
	buffer_load_dword v185, off, s[0:3], 0 offset:216
	buffer_load_dword v186, off, s[0:3], 0 offset:228
	buffer_load_dword v187, off, s[0:3], 0 offset:224
	buffer_load_dword v188, off, s[0:3], 0 offset:236
	buffer_load_dword v189, off, s[0:3], 0 offset:232
	buffer_load_dword v2, off, s[0:3], 0 offset:64
	buffer_load_dword v3, off, s[0:3], 0 offset:68
	v_mov_b32_e32 v4, 0
	ds_read2_b64 v[6:9], v4 offset0:47 offset1:48
	ds_read2_b64 v[10:13], v4 offset0:49 offset1:50
	;; [unrolled: 1-line block ×8, first 2 shown]
	v_cmp_lt_u32_e32 vcc, 7, v0
	s_waitcnt vmcnt(43) lgkmcnt(7)
	v_mul_f32_e32 v114, v6, v5
	s_waitcnt vmcnt(42)
	v_mul_f32_e32 v115, v8, v130
	s_waitcnt vmcnt(41) lgkmcnt(6)
	v_mul_f32_e32 v116, v10, v136
	s_waitcnt vmcnt(40)
	v_mul_f32_e32 v117, v12, v138
	;; [unrolled: 4-line block ×7, first 2 shown]
	s_waitcnt vmcnt(29)
	v_fmac_f32_e32 v114, v7, v162
	s_waitcnt vmcnt(28)
	v_fmac_f32_e32 v115, v9, v163
	v_add_f32_e32 v114, 0, v114
	s_waitcnt vmcnt(27)
	v_fmac_f32_e32 v116, v11, v164
	v_add_f32_e32 v114, v114, v115
	;; [unrolled: 3-line block ×12, first 2 shown]
	v_add_f32_e32 v114, v114, v126
	s_waitcnt vmcnt(16)
	v_fmac_f32_e32 v127, v109, v175
	s_waitcnt vmcnt(15) lgkmcnt(0)
	v_mul_f32_e32 v115, v110, v176
	v_add_f32_e32 v114, v114, v127
	s_waitcnt vmcnt(14)
	v_fmac_f32_e32 v115, v111, v177
	v_add_f32_e32 v118, v114, v115
	ds_read2_b64 v[114:117], v4 offset0:63 offset1:64
	s_waitcnt vmcnt(13)
	v_mul_f32_e32 v119, v112, v178
	s_waitcnt vmcnt(12)
	v_fmac_f32_e32 v119, v113, v179
	v_add_f32_e32 v122, v118, v119
	ds_read2_b64 v[118:121], v4 offset0:65 offset1:66
	s_waitcnt vmcnt(11) lgkmcnt(1)
	v_mul_f32_e32 v123, v114, v180
	s_waitcnt vmcnt(10)
	v_fmac_f32_e32 v123, v115, v181
	v_add_f32_e32 v122, v122, v123
	s_waitcnt vmcnt(9)
	v_mul_f32_e32 v123, v116, v182
	s_waitcnt vmcnt(8)
	v_fmac_f32_e32 v123, v117, v183
	v_add_f32_e32 v122, v122, v123
	s_waitcnt vmcnt(7) lgkmcnt(0)
	v_mul_f32_e32 v123, v118, v184
	s_waitcnt vmcnt(6)
	v_fmac_f32_e32 v123, v119, v185
	v_add_f32_e32 v131, v122, v123
	ds_read2_b64 v[122:125], v4 offset0:67 offset1:68
	buffer_load_dword v133, off, s[0:3], 0 offset:252
	buffer_load_dword v132, off, s[0:3], 0 offset:248
	;; [unrolled: 1-line block ×4, first 2 shown]
	ds_read2_b64 v[126:129], v4 offset0:69 offset1:70
	buffer_load_dword v141, off, s[0:3], 0 offset:284
	buffer_load_dword v140, off, s[0:3], 0 offset:280
	;; [unrolled: 1-line block ×12, first 2 shown]
	v_mul_f32_e32 v5, v7, v5
	v_fma_f32 v5, v6, v162, -v5
	v_mul_f32_e32 v6, v9, v130
	v_add_f32_e32 v5, 0, v5
	v_fma_f32 v6, v8, v163, -v6
	v_add_f32_e32 v5, v5, v6
	v_mul_f32_e32 v6, v11, v136
	v_fma_f32 v6, v10, v164, -v6
	v_add_f32_e32 v5, v5, v6
	v_mul_f32_e32 v6, v13, v138
	;; [unrolled: 3-line block ×17, first 2 shown]
	v_fma_f32 v6, v118, v185, -v6
	s_waitcnt vmcnt(21)
	v_mul_f32_e32 v137, v120, v186
	v_add_f32_e32 v130, v5, v6
	v_mul_f32_e32 v5, v121, v186
	s_waitcnt vmcnt(20)
	v_fmac_f32_e32 v137, v121, v187
	s_waitcnt vmcnt(19) lgkmcnt(1)
	v_mul_f32_e32 v139, v122, v188
	v_fma_f32 v136, v120, v187, -v5
	v_mul_f32_e32 v5, v123, v188
	s_waitcnt vmcnt(18)
	v_fmac_f32_e32 v139, v123, v189
	v_fma_f32 v138, v122, v189, -v5
	v_pk_add_f32 v[16:17], v[130:131], v[136:137]
	v_pk_add_f32 v[16:17], v[16:17], v[138:139]
	ds_read2_b64 v[6:9], v4 offset0:71 offset1:72
	ds_read2_b64 v[10:13], v4 offset0:73 offset1:74
	ds_read_b64 v[14:15], v4 offset:600
	s_waitcnt vmcnt(13)
	v_mov_b32_e32 v94, v135
	v_pk_mul_f32 v[94:95], v[124:125], v[94:95] op_sel_hi:[1,0]
	s_waitcnt vmcnt(12)
	v_pk_fma_f32 v[96:97], v[124:125], v[134:135], v[94:95] op_sel:[0,0,1] op_sel_hi:[1,1,0] neg_lo:[0,0,1] neg_hi:[0,0,1]
	v_pk_fma_f32 v[94:95], v[124:125], v[134:135], v[94:95] op_sel:[0,0,1] op_sel_hi:[1,0,0]
	v_mov_b32_e32 v94, v133
	v_mov_b32_e32 v97, v95
	s_waitcnt lgkmcnt(3)
	v_pk_mul_f32 v[94:95], v[126:127], v[94:95] op_sel_hi:[1,0]
	v_pk_add_f32 v[16:17], v[16:17], v[96:97]
	v_pk_fma_f32 v[96:97], v[126:127], v[132:133], v[94:95] op_sel:[0,0,1] op_sel_hi:[1,1,0] neg_lo:[0,0,1] neg_hi:[0,0,1]
	v_pk_fma_f32 v[94:95], v[126:127], v[132:133], v[94:95] op_sel:[0,0,1] op_sel_hi:[1,0,0]
	s_waitcnt vmcnt(5)
	v_mov_b32_e32 v94, v147
	v_mov_b32_e32 v97, v95
	v_pk_mul_f32 v[94:95], v[128:129], v[94:95] op_sel_hi:[1,0]
	v_pk_add_f32 v[16:17], v[16:17], v[96:97]
	s_waitcnt vmcnt(4)
	v_pk_fma_f32 v[96:97], v[128:129], v[146:147], v[94:95] op_sel:[0,0,1] op_sel_hi:[1,1,0] neg_lo:[0,0,1] neg_hi:[0,0,1]
	v_pk_fma_f32 v[94:95], v[128:129], v[146:147], v[94:95] op_sel:[0,0,1] op_sel_hi:[1,0,0]
	v_mov_b32_e32 v94, v145
	v_mov_b32_e32 v97, v95
	s_waitcnt lgkmcnt(2)
	v_pk_mul_f32 v[94:95], v[6:7], v[94:95] op_sel_hi:[1,0]
	v_pk_add_f32 v[16:17], v[16:17], v[96:97]
	v_pk_fma_f32 v[96:97], v[6:7], v[144:145], v[94:95] op_sel:[0,0,1] op_sel_hi:[1,1,0] neg_lo:[0,0,1] neg_hi:[0,0,1]
	v_pk_fma_f32 v[6:7], v[6:7], v[144:145], v[94:95] op_sel:[0,0,1] op_sel_hi:[1,0,0]
	v_mov_b32_e32 v97, v7
	v_pk_add_f32 v[6:7], v[16:17], v[96:97]
	v_mov_b32_e32 v16, v143
	v_pk_mul_f32 v[16:17], v[8:9], v[16:17] op_sel_hi:[1,0]
	v_pk_fma_f32 v[94:95], v[8:9], v[142:143], v[16:17] op_sel:[0,0,1] op_sel_hi:[1,1,0] neg_lo:[0,0,1] neg_hi:[0,0,1]
	v_pk_fma_f32 v[8:9], v[8:9], v[142:143], v[16:17] op_sel:[0,0,1] op_sel_hi:[1,0,0]
	v_mov_b32_e32 v8, v141
	v_mov_b32_e32 v95, v9
	s_waitcnt lgkmcnt(1)
	v_pk_mul_f32 v[8:9], v[10:11], v[8:9] op_sel_hi:[1,0]
	v_pk_fma_f32 v[16:17], v[10:11], v[140:141], v[8:9] op_sel:[0,0,1] op_sel_hi:[1,1,0] neg_lo:[0,0,1] neg_hi:[0,0,1]
	v_pk_fma_f32 v[8:9], v[10:11], v[140:141], v[8:9] op_sel:[0,0,1] op_sel_hi:[1,0,0]
	s_waitcnt vmcnt(1)
	v_mov_b32_e32 v8, v151
	v_mov_b32_e32 v17, v9
	v_pk_mul_f32 v[8:9], v[12:13], v[8:9] op_sel_hi:[1,0]
	s_waitcnt vmcnt(0)
	v_pk_fma_f32 v[10:11], v[12:13], v[150:151], v[8:9] op_sel:[0,0,1] op_sel_hi:[1,1,0] neg_lo:[0,0,1] neg_hi:[0,0,1]
	v_pk_fma_f32 v[8:9], v[12:13], v[150:151], v[8:9] op_sel:[0,0,1] op_sel_hi:[1,0,0]
	v_pk_add_f32 v[6:7], v[6:7], v[94:95]
	v_mov_b32_e32 v8, v149
	v_pk_add_f32 v[6:7], v[6:7], v[16:17]
	v_mov_b32_e32 v11, v9
	s_waitcnt lgkmcnt(0)
	v_pk_mul_f32 v[8:9], v[14:15], v[8:9] op_sel_hi:[1,0]
	v_pk_add_f32 v[6:7], v[6:7], v[10:11]
	v_pk_fma_f32 v[10:11], v[14:15], v[148:149], v[8:9] op_sel:[0,0,1] op_sel_hi:[1,1,0] neg_lo:[0,0,1] neg_hi:[0,0,1]
	v_pk_fma_f32 v[8:9], v[14:15], v[148:149], v[8:9] op_sel:[0,0,1] op_sel_hi:[1,0,0]
	v_mov_b32_e32 v11, v9
	v_pk_add_f32 v[6:7], v[6:7], v[10:11]
	v_pk_add_f32 v[2:3], v[2:3], v[6:7] neg_lo:[0,1] neg_hi:[0,1]
	buffer_store_dword v3, off, s[0:3], 0 offset:68
	buffer_store_dword v2, off, s[0:3], 0 offset:64
	s_and_saveexec_b64 s[4:5], vcc
	s_cbranch_execz .LBB37_227
; %bb.226:
	buffer_load_dword v2, off, s[0:3], 0 offset:56
	buffer_load_dword v3, off, s[0:3], 0 offset:60
	s_waitcnt vmcnt(0)
	ds_write_b64 v1, v[2:3]
	buffer_store_dword v4, off, s[0:3], 0 offset:56
	buffer_store_dword v4, off, s[0:3], 0 offset:60
.LBB37_227:
	s_or_b64 exec, exec, s[4:5]
	s_waitcnt lgkmcnt(0)
	; wave barrier
	s_waitcnt lgkmcnt(0)
	buffer_load_dword v5, off, s[0:3], 0 offset:68
	buffer_load_dword v132, off, s[0:3], 0 offset:76
	;; [unrolled: 1-line block ×46, first 2 shown]
	ds_read_b128 v[6:9], v4 offset:368
	ds_read_b128 v[10:13], v4 offset:384
	;; [unrolled: 1-line block ×8, first 2 shown]
	v_cmp_lt_u32_e32 vcc, 6, v0
	s_waitcnt vmcnt(45) lgkmcnt(7)
	v_mul_f32_e32 v114, v6, v5
	s_waitcnt vmcnt(44)
	v_mul_f32_e32 v115, v8, v132
	s_waitcnt vmcnt(43) lgkmcnt(6)
	v_mul_f32_e32 v116, v10, v134
	s_waitcnt vmcnt(42)
	v_mul_f32_e32 v117, v12, v136
	;; [unrolled: 4-line block ×6, first 2 shown]
	s_waitcnt vmcnt(33) lgkmcnt(1)
	v_mul_f32_e32 v126, v106, v160
	s_waitcnt vmcnt(32)
	v_fmac_f32_e32 v114, v7, v161
	s_waitcnt vmcnt(31)
	v_fmac_f32_e32 v115, v9, v162
	v_add_f32_e32 v114, 0, v114
	s_waitcnt vmcnt(30)
	v_fmac_f32_e32 v116, v11, v163
	v_add_f32_e32 v114, v114, v115
	;; [unrolled: 3-line block ×12, first 2 shown]
	s_waitcnt vmcnt(19)
	v_mul_f32_e32 v115, v108, v174
	v_add_f32_e32 v114, v114, v126
	s_waitcnt vmcnt(18)
	v_fmac_f32_e32 v115, v109, v175
	v_add_f32_e32 v114, v114, v115
	s_waitcnt vmcnt(17) lgkmcnt(0)
	v_mul_f32_e32 v115, v110, v176
	s_waitcnt vmcnt(16)
	v_fmac_f32_e32 v115, v111, v177
	v_add_f32_e32 v118, v114, v115
	ds_read_b128 v[114:117], v4 offset:496
	s_waitcnt vmcnt(15)
	v_mul_f32_e32 v119, v112, v178
	s_waitcnt vmcnt(14)
	v_fmac_f32_e32 v119, v113, v179
	v_add_f32_e32 v122, v118, v119
	ds_read_b128 v[118:121], v4 offset:512
	buffer_load_dword v131, off, s[0:3], 0 offset:244
	buffer_load_dword v130, off, s[0:3], 0 offset:240
	s_waitcnt vmcnt(15) lgkmcnt(1)
	v_mul_f32_e32 v123, v114, v180
	s_waitcnt vmcnt(14)
	v_fmac_f32_e32 v123, v115, v181
	v_add_f32_e32 v122, v122, v123
	s_waitcnt vmcnt(13)
	v_mul_f32_e32 v123, v116, v182
	s_waitcnt vmcnt(12)
	v_fmac_f32_e32 v123, v117, v183
	v_add_f32_e32 v122, v122, v123
	s_waitcnt vmcnt(11) lgkmcnt(0)
	v_mul_f32_e32 v123, v118, v184
	s_waitcnt vmcnt(10)
	v_fmac_f32_e32 v123, v119, v185
	s_waitcnt vmcnt(9)
	v_mul_f32_e32 v127, v120, v186
	v_add_f32_e32 v126, v122, v123
	s_waitcnt vmcnt(8)
	v_fmac_f32_e32 v127, v121, v187
	ds_read_b128 v[122:125], v4 offset:528
	v_add_f32_e32 v133, v126, v127
	ds_read_b128 v[126:129], v4 offset:544
	buffer_load_dword v139, off, s[0:3], 0 offset:276
	buffer_load_dword v138, off, s[0:3], 0 offset:272
	;; [unrolled: 1-line block ×14, first 2 shown]
	v_mul_f32_e32 v5, v7, v5
	v_fma_f32 v5, v6, v161, -v5
	v_mul_f32_e32 v6, v9, v132
	v_add_f32_e32 v5, 0, v5
	v_fma_f32 v6, v8, v162, -v6
	v_add_f32_e32 v5, v5, v6
	v_mul_f32_e32 v6, v11, v134
	v_fma_f32 v6, v10, v163, -v6
	v_add_f32_e32 v5, v5, v6
	v_mul_f32_e32 v6, v13, v136
	;; [unrolled: 3-line block ×18, first 2 shown]
	v_fma_f32 v6, v120, v187, -v6
	s_waitcnt vmcnt(21) lgkmcnt(1)
	v_mul_f32_e32 v135, v122, v188
	v_add_f32_e32 v132, v5, v6
	v_mul_f32_e32 v5, v123, v188
	s_waitcnt vmcnt(20)
	v_fmac_f32_e32 v135, v123, v189
	s_waitcnt vmcnt(15)
	v_mov_b32_e32 v94, v131
	s_waitcnt lgkmcnt(0)
	v_pk_mul_f32 v[94:95], v[126:127], v[94:95] op_sel_hi:[1,0]
	v_mul_f32_e32 v137, v124, v190
	v_fma_f32 v134, v122, v189, -v5
	v_mul_f32_e32 v5, v125, v190
	s_waitcnt vmcnt(14)
	v_pk_fma_f32 v[96:97], v[126:127], v[130:131], v[94:95] op_sel:[0,0,1] op_sel_hi:[1,1,0] neg_lo:[0,0,1] neg_hi:[0,0,1]
	v_pk_fma_f32 v[94:95], v[126:127], v[130:131], v[94:95] op_sel:[0,0,1] op_sel_hi:[1,0,0]
	v_fmac_f32_e32 v137, v125, v191
	v_fma_f32 v136, v124, v191, -v5
	ds_read_b128 v[6:9], v4 offset:560
	ds_read_b128 v[10:13], v4 offset:576
	;; [unrolled: 1-line block ×3, first 2 shown]
	v_pk_add_f32 v[4:5], v[132:133], v[134:135]
	s_waitcnt vmcnt(7)
	v_mov_b32_e32 v94, v145
	v_pk_add_f32 v[4:5], v[4:5], v[136:137]
	v_mov_b32_e32 v97, v95
	v_pk_mul_f32 v[94:95], v[128:129], v[94:95] op_sel_hi:[1,0]
	v_pk_add_f32 v[4:5], v[4:5], v[96:97]
	s_waitcnt vmcnt(6)
	v_pk_fma_f32 v[96:97], v[128:129], v[144:145], v[94:95] op_sel:[0,0,1] op_sel_hi:[1,1,0] neg_lo:[0,0,1] neg_hi:[0,0,1]
	v_pk_fma_f32 v[94:95], v[128:129], v[144:145], v[94:95] op_sel:[0,0,1] op_sel_hi:[1,0,0]
	v_mov_b32_e32 v94, v143
	v_mov_b32_e32 v97, v95
	s_waitcnt lgkmcnt(2)
	v_pk_mul_f32 v[94:95], v[6:7], v[94:95] op_sel_hi:[1,0]
	v_pk_add_f32 v[4:5], v[4:5], v[96:97]
	v_pk_fma_f32 v[96:97], v[6:7], v[142:143], v[94:95] op_sel:[0,0,1] op_sel_hi:[1,1,0] neg_lo:[0,0,1] neg_hi:[0,0,1]
	v_pk_fma_f32 v[6:7], v[6:7], v[142:143], v[94:95] op_sel:[0,0,1] op_sel_hi:[1,0,0]
	v_mov_b32_e32 v6, v141
	v_mov_b32_e32 v97, v7
	v_pk_mul_f32 v[6:7], v[8:9], v[6:7] op_sel_hi:[1,0]
	v_pk_fma_f32 v[94:95], v[8:9], v[140:141], v[6:7] op_sel:[0,0,1] op_sel_hi:[1,1,0] neg_lo:[0,0,1] neg_hi:[0,0,1]
	v_pk_fma_f32 v[6:7], v[8:9], v[140:141], v[6:7] op_sel:[0,0,1] op_sel_hi:[1,0,0]
	v_mov_b32_e32 v6, v139
	v_mov_b32_e32 v95, v7
	s_waitcnt lgkmcnt(1)
	v_pk_mul_f32 v[6:7], v[10:11], v[6:7] op_sel_hi:[1,0]
	v_pk_fma_f32 v[8:9], v[10:11], v[138:139], v[6:7] op_sel:[0,0,1] op_sel_hi:[1,1,0] neg_lo:[0,0,1] neg_hi:[0,0,1]
	v_pk_fma_f32 v[6:7], v[10:11], v[138:139], v[6:7] op_sel:[0,0,1] op_sel_hi:[1,0,0]
	v_pk_add_f32 v[4:5], v[4:5], v[96:97]
	s_waitcnt vmcnt(1)
	v_mov_b32_e32 v6, v151
	v_pk_add_f32 v[4:5], v[4:5], v[94:95]
	v_mov_b32_e32 v9, v7
	v_pk_mul_f32 v[6:7], v[12:13], v[6:7] op_sel_hi:[1,0]
	v_pk_add_f32 v[4:5], v[4:5], v[8:9]
	s_waitcnt vmcnt(0)
	v_pk_fma_f32 v[8:9], v[12:13], v[150:151], v[6:7] op_sel:[0,0,1] op_sel_hi:[1,1,0] neg_lo:[0,0,1] neg_hi:[0,0,1]
	v_pk_fma_f32 v[6:7], v[12:13], v[150:151], v[6:7] op_sel:[0,0,1] op_sel_hi:[1,0,0]
	v_mov_b32_e32 v6, v149
	v_mov_b32_e32 v9, v7
	s_waitcnt lgkmcnt(0)
	v_pk_mul_f32 v[6:7], v[14:15], v[6:7] op_sel_hi:[1,0]
	v_pk_add_f32 v[4:5], v[4:5], v[8:9]
	v_pk_fma_f32 v[8:9], v[14:15], v[148:149], v[6:7] op_sel:[0,0,1] op_sel_hi:[1,1,0] neg_lo:[0,0,1] neg_hi:[0,0,1]
	v_pk_fma_f32 v[6:7], v[14:15], v[148:149], v[6:7] op_sel:[0,0,1] op_sel_hi:[1,0,0]
	v_mov_b32_e32 v6, v147
	v_mov_b32_e32 v9, v7
	v_pk_mul_f32 v[6:7], v[16:17], v[6:7] op_sel_hi:[1,0]
	v_pk_add_f32 v[4:5], v[4:5], v[8:9]
	v_pk_fma_f32 v[8:9], v[16:17], v[146:147], v[6:7] op_sel:[0,0,1] op_sel_hi:[1,1,0] neg_lo:[0,0,1] neg_hi:[0,0,1]
	v_pk_fma_f32 v[6:7], v[16:17], v[146:147], v[6:7] op_sel:[0,0,1] op_sel_hi:[1,0,0]
	v_mov_b32_e32 v9, v7
	v_pk_add_f32 v[4:5], v[4:5], v[8:9]
	v_pk_add_f32 v[2:3], v[2:3], v[4:5] neg_lo:[0,1] neg_hi:[0,1]
	buffer_store_dword v3, off, s[0:3], 0 offset:60
	buffer_store_dword v2, off, s[0:3], 0 offset:56
	s_and_saveexec_b64 s[4:5], vcc
	s_cbranch_execz .LBB37_229
; %bb.228:
	buffer_load_dword v2, off, s[0:3], 0 offset:48
	buffer_load_dword v3, off, s[0:3], 0 offset:52
	v_mov_b32_e32 v4, 0
	buffer_store_dword v4, off, s[0:3], 0 offset:48
	buffer_store_dword v4, off, s[0:3], 0 offset:52
	s_waitcnt vmcnt(2)
	ds_write_b64 v1, v[2:3]
.LBB37_229:
	s_or_b64 exec, exec, s[4:5]
	s_waitcnt lgkmcnt(0)
	; wave barrier
	s_waitcnt lgkmcnt(0)
	buffer_load_dword v5, off, s[0:3], 0 offset:60
	buffer_load_dword v130, off, s[0:3], 0 offset:68
	;; [unrolled: 1-line block ×48, first 2 shown]
	v_mov_b32_e32 v4, 0
	ds_read2_b64 v[6:9], v4 offset0:45 offset1:46
	ds_read2_b64 v[10:13], v4 offset0:47 offset1:48
	;; [unrolled: 1-line block ×6, first 2 shown]
	v_cmp_lt_u32_e32 vcc, 5, v0
	s_waitcnt vmcnt(47) lgkmcnt(5)
	v_mul_f32_e32 v106, v6, v5
	s_waitcnt vmcnt(46)
	v_mul_f32_e32 v107, v8, v130
	s_waitcnt vmcnt(45) lgkmcnt(4)
	v_mul_f32_e32 v108, v10, v132
	s_waitcnt vmcnt(44)
	v_mul_f32_e32 v109, v12, v134
	;; [unrolled: 4-line block ×6, first 2 shown]
	s_waitcnt vmcnt(35)
	v_fmac_f32_e32 v106, v7, v160
	s_waitcnt vmcnt(34)
	v_fmac_f32_e32 v107, v9, v161
	v_add_f32_e32 v106, 0, v106
	s_waitcnt vmcnt(33)
	v_fmac_f32_e32 v108, v11, v162
	v_add_f32_e32 v106, v106, v107
	;; [unrolled: 3-line block ×8, first 2 shown]
	v_add_f32_e32 v110, v106, v114
	ds_read2_b64 v[106:109], v4 offset0:57 offset1:58
	s_waitcnt vmcnt(26)
	v_fmac_f32_e32 v115, v101, v169
	s_waitcnt vmcnt(25)
	v_fmac_f32_e32 v116, v103, v170
	v_add_f32_e32 v110, v110, v115
	s_waitcnt vmcnt(24)
	v_fmac_f32_e32 v117, v105, v171
	v_add_f32_e32 v110, v110, v116
	v_add_f32_e32 v114, v110, v117
	ds_read2_b64 v[110:113], v4 offset0:59 offset1:60
	s_waitcnt vmcnt(23) lgkmcnt(1)
	v_mul_f32_e32 v115, v106, v172
	s_waitcnt vmcnt(22)
	v_fmac_f32_e32 v115, v107, v173
	v_add_f32_e32 v114, v114, v115
	s_waitcnt vmcnt(21)
	v_mul_f32_e32 v115, v108, v174
	s_waitcnt vmcnt(20)
	v_fmac_f32_e32 v115, v109, v175
	v_add_f32_e32 v114, v114, v115
	s_waitcnt vmcnt(19) lgkmcnt(0)
	v_mul_f32_e32 v115, v110, v176
	s_waitcnt vmcnt(18)
	v_fmac_f32_e32 v115, v111, v177
	v_add_f32_e32 v118, v114, v115
	ds_read2_b64 v[114:117], v4 offset0:61 offset1:62
	s_waitcnt vmcnt(17)
	v_mul_f32_e32 v119, v112, v178
	s_waitcnt vmcnt(16)
	v_fmac_f32_e32 v119, v113, v179
	v_add_f32_e32 v122, v118, v119
	ds_read2_b64 v[118:121], v4 offset0:63 offset1:64
	s_waitcnt vmcnt(15) lgkmcnt(1)
	v_mul_f32_e32 v123, v114, v180
	s_waitcnt vmcnt(14)
	v_fmac_f32_e32 v123, v115, v181
	v_add_f32_e32 v122, v122, v123
	s_waitcnt vmcnt(13)
	v_mul_f32_e32 v123, v116, v182
	s_waitcnt vmcnt(12)
	v_fmac_f32_e32 v123, v117, v183
	v_add_f32_e32 v122, v122, v123
	s_waitcnt vmcnt(11) lgkmcnt(0)
	v_mul_f32_e32 v123, v118, v184
	s_waitcnt vmcnt(10)
	v_fmac_f32_e32 v123, v119, v185
	s_waitcnt vmcnt(9)
	v_mul_f32_e32 v127, v120, v186
	v_add_f32_e32 v126, v122, v123
	s_waitcnt vmcnt(8)
	v_fmac_f32_e32 v127, v121, v187
	ds_read2_b64 v[122:125], v4 offset0:65 offset1:66
	v_add_f32_e32 v131, v126, v127
	ds_read2_b64 v[126:129], v4 offset0:67 offset1:68
	buffer_load_dword v137, off, s[0:3], 0 offset:268
	buffer_load_dword v136, off, s[0:3], 0 offset:264
	;; [unrolled: 1-line block ×16, first 2 shown]
	v_mul_f32_e32 v5, v7, v5
	v_fma_f32 v5, v6, v160, -v5
	v_mul_f32_e32 v6, v9, v130
	v_add_f32_e32 v5, 0, v5
	v_fma_f32 v6, v8, v161, -v6
	v_add_f32_e32 v5, v5, v6
	v_mul_f32_e32 v6, v11, v132
	v_fma_f32 v6, v10, v162, -v6
	v_add_f32_e32 v5, v5, v6
	v_mul_f32_e32 v6, v13, v134
	;; [unrolled: 3-line block ×18, first 2 shown]
	v_fma_f32 v6, v120, v187, -v6
	s_waitcnt vmcnt(22) lgkmcnt(1)
	v_mul_f32_e32 v133, v122, v189
	v_add_f32_e32 v5, v5, v6
	v_mul_f32_e32 v6, v123, v189
	v_fmac_f32_e32 v133, v123, v188
	v_fma_f32 v6, v122, v188, -v6
	v_add_f32_e32 v131, v131, v133
	s_waitcnt vmcnt(19)
	v_mul_f32_e32 v133, v124, v190
	v_add_f32_e32 v130, v5, v6
	v_mul_f32_e32 v5, v125, v190
	s_waitcnt vmcnt(18)
	v_fmac_f32_e32 v133, v125, v191
	s_waitcnt vmcnt(17) lgkmcnt(0)
	v_mul_f32_e32 v135, v126, v192
	s_waitcnt vmcnt(9)
	v_mov_b32_e32 v98, v143
	v_pk_mul_f32 v[98:99], v[128:129], v[98:99] op_sel_hi:[1,0]
	v_fma_f32 v132, v124, v191, -v5
	v_mul_f32_e32 v5, v127, v192
	ds_read2_b64 v[6:9], v4 offset0:69 offset1:70
	ds_read2_b64 v[10:13], v4 offset0:71 offset1:72
	;; [unrolled: 1-line block ×3, first 2 shown]
	ds_read_b64 v[94:95], v4 offset:600
	s_waitcnt vmcnt(8)
	v_pk_fma_f32 v[100:101], v[128:129], v[142:143], v[98:99] op_sel:[0,0,1] op_sel_hi:[1,1,0] neg_lo:[0,0,1] neg_hi:[0,0,1]
	v_pk_fma_f32 v[98:99], v[128:129], v[142:143], v[98:99] op_sel:[0,0,1] op_sel_hi:[1,0,0]
	v_fmac_f32_e32 v135, v127, v193
	v_fma_f32 v134, v126, v193, -v5
	v_pk_add_f32 v[96:97], v[130:131], v[132:133]
	v_mov_b32_e32 v98, v141
	v_pk_add_f32 v[96:97], v[96:97], v[134:135]
	v_mov_b32_e32 v101, v99
	s_waitcnt lgkmcnt(3)
	v_pk_mul_f32 v[98:99], v[6:7], v[98:99] op_sel_hi:[1,0]
	v_pk_add_f32 v[96:97], v[96:97], v[100:101]
	v_pk_fma_f32 v[100:101], v[6:7], v[140:141], v[98:99] op_sel:[0,0,1] op_sel_hi:[1,1,0] neg_lo:[0,0,1] neg_hi:[0,0,1]
	v_pk_fma_f32 v[6:7], v[6:7], v[140:141], v[98:99] op_sel:[0,0,1] op_sel_hi:[1,0,0]
	v_mov_b32_e32 v101, v7
	v_pk_add_f32 v[6:7], v[96:97], v[100:101]
	v_mov_b32_e32 v96, v139
	v_pk_mul_f32 v[96:97], v[8:9], v[96:97] op_sel_hi:[1,0]
	v_pk_fma_f32 v[98:99], v[8:9], v[138:139], v[96:97] op_sel:[0,0,1] op_sel_hi:[1,1,0] neg_lo:[0,0,1] neg_hi:[0,0,1]
	v_pk_fma_f32 v[8:9], v[8:9], v[138:139], v[96:97] op_sel:[0,0,1] op_sel_hi:[1,0,0]
	v_mov_b32_e32 v8, v137
	v_mov_b32_e32 v99, v9
	s_waitcnt lgkmcnt(2)
	v_pk_mul_f32 v[8:9], v[10:11], v[8:9] op_sel_hi:[1,0]
	v_pk_fma_f32 v[96:97], v[10:11], v[136:137], v[8:9] op_sel:[0,0,1] op_sel_hi:[1,1,0] neg_lo:[0,0,1] neg_hi:[0,0,1]
	v_pk_fma_f32 v[8:9], v[10:11], v[136:137], v[8:9] op_sel:[0,0,1] op_sel_hi:[1,0,0]
	s_waitcnt vmcnt(1)
	v_mov_b32_e32 v8, v151
	v_mov_b32_e32 v97, v9
	v_pk_mul_f32 v[8:9], v[12:13], v[8:9] op_sel_hi:[1,0]
	s_waitcnt vmcnt(0)
	v_pk_fma_f32 v[10:11], v[12:13], v[150:151], v[8:9] op_sel:[0,0,1] op_sel_hi:[1,1,0] neg_lo:[0,0,1] neg_hi:[0,0,1]
	v_pk_fma_f32 v[8:9], v[12:13], v[150:151], v[8:9] op_sel:[0,0,1] op_sel_hi:[1,0,0]
	v_pk_add_f32 v[6:7], v[6:7], v[98:99]
	v_mov_b32_e32 v8, v149
	v_pk_add_f32 v[6:7], v[6:7], v[96:97]
	v_mov_b32_e32 v11, v9
	s_waitcnt lgkmcnt(1)
	v_pk_mul_f32 v[8:9], v[14:15], v[8:9] op_sel_hi:[1,0]
	v_pk_add_f32 v[6:7], v[6:7], v[10:11]
	v_pk_fma_f32 v[10:11], v[14:15], v[148:149], v[8:9] op_sel:[0,0,1] op_sel_hi:[1,1,0] neg_lo:[0,0,1] neg_hi:[0,0,1]
	v_pk_fma_f32 v[8:9], v[14:15], v[148:149], v[8:9] op_sel:[0,0,1] op_sel_hi:[1,0,0]
	v_mov_b32_e32 v8, v147
	v_mov_b32_e32 v11, v9
	v_pk_mul_f32 v[8:9], v[16:17], v[8:9] op_sel_hi:[1,0]
	v_pk_add_f32 v[6:7], v[6:7], v[10:11]
	v_pk_fma_f32 v[10:11], v[16:17], v[146:147], v[8:9] op_sel:[0,0,1] op_sel_hi:[1,1,0] neg_lo:[0,0,1] neg_hi:[0,0,1]
	v_pk_fma_f32 v[8:9], v[16:17], v[146:147], v[8:9] op_sel:[0,0,1] op_sel_hi:[1,0,0]
	v_mov_b32_e32 v8, v145
	v_mov_b32_e32 v11, v9
	s_waitcnt lgkmcnt(0)
	v_pk_mul_f32 v[8:9], v[94:95], v[8:9] op_sel_hi:[1,0]
	v_pk_add_f32 v[6:7], v[6:7], v[10:11]
	v_pk_fma_f32 v[10:11], v[94:95], v[144:145], v[8:9] op_sel:[0,0,1] op_sel_hi:[1,1,0] neg_lo:[0,0,1] neg_hi:[0,0,1]
	v_pk_fma_f32 v[8:9], v[94:95], v[144:145], v[8:9] op_sel:[0,0,1] op_sel_hi:[1,0,0]
	v_mov_b32_e32 v11, v9
	v_pk_add_f32 v[6:7], v[6:7], v[10:11]
	v_pk_add_f32 v[2:3], v[2:3], v[6:7] neg_lo:[0,1] neg_hi:[0,1]
	buffer_store_dword v3, off, s[0:3], 0 offset:52
	buffer_store_dword v2, off, s[0:3], 0 offset:48
	s_and_saveexec_b64 s[4:5], vcc
	s_cbranch_execz .LBB37_231
; %bb.230:
	buffer_load_dword v2, off, s[0:3], 0 offset:40
	buffer_load_dword v3, off, s[0:3], 0 offset:44
	s_waitcnt vmcnt(0)
	ds_write_b64 v1, v[2:3]
	buffer_store_dword v4, off, s[0:3], 0 offset:40
	buffer_store_dword v4, off, s[0:3], 0 offset:44
.LBB37_231:
	s_or_b64 exec, exec, s[4:5]
	s_waitcnt lgkmcnt(0)
	; wave barrier
	s_waitcnt lgkmcnt(0)
	buffer_load_dword v5, off, s[0:3], 0 offset:52
	buffer_load_dword v130, off, s[0:3], 0 offset:60
	;; [unrolled: 1-line block ×48, first 2 shown]
	ds_read_b128 v[6:9], v4 offset:352
	ds_read_b128 v[10:13], v4 offset:368
	;; [unrolled: 1-line block ×6, first 2 shown]
	buffer_load_dword v194, off, s[0:3], 0 offset:232
	buffer_load_dword v195, off, s[0:3], 0 offset:236
	v_cmp_lt_u32_e32 vcc, 4, v0
	s_waitcnt vmcnt(49) lgkmcnt(5)
	v_mul_f32_e32 v106, v6, v5
	s_waitcnt vmcnt(48)
	v_mul_f32_e32 v107, v8, v130
	s_waitcnt vmcnt(47) lgkmcnt(4)
	v_mul_f32_e32 v108, v10, v132
	s_waitcnt vmcnt(46)
	v_mul_f32_e32 v109, v12, v140
	;; [unrolled: 4-line block ×6, first 2 shown]
	s_waitcnt vmcnt(37)
	v_fmac_f32_e32 v106, v7, v160
	s_waitcnt vmcnt(36)
	v_fmac_f32_e32 v107, v9, v161
	v_add_f32_e32 v106, 0, v106
	s_waitcnt vmcnt(35)
	v_fmac_f32_e32 v108, v11, v162
	v_add_f32_e32 v106, v106, v107
	;; [unrolled: 3-line block ×9, first 2 shown]
	v_add_f32_e32 v110, v106, v115
	ds_read_b128 v[106:109], v4 offset:448
	s_waitcnt vmcnt(27)
	v_fmac_f32_e32 v116, v103, v170
	v_add_f32_e32 v110, v110, v116
	s_waitcnt vmcnt(26)
	v_fmac_f32_e32 v117, v105, v171
	v_add_f32_e32 v114, v110, v117
	ds_read_b128 v[110:113], v4 offset:464
	s_waitcnt vmcnt(25) lgkmcnt(1)
	v_mul_f32_e32 v115, v106, v172
	s_waitcnt vmcnt(24)
	v_fmac_f32_e32 v115, v107, v173
	v_add_f32_e32 v114, v114, v115
	s_waitcnt vmcnt(23)
	v_mul_f32_e32 v115, v108, v174
	s_waitcnt vmcnt(22)
	v_fmac_f32_e32 v115, v109, v175
	v_add_f32_e32 v114, v114, v115
	s_waitcnt vmcnt(21) lgkmcnt(0)
	v_mul_f32_e32 v115, v110, v176
	s_waitcnt vmcnt(20)
	v_fmac_f32_e32 v115, v111, v177
	v_add_f32_e32 v118, v114, v115
	ds_read_b128 v[114:117], v4 offset:480
	s_waitcnt vmcnt(19)
	v_mul_f32_e32 v119, v112, v178
	s_waitcnt vmcnt(18)
	v_fmac_f32_e32 v119, v113, v179
	v_add_f32_e32 v122, v118, v119
	ds_read_b128 v[118:121], v4 offset:496
	s_waitcnt vmcnt(17) lgkmcnt(1)
	v_mul_f32_e32 v123, v114, v180
	s_waitcnt vmcnt(16)
	v_fmac_f32_e32 v123, v115, v181
	v_add_f32_e32 v122, v122, v123
	s_waitcnt vmcnt(15)
	v_mul_f32_e32 v123, v116, v182
	s_waitcnt vmcnt(14)
	v_fmac_f32_e32 v123, v117, v183
	v_add_f32_e32 v122, v122, v123
	s_waitcnt vmcnt(13) lgkmcnt(0)
	v_mul_f32_e32 v123, v118, v184
	s_waitcnt vmcnt(12)
	v_fmac_f32_e32 v123, v119, v185
	s_waitcnt vmcnt(11)
	v_mul_f32_e32 v127, v120, v186
	v_add_f32_e32 v126, v122, v123
	s_waitcnt vmcnt(10)
	v_fmac_f32_e32 v127, v121, v187
	ds_read_b128 v[122:125], v4 offset:512
	v_add_f32_e32 v131, v126, v127
	ds_read_b128 v[126:129], v4 offset:528
	buffer_load_dword v135, off, s[0:3], 0 offset:260
	buffer_load_dword v134, off, s[0:3], 0 offset:256
	;; [unrolled: 1-line block ×16, first 2 shown]
	v_mul_f32_e32 v5, v7, v5
	v_fma_f32 v5, v6, v160, -v5
	v_mul_f32_e32 v6, v9, v130
	v_add_f32_e32 v5, 0, v5
	v_fma_f32 v6, v8, v161, -v6
	v_add_f32_e32 v5, v5, v6
	v_mul_f32_e32 v6, v11, v132
	v_fma_f32 v6, v10, v162, -v6
	v_add_f32_e32 v5, v5, v6
	v_mul_f32_e32 v6, v13, v140
	;; [unrolled: 3-line block ×18, first 2 shown]
	v_fma_f32 v6, v120, v187, -v6
	v_add_f32_e32 v5, v5, v6
	s_waitcnt vmcnt(23) lgkmcnt(1)
	v_mul_f32_e32 v6, v123, v188
	s_waitcnt vmcnt(22)
	v_fma_f32 v6, v122, v189, -v6
	v_add_f32_e32 v5, v5, v6
	s_waitcnt vmcnt(20)
	v_mul_f32_e32 v6, v125, v191
	v_fma_f32 v6, v124, v190, -v6
	v_add_f32_e32 v130, v5, v6
	ds_read_b128 v[6:9], v4 offset:544
	ds_read_b128 v[10:13], v4 offset:560
	;; [unrolled: 1-line block ×4, first 2 shown]
	v_mul_f32_e32 v133, v122, v188
	v_fmac_f32_e32 v133, v123, v189
	v_add_f32_e32 v131, v131, v133
	v_mul_f32_e32 v133, v124, v191
	v_fmac_f32_e32 v133, v125, v190
	v_add_f32_e32 v131, v131, v133
	s_waitcnt vmcnt(18) lgkmcnt(4)
	v_mul_f32_e32 v133, v126, v193
	v_mul_f32_e32 v5, v127, v193
	v_fmac_f32_e32 v133, v127, v192
	s_waitcnt vmcnt(16)
	v_mul_f32_e32 v141, v128, v195
	s_waitcnt vmcnt(11)
	v_mov_b32_e32 v98, v139
	s_waitcnt lgkmcnt(3)
	v_pk_mul_f32 v[98:99], v[6:7], v[98:99] op_sel_hi:[1,0]
	s_waitcnt vmcnt(10)
	v_pk_fma_f32 v[100:101], v[6:7], v[138:139], v[98:99] op_sel:[0,0,1] op_sel_hi:[1,1,0] neg_lo:[0,0,1] neg_hi:[0,0,1]
	v_pk_fma_f32 v[6:7], v[6:7], v[138:139], v[98:99] op_sel:[0,0,1] op_sel_hi:[1,0,0]
	v_mov_b32_e32 v6, v137
	v_mov_b32_e32 v101, v7
	v_pk_mul_f32 v[6:7], v[8:9], v[6:7] op_sel_hi:[1,0]
	v_pk_fma_f32 v[98:99], v[8:9], v[136:137], v[6:7] op_sel:[0,0,1] op_sel_hi:[1,1,0] neg_lo:[0,0,1] neg_hi:[0,0,1]
	v_pk_fma_f32 v[6:7], v[8:9], v[136:137], v[6:7] op_sel:[0,0,1] op_sel_hi:[1,0,0]
	v_fma_f32 v132, v126, v192, -v5
	v_mul_f32_e32 v5, v129, v195
	v_mov_b32_e32 v6, v135
	v_fmac_f32_e32 v141, v129, v194
	v_fma_f32 v140, v128, v194, -v5
	v_pk_add_f32 v[4:5], v[130:131], v[132:133]
	v_mov_b32_e32 v99, v7
	s_waitcnt lgkmcnt(2)
	v_pk_mul_f32 v[6:7], v[10:11], v[6:7] op_sel_hi:[1,0]
	v_pk_add_f32 v[4:5], v[4:5], v[140:141]
	v_pk_fma_f32 v[8:9], v[10:11], v[134:135], v[6:7] op_sel:[0,0,1] op_sel_hi:[1,1,0] neg_lo:[0,0,1] neg_hi:[0,0,1]
	v_pk_fma_f32 v[6:7], v[10:11], v[134:135], v[6:7] op_sel:[0,0,1] op_sel_hi:[1,0,0]
	v_pk_add_f32 v[4:5], v[4:5], v[100:101]
	s_waitcnt vmcnt(3)
	v_mov_b32_e32 v6, v149
	v_pk_add_f32 v[4:5], v[4:5], v[98:99]
	v_mov_b32_e32 v9, v7
	v_pk_mul_f32 v[6:7], v[12:13], v[6:7] op_sel_hi:[1,0]
	v_pk_add_f32 v[4:5], v[4:5], v[8:9]
	s_waitcnt vmcnt(2)
	v_pk_fma_f32 v[8:9], v[12:13], v[148:149], v[6:7] op_sel:[0,0,1] op_sel_hi:[1,1,0] neg_lo:[0,0,1] neg_hi:[0,0,1]
	v_pk_fma_f32 v[6:7], v[12:13], v[148:149], v[6:7] op_sel:[0,0,1] op_sel_hi:[1,0,0]
	v_mov_b32_e32 v6, v147
	v_mov_b32_e32 v9, v7
	s_waitcnt lgkmcnt(1)
	v_pk_mul_f32 v[6:7], v[14:15], v[6:7] op_sel_hi:[1,0]
	v_pk_add_f32 v[4:5], v[4:5], v[8:9]
	v_pk_fma_f32 v[8:9], v[14:15], v[146:147], v[6:7] op_sel:[0,0,1] op_sel_hi:[1,1,0] neg_lo:[0,0,1] neg_hi:[0,0,1]
	v_pk_fma_f32 v[6:7], v[14:15], v[146:147], v[6:7] op_sel:[0,0,1] op_sel_hi:[1,0,0]
	v_mov_b32_e32 v6, v145
	v_mov_b32_e32 v9, v7
	v_pk_mul_f32 v[6:7], v[16:17], v[6:7] op_sel_hi:[1,0]
	v_pk_add_f32 v[4:5], v[4:5], v[8:9]
	v_pk_fma_f32 v[8:9], v[16:17], v[144:145], v[6:7] op_sel:[0,0,1] op_sel_hi:[1,1,0] neg_lo:[0,0,1] neg_hi:[0,0,1]
	v_pk_fma_f32 v[6:7], v[16:17], v[144:145], v[6:7] op_sel:[0,0,1] op_sel_hi:[1,0,0]
	v_mov_b32_e32 v6, v143
	v_mov_b32_e32 v9, v7
	s_waitcnt lgkmcnt(0)
	v_pk_mul_f32 v[6:7], v[94:95], v[6:7] op_sel_hi:[1,0]
	v_pk_add_f32 v[4:5], v[4:5], v[8:9]
	v_pk_fma_f32 v[8:9], v[94:95], v[142:143], v[6:7] op_sel:[0,0,1] op_sel_hi:[1,1,0] neg_lo:[0,0,1] neg_hi:[0,0,1]
	v_pk_fma_f32 v[6:7], v[94:95], v[142:143], v[6:7] op_sel:[0,0,1] op_sel_hi:[1,0,0]
	s_waitcnt vmcnt(1)
	v_mov_b32_e32 v6, v151
	v_mov_b32_e32 v9, v7
	v_pk_mul_f32 v[6:7], v[96:97], v[6:7] op_sel_hi:[1,0]
	v_pk_add_f32 v[4:5], v[4:5], v[8:9]
	s_waitcnt vmcnt(0)
	v_pk_fma_f32 v[8:9], v[96:97], v[150:151], v[6:7] op_sel:[0,0,1] op_sel_hi:[1,1,0] neg_lo:[0,0,1] neg_hi:[0,0,1]
	v_pk_fma_f32 v[6:7], v[96:97], v[150:151], v[6:7] op_sel:[0,0,1] op_sel_hi:[1,0,0]
	v_mov_b32_e32 v9, v7
	v_pk_add_f32 v[4:5], v[4:5], v[8:9]
	v_pk_add_f32 v[2:3], v[2:3], v[4:5] neg_lo:[0,1] neg_hi:[0,1]
	buffer_store_dword v3, off, s[0:3], 0 offset:44
	buffer_store_dword v2, off, s[0:3], 0 offset:40
	s_and_saveexec_b64 s[4:5], vcc
	s_cbranch_execz .LBB37_233
; %bb.232:
	buffer_load_dword v2, off, s[0:3], 0 offset:32
	buffer_load_dword v3, off, s[0:3], 0 offset:36
	v_mov_b32_e32 v4, 0
	buffer_store_dword v4, off, s[0:3], 0 offset:32
	buffer_store_dword v4, off, s[0:3], 0 offset:36
	s_waitcnt vmcnt(2)
	ds_write_b64 v1, v[2:3]
.LBB37_233:
	s_or_b64 exec, exec, s[4:5]
	s_waitcnt lgkmcnt(0)
	; wave barrier
	s_waitcnt lgkmcnt(0)
	buffer_load_dword v5, off, s[0:3], 0 offset:44
	buffer_load_dword v138, off, s[0:3], 0 offset:52
	;; [unrolled: 1-line block ×52, first 2 shown]
	v_mov_b32_e32 v4, 0
	ds_read2_b64 v[6:9], v4 offset0:43 offset1:44
	ds_read2_b64 v[10:13], v4 offset0:45 offset1:46
	;; [unrolled: 1-line block ×6, first 2 shown]
	v_cmp_lt_u32_e32 vcc, 3, v0
	s_waitcnt vmcnt(51) lgkmcnt(5)
	v_mul_f32_e32 v106, v6, v5
	s_waitcnt vmcnt(50)
	v_mul_f32_e32 v107, v8, v138
	s_waitcnt vmcnt(49) lgkmcnt(4)
	v_mul_f32_e32 v108, v10, v144
	s_waitcnt vmcnt(48)
	v_mul_f32_e32 v109, v12, v146
	;; [unrolled: 4-line block ×5, first 2 shown]
	s_waitcnt vmcnt(41) lgkmcnt(0)
	v_mul_f32_e32 v116, v102, v166
	s_waitcnt vmcnt(40)
	v_fmac_f32_e32 v106, v7, v167
	s_waitcnt vmcnt(39)
	v_fmac_f32_e32 v107, v9, v168
	v_add_f32_e32 v106, 0, v106
	s_waitcnt vmcnt(38)
	v_fmac_f32_e32 v108, v11, v169
	v_add_f32_e32 v106, v106, v107
	;; [unrolled: 3-line block ×9, first 2 shown]
	v_add_f32_e32 v106, v106, v115
	s_waitcnt vmcnt(30)
	v_fmac_f32_e32 v116, v103, v177
	v_add_f32_e32 v110, v106, v116
	ds_read2_b64 v[106:109], v4 offset0:55 offset1:56
	s_waitcnt vmcnt(29)
	v_mul_f32_e32 v111, v104, v178
	s_waitcnt vmcnt(28)
	v_fmac_f32_e32 v111, v105, v179
	v_add_f32_e32 v114, v110, v111
	ds_read2_b64 v[110:113], v4 offset0:57 offset1:58
	s_waitcnt vmcnt(27) lgkmcnt(1)
	v_mul_f32_e32 v115, v106, v180
	s_waitcnt vmcnt(26)
	v_fmac_f32_e32 v115, v107, v181
	v_add_f32_e32 v114, v114, v115
	s_waitcnt vmcnt(25)
	v_mul_f32_e32 v115, v108, v182
	s_waitcnt vmcnt(24)
	v_fmac_f32_e32 v115, v109, v183
	v_add_f32_e32 v114, v114, v115
	s_waitcnt vmcnt(23) lgkmcnt(0)
	v_mul_f32_e32 v115, v110, v184
	s_waitcnt vmcnt(22)
	v_fmac_f32_e32 v115, v111, v185
	v_add_f32_e32 v118, v114, v115
	ds_read2_b64 v[114:117], v4 offset0:59 offset1:60
	s_waitcnt vmcnt(21)
	v_mul_f32_e32 v119, v112, v186
	s_waitcnt vmcnt(20)
	v_fmac_f32_e32 v119, v113, v187
	v_add_f32_e32 v122, v118, v119
	ds_read2_b64 v[118:121], v4 offset0:61 offset1:62
	s_waitcnt vmcnt(19) lgkmcnt(1)
	v_mul_f32_e32 v123, v114, v188
	s_waitcnt vmcnt(18)
	v_fmac_f32_e32 v123, v115, v189
	v_add_f32_e32 v122, v122, v123
	s_waitcnt vmcnt(17)
	v_mul_f32_e32 v123, v116, v190
	s_waitcnt vmcnt(16)
	v_fmac_f32_e32 v123, v117, v191
	v_add_f32_e32 v122, v122, v123
	s_waitcnt vmcnt(14) lgkmcnt(0)
	v_mul_f32_e32 v123, v118, v193
	v_fmac_f32_e32 v123, v119, v192
	v_add_f32_e32 v126, v122, v123
	ds_read2_b64 v[122:125], v4 offset0:63 offset1:64
	s_waitcnt vmcnt(10)
	v_mul_f32_e32 v127, v120, v195
	v_fmac_f32_e32 v127, v121, v194
	v_add_f32_e32 v130, v126, v127
	ds_read2_b64 v[126:129], v4 offset0:65 offset1:66
	s_waitcnt vmcnt(8) lgkmcnt(1)
	v_mul_f32_e32 v131, v122, v197
	v_fmac_f32_e32 v131, v123, v196
	v_add_f32_e32 v130, v130, v131
	s_waitcnt vmcnt(6)
	v_mul_f32_e32 v131, v124, v199
	v_fmac_f32_e32 v131, v125, v198
	v_add_f32_e32 v130, v130, v131
	s_waitcnt vmcnt(4) lgkmcnt(0)
	v_mul_f32_e32 v131, v126, v201
	v_fmac_f32_e32 v131, v127, v200
	v_add_f32_e32 v139, v130, v131
	ds_read2_b64 v[130:133], v4 offset0:67 offset1:68
	buffer_load_dword v141, off, s[0:3], 0 offset:252
	buffer_load_dword v140, off, s[0:3], 0 offset:248
	;; [unrolled: 1-line block ×4, first 2 shown]
	ds_read2_b64 v[134:137], v4 offset0:69 offset1:70
	buffer_load_dword v149, off, s[0:3], 0 offset:284
	buffer_load_dword v148, off, s[0:3], 0 offset:280
	;; [unrolled: 1-line block ×12, first 2 shown]
	v_mul_f32_e32 v5, v7, v5
	v_fma_f32 v5, v6, v167, -v5
	v_mul_f32_e32 v6, v9, v138
	v_add_f32_e32 v5, 0, v5
	v_fma_f32 v6, v8, v168, -v6
	v_add_f32_e32 v5, v5, v6
	v_mul_f32_e32 v6, v11, v144
	v_fma_f32 v6, v10, v169, -v6
	v_add_f32_e32 v5, v5, v6
	v_mul_f32_e32 v6, v13, v146
	v_fma_f32 v6, v12, v170, -v6
	v_add_f32_e32 v5, v5, v6
	v_mul_f32_e32 v6, v15, v160
	v_fma_f32 v6, v14, v171, -v6
	v_add_f32_e32 v5, v5, v6
	v_mul_f32_e32 v6, v17, v161
	v_fma_f32 v6, v16, v172, -v6
	v_add_f32_e32 v5, v5, v6
	v_mul_f32_e32 v6, v95, v162
	v_fma_f32 v6, v94, v173, -v6
	v_add_f32_e32 v5, v5, v6
	v_mul_f32_e32 v6, v97, v163
	v_fma_f32 v6, v96, v174, -v6
	v_add_f32_e32 v5, v5, v6
	v_mul_f32_e32 v6, v99, v164
	v_fma_f32 v6, v98, v175, -v6
	v_add_f32_e32 v5, v5, v6
	v_mul_f32_e32 v6, v101, v165
	v_fma_f32 v6, v100, v176, -v6
	v_add_f32_e32 v5, v5, v6
	v_mul_f32_e32 v6, v103, v166
	v_fma_f32 v6, v102, v177, -v6
	v_add_f32_e32 v5, v5, v6
	v_mul_f32_e32 v6, v105, v178
	v_fma_f32 v6, v104, v179, -v6
	v_add_f32_e32 v5, v5, v6
	v_mul_f32_e32 v6, v107, v180
	v_fma_f32 v6, v106, v181, -v6
	v_add_f32_e32 v5, v5, v6
	v_mul_f32_e32 v6, v109, v182
	v_fma_f32 v6, v108, v183, -v6
	v_add_f32_e32 v5, v5, v6
	v_mul_f32_e32 v6, v111, v184
	v_fma_f32 v6, v110, v185, -v6
	v_add_f32_e32 v5, v5, v6
	v_mul_f32_e32 v6, v113, v186
	v_fma_f32 v6, v112, v187, -v6
	v_add_f32_e32 v5, v5, v6
	v_mul_f32_e32 v6, v115, v188
	v_fma_f32 v6, v114, v189, -v6
	v_add_f32_e32 v5, v5, v6
	v_mul_f32_e32 v6, v117, v190
	v_fma_f32 v6, v116, v191, -v6
	v_add_f32_e32 v5, v5, v6
	v_mul_f32_e32 v6, v119, v193
	v_fma_f32 v6, v118, v192, -v6
	v_add_f32_e32 v5, v5, v6
	v_mul_f32_e32 v6, v121, v195
	v_fma_f32 v6, v120, v194, -v6
	v_add_f32_e32 v5, v5, v6
	v_mul_f32_e32 v6, v123, v197
	v_fma_f32 v6, v122, v196, -v6
	v_add_f32_e32 v5, v5, v6
	v_mul_f32_e32 v6, v125, v199
	v_fma_f32 v6, v124, v198, -v6
	v_add_f32_e32 v5, v5, v6
	v_mul_f32_e32 v6, v127, v201
	v_fma_f32 v6, v126, v200, -v6
	s_waitcnt vmcnt(18)
	v_mul_f32_e32 v145, v128, v203
	v_add_f32_e32 v138, v5, v6
	v_mul_f32_e32 v5, v129, v203
	v_fmac_f32_e32 v145, v129, v202
	s_waitcnt vmcnt(16) lgkmcnt(1)
	v_mul_f32_e32 v147, v130, v205
	v_fma_f32 v144, v128, v202, -v5
	v_mul_f32_e32 v5, v131, v205
	v_fmac_f32_e32 v147, v131, v204
	s_waitcnt vmcnt(13)
	v_mov_b32_e32 v94, v143
	v_pk_mul_f32 v[94:95], v[132:133], v[94:95] op_sel_hi:[1,0]
	s_waitcnt vmcnt(12)
	v_pk_fma_f32 v[96:97], v[132:133], v[142:143], v[94:95] op_sel:[0,0,1] op_sel_hi:[1,1,0] neg_lo:[0,0,1] neg_hi:[0,0,1]
	v_pk_fma_f32 v[94:95], v[132:133], v[142:143], v[94:95] op_sel:[0,0,1] op_sel_hi:[1,0,0]
	v_fma_f32 v146, v130, v204, -v5
	v_pk_add_f32 v[16:17], v[138:139], v[144:145]
	v_mov_b32_e32 v94, v141
	v_pk_add_f32 v[16:17], v[16:17], v[146:147]
	v_mov_b32_e32 v97, v95
	s_waitcnt lgkmcnt(0)
	v_pk_mul_f32 v[94:95], v[134:135], v[94:95] op_sel_hi:[1,0]
	v_pk_add_f32 v[16:17], v[16:17], v[96:97]
	v_pk_fma_f32 v[96:97], v[134:135], v[140:141], v[94:95] op_sel:[0,0,1] op_sel_hi:[1,1,0] neg_lo:[0,0,1] neg_hi:[0,0,1]
	v_pk_fma_f32 v[94:95], v[134:135], v[140:141], v[94:95] op_sel:[0,0,1] op_sel_hi:[1,0,0]
	s_waitcnt vmcnt(5)
	v_mov_b32_e32 v94, v155
	ds_read2_b64 v[6:9], v4 offset0:71 offset1:72
	ds_read2_b64 v[10:13], v4 offset0:73 offset1:74
	ds_read_b64 v[14:15], v4 offset:600
	v_mov_b32_e32 v97, v95
	v_pk_mul_f32 v[94:95], v[136:137], v[94:95] op_sel_hi:[1,0]
	v_pk_add_f32 v[16:17], v[16:17], v[96:97]
	s_waitcnt vmcnt(4)
	v_pk_fma_f32 v[96:97], v[136:137], v[154:155], v[94:95] op_sel:[0,0,1] op_sel_hi:[1,1,0] neg_lo:[0,0,1] neg_hi:[0,0,1]
	v_pk_fma_f32 v[94:95], v[136:137], v[154:155], v[94:95] op_sel:[0,0,1] op_sel_hi:[1,0,0]
	v_mov_b32_e32 v94, v153
	v_mov_b32_e32 v97, v95
	s_waitcnt lgkmcnt(2)
	v_pk_mul_f32 v[94:95], v[6:7], v[94:95] op_sel_hi:[1,0]
	v_pk_add_f32 v[16:17], v[16:17], v[96:97]
	v_pk_fma_f32 v[96:97], v[6:7], v[152:153], v[94:95] op_sel:[0,0,1] op_sel_hi:[1,1,0] neg_lo:[0,0,1] neg_hi:[0,0,1]
	v_pk_fma_f32 v[6:7], v[6:7], v[152:153], v[94:95] op_sel:[0,0,1] op_sel_hi:[1,0,0]
	v_mov_b32_e32 v97, v7
	v_pk_add_f32 v[6:7], v[16:17], v[96:97]
	v_mov_b32_e32 v16, v151
	v_pk_mul_f32 v[16:17], v[8:9], v[16:17] op_sel_hi:[1,0]
	v_pk_fma_f32 v[94:95], v[8:9], v[150:151], v[16:17] op_sel:[0,0,1] op_sel_hi:[1,1,0] neg_lo:[0,0,1] neg_hi:[0,0,1]
	v_pk_fma_f32 v[8:9], v[8:9], v[150:151], v[16:17] op_sel:[0,0,1] op_sel_hi:[1,0,0]
	v_mov_b32_e32 v8, v149
	v_mov_b32_e32 v95, v9
	s_waitcnt lgkmcnt(1)
	v_pk_mul_f32 v[8:9], v[10:11], v[8:9] op_sel_hi:[1,0]
	v_pk_fma_f32 v[16:17], v[10:11], v[148:149], v[8:9] op_sel:[0,0,1] op_sel_hi:[1,1,0] neg_lo:[0,0,1] neg_hi:[0,0,1]
	v_pk_fma_f32 v[8:9], v[10:11], v[148:149], v[8:9] op_sel:[0,0,1] op_sel_hi:[1,0,0]
	s_waitcnt vmcnt(1)
	v_mov_b32_e32 v8, v159
	v_mov_b32_e32 v17, v9
	v_pk_mul_f32 v[8:9], v[12:13], v[8:9] op_sel_hi:[1,0]
	s_waitcnt vmcnt(0)
	v_pk_fma_f32 v[10:11], v[12:13], v[158:159], v[8:9] op_sel:[0,0,1] op_sel_hi:[1,1,0] neg_lo:[0,0,1] neg_hi:[0,0,1]
	v_pk_fma_f32 v[8:9], v[12:13], v[158:159], v[8:9] op_sel:[0,0,1] op_sel_hi:[1,0,0]
	v_pk_add_f32 v[6:7], v[6:7], v[94:95]
	v_mov_b32_e32 v8, v157
	v_pk_add_f32 v[6:7], v[6:7], v[16:17]
	v_mov_b32_e32 v11, v9
	s_waitcnt lgkmcnt(0)
	v_pk_mul_f32 v[8:9], v[14:15], v[8:9] op_sel_hi:[1,0]
	v_pk_add_f32 v[6:7], v[6:7], v[10:11]
	v_pk_fma_f32 v[10:11], v[14:15], v[156:157], v[8:9] op_sel:[0,0,1] op_sel_hi:[1,1,0] neg_lo:[0,0,1] neg_hi:[0,0,1]
	v_pk_fma_f32 v[8:9], v[14:15], v[156:157], v[8:9] op_sel:[0,0,1] op_sel_hi:[1,0,0]
	v_mov_b32_e32 v11, v9
	v_pk_add_f32 v[6:7], v[6:7], v[10:11]
	v_pk_add_f32 v[2:3], v[2:3], v[6:7] neg_lo:[0,1] neg_hi:[0,1]
	buffer_store_dword v3, off, s[0:3], 0 offset:36
	buffer_store_dword v2, off, s[0:3], 0 offset:32
	s_and_saveexec_b64 s[4:5], vcc
	s_cbranch_execz .LBB37_235
; %bb.234:
	buffer_load_dword v2, off, s[0:3], 0 offset:24
	buffer_load_dword v3, off, s[0:3], 0 offset:28
	s_waitcnt vmcnt(0)
	ds_write_b64 v1, v[2:3]
	buffer_store_dword v4, off, s[0:3], 0 offset:24
	buffer_store_dword v4, off, s[0:3], 0 offset:28
.LBB37_235:
	s_or_b64 exec, exec, s[4:5]
	s_waitcnt lgkmcnt(0)
	; wave barrier
	s_waitcnt lgkmcnt(0)
	buffer_load_dword v5, off, s[0:3], 0 offset:36
	buffer_load_dword v140, off, s[0:3], 0 offset:44
	;; [unrolled: 1-line block ×42, first 2 shown]
	ds_read_b128 v[6:9], v4 offset:336
	ds_read_b128 v[10:13], v4 offset:352
	buffer_load_dword v196, off, s[0:3], 0 offset:192
	buffer_load_dword v197, off, s[0:3], 0 offset:196
	ds_read_b128 v[14:17], v4 offset:368
	ds_read_b128 v[94:97], v4 offset:384
	buffer_load_dword v198, off, s[0:3], 0 offset:200
	buffer_load_dword v199, off, s[0:3], 0 offset:204
	;; [unrolled: 1-line block ×4, first 2 shown]
	ds_read_b128 v[98:101], v4 offset:400
	ds_read_b128 v[102:105], v4 offset:416
	buffer_load_dword v202, off, s[0:3], 0 offset:216
	buffer_load_dword v203, off, s[0:3], 0 offset:220
	;; [unrolled: 1-line block ×6, first 2 shown]
	v_cmp_lt_u32_e32 vcc, 2, v0
	s_waitcnt vmcnt(53) lgkmcnt(5)
	v_mul_f32_e32 v106, v6, v5
	s_waitcnt vmcnt(52)
	v_mul_f32_e32 v107, v8, v140
	s_waitcnt vmcnt(51) lgkmcnt(4)
	v_mul_f32_e32 v108, v10, v142
	s_waitcnt vmcnt(50)
	v_mul_f32_e32 v109, v12, v144
	;; [unrolled: 4-line block ×5, first 2 shown]
	s_waitcnt vmcnt(43)
	v_fmac_f32_e32 v106, v7, v166
	s_waitcnt vmcnt(42)
	v_fmac_f32_e32 v107, v9, v167
	v_add_f32_e32 v106, 0, v106
	s_waitcnt vmcnt(41)
	v_fmac_f32_e32 v108, v11, v168
	v_add_f32_e32 v106, v106, v107
	;; [unrolled: 3-line block ×9, first 2 shown]
	s_waitcnt vmcnt(33) lgkmcnt(0)
	v_mul_f32_e32 v107, v102, v176
	v_add_f32_e32 v106, v106, v115
	s_waitcnt vmcnt(32)
	v_fmac_f32_e32 v107, v103, v177
	v_add_f32_e32 v110, v106, v107
	ds_read_b128 v[106:109], v4 offset:432
	s_waitcnt vmcnt(31)
	v_mul_f32_e32 v111, v104, v178
	s_waitcnt vmcnt(30)
	v_fmac_f32_e32 v111, v105, v179
	v_add_f32_e32 v114, v110, v111
	ds_read_b128 v[110:113], v4 offset:448
	s_waitcnt vmcnt(29) lgkmcnt(1)
	v_mul_f32_e32 v115, v106, v180
	s_waitcnt vmcnt(28)
	v_fmac_f32_e32 v115, v107, v181
	v_add_f32_e32 v114, v114, v115
	s_waitcnt vmcnt(27)
	v_mul_f32_e32 v115, v108, v182
	s_waitcnt vmcnt(26)
	v_fmac_f32_e32 v115, v109, v183
	v_add_f32_e32 v114, v114, v115
	s_waitcnt vmcnt(25) lgkmcnt(0)
	v_mul_f32_e32 v115, v110, v184
	s_waitcnt vmcnt(24)
	v_fmac_f32_e32 v115, v111, v185
	v_add_f32_e32 v118, v114, v115
	ds_read_b128 v[114:117], v4 offset:464
	s_waitcnt vmcnt(23)
	v_mul_f32_e32 v119, v112, v186
	s_waitcnt vmcnt(22)
	v_fmac_f32_e32 v119, v113, v187
	v_add_f32_e32 v122, v118, v119
	ds_read_b128 v[118:121], v4 offset:480
	s_waitcnt vmcnt(21) lgkmcnt(1)
	v_mul_f32_e32 v123, v114, v188
	s_waitcnt vmcnt(20)
	v_fmac_f32_e32 v123, v115, v189
	v_add_f32_e32 v122, v122, v123
	s_waitcnt vmcnt(18)
	v_mul_f32_e32 v123, v116, v191
	v_fmac_f32_e32 v123, v117, v190
	v_add_f32_e32 v122, v122, v123
	s_waitcnt vmcnt(15) lgkmcnt(0)
	v_mul_f32_e32 v123, v118, v192
	s_waitcnt vmcnt(14)
	v_fmac_f32_e32 v123, v119, v193
	v_add_f32_e32 v126, v122, v123
	ds_read_b128 v[122:125], v4 offset:496
	s_waitcnt vmcnt(12)
	v_mul_f32_e32 v127, v120, v195
	v_fmac_f32_e32 v127, v121, v194
	v_add_f32_e32 v130, v126, v127
	ds_read_b128 v[126:129], v4 offset:512
	buffer_load_dword v139, off, s[0:3], 0 offset:244
	buffer_load_dword v138, off, s[0:3], 0 offset:240
	s_waitcnt vmcnt(12) lgkmcnt(1)
	v_mul_f32_e32 v131, v122, v197
	v_fmac_f32_e32 v131, v123, v196
	v_add_f32_e32 v130, v130, v131
	s_waitcnt vmcnt(10)
	v_mul_f32_e32 v131, v124, v199
	v_fmac_f32_e32 v131, v125, v198
	v_add_f32_e32 v130, v130, v131
	s_waitcnt vmcnt(8) lgkmcnt(0)
	v_mul_f32_e32 v131, v126, v201
	v_fmac_f32_e32 v131, v127, v200
	s_waitcnt vmcnt(6)
	v_mul_f32_e32 v135, v128, v203
	v_add_f32_e32 v134, v130, v131
	v_fmac_f32_e32 v135, v129, v202
	ds_read_b128 v[130:133], v4 offset:528
	v_add_f32_e32 v141, v134, v135
	ds_read_b128 v[134:137], v4 offset:544
	buffer_load_dword v147, off, s[0:3], 0 offset:276
	buffer_load_dword v146, off, s[0:3], 0 offset:272
	;; [unrolled: 1-line block ×14, first 2 shown]
	v_mul_f32_e32 v5, v7, v5
	v_fma_f32 v5, v6, v166, -v5
	v_mul_f32_e32 v6, v9, v140
	v_add_f32_e32 v5, 0, v5
	v_fma_f32 v6, v8, v167, -v6
	v_add_f32_e32 v5, v5, v6
	v_mul_f32_e32 v6, v11, v142
	v_fma_f32 v6, v10, v168, -v6
	v_add_f32_e32 v5, v5, v6
	v_mul_f32_e32 v6, v13, v144
	;; [unrolled: 3-line block ×22, first 2 shown]
	v_fma_f32 v6, v128, v202, -v6
	s_waitcnt vmcnt(15)
	v_mov_b32_e32 v94, v139
	s_waitcnt lgkmcnt(1)
	v_mul_f32_e32 v143, v130, v205
	v_add_f32_e32 v140, v5, v6
	v_mul_f32_e32 v5, v131, v205
	s_waitcnt lgkmcnt(0)
	v_pk_mul_f32 v[94:95], v[134:135], v[94:95] op_sel_hi:[1,0]
	v_fmac_f32_e32 v143, v131, v204
	v_mul_f32_e32 v145, v132, v207
	v_fma_f32 v142, v130, v204, -v5
	v_mul_f32_e32 v5, v133, v207
	s_waitcnt vmcnt(14)
	v_pk_fma_f32 v[96:97], v[134:135], v[138:139], v[94:95] op_sel:[0,0,1] op_sel_hi:[1,1,0] neg_lo:[0,0,1] neg_hi:[0,0,1]
	v_pk_fma_f32 v[94:95], v[134:135], v[138:139], v[94:95] op_sel:[0,0,1] op_sel_hi:[1,0,0]
	v_fmac_f32_e32 v145, v133, v206
	v_fma_f32 v144, v132, v206, -v5
	ds_read_b128 v[6:9], v4 offset:560
	ds_read_b128 v[10:13], v4 offset:576
	;; [unrolled: 1-line block ×3, first 2 shown]
	v_pk_add_f32 v[4:5], v[140:141], v[142:143]
	s_waitcnt vmcnt(7)
	v_mov_b32_e32 v94, v153
	v_pk_add_f32 v[4:5], v[4:5], v[144:145]
	v_mov_b32_e32 v97, v95
	v_pk_mul_f32 v[94:95], v[136:137], v[94:95] op_sel_hi:[1,0]
	v_pk_add_f32 v[4:5], v[4:5], v[96:97]
	s_waitcnt vmcnt(6)
	v_pk_fma_f32 v[96:97], v[136:137], v[152:153], v[94:95] op_sel:[0,0,1] op_sel_hi:[1,1,0] neg_lo:[0,0,1] neg_hi:[0,0,1]
	v_pk_fma_f32 v[94:95], v[136:137], v[152:153], v[94:95] op_sel:[0,0,1] op_sel_hi:[1,0,0]
	v_mov_b32_e32 v94, v151
	v_mov_b32_e32 v97, v95
	s_waitcnt lgkmcnt(2)
	v_pk_mul_f32 v[94:95], v[6:7], v[94:95] op_sel_hi:[1,0]
	v_pk_add_f32 v[4:5], v[4:5], v[96:97]
	v_pk_fma_f32 v[96:97], v[6:7], v[150:151], v[94:95] op_sel:[0,0,1] op_sel_hi:[1,1,0] neg_lo:[0,0,1] neg_hi:[0,0,1]
	v_pk_fma_f32 v[6:7], v[6:7], v[150:151], v[94:95] op_sel:[0,0,1] op_sel_hi:[1,0,0]
	v_mov_b32_e32 v6, v149
	v_mov_b32_e32 v97, v7
	v_pk_mul_f32 v[6:7], v[8:9], v[6:7] op_sel_hi:[1,0]
	v_pk_fma_f32 v[94:95], v[8:9], v[148:149], v[6:7] op_sel:[0,0,1] op_sel_hi:[1,1,0] neg_lo:[0,0,1] neg_hi:[0,0,1]
	v_pk_fma_f32 v[6:7], v[8:9], v[148:149], v[6:7] op_sel:[0,0,1] op_sel_hi:[1,0,0]
	v_mov_b32_e32 v6, v147
	v_mov_b32_e32 v95, v7
	s_waitcnt lgkmcnt(1)
	v_pk_mul_f32 v[6:7], v[10:11], v[6:7] op_sel_hi:[1,0]
	v_pk_fma_f32 v[8:9], v[10:11], v[146:147], v[6:7] op_sel:[0,0,1] op_sel_hi:[1,1,0] neg_lo:[0,0,1] neg_hi:[0,0,1]
	v_pk_fma_f32 v[6:7], v[10:11], v[146:147], v[6:7] op_sel:[0,0,1] op_sel_hi:[1,0,0]
	v_pk_add_f32 v[4:5], v[4:5], v[96:97]
	s_waitcnt vmcnt(1)
	v_mov_b32_e32 v6, v159
	v_pk_add_f32 v[4:5], v[4:5], v[94:95]
	v_mov_b32_e32 v9, v7
	v_pk_mul_f32 v[6:7], v[12:13], v[6:7] op_sel_hi:[1,0]
	v_pk_add_f32 v[4:5], v[4:5], v[8:9]
	s_waitcnt vmcnt(0)
	v_pk_fma_f32 v[8:9], v[12:13], v[158:159], v[6:7] op_sel:[0,0,1] op_sel_hi:[1,1,0] neg_lo:[0,0,1] neg_hi:[0,0,1]
	v_pk_fma_f32 v[6:7], v[12:13], v[158:159], v[6:7] op_sel:[0,0,1] op_sel_hi:[1,0,0]
	v_mov_b32_e32 v6, v157
	v_mov_b32_e32 v9, v7
	s_waitcnt lgkmcnt(0)
	v_pk_mul_f32 v[6:7], v[14:15], v[6:7] op_sel_hi:[1,0]
	v_pk_add_f32 v[4:5], v[4:5], v[8:9]
	v_pk_fma_f32 v[8:9], v[14:15], v[156:157], v[6:7] op_sel:[0,0,1] op_sel_hi:[1,1,0] neg_lo:[0,0,1] neg_hi:[0,0,1]
	v_pk_fma_f32 v[6:7], v[14:15], v[156:157], v[6:7] op_sel:[0,0,1] op_sel_hi:[1,0,0]
	v_mov_b32_e32 v6, v155
	v_mov_b32_e32 v9, v7
	v_pk_mul_f32 v[6:7], v[16:17], v[6:7] op_sel_hi:[1,0]
	v_pk_add_f32 v[4:5], v[4:5], v[8:9]
	v_pk_fma_f32 v[8:9], v[16:17], v[154:155], v[6:7] op_sel:[0,0,1] op_sel_hi:[1,1,0] neg_lo:[0,0,1] neg_hi:[0,0,1]
	v_pk_fma_f32 v[6:7], v[16:17], v[154:155], v[6:7] op_sel:[0,0,1] op_sel_hi:[1,0,0]
	v_mov_b32_e32 v9, v7
	v_pk_add_f32 v[4:5], v[4:5], v[8:9]
	v_pk_add_f32 v[2:3], v[2:3], v[4:5] neg_lo:[0,1] neg_hi:[0,1]
	buffer_store_dword v3, off, s[0:3], 0 offset:28
	buffer_store_dword v2, off, s[0:3], 0 offset:24
	s_and_saveexec_b64 s[4:5], vcc
	s_cbranch_execz .LBB37_237
; %bb.236:
	buffer_load_dword v2, off, s[0:3], 0 offset:16
	buffer_load_dword v3, off, s[0:3], 0 offset:20
	v_mov_b32_e32 v4, 0
	buffer_store_dword v4, off, s[0:3], 0 offset:16
	buffer_store_dword v4, off, s[0:3], 0 offset:20
	s_waitcnt vmcnt(2)
	ds_write_b64 v1, v[2:3]
.LBB37_237:
	s_or_b64 exec, exec, s[4:5]
	s_waitcnt lgkmcnt(0)
	; wave barrier
	s_waitcnt lgkmcnt(0)
	buffer_load_dword v5, off, s[0:3], 0 offset:28
	buffer_load_dword v138, off, s[0:3], 0 offset:36
	buffer_load_dword v140, off, s[0:3], 0 offset:44
	buffer_load_dword v142, off, s[0:3], 0 offset:52
	buffer_load_dword v160, off, s[0:3], 0 offset:60
	buffer_load_dword v161, off, s[0:3], 0 offset:68
	buffer_load_dword v162, off, s[0:3], 0 offset:76
	buffer_load_dword v163, off, s[0:3], 0 offset:84
	buffer_load_dword v164, off, s[0:3], 0 offset:92
	buffer_load_dword v165, off, s[0:3], 0 offset:24
	buffer_load_dword v166, off, s[0:3], 0 offset:32
	buffer_load_dword v167, off, s[0:3], 0 offset:40
	buffer_load_dword v168, off, s[0:3], 0 offset:48
	buffer_load_dword v169, off, s[0:3], 0 offset:56
	buffer_load_dword v170, off, s[0:3], 0 offset:64
	buffer_load_dword v171, off, s[0:3], 0 offset:72
	buffer_load_dword v172, off, s[0:3], 0 offset:80
	buffer_load_dword v173, off, s[0:3], 0 offset:88
	buffer_load_dword v174, off, s[0:3], 0 offset:100
	buffer_load_dword v175, off, s[0:3], 0 offset:96
	buffer_load_dword v176, off, s[0:3], 0 offset:108
	buffer_load_dword v177, off, s[0:3], 0 offset:104
	buffer_load_dword v178, off, s[0:3], 0 offset:116
	buffer_load_dword v179, off, s[0:3], 0 offset:112
	buffer_load_dword v180, off, s[0:3], 0 offset:124
	buffer_load_dword v181, off, s[0:3], 0 offset:120
	buffer_load_dword v182, off, s[0:3], 0 offset:132
	buffer_load_dword v183, off, s[0:3], 0 offset:128
	buffer_load_dword v184, off, s[0:3], 0 offset:140
	buffer_load_dword v185, off, s[0:3], 0 offset:136
	buffer_load_dword v186, off, s[0:3], 0 offset:144
	buffer_load_dword v187, off, s[0:3], 0 offset:148
	buffer_load_dword v2, off, s[0:3], 0 offset:16
	buffer_load_dword v3, off, s[0:3], 0 offset:20
	buffer_load_dword v188, off, s[0:3], 0 offset:152
	buffer_load_dword v189, off, s[0:3], 0 offset:156
	buffer_load_dword v190, off, s[0:3], 0 offset:160
	buffer_load_dword v191, off, s[0:3], 0 offset:164
	buffer_load_dword v192, off, s[0:3], 0 offset:168
	buffer_load_dword v193, off, s[0:3], 0 offset:172
	buffer_load_dword v194, off, s[0:3], 0 offset:176
	buffer_load_dword v195, off, s[0:3], 0 offset:180
	buffer_load_dword v196, off, s[0:3], 0 offset:184
	buffer_load_dword v197, off, s[0:3], 0 offset:188
	buffer_load_dword v198, off, s[0:3], 0 offset:192
	buffer_load_dword v199, off, s[0:3], 0 offset:196
	buffer_load_dword v200, off, s[0:3], 0 offset:200
	buffer_load_dword v201, off, s[0:3], 0 offset:204
	buffer_load_dword v202, off, s[0:3], 0 offset:208
	buffer_load_dword v203, off, s[0:3], 0 offset:212
	buffer_load_dword v204, off, s[0:3], 0 offset:216
	buffer_load_dword v205, off, s[0:3], 0 offset:220
	buffer_load_dword v206, off, s[0:3], 0 offset:224
	buffer_load_dword v207, off, s[0:3], 0 offset:228
	buffer_load_dword v208, off, s[0:3], 0 offset:232
	buffer_load_dword v209, off, s[0:3], 0 offset:236
	v_mov_b32_e32 v4, 0
	ds_read2_b64 v[6:9], v4 offset0:41 offset1:42
	ds_read2_b64 v[10:13], v4 offset0:43 offset1:44
	;; [unrolled: 1-line block ×6, first 2 shown]
	v_cmp_lt_u32_e32 vcc, 1, v0
	s_waitcnt vmcnt(55) lgkmcnt(5)
	v_mul_f32_e32 v106, v6, v5
	s_waitcnt vmcnt(54)
	v_mul_f32_e32 v107, v8, v138
	s_waitcnt vmcnt(53) lgkmcnt(4)
	v_mul_f32_e32 v108, v10, v140
	s_waitcnt vmcnt(52)
	v_mul_f32_e32 v109, v12, v142
	;; [unrolled: 4-line block ×4, first 2 shown]
	s_waitcnt vmcnt(47) lgkmcnt(1)
	v_mul_f32_e32 v114, v98, v164
	s_waitcnt vmcnt(46)
	v_fmac_f32_e32 v106, v7, v165
	s_waitcnt vmcnt(45)
	v_fmac_f32_e32 v107, v9, v166
	v_add_f32_e32 v106, 0, v106
	s_waitcnt vmcnt(44)
	v_fmac_f32_e32 v108, v11, v167
	v_add_f32_e32 v106, v106, v107
	;; [unrolled: 3-line block ×7, first 2 shown]
	v_add_f32_e32 v106, v106, v113
	s_waitcnt vmcnt(38)
	v_fmac_f32_e32 v114, v99, v173
	s_waitcnt vmcnt(37)
	v_mul_f32_e32 v107, v100, v174
	v_add_f32_e32 v106, v106, v114
	s_waitcnt vmcnt(36)
	v_fmac_f32_e32 v107, v101, v175
	v_add_f32_e32 v106, v106, v107
	s_waitcnt vmcnt(35) lgkmcnt(0)
	v_mul_f32_e32 v107, v102, v176
	s_waitcnt vmcnt(34)
	v_fmac_f32_e32 v107, v103, v177
	v_add_f32_e32 v110, v106, v107
	ds_read2_b64 v[106:109], v4 offset0:53 offset1:54
	s_waitcnt vmcnt(33)
	v_mul_f32_e32 v111, v104, v178
	s_waitcnt vmcnt(32)
	v_fmac_f32_e32 v111, v105, v179
	v_add_f32_e32 v114, v110, v111
	ds_read2_b64 v[110:113], v4 offset0:55 offset1:56
	s_waitcnt vmcnt(31) lgkmcnt(1)
	v_mul_f32_e32 v115, v106, v180
	s_waitcnt vmcnt(30)
	v_fmac_f32_e32 v115, v107, v181
	v_add_f32_e32 v114, v114, v115
	s_waitcnt vmcnt(29)
	v_mul_f32_e32 v115, v108, v182
	s_waitcnt vmcnt(28)
	v_fmac_f32_e32 v115, v109, v183
	v_add_f32_e32 v114, v114, v115
	s_waitcnt vmcnt(27) lgkmcnt(0)
	v_mul_f32_e32 v115, v110, v184
	s_waitcnt vmcnt(26)
	v_fmac_f32_e32 v115, v111, v185
	v_add_f32_e32 v118, v114, v115
	ds_read2_b64 v[114:117], v4 offset0:57 offset1:58
	s_waitcnt vmcnt(24)
	v_mul_f32_e32 v119, v112, v187
	v_fmac_f32_e32 v119, v113, v186
	v_add_f32_e32 v122, v118, v119
	ds_read2_b64 v[118:121], v4 offset0:59 offset1:60
	s_waitcnt vmcnt(20) lgkmcnt(1)
	v_mul_f32_e32 v123, v114, v189
	v_fmac_f32_e32 v123, v115, v188
	v_add_f32_e32 v122, v122, v123
	s_waitcnt vmcnt(18)
	v_mul_f32_e32 v123, v116, v191
	v_fmac_f32_e32 v123, v117, v190
	v_add_f32_e32 v122, v122, v123
	s_waitcnt vmcnt(16) lgkmcnt(0)
	v_mul_f32_e32 v123, v118, v193
	v_fmac_f32_e32 v123, v119, v192
	v_add_f32_e32 v126, v122, v123
	ds_read2_b64 v[122:125], v4 offset0:61 offset1:62
	s_waitcnt vmcnt(14)
	v_mul_f32_e32 v127, v120, v195
	v_fmac_f32_e32 v127, v121, v194
	v_add_f32_e32 v130, v126, v127
	ds_read2_b64 v[126:129], v4 offset0:63 offset1:64
	s_waitcnt vmcnt(12) lgkmcnt(1)
	v_mul_f32_e32 v131, v122, v197
	v_fmac_f32_e32 v131, v123, v196
	v_add_f32_e32 v130, v130, v131
	s_waitcnt vmcnt(10)
	v_mul_f32_e32 v131, v124, v199
	v_fmac_f32_e32 v131, v125, v198
	v_add_f32_e32 v130, v130, v131
	s_waitcnt vmcnt(8) lgkmcnt(0)
	v_mul_f32_e32 v131, v126, v201
	v_fmac_f32_e32 v131, v127, v200
	s_waitcnt vmcnt(6)
	v_mul_f32_e32 v135, v128, v203
	v_add_f32_e32 v134, v130, v131
	v_fmac_f32_e32 v135, v129, v202
	ds_read2_b64 v[130:133], v4 offset0:65 offset1:66
	v_add_f32_e32 v139, v134, v135
	ds_read2_b64 v[134:137], v4 offset0:67 offset1:68
	buffer_load_dword v145, off, s[0:3], 0 offset:268
	buffer_load_dword v144, off, s[0:3], 0 offset:264
	;; [unrolled: 1-line block ×16, first 2 shown]
	v_mul_f32_e32 v5, v7, v5
	v_fma_f32 v5, v6, v165, -v5
	v_mul_f32_e32 v6, v9, v138
	v_add_f32_e32 v5, 0, v5
	v_fma_f32 v6, v8, v166, -v6
	v_add_f32_e32 v5, v5, v6
	v_mul_f32_e32 v6, v11, v140
	v_fma_f32 v6, v10, v167, -v6
	v_add_f32_e32 v5, v5, v6
	v_mul_f32_e32 v6, v13, v142
	;; [unrolled: 3-line block ×22, first 2 shown]
	v_fma_f32 v6, v128, v202, -v6
	s_waitcnt vmcnt(20) lgkmcnt(1)
	v_mul_f32_e32 v141, v130, v205
	v_add_f32_e32 v5, v5, v6
	v_mul_f32_e32 v6, v131, v205
	v_fmac_f32_e32 v141, v131, v204
	v_fma_f32 v6, v130, v204, -v6
	s_waitcnt vmcnt(9)
	v_mov_b32_e32 v98, v151
	v_add_f32_e32 v139, v139, v141
	v_mul_f32_e32 v141, v132, v207
	v_add_f32_e32 v138, v5, v6
	v_mul_f32_e32 v5, v133, v207
	s_waitcnt lgkmcnt(0)
	v_pk_mul_f32 v[98:99], v[136:137], v[98:99] op_sel_hi:[1,0]
	v_fmac_f32_e32 v141, v133, v206
	v_mul_f32_e32 v143, v134, v209
	v_fma_f32 v140, v132, v206, -v5
	v_mul_f32_e32 v5, v135, v209
	ds_read2_b64 v[6:9], v4 offset0:69 offset1:70
	ds_read2_b64 v[10:13], v4 offset0:71 offset1:72
	;; [unrolled: 1-line block ×3, first 2 shown]
	ds_read_b64 v[94:95], v4 offset:600
	s_waitcnt vmcnt(8)
	v_pk_fma_f32 v[100:101], v[136:137], v[150:151], v[98:99] op_sel:[0,0,1] op_sel_hi:[1,1,0] neg_lo:[0,0,1] neg_hi:[0,0,1]
	v_pk_fma_f32 v[98:99], v[136:137], v[150:151], v[98:99] op_sel:[0,0,1] op_sel_hi:[1,0,0]
	v_fmac_f32_e32 v143, v135, v208
	v_fma_f32 v142, v134, v208, -v5
	v_pk_add_f32 v[96:97], v[138:139], v[140:141]
	v_mov_b32_e32 v98, v149
	v_pk_add_f32 v[96:97], v[96:97], v[142:143]
	v_mov_b32_e32 v101, v99
	s_waitcnt lgkmcnt(3)
	v_pk_mul_f32 v[98:99], v[6:7], v[98:99] op_sel_hi:[1,0]
	v_pk_add_f32 v[96:97], v[96:97], v[100:101]
	v_pk_fma_f32 v[100:101], v[6:7], v[148:149], v[98:99] op_sel:[0,0,1] op_sel_hi:[1,1,0] neg_lo:[0,0,1] neg_hi:[0,0,1]
	v_pk_fma_f32 v[6:7], v[6:7], v[148:149], v[98:99] op_sel:[0,0,1] op_sel_hi:[1,0,0]
	v_mov_b32_e32 v101, v7
	v_pk_add_f32 v[6:7], v[96:97], v[100:101]
	v_mov_b32_e32 v96, v147
	v_pk_mul_f32 v[96:97], v[8:9], v[96:97] op_sel_hi:[1,0]
	v_pk_fma_f32 v[98:99], v[8:9], v[146:147], v[96:97] op_sel:[0,0,1] op_sel_hi:[1,1,0] neg_lo:[0,0,1] neg_hi:[0,0,1]
	v_pk_fma_f32 v[8:9], v[8:9], v[146:147], v[96:97] op_sel:[0,0,1] op_sel_hi:[1,0,0]
	v_mov_b32_e32 v8, v145
	v_mov_b32_e32 v99, v9
	s_waitcnt lgkmcnt(2)
	v_pk_mul_f32 v[8:9], v[10:11], v[8:9] op_sel_hi:[1,0]
	v_pk_fma_f32 v[96:97], v[10:11], v[144:145], v[8:9] op_sel:[0,0,1] op_sel_hi:[1,1,0] neg_lo:[0,0,1] neg_hi:[0,0,1]
	v_pk_fma_f32 v[8:9], v[10:11], v[144:145], v[8:9] op_sel:[0,0,1] op_sel_hi:[1,0,0]
	s_waitcnt vmcnt(1)
	v_mov_b32_e32 v8, v159
	v_mov_b32_e32 v97, v9
	v_pk_mul_f32 v[8:9], v[12:13], v[8:9] op_sel_hi:[1,0]
	s_waitcnt vmcnt(0)
	v_pk_fma_f32 v[10:11], v[12:13], v[158:159], v[8:9] op_sel:[0,0,1] op_sel_hi:[1,1,0] neg_lo:[0,0,1] neg_hi:[0,0,1]
	v_pk_fma_f32 v[8:9], v[12:13], v[158:159], v[8:9] op_sel:[0,0,1] op_sel_hi:[1,0,0]
	v_pk_add_f32 v[6:7], v[6:7], v[98:99]
	v_mov_b32_e32 v8, v157
	v_pk_add_f32 v[6:7], v[6:7], v[96:97]
	v_mov_b32_e32 v11, v9
	s_waitcnt lgkmcnt(1)
	v_pk_mul_f32 v[8:9], v[14:15], v[8:9] op_sel_hi:[1,0]
	v_pk_add_f32 v[6:7], v[6:7], v[10:11]
	v_pk_fma_f32 v[10:11], v[14:15], v[156:157], v[8:9] op_sel:[0,0,1] op_sel_hi:[1,1,0] neg_lo:[0,0,1] neg_hi:[0,0,1]
	v_pk_fma_f32 v[8:9], v[14:15], v[156:157], v[8:9] op_sel:[0,0,1] op_sel_hi:[1,0,0]
	v_mov_b32_e32 v8, v155
	v_mov_b32_e32 v11, v9
	v_pk_mul_f32 v[8:9], v[16:17], v[8:9] op_sel_hi:[1,0]
	v_pk_add_f32 v[6:7], v[6:7], v[10:11]
	v_pk_fma_f32 v[10:11], v[16:17], v[154:155], v[8:9] op_sel:[0,0,1] op_sel_hi:[1,1,0] neg_lo:[0,0,1] neg_hi:[0,0,1]
	v_pk_fma_f32 v[8:9], v[16:17], v[154:155], v[8:9] op_sel:[0,0,1] op_sel_hi:[1,0,0]
	v_mov_b32_e32 v8, v153
	v_mov_b32_e32 v11, v9
	s_waitcnt lgkmcnt(0)
	v_pk_mul_f32 v[8:9], v[94:95], v[8:9] op_sel_hi:[1,0]
	v_pk_add_f32 v[6:7], v[6:7], v[10:11]
	v_pk_fma_f32 v[10:11], v[94:95], v[152:153], v[8:9] op_sel:[0,0,1] op_sel_hi:[1,1,0] neg_lo:[0,0,1] neg_hi:[0,0,1]
	v_pk_fma_f32 v[8:9], v[94:95], v[152:153], v[8:9] op_sel:[0,0,1] op_sel_hi:[1,0,0]
	v_mov_b32_e32 v11, v9
	v_pk_add_f32 v[6:7], v[6:7], v[10:11]
	v_pk_add_f32 v[2:3], v[2:3], v[6:7] neg_lo:[0,1] neg_hi:[0,1]
	buffer_store_dword v3, off, s[0:3], 0 offset:20
	buffer_store_dword v2, off, s[0:3], 0 offset:16
	s_and_saveexec_b64 s[4:5], vcc
	s_cbranch_execz .LBB37_239
; %bb.238:
	buffer_load_dword v2, off, s[0:3], 0 offset:8
	buffer_load_dword v3, off, s[0:3], 0 offset:12
	s_waitcnt vmcnt(0)
	ds_write_b64 v1, v[2:3]
	buffer_store_dword v4, off, s[0:3], 0 offset:8
	buffer_store_dword v4, off, s[0:3], 0 offset:12
.LBB37_239:
	s_or_b64 exec, exec, s[4:5]
	s_waitcnt lgkmcnt(0)
	; wave barrier
	s_waitcnt lgkmcnt(0)
	buffer_load_dword v5, off, s[0:3], 0 offset:20
	buffer_load_dword v138, off, s[0:3], 0 offset:28
	;; [unrolled: 1-line block ×36, first 2 shown]
	ds_read_b128 v[6:9], v4 offset:320
	ds_read_b128 v[10:13], v4 offset:336
	buffer_load_dword v190, off, s[0:3], 0 offset:152
	buffer_load_dword v191, off, s[0:3], 0 offset:156
	;; [unrolled: 1-line block ×4, first 2 shown]
	ds_read_b128 v[14:17], v4 offset:352
	ds_read_b128 v[94:97], v4 offset:368
	buffer_load_dword v194, off, s[0:3], 0 offset:168
	buffer_load_dword v195, off, s[0:3], 0 offset:172
	ds_read_b128 v[98:101], v4 offset:384
	ds_read_b128 v[102:105], v4 offset:400
	buffer_load_dword v196, off, s[0:3], 0 offset:176
	buffer_load_dword v197, off, s[0:3], 0 offset:180
	;; [unrolled: 1-line block ×16, first 2 shown]
	v_cmp_ne_u32_e32 vcc, 0, v0
	s_waitcnt vmcnt(57) lgkmcnt(5)
	v_mul_f32_e32 v106, v6, v5
	s_waitcnt vmcnt(56)
	v_mul_f32_e32 v107, v8, v138
	s_waitcnt vmcnt(55) lgkmcnt(4)
	v_mul_f32_e32 v108, v10, v140
	s_waitcnt vmcnt(54)
	v_mul_f32_e32 v109, v12, v148
	;; [unrolled: 4-line block ×4, first 2 shown]
	s_waitcnt vmcnt(49)
	v_fmac_f32_e32 v106, v7, v164
	s_waitcnt vmcnt(48)
	v_fmac_f32_e32 v107, v9, v165
	v_add_f32_e32 v106, 0, v106
	s_waitcnt vmcnt(47)
	v_fmac_f32_e32 v108, v11, v166
	v_add_f32_e32 v106, v106, v107
	;; [unrolled: 3-line block ×7, first 2 shown]
	s_waitcnt vmcnt(41) lgkmcnt(1)
	v_mul_f32_e32 v107, v98, v172
	v_add_f32_e32 v106, v106, v113
	s_waitcnt vmcnt(40)
	v_fmac_f32_e32 v107, v99, v173
	v_add_f32_e32 v106, v106, v107
	s_waitcnt vmcnt(39)
	v_mul_f32_e32 v107, v100, v174
	s_waitcnt vmcnt(38)
	v_fmac_f32_e32 v107, v101, v175
	v_add_f32_e32 v106, v106, v107
	s_waitcnt vmcnt(37) lgkmcnt(0)
	v_mul_f32_e32 v107, v102, v176
	s_waitcnt vmcnt(36)
	v_fmac_f32_e32 v107, v103, v177
	v_add_f32_e32 v110, v106, v107
	ds_read_b128 v[106:109], v4 offset:416
	s_waitcnt vmcnt(35)
	v_mul_f32_e32 v111, v104, v178
	s_waitcnt vmcnt(34)
	v_fmac_f32_e32 v111, v105, v179
	v_add_f32_e32 v114, v110, v111
	ds_read_b128 v[110:113], v4 offset:432
	s_waitcnt vmcnt(33) lgkmcnt(1)
	v_mul_f32_e32 v115, v106, v180
	s_waitcnt vmcnt(32)
	v_fmac_f32_e32 v115, v107, v181
	v_add_f32_e32 v114, v114, v115
	s_waitcnt vmcnt(31)
	v_mul_f32_e32 v115, v108, v182
	s_waitcnt vmcnt(30)
	v_fmac_f32_e32 v115, v109, v183
	v_add_f32_e32 v114, v114, v115
	s_waitcnt vmcnt(29) lgkmcnt(0)
	v_mul_f32_e32 v115, v110, v184
	s_waitcnt vmcnt(28)
	v_fmac_f32_e32 v115, v111, v185
	v_add_f32_e32 v118, v114, v115
	ds_read_b128 v[114:117], v4 offset:448
	s_waitcnt vmcnt(25)
	v_mul_f32_e32 v119, v112, v186
	s_waitcnt vmcnt(24)
	v_fmac_f32_e32 v119, v113, v187
	v_add_f32_e32 v122, v118, v119
	ds_read_b128 v[118:121], v4 offset:464
	s_waitcnt vmcnt(22) lgkmcnt(1)
	v_mul_f32_e32 v123, v114, v189
	v_fmac_f32_e32 v123, v115, v188
	v_add_f32_e32 v122, v122, v123
	s_waitcnt vmcnt(20)
	v_mul_f32_e32 v123, v116, v191
	v_fmac_f32_e32 v123, v117, v190
	v_add_f32_e32 v122, v122, v123
	s_waitcnt vmcnt(18) lgkmcnt(0)
	v_mul_f32_e32 v123, v118, v193
	v_fmac_f32_e32 v123, v119, v192
	v_add_f32_e32 v126, v122, v123
	ds_read_b128 v[122:125], v4 offset:480
	s_waitcnt vmcnt(16)
	v_mul_f32_e32 v127, v120, v195
	v_fmac_f32_e32 v127, v121, v194
	v_add_f32_e32 v130, v126, v127
	ds_read_b128 v[126:129], v4 offset:496
	s_waitcnt vmcnt(14) lgkmcnt(1)
	v_mul_f32_e32 v131, v122, v197
	v_fmac_f32_e32 v131, v123, v196
	v_add_f32_e32 v130, v130, v131
	s_waitcnt vmcnt(12)
	v_mul_f32_e32 v131, v124, v199
	v_fmac_f32_e32 v131, v125, v198
	v_add_f32_e32 v130, v130, v131
	s_waitcnt vmcnt(10) lgkmcnt(0)
	v_mul_f32_e32 v131, v126, v201
	v_fmac_f32_e32 v131, v127, v200
	s_waitcnt vmcnt(8)
	v_mul_f32_e32 v135, v128, v203
	v_add_f32_e32 v134, v130, v131
	v_fmac_f32_e32 v135, v129, v202
	ds_read_b128 v[130:133], v4 offset:512
	v_add_f32_e32 v139, v134, v135
	ds_read_b128 v[134:137], v4 offset:528
	buffer_load_dword v143, off, s[0:3], 0 offset:260
	buffer_load_dword v142, off, s[0:3], 0 offset:256
	;; [unrolled: 1-line block ×16, first 2 shown]
	v_mul_f32_e32 v5, v7, v5
	v_fma_f32 v5, v6, v164, -v5
	v_mul_f32_e32 v6, v9, v138
	v_add_f32_e32 v5, 0, v5
	v_fma_f32 v6, v8, v165, -v6
	v_add_f32_e32 v5, v5, v6
	v_mul_f32_e32 v6, v11, v140
	v_fma_f32 v6, v10, v166, -v6
	v_add_f32_e32 v5, v5, v6
	v_mul_f32_e32 v6, v13, v148
	;; [unrolled: 3-line block ×22, first 2 shown]
	v_fma_f32 v6, v128, v202, -v6
	v_add_f32_e32 v5, v5, v6
	s_waitcnt vmcnt(22) lgkmcnt(1)
	v_mul_f32_e32 v6, v131, v205
	v_fma_f32 v6, v130, v204, -v6
	v_add_f32_e32 v5, v5, v6
	s_waitcnt vmcnt(20)
	v_mul_f32_e32 v6, v133, v207
	v_fma_f32 v6, v132, v206, -v6
	v_add_f32_e32 v138, v5, v6
	ds_read_b128 v[6:9], v4 offset:544
	ds_read_b128 v[10:13], v4 offset:560
	;; [unrolled: 1-line block ×4, first 2 shown]
	s_waitcnt vmcnt(11)
	v_mov_b32_e32 v98, v147
	v_mul_f32_e32 v141, v130, v205
	s_waitcnt lgkmcnt(3)
	v_pk_mul_f32 v[98:99], v[6:7], v[98:99] op_sel_hi:[1,0]
	v_fmac_f32_e32 v141, v131, v204
	s_waitcnt vmcnt(10)
	v_pk_fma_f32 v[100:101], v[6:7], v[146:147], v[98:99] op_sel:[0,0,1] op_sel_hi:[1,1,0] neg_lo:[0,0,1] neg_hi:[0,0,1]
	v_pk_fma_f32 v[6:7], v[6:7], v[146:147], v[98:99] op_sel:[0,0,1] op_sel_hi:[1,0,0]
	v_add_f32_e32 v139, v139, v141
	v_mul_f32_e32 v141, v132, v207
	v_mov_b32_e32 v6, v145
	v_fmac_f32_e32 v141, v133, v206
	v_mov_b32_e32 v101, v7
	v_pk_mul_f32 v[6:7], v[8:9], v[6:7] op_sel_hi:[1,0]
	v_add_f32_e32 v139, v139, v141
	v_mul_f32_e32 v141, v134, v209
	v_mul_f32_e32 v5, v135, v209
	v_pk_fma_f32 v[98:99], v[8:9], v[144:145], v[6:7] op_sel:[0,0,1] op_sel_hi:[1,1,0] neg_lo:[0,0,1] neg_hi:[0,0,1]
	v_pk_fma_f32 v[6:7], v[8:9], v[144:145], v[6:7] op_sel:[0,0,1] op_sel_hi:[1,0,0]
	v_fmac_f32_e32 v141, v135, v208
	v_mul_f32_e32 v149, v136, v211
	v_fma_f32 v140, v134, v208, -v5
	v_mul_f32_e32 v5, v137, v211
	v_mov_b32_e32 v6, v143
	v_fmac_f32_e32 v149, v137, v210
	v_fma_f32 v148, v136, v210, -v5
	v_pk_add_f32 v[4:5], v[138:139], v[140:141]
	v_mov_b32_e32 v99, v7
	s_waitcnt lgkmcnt(2)
	v_pk_mul_f32 v[6:7], v[10:11], v[6:7] op_sel_hi:[1,0]
	v_pk_add_f32 v[4:5], v[4:5], v[148:149]
	v_pk_fma_f32 v[8:9], v[10:11], v[142:143], v[6:7] op_sel:[0,0,1] op_sel_hi:[1,1,0] neg_lo:[0,0,1] neg_hi:[0,0,1]
	v_pk_fma_f32 v[6:7], v[10:11], v[142:143], v[6:7] op_sel:[0,0,1] op_sel_hi:[1,0,0]
	v_pk_add_f32 v[4:5], v[4:5], v[100:101]
	s_waitcnt vmcnt(3)
	v_mov_b32_e32 v6, v157
	v_pk_add_f32 v[4:5], v[4:5], v[98:99]
	v_mov_b32_e32 v9, v7
	v_pk_mul_f32 v[6:7], v[12:13], v[6:7] op_sel_hi:[1,0]
	v_pk_add_f32 v[4:5], v[4:5], v[8:9]
	s_waitcnt vmcnt(2)
	v_pk_fma_f32 v[8:9], v[12:13], v[156:157], v[6:7] op_sel:[0,0,1] op_sel_hi:[1,1,0] neg_lo:[0,0,1] neg_hi:[0,0,1]
	v_pk_fma_f32 v[6:7], v[12:13], v[156:157], v[6:7] op_sel:[0,0,1] op_sel_hi:[1,0,0]
	v_mov_b32_e32 v6, v155
	v_mov_b32_e32 v9, v7
	s_waitcnt lgkmcnt(1)
	v_pk_mul_f32 v[6:7], v[14:15], v[6:7] op_sel_hi:[1,0]
	v_pk_add_f32 v[4:5], v[4:5], v[8:9]
	v_pk_fma_f32 v[8:9], v[14:15], v[154:155], v[6:7] op_sel:[0,0,1] op_sel_hi:[1,1,0] neg_lo:[0,0,1] neg_hi:[0,0,1]
	v_pk_fma_f32 v[6:7], v[14:15], v[154:155], v[6:7] op_sel:[0,0,1] op_sel_hi:[1,0,0]
	v_mov_b32_e32 v6, v153
	v_mov_b32_e32 v9, v7
	v_pk_mul_f32 v[6:7], v[16:17], v[6:7] op_sel_hi:[1,0]
	v_pk_add_f32 v[4:5], v[4:5], v[8:9]
	v_pk_fma_f32 v[8:9], v[16:17], v[152:153], v[6:7] op_sel:[0,0,1] op_sel_hi:[1,1,0] neg_lo:[0,0,1] neg_hi:[0,0,1]
	v_pk_fma_f32 v[6:7], v[16:17], v[152:153], v[6:7] op_sel:[0,0,1] op_sel_hi:[1,0,0]
	v_mov_b32_e32 v6, v151
	v_mov_b32_e32 v9, v7
	s_waitcnt lgkmcnt(0)
	v_pk_mul_f32 v[6:7], v[94:95], v[6:7] op_sel_hi:[1,0]
	v_pk_add_f32 v[4:5], v[4:5], v[8:9]
	v_pk_fma_f32 v[8:9], v[94:95], v[150:151], v[6:7] op_sel:[0,0,1] op_sel_hi:[1,1,0] neg_lo:[0,0,1] neg_hi:[0,0,1]
	v_pk_fma_f32 v[6:7], v[94:95], v[150:151], v[6:7] op_sel:[0,0,1] op_sel_hi:[1,0,0]
	s_waitcnt vmcnt(1)
	v_mov_b32_e32 v6, v159
	v_mov_b32_e32 v9, v7
	v_pk_mul_f32 v[6:7], v[96:97], v[6:7] op_sel_hi:[1,0]
	v_pk_add_f32 v[4:5], v[4:5], v[8:9]
	s_waitcnt vmcnt(0)
	v_pk_fma_f32 v[8:9], v[96:97], v[158:159], v[6:7] op_sel:[0,0,1] op_sel_hi:[1,1,0] neg_lo:[0,0,1] neg_hi:[0,0,1]
	v_pk_fma_f32 v[6:7], v[96:97], v[158:159], v[6:7] op_sel:[0,0,1] op_sel_hi:[1,0,0]
	v_mov_b32_e32 v9, v7
	v_pk_add_f32 v[4:5], v[4:5], v[8:9]
	v_pk_add_f32 v[2:3], v[2:3], v[4:5] neg_lo:[0,1] neg_hi:[0,1]
	buffer_store_dword v3, off, s[0:3], 0 offset:12
	buffer_store_dword v2, off, s[0:3], 0 offset:8
	s_and_saveexec_b64 s[4:5], vcc
	s_cbranch_execz .LBB37_241
; %bb.240:
	buffer_load_dword v2, off, s[0:3], 0
	buffer_load_dword v3, off, s[0:3], 0 offset:4
	v_mov_b32_e32 v0, 0
	buffer_store_dword v0, off, s[0:3], 0
	buffer_store_dword v0, off, s[0:3], 0 offset:4
	s_waitcnt vmcnt(2)
	ds_write_b64 v1, v[2:3]
.LBB37_241:
	s_or_b64 exec, exec, s[4:5]
	s_waitcnt lgkmcnt(0)
	; wave barrier
	s_waitcnt lgkmcnt(0)
	buffer_load_dword v142, off, s[0:3], 0 offset:12
	buffer_load_dword v148, off, s[0:3], 0 offset:20
	;; [unrolled: 1-line block ×26, first 2 shown]
	buffer_load_dword v4, off, s[0:3], 0
	buffer_load_dword v5, off, s[0:3], 0 offset:4
	buffer_load_dword v187, off, s[0:3], 0 offset:116
	;; [unrolled: 1-line block ×29, first 2 shown]
	v_mov_b32_e32 v191, 0
	ds_read2_b64 v[0:3], v191 offset0:39 offset1:40
	buffer_load_dword v216, off, s[0:3], 0 offset:224
	buffer_load_dword v217, off, s[0:3], 0 offset:228
	;; [unrolled: 1-line block ×4, first 2 shown]
	ds_read2_b64 v[6:9], v191 offset0:41 offset1:42
	ds_read2_b64 v[10:13], v191 offset0:43 offset1:44
	;; [unrolled: 1-line block ×3, first 2 shown]
	s_and_b64 vcc, exec, s[20:21]
	s_waitcnt vmcnt(59) lgkmcnt(3)
	v_mul_f32_e32 v94, v0, v142
	s_waitcnt vmcnt(58)
	v_mul_f32_e32 v95, v2, v148
	s_waitcnt vmcnt(57) lgkmcnt(2)
	v_mul_f32_e32 v96, v6, v150
	s_waitcnt vmcnt(56)
	v_mul_f32_e32 v97, v8, v164
	;; [unrolled: 4-line block ×3, first 2 shown]
	s_waitcnt vmcnt(53) lgkmcnt(0)
	v_mul_f32_e32 v100, v14, v167
	s_waitcnt vmcnt(52)
	v_fmac_f32_e32 v94, v1, v168
	s_waitcnt vmcnt(51)
	v_fmac_f32_e32 v95, v3, v169
	v_add_f32_e32 v94, 0, v94
	s_waitcnt vmcnt(50)
	v_fmac_f32_e32 v96, v7, v170
	v_add_f32_e32 v94, v94, v95
	;; [unrolled: 3-line block ×6, first 2 shown]
	v_add_f32_e32 v98, v94, v100
	ds_read2_b64 v[94:97], v191 offset0:47 offset1:48
	s_waitcnt vmcnt(45)
	v_mul_f32_e32 v99, v16, v175
	s_waitcnt vmcnt(44)
	v_fmac_f32_e32 v99, v17, v176
	v_add_f32_e32 v102, v98, v99
	ds_read2_b64 v[98:101], v191 offset0:49 offset1:50
	s_waitcnt vmcnt(43) lgkmcnt(1)
	v_mul_f32_e32 v103, v94, v177
	s_waitcnt vmcnt(42)
	v_fmac_f32_e32 v103, v95, v178
	v_add_f32_e32 v102, v102, v103
	s_waitcnt vmcnt(41)
	v_mul_f32_e32 v103, v96, v179
	s_waitcnt vmcnt(40)
	v_fmac_f32_e32 v103, v97, v180
	v_add_f32_e32 v102, v102, v103
	s_waitcnt vmcnt(39) lgkmcnt(0)
	v_mul_f32_e32 v103, v98, v181
	s_waitcnt vmcnt(38)
	v_fmac_f32_e32 v103, v99, v182
	v_add_f32_e32 v106, v102, v103
	ds_read2_b64 v[102:105], v191 offset0:51 offset1:52
	s_waitcnt vmcnt(37)
	v_mul_f32_e32 v107, v100, v183
	s_waitcnt vmcnt(36)
	v_fmac_f32_e32 v107, v101, v184
	v_add_f32_e32 v110, v106, v107
	ds_read2_b64 v[106:109], v191 offset0:53 offset1:54
	s_waitcnt vmcnt(34) lgkmcnt(1)
	v_mul_f32_e32 v111, v102, v186
	v_fmac_f32_e32 v111, v103, v185
	v_add_f32_e32 v110, v110, v111
	s_waitcnt vmcnt(31)
	v_mul_f32_e32 v111, v104, v187
	s_waitcnt vmcnt(30)
	v_fmac_f32_e32 v111, v105, v188
	v_add_f32_e32 v110, v110, v111
	s_waitcnt vmcnt(28) lgkmcnt(0)
	v_mul_f32_e32 v111, v106, v190
	v_fmac_f32_e32 v111, v107, v189
	v_add_f32_e32 v114, v110, v111
	ds_read2_b64 v[110:113], v191 offset0:55 offset1:56
	s_waitcnt vmcnt(26)
	v_mul_f32_e32 v115, v108, v193
	v_fmac_f32_e32 v115, v109, v192
	v_add_f32_e32 v118, v114, v115
	ds_read2_b64 v[114:117], v191 offset0:57 offset1:58
	s_waitcnt vmcnt(24) lgkmcnt(1)
	v_mul_f32_e32 v119, v110, v195
	v_fmac_f32_e32 v119, v111, v194
	v_add_f32_e32 v118, v118, v119
	s_waitcnt vmcnt(22)
	v_mul_f32_e32 v119, v112, v197
	v_fmac_f32_e32 v119, v113, v196
	v_add_f32_e32 v118, v118, v119
	s_waitcnt vmcnt(20) lgkmcnt(0)
	v_mul_f32_e32 v119, v114, v199
	v_fmac_f32_e32 v119, v115, v198
	v_add_f32_e32 v122, v118, v119
	ds_read2_b64 v[118:121], v191 offset0:59 offset1:60
	s_waitcnt vmcnt(18)
	v_mul_f32_e32 v123, v116, v201
	v_fmac_f32_e32 v123, v117, v200
	v_add_f32_e32 v126, v122, v123
	ds_read2_b64 v[122:125], v191 offset0:61 offset1:62
	s_waitcnt vmcnt(16) lgkmcnt(1)
	v_mul_f32_e32 v127, v118, v203
	v_fmac_f32_e32 v127, v119, v202
	v_add_f32_e32 v126, v126, v127
	s_waitcnt vmcnt(14)
	v_mul_f32_e32 v127, v120, v205
	v_fmac_f32_e32 v127, v121, v204
	v_add_f32_e32 v126, v126, v127
	s_waitcnt vmcnt(12) lgkmcnt(0)
	v_mul_f32_e32 v127, v122, v207
	v_fmac_f32_e32 v127, v123, v206
	v_add_f32_e32 v130, v126, v127
	ds_read2_b64 v[126:129], v191 offset0:63 offset1:64
	s_waitcnt vmcnt(10)
	v_mul_f32_e32 v131, v124, v209
	v_fmac_f32_e32 v131, v125, v208
	v_add_f32_e32 v134, v130, v131
	ds_read2_b64 v[130:133], v191 offset0:65 offset1:66
	s_waitcnt vmcnt(8) lgkmcnt(1)
	v_mul_f32_e32 v135, v126, v211
	v_fmac_f32_e32 v135, v127, v210
	v_add_f32_e32 v134, v134, v135
	s_waitcnt vmcnt(6)
	v_mul_f32_e32 v135, v128, v213
	v_fmac_f32_e32 v135, v129, v212
	v_add_f32_e32 v134, v134, v135
	s_waitcnt vmcnt(4) lgkmcnt(0)
	v_mul_f32_e32 v135, v130, v215
	v_fmac_f32_e32 v135, v131, v214
	v_add_f32_e32 v143, v134, v135
	ds_read2_b64 v[134:137], v191 offset0:67 offset1:68
	buffer_load_dword v145, off, s[0:3], 0 offset:252
	buffer_load_dword v144, off, s[0:3], 0 offset:248
	;; [unrolled: 1-line block ×4, first 2 shown]
	ds_read2_b64 v[138:141], v191 offset0:69 offset1:70
	buffer_load_dword v153, off, s[0:3], 0 offset:284
	buffer_load_dword v152, off, s[0:3], 0 offset:280
	;; [unrolled: 1-line block ×12, first 2 shown]
	v_mul_f32_e32 v1, v1, v142
	v_fma_f32 v0, v0, v168, -v1
	v_mul_f32_e32 v1, v3, v148
	v_add_f32_e32 v0, 0, v0
	v_fma_f32 v1, v2, v169, -v1
	v_add_f32_e32 v0, v0, v1
	v_mul_f32_e32 v1, v7, v150
	v_fma_f32 v1, v6, v170, -v1
	v_add_f32_e32 v0, v0, v1
	v_mul_f32_e32 v1, v9, v164
	;; [unrolled: 3-line block ×25, first 2 shown]
	v_fma_f32 v1, v130, v214, -v1
	s_waitcnt vmcnt(13)
	v_mov_b32_e32 v14, v147
	v_mul_f32_e32 v149, v132, v217
	v_add_f32_e32 v142, v0, v1
	v_mul_f32_e32 v0, v133, v217
	s_waitcnt lgkmcnt(1)
	v_pk_mul_f32 v[14:15], v[136:137], v[14:15] op_sel_hi:[1,0]
	v_fmac_f32_e32 v149, v133, v216
	v_mul_f32_e32 v151, v134, v219
	v_fma_f32 v148, v132, v216, -v0
	v_mul_f32_e32 v0, v135, v219
	s_waitcnt vmcnt(12)
	v_pk_fma_f32 v[16:17], v[136:137], v[146:147], v[14:15] op_sel:[0,0,1] op_sel_hi:[1,1,0] neg_lo:[0,0,1] neg_hi:[0,0,1]
	v_pk_fma_f32 v[14:15], v[136:137], v[146:147], v[14:15] op_sel:[0,0,1] op_sel_hi:[1,0,0]
	v_fmac_f32_e32 v151, v135, v218
	v_fma_f32 v150, v134, v218, -v0
	v_pk_add_f32 v[12:13], v[142:143], v[148:149]
	v_mov_b32_e32 v14, v145
	v_pk_add_f32 v[12:13], v[12:13], v[150:151]
	v_mov_b32_e32 v17, v15
	s_waitcnt lgkmcnt(0)
	v_pk_mul_f32 v[14:15], v[138:139], v[14:15] op_sel_hi:[1,0]
	v_pk_add_f32 v[12:13], v[12:13], v[16:17]
	v_pk_fma_f32 v[16:17], v[138:139], v[144:145], v[14:15] op_sel:[0,0,1] op_sel_hi:[1,1,0] neg_lo:[0,0,1] neg_hi:[0,0,1]
	v_pk_fma_f32 v[14:15], v[138:139], v[144:145], v[14:15] op_sel:[0,0,1] op_sel_hi:[1,0,0]
	s_waitcnt vmcnt(5)
	v_mov_b32_e32 v14, v159
	ds_read2_b64 v[0:3], v191 offset0:71 offset1:72
	ds_read2_b64 v[6:9], v191 offset0:73 offset1:74
	ds_read_b64 v[10:11], v191 offset:600
	v_mov_b32_e32 v17, v15
	v_pk_mul_f32 v[14:15], v[140:141], v[14:15] op_sel_hi:[1,0]
	v_pk_add_f32 v[12:13], v[12:13], v[16:17]
	s_waitcnt vmcnt(4)
	v_pk_fma_f32 v[16:17], v[140:141], v[158:159], v[14:15] op_sel:[0,0,1] op_sel_hi:[1,1,0] neg_lo:[0,0,1] neg_hi:[0,0,1]
	v_pk_fma_f32 v[14:15], v[140:141], v[158:159], v[14:15] op_sel:[0,0,1] op_sel_hi:[1,0,0]
	v_mov_b32_e32 v14, v157
	v_mov_b32_e32 v17, v15
	s_waitcnt lgkmcnt(2)
	v_pk_mul_f32 v[14:15], v[0:1], v[14:15] op_sel_hi:[1,0]
	v_pk_add_f32 v[12:13], v[12:13], v[16:17]
	v_pk_fma_f32 v[16:17], v[0:1], v[156:157], v[14:15] op_sel:[0,0,1] op_sel_hi:[1,1,0] neg_lo:[0,0,1] neg_hi:[0,0,1]
	v_pk_fma_f32 v[0:1], v[0:1], v[156:157], v[14:15] op_sel:[0,0,1] op_sel_hi:[1,0,0]
	v_mov_b32_e32 v17, v1
	v_pk_add_f32 v[0:1], v[12:13], v[16:17]
	v_mov_b32_e32 v12, v155
	v_pk_mul_f32 v[12:13], v[2:3], v[12:13] op_sel_hi:[1,0]
	v_pk_fma_f32 v[14:15], v[2:3], v[154:155], v[12:13] op_sel:[0,0,1] op_sel_hi:[1,1,0] neg_lo:[0,0,1] neg_hi:[0,0,1]
	v_pk_fma_f32 v[2:3], v[2:3], v[154:155], v[12:13] op_sel:[0,0,1] op_sel_hi:[1,0,0]
	v_mov_b32_e32 v2, v153
	v_mov_b32_e32 v15, v3
	s_waitcnt lgkmcnt(1)
	v_pk_mul_f32 v[2:3], v[6:7], v[2:3] op_sel_hi:[1,0]
	v_pk_fma_f32 v[12:13], v[6:7], v[152:153], v[2:3] op_sel:[0,0,1] op_sel_hi:[1,1,0] neg_lo:[0,0,1] neg_hi:[0,0,1]
	v_pk_fma_f32 v[2:3], v[6:7], v[152:153], v[2:3] op_sel:[0,0,1] op_sel_hi:[1,0,0]
	s_waitcnt vmcnt(1)
	v_mov_b32_e32 v2, v163
	v_mov_b32_e32 v13, v3
	v_pk_mul_f32 v[2:3], v[8:9], v[2:3] op_sel_hi:[1,0]
	s_waitcnt vmcnt(0)
	v_pk_fma_f32 v[6:7], v[8:9], v[162:163], v[2:3] op_sel:[0,0,1] op_sel_hi:[1,1,0] neg_lo:[0,0,1] neg_hi:[0,0,1]
	v_pk_fma_f32 v[2:3], v[8:9], v[162:163], v[2:3] op_sel:[0,0,1] op_sel_hi:[1,0,0]
	v_pk_add_f32 v[0:1], v[0:1], v[14:15]
	v_mov_b32_e32 v2, v161
	v_pk_add_f32 v[0:1], v[0:1], v[12:13]
	v_mov_b32_e32 v7, v3
	s_waitcnt lgkmcnt(0)
	v_pk_mul_f32 v[2:3], v[10:11], v[2:3] op_sel_hi:[1,0]
	v_pk_add_f32 v[0:1], v[0:1], v[6:7]
	v_pk_fma_f32 v[6:7], v[10:11], v[160:161], v[2:3] op_sel:[0,0,1] op_sel_hi:[1,1,0] neg_lo:[0,0,1] neg_hi:[0,0,1]
	v_pk_fma_f32 v[2:3], v[10:11], v[160:161], v[2:3] op_sel:[0,0,1] op_sel_hi:[1,0,0]
	v_mov_b32_e32 v7, v3
	v_pk_add_f32 v[0:1], v[0:1], v[6:7]
	v_pk_add_f32 v[0:1], v[4:5], v[0:1] neg_lo:[0,1] neg_hi:[0,1]
	buffer_store_dword v1, off, s[0:3], 0 offset:4
	buffer_store_dword v0, off, s[0:3], 0
	s_cbranch_vccz .LBB37_317
; %bb.242:
	v_pk_mov_b32 v[0:1], s[10:11], s[10:11] op_sel:[0,1]
	flat_load_dword v0, v[0:1] offset:144
	s_waitcnt vmcnt(0) lgkmcnt(0)
	v_add_u32_e32 v0, -1, v0
	v_cmp_ne_u32_e32 vcc, 36, v0
	s_and_saveexec_b64 s[4:5], vcc
	s_cbranch_execz .LBB37_244
; %bb.243:
	v_mov_b32_e32 v1, 0
	v_lshl_add_u32 v0, v0, 3, v1
	buffer_load_dword v1, v0, s[0:3], 0 offen
	buffer_load_dword v2, v0, s[0:3], 0 offen offset:4
	buffer_load_dword v3, off, s[0:3], 0 offset:292
	buffer_load_dword v4, off, s[0:3], 0 offset:288
	s_waitcnt vmcnt(3)
	buffer_store_dword v1, off, s[0:3], 0 offset:288
	s_waitcnt vmcnt(3)
	buffer_store_dword v2, off, s[0:3], 0 offset:292
	s_waitcnt vmcnt(3)
	buffer_store_dword v3, v0, s[0:3], 0 offen offset:4
	s_waitcnt vmcnt(3)
	buffer_store_dword v4, v0, s[0:3], 0 offen
.LBB37_244:
	s_or_b64 exec, exec, s[4:5]
	v_pk_mov_b32 v[0:1], s[10:11], s[10:11] op_sel:[0,1]
	flat_load_dword v0, v[0:1] offset:140
	s_waitcnt vmcnt(0) lgkmcnt(0)
	v_add_u32_e32 v0, -1, v0
	v_cmp_ne_u32_e32 vcc, 35, v0
	s_and_saveexec_b64 s[4:5], vcc
	s_cbranch_execz .LBB37_246
; %bb.245:
	v_mov_b32_e32 v1, 0
	v_lshl_add_u32 v0, v0, 3, v1
	buffer_load_dword v1, v0, s[0:3], 0 offen
	buffer_load_dword v2, v0, s[0:3], 0 offen offset:4
	buffer_load_dword v3, off, s[0:3], 0 offset:280
	buffer_load_dword v4, off, s[0:3], 0 offset:284
	s_waitcnt vmcnt(3)
	buffer_store_dword v1, off, s[0:3], 0 offset:280
	s_waitcnt vmcnt(3)
	buffer_store_dword v2, off, s[0:3], 0 offset:284
	s_waitcnt vmcnt(3)
	buffer_store_dword v3, v0, s[0:3], 0 offen
	s_waitcnt vmcnt(3)
	buffer_store_dword v4, v0, s[0:3], 0 offen offset:4
.LBB37_246:
	s_or_b64 exec, exec, s[4:5]
	v_pk_mov_b32 v[0:1], s[10:11], s[10:11] op_sel:[0,1]
	flat_load_dword v0, v[0:1] offset:136
	s_waitcnt vmcnt(0) lgkmcnt(0)
	v_add_u32_e32 v0, -1, v0
	v_cmp_ne_u32_e32 vcc, 34, v0
	s_and_saveexec_b64 s[4:5], vcc
	s_cbranch_execz .LBB37_248
; %bb.247:
	v_mov_b32_e32 v1, 0
	v_lshl_add_u32 v0, v0, 3, v1
	buffer_load_dword v1, v0, s[0:3], 0 offen
	buffer_load_dword v2, v0, s[0:3], 0 offen offset:4
	buffer_load_dword v3, off, s[0:3], 0 offset:276
	buffer_load_dword v4, off, s[0:3], 0 offset:272
	s_waitcnt vmcnt(3)
	buffer_store_dword v1, off, s[0:3], 0 offset:272
	s_waitcnt vmcnt(3)
	buffer_store_dword v2, off, s[0:3], 0 offset:276
	s_waitcnt vmcnt(3)
	buffer_store_dword v3, v0, s[0:3], 0 offen offset:4
	s_waitcnt vmcnt(3)
	buffer_store_dword v4, v0, s[0:3], 0 offen
.LBB37_248:
	s_or_b64 exec, exec, s[4:5]
	v_pk_mov_b32 v[0:1], s[10:11], s[10:11] op_sel:[0,1]
	flat_load_dword v0, v[0:1] offset:132
	s_waitcnt vmcnt(0) lgkmcnt(0)
	v_add_u32_e32 v0, -1, v0
	v_cmp_ne_u32_e32 vcc, 33, v0
	s_and_saveexec_b64 s[4:5], vcc
	s_cbranch_execz .LBB37_250
; %bb.249:
	v_mov_b32_e32 v1, 0
	v_lshl_add_u32 v0, v0, 3, v1
	buffer_load_dword v1, v0, s[0:3], 0 offen
	buffer_load_dword v2, v0, s[0:3], 0 offen offset:4
	buffer_load_dword v3, off, s[0:3], 0 offset:264
	buffer_load_dword v4, off, s[0:3], 0 offset:268
	s_waitcnt vmcnt(3)
	buffer_store_dword v1, off, s[0:3], 0 offset:264
	s_waitcnt vmcnt(3)
	buffer_store_dword v2, off, s[0:3], 0 offset:268
	s_waitcnt vmcnt(3)
	buffer_store_dword v3, v0, s[0:3], 0 offen
	s_waitcnt vmcnt(3)
	buffer_store_dword v4, v0, s[0:3], 0 offen offset:4
.LBB37_250:
	s_or_b64 exec, exec, s[4:5]
	;; [unrolled: 48-line block ×18, first 2 shown]
	v_pk_mov_b32 v[0:1], s[10:11], s[10:11] op_sel:[0,1]
	flat_load_dword v2, v[0:1]
	s_nop 0
	buffer_load_dword v0, off, s[0:3], 0
	buffer_load_dword v1, off, s[0:3], 0 offset:4
	s_waitcnt vmcnt(0) lgkmcnt(0)
	v_add_u32_e32 v2, -1, v2
	v_cmp_ne_u32_e32 vcc, 0, v2
	s_and_saveexec_b64 s[4:5], vcc
	s_cbranch_execz .LBB37_316
; %bb.315:
	v_mov_b32_e32 v3, 0
	v_lshl_add_u32 v2, v2, 3, v3
	buffer_load_dword v3, v2, s[0:3], 0 offen offset:4
	buffer_load_dword v4, v2, s[0:3], 0 offen
	s_waitcnt vmcnt(1)
	buffer_store_dword v3, off, s[0:3], 0 offset:4
	s_waitcnt vmcnt(1)
	buffer_store_dword v4, off, s[0:3], 0
	buffer_store_dword v1, v2, s[0:3], 0 offen offset:4
	buffer_store_dword v0, v2, s[0:3], 0 offen
	buffer_load_dword v0, off, s[0:3], 0
	s_nop 0
	buffer_load_dword v1, off, s[0:3], 0 offset:4
.LBB37_316:
	s_or_b64 exec, exec, s[4:5]
.LBB37_317:
	buffer_load_dword v2, off, s[0:3], 0 offset:8
	buffer_load_dword v3, off, s[0:3], 0 offset:12
	;; [unrolled: 1-line block ×74, first 2 shown]
	s_waitcnt vmcnt(62)
	global_store_dwordx2 v[82:83], v[0:1], off
	global_store_dwordx2 v[84:85], v[2:3], off
	global_store_dwordx2 v[18:19], v[4:5], off
	global_store_dwordx2 v[20:21], v[6:7], off
	global_store_dwordx2 v[22:23], v[8:9], off
	global_store_dwordx2 v[24:25], v[10:11], off
	global_store_dwordx2 v[26:27], v[12:13], off
	s_waitcnt vmcnt(62)
	global_store_dwordx2 v[28:29], v[14:15], off
	global_store_dwordx2 v[30:31], v[16:17], off
	;; [unrolled: 1-line block ×3, first 2 shown]
	s_waitcnt vmcnt(62)
	global_store_dwordx2 v[34:35], v[96:97], off
	global_store_dwordx2 v[36:37], v[98:99], off
	s_waitcnt vmcnt(62)
	global_store_dwordx2 v[38:39], v[100:101], off
	s_waitcnt vmcnt(61)
	;; [unrolled: 2-line block ×26, first 2 shown]
	global_store_dwordx2 v[92:93], v[150:151], off
	s_endpgm
	.section	.rodata,"a",@progbits
	.p2align	6, 0x0
	.amdhsa_kernel _ZN9rocsolver6v33100L18getri_kernel_smallILi38E19rocblas_complex_numIfEPS3_EEvT1_iilPiilS6_bb
		.amdhsa_group_segment_fixed_size 612
		.amdhsa_private_segment_fixed_size 320
		.amdhsa_kernarg_size 60
		.amdhsa_user_sgpr_count 8
		.amdhsa_user_sgpr_private_segment_buffer 1
		.amdhsa_user_sgpr_dispatch_ptr 0
		.amdhsa_user_sgpr_queue_ptr 0
		.amdhsa_user_sgpr_kernarg_segment_ptr 1
		.amdhsa_user_sgpr_dispatch_id 0
		.amdhsa_user_sgpr_flat_scratch_init 1
		.amdhsa_user_sgpr_kernarg_preload_length 0
		.amdhsa_user_sgpr_kernarg_preload_offset 0
		.amdhsa_user_sgpr_private_segment_size 0
		.amdhsa_uses_dynamic_stack 0
		.amdhsa_system_sgpr_private_segment_wavefront_offset 1
		.amdhsa_system_sgpr_workgroup_id_x 1
		.amdhsa_system_sgpr_workgroup_id_y 0
		.amdhsa_system_sgpr_workgroup_id_z 0
		.amdhsa_system_sgpr_workgroup_info 0
		.amdhsa_system_vgpr_workitem_id 0
		.amdhsa_next_free_vgpr 220
		.amdhsa_next_free_sgpr 23
		.amdhsa_accum_offset 220
		.amdhsa_reserve_vcc 1
		.amdhsa_reserve_flat_scratch 1
		.amdhsa_float_round_mode_32 0
		.amdhsa_float_round_mode_16_64 0
		.amdhsa_float_denorm_mode_32 3
		.amdhsa_float_denorm_mode_16_64 3
		.amdhsa_dx10_clamp 1
		.amdhsa_ieee_mode 1
		.amdhsa_fp16_overflow 0
		.amdhsa_tg_split 0
		.amdhsa_exception_fp_ieee_invalid_op 0
		.amdhsa_exception_fp_denorm_src 0
		.amdhsa_exception_fp_ieee_div_zero 0
		.amdhsa_exception_fp_ieee_overflow 0
		.amdhsa_exception_fp_ieee_underflow 0
		.amdhsa_exception_fp_ieee_inexact 0
		.amdhsa_exception_int_div_zero 0
	.end_amdhsa_kernel
	.section	.text._ZN9rocsolver6v33100L18getri_kernel_smallILi38E19rocblas_complex_numIfEPS3_EEvT1_iilPiilS6_bb,"axG",@progbits,_ZN9rocsolver6v33100L18getri_kernel_smallILi38E19rocblas_complex_numIfEPS3_EEvT1_iilPiilS6_bb,comdat
.Lfunc_end37:
	.size	_ZN9rocsolver6v33100L18getri_kernel_smallILi38E19rocblas_complex_numIfEPS3_EEvT1_iilPiilS6_bb, .Lfunc_end37-_ZN9rocsolver6v33100L18getri_kernel_smallILi38E19rocblas_complex_numIfEPS3_EEvT1_iilPiilS6_bb
                                        ; -- End function
	.section	.AMDGPU.csdata,"",@progbits
; Kernel info:
; codeLenInByte = 63032
; NumSgprs: 29
; NumVgprs: 220
; NumAgprs: 0
; TotalNumVgprs: 220
; ScratchSize: 320
; MemoryBound: 0
; FloatMode: 240
; IeeeMode: 1
; LDSByteSize: 612 bytes/workgroup (compile time only)
; SGPRBlocks: 3
; VGPRBlocks: 27
; NumSGPRsForWavesPerEU: 29
; NumVGPRsForWavesPerEU: 220
; AccumOffset: 220
; Occupancy: 2
; WaveLimiterHint : 1
; COMPUTE_PGM_RSRC2:SCRATCH_EN: 1
; COMPUTE_PGM_RSRC2:USER_SGPR: 8
; COMPUTE_PGM_RSRC2:TRAP_HANDLER: 0
; COMPUTE_PGM_RSRC2:TGID_X_EN: 1
; COMPUTE_PGM_RSRC2:TGID_Y_EN: 0
; COMPUTE_PGM_RSRC2:TGID_Z_EN: 0
; COMPUTE_PGM_RSRC2:TIDIG_COMP_CNT: 0
; COMPUTE_PGM_RSRC3_GFX90A:ACCUM_OFFSET: 54
; COMPUTE_PGM_RSRC3_GFX90A:TG_SPLIT: 0
	.section	.text._ZN9rocsolver6v33100L18getri_kernel_smallILi39E19rocblas_complex_numIfEPS3_EEvT1_iilPiilS6_bb,"axG",@progbits,_ZN9rocsolver6v33100L18getri_kernel_smallILi39E19rocblas_complex_numIfEPS3_EEvT1_iilPiilS6_bb,comdat
	.globl	_ZN9rocsolver6v33100L18getri_kernel_smallILi39E19rocblas_complex_numIfEPS3_EEvT1_iilPiilS6_bb ; -- Begin function _ZN9rocsolver6v33100L18getri_kernel_smallILi39E19rocblas_complex_numIfEPS3_EEvT1_iilPiilS6_bb
	.p2align	8
	.type	_ZN9rocsolver6v33100L18getri_kernel_smallILi39E19rocblas_complex_numIfEPS3_EEvT1_iilPiilS6_bb,@function
_ZN9rocsolver6v33100L18getri_kernel_smallILi39E19rocblas_complex_numIfEPS3_EEvT1_iilPiilS6_bb: ; @_ZN9rocsolver6v33100L18getri_kernel_smallILi39E19rocblas_complex_numIfEPS3_EEvT1_iilPiilS6_bb
; %bb.0:
	s_add_u32 flat_scratch_lo, s6, s9
	s_addc_u32 flat_scratch_hi, s7, 0
	s_add_u32 s0, s0, s9
	s_addc_u32 s1, s1, 0
	v_cmp_gt_u32_e32 vcc, 39, v0
	s_and_saveexec_b64 s[6:7], vcc
	s_cbranch_execz .LBB38_170
; %bb.1:
	s_load_dword s22, s[4:5], 0x38
	s_load_dwordx4 s[16:19], s[4:5], 0x10
	s_load_dwordx4 s[12:15], s[4:5], 0x28
                                        ; implicit-def: $sgpr10_sgpr11
	s_waitcnt lgkmcnt(0)
	s_bitcmp1_b32 s22, 8
	s_cselect_b64 s[20:21], -1, 0
	s_ashr_i32 s9, s8, 31
	s_bfe_u32 s6, s22, 0x10008
	s_cmp_eq_u32 s6, 0
	s_cbranch_scc1 .LBB38_3
; %bb.2:
	s_load_dword s6, s[4:5], 0x20
	s_mul_i32 s7, s8, s13
	s_mul_hi_u32 s10, s8, s12
	s_mul_i32 s11, s9, s12
	s_add_i32 s10, s10, s7
	s_add_i32 s11, s10, s11
	s_mul_i32 s10, s8, s12
	s_waitcnt lgkmcnt(0)
	s_ashr_i32 s7, s6, 31
	s_lshl_b64 s[10:11], s[10:11], 2
	s_add_u32 s10, s18, s10
	s_addc_u32 s11, s19, s11
	s_lshl_b64 s[6:7], s[6:7], 2
	s_add_u32 s10, s10, s6
	s_addc_u32 s11, s11, s7
.LBB38_3:
	s_load_dwordx4 s[4:7], s[4:5], 0x0
	s_mul_i32 s12, s8, s17
	s_mul_hi_u32 s13, s8, s16
	s_add_i32 s17, s13, s12
	v_lshlrev_b32_e32 v6, 3, v0
	s_waitcnt lgkmcnt(0)
	s_ashr_i32 s13, s6, 31
	s_mov_b32 s12, s6
	s_mul_i32 s6, s9, s16
	s_add_i32 s17, s17, s6
	s_mul_i32 s16, s8, s16
	s_lshl_b64 s[16:17], s[16:17], 3
	s_add_u32 s6, s4, s16
	s_addc_u32 s16, s5, s17
	s_lshl_b64 s[4:5], s[12:13], 3
	s_add_u32 s4, s6, s4
	s_addc_u32 s5, s16, s5
	s_add_i32 s6, s7, s7
	v_add_u32_e32 v2, s6, v0
	v_ashrrev_i32_e32 v3, 31, v2
	v_lshlrev_b64 v[4:5], 3, v[2:3]
	v_add_u32_e32 v2, s7, v2
	v_mov_b32_e32 v1, s5
	v_add_co_u32_e32 v18, vcc, s4, v4
	v_ashrrev_i32_e32 v3, 31, v2
	v_addc_co_u32_e32 v19, vcc, v1, v5, vcc
	v_lshlrev_b64 v[4:5], 3, v[2:3]
	v_add_u32_e32 v2, s7, v2
	v_add_co_u32_e32 v20, vcc, s4, v4
	v_ashrrev_i32_e32 v3, 31, v2
	v_addc_co_u32_e32 v21, vcc, v1, v5, vcc
	v_lshlrev_b64 v[4:5], 3, v[2:3]
	v_add_u32_e32 v2, s7, v2
	;; [unrolled: 5-line block ×30, first 2 shown]
	v_add_co_u32_e32 v78, vcc, s4, v4
	v_ashrrev_i32_e32 v3, 31, v2
	v_addc_co_u32_e32 v79, vcc, v1, v5, vcc
	v_lshlrev_b64 v[4:5], 3, v[2:3]
	v_add_co_u32_e32 v80, vcc, s4, v4
	v_addc_co_u32_e32 v81, vcc, v1, v5, vcc
	v_mov_b32_e32 v7, s5
	v_add_co_u32_e32 v84, vcc, s4, v6
	s_ashr_i32 s13, s7, 31
	s_mov_b32 s12, s7
	v_add_u32_e32 v2, s7, v2
	v_addc_co_u32_e32 v85, vcc, 0, v7, vcc
	s_lshl_b64 s[12:13], s[12:13], 3
	v_ashrrev_i32_e32 v3, 31, v2
	v_mov_b32_e32 v7, s13
	v_add_co_u32_e32 v86, vcc, s12, v84
	v_addc_co_u32_e32 v87, vcc, v85, v7, vcc
	v_lshlrev_b64 v[10:11], 3, v[2:3]
	v_add_u32_e32 v2, s7, v2
	v_add_co_u32_e32 v82, vcc, s4, v10
	v_ashrrev_i32_e32 v3, 31, v2
	v_addc_co_u32_e32 v83, vcc, v1, v11, vcc
	v_lshlrev_b64 v[88:89], 3, v[2:3]
	v_add_u32_e32 v2, s7, v2
	v_add_co_u32_e32 v88, vcc, s4, v88
	v_ashrrev_i32_e32 v3, 31, v2
	;; [unrolled: 5-line block ×3, first 2 shown]
	v_addc_co_u32_e32 v91, vcc, v1, v91, vcc
	v_lshlrev_b64 v[92:93], 3, v[2:3]
	v_add_co_u32_e32 v92, vcc, s4, v92
	global_load_dwordx2 v[4:5], v6, s[4:5]
	global_load_dwordx2 v[8:9], v[86:87], off
	global_load_dwordx2 v[12:13], v[18:19], off
	;; [unrolled: 1-line block ×29, first 2 shown]
	v_addc_co_u32_e32 v93, vcc, v1, v93, vcc
	global_load_dwordx2 v[144:145], v[74:75], off
	global_load_dwordx2 v[146:147], v[76:77], off
	;; [unrolled: 1-line block ×8, first 2 shown]
	v_add_u32_e32 v2, s7, v2
	v_ashrrev_i32_e32 v3, 31, v2
	v_lshlrev_b64 v[2:3], 3, v[2:3]
	v_add_co_u32_e32 v94, vcc, s4, v2
	v_addc_co_u32_e32 v95, vcc, v1, v3, vcc
	global_load_dwordx2 v[2:3], v[94:95], off
	s_bitcmp0_b32 s22, 0
	s_mov_b64 s[6:7], -1
	s_waitcnt vmcnt(38)
	buffer_store_dword v5, off, s[0:3], 0 offset:4
	buffer_store_dword v4, off, s[0:3], 0
	s_waitcnt vmcnt(39)
	buffer_store_dword v9, off, s[0:3], 0 offset:12
	buffer_store_dword v8, off, s[0:3], 0 offset:8
	s_waitcnt vmcnt(40)
	buffer_store_dword v13, off, s[0:3], 0 offset:20
	buffer_store_dword v12, off, s[0:3], 0 offset:16
	s_waitcnt vmcnt(41)
	buffer_store_dword v15, off, s[0:3], 0 offset:28
	buffer_store_dword v14, off, s[0:3], 0 offset:24
	s_waitcnt vmcnt(42)
	buffer_store_dword v17, off, s[0:3], 0 offset:36
	buffer_store_dword v16, off, s[0:3], 0 offset:32
	s_waitcnt vmcnt(43)
	buffer_store_dword v97, off, s[0:3], 0 offset:44
	buffer_store_dword v96, off, s[0:3], 0 offset:40
	s_waitcnt vmcnt(44)
	buffer_store_dword v11, off, s[0:3], 0 offset:52
	buffer_store_dword v10, off, s[0:3], 0 offset:48
	s_waitcnt vmcnt(45)
	buffer_store_dword v99, off, s[0:3], 0 offset:60
	buffer_store_dword v98, off, s[0:3], 0 offset:56
	s_waitcnt vmcnt(46)
	buffer_store_dword v101, off, s[0:3], 0 offset:68
	buffer_store_dword v100, off, s[0:3], 0 offset:64
	s_waitcnt vmcnt(47)
	buffer_store_dword v102, off, s[0:3], 0 offset:72
	buffer_store_dword v103, off, s[0:3], 0 offset:76
	s_waitcnt vmcnt(48)
	buffer_store_dword v104, off, s[0:3], 0 offset:80
	buffer_store_dword v105, off, s[0:3], 0 offset:84
	s_waitcnt vmcnt(49)
	buffer_store_dword v106, off, s[0:3], 0 offset:88
	buffer_store_dword v107, off, s[0:3], 0 offset:92
	s_waitcnt vmcnt(50)
	buffer_store_dword v108, off, s[0:3], 0 offset:96
	buffer_store_dword v109, off, s[0:3], 0 offset:100
	s_waitcnt vmcnt(51)
	buffer_store_dword v110, off, s[0:3], 0 offset:104
	buffer_store_dword v111, off, s[0:3], 0 offset:108
	s_waitcnt vmcnt(52)
	buffer_store_dword v113, off, s[0:3], 0 offset:116
	buffer_store_dword v112, off, s[0:3], 0 offset:112
	s_waitcnt vmcnt(53)
	buffer_store_dword v114, off, s[0:3], 0 offset:120
	buffer_store_dword v115, off, s[0:3], 0 offset:124
	s_waitcnt vmcnt(54)
	buffer_store_dword v116, off, s[0:3], 0 offset:128
	buffer_store_dword v117, off, s[0:3], 0 offset:132
	s_waitcnt vmcnt(55)
	buffer_store_dword v118, off, s[0:3], 0 offset:136
	buffer_store_dword v119, off, s[0:3], 0 offset:140
	s_waitcnt vmcnt(56)
	buffer_store_dword v120, off, s[0:3], 0 offset:144
	buffer_store_dword v121, off, s[0:3], 0 offset:148
	s_waitcnt vmcnt(57)
	buffer_store_dword v123, off, s[0:3], 0 offset:156
	buffer_store_dword v122, off, s[0:3], 0 offset:152
	s_waitcnt vmcnt(58)
	buffer_store_dword v125, off, s[0:3], 0 offset:164
	buffer_store_dword v124, off, s[0:3], 0 offset:160
	s_waitcnt vmcnt(59)
	buffer_store_dword v126, off, s[0:3], 0 offset:168
	buffer_store_dword v127, off, s[0:3], 0 offset:172
	s_waitcnt vmcnt(60)
	buffer_store_dword v128, off, s[0:3], 0 offset:176
	buffer_store_dword v129, off, s[0:3], 0 offset:180
	s_waitcnt vmcnt(61)
	buffer_store_dword v130, off, s[0:3], 0 offset:184
	buffer_store_dword v131, off, s[0:3], 0 offset:188
	s_waitcnt vmcnt(62)
	buffer_store_dword v132, off, s[0:3], 0 offset:192
	buffer_store_dword v133, off, s[0:3], 0 offset:196
	s_waitcnt vmcnt(62)
	buffer_store_dword v135, off, s[0:3], 0 offset:204
	buffer_store_dword v134, off, s[0:3], 0 offset:200
	buffer_store_dword v137, off, s[0:3], 0 offset:212
	buffer_store_dword v136, off, s[0:3], 0 offset:208
	s_waitcnt vmcnt(62)
	buffer_store_dword v138, off, s[0:3], 0 offset:216
	buffer_store_dword v139, off, s[0:3], 0 offset:220
	;; [unrolled: 1-line block ×8, first 2 shown]
	s_waitcnt vmcnt(62)
	buffer_store_dword v147, off, s[0:3], 0 offset:252
	buffer_store_dword v146, off, s[0:3], 0 offset:248
	;; [unrolled: 1-line block ×16, first 2 shown]
	s_cbranch_scc1 .LBB38_168
; %bb.4:
	v_cmp_eq_u32_e64 s[4:5], 0, v0
	s_and_saveexec_b64 s[6:7], s[4:5]
	s_cbranch_execz .LBB38_6
; %bb.5:
	v_mov_b32_e32 v1, 0
	ds_write_b32 v1, v1 offset:312
.LBB38_6:
	s_or_b64 exec, exec, s[6:7]
	v_mov_b32_e32 v1, 0
	v_lshl_add_u32 v7, v0, 3, v1
	s_waitcnt lgkmcnt(0)
	; wave barrier
	s_waitcnt lgkmcnt(0)
	buffer_load_dword v1, v7, s[0:3], 0 offen
	buffer_load_dword v2, v7, s[0:3], 0 offen offset:4
	s_waitcnt vmcnt(1)
	v_cmp_eq_f32_e32 vcc, 0, v1
	s_waitcnt vmcnt(0)
	v_cmp_eq_f32_e64 s[6:7], 0, v2
	s_and_b64 s[6:7], vcc, s[6:7]
	s_and_saveexec_b64 s[12:13], s[6:7]
	s_cbranch_execz .LBB38_10
; %bb.7:
	v_mov_b32_e32 v1, 0
	ds_read_b32 v3, v1 offset:312
	v_add_u32_e32 v2, 1, v0
	s_waitcnt lgkmcnt(0)
	v_readfirstlane_b32 s6, v3
	s_cmp_eq_u32 s6, 0
	s_cselect_b64 s[16:17], -1, 0
	v_cmp_gt_i32_e32 vcc, s6, v2
	s_or_b64 s[16:17], s[16:17], vcc
	s_and_b64 exec, exec, s[16:17]
	s_cbranch_execz .LBB38_10
; %bb.8:
	s_mov_b64 s[16:17], 0
	v_mov_b32_e32 v3, s6
.LBB38_9:                               ; =>This Inner Loop Header: Depth=1
	ds_cmpst_rtn_b32 v3, v1, v3, v2 offset:312
	s_waitcnt lgkmcnt(0)
	v_cmp_ne_u32_e32 vcc, 0, v3
	v_cmp_le_i32_e64 s[6:7], v3, v2
	s_and_b64 s[6:7], vcc, s[6:7]
	s_and_b64 s[6:7], exec, s[6:7]
	s_or_b64 s[16:17], s[6:7], s[16:17]
	s_andn2_b64 exec, exec, s[16:17]
	s_cbranch_execnz .LBB38_9
.LBB38_10:
	s_or_b64 exec, exec, s[12:13]
	v_mov_b32_e32 v2, 0
	s_waitcnt lgkmcnt(0)
	; wave barrier
	ds_read_b32 v1, v2 offset:312
	s_and_saveexec_b64 s[6:7], s[4:5]
	s_cbranch_execz .LBB38_12
; %bb.11:
	s_lshl_b64 s[12:13], s[8:9], 2
	s_add_u32 s12, s14, s12
	s_addc_u32 s13, s15, s13
	s_waitcnt lgkmcnt(0)
	global_store_dword v2, v1, s[12:13]
.LBB38_12:
	s_or_b64 exec, exec, s[6:7]
	s_waitcnt lgkmcnt(0)
	v_cmp_ne_u32_e32 vcc, 0, v1
	s_mov_b64 s[6:7], 0
	s_cbranch_vccnz .LBB38_168
; %bb.13:
	buffer_load_dword v8, v7, s[0:3], 0 offen offset:4
	buffer_load_dword v3, v7, s[0:3], 0 offen
	s_waitcnt vmcnt(1)
	v_cmp_gt_f32_e32 vcc, 0, v8
	v_cndmask_b32_e64 v1, v8, -v8, vcc
	s_waitcnt vmcnt(0)
	v_cmp_gt_f32_e32 vcc, 0, v3
	v_cndmask_b32_e64 v2, v3, -v3, vcc
	v_cmp_ngt_f32_e32 vcc, v2, v1
                                        ; implicit-def: $vgpr1
                                        ; implicit-def: $vgpr2
	s_and_saveexec_b64 s[6:7], vcc
	s_xor_b64 s[6:7], exec, s[6:7]
                                        ; implicit-def: $vgpr4_vgpr5
	s_cbranch_execz .LBB38_15
; %bb.14:
	v_div_scale_f32 v1, s[12:13], v8, v8, v3
	v_rcp_f32_e32 v2, v1
	v_div_scale_f32 v4, vcc, v3, v8, v3
	v_fma_f32 v5, -v1, v2, 1.0
	v_fmac_f32_e32 v2, v5, v2
	v_mul_f32_e32 v5, v4, v2
	v_fma_f32 v9, -v1, v5, v4
	v_fmac_f32_e32 v5, v9, v2
	v_fma_f32 v1, -v1, v5, v4
	v_div_fmas_f32 v1, v1, v2, v5
	v_div_fixup_f32 v2, v1, v8, v3
	v_fmac_f32_e32 v8, v3, v2
	v_div_scale_f32 v1, s[12:13], v8, v8, -1.0
	v_rcp_f32_e32 v3, v1
	v_fma_f32 v4, -v1, v3, 1.0
	v_fmac_f32_e32 v3, v4, v3
	v_div_scale_f32 v4, vcc, -1.0, v8, -1.0
	v_mul_f32_e32 v5, v4, v3
	v_fma_f32 v9, -v1, v5, v4
	v_fmac_f32_e32 v5, v9, v3
	v_fma_f32 v1, -v1, v5, v4
	v_div_fmas_f32 v1, v1, v3, v5
	v_div_fixup_f32 v1, v1, v8, -1.0
	v_mul_f32_e32 v2, v2, v1
	v_xor_b32_e32 v4, 0x80000000, v2
                                        ; implicit-def: $vgpr3
                                        ; implicit-def: $vgpr8
.LBB38_15:
	s_andn2_saveexec_b64 s[6:7], s[6:7]
	s_cbranch_execz .LBB38_17
; %bb.16:
	v_div_scale_f32 v1, s[12:13], v3, v3, v8
	v_rcp_f32_e32 v2, v1
	v_div_scale_f32 v4, vcc, v8, v3, v8
	v_fma_f32 v5, -v1, v2, 1.0
	v_fmac_f32_e32 v2, v5, v2
	v_mul_f32_e32 v5, v4, v2
	v_fma_f32 v9, -v1, v5, v4
	v_fmac_f32_e32 v5, v9, v2
	v_fma_f32 v1, -v1, v5, v4
	v_div_fmas_f32 v1, v1, v2, v5
	v_div_fixup_f32 v1, v1, v3, v8
	v_fmac_f32_e32 v3, v8, v1
	v_div_scale_f32 v2, s[12:13], v3, v3, 1.0
	v_rcp_f32_e32 v4, v2
	v_fma_f32 v5, -v2, v4, 1.0
	v_fmac_f32_e32 v4, v5, v4
	v_div_scale_f32 v5, vcc, 1.0, v3, 1.0
	v_mul_f32_e32 v8, v5, v4
	v_fma_f32 v9, -v2, v8, v5
	v_fmac_f32_e32 v8, v9, v4
	v_fma_f32 v2, -v2, v8, v5
	v_div_fmas_f32 v2, v2, v4, v8
	v_div_fixup_f32 v4, v2, v3, 1.0
	v_xor_b32_e32 v2, 0x80000000, v4
	v_mul_f32_e64 v1, v1, -v4
.LBB38_17:
	s_or_b64 exec, exec, s[6:7]
	buffer_store_dword v1, v7, s[0:3], 0 offen offset:4
	buffer_store_dword v4, v7, s[0:3], 0 offen
	buffer_load_dword v5, off, s[0:3], 0 offset:12
	s_nop 0
	buffer_load_dword v4, off, s[0:3], 0 offset:8
	v_xor_b32_e32 v3, 0x80000000, v1
	v_add_u32_e32 v1, 0x140, v6
	s_waitcnt vmcnt(0)
	ds_write2_b64 v6, v[2:3], v[4:5] offset1:40
	s_waitcnt lgkmcnt(0)
	; wave barrier
	s_waitcnt lgkmcnt(0)
	s_and_saveexec_b64 s[6:7], s[4:5]
	s_cbranch_execz .LBB38_19
; %bb.18:
	buffer_load_dword v8, v7, s[0:3], 0 offen offset:4
	buffer_load_dword v9, v7, s[0:3], 0 offen
	ds_read_b64 v[2:3], v1
	v_mov_b32_e32 v4, 0
	ds_read_b64 v[4:5], v4 offset:8
	s_waitcnt vmcnt(1) lgkmcnt(1)
	v_mul_f32_e32 v10, v3, v8
	v_mul_f32_e32 v8, v2, v8
	s_waitcnt vmcnt(0)
	v_fmac_f32_e32 v8, v3, v9
	v_fma_f32 v2, v2, v9, -v10
	v_add_f32_e32 v3, 0, v8
	v_add_f32_e32 v2, 0, v2
	s_waitcnt lgkmcnt(0)
	v_mul_f32_e32 v8, v3, v5
	v_mul_f32_e32 v5, v2, v5
	v_fma_f32 v2, v2, v4, -v8
	v_fmac_f32_e32 v5, v3, v4
	buffer_store_dword v2, off, s[0:3], 0 offset:8
	buffer_store_dword v5, off, s[0:3], 0 offset:12
.LBB38_19:
	s_or_b64 exec, exec, s[6:7]
	s_waitcnt lgkmcnt(0)
	; wave barrier
	buffer_load_dword v2, off, s[0:3], 0 offset:16
	buffer_load_dword v3, off, s[0:3], 0 offset:20
	v_cmp_gt_u32_e32 vcc, 2, v0
	s_waitcnt vmcnt(0)
	ds_write_b64 v1, v[2:3]
	s_waitcnt lgkmcnt(0)
	; wave barrier
	s_waitcnt lgkmcnt(0)
	s_and_saveexec_b64 s[6:7], vcc
	s_cbranch_execz .LBB38_23
; %bb.20:
	buffer_load_dword v4, v7, s[0:3], 0 offen offset:4
	buffer_load_dword v5, v7, s[0:3], 0 offen
	ds_read_b64 v[2:3], v1
	s_waitcnt vmcnt(1) lgkmcnt(0)
	v_mul_f32_e32 v7, v3, v4
	v_mul_f32_e32 v4, v2, v4
	s_waitcnt vmcnt(0)
	v_fma_f32 v2, v2, v5, -v7
	v_fmac_f32_e32 v4, v3, v5
	v_add_f32_e32 v3, 0, v2
	v_add_f32_e32 v2, 0, v4
	s_and_saveexec_b64 s[12:13], s[4:5]
	s_cbranch_execz .LBB38_22
; %bb.21:
	buffer_load_dword v7, off, s[0:3], 0 offset:12
	buffer_load_dword v8, off, s[0:3], 0 offset:8
	v_mov_b32_e32 v4, 0
	ds_read_b64 v[4:5], v4 offset:328
	s_waitcnt vmcnt(1) lgkmcnt(0)
	v_mul_f32_e32 v9, v4, v7
	v_mul_f32_e32 v7, v5, v7
	s_waitcnt vmcnt(0)
	v_fmac_f32_e32 v9, v5, v8
	v_fma_f32 v4, v4, v8, -v7
	v_add_f32_e32 v2, v2, v9
	v_add_f32_e32 v3, v3, v4
.LBB38_22:
	s_or_b64 exec, exec, s[12:13]
	v_mov_b32_e32 v4, 0
	ds_read_b64 v[4:5], v4 offset:16
	s_waitcnt lgkmcnt(0)
	v_mul_f32_e32 v7, v2, v5
	v_mul_f32_e32 v5, v3, v5
	v_fma_f32 v3, v3, v4, -v7
	v_fmac_f32_e32 v5, v2, v4
	buffer_store_dword v3, off, s[0:3], 0 offset:16
	buffer_store_dword v5, off, s[0:3], 0 offset:20
.LBB38_23:
	s_or_b64 exec, exec, s[6:7]
	s_waitcnt lgkmcnt(0)
	; wave barrier
	buffer_load_dword v2, off, s[0:3], 0 offset:24
	buffer_load_dword v3, off, s[0:3], 0 offset:28
	v_cmp_gt_u32_e32 vcc, 3, v0
	s_waitcnt vmcnt(0)
	ds_write_b64 v1, v[2:3]
	v_add_u32_e32 v2, -1, v0
	s_waitcnt lgkmcnt(0)
	; wave barrier
	s_waitcnt lgkmcnt(0)
	s_and_saveexec_b64 s[4:5], vcc
	s_cbranch_execz .LBB38_27
; %bb.24:
	v_add_u32_e32 v4, -1, v0
	v_add_u32_e32 v5, 0x140, v6
	v_add_u32_e32 v7, 0, v6
	s_mov_b64 s[6:7], 0
	v_mov_b32_e32 v3, 0
	v_mov_b32_e32 v8, 0
.LBB38_25:                              ; =>This Inner Loop Header: Depth=1
	buffer_load_dword v9, v7, s[0:3], 0 offen offset:4
	buffer_load_dword v12, v7, s[0:3], 0 offen
	ds_read_b64 v[10:11], v5
	v_add_u32_e32 v4, 1, v4
	v_cmp_lt_u32_e32 vcc, 1, v4
	v_add_u32_e32 v5, 8, v5
	v_add_u32_e32 v7, 8, v7
	s_or_b64 s[6:7], vcc, s[6:7]
	s_waitcnt vmcnt(1) lgkmcnt(0)
	v_mul_f32_e32 v13, v11, v9
	v_mul_f32_e32 v9, v10, v9
	s_waitcnt vmcnt(0)
	v_fma_f32 v10, v10, v12, -v13
	v_fmac_f32_e32 v9, v11, v12
	v_add_f32_e32 v8, v8, v10
	v_add_f32_e32 v3, v3, v9
	s_andn2_b64 exec, exec, s[6:7]
	s_cbranch_execnz .LBB38_25
; %bb.26:
	s_or_b64 exec, exec, s[6:7]
	v_mov_b32_e32 v4, 0
	ds_read_b64 v[4:5], v4 offset:24
	s_waitcnt lgkmcnt(0)
	v_mul_f32_e32 v7, v3, v5
	v_mul_f32_e32 v5, v8, v5
	v_fma_f32 v7, v8, v4, -v7
	v_fmac_f32_e32 v5, v3, v4
	buffer_store_dword v7, off, s[0:3], 0 offset:24
	buffer_store_dword v5, off, s[0:3], 0 offset:28
.LBB38_27:
	s_or_b64 exec, exec, s[4:5]
	s_waitcnt lgkmcnt(0)
	; wave barrier
	buffer_load_dword v4, off, s[0:3], 0 offset:32
	buffer_load_dword v5, off, s[0:3], 0 offset:36
	v_cmp_gt_u32_e32 vcc, 4, v0
	s_waitcnt vmcnt(0)
	ds_write_b64 v1, v[4:5]
	s_waitcnt lgkmcnt(0)
	; wave barrier
	s_waitcnt lgkmcnt(0)
	s_and_saveexec_b64 s[4:5], vcc
	s_cbranch_execz .LBB38_31
; %bb.28:
	v_add_u32_e32 v4, -1, v0
	v_add_u32_e32 v5, 0x140, v6
	v_add_u32_e32 v7, 0, v6
	s_mov_b64 s[6:7], 0
	v_mov_b32_e32 v3, 0
	v_mov_b32_e32 v8, 0
.LBB38_29:                              ; =>This Inner Loop Header: Depth=1
	buffer_load_dword v9, v7, s[0:3], 0 offen offset:4
	buffer_load_dword v12, v7, s[0:3], 0 offen
	ds_read_b64 v[10:11], v5
	v_add_u32_e32 v4, 1, v4
	v_cmp_lt_u32_e32 vcc, 2, v4
	v_add_u32_e32 v5, 8, v5
	v_add_u32_e32 v7, 8, v7
	s_or_b64 s[6:7], vcc, s[6:7]
	s_waitcnt vmcnt(1) lgkmcnt(0)
	v_mul_f32_e32 v13, v11, v9
	v_mul_f32_e32 v9, v10, v9
	s_waitcnt vmcnt(0)
	v_fma_f32 v10, v10, v12, -v13
	v_fmac_f32_e32 v9, v11, v12
	v_add_f32_e32 v8, v8, v10
	v_add_f32_e32 v3, v3, v9
	s_andn2_b64 exec, exec, s[6:7]
	s_cbranch_execnz .LBB38_29
; %bb.30:
	s_or_b64 exec, exec, s[6:7]
	v_mov_b32_e32 v4, 0
	ds_read_b64 v[4:5], v4 offset:32
	s_waitcnt lgkmcnt(0)
	v_mul_f32_e32 v7, v3, v5
	v_mul_f32_e32 v5, v8, v5
	v_fma_f32 v7, v8, v4, -v7
	v_fmac_f32_e32 v5, v3, v4
	buffer_store_dword v7, off, s[0:3], 0 offset:32
	buffer_store_dword v5, off, s[0:3], 0 offset:36
.LBB38_31:
	s_or_b64 exec, exec, s[4:5]
	s_waitcnt lgkmcnt(0)
	; wave barrier
	buffer_load_dword v4, off, s[0:3], 0 offset:40
	buffer_load_dword v5, off, s[0:3], 0 offset:44
	v_cmp_gt_u32_e32 vcc, 5, v0
	s_waitcnt vmcnt(0)
	ds_write_b64 v1, v[4:5]
	;; [unrolled: 51-line block ×19, first 2 shown]
	s_waitcnt lgkmcnt(0)
	; wave barrier
	s_waitcnt lgkmcnt(0)
	s_and_saveexec_b64 s[4:5], vcc
	s_cbranch_execz .LBB38_103
; %bb.100:
	v_add_u32_e32 v4, -1, v0
	v_add_u32_e32 v5, 0x140, v6
	v_add_u32_e32 v7, 0, v6
	s_mov_b64 s[6:7], 0
	v_mov_b32_e32 v3, 0
	v_mov_b32_e32 v8, 0
.LBB38_101:                             ; =>This Inner Loop Header: Depth=1
	buffer_load_dword v9, v7, s[0:3], 0 offen offset:4
	buffer_load_dword v12, v7, s[0:3], 0 offen
	ds_read_b64 v[10:11], v5
	v_add_u32_e32 v4, 1, v4
	v_cmp_lt_u32_e32 vcc, 20, v4
	v_add_u32_e32 v5, 8, v5
	v_add_u32_e32 v7, 8, v7
	s_or_b64 s[6:7], vcc, s[6:7]
	s_waitcnt vmcnt(1) lgkmcnt(0)
	v_mul_f32_e32 v13, v11, v9
	v_mul_f32_e32 v9, v10, v9
	s_waitcnt vmcnt(0)
	v_fma_f32 v10, v10, v12, -v13
	v_fmac_f32_e32 v9, v11, v12
	v_add_f32_e32 v8, v8, v10
	v_add_f32_e32 v3, v3, v9
	s_andn2_b64 exec, exec, s[6:7]
	s_cbranch_execnz .LBB38_101
; %bb.102:
	s_or_b64 exec, exec, s[6:7]
	v_mov_b32_e32 v4, 0
	ds_read_b64 v[4:5], v4 offset:176
	s_waitcnt lgkmcnt(0)
	v_mul_f32_e32 v7, v3, v5
	v_mul_f32_e32 v5, v8, v5
	v_fma_f32 v7, v8, v4, -v7
	v_fmac_f32_e32 v5, v3, v4
	buffer_store_dword v7, off, s[0:3], 0 offset:176
	buffer_store_dword v5, off, s[0:3], 0 offset:180
.LBB38_103:
	s_or_b64 exec, exec, s[4:5]
	s_waitcnt lgkmcnt(0)
	; wave barrier
	buffer_load_dword v4, off, s[0:3], 0 offset:184
	buffer_load_dword v5, off, s[0:3], 0 offset:188
	v_cmp_gt_u32_e32 vcc, 23, v0
	s_waitcnt vmcnt(0)
	ds_write_b64 v1, v[4:5]
	s_waitcnt lgkmcnt(0)
	; wave barrier
	s_waitcnt lgkmcnt(0)
	s_and_saveexec_b64 s[4:5], vcc
	s_cbranch_execz .LBB38_107
; %bb.104:
	v_add_u32_e32 v4, -1, v0
	v_add_u32_e32 v5, 0x140, v6
	v_add_u32_e32 v7, 0, v6
	s_mov_b64 s[6:7], 0
	v_mov_b32_e32 v3, 0
	v_mov_b32_e32 v8, 0
.LBB38_105:                             ; =>This Inner Loop Header: Depth=1
	buffer_load_dword v9, v7, s[0:3], 0 offen offset:4
	buffer_load_dword v12, v7, s[0:3], 0 offen
	ds_read_b64 v[10:11], v5
	v_add_u32_e32 v4, 1, v4
	v_cmp_lt_u32_e32 vcc, 21, v4
	v_add_u32_e32 v5, 8, v5
	v_add_u32_e32 v7, 8, v7
	s_or_b64 s[6:7], vcc, s[6:7]
	s_waitcnt vmcnt(1) lgkmcnt(0)
	v_mul_f32_e32 v13, v11, v9
	v_mul_f32_e32 v9, v10, v9
	s_waitcnt vmcnt(0)
	v_fma_f32 v10, v10, v12, -v13
	v_fmac_f32_e32 v9, v11, v12
	v_add_f32_e32 v8, v8, v10
	v_add_f32_e32 v3, v3, v9
	s_andn2_b64 exec, exec, s[6:7]
	s_cbranch_execnz .LBB38_105
; %bb.106:
	s_or_b64 exec, exec, s[6:7]
	v_mov_b32_e32 v4, 0
	ds_read_b64 v[4:5], v4 offset:184
	s_waitcnt lgkmcnt(0)
	v_mul_f32_e32 v7, v3, v5
	v_mul_f32_e32 v5, v8, v5
	v_fma_f32 v7, v8, v4, -v7
	v_fmac_f32_e32 v5, v3, v4
	buffer_store_dword v7, off, s[0:3], 0 offset:184
	buffer_store_dword v5, off, s[0:3], 0 offset:188
.LBB38_107:
	s_or_b64 exec, exec, s[4:5]
	s_waitcnt lgkmcnt(0)
	; wave barrier
	buffer_load_dword v4, off, s[0:3], 0 offset:192
	buffer_load_dword v5, off, s[0:3], 0 offset:196
	v_cmp_gt_u32_e32 vcc, 24, v0
	s_waitcnt vmcnt(0)
	ds_write_b64 v1, v[4:5]
	;; [unrolled: 51-line block ×15, first 2 shown]
	s_waitcnt lgkmcnt(0)
	; wave barrier
	s_waitcnt lgkmcnt(0)
	s_and_saveexec_b64 s[4:5], vcc
	s_cbranch_execz .LBB38_163
; %bb.160:
	v_add_u32_e32 v4, -1, v0
	v_add_u32_e32 v5, 0x140, v6
	v_add_u32_e32 v7, 0, v6
	s_mov_b64 s[6:7], 0
	v_mov_b32_e32 v3, 0
	v_mov_b32_e32 v8, 0
.LBB38_161:                             ; =>This Inner Loop Header: Depth=1
	buffer_load_dword v9, v7, s[0:3], 0 offen offset:4
	buffer_load_dword v12, v7, s[0:3], 0 offen
	ds_read_b64 v[10:11], v5
	v_add_u32_e32 v4, 1, v4
	v_cmp_lt_u32_e32 vcc, 35, v4
	v_add_u32_e32 v5, 8, v5
	v_add_u32_e32 v7, 8, v7
	s_or_b64 s[6:7], vcc, s[6:7]
	s_waitcnt vmcnt(1) lgkmcnt(0)
	v_mul_f32_e32 v13, v11, v9
	v_mul_f32_e32 v9, v10, v9
	s_waitcnt vmcnt(0)
	v_fma_f32 v10, v10, v12, -v13
	v_fmac_f32_e32 v9, v11, v12
	v_add_f32_e32 v8, v8, v10
	v_add_f32_e32 v3, v3, v9
	s_andn2_b64 exec, exec, s[6:7]
	s_cbranch_execnz .LBB38_161
; %bb.162:
	s_or_b64 exec, exec, s[6:7]
	v_mov_b32_e32 v4, 0
	ds_read_b64 v[4:5], v4 offset:296
	s_waitcnt lgkmcnt(0)
	v_mul_f32_e32 v7, v3, v5
	v_mul_f32_e32 v5, v8, v5
	v_fma_f32 v7, v8, v4, -v7
	v_fmac_f32_e32 v5, v3, v4
	buffer_store_dword v7, off, s[0:3], 0 offset:296
	buffer_store_dword v5, off, s[0:3], 0 offset:300
.LBB38_163:
	s_or_b64 exec, exec, s[4:5]
	s_waitcnt lgkmcnt(0)
	; wave barrier
	buffer_load_dword v4, off, s[0:3], 0 offset:304
	buffer_load_dword v5, off, s[0:3], 0 offset:308
	v_cmp_ne_u32_e32 vcc, 38, v0
	s_waitcnt vmcnt(0)
	ds_write_b64 v1, v[4:5]
	s_waitcnt lgkmcnt(0)
	; wave barrier
	s_waitcnt lgkmcnt(0)
	s_and_saveexec_b64 s[4:5], vcc
	s_cbranch_execz .LBB38_167
; %bb.164:
	v_add_u32_e32 v3, 0x140, v6
	v_add_u32_e32 v4, 0, v6
	s_mov_b64 s[6:7], 0
	v_mov_b32_e32 v1, 0
	v_mov_b32_e32 v5, 0
.LBB38_165:                             ; =>This Inner Loop Header: Depth=1
	buffer_load_dword v8, v4, s[0:3], 0 offen offset:4
	buffer_load_dword v9, v4, s[0:3], 0 offen
	ds_read_b64 v[6:7], v3
	v_add_u32_e32 v2, 1, v2
	v_cmp_lt_u32_e32 vcc, 36, v2
	v_add_u32_e32 v3, 8, v3
	v_add_u32_e32 v4, 8, v4
	s_or_b64 s[6:7], vcc, s[6:7]
	s_waitcnt vmcnt(1) lgkmcnt(0)
	v_mul_f32_e32 v10, v7, v8
	v_mul_f32_e32 v8, v6, v8
	s_waitcnt vmcnt(0)
	v_fma_f32 v6, v6, v9, -v10
	v_fmac_f32_e32 v8, v7, v9
	v_add_f32_e32 v5, v5, v6
	v_add_f32_e32 v1, v1, v8
	s_andn2_b64 exec, exec, s[6:7]
	s_cbranch_execnz .LBB38_165
; %bb.166:
	s_or_b64 exec, exec, s[6:7]
	v_mov_b32_e32 v2, 0
	ds_read_b64 v[2:3], v2 offset:304
	s_waitcnt lgkmcnt(0)
	v_mul_f32_e32 v4, v1, v3
	v_mul_f32_e32 v3, v5, v3
	v_fma_f32 v4, v5, v2, -v4
	v_fmac_f32_e32 v3, v1, v2
	buffer_store_dword v4, off, s[0:3], 0 offset:304
	buffer_store_dword v3, off, s[0:3], 0 offset:308
.LBB38_167:
	s_or_b64 exec, exec, s[4:5]
	s_mov_b64 s[6:7], -1
	s_waitcnt lgkmcnt(0)
	; wave barrier
.LBB38_168:
	s_and_b64 vcc, exec, s[6:7]
	s_cbranch_vccz .LBB38_170
; %bb.169:
	s_lshl_b64 s[4:5], s[8:9], 2
	s_add_u32 s4, s14, s4
	s_addc_u32 s5, s15, s5
	v_mov_b32_e32 v1, 0
	global_load_dword v1, v1, s[4:5]
	s_waitcnt vmcnt(0)
	v_cmp_ne_u32_e32 vcc, 0, v1
	s_cbranch_vccz .LBB38_171
.LBB38_170:
	s_endpgm
.LBB38_171:
	v_mov_b32_e32 v1, 0x140
	v_lshl_add_u32 v1, v0, 3, v1
	v_cmp_eq_u32_e32 vcc, 38, v0
	s_and_saveexec_b64 s[4:5], vcc
	s_cbranch_execz .LBB38_173
; %bb.172:
	buffer_load_dword v2, off, s[0:3], 0 offset:296
	buffer_load_dword v3, off, s[0:3], 0 offset:300
	v_mov_b32_e32 v4, 0
	buffer_store_dword v4, off, s[0:3], 0 offset:296
	buffer_store_dword v4, off, s[0:3], 0 offset:300
	s_waitcnt vmcnt(2)
	ds_write_b64 v1, v[2:3]
.LBB38_173:
	s_or_b64 exec, exec, s[4:5]
	s_waitcnt lgkmcnt(0)
	; wave barrier
	s_waitcnt lgkmcnt(0)
	buffer_load_dword v5, off, s[0:3], 0 offset:308
	buffer_load_dword v4, off, s[0:3], 0 offset:304
	;; [unrolled: 1-line block ×4, first 2 shown]
	v_mov_b32_e32 v2, 0
	ds_read_b64 v[8:9], v2 offset:624
	v_cmp_lt_u32_e32 vcc, 36, v0
	s_waitcnt vmcnt(3)
	v_mov_b32_e32 v10, v5
	s_waitcnt lgkmcnt(0)
	v_pk_mul_f32 v[10:11], v[8:9], v[10:11] op_sel_hi:[1,0]
	s_waitcnt vmcnt(2)
	v_pk_fma_f32 v[12:13], v[8:9], v[4:5], v[10:11] op_sel:[0,0,1] op_sel_hi:[1,1,0] neg_lo:[0,0,1] neg_hi:[0,0,1]
	v_pk_fma_f32 v[4:5], v[8:9], v[4:5], v[10:11] op_sel:[0,0,1] op_sel_hi:[1,0,0]
	v_mov_b32_e32 v13, v5
	v_pk_add_f32 v[4:5], v[12:13], 0 op_sel_hi:[1,0]
	s_waitcnt vmcnt(0)
	v_pk_add_f32 v[4:5], v[6:7], v[4:5] neg_lo:[0,1] neg_hi:[0,1]
	buffer_store_dword v4, off, s[0:3], 0 offset:296
	buffer_store_dword v5, off, s[0:3], 0 offset:300
	s_and_saveexec_b64 s[4:5], vcc
	s_cbranch_execz .LBB38_175
; %bb.174:
	buffer_load_dword v4, off, s[0:3], 0 offset:288
	buffer_load_dword v5, off, s[0:3], 0 offset:292
	s_waitcnt vmcnt(0)
	ds_write_b64 v1, v[4:5]
	buffer_store_dword v2, off, s[0:3], 0 offset:288
	buffer_store_dword v2, off, s[0:3], 0 offset:292
.LBB38_175:
	s_or_b64 exec, exec, s[4:5]
	s_waitcnt lgkmcnt(0)
	; wave barrier
	s_waitcnt lgkmcnt(0)
	buffer_load_dword v7, off, s[0:3], 0 offset:300
	buffer_load_dword v9, off, s[0:3], 0 offset:308
	buffer_load_dword v6, off, s[0:3], 0 offset:296
	buffer_load_dword v8, off, s[0:3], 0 offset:304
	buffer_load_dword v10, off, s[0:3], 0 offset:288
	buffer_load_dword v11, off, s[0:3], 0 offset:292
	ds_read2_b64 v[2:5], v2 offset0:77 offset1:78
	v_cmp_lt_u32_e32 vcc, 35, v0
	s_waitcnt vmcnt(5)
	v_mov_b32_e32 v12, v7
	s_waitcnt vmcnt(4)
	v_mov_b32_e32 v14, v9
	s_waitcnt lgkmcnt(0)
	v_pk_mul_f32 v[12:13], v[2:3], v[12:13] op_sel_hi:[1,0]
	v_pk_mul_f32 v[14:15], v[4:5], v[14:15] op_sel_hi:[1,0]
	s_waitcnt vmcnt(3)
	v_pk_fma_f32 v[16:17], v[2:3], v[6:7], v[12:13] op_sel:[0,0,1] op_sel_hi:[1,1,0] neg_lo:[0,0,1] neg_hi:[0,0,1]
	v_pk_fma_f32 v[2:3], v[2:3], v[6:7], v[12:13] op_sel:[0,0,1] op_sel_hi:[1,0,0]
	s_waitcnt vmcnt(2)
	v_pk_fma_f32 v[6:7], v[4:5], v[8:9], v[14:15] op_sel:[0,0,1] op_sel_hi:[1,1,0] neg_lo:[0,0,1] neg_hi:[0,0,1]
	v_pk_fma_f32 v[4:5], v[4:5], v[8:9], v[14:15] op_sel:[0,0,1] op_sel_hi:[1,0,0]
	v_mov_b32_e32 v17, v3
	v_mov_b32_e32 v7, v5
	v_pk_add_f32 v[2:3], v[16:17], 0 op_sel_hi:[1,0]
	v_pk_add_f32 v[2:3], v[2:3], v[6:7]
	s_waitcnt vmcnt(0)
	v_pk_add_f32 v[2:3], v[10:11], v[2:3] neg_lo:[0,1] neg_hi:[0,1]
	buffer_store_dword v2, off, s[0:3], 0 offset:288
	buffer_store_dword v3, off, s[0:3], 0 offset:292
	s_and_saveexec_b64 s[4:5], vcc
	s_cbranch_execz .LBB38_177
; %bb.176:
	buffer_load_dword v2, off, s[0:3], 0 offset:280
	buffer_load_dword v3, off, s[0:3], 0 offset:284
	v_mov_b32_e32 v4, 0
	buffer_store_dword v4, off, s[0:3], 0 offset:280
	buffer_store_dword v4, off, s[0:3], 0 offset:284
	s_waitcnt vmcnt(2)
	ds_write_b64 v1, v[2:3]
.LBB38_177:
	s_or_b64 exec, exec, s[4:5]
	s_waitcnt lgkmcnt(0)
	; wave barrier
	s_waitcnt lgkmcnt(0)
	buffer_load_dword v9, off, s[0:3], 0 offset:292
	buffer_load_dword v11, off, s[0:3], 0 offset:300
	;; [unrolled: 1-line block ×8, first 2 shown]
	v_mov_b32_e32 v2, 0
	ds_read_b128 v[4:7], v2 offset:608
	ds_read_b64 v[16:17], v2 offset:624
	v_cmp_lt_u32_e32 vcc, 34, v0
	s_waitcnt vmcnt(7)
	v_mov_b32_e32 v96, v9
	s_waitcnt vmcnt(6)
	v_mov_b32_e32 v98, v11
	s_waitcnt lgkmcnt(1)
	v_pk_mul_f32 v[96:97], v[4:5], v[96:97] op_sel_hi:[1,0]
	s_waitcnt vmcnt(5)
	v_mov_b32_e32 v100, v13
	v_pk_mul_f32 v[98:99], v[6:7], v[98:99] op_sel_hi:[1,0]
	s_waitcnt vmcnt(4)
	v_pk_fma_f32 v[102:103], v[4:5], v[8:9], v[96:97] op_sel:[0,0,1] op_sel_hi:[1,1,0] neg_lo:[0,0,1] neg_hi:[0,0,1]
	v_pk_fma_f32 v[4:5], v[4:5], v[8:9], v[96:97] op_sel:[0,0,1] op_sel_hi:[1,0,0]
	s_waitcnt lgkmcnt(0)
	v_pk_mul_f32 v[100:101], v[16:17], v[100:101] op_sel_hi:[1,0]
	s_waitcnt vmcnt(3)
	v_pk_fma_f32 v[8:9], v[6:7], v[10:11], v[98:99] op_sel:[0,0,1] op_sel_hi:[1,1,0] neg_lo:[0,0,1] neg_hi:[0,0,1]
	v_pk_fma_f32 v[6:7], v[6:7], v[10:11], v[98:99] op_sel:[0,0,1] op_sel_hi:[1,0,0]
	v_mov_b32_e32 v103, v5
	s_waitcnt vmcnt(2)
	v_pk_fma_f32 v[10:11], v[16:17], v[12:13], v[100:101] op_sel:[0,0,1] op_sel_hi:[1,1,0] neg_lo:[0,0,1] neg_hi:[0,0,1]
	v_pk_fma_f32 v[12:13], v[16:17], v[12:13], v[100:101] op_sel:[0,0,1] op_sel_hi:[1,0,0]
	v_mov_b32_e32 v9, v7
	v_pk_add_f32 v[4:5], v[102:103], 0 op_sel_hi:[1,0]
	v_mov_b32_e32 v11, v13
	v_pk_add_f32 v[4:5], v[4:5], v[8:9]
	v_pk_add_f32 v[4:5], v[4:5], v[10:11]
	s_waitcnt vmcnt(0)
	v_pk_add_f32 v[4:5], v[14:15], v[4:5] neg_lo:[0,1] neg_hi:[0,1]
	buffer_store_dword v4, off, s[0:3], 0 offset:280
	buffer_store_dword v5, off, s[0:3], 0 offset:284
	s_and_saveexec_b64 s[4:5], vcc
	s_cbranch_execz .LBB38_179
; %bb.178:
	buffer_load_dword v4, off, s[0:3], 0 offset:272
	buffer_load_dword v5, off, s[0:3], 0 offset:276
	s_waitcnt vmcnt(0)
	ds_write_b64 v1, v[4:5]
	buffer_store_dword v2, off, s[0:3], 0 offset:272
	buffer_store_dword v2, off, s[0:3], 0 offset:276
.LBB38_179:
	s_or_b64 exec, exec, s[4:5]
	s_waitcnt lgkmcnt(0)
	; wave barrier
	s_waitcnt lgkmcnt(0)
	buffer_load_dword v13, off, s[0:3], 0 offset:284
	buffer_load_dword v15, off, s[0:3], 0 offset:292
	;; [unrolled: 1-line block ×10, first 2 shown]
	ds_read2_b64 v[4:7], v2 offset0:75 offset1:76
	ds_read2_b64 v[8:11], v2 offset0:77 offset1:78
	v_cmp_lt_u32_e32 vcc, 33, v0
	s_waitcnt vmcnt(9)
	v_mov_b32_e32 v2, v13
	s_waitcnt vmcnt(8)
	v_mov_b32_e32 v100, v15
	s_waitcnt lgkmcnt(1)
	v_pk_mul_f32 v[2:3], v[4:5], v[2:3] op_sel_hi:[1,0]
	s_waitcnt vmcnt(7)
	v_mov_b32_e32 v102, v17
	v_pk_mul_f32 v[100:101], v[6:7], v[100:101] op_sel_hi:[1,0]
	s_waitcnt vmcnt(5)
	v_pk_fma_f32 v[106:107], v[4:5], v[12:13], v[2:3] op_sel:[0,0,1] op_sel_hi:[1,1,0] neg_lo:[0,0,1] neg_hi:[0,0,1]
	v_pk_fma_f32 v[2:3], v[4:5], v[12:13], v[2:3] op_sel:[0,0,1] op_sel_hi:[1,0,0]
	v_mov_b32_e32 v104, v97
	s_waitcnt lgkmcnt(0)
	v_pk_mul_f32 v[102:103], v[8:9], v[102:103] op_sel_hi:[1,0]
	s_waitcnt vmcnt(4)
	v_pk_fma_f32 v[4:5], v[6:7], v[14:15], v[100:101] op_sel:[0,0,1] op_sel_hi:[1,1,0] neg_lo:[0,0,1] neg_hi:[0,0,1]
	v_pk_fma_f32 v[6:7], v[6:7], v[14:15], v[100:101] op_sel:[0,0,1] op_sel_hi:[1,0,0]
	v_mov_b32_e32 v107, v3
	v_pk_mul_f32 v[104:105], v[10:11], v[104:105] op_sel_hi:[1,0]
	s_waitcnt vmcnt(3)
	v_pk_fma_f32 v[12:13], v[8:9], v[16:17], v[102:103] op_sel:[0,0,1] op_sel_hi:[1,1,0] neg_lo:[0,0,1] neg_hi:[0,0,1]
	v_pk_fma_f32 v[8:9], v[8:9], v[16:17], v[102:103] op_sel:[0,0,1] op_sel_hi:[1,0,0]
	v_mov_b32_e32 v5, v7
	v_pk_add_f32 v[2:3], v[106:107], 0 op_sel_hi:[1,0]
	s_waitcnt vmcnt(2)
	v_pk_fma_f32 v[14:15], v[10:11], v[96:97], v[104:105] op_sel:[0,0,1] op_sel_hi:[1,1,0] neg_lo:[0,0,1] neg_hi:[0,0,1]
	v_pk_fma_f32 v[10:11], v[10:11], v[96:97], v[104:105] op_sel:[0,0,1] op_sel_hi:[1,0,0]
	v_mov_b32_e32 v13, v9
	v_pk_add_f32 v[2:3], v[2:3], v[4:5]
	v_mov_b32_e32 v15, v11
	v_pk_add_f32 v[2:3], v[2:3], v[12:13]
	v_pk_add_f32 v[2:3], v[2:3], v[14:15]
	s_waitcnt vmcnt(0)
	v_pk_add_f32 v[2:3], v[98:99], v[2:3] neg_lo:[0,1] neg_hi:[0,1]
	buffer_store_dword v2, off, s[0:3], 0 offset:272
	buffer_store_dword v3, off, s[0:3], 0 offset:276
	s_and_saveexec_b64 s[4:5], vcc
	s_cbranch_execz .LBB38_181
; %bb.180:
	buffer_load_dword v2, off, s[0:3], 0 offset:264
	buffer_load_dword v3, off, s[0:3], 0 offset:268
	v_mov_b32_e32 v4, 0
	buffer_store_dword v4, off, s[0:3], 0 offset:264
	buffer_store_dword v4, off, s[0:3], 0 offset:268
	s_waitcnt vmcnt(2)
	ds_write_b64 v1, v[2:3]
.LBB38_181:
	s_or_b64 exec, exec, s[4:5]
	s_waitcnt lgkmcnt(0)
	; wave barrier
	s_waitcnt lgkmcnt(0)
	buffer_load_dword v13, off, s[0:3], 0 offset:276
	buffer_load_dword v15, off, s[0:3], 0 offset:284
	;; [unrolled: 1-line block ×12, first 2 shown]
	v_mov_b32_e32 v2, 0
	ds_read_b128 v[4:7], v2 offset:592
	ds_read_b128 v[8:11], v2 offset:608
	ds_read_b64 v[102:103], v2 offset:624
	v_cmp_lt_u32_e32 vcc, 32, v0
	s_waitcnt vmcnt(11)
	v_mov_b32_e32 v104, v13
	s_waitcnt vmcnt(10)
	v_mov_b32_e32 v106, v15
	s_waitcnt lgkmcnt(2)
	v_pk_mul_f32 v[104:105], v[4:5], v[104:105] op_sel_hi:[1,0]
	s_waitcnt vmcnt(9)
	v_mov_b32_e32 v108, v17
	v_pk_mul_f32 v[106:107], v[6:7], v[106:107] op_sel_hi:[1,0]
	s_waitcnt vmcnt(6)
	v_pk_fma_f32 v[114:115], v[4:5], v[12:13], v[104:105] op_sel:[0,0,1] op_sel_hi:[1,1,0] neg_lo:[0,0,1] neg_hi:[0,0,1]
	v_pk_fma_f32 v[4:5], v[4:5], v[12:13], v[104:105] op_sel:[0,0,1] op_sel_hi:[1,0,0]
	v_mov_b32_e32 v110, v97
	s_waitcnt lgkmcnt(1)
	v_pk_mul_f32 v[108:109], v[8:9], v[108:109] op_sel_hi:[1,0]
	s_waitcnt vmcnt(5)
	v_pk_fma_f32 v[12:13], v[6:7], v[14:15], v[106:107] op_sel:[0,0,1] op_sel_hi:[1,1,0] neg_lo:[0,0,1] neg_hi:[0,0,1]
	v_pk_fma_f32 v[6:7], v[6:7], v[14:15], v[106:107] op_sel:[0,0,1] op_sel_hi:[1,0,0]
	v_mov_b32_e32 v115, v5
	v_mov_b32_e32 v112, v99
	v_pk_mul_f32 v[110:111], v[10:11], v[110:111] op_sel_hi:[1,0]
	s_waitcnt vmcnt(4)
	v_pk_fma_f32 v[14:15], v[8:9], v[16:17], v[108:109] op_sel:[0,0,1] op_sel_hi:[1,1,0] neg_lo:[0,0,1] neg_hi:[0,0,1]
	v_pk_fma_f32 v[8:9], v[8:9], v[16:17], v[108:109] op_sel:[0,0,1] op_sel_hi:[1,0,0]
	v_mov_b32_e32 v13, v7
	v_pk_add_f32 v[4:5], v[114:115], 0 op_sel_hi:[1,0]
	s_waitcnt lgkmcnt(0)
	v_pk_mul_f32 v[112:113], v[102:103], v[112:113] op_sel_hi:[1,0]
	s_waitcnt vmcnt(3)
	v_pk_fma_f32 v[16:17], v[10:11], v[96:97], v[110:111] op_sel:[0,0,1] op_sel_hi:[1,1,0] neg_lo:[0,0,1] neg_hi:[0,0,1]
	v_pk_fma_f32 v[10:11], v[10:11], v[96:97], v[110:111] op_sel:[0,0,1] op_sel_hi:[1,0,0]
	v_mov_b32_e32 v15, v9
	v_pk_add_f32 v[4:5], v[4:5], v[12:13]
	s_waitcnt vmcnt(2)
	v_pk_fma_f32 v[96:97], v[102:103], v[98:99], v[112:113] op_sel:[0,0,1] op_sel_hi:[1,1,0] neg_lo:[0,0,1] neg_hi:[0,0,1]
	v_pk_fma_f32 v[98:99], v[102:103], v[98:99], v[112:113] op_sel:[0,0,1] op_sel_hi:[1,0,0]
	v_mov_b32_e32 v17, v11
	v_pk_add_f32 v[4:5], v[4:5], v[14:15]
	v_mov_b32_e32 v97, v99
	v_pk_add_f32 v[4:5], v[4:5], v[16:17]
	v_pk_add_f32 v[4:5], v[4:5], v[96:97]
	s_waitcnt vmcnt(0)
	v_pk_add_f32 v[4:5], v[100:101], v[4:5] neg_lo:[0,1] neg_hi:[0,1]
	buffer_store_dword v4, off, s[0:3], 0 offset:264
	buffer_store_dword v5, off, s[0:3], 0 offset:268
	s_and_saveexec_b64 s[4:5], vcc
	s_cbranch_execz .LBB38_183
; %bb.182:
	buffer_load_dword v4, off, s[0:3], 0 offset:256
	buffer_load_dword v5, off, s[0:3], 0 offset:260
	s_waitcnt vmcnt(0)
	ds_write_b64 v1, v[4:5]
	buffer_store_dword v2, off, s[0:3], 0 offset:256
	buffer_store_dword v2, off, s[0:3], 0 offset:260
.LBB38_183:
	s_or_b64 exec, exec, s[4:5]
	s_waitcnt lgkmcnt(0)
	; wave barrier
	s_waitcnt lgkmcnt(0)
	buffer_load_dword v17, off, s[0:3], 0 offset:268
	buffer_load_dword v97, off, s[0:3], 0 offset:276
	;; [unrolled: 1-line block ×14, first 2 shown]
	ds_read2_b64 v[4:7], v2 offset0:73 offset1:74
	ds_read2_b64 v[8:11], v2 offset0:75 offset1:76
	;; [unrolled: 1-line block ×3, first 2 shown]
	v_cmp_lt_u32_e32 vcc, 31, v0
	s_waitcnt vmcnt(13)
	v_mov_b32_e32 v2, v17
	s_waitcnt vmcnt(12)
	v_mov_b32_e32 v108, v97
	s_waitcnt lgkmcnt(2)
	v_pk_mul_f32 v[2:3], v[4:5], v[2:3] op_sel_hi:[1,0]
	s_waitcnt vmcnt(11)
	v_mov_b32_e32 v110, v99
	v_pk_mul_f32 v[108:109], v[6:7], v[108:109] op_sel_hi:[1,0]
	s_waitcnt vmcnt(10)
	v_mov_b32_e32 v112, v101
	s_waitcnt vmcnt(7)
	v_pk_fma_f32 v[118:119], v[4:5], v[16:17], v[2:3] op_sel:[0,0,1] op_sel_hi:[1,1,0] neg_lo:[0,0,1] neg_hi:[0,0,1]
	v_pk_fma_f32 v[2:3], v[4:5], v[16:17], v[2:3] op_sel:[0,0,1] op_sel_hi:[1,0,0]
	s_waitcnt lgkmcnt(1)
	v_pk_mul_f32 v[110:111], v[8:9], v[110:111] op_sel_hi:[1,0]
	s_waitcnt vmcnt(6)
	v_pk_fma_f32 v[4:5], v[6:7], v[96:97], v[108:109] op_sel:[0,0,1] op_sel_hi:[1,1,0] neg_lo:[0,0,1] neg_hi:[0,0,1]
	v_pk_fma_f32 v[6:7], v[6:7], v[96:97], v[108:109] op_sel:[0,0,1] op_sel_hi:[1,0,0]
	v_mov_b32_e32 v119, v3
	v_mov_b32_e32 v114, v103
	v_pk_mul_f32 v[112:113], v[10:11], v[112:113] op_sel_hi:[1,0]
	s_waitcnt vmcnt(5)
	v_pk_fma_f32 v[16:17], v[8:9], v[98:99], v[110:111] op_sel:[0,0,1] op_sel_hi:[1,1,0] neg_lo:[0,0,1] neg_hi:[0,0,1]
	v_pk_fma_f32 v[8:9], v[8:9], v[98:99], v[110:111] op_sel:[0,0,1] op_sel_hi:[1,0,0]
	v_mov_b32_e32 v5, v7
	v_pk_add_f32 v[2:3], v[118:119], 0 op_sel_hi:[1,0]
	v_mov_b32_e32 v116, v105
	s_waitcnt lgkmcnt(0)
	v_pk_mul_f32 v[114:115], v[12:13], v[114:115] op_sel_hi:[1,0]
	s_waitcnt vmcnt(4)
	v_pk_fma_f32 v[96:97], v[10:11], v[100:101], v[112:113] op_sel:[0,0,1] op_sel_hi:[1,1,0] neg_lo:[0,0,1] neg_hi:[0,0,1]
	v_pk_fma_f32 v[10:11], v[10:11], v[100:101], v[112:113] op_sel:[0,0,1] op_sel_hi:[1,0,0]
	v_mov_b32_e32 v17, v9
	v_pk_add_f32 v[2:3], v[2:3], v[4:5]
	v_pk_mul_f32 v[116:117], v[14:15], v[116:117] op_sel_hi:[1,0]
	s_waitcnt vmcnt(3)
	v_pk_fma_f32 v[98:99], v[12:13], v[102:103], v[114:115] op_sel:[0,0,1] op_sel_hi:[1,1,0] neg_lo:[0,0,1] neg_hi:[0,0,1]
	v_pk_fma_f32 v[12:13], v[12:13], v[102:103], v[114:115] op_sel:[0,0,1] op_sel_hi:[1,0,0]
	v_mov_b32_e32 v97, v11
	v_pk_add_f32 v[2:3], v[2:3], v[16:17]
	s_waitcnt vmcnt(2)
	v_pk_fma_f32 v[100:101], v[14:15], v[104:105], v[116:117] op_sel:[0,0,1] op_sel_hi:[1,1,0] neg_lo:[0,0,1] neg_hi:[0,0,1]
	v_pk_fma_f32 v[14:15], v[14:15], v[104:105], v[116:117] op_sel:[0,0,1] op_sel_hi:[1,0,0]
	v_mov_b32_e32 v99, v13
	v_pk_add_f32 v[2:3], v[2:3], v[96:97]
	v_mov_b32_e32 v101, v15
	v_pk_add_f32 v[2:3], v[2:3], v[98:99]
	v_pk_add_f32 v[2:3], v[2:3], v[100:101]
	s_waitcnt vmcnt(0)
	v_pk_add_f32 v[2:3], v[106:107], v[2:3] neg_lo:[0,1] neg_hi:[0,1]
	buffer_store_dword v2, off, s[0:3], 0 offset:256
	buffer_store_dword v3, off, s[0:3], 0 offset:260
	s_and_saveexec_b64 s[4:5], vcc
	s_cbranch_execz .LBB38_185
; %bb.184:
	buffer_load_dword v2, off, s[0:3], 0 offset:248
	buffer_load_dword v3, off, s[0:3], 0 offset:252
	v_mov_b32_e32 v4, 0
	buffer_store_dword v4, off, s[0:3], 0 offset:248
	buffer_store_dword v4, off, s[0:3], 0 offset:252
	s_waitcnt vmcnt(2)
	ds_write_b64 v1, v[2:3]
.LBB38_185:
	s_or_b64 exec, exec, s[4:5]
	s_waitcnt lgkmcnt(0)
	; wave barrier
	s_waitcnt lgkmcnt(0)
	buffer_load_dword v17, off, s[0:3], 0 offset:260
	buffer_load_dword v97, off, s[0:3], 0 offset:268
	;; [unrolled: 1-line block ×16, first 2 shown]
	v_mov_b32_e32 v2, 0
	ds_read_b128 v[4:7], v2 offset:576
	ds_read_b128 v[8:11], v2 offset:592
	;; [unrolled: 1-line block ×3, first 2 shown]
	ds_read_b64 v[110:111], v2 offset:624
	v_cmp_lt_u32_e32 vcc, 30, v0
	s_waitcnt vmcnt(15)
	v_mov_b32_e32 v112, v17
	s_waitcnt vmcnt(14)
	v_mov_b32_e32 v114, v97
	s_waitcnt lgkmcnt(3)
	v_pk_mul_f32 v[112:113], v[4:5], v[112:113] op_sel_hi:[1,0]
	s_waitcnt vmcnt(13)
	v_mov_b32_e32 v116, v99
	v_pk_mul_f32 v[114:115], v[6:7], v[114:115] op_sel_hi:[1,0]
	s_waitcnt vmcnt(12)
	v_mov_b32_e32 v118, v101
	s_waitcnt lgkmcnt(2)
	v_pk_mul_f32 v[116:117], v[8:9], v[116:117] op_sel_hi:[1,0]
	s_waitcnt vmcnt(8)
	v_pk_fma_f32 v[126:127], v[4:5], v[16:17], v[112:113] op_sel:[0,0,1] op_sel_hi:[1,1,0] neg_lo:[0,0,1] neg_hi:[0,0,1]
	v_pk_fma_f32 v[4:5], v[4:5], v[16:17], v[112:113] op_sel:[0,0,1] op_sel_hi:[1,0,0]
	s_waitcnt vmcnt(7)
	v_pk_fma_f32 v[16:17], v[6:7], v[96:97], v[114:115] op_sel:[0,0,1] op_sel_hi:[1,1,0] neg_lo:[0,0,1] neg_hi:[0,0,1]
	v_pk_fma_f32 v[6:7], v[6:7], v[96:97], v[114:115] op_sel:[0,0,1] op_sel_hi:[1,0,0]
	v_mov_b32_e32 v127, v5
	v_mov_b32_e32 v120, v103
	v_pk_mul_f32 v[118:119], v[10:11], v[118:119] op_sel_hi:[1,0]
	s_waitcnt vmcnt(6)
	v_pk_fma_f32 v[96:97], v[8:9], v[98:99], v[116:117] op_sel:[0,0,1] op_sel_hi:[1,1,0] neg_lo:[0,0,1] neg_hi:[0,0,1]
	v_pk_fma_f32 v[8:9], v[8:9], v[98:99], v[116:117] op_sel:[0,0,1] op_sel_hi:[1,0,0]
	v_mov_b32_e32 v17, v7
	v_pk_add_f32 v[4:5], v[126:127], 0 op_sel_hi:[1,0]
	v_mov_b32_e32 v122, v105
	s_waitcnt lgkmcnt(1)
	v_pk_mul_f32 v[120:121], v[12:13], v[120:121] op_sel_hi:[1,0]
	s_waitcnt vmcnt(5)
	v_pk_fma_f32 v[98:99], v[10:11], v[100:101], v[118:119] op_sel:[0,0,1] op_sel_hi:[1,1,0] neg_lo:[0,0,1] neg_hi:[0,0,1]
	v_pk_fma_f32 v[10:11], v[10:11], v[100:101], v[118:119] op_sel:[0,0,1] op_sel_hi:[1,0,0]
	v_mov_b32_e32 v97, v9
	v_pk_add_f32 v[4:5], v[4:5], v[16:17]
	v_mov_b32_e32 v124, v107
	v_pk_mul_f32 v[122:123], v[14:15], v[122:123] op_sel_hi:[1,0]
	s_waitcnt vmcnt(4)
	v_pk_fma_f32 v[100:101], v[12:13], v[102:103], v[120:121] op_sel:[0,0,1] op_sel_hi:[1,1,0] neg_lo:[0,0,1] neg_hi:[0,0,1]
	v_pk_fma_f32 v[12:13], v[12:13], v[102:103], v[120:121] op_sel:[0,0,1] op_sel_hi:[1,0,0]
	v_mov_b32_e32 v99, v11
	v_pk_add_f32 v[4:5], v[4:5], v[96:97]
	s_waitcnt lgkmcnt(0)
	v_pk_mul_f32 v[124:125], v[110:111], v[124:125] op_sel_hi:[1,0]
	s_waitcnt vmcnt(3)
	v_pk_fma_f32 v[102:103], v[14:15], v[104:105], v[122:123] op_sel:[0,0,1] op_sel_hi:[1,1,0] neg_lo:[0,0,1] neg_hi:[0,0,1]
	v_pk_fma_f32 v[14:15], v[14:15], v[104:105], v[122:123] op_sel:[0,0,1] op_sel_hi:[1,0,0]
	v_mov_b32_e32 v101, v13
	v_pk_add_f32 v[4:5], v[4:5], v[98:99]
	s_waitcnt vmcnt(2)
	v_pk_fma_f32 v[104:105], v[110:111], v[106:107], v[124:125] op_sel:[0,0,1] op_sel_hi:[1,1,0] neg_lo:[0,0,1] neg_hi:[0,0,1]
	v_pk_fma_f32 v[106:107], v[110:111], v[106:107], v[124:125] op_sel:[0,0,1] op_sel_hi:[1,0,0]
	v_mov_b32_e32 v103, v15
	v_pk_add_f32 v[4:5], v[4:5], v[100:101]
	v_mov_b32_e32 v105, v107
	v_pk_add_f32 v[4:5], v[4:5], v[102:103]
	v_pk_add_f32 v[4:5], v[4:5], v[104:105]
	s_waitcnt vmcnt(0)
	v_pk_add_f32 v[4:5], v[108:109], v[4:5] neg_lo:[0,1] neg_hi:[0,1]
	buffer_store_dword v4, off, s[0:3], 0 offset:248
	buffer_store_dword v5, off, s[0:3], 0 offset:252
	s_and_saveexec_b64 s[4:5], vcc
	s_cbranch_execz .LBB38_187
; %bb.186:
	buffer_load_dword v4, off, s[0:3], 0 offset:240
	buffer_load_dword v5, off, s[0:3], 0 offset:244
	s_waitcnt vmcnt(0)
	ds_write_b64 v1, v[4:5]
	buffer_store_dword v2, off, s[0:3], 0 offset:240
	buffer_store_dword v2, off, s[0:3], 0 offset:244
.LBB38_187:
	s_or_b64 exec, exec, s[4:5]
	s_waitcnt lgkmcnt(0)
	; wave barrier
	s_waitcnt lgkmcnt(0)
	buffer_load_dword v16, off, s[0:3], 0 offset:240
	buffer_load_dword v17, off, s[0:3], 0 offset:244
	;; [unrolled: 1-line block ×16, first 2 shown]
	ds_read2_b64 v[4:7], v2 offset0:71 offset1:72
	buffer_load_dword v115, off, s[0:3], 0 offset:308
	buffer_load_dword v114, off, s[0:3], 0 offset:304
	ds_read2_b64 v[8:11], v2 offset0:73 offset1:74
	ds_read2_b64 v[12:15], v2 offset0:75 offset1:76
	;; [unrolled: 1-line block ×3, first 2 shown]
	v_cmp_lt_u32_e32 vcc, 29, v0
	s_waitcnt vmcnt(14)
	v_mov_b32_e32 v2, v101
	s_waitcnt lgkmcnt(3)
	v_pk_mul_f32 v[2:3], v[4:5], v[2:3] op_sel_hi:[1,0]
	v_pk_fma_f32 v[116:117], v[4:5], v[100:101], v[2:3] op_sel:[0,0,1] op_sel_hi:[1,1,0] neg_lo:[0,0,1] neg_hi:[0,0,1]
	v_pk_fma_f32 v[2:3], v[4:5], v[100:101], v[2:3] op_sel:[0,0,1] op_sel_hi:[1,0,0]
	s_waitcnt vmcnt(12)
	v_mov_b32_e32 v4, v103
	v_pk_mul_f32 v[4:5], v[6:7], v[4:5] op_sel_hi:[1,0]
	v_pk_fma_f32 v[100:101], v[6:7], v[102:103], v[4:5] op_sel:[0,0,1] op_sel_hi:[1,1,0] neg_lo:[0,0,1] neg_hi:[0,0,1]
	v_pk_fma_f32 v[4:5], v[6:7], v[102:103], v[4:5] op_sel:[0,0,1] op_sel_hi:[1,0,0]
	s_waitcnt vmcnt(10)
	v_mov_b32_e32 v4, v105
	v_mov_b32_e32 v101, v5
	s_waitcnt lgkmcnt(2)
	v_pk_mul_f32 v[4:5], v[8:9], v[4:5] op_sel_hi:[1,0]
	v_mov_b32_e32 v117, v3
	v_pk_fma_f32 v[6:7], v[8:9], v[104:105], v[4:5] op_sel:[0,0,1] op_sel_hi:[1,1,0] neg_lo:[0,0,1] neg_hi:[0,0,1]
	v_pk_fma_f32 v[4:5], v[8:9], v[104:105], v[4:5] op_sel:[0,0,1] op_sel_hi:[1,0,0]
	v_pk_add_f32 v[2:3], v[116:117], 0 op_sel_hi:[1,0]
	s_waitcnt vmcnt(8)
	v_mov_b32_e32 v4, v107
	v_pk_add_f32 v[2:3], v[2:3], v[100:101]
	v_mov_b32_e32 v7, v5
	v_pk_mul_f32 v[4:5], v[10:11], v[4:5] op_sel_hi:[1,0]
	v_pk_add_f32 v[2:3], v[2:3], v[6:7]
	v_pk_fma_f32 v[6:7], v[10:11], v[106:107], v[4:5] op_sel:[0,0,1] op_sel_hi:[1,1,0] neg_lo:[0,0,1] neg_hi:[0,0,1]
	v_pk_fma_f32 v[4:5], v[10:11], v[106:107], v[4:5] op_sel:[0,0,1] op_sel_hi:[1,0,0]
	s_waitcnt vmcnt(6)
	v_mov_b32_e32 v4, v109
	v_mov_b32_e32 v7, v5
	s_waitcnt lgkmcnt(1)
	v_pk_mul_f32 v[4:5], v[12:13], v[4:5] op_sel_hi:[1,0]
	v_pk_add_f32 v[2:3], v[2:3], v[6:7]
	v_pk_fma_f32 v[6:7], v[12:13], v[108:109], v[4:5] op_sel:[0,0,1] op_sel_hi:[1,1,0] neg_lo:[0,0,1] neg_hi:[0,0,1]
	v_pk_fma_f32 v[4:5], v[12:13], v[108:109], v[4:5] op_sel:[0,0,1] op_sel_hi:[1,0,0]
	s_waitcnt vmcnt(4)
	v_mov_b32_e32 v4, v111
	v_mov_b32_e32 v7, v5
	v_pk_mul_f32 v[4:5], v[14:15], v[4:5] op_sel_hi:[1,0]
	v_pk_add_f32 v[2:3], v[2:3], v[6:7]
	v_pk_fma_f32 v[6:7], v[14:15], v[110:111], v[4:5] op_sel:[0,0,1] op_sel_hi:[1,1,0] neg_lo:[0,0,1] neg_hi:[0,0,1]
	v_pk_fma_f32 v[4:5], v[14:15], v[110:111], v[4:5] op_sel:[0,0,1] op_sel_hi:[1,0,0]
	s_waitcnt vmcnt(2)
	v_mov_b32_e32 v4, v113
	v_mov_b32_e32 v7, v5
	s_waitcnt lgkmcnt(0)
	v_pk_mul_f32 v[4:5], v[96:97], v[4:5] op_sel_hi:[1,0]
	v_pk_add_f32 v[2:3], v[2:3], v[6:7]
	v_pk_fma_f32 v[6:7], v[96:97], v[112:113], v[4:5] op_sel:[0,0,1] op_sel_hi:[1,1,0] neg_lo:[0,0,1] neg_hi:[0,0,1]
	v_pk_fma_f32 v[4:5], v[96:97], v[112:113], v[4:5] op_sel:[0,0,1] op_sel_hi:[1,0,0]
	s_waitcnt vmcnt(1)
	v_mov_b32_e32 v4, v115
	v_mov_b32_e32 v7, v5
	v_pk_mul_f32 v[4:5], v[98:99], v[4:5] op_sel_hi:[1,0]
	v_pk_add_f32 v[2:3], v[2:3], v[6:7]
	s_waitcnt vmcnt(0)
	v_pk_fma_f32 v[6:7], v[98:99], v[114:115], v[4:5] op_sel:[0,0,1] op_sel_hi:[1,1,0] neg_lo:[0,0,1] neg_hi:[0,0,1]
	v_pk_fma_f32 v[4:5], v[98:99], v[114:115], v[4:5] op_sel:[0,0,1] op_sel_hi:[1,0,0]
	v_mov_b32_e32 v7, v5
	v_pk_add_f32 v[2:3], v[2:3], v[6:7]
	v_pk_add_f32 v[2:3], v[16:17], v[2:3] neg_lo:[0,1] neg_hi:[0,1]
	buffer_store_dword v2, off, s[0:3], 0 offset:240
	buffer_store_dword v3, off, s[0:3], 0 offset:244
	s_and_saveexec_b64 s[4:5], vcc
	s_cbranch_execz .LBB38_189
; %bb.188:
	buffer_load_dword v2, off, s[0:3], 0 offset:232
	buffer_load_dword v3, off, s[0:3], 0 offset:236
	v_mov_b32_e32 v4, 0
	buffer_store_dword v4, off, s[0:3], 0 offset:232
	buffer_store_dword v4, off, s[0:3], 0 offset:236
	s_waitcnt vmcnt(2)
	ds_write_b64 v1, v[2:3]
.LBB38_189:
	s_or_b64 exec, exec, s[4:5]
	v_mov_b32_e32 v2, 0
	s_waitcnt lgkmcnt(0)
	; wave barrier
	s_waitcnt lgkmcnt(0)
	ds_read_b128 v[4:7], v2 offset:560
	ds_read_b128 v[8:11], v2 offset:576
	;; [unrolled: 1-line block ×4, first 2 shown]
	buffer_load_dword v16, off, s[0:3], 0 offset:232
	buffer_load_dword v17, off, s[0:3], 0 offset:236
	;; [unrolled: 1-line block ×20, first 2 shown]
	v_cmp_lt_u32_e32 vcc, 28, v0
	s_waitcnt vmcnt(16) lgkmcnt(3)
	v_mul_f32_e32 v113, v4, v112
	v_fmac_f32_e32 v113, v5, v3
	s_waitcnt vmcnt(14)
	v_mov_b32_e32 v118, v101
	v_mul_f32_e32 v5, v5, v112
	v_pk_mul_f32 v[118:119], v[6:7], v[118:119] op_sel_hi:[1,0]
	v_fma_f32 v112, v4, v3, -v5
	v_pk_fma_f32 v[120:121], v[6:7], v[100:101], v[118:119] op_sel:[0,0,1] op_sel_hi:[1,1,0] neg_lo:[0,0,1] neg_hi:[0,0,1]
	v_pk_fma_f32 v[6:7], v[6:7], v[100:101], v[118:119] op_sel:[0,0,1] op_sel_hi:[1,0,0]
	s_waitcnt vmcnt(12)
	v_mov_b32_e32 v100, v103
	v_pk_add_f32 v[112:113], v[112:113], 0 op_sel_hi:[1,0]
	v_mov_b32_e32 v121, v7
	s_waitcnt lgkmcnt(2)
	v_pk_mul_f32 v[100:101], v[8:9], v[100:101] op_sel_hi:[1,0]
	v_pk_add_f32 v[6:7], v[112:113], v[120:121]
	v_pk_fma_f32 v[112:113], v[8:9], v[102:103], v[100:101] op_sel:[0,0,1] op_sel_hi:[1,1,0] neg_lo:[0,0,1] neg_hi:[0,0,1]
	v_pk_fma_f32 v[8:9], v[8:9], v[102:103], v[100:101] op_sel:[0,0,1] op_sel_hi:[1,0,0]
	s_waitcnt vmcnt(10)
	v_mov_b32_e32 v8, v105
	v_mov_b32_e32 v113, v9
	v_pk_mul_f32 v[8:9], v[10:11], v[8:9] op_sel_hi:[1,0]
	v_pk_fma_f32 v[100:101], v[10:11], v[104:105], v[8:9] op_sel:[0,0,1] op_sel_hi:[1,1,0] neg_lo:[0,0,1] neg_hi:[0,0,1]
	v_pk_fma_f32 v[8:9], v[10:11], v[104:105], v[8:9] op_sel:[0,0,1] op_sel_hi:[1,0,0]
	s_waitcnt vmcnt(8)
	v_mov_b32_e32 v8, v107
	v_mov_b32_e32 v101, v9
	s_waitcnt lgkmcnt(1)
	v_pk_mul_f32 v[8:9], v[12:13], v[8:9] op_sel_hi:[1,0]
	v_pk_fma_f32 v[10:11], v[12:13], v[106:107], v[8:9] op_sel:[0,0,1] op_sel_hi:[1,1,0] neg_lo:[0,0,1] neg_hi:[0,0,1]
	v_pk_fma_f32 v[8:9], v[12:13], v[106:107], v[8:9] op_sel:[0,0,1] op_sel_hi:[1,0,0]
	v_pk_add_f32 v[6:7], v[6:7], v[112:113]
	s_waitcnt vmcnt(6)
	v_mov_b32_e32 v8, v109
	v_pk_add_f32 v[6:7], v[6:7], v[100:101]
	v_mov_b32_e32 v11, v9
	v_pk_mul_f32 v[8:9], v[14:15], v[8:9] op_sel_hi:[1,0]
	v_pk_add_f32 v[6:7], v[6:7], v[10:11]
	v_pk_fma_f32 v[10:11], v[14:15], v[108:109], v[8:9] op_sel:[0,0,1] op_sel_hi:[1,1,0] neg_lo:[0,0,1] neg_hi:[0,0,1]
	v_pk_fma_f32 v[8:9], v[14:15], v[108:109], v[8:9] op_sel:[0,0,1] op_sel_hi:[1,0,0]
	s_waitcnt vmcnt(4)
	v_mov_b32_e32 v8, v111
	v_mov_b32_e32 v11, v9
	s_waitcnt lgkmcnt(0)
	v_pk_mul_f32 v[8:9], v[96:97], v[8:9] op_sel_hi:[1,0]
	ds_read_b64 v[4:5], v2 offset:624
	v_pk_add_f32 v[6:7], v[6:7], v[10:11]
	v_pk_fma_f32 v[10:11], v[96:97], v[110:111], v[8:9] op_sel:[0,0,1] op_sel_hi:[1,1,0] neg_lo:[0,0,1] neg_hi:[0,0,1]
	v_pk_fma_f32 v[8:9], v[96:97], v[110:111], v[8:9] op_sel:[0,0,1] op_sel_hi:[1,0,0]
	s_waitcnt vmcnt(3)
	v_mov_b32_e32 v8, v115
	v_mov_b32_e32 v11, v9
	v_pk_mul_f32 v[8:9], v[98:99], v[8:9] op_sel_hi:[1,0]
	v_pk_add_f32 v[6:7], v[6:7], v[10:11]
	s_waitcnt vmcnt(2)
	v_pk_fma_f32 v[10:11], v[98:99], v[114:115], v[8:9] op_sel:[0,0,1] op_sel_hi:[1,1,0] neg_lo:[0,0,1] neg_hi:[0,0,1]
	v_pk_fma_f32 v[8:9], v[98:99], v[114:115], v[8:9] op_sel:[0,0,1] op_sel_hi:[1,0,0]
	s_waitcnt vmcnt(1)
	v_mov_b32_e32 v8, v117
	v_mov_b32_e32 v11, v9
	s_waitcnt lgkmcnt(0)
	v_pk_mul_f32 v[8:9], v[4:5], v[8:9] op_sel_hi:[1,0]
	v_pk_add_f32 v[6:7], v[6:7], v[10:11]
	s_waitcnt vmcnt(0)
	v_pk_fma_f32 v[10:11], v[4:5], v[116:117], v[8:9] op_sel:[0,0,1] op_sel_hi:[1,1,0] neg_lo:[0,0,1] neg_hi:[0,0,1]
	v_pk_fma_f32 v[4:5], v[4:5], v[116:117], v[8:9] op_sel:[0,0,1] op_sel_hi:[1,0,0]
	v_mov_b32_e32 v11, v5
	v_pk_add_f32 v[4:5], v[6:7], v[10:11]
	v_pk_add_f32 v[4:5], v[16:17], v[4:5] neg_lo:[0,1] neg_hi:[0,1]
	buffer_store_dword v4, off, s[0:3], 0 offset:232
	buffer_store_dword v5, off, s[0:3], 0 offset:236
	s_and_saveexec_b64 s[4:5], vcc
	s_cbranch_execz .LBB38_191
; %bb.190:
	buffer_load_dword v4, off, s[0:3], 0 offset:224
	buffer_load_dword v5, off, s[0:3], 0 offset:228
	s_waitcnt vmcnt(0)
	ds_write_b64 v1, v[4:5]
	buffer_store_dword v2, off, s[0:3], 0 offset:224
	buffer_store_dword v2, off, s[0:3], 0 offset:228
.LBB38_191:
	s_or_b64 exec, exec, s[4:5]
	s_waitcnt lgkmcnt(0)
	; wave barrier
	s_waitcnt lgkmcnt(0)
	ds_read2_b64 v[4:7], v2 offset0:69 offset1:70
	buffer_load_dword v16, off, s[0:3], 0 offset:224
	buffer_load_dword v17, off, s[0:3], 0 offset:228
	;; [unrolled: 1-line block ×16, first 2 shown]
	ds_read2_b64 v[8:11], v2 offset0:71 offset1:72
	buffer_load_dword v115, off, s[0:3], 0 offset:292
	buffer_load_dword v114, off, s[0:3], 0 offset:288
	;; [unrolled: 1-line block ×6, first 2 shown]
	v_cmp_lt_u32_e32 vcc, 27, v0
	s_waitcnt vmcnt(18) lgkmcnt(1)
	v_mul_f32_e32 v111, v4, v12
	v_fmac_f32_e32 v111, v5, v3
	v_mul_f32_e32 v5, v5, v12
	s_waitcnt vmcnt(16)
	v_mul_f32_e32 v113, v6, v14
	v_fma_f32 v110, v4, v3, -v5
	v_mul_f32_e32 v3, v7, v14
	v_fmac_f32_e32 v113, v7, v13
	v_fma_f32 v112, v6, v13, -v3
	ds_read2_b64 v[4:7], v2 offset0:73 offset1:74
	ds_read2_b64 v[12:15], v2 offset0:75 offset1:76
	;; [unrolled: 1-line block ×3, first 2 shown]
	v_pk_add_f32 v[2:3], v[110:111], 0 op_sel_hi:[1,0]
	s_waitcnt vmcnt(14)
	v_mov_b32_e32 v110, v101
	s_waitcnt lgkmcnt(3)
	v_pk_mul_f32 v[110:111], v[8:9], v[110:111] op_sel_hi:[1,0]
	v_pk_add_f32 v[2:3], v[2:3], v[112:113]
	v_pk_fma_f32 v[112:113], v[8:9], v[100:101], v[110:111] op_sel:[0,0,1] op_sel_hi:[1,1,0] neg_lo:[0,0,1] neg_hi:[0,0,1]
	v_pk_fma_f32 v[8:9], v[8:9], v[100:101], v[110:111] op_sel:[0,0,1] op_sel_hi:[1,0,0]
	s_waitcnt vmcnt(12)
	v_mov_b32_e32 v8, v103
	v_mov_b32_e32 v113, v9
	v_pk_mul_f32 v[8:9], v[10:11], v[8:9] op_sel_hi:[1,0]
	v_pk_fma_f32 v[100:101], v[10:11], v[102:103], v[8:9] op_sel:[0,0,1] op_sel_hi:[1,1,0] neg_lo:[0,0,1] neg_hi:[0,0,1]
	v_pk_fma_f32 v[8:9], v[10:11], v[102:103], v[8:9] op_sel:[0,0,1] op_sel_hi:[1,0,0]
	s_waitcnt vmcnt(10)
	v_mov_b32_e32 v8, v105
	v_mov_b32_e32 v101, v9
	s_waitcnt lgkmcnt(2)
	v_pk_mul_f32 v[8:9], v[4:5], v[8:9] op_sel_hi:[1,0]
	v_pk_fma_f32 v[10:11], v[4:5], v[104:105], v[8:9] op_sel:[0,0,1] op_sel_hi:[1,1,0] neg_lo:[0,0,1] neg_hi:[0,0,1]
	v_pk_fma_f32 v[4:5], v[4:5], v[104:105], v[8:9] op_sel:[0,0,1] op_sel_hi:[1,0,0]
	s_waitcnt vmcnt(8)
	v_mov_b32_e32 v4, v107
	v_mov_b32_e32 v11, v5
	v_pk_mul_f32 v[4:5], v[6:7], v[4:5] op_sel_hi:[1,0]
	v_pk_fma_f32 v[8:9], v[6:7], v[106:107], v[4:5] op_sel:[0,0,1] op_sel_hi:[1,1,0] neg_lo:[0,0,1] neg_hi:[0,0,1]
	v_pk_fma_f32 v[4:5], v[6:7], v[106:107], v[4:5] op_sel:[0,0,1] op_sel_hi:[1,0,0]
	s_waitcnt vmcnt(6)
	v_mov_b32_e32 v4, v109
	v_pk_add_f32 v[2:3], v[2:3], v[112:113]
	v_mov_b32_e32 v9, v5
	s_waitcnt lgkmcnt(1)
	v_pk_mul_f32 v[4:5], v[12:13], v[4:5] op_sel_hi:[1,0]
	v_pk_add_f32 v[2:3], v[2:3], v[100:101]
	v_pk_fma_f32 v[6:7], v[12:13], v[108:109], v[4:5] op_sel:[0,0,1] op_sel_hi:[1,1,0] neg_lo:[0,0,1] neg_hi:[0,0,1]
	v_pk_fma_f32 v[4:5], v[12:13], v[108:109], v[4:5] op_sel:[0,0,1] op_sel_hi:[1,0,0]
	v_pk_add_f32 v[2:3], v[2:3], v[10:11]
	s_waitcnt vmcnt(5)
	v_mov_b32_e32 v4, v115
	v_pk_add_f32 v[2:3], v[2:3], v[8:9]
	v_mov_b32_e32 v7, v5
	v_pk_mul_f32 v[4:5], v[14:15], v[4:5] op_sel_hi:[1,0]
	v_pk_add_f32 v[2:3], v[2:3], v[6:7]
	s_waitcnt vmcnt(4)
	v_pk_fma_f32 v[6:7], v[14:15], v[114:115], v[4:5] op_sel:[0,0,1] op_sel_hi:[1,1,0] neg_lo:[0,0,1] neg_hi:[0,0,1]
	v_pk_fma_f32 v[4:5], v[14:15], v[114:115], v[4:5] op_sel:[0,0,1] op_sel_hi:[1,0,0]
	s_waitcnt vmcnt(3)
	v_mov_b32_e32 v4, v117
	v_mov_b32_e32 v7, v5
	s_waitcnt lgkmcnt(0)
	v_pk_mul_f32 v[4:5], v[96:97], v[4:5] op_sel_hi:[1,0]
	v_pk_add_f32 v[2:3], v[2:3], v[6:7]
	s_waitcnt vmcnt(2)
	v_pk_fma_f32 v[6:7], v[96:97], v[116:117], v[4:5] op_sel:[0,0,1] op_sel_hi:[1,1,0] neg_lo:[0,0,1] neg_hi:[0,0,1]
	v_pk_fma_f32 v[4:5], v[96:97], v[116:117], v[4:5] op_sel:[0,0,1] op_sel_hi:[1,0,0]
	s_waitcnt vmcnt(1)
	v_mov_b32_e32 v4, v119
	v_mov_b32_e32 v7, v5
	v_pk_mul_f32 v[4:5], v[98:99], v[4:5] op_sel_hi:[1,0]
	v_pk_add_f32 v[2:3], v[2:3], v[6:7]
	s_waitcnt vmcnt(0)
	v_pk_fma_f32 v[6:7], v[98:99], v[118:119], v[4:5] op_sel:[0,0,1] op_sel_hi:[1,1,0] neg_lo:[0,0,1] neg_hi:[0,0,1]
	v_pk_fma_f32 v[4:5], v[98:99], v[118:119], v[4:5] op_sel:[0,0,1] op_sel_hi:[1,0,0]
	v_mov_b32_e32 v7, v5
	v_pk_add_f32 v[2:3], v[2:3], v[6:7]
	v_pk_add_f32 v[2:3], v[16:17], v[2:3] neg_lo:[0,1] neg_hi:[0,1]
	buffer_store_dword v2, off, s[0:3], 0 offset:224
	buffer_store_dword v3, off, s[0:3], 0 offset:228
	s_and_saveexec_b64 s[4:5], vcc
	s_cbranch_execz .LBB38_193
; %bb.192:
	buffer_load_dword v2, off, s[0:3], 0 offset:216
	buffer_load_dword v3, off, s[0:3], 0 offset:220
	v_mov_b32_e32 v4, 0
	buffer_store_dword v4, off, s[0:3], 0 offset:216
	buffer_store_dword v4, off, s[0:3], 0 offset:220
	s_waitcnt vmcnt(2)
	ds_write_b64 v1, v[2:3]
.LBB38_193:
	s_or_b64 exec, exec, s[4:5]
	v_mov_b32_e32 v4, 0
	s_waitcnt lgkmcnt(0)
	; wave barrier
	s_waitcnt lgkmcnt(0)
	ds_read_b128 v[6:9], v4 offset:544
	ds_read_b128 v[10:13], v4 offset:560
	;; [unrolled: 1-line block ×4, first 2 shown]
	buffer_load_dword v2, off, s[0:3], 0 offset:216
	buffer_load_dword v3, off, s[0:3], 0 offset:220
	;; [unrolled: 1-line block ×24, first 2 shown]
	v_cmp_lt_u32_e32 vcc, 26, v0
	s_waitcnt vmcnt(20) lgkmcnt(3)
	v_mul_f32_e32 v109, v6, v108
	v_fmac_f32_e32 v109, v7, v5
	v_mul_f32_e32 v7, v7, v108
	v_fma_f32 v5, v6, v5, -v7
	s_waitcnt vmcnt(18)
	v_mul_f32_e32 v111, v8, v112
	v_add_f32_e32 v108, 0, v5
	v_mul_f32_e32 v5, v9, v112
	v_add_f32_e32 v109, 0, v109
	v_fmac_f32_e32 v111, v9, v110
	v_fma_f32 v110, v8, v110, -v5
	s_waitcnt vmcnt(16) lgkmcnt(2)
	v_mul_f32_e32 v113, v10, v123
	v_mul_f32_e32 v5, v11, v123
	v_pk_add_f32 v[108:109], v[108:109], v[110:111]
	s_waitcnt vmcnt(14)
	v_mov_b32_e32 v110, v101
	v_fmac_f32_e32 v113, v11, v122
	v_fma_f32 v112, v10, v122, -v5
	v_pk_mul_f32 v[110:111], v[12:13], v[110:111] op_sel_hi:[1,0]
	v_pk_add_f32 v[108:109], v[108:109], v[112:113]
	v_pk_fma_f32 v[112:113], v[12:13], v[100:101], v[110:111] op_sel:[0,0,1] op_sel_hi:[1,1,0] neg_lo:[0,0,1] neg_hi:[0,0,1]
	v_pk_fma_f32 v[12:13], v[12:13], v[100:101], v[110:111] op_sel:[0,0,1] op_sel_hi:[1,0,0]
	s_waitcnt vmcnt(12)
	v_mov_b32_e32 v100, v103
	v_mov_b32_e32 v113, v13
	s_waitcnt lgkmcnt(1)
	v_pk_mul_f32 v[100:101], v[14:15], v[100:101] op_sel_hi:[1,0]
	v_pk_add_f32 v[12:13], v[108:109], v[112:113]
	v_pk_fma_f32 v[108:109], v[14:15], v[102:103], v[100:101] op_sel:[0,0,1] op_sel_hi:[1,1,0] neg_lo:[0,0,1] neg_hi:[0,0,1]
	v_pk_fma_f32 v[14:15], v[14:15], v[102:103], v[100:101] op_sel:[0,0,1] op_sel_hi:[1,0,0]
	s_waitcnt vmcnt(10)
	v_mov_b32_e32 v14, v105
	v_mov_b32_e32 v109, v15
	v_pk_mul_f32 v[14:15], v[16:17], v[14:15] op_sel_hi:[1,0]
	v_pk_fma_f32 v[100:101], v[16:17], v[104:105], v[14:15] op_sel:[0,0,1] op_sel_hi:[1,1,0] neg_lo:[0,0,1] neg_hi:[0,0,1]
	v_pk_fma_f32 v[14:15], v[16:17], v[104:105], v[14:15] op_sel:[0,0,1] op_sel_hi:[1,0,0]
	s_waitcnt vmcnt(8)
	v_mov_b32_e32 v14, v107
	v_mov_b32_e32 v101, v15
	s_waitcnt lgkmcnt(0)
	v_pk_mul_f32 v[14:15], v[96:97], v[14:15] op_sel_hi:[1,0]
	v_pk_fma_f32 v[16:17], v[96:97], v[106:107], v[14:15] op_sel:[0,0,1] op_sel_hi:[1,1,0] neg_lo:[0,0,1] neg_hi:[0,0,1]
	v_pk_fma_f32 v[14:15], v[96:97], v[106:107], v[14:15] op_sel:[0,0,1] op_sel_hi:[1,0,0]
	ds_read_b128 v[6:9], v4 offset:608
	ds_read_b64 v[10:11], v4 offset:624
	v_pk_add_f32 v[12:13], v[12:13], v[108:109]
	s_waitcnt vmcnt(7)
	v_mov_b32_e32 v14, v115
	v_pk_add_f32 v[12:13], v[12:13], v[100:101]
	v_mov_b32_e32 v17, v15
	v_pk_mul_f32 v[14:15], v[98:99], v[14:15] op_sel_hi:[1,0]
	v_pk_add_f32 v[12:13], v[12:13], v[16:17]
	s_waitcnt vmcnt(6)
	v_pk_fma_f32 v[16:17], v[98:99], v[114:115], v[14:15] op_sel:[0,0,1] op_sel_hi:[1,1,0] neg_lo:[0,0,1] neg_hi:[0,0,1]
	v_pk_fma_f32 v[14:15], v[98:99], v[114:115], v[14:15] op_sel:[0,0,1] op_sel_hi:[1,0,0]
	s_waitcnt vmcnt(5)
	v_mov_b32_e32 v14, v117
	v_mov_b32_e32 v17, v15
	s_waitcnt lgkmcnt(1)
	v_pk_mul_f32 v[14:15], v[6:7], v[14:15] op_sel_hi:[1,0]
	v_pk_add_f32 v[12:13], v[12:13], v[16:17]
	s_waitcnt vmcnt(4)
	v_pk_fma_f32 v[16:17], v[6:7], v[116:117], v[14:15] op_sel:[0,0,1] op_sel_hi:[1,1,0] neg_lo:[0,0,1] neg_hi:[0,0,1]
	v_pk_fma_f32 v[6:7], v[6:7], v[116:117], v[14:15] op_sel:[0,0,1] op_sel_hi:[1,0,0]
	v_mov_b32_e32 v17, v7
	v_pk_add_f32 v[6:7], v[12:13], v[16:17]
	s_waitcnt vmcnt(3)
	v_mov_b32_e32 v12, v119
	v_pk_mul_f32 v[12:13], v[8:9], v[12:13] op_sel_hi:[1,0]
	s_waitcnt vmcnt(2)
	v_pk_fma_f32 v[14:15], v[8:9], v[118:119], v[12:13] op_sel:[0,0,1] op_sel_hi:[1,1,0] neg_lo:[0,0,1] neg_hi:[0,0,1]
	v_pk_fma_f32 v[8:9], v[8:9], v[118:119], v[12:13] op_sel:[0,0,1] op_sel_hi:[1,0,0]
	s_waitcnt vmcnt(1)
	v_mov_b32_e32 v8, v121
	v_mov_b32_e32 v15, v9
	s_waitcnt lgkmcnt(0)
	v_pk_mul_f32 v[8:9], v[10:11], v[8:9] op_sel_hi:[1,0]
	s_waitcnt vmcnt(0)
	v_pk_fma_f32 v[12:13], v[10:11], v[120:121], v[8:9] op_sel:[0,0,1] op_sel_hi:[1,1,0] neg_lo:[0,0,1] neg_hi:[0,0,1]
	v_pk_fma_f32 v[8:9], v[10:11], v[120:121], v[8:9] op_sel:[0,0,1] op_sel_hi:[1,0,0]
	v_pk_add_f32 v[6:7], v[6:7], v[14:15]
	v_mov_b32_e32 v13, v9
	v_pk_add_f32 v[6:7], v[6:7], v[12:13]
	v_pk_add_f32 v[2:3], v[2:3], v[6:7] neg_lo:[0,1] neg_hi:[0,1]
	buffer_store_dword v3, off, s[0:3], 0 offset:220
	buffer_store_dword v2, off, s[0:3], 0 offset:216
	s_and_saveexec_b64 s[4:5], vcc
	s_cbranch_execz .LBB38_195
; %bb.194:
	buffer_load_dword v2, off, s[0:3], 0 offset:208
	buffer_load_dword v3, off, s[0:3], 0 offset:212
	s_waitcnt vmcnt(0)
	ds_write_b64 v1, v[2:3]
	buffer_store_dword v4, off, s[0:3], 0 offset:208
	buffer_store_dword v4, off, s[0:3], 0 offset:212
.LBB38_195:
	s_or_b64 exec, exec, s[4:5]
	s_waitcnt lgkmcnt(0)
	; wave barrier
	s_waitcnt lgkmcnt(0)
	ds_read2_b64 v[6:9], v4 offset0:67 offset1:68
	buffer_load_dword v2, off, s[0:3], 0 offset:208
	buffer_load_dword v3, off, s[0:3], 0 offset:212
	;; [unrolled: 1-line block ×16, first 2 shown]
	v_cmp_lt_u32_e32 vcc, 25, v0
	ds_read2_b64 v[14:17], v4 offset0:71 offset1:72
	s_waitcnt vmcnt(12) lgkmcnt(1)
	v_mul_f32_e32 v10, v6, v96
	v_fmac_f32_e32 v10, v7, v5
	s_waitcnt vmcnt(10)
	v_mul_f32_e32 v11, v8, v98
	v_add_f32_e32 v10, 0, v10
	v_fmac_f32_e32 v11, v9, v97
	v_add_f32_e32 v107, v10, v11
	ds_read2_b64 v[10:13], v4 offset0:69 offset1:70
	buffer_load_dword v113, off, s[0:3], 0 offset:276
	buffer_load_dword v112, off, s[0:3], 0 offset:272
	;; [unrolled: 1-line block ×10, first 2 shown]
	v_mul_f32_e32 v7, v7, v96
	v_fma_f32 v5, v6, v5, -v7
	v_mul_f32_e32 v6, v9, v98
	v_add_f32_e32 v5, 0, v5
	v_fma_f32 v6, v8, v97, -v6
	s_waitcnt vmcnt(18) lgkmcnt(0)
	v_mul_f32_e32 v109, v10, v108
	v_add_f32_e32 v106, v5, v6
	v_mul_f32_e32 v5, v11, v108
	v_fmac_f32_e32 v109, v11, v99
	s_waitcnt vmcnt(16)
	v_mul_f32_e32 v111, v12, v122
	v_fma_f32 v108, v10, v99, -v5
	v_mul_f32_e32 v5, v13, v122
	v_fmac_f32_e32 v111, v13, v110
	v_fma_f32 v110, v12, v110, -v5
	ds_read2_b64 v[6:9], v4 offset0:73 offset1:74
	ds_read2_b64 v[10:13], v4 offset0:75 offset1:76
	;; [unrolled: 1-line block ×3, first 2 shown]
	v_pk_add_f32 v[4:5], v[106:107], v[108:109]
	s_waitcnt vmcnt(14)
	v_mov_b32_e32 v106, v101
	v_pk_mul_f32 v[106:107], v[14:15], v[106:107] op_sel_hi:[1,0]
	v_pk_fma_f32 v[108:109], v[14:15], v[100:101], v[106:107] op_sel:[0,0,1] op_sel_hi:[1,1,0] neg_lo:[0,0,1] neg_hi:[0,0,1]
	v_pk_fma_f32 v[14:15], v[14:15], v[100:101], v[106:107] op_sel:[0,0,1] op_sel_hi:[1,0,0]
	s_waitcnt vmcnt(12)
	v_mov_b32_e32 v14, v103
	v_mov_b32_e32 v109, v15
	v_pk_mul_f32 v[14:15], v[16:17], v[14:15] op_sel_hi:[1,0]
	v_pk_fma_f32 v[100:101], v[16:17], v[102:103], v[14:15] op_sel:[0,0,1] op_sel_hi:[1,1,0] neg_lo:[0,0,1] neg_hi:[0,0,1]
	v_pk_fma_f32 v[14:15], v[16:17], v[102:103], v[14:15] op_sel:[0,0,1] op_sel_hi:[1,0,0]
	s_waitcnt vmcnt(10)
	v_mov_b32_e32 v14, v105
	v_mov_b32_e32 v101, v15
	s_waitcnt lgkmcnt(2)
	v_pk_mul_f32 v[14:15], v[6:7], v[14:15] op_sel_hi:[1,0]
	v_pk_fma_f32 v[16:17], v[6:7], v[104:105], v[14:15] op_sel:[0,0,1] op_sel_hi:[1,1,0] neg_lo:[0,0,1] neg_hi:[0,0,1]
	v_pk_fma_f32 v[6:7], v[6:7], v[104:105], v[14:15] op_sel:[0,0,1] op_sel_hi:[1,0,0]
	v_mov_b32_e32 v17, v7
	v_pk_add_f32 v[4:5], v[4:5], v[110:111]
	v_pk_add_f32 v[4:5], v[4:5], v[108:109]
	;; [unrolled: 1-line block ×4, first 2 shown]
	s_waitcnt vmcnt(9)
	v_mov_b32_e32 v6, v113
	v_pk_mul_f32 v[6:7], v[8:9], v[6:7] op_sel_hi:[1,0]
	s_waitcnt vmcnt(8)
	v_pk_fma_f32 v[14:15], v[8:9], v[112:113], v[6:7] op_sel:[0,0,1] op_sel_hi:[1,1,0] neg_lo:[0,0,1] neg_hi:[0,0,1]
	v_pk_fma_f32 v[6:7], v[8:9], v[112:113], v[6:7] op_sel:[0,0,1] op_sel_hi:[1,0,0]
	s_waitcnt vmcnt(7)
	v_mov_b32_e32 v6, v115
	v_mov_b32_e32 v15, v7
	s_waitcnt lgkmcnt(1)
	v_pk_mul_f32 v[6:7], v[10:11], v[6:7] op_sel_hi:[1,0]
	s_waitcnt vmcnt(6)
	v_pk_fma_f32 v[8:9], v[10:11], v[114:115], v[6:7] op_sel:[0,0,1] op_sel_hi:[1,1,0] neg_lo:[0,0,1] neg_hi:[0,0,1]
	v_pk_fma_f32 v[6:7], v[10:11], v[114:115], v[6:7] op_sel:[0,0,1] op_sel_hi:[1,0,0]
	s_waitcnt vmcnt(5)
	v_mov_b32_e32 v6, v117
	v_pk_add_f32 v[4:5], v[4:5], v[14:15]
	v_mov_b32_e32 v9, v7
	v_pk_mul_f32 v[6:7], v[12:13], v[6:7] op_sel_hi:[1,0]
	v_pk_add_f32 v[4:5], v[4:5], v[8:9]
	s_waitcnt vmcnt(4)
	v_pk_fma_f32 v[8:9], v[12:13], v[116:117], v[6:7] op_sel:[0,0,1] op_sel_hi:[1,1,0] neg_lo:[0,0,1] neg_hi:[0,0,1]
	v_pk_fma_f32 v[6:7], v[12:13], v[116:117], v[6:7] op_sel:[0,0,1] op_sel_hi:[1,0,0]
	s_waitcnt vmcnt(3)
	v_mov_b32_e32 v6, v119
	v_mov_b32_e32 v9, v7
	s_waitcnt lgkmcnt(0)
	v_pk_mul_f32 v[6:7], v[96:97], v[6:7] op_sel_hi:[1,0]
	v_pk_add_f32 v[4:5], v[4:5], v[8:9]
	s_waitcnt vmcnt(2)
	v_pk_fma_f32 v[8:9], v[96:97], v[118:119], v[6:7] op_sel:[0,0,1] op_sel_hi:[1,1,0] neg_lo:[0,0,1] neg_hi:[0,0,1]
	v_pk_fma_f32 v[6:7], v[96:97], v[118:119], v[6:7] op_sel:[0,0,1] op_sel_hi:[1,0,0]
	s_waitcnt vmcnt(1)
	v_mov_b32_e32 v6, v121
	v_mov_b32_e32 v9, v7
	v_pk_mul_f32 v[6:7], v[98:99], v[6:7] op_sel_hi:[1,0]
	v_pk_add_f32 v[4:5], v[4:5], v[8:9]
	s_waitcnt vmcnt(0)
	v_pk_fma_f32 v[8:9], v[98:99], v[120:121], v[6:7] op_sel:[0,0,1] op_sel_hi:[1,1,0] neg_lo:[0,0,1] neg_hi:[0,0,1]
	v_pk_fma_f32 v[6:7], v[98:99], v[120:121], v[6:7] op_sel:[0,0,1] op_sel_hi:[1,0,0]
	v_mov_b32_e32 v9, v7
	v_pk_add_f32 v[4:5], v[4:5], v[8:9]
	v_pk_add_f32 v[2:3], v[2:3], v[4:5] neg_lo:[0,1] neg_hi:[0,1]
	buffer_store_dword v3, off, s[0:3], 0 offset:212
	buffer_store_dword v2, off, s[0:3], 0 offset:208
	s_and_saveexec_b64 s[4:5], vcc
	s_cbranch_execz .LBB38_197
; %bb.196:
	buffer_load_dword v2, off, s[0:3], 0 offset:200
	buffer_load_dword v3, off, s[0:3], 0 offset:204
	v_mov_b32_e32 v4, 0
	buffer_store_dword v4, off, s[0:3], 0 offset:200
	buffer_store_dword v4, off, s[0:3], 0 offset:204
	s_waitcnt vmcnt(2)
	ds_write_b64 v1, v[2:3]
.LBB38_197:
	s_or_b64 exec, exec, s[4:5]
	s_waitcnt lgkmcnt(0)
	; wave barrier
	s_waitcnt lgkmcnt(0)
	buffer_load_dword v3, off, s[0:3], 0 offset:212
	buffer_load_dword v126, off, s[0:3], 0 offset:220
	;; [unrolled: 1-line block ×28, first 2 shown]
	v_mov_b32_e32 v2, 0
	ds_read_b128 v[4:7], v2 offset:528
	ds_read_b128 v[8:11], v2 offset:544
	;; [unrolled: 1-line block ×6, first 2 shown]
	ds_read_b64 v[124:125], v2 offset:624
	v_cmp_lt_u32_e32 vcc, 24, v0
	s_waitcnt vmcnt(27) lgkmcnt(6)
	v_mul_f32_e32 v141, v4, v3
	v_mul_f32_e32 v3, v5, v3
	s_waitcnt vmcnt(26)
	v_mul_f32_e32 v142, v6, v126
	s_waitcnt vmcnt(24) lgkmcnt(5)
	v_mul_f32_e32 v127, v10, v130
	s_waitcnt vmcnt(23) lgkmcnt(4)
	v_mul_f32_e32 v129, v12, v131
	v_mul_f32_e32 v144, v11, v130
	;; [unrolled: 1-line block ×3, first 2 shown]
	s_waitcnt vmcnt(22)
	v_mov_b32_e32 v130, v17
	v_mul_f32_e32 v143, v8, v128
	v_mul_f32_e32 v126, v7, v126
	;; [unrolled: 1-line block ×3, first 2 shown]
	s_waitcnt vmcnt(17)
	v_fmac_f32_e32 v141, v5, v133
	v_fma_f32 v3, v4, v133, -v3
	v_pk_mul_f32 v[4:5], v[14:15], v[130:131] op_sel_hi:[1,0]
	s_waitcnt vmcnt(16)
	v_fmac_f32_e32 v142, v7, v135
	s_waitcnt vmcnt(13)
	v_fmac_f32_e32 v129, v13, v140
	v_fma_f32 v133, v6, v135, -v126
	v_fma_f32 v135, v8, v137, -v128
	;; [unrolled: 1-line block ×3, first 2 shown]
	v_add_f32_e32 v130, 0, v141
	v_add_f32_e32 v3, 0, v3
	s_waitcnt vmcnt(12)
	v_pk_fma_f32 v[12:13], v[14:15], v[16:17], v[4:5] op_sel:[0,0,1] op_sel_hi:[1,1,0] neg_lo:[0,0,1] neg_hi:[0,0,1]
	v_pk_fma_f32 v[4:5], v[14:15], v[16:17], v[4:5] op_sel:[0,0,1] op_sel_hi:[1,0,0]
	v_fmac_f32_e32 v143, v9, v137
	v_add_f32_e32 v4, v130, v142
	v_add_f32_e32 v3, v3, v133
	v_mov_b32_e32 v132, v109
	v_fmac_f32_e32 v127, v11, v139
	v_fma_f32 v126, v10, v139, -v144
	v_mov_b32_e32 v13, v5
	v_add_f32_e32 v5, v4, v143
	v_add_f32_e32 v4, v3, v135
	v_mov_b32_e32 v134, v111
	s_waitcnt lgkmcnt(3)
	v_pk_mul_f32 v[6:7], v[96:97], v[132:133] op_sel_hi:[1,0]
	v_pk_add_f32 v[4:5], v[4:5], v[126:127]
	v_mov_b32_e32 v136, v113
	v_mov_b32_e32 v138, v115
	v_pk_mul_f32 v[8:9], v[98:99], v[134:135] op_sel_hi:[1,0]
	s_waitcnt vmcnt(11)
	v_pk_fma_f32 v[14:15], v[96:97], v[108:109], v[6:7] op_sel:[0,0,1] op_sel_hi:[1,1,0] neg_lo:[0,0,1] neg_hi:[0,0,1]
	v_pk_fma_f32 v[6:7], v[96:97], v[108:109], v[6:7] op_sel:[0,0,1] op_sel_hi:[1,0,0]
	v_pk_add_f32 v[4:5], v[4:5], v[128:129]
	s_waitcnt lgkmcnt(2)
	v_pk_mul_f32 v[10:11], v[100:101], v[136:137] op_sel_hi:[1,0]
	s_waitcnt vmcnt(7)
	v_pk_fma_f32 v[16:17], v[98:99], v[110:111], v[8:9] op_sel:[0,0,1] op_sel_hi:[1,1,0] neg_lo:[0,0,1] neg_hi:[0,0,1]
	v_pk_fma_f32 v[8:9], v[98:99], v[110:111], v[8:9] op_sel:[0,0,1] op_sel_hi:[1,0,0]
	v_mov_b32_e32 v15, v7
	v_pk_add_f32 v[4:5], v[4:5], v[12:13]
	v_pk_mul_f32 v[6:7], v[102:103], v[138:139] op_sel_hi:[1,0]
	v_pk_fma_f32 v[96:97], v[100:101], v[112:113], v[10:11] op_sel:[0,0,1] op_sel_hi:[1,1,0] neg_lo:[0,0,1] neg_hi:[0,0,1]
	v_pk_fma_f32 v[10:11], v[100:101], v[112:113], v[10:11] op_sel:[0,0,1] op_sel_hi:[1,0,0]
	v_mov_b32_e32 v17, v9
	v_pk_add_f32 v[4:5], v[4:5], v[14:15]
	v_pk_fma_f32 v[8:9], v[102:103], v[114:115], v[6:7] op_sel:[0,0,1] op_sel_hi:[1,1,0] neg_lo:[0,0,1] neg_hi:[0,0,1]
	v_pk_fma_f32 v[6:7], v[102:103], v[114:115], v[6:7] op_sel:[0,0,1] op_sel_hi:[1,0,0]
	v_mov_b32_e32 v97, v11
	v_pk_add_f32 v[4:5], v[4:5], v[16:17]
	s_waitcnt vmcnt(6)
	v_mov_b32_e32 v6, v117
	v_pk_add_f32 v[4:5], v[4:5], v[96:97]
	v_mov_b32_e32 v9, v7
	s_waitcnt lgkmcnt(1)
	v_pk_mul_f32 v[6:7], v[104:105], v[6:7] op_sel_hi:[1,0]
	v_pk_add_f32 v[4:5], v[4:5], v[8:9]
	v_pk_fma_f32 v[8:9], v[104:105], v[116:117], v[6:7] op_sel:[0,0,1] op_sel_hi:[1,1,0] neg_lo:[0,0,1] neg_hi:[0,0,1]
	v_pk_fma_f32 v[6:7], v[104:105], v[116:117], v[6:7] op_sel:[0,0,1] op_sel_hi:[1,0,0]
	s_waitcnt vmcnt(5)
	v_mov_b32_e32 v6, v119
	v_mov_b32_e32 v9, v7
	v_pk_mul_f32 v[6:7], v[106:107], v[6:7] op_sel_hi:[1,0]
	v_pk_add_f32 v[4:5], v[4:5], v[8:9]
	s_waitcnt vmcnt(3)
	v_pk_fma_f32 v[8:9], v[106:107], v[118:119], v[6:7] op_sel:[0,0,1] op_sel_hi:[1,1,0] neg_lo:[0,0,1] neg_hi:[0,0,1]
	v_pk_fma_f32 v[6:7], v[106:107], v[118:119], v[6:7] op_sel:[0,0,1] op_sel_hi:[1,0,0]
	s_waitcnt vmcnt(2)
	v_mov_b32_e32 v6, v121
	v_mov_b32_e32 v9, v7
	s_waitcnt lgkmcnt(0)
	v_pk_mul_f32 v[6:7], v[124:125], v[6:7] op_sel_hi:[1,0]
	v_pk_add_f32 v[4:5], v[4:5], v[8:9]
	v_pk_fma_f32 v[8:9], v[124:125], v[120:121], v[6:7] op_sel:[0,0,1] op_sel_hi:[1,1,0] neg_lo:[0,0,1] neg_hi:[0,0,1]
	v_pk_fma_f32 v[6:7], v[124:125], v[120:121], v[6:7] op_sel:[0,0,1] op_sel_hi:[1,0,0]
	v_mov_b32_e32 v9, v7
	v_pk_add_f32 v[4:5], v[4:5], v[8:9]
	s_waitcnt vmcnt(0)
	v_pk_add_f32 v[4:5], v[122:123], v[4:5] neg_lo:[0,1] neg_hi:[0,1]
	buffer_store_dword v5, off, s[0:3], 0 offset:204
	buffer_store_dword v4, off, s[0:3], 0 offset:200
	s_and_saveexec_b64 s[4:5], vcc
	s_cbranch_execz .LBB38_199
; %bb.198:
	buffer_load_dword v4, off, s[0:3], 0 offset:192
	buffer_load_dword v5, off, s[0:3], 0 offset:196
	s_waitcnt vmcnt(0)
	ds_write_b64 v1, v[4:5]
	buffer_store_dword v2, off, s[0:3], 0 offset:192
	buffer_store_dword v2, off, s[0:3], 0 offset:196
.LBB38_199:
	s_or_b64 exec, exec, s[4:5]
	s_waitcnt lgkmcnt(0)
	; wave barrier
	s_waitcnt lgkmcnt(0)
	buffer_load_dword v128, off, s[0:3], 0 offset:204
	buffer_load_dword v130, off, s[0:3], 0 offset:212
	buffer_load_dword v131, off, s[0:3], 0 offset:220
	buffer_load_dword v132, off, s[0:3], 0 offset:228
	buffer_load_dword v133, off, s[0:3], 0 offset:236
	buffer_load_dword v134, off, s[0:3], 0 offset:244
	buffer_load_dword v17, off, s[0:3], 0 offset:252
	buffer_load_dword v113, off, s[0:3], 0 offset:260
	buffer_load_dword v115, off, s[0:3], 0 offset:268
	buffer_load_dword v135, off, s[0:3], 0 offset:200
	buffer_load_dword v136, off, s[0:3], 0 offset:208
	buffer_load_dword v137, off, s[0:3], 0 offset:216
	buffer_load_dword v138, off, s[0:3], 0 offset:224
	buffer_load_dword v139, off, s[0:3], 0 offset:232
	buffer_load_dword v140, off, s[0:3], 0 offset:240
	buffer_load_dword v16, off, s[0:3], 0 offset:248
	buffer_load_dword v116, off, s[0:3], 0 offset:280
	buffer_load_dword v118, off, s[0:3], 0 offset:272
	buffer_load_dword v114, off, s[0:3], 0 offset:264
	buffer_load_dword v112, off, s[0:3], 0 offset:256
	buffer_load_dword v119, off, s[0:3], 0 offset:276
	buffer_load_dword v117, off, s[0:3], 0 offset:284
	buffer_load_dword v121, off, s[0:3], 0 offset:292
	buffer_load_dword v122, off, s[0:3], 0 offset:304
	buffer_load_dword v124, off, s[0:3], 0 offset:296
	buffer_load_dword v120, off, s[0:3], 0 offset:288
	buffer_load_dword v125, off, s[0:3], 0 offset:300
	buffer_load_dword v126, off, s[0:3], 0 offset:192
	buffer_load_dword v127, off, s[0:3], 0 offset:196
	buffer_load_dword v123, off, s[0:3], 0 offset:308
	ds_read2_b64 v[4:7], v2 offset0:65 offset1:66
	ds_read2_b64 v[8:11], v2 offset0:67 offset1:68
	;; [unrolled: 1-line block ×7, first 2 shown]
	v_cmp_lt_u32_e32 vcc, 23, v0
	s_waitcnt vmcnt(29) lgkmcnt(6)
	v_mul_f32_e32 v141, v4, v128
	s_waitcnt vmcnt(28)
	v_mul_f32_e32 v142, v6, v130
	s_waitcnt vmcnt(27) lgkmcnt(5)
	v_mul_f32_e32 v143, v8, v131
	v_mul_f32_e32 v131, v9, v131
	s_waitcnt vmcnt(26)
	v_mul_f32_e32 v144, v10, v132
	s_waitcnt vmcnt(25) lgkmcnt(4)
	v_mul_f32_e32 v3, v12, v133
	v_mul_f32_e32 v2, v5, v128
	;; [unrolled: 1-line block ×5, first 2 shown]
	s_waitcnt vmcnt(23)
	v_mov_b32_e32 v130, v17
	s_waitcnt vmcnt(22)
	v_mov_b32_e32 v132, v113
	s_waitcnt vmcnt(18)
	v_fma_f32 v131, v8, v137, -v131
	v_fmac_f32_e32 v141, v5, v135
	v_fmac_f32_e32 v142, v7, v136
	s_waitcnt vmcnt(17)
	v_fmac_f32_e32 v144, v11, v138
	v_fma_f32 v11, v4, v135, -v2
	v_fma_f32 v135, v6, v136, -v128
	s_waitcnt lgkmcnt(3)
	v_pk_mul_f32 v[4:5], v[96:97], v[130:131] op_sel_hi:[1,0]
	v_pk_mul_f32 v[6:7], v[98:99], v[132:133] op_sel_hi:[1,0]
	s_waitcnt vmcnt(16)
	v_fmac_f32_e32 v3, v13, v139
	v_fma_f32 v136, v10, v138, -v145
	v_fma_f32 v2, v12, v139, -v133
	v_add_f32_e32 v130, 0, v141
	v_add_f32_e32 v132, 0, v11
	s_waitcnt vmcnt(14)
	v_pk_fma_f32 v[10:11], v[96:97], v[16:17], v[4:5] op_sel:[0,0,1] op_sel_hi:[1,1,0] neg_lo:[0,0,1] neg_hi:[0,0,1]
	v_pk_fma_f32 v[4:5], v[96:97], v[16:17], v[4:5] op_sel:[0,0,1] op_sel_hi:[1,0,0]
	s_waitcnt vmcnt(10)
	v_pk_fma_f32 v[12:13], v[98:99], v[112:113], v[6:7] op_sel:[0,0,1] op_sel_hi:[1,1,0] neg_lo:[0,0,1] neg_hi:[0,0,1]
	v_pk_fma_f32 v[6:7], v[98:99], v[112:113], v[6:7] op_sel:[0,0,1] op_sel_hi:[1,0,0]
	v_fmac_f32_e32 v143, v9, v137
	v_add_f32_e32 v4, v130, v142
	v_add_f32_e32 v6, v132, v135
	v_add_f32_e32 v4, v4, v143
	v_add_f32_e32 v6, v6, v131
	v_mul_f32_e32 v129, v14, v134
	v_mul_f32_e32 v146, v15, v134
	v_mov_b32_e32 v11, v5
	v_add_f32_e32 v5, v4, v144
	v_add_f32_e32 v4, v6, v136
	v_mov_b32_e32 v134, v115
	v_fmac_f32_e32 v129, v15, v140
	v_fma_f32 v128, v14, v140, -v146
	v_pk_add_f32 v[2:3], v[4:5], v[2:3]
	s_waitcnt vmcnt(9)
	v_mov_b32_e32 v4, v119
	s_waitcnt lgkmcnt(2)
	v_pk_mul_f32 v[8:9], v[100:101], v[134:135] op_sel_hi:[1,0]
	v_pk_add_f32 v[2:3], v[2:3], v[128:129]
	v_pk_mul_f32 v[4:5], v[102:103], v[4:5] op_sel_hi:[1,0]
	v_pk_fma_f32 v[14:15], v[100:101], v[114:115], v[8:9] op_sel:[0,0,1] op_sel_hi:[1,1,0] neg_lo:[0,0,1] neg_hi:[0,0,1]
	v_pk_fma_f32 v[8:9], v[100:101], v[114:115], v[8:9] op_sel:[0,0,1] op_sel_hi:[1,0,0]
	v_mov_b32_e32 v13, v7
	v_pk_add_f32 v[2:3], v[2:3], v[10:11]
	v_pk_fma_f32 v[6:7], v[102:103], v[118:119], v[4:5] op_sel:[0,0,1] op_sel_hi:[1,1,0] neg_lo:[0,0,1] neg_hi:[0,0,1]
	v_pk_fma_f32 v[4:5], v[102:103], v[118:119], v[4:5] op_sel:[0,0,1] op_sel_hi:[1,0,0]
	v_mov_b32_e32 v15, v9
	v_pk_add_f32 v[2:3], v[2:3], v[12:13]
	s_waitcnt vmcnt(8)
	v_mov_b32_e32 v4, v117
	v_pk_add_f32 v[2:3], v[2:3], v[14:15]
	v_mov_b32_e32 v7, v5
	s_waitcnt lgkmcnt(1)
	v_pk_mul_f32 v[4:5], v[104:105], v[4:5] op_sel_hi:[1,0]
	v_pk_add_f32 v[2:3], v[2:3], v[6:7]
	v_pk_fma_f32 v[6:7], v[104:105], v[116:117], v[4:5] op_sel:[0,0,1] op_sel_hi:[1,1,0] neg_lo:[0,0,1] neg_hi:[0,0,1]
	v_pk_fma_f32 v[4:5], v[104:105], v[116:117], v[4:5] op_sel:[0,0,1] op_sel_hi:[1,0,0]
	s_waitcnt vmcnt(7)
	v_mov_b32_e32 v4, v121
	v_mov_b32_e32 v7, v5
	v_pk_mul_f32 v[4:5], v[106:107], v[4:5] op_sel_hi:[1,0]
	v_pk_add_f32 v[2:3], v[2:3], v[6:7]
	s_waitcnt vmcnt(4)
	v_pk_fma_f32 v[6:7], v[106:107], v[120:121], v[4:5] op_sel:[0,0,1] op_sel_hi:[1,1,0] neg_lo:[0,0,1] neg_hi:[0,0,1]
	v_pk_fma_f32 v[4:5], v[106:107], v[120:121], v[4:5] op_sel:[0,0,1] op_sel_hi:[1,0,0]
	s_waitcnt vmcnt(3)
	v_mov_b32_e32 v4, v125
	v_mov_b32_e32 v7, v5
	s_waitcnt lgkmcnt(0)
	v_pk_mul_f32 v[4:5], v[108:109], v[4:5] op_sel_hi:[1,0]
	v_pk_add_f32 v[2:3], v[2:3], v[6:7]
	v_pk_fma_f32 v[6:7], v[108:109], v[124:125], v[4:5] op_sel:[0,0,1] op_sel_hi:[1,1,0] neg_lo:[0,0,1] neg_hi:[0,0,1]
	v_pk_fma_f32 v[4:5], v[108:109], v[124:125], v[4:5] op_sel:[0,0,1] op_sel_hi:[1,0,0]
	s_waitcnt vmcnt(0)
	v_mov_b32_e32 v4, v123
	v_mov_b32_e32 v7, v5
	v_pk_mul_f32 v[4:5], v[110:111], v[4:5] op_sel_hi:[1,0]
	v_pk_add_f32 v[2:3], v[2:3], v[6:7]
	v_pk_fma_f32 v[6:7], v[110:111], v[122:123], v[4:5] op_sel:[0,0,1] op_sel_hi:[1,1,0] neg_lo:[0,0,1] neg_hi:[0,0,1]
	v_pk_fma_f32 v[4:5], v[110:111], v[122:123], v[4:5] op_sel:[0,0,1] op_sel_hi:[1,0,0]
	v_mov_b32_e32 v7, v5
	v_pk_add_f32 v[2:3], v[2:3], v[6:7]
	v_pk_add_f32 v[2:3], v[126:127], v[2:3] neg_lo:[0,1] neg_hi:[0,1]
	buffer_store_dword v3, off, s[0:3], 0 offset:196
	buffer_store_dword v2, off, s[0:3], 0 offset:192
	s_and_saveexec_b64 s[4:5], vcc
	s_cbranch_execz .LBB38_201
; %bb.200:
	buffer_load_dword v2, off, s[0:3], 0 offset:184
	buffer_load_dword v3, off, s[0:3], 0 offset:188
	v_mov_b32_e32 v4, 0
	buffer_store_dword v4, off, s[0:3], 0 offset:184
	buffer_store_dword v4, off, s[0:3], 0 offset:188
	s_waitcnt vmcnt(2)
	ds_write_b64 v1, v[2:3]
.LBB38_201:
	s_or_b64 exec, exec, s[4:5]
	s_waitcnt lgkmcnt(0)
	; wave barrier
	s_waitcnt lgkmcnt(0)
	buffer_load_dword v3, off, s[0:3], 0 offset:196
	buffer_load_dword v130, off, s[0:3], 0 offset:204
	;; [unrolled: 1-line block ×32, first 2 shown]
	v_mov_b32_e32 v2, 0
	ds_read_b128 v[4:7], v2 offset:512
	ds_read_b128 v[8:11], v2 offset:528
	;; [unrolled: 1-line block ×7, first 2 shown]
	ds_read_b64 v[128:129], v2 offset:624
	v_cmp_lt_u32_e32 vcc, 22, v0
	s_waitcnt vmcnt(31) lgkmcnt(7)
	v_mul_f32_e32 v145, v4, v3
	v_mul_f32_e32 v3, v5, v3
	s_waitcnt vmcnt(30)
	v_mul_f32_e32 v146, v6, v130
	s_waitcnt vmcnt(28) lgkmcnt(6)
	v_mul_f32_e32 v148, v10, v134
	s_waitcnt vmcnt(27) lgkmcnt(5)
	v_mul_f32_e32 v149, v12, v135
	v_mul_f32_e32 v150, v11, v134
	;; [unrolled: 1-line block ×3, first 2 shown]
	s_waitcnt vmcnt(24)
	v_mov_b32_e32 v134, v17
	v_mul_f32_e32 v147, v8, v132
	v_mul_f32_e32 v130, v7, v130
	s_waitcnt vmcnt(22)
	v_fmac_f32_e32 v145, v5, v138
	v_fma_f32 v3, v4, v138, -v3
	s_waitcnt lgkmcnt(4)
	v_pk_mul_f32 v[4:5], v[98:99], v[134:135] op_sel_hi:[1,0]
	v_mul_f32_e32 v132, v9, v132
	s_waitcnt vmcnt(21)
	v_fmac_f32_e32 v146, v7, v139
	s_waitcnt vmcnt(20)
	v_fmac_f32_e32 v147, v9, v140
	;; [unrolled: 2-line block ×3, first 2 shown]
	v_fma_f32 v9, v6, v139, -v130
	s_waitcnt vmcnt(18)
	v_fma_f32 v11, v12, v142, -v135
	v_add_f32_e32 v12, 0, v145
	v_add_f32_e32 v3, 0, v3
	s_waitcnt vmcnt(12)
	v_pk_fma_f32 v[6:7], v[98:99], v[16:17], v[4:5] op_sel:[0,0,1] op_sel_hi:[1,1,0] neg_lo:[0,0,1] neg_hi:[0,0,1]
	v_pk_fma_f32 v[4:5], v[98:99], v[16:17], v[4:5] op_sel:[0,0,1] op_sel_hi:[1,0,0]
	v_fma_f32 v8, v8, v140, -v132
	v_add_f32_e32 v4, v12, v146
	v_add_f32_e32 v3, v3, v9
	v_fma_f32 v10, v10, v141, -v150
	v_add_f32_e32 v4, v4, v147
	v_add_f32_e32 v3, v3, v8
	v_mul_f32_e32 v131, v14, v136
	v_mul_f32_e32 v151, v15, v136
	v_fmac_f32_e32 v149, v13, v142
	v_add_f32_e32 v4, v4, v148
	v_add_f32_e32 v3, v3, v10
	v_mul_f32_e32 v133, v96, v137
	v_mul_f32_e32 v137, v97, v137
	v_fmac_f32_e32 v131, v15, v143
	v_fma_f32 v130, v14, v143, -v151
	v_mov_b32_e32 v7, v5
	v_add_f32_e32 v5, v4, v149
	v_add_f32_e32 v4, v3, v11
	v_fmac_f32_e32 v133, v97, v144
	v_fma_f32 v132, v96, v144, -v137
	v_pk_add_f32 v[4:5], v[4:5], v[130:131]
	v_mov_b32_e32 v136, v113
	v_pk_add_f32 v[4:5], v[4:5], v[132:133]
	v_pk_add_f32 v[4:5], v[4:5], v[6:7]
	s_waitcnt lgkmcnt(3)
	v_pk_mul_f32 v[6:7], v[100:101], v[136:137] op_sel_hi:[1,0]
	v_pk_fma_f32 v[8:9], v[100:101], v[112:113], v[6:7] op_sel:[0,0,1] op_sel_hi:[1,1,0] neg_lo:[0,0,1] neg_hi:[0,0,1]
	v_pk_fma_f32 v[6:7], v[100:101], v[112:113], v[6:7] op_sel:[0,0,1] op_sel_hi:[1,0,0]
	s_waitcnt vmcnt(11)
	v_mov_b32_e32 v6, v117
	v_mov_b32_e32 v9, v7
	v_pk_mul_f32 v[6:7], v[102:103], v[6:7] op_sel_hi:[1,0]
	v_pk_add_f32 v[4:5], v[4:5], v[8:9]
	v_pk_fma_f32 v[8:9], v[102:103], v[116:117], v[6:7] op_sel:[0,0,1] op_sel_hi:[1,1,0] neg_lo:[0,0,1] neg_hi:[0,0,1]
	v_pk_fma_f32 v[6:7], v[102:103], v[116:117], v[6:7] op_sel:[0,0,1] op_sel_hi:[1,0,0]
	s_waitcnt vmcnt(10)
	v_mov_b32_e32 v6, v115
	v_mov_b32_e32 v9, v7
	s_waitcnt lgkmcnt(2)
	v_pk_mul_f32 v[6:7], v[104:105], v[6:7] op_sel_hi:[1,0]
	v_pk_add_f32 v[4:5], v[4:5], v[8:9]
	v_pk_fma_f32 v[8:9], v[104:105], v[114:115], v[6:7] op_sel:[0,0,1] op_sel_hi:[1,1,0] neg_lo:[0,0,1] neg_hi:[0,0,1]
	v_pk_fma_f32 v[6:7], v[104:105], v[114:115], v[6:7] op_sel:[0,0,1] op_sel_hi:[1,0,0]
	s_waitcnt vmcnt(9)
	v_mov_b32_e32 v6, v119
	v_mov_b32_e32 v9, v7
	v_pk_mul_f32 v[6:7], v[106:107], v[6:7] op_sel_hi:[1,0]
	v_pk_add_f32 v[4:5], v[4:5], v[8:9]
	s_waitcnt vmcnt(4)
	v_pk_fma_f32 v[8:9], v[106:107], v[118:119], v[6:7] op_sel:[0,0,1] op_sel_hi:[1,1,0] neg_lo:[0,0,1] neg_hi:[0,0,1]
	v_pk_fma_f32 v[6:7], v[106:107], v[118:119], v[6:7] op_sel:[0,0,1] op_sel_hi:[1,0,0]
	v_mov_b32_e32 v6, v125
	v_mov_b32_e32 v9, v7
	s_waitcnt lgkmcnt(1)
	v_pk_mul_f32 v[6:7], v[108:109], v[6:7] op_sel_hi:[1,0]
	v_pk_add_f32 v[4:5], v[4:5], v[8:9]
	v_pk_fma_f32 v[8:9], v[108:109], v[124:125], v[6:7] op_sel:[0,0,1] op_sel_hi:[1,1,0] neg_lo:[0,0,1] neg_hi:[0,0,1]
	v_pk_fma_f32 v[6:7], v[108:109], v[124:125], v[6:7] op_sel:[0,0,1] op_sel_hi:[1,0,0]
	s_waitcnt vmcnt(3)
	v_mov_b32_e32 v6, v123
	v_mov_b32_e32 v9, v7
	v_pk_mul_f32 v[6:7], v[110:111], v[6:7] op_sel_hi:[1,0]
	v_pk_add_f32 v[4:5], v[4:5], v[8:9]
	v_pk_fma_f32 v[8:9], v[110:111], v[122:123], v[6:7] op_sel:[0,0,1] op_sel_hi:[1,1,0] neg_lo:[0,0,1] neg_hi:[0,0,1]
	v_pk_fma_f32 v[6:7], v[110:111], v[122:123], v[6:7] op_sel:[0,0,1] op_sel_hi:[1,0,0]
	s_waitcnt vmcnt(0)
	v_mov_b32_e32 v6, v121
	v_mov_b32_e32 v9, v7
	s_waitcnt lgkmcnt(0)
	v_pk_mul_f32 v[6:7], v[128:129], v[6:7] op_sel_hi:[1,0]
	v_pk_add_f32 v[4:5], v[4:5], v[8:9]
	v_pk_fma_f32 v[8:9], v[128:129], v[120:121], v[6:7] op_sel:[0,0,1] op_sel_hi:[1,1,0] neg_lo:[0,0,1] neg_hi:[0,0,1]
	v_pk_fma_f32 v[6:7], v[128:129], v[120:121], v[6:7] op_sel:[0,0,1] op_sel_hi:[1,0,0]
	v_mov_b32_e32 v9, v7
	v_pk_add_f32 v[4:5], v[4:5], v[8:9]
	v_pk_add_f32 v[4:5], v[126:127], v[4:5] neg_lo:[0,1] neg_hi:[0,1]
	buffer_store_dword v5, off, s[0:3], 0 offset:188
	buffer_store_dword v4, off, s[0:3], 0 offset:184
	s_and_saveexec_b64 s[4:5], vcc
	s_cbranch_execz .LBB38_203
; %bb.202:
	buffer_load_dword v4, off, s[0:3], 0 offset:176
	buffer_load_dword v5, off, s[0:3], 0 offset:180
	s_waitcnt vmcnt(0)
	ds_write_b64 v1, v[4:5]
	buffer_store_dword v2, off, s[0:3], 0 offset:176
	buffer_store_dword v2, off, s[0:3], 0 offset:180
.LBB38_203:
	s_or_b64 exec, exec, s[4:5]
	s_waitcnt lgkmcnt(0)
	; wave barrier
	s_waitcnt lgkmcnt(0)
	buffer_load_dword v132, off, s[0:3], 0 offset:188
	buffer_load_dword v134, off, s[0:3], 0 offset:196
	;; [unrolled: 1-line block ×32, first 2 shown]
	ds_read2_b64 v[4:7], v2 offset0:63 offset1:64
	ds_read2_b64 v[8:11], v2 offset0:65 offset1:66
	;; [unrolled: 1-line block ×4, first 2 shown]
	buffer_load_dword v131, off, s[0:3], 0 offset:308
	buffer_load_dword v130, off, s[0:3], 0 offset:304
	ds_read2_b64 v[100:103], v2 offset0:71 offset1:72
	ds_read2_b64 v[104:107], v2 offset0:73 offset1:74
	;; [unrolled: 1-line block ×4, first 2 shown]
	v_cmp_lt_u32_e32 vcc, 21, v0
	s_waitcnt vmcnt(33) lgkmcnt(7)
	v_mul_f32_e32 v149, v4, v132
	v_mul_f32_e32 v2, v5, v132
	s_waitcnt vmcnt(32)
	v_mul_f32_e32 v150, v6, v134
	s_waitcnt vmcnt(31) lgkmcnt(6)
	v_mul_f32_e32 v151, v8, v135
	v_mul_f32_e32 v132, v7, v134
	;; [unrolled: 1-line block ×3, first 2 shown]
	s_waitcnt vmcnt(30)
	v_mul_f32_e32 v135, v11, v136
	v_mul_f32_e32 v152, v10, v136
	s_waitcnt vmcnt(25)
	v_fmac_f32_e32 v149, v5, v141
	v_fma_f32 v4, v4, v141, -v2
	s_waitcnt vmcnt(24)
	v_fmac_f32_e32 v150, v7, v142
	v_fma_f32 v5, v6, v142, -v132
	s_waitcnt vmcnt(22)
	v_fma_f32 v7, v10, v144, -v135
	v_add_f32_e32 v10, 0, v149
	v_add_f32_e32 v4, 0, v4
	v_fmac_f32_e32 v151, v9, v143
	v_fma_f32 v6, v8, v143, -v134
	v_add_f32_e32 v10, v10, v150
	v_add_f32_e32 v4, v4, v5
	s_waitcnt lgkmcnt(5)
	v_mul_f32_e32 v153, v12, v137
	v_mul_f32_e32 v136, v13, v137
	v_fmac_f32_e32 v152, v11, v144
	v_add_f32_e32 v5, v10, v151
	v_add_f32_e32 v4, v4, v6
	v_mul_f32_e32 v154, v14, v138
	v_mul_f32_e32 v137, v15, v138
	s_waitcnt vmcnt(21)
	v_fmac_f32_e32 v153, v13, v145
	v_fma_f32 v8, v12, v145, -v136
	v_add_f32_e32 v5, v5, v152
	v_add_f32_e32 v4, v4, v7
	s_waitcnt lgkmcnt(4)
	v_mul_f32_e32 v3, v96, v139
	v_mul_f32_e32 v138, v97, v139
	s_waitcnt vmcnt(20)
	v_fmac_f32_e32 v154, v15, v146
	v_fma_f32 v9, v14, v146, -v137
	v_add_f32_e32 v5, v5, v153
	v_add_f32_e32 v4, v4, v8
	s_waitcnt vmcnt(19)
	v_fmac_f32_e32 v3, v97, v147
	v_fma_f32 v2, v96, v147, -v138
	v_add_f32_e32 v5, v5, v154
	v_add_f32_e32 v4, v4, v9
	v_pk_add_f32 v[2:3], v[4:5], v[2:3]
	s_waitcnt vmcnt(17)
	v_mov_b32_e32 v4, v17
	s_waitcnt lgkmcnt(3)
	v_pk_mul_f32 v[4:5], v[100:101], v[4:5] op_sel_hi:[1,0]
	v_mul_f32_e32 v133, v98, v140
	v_mul_f32_e32 v139, v99, v140
	s_waitcnt vmcnt(14)
	v_pk_fma_f32 v[6:7], v[100:101], v[16:17], v[4:5] op_sel:[0,0,1] op_sel_hi:[1,1,0] neg_lo:[0,0,1] neg_hi:[0,0,1]
	v_pk_fma_f32 v[4:5], v[100:101], v[16:17], v[4:5] op_sel:[0,0,1] op_sel_hi:[1,0,0]
	v_fmac_f32_e32 v133, v99, v148
	v_fma_f32 v132, v98, v148, -v139
	s_waitcnt vmcnt(13)
	v_mov_b32_e32 v4, v119
	v_pk_add_f32 v[2:3], v[2:3], v[132:133]
	v_mov_b32_e32 v7, v5
	v_pk_mul_f32 v[4:5], v[102:103], v[4:5] op_sel_hi:[1,0]
	v_pk_add_f32 v[2:3], v[2:3], v[6:7]
	v_pk_fma_f32 v[6:7], v[102:103], v[118:119], v[4:5] op_sel:[0,0,1] op_sel_hi:[1,1,0] neg_lo:[0,0,1] neg_hi:[0,0,1]
	v_pk_fma_f32 v[4:5], v[102:103], v[118:119], v[4:5] op_sel:[0,0,1] op_sel_hi:[1,0,0]
	s_waitcnt vmcnt(12)
	v_mov_b32_e32 v4, v117
	v_mov_b32_e32 v7, v5
	s_waitcnt lgkmcnt(2)
	v_pk_mul_f32 v[4:5], v[104:105], v[4:5] op_sel_hi:[1,0]
	v_pk_add_f32 v[2:3], v[2:3], v[6:7]
	v_pk_fma_f32 v[6:7], v[104:105], v[116:117], v[4:5] op_sel:[0,0,1] op_sel_hi:[1,1,0] neg_lo:[0,0,1] neg_hi:[0,0,1]
	v_pk_fma_f32 v[4:5], v[104:105], v[116:117], v[4:5] op_sel:[0,0,1] op_sel_hi:[1,0,0]
	s_waitcnt vmcnt(11)
	v_mov_b32_e32 v4, v121
	v_mov_b32_e32 v7, v5
	v_pk_mul_f32 v[4:5], v[106:107], v[4:5] op_sel_hi:[1,0]
	v_pk_add_f32 v[2:3], v[2:3], v[6:7]
	s_waitcnt vmcnt(5)
	v_pk_fma_f32 v[6:7], v[106:107], v[120:121], v[4:5] op_sel:[0,0,1] op_sel_hi:[1,1,0] neg_lo:[0,0,1] neg_hi:[0,0,1]
	v_pk_fma_f32 v[4:5], v[106:107], v[120:121], v[4:5] op_sel:[0,0,1] op_sel_hi:[1,0,0]
	v_mov_b32_e32 v4, v127
	v_mov_b32_e32 v7, v5
	s_waitcnt lgkmcnt(1)
	v_pk_mul_f32 v[4:5], v[108:109], v[4:5] op_sel_hi:[1,0]
	v_pk_add_f32 v[2:3], v[2:3], v[6:7]
	v_pk_fma_f32 v[6:7], v[108:109], v[126:127], v[4:5] op_sel:[0,0,1] op_sel_hi:[1,1,0] neg_lo:[0,0,1] neg_hi:[0,0,1]
	v_pk_fma_f32 v[4:5], v[108:109], v[126:127], v[4:5] op_sel:[0,0,1] op_sel_hi:[1,0,0]
	v_mov_b32_e32 v4, v125
	v_mov_b32_e32 v7, v5
	v_pk_mul_f32 v[4:5], v[110:111], v[4:5] op_sel_hi:[1,0]
	v_pk_add_f32 v[2:3], v[2:3], v[6:7]
	v_pk_fma_f32 v[6:7], v[110:111], v[124:125], v[4:5] op_sel:[0,0,1] op_sel_hi:[1,1,0] neg_lo:[0,0,1] neg_hi:[0,0,1]
	v_pk_fma_f32 v[4:5], v[110:111], v[124:125], v[4:5] op_sel:[0,0,1] op_sel_hi:[1,0,0]
	s_waitcnt vmcnt(2)
	v_mov_b32_e32 v4, v123
	v_mov_b32_e32 v7, v5
	s_waitcnt lgkmcnt(0)
	v_pk_mul_f32 v[4:5], v[112:113], v[4:5] op_sel_hi:[1,0]
	v_pk_add_f32 v[2:3], v[2:3], v[6:7]
	v_pk_fma_f32 v[6:7], v[112:113], v[122:123], v[4:5] op_sel:[0,0,1] op_sel_hi:[1,1,0] neg_lo:[0,0,1] neg_hi:[0,0,1]
	v_pk_fma_f32 v[4:5], v[112:113], v[122:123], v[4:5] op_sel:[0,0,1] op_sel_hi:[1,0,0]
	s_waitcnt vmcnt(1)
	v_mov_b32_e32 v4, v131
	v_mov_b32_e32 v7, v5
	v_pk_mul_f32 v[4:5], v[114:115], v[4:5] op_sel_hi:[1,0]
	v_pk_add_f32 v[2:3], v[2:3], v[6:7]
	s_waitcnt vmcnt(0)
	v_pk_fma_f32 v[6:7], v[114:115], v[130:131], v[4:5] op_sel:[0,0,1] op_sel_hi:[1,1,0] neg_lo:[0,0,1] neg_hi:[0,0,1]
	v_pk_fma_f32 v[4:5], v[114:115], v[130:131], v[4:5] op_sel:[0,0,1] op_sel_hi:[1,0,0]
	v_mov_b32_e32 v7, v5
	v_pk_add_f32 v[2:3], v[2:3], v[6:7]
	v_pk_add_f32 v[2:3], v[128:129], v[2:3] neg_lo:[0,1] neg_hi:[0,1]
	buffer_store_dword v3, off, s[0:3], 0 offset:180
	buffer_store_dword v2, off, s[0:3], 0 offset:176
	s_and_saveexec_b64 s[4:5], vcc
	s_cbranch_execz .LBB38_205
; %bb.204:
	buffer_load_dword v2, off, s[0:3], 0 offset:168
	buffer_load_dword v3, off, s[0:3], 0 offset:172
	v_mov_b32_e32 v4, 0
	buffer_store_dword v4, off, s[0:3], 0 offset:168
	buffer_store_dword v4, off, s[0:3], 0 offset:172
	s_waitcnt vmcnt(2)
	ds_write_b64 v1, v[2:3]
.LBB38_205:
	s_or_b64 exec, exec, s[4:5]
	s_waitcnt lgkmcnt(0)
	; wave barrier
	s_waitcnt lgkmcnt(0)
	buffer_load_dword v3, off, s[0:3], 0 offset:180
	buffer_load_dword v124, off, s[0:3], 0 offset:188
	;; [unrolled: 1-line block ×36, first 2 shown]
	v_mov_b32_e32 v2, 0
	ds_read_b128 v[4:7], v2 offset:496
	ds_read_b128 v[8:11], v2 offset:512
	;; [unrolled: 1-line block ×6, first 2 shown]
	v_cmp_lt_u32_e32 vcc, 20, v0
	s_waitcnt vmcnt(35) lgkmcnt(5)
	v_mul_f32_e32 v143, v4, v3
	s_waitcnt vmcnt(34)
	v_mul_f32_e32 v144, v6, v124
	s_waitcnt vmcnt(33) lgkmcnt(4)
	v_mul_f32_e32 v145, v8, v126
	v_mul_f32_e32 v3, v5, v3
	;; [unrolled: 1-line block ×4, first 2 shown]
	s_waitcnt vmcnt(32)
	v_mul_f32_e32 v146, v10, v128
	s_waitcnt vmcnt(31) lgkmcnt(3)
	v_mul_f32_e32 v147, v12, v129
	v_mul_f32_e32 v128, v11, v128
	s_waitcnt vmcnt(26)
	v_fmac_f32_e32 v143, v5, v134
	s_waitcnt vmcnt(25)
	v_fmac_f32_e32 v144, v7, v135
	;; [unrolled: 2-line block ×3, first 2 shown]
	v_fma_f32 v3, v4, v134, -v3
	v_add_f32_e32 v9, 0, v143
	v_fma_f32 v4, v6, v135, -v124
	v_add_f32_e32 v3, 0, v3
	v_add_f32_e32 v9, v9, v144
	s_waitcnt vmcnt(23)
	v_fmac_f32_e32 v146, v11, v137
	v_fma_f32 v5, v8, v136, -v126
	v_add_f32_e32 v3, v3, v4
	v_add_f32_e32 v4, v9, v145
	v_mul_f32_e32 v148, v14, v130
	v_mul_f32_e32 v129, v13, v129
	s_waitcnt vmcnt(22)
	v_fmac_f32_e32 v147, v13, v138
	v_fma_f32 v6, v10, v137, -v128
	v_add_f32_e32 v3, v3, v5
	v_add_f32_e32 v4, v4, v146
	s_waitcnt lgkmcnt(2)
	v_mul_f32_e32 v149, v96, v131
	v_mul_f32_e32 v130, v15, v130
	s_waitcnt vmcnt(21)
	v_fmac_f32_e32 v148, v15, v139
	v_fma_f32 v7, v12, v138, -v129
	v_add_f32_e32 v3, v3, v6
	v_add_f32_e32 v4, v4, v147
	v_mul_f32_e32 v131, v97, v131
	s_waitcnt vmcnt(20)
	v_fmac_f32_e32 v149, v97, v140
	v_fma_f32 v8, v14, v139, -v130
	v_add_f32_e32 v3, v3, v7
	v_add_f32_e32 v4, v4, v148
	;; [unrolled: 1-line block ×4, first 2 shown]
	v_fma_f32 v4, v96, v140, -v131
	s_waitcnt vmcnt(17)
	v_mov_b32_e32 v96, v17
	v_mul_f32_e32 v125, v98, v132
	v_add_f32_e32 v12, v3, v4
	v_mul_f32_e32 v3, v99, v132
	s_waitcnt lgkmcnt(1)
	v_pk_mul_f32 v[96:97], v[102:103], v[96:97] op_sel_hi:[1,0]
	v_fmac_f32_e32 v125, v99, v141
	v_fma_f32 v124, v98, v141, -v3
	s_waitcnt vmcnt(15)
	v_pk_fma_f32 v[98:99], v[102:103], v[16:17], v[96:97] op_sel:[0,0,1] op_sel_hi:[1,1,0] neg_lo:[0,0,1] neg_hi:[0,0,1]
	v_pk_fma_f32 v[16:17], v[102:103], v[16:17], v[96:97] op_sel:[0,0,1] op_sel_hi:[1,0,0]
	s_waitcnt vmcnt(12)
	v_mov_b32_e32 v16, v109
	v_mul_f32_e32 v127, v100, v133
	v_mul_f32_e32 v3, v101, v133
	v_mov_b32_e32 v99, v17
	s_waitcnt lgkmcnt(0)
	v_pk_mul_f32 v[16:17], v[104:105], v[16:17] op_sel_hi:[1,0]
	v_fmac_f32_e32 v127, v101, v142
	v_fma_f32 v126, v100, v142, -v3
	v_pk_add_f32 v[12:13], v[12:13], v[124:125]
	v_pk_fma_f32 v[96:97], v[104:105], v[108:109], v[16:17] op_sel:[0,0,1] op_sel_hi:[1,1,0] neg_lo:[0,0,1] neg_hi:[0,0,1]
	v_pk_fma_f32 v[16:17], v[104:105], v[108:109], v[16:17] op_sel:[0,0,1] op_sel_hi:[1,0,0]
	v_pk_add_f32 v[12:13], v[12:13], v[126:127]
	s_waitcnt vmcnt(11)
	v_mov_b32_e32 v16, v113
	ds_read_b128 v[4:7], v2 offset:592
	ds_read_b128 v[8:11], v2 offset:608
	ds_read_b64 v[14:15], v2 offset:624
	v_pk_add_f32 v[12:13], v[12:13], v[98:99]
	v_mov_b32_e32 v97, v17
	v_pk_mul_f32 v[16:17], v[106:107], v[16:17] op_sel_hi:[1,0]
	v_pk_add_f32 v[12:13], v[12:13], v[96:97]
	s_waitcnt vmcnt(4)
	v_pk_fma_f32 v[96:97], v[106:107], v[112:113], v[16:17] op_sel:[0,0,1] op_sel_hi:[1,1,0] neg_lo:[0,0,1] neg_hi:[0,0,1]
	v_pk_fma_f32 v[16:17], v[106:107], v[112:113], v[16:17] op_sel:[0,0,1] op_sel_hi:[1,0,0]
	v_mov_b32_e32 v16, v119
	v_mov_b32_e32 v97, v17
	s_waitcnt lgkmcnt(2)
	v_pk_mul_f32 v[16:17], v[4:5], v[16:17] op_sel_hi:[1,0]
	v_pk_add_f32 v[12:13], v[12:13], v[96:97]
	v_pk_fma_f32 v[96:97], v[4:5], v[118:119], v[16:17] op_sel:[0,0,1] op_sel_hi:[1,1,0] neg_lo:[0,0,1] neg_hi:[0,0,1]
	v_pk_fma_f32 v[4:5], v[4:5], v[118:119], v[16:17] op_sel:[0,0,1] op_sel_hi:[1,0,0]
	v_mov_b32_e32 v97, v5
	v_pk_add_f32 v[4:5], v[12:13], v[96:97]
	v_mov_b32_e32 v12, v117
	v_pk_mul_f32 v[12:13], v[6:7], v[12:13] op_sel_hi:[1,0]
	v_pk_fma_f32 v[16:17], v[6:7], v[116:117], v[12:13] op_sel:[0,0,1] op_sel_hi:[1,1,0] neg_lo:[0,0,1] neg_hi:[0,0,1]
	v_pk_fma_f32 v[6:7], v[6:7], v[116:117], v[12:13] op_sel:[0,0,1] op_sel_hi:[1,0,0]
	v_mov_b32_e32 v6, v115
	v_mov_b32_e32 v17, v7
	s_waitcnt lgkmcnt(1)
	v_pk_mul_f32 v[6:7], v[8:9], v[6:7] op_sel_hi:[1,0]
	v_pk_fma_f32 v[12:13], v[8:9], v[114:115], v[6:7] op_sel:[0,0,1] op_sel_hi:[1,1,0] neg_lo:[0,0,1] neg_hi:[0,0,1]
	v_pk_fma_f32 v[6:7], v[8:9], v[114:115], v[6:7] op_sel:[0,0,1] op_sel_hi:[1,0,0]
	s_waitcnt vmcnt(1)
	v_mov_b32_e32 v6, v123
	v_mov_b32_e32 v13, v7
	v_pk_mul_f32 v[6:7], v[10:11], v[6:7] op_sel_hi:[1,0]
	s_waitcnt vmcnt(0)
	v_pk_fma_f32 v[8:9], v[10:11], v[122:123], v[6:7] op_sel:[0,0,1] op_sel_hi:[1,1,0] neg_lo:[0,0,1] neg_hi:[0,0,1]
	v_pk_fma_f32 v[6:7], v[10:11], v[122:123], v[6:7] op_sel:[0,0,1] op_sel_hi:[1,0,0]
	v_pk_add_f32 v[4:5], v[4:5], v[16:17]
	v_mov_b32_e32 v6, v121
	v_pk_add_f32 v[4:5], v[4:5], v[12:13]
	v_mov_b32_e32 v9, v7
	s_waitcnt lgkmcnt(0)
	v_pk_mul_f32 v[6:7], v[14:15], v[6:7] op_sel_hi:[1,0]
	v_pk_add_f32 v[4:5], v[4:5], v[8:9]
	v_pk_fma_f32 v[8:9], v[14:15], v[120:121], v[6:7] op_sel:[0,0,1] op_sel_hi:[1,1,0] neg_lo:[0,0,1] neg_hi:[0,0,1]
	v_pk_fma_f32 v[6:7], v[14:15], v[120:121], v[6:7] op_sel:[0,0,1] op_sel_hi:[1,0,0]
	v_mov_b32_e32 v9, v7
	v_pk_add_f32 v[4:5], v[4:5], v[8:9]
	v_pk_add_f32 v[4:5], v[110:111], v[4:5] neg_lo:[0,1] neg_hi:[0,1]
	buffer_store_dword v5, off, s[0:3], 0 offset:172
	buffer_store_dword v4, off, s[0:3], 0 offset:168
	s_and_saveexec_b64 s[4:5], vcc
	s_cbranch_execz .LBB38_207
; %bb.206:
	buffer_load_dword v4, off, s[0:3], 0 offset:160
	buffer_load_dword v5, off, s[0:3], 0 offset:164
	s_waitcnt vmcnt(0)
	ds_write_b64 v1, v[4:5]
	buffer_store_dword v2, off, s[0:3], 0 offset:160
	buffer_store_dword v2, off, s[0:3], 0 offset:164
.LBB38_207:
	s_or_b64 exec, exec, s[4:5]
	s_waitcnt lgkmcnt(0)
	; wave barrier
	s_waitcnt lgkmcnt(0)
	buffer_load_dword v3, off, s[0:3], 0 offset:172
	buffer_load_dword v124, off, s[0:3], 0 offset:180
	;; [unrolled: 1-line block ×22, first 2 shown]
	ds_read2_b64 v[4:7], v2 offset0:61 offset1:62
	ds_read2_b64 v[8:11], v2 offset0:63 offset1:64
	buffer_load_dword v109, off, s[0:3], 0 offset:252
	buffer_load_dword v108, off, s[0:3], 0 offset:248
	;; [unrolled: 1-line block ×10, first 2 shown]
	ds_read2_b64 v[12:15], v2 offset0:65 offset1:66
	ds_read2_b64 v[96:99], v2 offset0:67 offset1:68
	;; [unrolled: 1-line block ×4, first 2 shown]
	buffer_load_dword v119, off, s[0:3], 0 offset:308
	buffer_load_dword v118, off, s[0:3], 0 offset:304
	;; [unrolled: 1-line block ×6, first 2 shown]
	v_cmp_lt_u32_e32 vcc, 19, v0
	s_waitcnt vmcnt(37) lgkmcnt(5)
	v_mul_f32_e32 v145, v4, v3
	s_waitcnt vmcnt(36)
	v_mul_f32_e32 v146, v6, v124
	s_waitcnt vmcnt(35) lgkmcnt(4)
	v_mul_f32_e32 v147, v8, v126
	v_mul_f32_e32 v3, v5, v3
	;; [unrolled: 1-line block ×4, first 2 shown]
	s_waitcnt vmcnt(34)
	v_mul_f32_e32 v148, v10, v128
	s_waitcnt vmcnt(33) lgkmcnt(3)
	v_mul_f32_e32 v149, v12, v129
	s_waitcnt vmcnt(32)
	v_mul_f32_e32 v150, v14, v130
	s_waitcnt vmcnt(31) lgkmcnt(2)
	v_mul_f32_e32 v151, v96, v131
	s_waitcnt vmcnt(27)
	v_fmac_f32_e32 v145, v5, v135
	s_waitcnt vmcnt(26)
	v_fmac_f32_e32 v146, v7, v136
	v_fma_f32 v3, v4, v135, -v3
	s_waitcnt vmcnt(25)
	v_fma_f32 v5, v8, v137, -v126
	v_add_f32_e32 v8, 0, v145
	v_fmac_f32_e32 v147, v9, v137
	v_fma_f32 v4, v6, v136, -v124
	v_add_f32_e32 v3, 0, v3
	v_add_f32_e32 v8, v8, v146
	s_waitcnt vmcnt(24)
	v_fmac_f32_e32 v148, v11, v138
	v_add_f32_e32 v3, v3, v4
	v_add_f32_e32 v4, v8, v147
	s_waitcnt vmcnt(23)
	v_fmac_f32_e32 v149, v13, v139
	v_add_f32_e32 v4, v4, v148
	v_mul_f32_e32 v128, v11, v128
	s_waitcnt vmcnt(22)
	v_fmac_f32_e32 v150, v15, v140
	v_add_f32_e32 v4, v4, v149
	v_mul_f32_e32 v152, v98, v132
	v_mul_f32_e32 v129, v13, v129
	s_waitcnt vmcnt(21)
	v_fmac_f32_e32 v151, v97, v141
	v_fma_f32 v6, v10, v138, -v128
	v_add_f32_e32 v3, v3, v5
	v_add_f32_e32 v4, v4, v150
	v_mul_f32_e32 v130, v15, v130
	s_waitcnt vmcnt(20)
	v_fmac_f32_e32 v152, v99, v142
	v_fma_f32 v7, v12, v139, -v129
	v_add_f32_e32 v3, v3, v6
	v_add_f32_e32 v4, v4, v151
	;; [unrolled: 1-line block ×4, first 2 shown]
	v_fma_f32 v4, v14, v140, -v130
	v_add_f32_e32 v3, v3, v4
	v_mul_f32_e32 v4, v97, v131
	v_fma_f32 v4, v96, v141, -v4
	v_add_f32_e32 v3, v3, v4
	v_mul_f32_e32 v4, v99, v132
	v_fma_f32 v4, v98, v142, -v4
	s_waitcnt vmcnt(15)
	v_mov_b32_e32 v96, v109
	s_waitcnt lgkmcnt(1)
	v_mul_f32_e32 v125, v100, v133
	v_add_f32_e32 v128, v3, v4
	v_mul_f32_e32 v3, v101, v133
	s_waitcnt lgkmcnt(0)
	v_pk_mul_f32 v[96:97], v[104:105], v[96:97] op_sel_hi:[1,0]
	v_mul_f32_e32 v127, v102, v134
	v_fmac_f32_e32 v125, v101, v143
	v_fma_f32 v124, v100, v143, -v3
	v_mul_f32_e32 v3, v103, v134
	s_waitcnt vmcnt(14)
	v_pk_fma_f32 v[98:99], v[104:105], v[108:109], v[96:97] op_sel:[0,0,1] op_sel_hi:[1,1,0] neg_lo:[0,0,1] neg_hi:[0,0,1]
	v_pk_fma_f32 v[96:97], v[104:105], v[108:109], v[96:97] op_sel:[0,0,1] op_sel_hi:[1,0,0]
	v_fmac_f32_e32 v127, v103, v144
	v_fma_f32 v126, v102, v144, -v3
	ds_read2_b64 v[4:7], v2 offset0:73 offset1:74
	ds_read2_b64 v[8:11], v2 offset0:75 offset1:76
	;; [unrolled: 1-line block ×3, first 2 shown]
	v_pk_add_f32 v[2:3], v[128:129], v[124:125]
	s_waitcnt vmcnt(13)
	v_mov_b32_e32 v96, v111
	v_pk_add_f32 v[2:3], v[2:3], v[126:127]
	v_mov_b32_e32 v99, v97
	v_pk_mul_f32 v[96:97], v[106:107], v[96:97] op_sel_hi:[1,0]
	v_pk_add_f32 v[2:3], v[2:3], v[98:99]
	s_waitcnt vmcnt(6)
	v_pk_fma_f32 v[98:99], v[106:107], v[110:111], v[96:97] op_sel:[0,0,1] op_sel_hi:[1,1,0] neg_lo:[0,0,1] neg_hi:[0,0,1]
	v_pk_fma_f32 v[96:97], v[106:107], v[110:111], v[96:97] op_sel:[0,0,1] op_sel_hi:[1,0,0]
	v_mov_b32_e32 v96, v117
	v_mov_b32_e32 v99, v97
	s_waitcnt lgkmcnt(2)
	v_pk_mul_f32 v[96:97], v[4:5], v[96:97] op_sel_hi:[1,0]
	v_pk_add_f32 v[2:3], v[2:3], v[98:99]
	v_pk_fma_f32 v[98:99], v[4:5], v[116:117], v[96:97] op_sel:[0,0,1] op_sel_hi:[1,1,0] neg_lo:[0,0,1] neg_hi:[0,0,1]
	v_pk_fma_f32 v[4:5], v[4:5], v[116:117], v[96:97] op_sel:[0,0,1] op_sel_hi:[1,0,0]
	v_mov_b32_e32 v4, v115
	v_mov_b32_e32 v99, v5
	v_pk_mul_f32 v[4:5], v[6:7], v[4:5] op_sel_hi:[1,0]
	v_pk_fma_f32 v[96:97], v[6:7], v[114:115], v[4:5] op_sel:[0,0,1] op_sel_hi:[1,1,0] neg_lo:[0,0,1] neg_hi:[0,0,1]
	v_pk_fma_f32 v[4:5], v[6:7], v[114:115], v[4:5] op_sel:[0,0,1] op_sel_hi:[1,0,0]
	v_mov_b32_e32 v4, v113
	v_mov_b32_e32 v97, v5
	s_waitcnt lgkmcnt(1)
	v_pk_mul_f32 v[4:5], v[8:9], v[4:5] op_sel_hi:[1,0]
	v_pk_fma_f32 v[6:7], v[8:9], v[112:113], v[4:5] op_sel:[0,0,1] op_sel_hi:[1,1,0] neg_lo:[0,0,1] neg_hi:[0,0,1]
	v_pk_fma_f32 v[4:5], v[8:9], v[112:113], v[4:5] op_sel:[0,0,1] op_sel_hi:[1,0,0]
	v_pk_add_f32 v[2:3], v[2:3], v[98:99]
	s_waitcnt vmcnt(1)
	v_mov_b32_e32 v4, v123
	v_pk_add_f32 v[2:3], v[2:3], v[96:97]
	v_mov_b32_e32 v7, v5
	v_pk_mul_f32 v[4:5], v[10:11], v[4:5] op_sel_hi:[1,0]
	v_pk_add_f32 v[2:3], v[2:3], v[6:7]
	s_waitcnt vmcnt(0)
	v_pk_fma_f32 v[6:7], v[10:11], v[122:123], v[4:5] op_sel:[0,0,1] op_sel_hi:[1,1,0] neg_lo:[0,0,1] neg_hi:[0,0,1]
	v_pk_fma_f32 v[4:5], v[10:11], v[122:123], v[4:5] op_sel:[0,0,1] op_sel_hi:[1,0,0]
	v_mov_b32_e32 v4, v121
	v_mov_b32_e32 v7, v5
	s_waitcnt lgkmcnt(0)
	v_pk_mul_f32 v[4:5], v[12:13], v[4:5] op_sel_hi:[1,0]
	v_pk_add_f32 v[2:3], v[2:3], v[6:7]
	v_pk_fma_f32 v[6:7], v[12:13], v[120:121], v[4:5] op_sel:[0,0,1] op_sel_hi:[1,1,0] neg_lo:[0,0,1] neg_hi:[0,0,1]
	v_pk_fma_f32 v[4:5], v[12:13], v[120:121], v[4:5] op_sel:[0,0,1] op_sel_hi:[1,0,0]
	v_mov_b32_e32 v4, v119
	v_mov_b32_e32 v7, v5
	v_pk_mul_f32 v[4:5], v[14:15], v[4:5] op_sel_hi:[1,0]
	v_pk_add_f32 v[2:3], v[2:3], v[6:7]
	v_pk_fma_f32 v[6:7], v[14:15], v[118:119], v[4:5] op_sel:[0,0,1] op_sel_hi:[1,1,0] neg_lo:[0,0,1] neg_hi:[0,0,1]
	v_pk_fma_f32 v[4:5], v[14:15], v[118:119], v[4:5] op_sel:[0,0,1] op_sel_hi:[1,0,0]
	v_mov_b32_e32 v7, v5
	v_pk_add_f32 v[2:3], v[2:3], v[6:7]
	v_pk_add_f32 v[2:3], v[16:17], v[2:3] neg_lo:[0,1] neg_hi:[0,1]
	buffer_store_dword v3, off, s[0:3], 0 offset:164
	buffer_store_dword v2, off, s[0:3], 0 offset:160
	s_and_saveexec_b64 s[4:5], vcc
	s_cbranch_execz .LBB38_209
; %bb.208:
	buffer_load_dword v2, off, s[0:3], 0 offset:152
	buffer_load_dword v3, off, s[0:3], 0 offset:156
	v_mov_b32_e32 v4, 0
	buffer_store_dword v4, off, s[0:3], 0 offset:152
	buffer_store_dword v4, off, s[0:3], 0 offset:156
	s_waitcnt vmcnt(2)
	ds_write_b64 v1, v[2:3]
.LBB38_209:
	s_or_b64 exec, exec, s[4:5]
	s_waitcnt lgkmcnt(0)
	; wave barrier
	s_waitcnt lgkmcnt(0)
	buffer_load_dword v3, off, s[0:3], 0 offset:164
	buffer_load_dword v124, off, s[0:3], 0 offset:172
	buffer_load_dword v126, off, s[0:3], 0 offset:180
	buffer_load_dword v128, off, s[0:3], 0 offset:188
	buffer_load_dword v130, off, s[0:3], 0 offset:196
	buffer_load_dword v131, off, s[0:3], 0 offset:204
	buffer_load_dword v132, off, s[0:3], 0 offset:212
	buffer_load_dword v133, off, s[0:3], 0 offset:220
	buffer_load_dword v134, off, s[0:3], 0 offset:228
	buffer_load_dword v135, off, s[0:3], 0 offset:236
	buffer_load_dword v136, off, s[0:3], 0 offset:244
	buffer_load_dword v129, off, s[0:3], 0 offset:160
	buffer_load_dword v137, off, s[0:3], 0 offset:168
	buffer_load_dword v138, off, s[0:3], 0 offset:176
	buffer_load_dword v139, off, s[0:3], 0 offset:184
	buffer_load_dword v140, off, s[0:3], 0 offset:192
	buffer_load_dword v141, off, s[0:3], 0 offset:200
	buffer_load_dword v142, off, s[0:3], 0 offset:208
	buffer_load_dword v143, off, s[0:3], 0 offset:216
	buffer_load_dword v144, off, s[0:3], 0 offset:224
	buffer_load_dword v145, off, s[0:3], 0 offset:232
	buffer_load_dword v146, off, s[0:3], 0 offset:240
	buffer_load_dword v16, off, s[0:3], 0 offset:152
	buffer_load_dword v17, off, s[0:3], 0 offset:156
	buffer_load_dword v109, off, s[0:3], 0 offset:276
	buffer_load_dword v108, off, s[0:3], 0 offset:272
	buffer_load_dword v111, off, s[0:3], 0 offset:268
	buffer_load_dword v110, off, s[0:3], 0 offset:264
	buffer_load_dword v113, off, s[0:3], 0 offset:260
	buffer_load_dword v112, off, s[0:3], 0 offset:256
	buffer_load_dword v115, off, s[0:3], 0 offset:252
	buffer_load_dword v114, off, s[0:3], 0 offset:248
	buffer_load_dword v117, off, s[0:3], 0 offset:308
	buffer_load_dword v116, off, s[0:3], 0 offset:304
	buffer_load_dword v119, off, s[0:3], 0 offset:300
	buffer_load_dword v118, off, s[0:3], 0 offset:296
	buffer_load_dword v121, off, s[0:3], 0 offset:292
	buffer_load_dword v120, off, s[0:3], 0 offset:288
	buffer_load_dword v123, off, s[0:3], 0 offset:284
	buffer_load_dword v122, off, s[0:3], 0 offset:280
	v_mov_b32_e32 v2, 0
	ds_read_b128 v[4:7], v2 offset:480
	ds_read_b128 v[8:11], v2 offset:496
	;; [unrolled: 1-line block ×6, first 2 shown]
	v_cmp_lt_u32_e32 vcc, 18, v0
	s_waitcnt vmcnt(39) lgkmcnt(5)
	v_mul_f32_e32 v147, v4, v3
	s_waitcnt vmcnt(38)
	v_mul_f32_e32 v148, v6, v124
	v_mul_f32_e32 v3, v5, v3
	s_waitcnt vmcnt(37) lgkmcnt(4)
	v_mul_f32_e32 v149, v8, v126
	v_mul_f32_e32 v124, v7, v124
	s_waitcnt vmcnt(36)
	v_mul_f32_e32 v150, v10, v128
	s_waitcnt vmcnt(35) lgkmcnt(3)
	v_mul_f32_e32 v151, v12, v130
	s_waitcnt vmcnt(34)
	v_mul_f32_e32 v152, v14, v131
	s_waitcnt vmcnt(33) lgkmcnt(2)
	;; [unrolled: 4-line block ×3, first 2 shown]
	v_mul_f32_e32 v155, v100, v134
	s_waitcnt vmcnt(28)
	v_fmac_f32_e32 v147, v5, v129
	s_waitcnt vmcnt(27)
	v_fmac_f32_e32 v148, v7, v137
	v_fma_f32 v3, v4, v129, -v3
	v_add_f32_e32 v7, 0, v147
	s_waitcnt vmcnt(26)
	v_fmac_f32_e32 v149, v9, v138
	v_fma_f32 v4, v6, v137, -v124
	v_add_f32_e32 v3, 0, v3
	v_add_f32_e32 v7, v7, v148
	s_waitcnt vmcnt(25)
	v_fmac_f32_e32 v150, v11, v139
	v_add_f32_e32 v3, v3, v4
	v_add_f32_e32 v4, v7, v149
	s_waitcnt vmcnt(24)
	v_fmac_f32_e32 v151, v13, v140
	v_add_f32_e32 v4, v4, v150
	s_waitcnt vmcnt(23)
	v_fmac_f32_e32 v152, v15, v141
	;; [unrolled: 3-line block ×3, first 2 shown]
	v_add_f32_e32 v4, v4, v152
	v_mul_f32_e32 v126, v9, v126
	s_waitcnt vmcnt(21)
	v_fmac_f32_e32 v154, v99, v143
	v_add_f32_e32 v4, v4, v153
	v_mul_f32_e32 v128, v11, v128
	s_waitcnt vmcnt(20)
	v_fmac_f32_e32 v155, v101, v144
	v_fma_f32 v5, v8, v138, -v126
	v_add_f32_e32 v4, v4, v154
	v_fma_f32 v6, v10, v139, -v128
	v_add_f32_e32 v3, v3, v5
	v_add_f32_e32 v129, v4, v155
	v_mul_f32_e32 v4, v13, v130
	v_add_f32_e32 v3, v3, v6
	v_fma_f32 v4, v12, v140, -v4
	v_add_f32_e32 v3, v3, v4
	v_mul_f32_e32 v4, v15, v131
	v_fma_f32 v4, v14, v141, -v4
	v_add_f32_e32 v3, v3, v4
	v_mul_f32_e32 v4, v97, v132
	;; [unrolled: 3-line block ×4, first 2 shown]
	v_fma_f32 v4, v100, v144, -v4
	s_waitcnt vmcnt(9)
	v_mov_b32_e32 v100, v115
	v_mul_f32_e32 v125, v102, v135
	v_add_f32_e32 v128, v3, v4
	v_mul_f32_e32 v3, v103, v135
	s_waitcnt lgkmcnt(0)
	v_pk_mul_f32 v[100:101], v[106:107], v[100:101] op_sel_hi:[1,0]
	v_mul_f32_e32 v127, v104, v136
	v_fmac_f32_e32 v125, v103, v145
	v_fma_f32 v124, v102, v145, -v3
	v_mul_f32_e32 v3, v105, v136
	ds_read_b128 v[4:7], v2 offset:576
	ds_read_b128 v[8:11], v2 offset:592
	;; [unrolled: 1-line block ×3, first 2 shown]
	ds_read_b64 v[96:97], v2 offset:624
	s_waitcnt vmcnt(8)
	v_pk_fma_f32 v[102:103], v[106:107], v[114:115], v[100:101] op_sel:[0,0,1] op_sel_hi:[1,1,0] neg_lo:[0,0,1] neg_hi:[0,0,1]
	v_pk_fma_f32 v[100:101], v[106:107], v[114:115], v[100:101] op_sel:[0,0,1] op_sel_hi:[1,0,0]
	v_fmac_f32_e32 v127, v105, v146
	v_fma_f32 v126, v104, v146, -v3
	v_pk_add_f32 v[98:99], v[128:129], v[124:125]
	v_mov_b32_e32 v100, v113
	v_pk_add_f32 v[98:99], v[98:99], v[126:127]
	v_mov_b32_e32 v103, v101
	s_waitcnt lgkmcnt(3)
	v_pk_mul_f32 v[100:101], v[4:5], v[100:101] op_sel_hi:[1,0]
	v_pk_add_f32 v[98:99], v[98:99], v[102:103]
	v_pk_fma_f32 v[102:103], v[4:5], v[112:113], v[100:101] op_sel:[0,0,1] op_sel_hi:[1,1,0] neg_lo:[0,0,1] neg_hi:[0,0,1]
	v_pk_fma_f32 v[4:5], v[4:5], v[112:113], v[100:101] op_sel:[0,0,1] op_sel_hi:[1,0,0]
	v_mov_b32_e32 v103, v5
	v_pk_add_f32 v[4:5], v[98:99], v[102:103]
	v_mov_b32_e32 v98, v111
	v_pk_mul_f32 v[98:99], v[6:7], v[98:99] op_sel_hi:[1,0]
	v_pk_fma_f32 v[100:101], v[6:7], v[110:111], v[98:99] op_sel:[0,0,1] op_sel_hi:[1,1,0] neg_lo:[0,0,1] neg_hi:[0,0,1]
	v_pk_fma_f32 v[6:7], v[6:7], v[110:111], v[98:99] op_sel:[0,0,1] op_sel_hi:[1,0,0]
	v_mov_b32_e32 v6, v109
	v_mov_b32_e32 v101, v7
	s_waitcnt lgkmcnt(2)
	v_pk_mul_f32 v[6:7], v[8:9], v[6:7] op_sel_hi:[1,0]
	v_pk_fma_f32 v[98:99], v[8:9], v[108:109], v[6:7] op_sel:[0,0,1] op_sel_hi:[1,1,0] neg_lo:[0,0,1] neg_hi:[0,0,1]
	v_pk_fma_f32 v[6:7], v[8:9], v[108:109], v[6:7] op_sel:[0,0,1] op_sel_hi:[1,0,0]
	s_waitcnt vmcnt(1)
	v_mov_b32_e32 v6, v123
	v_mov_b32_e32 v99, v7
	v_pk_mul_f32 v[6:7], v[10:11], v[6:7] op_sel_hi:[1,0]
	s_waitcnt vmcnt(0)
	v_pk_fma_f32 v[8:9], v[10:11], v[122:123], v[6:7] op_sel:[0,0,1] op_sel_hi:[1,1,0] neg_lo:[0,0,1] neg_hi:[0,0,1]
	v_pk_fma_f32 v[6:7], v[10:11], v[122:123], v[6:7] op_sel:[0,0,1] op_sel_hi:[1,0,0]
	v_pk_add_f32 v[4:5], v[4:5], v[100:101]
	v_mov_b32_e32 v6, v121
	v_pk_add_f32 v[4:5], v[4:5], v[98:99]
	v_mov_b32_e32 v9, v7
	s_waitcnt lgkmcnt(1)
	v_pk_mul_f32 v[6:7], v[12:13], v[6:7] op_sel_hi:[1,0]
	v_pk_add_f32 v[4:5], v[4:5], v[8:9]
	v_pk_fma_f32 v[8:9], v[12:13], v[120:121], v[6:7] op_sel:[0,0,1] op_sel_hi:[1,1,0] neg_lo:[0,0,1] neg_hi:[0,0,1]
	v_pk_fma_f32 v[6:7], v[12:13], v[120:121], v[6:7] op_sel:[0,0,1] op_sel_hi:[1,0,0]
	v_mov_b32_e32 v6, v119
	v_mov_b32_e32 v9, v7
	v_pk_mul_f32 v[6:7], v[14:15], v[6:7] op_sel_hi:[1,0]
	v_pk_add_f32 v[4:5], v[4:5], v[8:9]
	v_pk_fma_f32 v[8:9], v[14:15], v[118:119], v[6:7] op_sel:[0,0,1] op_sel_hi:[1,1,0] neg_lo:[0,0,1] neg_hi:[0,0,1]
	v_pk_fma_f32 v[6:7], v[14:15], v[118:119], v[6:7] op_sel:[0,0,1] op_sel_hi:[1,0,0]
	v_mov_b32_e32 v6, v117
	v_mov_b32_e32 v9, v7
	s_waitcnt lgkmcnt(0)
	v_pk_mul_f32 v[6:7], v[96:97], v[6:7] op_sel_hi:[1,0]
	v_pk_add_f32 v[4:5], v[4:5], v[8:9]
	v_pk_fma_f32 v[8:9], v[96:97], v[116:117], v[6:7] op_sel:[0,0,1] op_sel_hi:[1,1,0] neg_lo:[0,0,1] neg_hi:[0,0,1]
	v_pk_fma_f32 v[6:7], v[96:97], v[116:117], v[6:7] op_sel:[0,0,1] op_sel_hi:[1,0,0]
	v_mov_b32_e32 v9, v7
	v_pk_add_f32 v[4:5], v[4:5], v[8:9]
	v_pk_add_f32 v[4:5], v[16:17], v[4:5] neg_lo:[0,1] neg_hi:[0,1]
	buffer_store_dword v5, off, s[0:3], 0 offset:156
	buffer_store_dword v4, off, s[0:3], 0 offset:152
	s_and_saveexec_b64 s[4:5], vcc
	s_cbranch_execz .LBB38_211
; %bb.210:
	buffer_load_dword v4, off, s[0:3], 0 offset:144
	buffer_load_dword v5, off, s[0:3], 0 offset:148
	s_waitcnt vmcnt(0)
	ds_write_b64 v1, v[4:5]
	buffer_store_dword v2, off, s[0:3], 0 offset:144
	buffer_store_dword v2, off, s[0:3], 0 offset:148
.LBB38_211:
	s_or_b64 exec, exec, s[4:5]
	s_waitcnt lgkmcnt(0)
	; wave barrier
	s_waitcnt lgkmcnt(0)
	buffer_load_dword v3, off, s[0:3], 0 offset:156
	buffer_load_dword v124, off, s[0:3], 0 offset:164
	;; [unrolled: 1-line block ×26, first 2 shown]
	ds_read2_b64 v[4:7], v2 offset0:59 offset1:60
	ds_read2_b64 v[8:11], v2 offset0:61 offset1:62
	;; [unrolled: 1-line block ×6, first 2 shown]
	buffer_load_dword v109, off, s[0:3], 0 offset:268
	buffer_load_dword v108, off, s[0:3], 0 offset:264
	;; [unrolled: 1-line block ×16, first 2 shown]
	v_cmp_lt_u32_e32 vcc, 17, v0
	s_waitcnt vmcnt(41) lgkmcnt(5)
	v_mul_f32_e32 v149, v4, v3
	s_waitcnt vmcnt(40)
	v_mul_f32_e32 v150, v6, v124
	v_mul_f32_e32 v3, v5, v3
	;; [unrolled: 1-line block ×3, first 2 shown]
	s_waitcnt vmcnt(39) lgkmcnt(4)
	v_mul_f32_e32 v151, v8, v126
	s_waitcnt vmcnt(38)
	v_mul_f32_e32 v152, v10, v128
	s_waitcnt vmcnt(37) lgkmcnt(3)
	v_mul_f32_e32 v153, v12, v130
	s_waitcnt vmcnt(36)
	v_mul_f32_e32 v154, v14, v131
	;; [unrolled: 4-line block ×4, first 2 shown]
	s_waitcnt vmcnt(29)
	v_fmac_f32_e32 v149, v5, v129
	s_waitcnt vmcnt(28)
	v_fmac_f32_e32 v150, v7, v138
	v_fma_f32 v3, v4, v129, -v3
	v_fma_f32 v4, v6, v138, -v124
	v_add_f32_e32 v6, 0, v149
	s_waitcnt vmcnt(27)
	v_fmac_f32_e32 v151, v9, v139
	v_add_f32_e32 v3, 0, v3
	v_add_f32_e32 v6, v6, v150
	s_waitcnt vmcnt(26)
	v_fmac_f32_e32 v152, v11, v140
	v_add_f32_e32 v3, v3, v4
	;; [unrolled: 4-line block ×3, first 2 shown]
	s_waitcnt vmcnt(24)
	v_fmac_f32_e32 v154, v15, v142
	v_add_f32_e32 v4, v4, v153
	s_waitcnt vmcnt(23)
	v_fmac_f32_e32 v155, v97, v143
	v_add_f32_e32 v4, v4, v154
	;; [unrolled: 3-line block ×4, first 2 shown]
	v_mul_f32_e32 v126, v9, v126
	s_waitcnt vmcnt(20)
	v_fmac_f32_e32 v158, v103, v146
	v_add_f32_e32 v4, v4, v157
	v_fma_f32 v5, v8, v139, -v126
	v_add_f32_e32 v129, v4, v158
	v_mul_f32_e32 v4, v11, v128
	v_add_f32_e32 v3, v3, v5
	v_fma_f32 v4, v10, v140, -v4
	v_add_f32_e32 v3, v3, v4
	v_mul_f32_e32 v4, v13, v130
	v_fma_f32 v4, v12, v141, -v4
	v_add_f32_e32 v3, v3, v4
	v_mul_f32_e32 v4, v15, v131
	;; [unrolled: 3-line block ×6, first 2 shown]
	v_fma_f32 v4, v102, v146, -v4
	v_add_f32_e32 v128, v3, v4
	ds_read2_b64 v[4:7], v2 offset0:71 offset1:72
	ds_read2_b64 v[8:11], v2 offset0:73 offset1:74
	;; [unrolled: 1-line block ×4, first 2 shown]
	s_waitcnt vmcnt(11)
	v_mov_b32_e32 v100, v113
	s_waitcnt lgkmcnt(3)
	v_pk_mul_f32 v[100:101], v[4:5], v[100:101] op_sel_hi:[1,0]
	s_waitcnt vmcnt(10)
	v_pk_fma_f32 v[102:103], v[4:5], v[112:113], v[100:101] op_sel:[0,0,1] op_sel_hi:[1,1,0] neg_lo:[0,0,1] neg_hi:[0,0,1]
	v_pk_fma_f32 v[4:5], v[4:5], v[112:113], v[100:101] op_sel:[0,0,1] op_sel_hi:[1,0,0]
	v_mov_b32_e32 v4, v111
	v_mov_b32_e32 v103, v5
	v_pk_mul_f32 v[4:5], v[6:7], v[4:5] op_sel_hi:[1,0]
	v_mul_f32_e32 v125, v104, v136
	v_mul_f32_e32 v3, v105, v136
	v_pk_fma_f32 v[100:101], v[6:7], v[110:111], v[4:5] op_sel:[0,0,1] op_sel_hi:[1,1,0] neg_lo:[0,0,1] neg_hi:[0,0,1]
	v_pk_fma_f32 v[4:5], v[6:7], v[110:111], v[4:5] op_sel:[0,0,1] op_sel_hi:[1,0,0]
	v_mul_f32_e32 v127, v106, v137
	v_fmac_f32_e32 v125, v105, v147
	v_fma_f32 v124, v104, v147, -v3
	v_mul_f32_e32 v3, v107, v137
	v_mov_b32_e32 v4, v109
	v_fmac_f32_e32 v127, v107, v148
	v_fma_f32 v126, v106, v148, -v3
	v_pk_add_f32 v[2:3], v[128:129], v[124:125]
	v_mov_b32_e32 v101, v5
	s_waitcnt lgkmcnt(2)
	v_pk_mul_f32 v[4:5], v[8:9], v[4:5] op_sel_hi:[1,0]
	v_pk_add_f32 v[2:3], v[2:3], v[126:127]
	v_pk_fma_f32 v[6:7], v[8:9], v[108:109], v[4:5] op_sel:[0,0,1] op_sel_hi:[1,1,0] neg_lo:[0,0,1] neg_hi:[0,0,1]
	v_pk_fma_f32 v[4:5], v[8:9], v[108:109], v[4:5] op_sel:[0,0,1] op_sel_hi:[1,0,0]
	v_pk_add_f32 v[2:3], v[2:3], v[102:103]
	s_waitcnt vmcnt(3)
	v_mov_b32_e32 v4, v121
	v_pk_add_f32 v[2:3], v[2:3], v[100:101]
	v_mov_b32_e32 v7, v5
	v_pk_mul_f32 v[4:5], v[10:11], v[4:5] op_sel_hi:[1,0]
	v_pk_add_f32 v[2:3], v[2:3], v[6:7]
	s_waitcnt vmcnt(2)
	v_pk_fma_f32 v[6:7], v[10:11], v[120:121], v[4:5] op_sel:[0,0,1] op_sel_hi:[1,1,0] neg_lo:[0,0,1] neg_hi:[0,0,1]
	v_pk_fma_f32 v[4:5], v[10:11], v[120:121], v[4:5] op_sel:[0,0,1] op_sel_hi:[1,0,0]
	v_mov_b32_e32 v4, v119
	v_mov_b32_e32 v7, v5
	s_waitcnt lgkmcnt(1)
	v_pk_mul_f32 v[4:5], v[12:13], v[4:5] op_sel_hi:[1,0]
	v_pk_add_f32 v[2:3], v[2:3], v[6:7]
	v_pk_fma_f32 v[6:7], v[12:13], v[118:119], v[4:5] op_sel:[0,0,1] op_sel_hi:[1,1,0] neg_lo:[0,0,1] neg_hi:[0,0,1]
	v_pk_fma_f32 v[4:5], v[12:13], v[118:119], v[4:5] op_sel:[0,0,1] op_sel_hi:[1,0,0]
	v_mov_b32_e32 v4, v117
	v_mov_b32_e32 v7, v5
	v_pk_mul_f32 v[4:5], v[14:15], v[4:5] op_sel_hi:[1,0]
	v_pk_add_f32 v[2:3], v[2:3], v[6:7]
	v_pk_fma_f32 v[6:7], v[14:15], v[116:117], v[4:5] op_sel:[0,0,1] op_sel_hi:[1,1,0] neg_lo:[0,0,1] neg_hi:[0,0,1]
	v_pk_fma_f32 v[4:5], v[14:15], v[116:117], v[4:5] op_sel:[0,0,1] op_sel_hi:[1,0,0]
	v_mov_b32_e32 v4, v115
	v_mov_b32_e32 v7, v5
	s_waitcnt lgkmcnt(0)
	v_pk_mul_f32 v[4:5], v[96:97], v[4:5] op_sel_hi:[1,0]
	v_pk_add_f32 v[2:3], v[2:3], v[6:7]
	v_pk_fma_f32 v[6:7], v[96:97], v[114:115], v[4:5] op_sel:[0,0,1] op_sel_hi:[1,1,0] neg_lo:[0,0,1] neg_hi:[0,0,1]
	v_pk_fma_f32 v[4:5], v[96:97], v[114:115], v[4:5] op_sel:[0,0,1] op_sel_hi:[1,0,0]
	s_waitcnt vmcnt(1)
	v_mov_b32_e32 v4, v123
	v_mov_b32_e32 v7, v5
	v_pk_mul_f32 v[4:5], v[98:99], v[4:5] op_sel_hi:[1,0]
	v_pk_add_f32 v[2:3], v[2:3], v[6:7]
	s_waitcnt vmcnt(0)
	v_pk_fma_f32 v[6:7], v[98:99], v[122:123], v[4:5] op_sel:[0,0,1] op_sel_hi:[1,1,0] neg_lo:[0,0,1] neg_hi:[0,0,1]
	v_pk_fma_f32 v[4:5], v[98:99], v[122:123], v[4:5] op_sel:[0,0,1] op_sel_hi:[1,0,0]
	v_mov_b32_e32 v7, v5
	v_pk_add_f32 v[2:3], v[2:3], v[6:7]
	v_pk_add_f32 v[2:3], v[16:17], v[2:3] neg_lo:[0,1] neg_hi:[0,1]
	buffer_store_dword v3, off, s[0:3], 0 offset:148
	buffer_store_dword v2, off, s[0:3], 0 offset:144
	s_and_saveexec_b64 s[4:5], vcc
	s_cbranch_execz .LBB38_213
; %bb.212:
	buffer_load_dword v2, off, s[0:3], 0 offset:136
	buffer_load_dword v3, off, s[0:3], 0 offset:140
	v_mov_b32_e32 v4, 0
	buffer_store_dword v4, off, s[0:3], 0 offset:136
	buffer_store_dword v4, off, s[0:3], 0 offset:140
	s_waitcnt vmcnt(2)
	ds_write_b64 v1, v[2:3]
.LBB38_213:
	s_or_b64 exec, exec, s[4:5]
	v_mov_b32_e32 v12, 0
	s_waitcnt lgkmcnt(0)
	; wave barrier
	s_waitcnt lgkmcnt(0)
	ds_read_b128 v[14:17], v12 offset:464
	ds_read_b128 v[96:99], v12 offset:480
	ds_read_b128 v[100:103], v12 offset:496
	ds_read_b128 v[104:107], v12 offset:512
	buffer_load_dword v6, off, s[0:3], 0 offset:136
	buffer_load_dword v7, off, s[0:3], 0 offset:140
	;; [unrolled: 1-line block ×18, first 2 shown]
	ds_read_b128 v[108:111], v12 offset:528
	buffer_load_dword v146, off, s[0:3], 0 offset:208
	buffer_load_dword v147, off, s[0:3], 0 offset:212
	;; [unrolled: 1-line block ×4, first 2 shown]
	ds_read_b128 v[112:115], v12 offset:544
	buffer_load_dword v150, off, s[0:3], 0 offset:224
	buffer_load_dword v151, off, s[0:3], 0 offset:228
	;; [unrolled: 1-line block ×4, first 2 shown]
	v_cmp_lt_u32_e32 vcc, 16, v0
	s_waitcnt vmcnt(22) lgkmcnt(5)
	v_mul_f32_e32 v2, v14, v10
	v_fmac_f32_e32 v2, v15, v8
	s_waitcnt vmcnt(20)
	v_mul_f32_e32 v3, v16, v116
	v_add_f32_e32 v2, 0, v2
	v_fmac_f32_e32 v3, v17, v13
	v_add_f32_e32 v2, v2, v3
	s_waitcnt vmcnt(18) lgkmcnt(4)
	v_mul_f32_e32 v3, v96, v135
	v_fmac_f32_e32 v3, v97, v134
	v_add_f32_e32 v2, v2, v3
	s_waitcnt vmcnt(16)
	v_mul_f32_e32 v3, v98, v137
	v_fmac_f32_e32 v3, v99, v136
	v_add_f32_e32 v2, v2, v3
	s_waitcnt vmcnt(14) lgkmcnt(3)
	v_mul_f32_e32 v3, v100, v139
	v_fmac_f32_e32 v3, v101, v138
	v_add_f32_e32 v2, v2, v3
	s_waitcnt vmcnt(12)
	v_mul_f32_e32 v3, v102, v141
	;; [unrolled: 8-line block ×4, first 2 shown]
	v_fmac_f32_e32 v3, v111, v148
	v_add_f32_e32 v2, v2, v3
	s_waitcnt vmcnt(2) lgkmcnt(0)
	v_mul_f32_e32 v3, v112, v151
	v_fmac_f32_e32 v3, v113, v150
	v_add_f32_e32 v9, v2, v3
	ds_read_b128 v[2:5], v12 offset:560
	buffer_load_dword v154, off, s[0:3], 0 offset:240
	buffer_load_dword v155, off, s[0:3], 0 offset:244
	;; [unrolled: 1-line block ×18, first 2 shown]
	v_mul_f32_e32 v10, v15, v10
	v_fma_f32 v8, v14, v8, -v10
	v_mul_f32_e32 v10, v17, v116
	v_add_f32_e32 v8, 0, v8
	v_fma_f32 v10, v16, v13, -v10
	v_add_f32_e32 v8, v8, v10
	v_mul_f32_e32 v10, v97, v135
	v_fma_f32 v10, v96, v134, -v10
	v_add_f32_e32 v8, v8, v10
	v_mul_f32_e32 v10, v99, v137
	;; [unrolled: 3-line block ×9, first 2 shown]
	v_fma_f32 v10, v112, v150, -v10
	s_waitcnt vmcnt(18)
	v_mul_f32_e32 v11, v114, v153
	v_add_f32_e32 v8, v8, v10
	v_mul_f32_e32 v10, v115, v153
	v_fmac_f32_e32 v11, v115, v152
	v_fma_f32 v10, v114, v152, -v10
	v_pk_add_f32 v[8:9], v[8:9], v[10:11]
	s_waitcnt vmcnt(15)
	v_mov_b32_e32 v10, v119
	s_waitcnt lgkmcnt(0)
	v_pk_mul_f32 v[10:11], v[4:5], v[10:11] op_sel_hi:[1,0]
	s_waitcnt vmcnt(14)
	v_pk_fma_f32 v[104:105], v[4:5], v[118:119], v[10:11] op_sel:[0,0,1] op_sel_hi:[1,1,0] neg_lo:[0,0,1] neg_hi:[0,0,1]
	v_pk_fma_f32 v[4:5], v[4:5], v[118:119], v[10:11] op_sel:[0,0,1] op_sel_hi:[1,0,0]
	v_mov_b32_e32 v105, v5
	v_mul_f32_e32 v117, v2, v155
	v_fmac_f32_e32 v117, v3, v154
	v_mul_f32_e32 v3, v3, v155
	v_fma_f32 v116, v2, v154, -v3
	ds_read_b128 v[14:17], v12 offset:576
	ds_read_b128 v[96:99], v12 offset:592
	;; [unrolled: 1-line block ×3, first 2 shown]
	ds_read_b64 v[2:3], v12 offset:624
	v_pk_add_f32 v[8:9], v[8:9], v[116:117]
	v_pk_add_f32 v[4:5], v[8:9], v[104:105]
	s_waitcnt vmcnt(13)
	v_mov_b32_e32 v8, v121
	s_waitcnt lgkmcnt(3)
	v_pk_mul_f32 v[8:9], v[14:15], v[8:9] op_sel_hi:[1,0]
	s_waitcnt vmcnt(12)
	v_pk_fma_f32 v[10:11], v[14:15], v[120:121], v[8:9] op_sel:[0,0,1] op_sel_hi:[1,1,0] neg_lo:[0,0,1] neg_hi:[0,0,1]
	v_pk_fma_f32 v[8:9], v[14:15], v[120:121], v[8:9] op_sel:[0,0,1] op_sel_hi:[1,0,0]
	s_waitcnt vmcnt(11)
	v_mov_b32_e32 v8, v123
	v_mov_b32_e32 v11, v9
	v_pk_mul_f32 v[8:9], v[16:17], v[8:9] op_sel_hi:[1,0]
	v_pk_add_f32 v[4:5], v[4:5], v[10:11]
	s_waitcnt vmcnt(10)
	v_pk_fma_f32 v[10:11], v[16:17], v[122:123], v[8:9] op_sel:[0,0,1] op_sel_hi:[1,1,0] neg_lo:[0,0,1] neg_hi:[0,0,1]
	v_pk_fma_f32 v[8:9], v[16:17], v[122:123], v[8:9] op_sel:[0,0,1] op_sel_hi:[1,0,0]
	s_waitcnt vmcnt(9)
	v_mov_b32_e32 v8, v125
	v_mov_b32_e32 v11, v9
	s_waitcnt lgkmcnt(2)
	v_pk_mul_f32 v[8:9], v[96:97], v[8:9] op_sel_hi:[1,0]
	v_pk_add_f32 v[4:5], v[4:5], v[10:11]
	s_waitcnt vmcnt(8)
	v_pk_fma_f32 v[10:11], v[96:97], v[124:125], v[8:9] op_sel:[0,0,1] op_sel_hi:[1,1,0] neg_lo:[0,0,1] neg_hi:[0,0,1]
	v_pk_fma_f32 v[8:9], v[96:97], v[124:125], v[8:9] op_sel:[0,0,1] op_sel_hi:[1,0,0]
	s_waitcnt vmcnt(7)
	v_mov_b32_e32 v8, v127
	v_mov_b32_e32 v11, v9
	v_pk_mul_f32 v[8:9], v[98:99], v[8:9] op_sel_hi:[1,0]
	v_pk_add_f32 v[4:5], v[4:5], v[10:11]
	s_waitcnt vmcnt(6)
	v_pk_fma_f32 v[10:11], v[98:99], v[126:127], v[8:9] op_sel:[0,0,1] op_sel_hi:[1,1,0] neg_lo:[0,0,1] neg_hi:[0,0,1]
	v_pk_fma_f32 v[8:9], v[98:99], v[126:127], v[8:9] op_sel:[0,0,1] op_sel_hi:[1,0,0]
	s_waitcnt vmcnt(5)
	v_mov_b32_e32 v8, v129
	v_mov_b32_e32 v11, v9
	s_waitcnt lgkmcnt(1)
	v_pk_mul_f32 v[8:9], v[100:101], v[8:9] op_sel_hi:[1,0]
	v_pk_add_f32 v[4:5], v[4:5], v[10:11]
	s_waitcnt vmcnt(4)
	v_pk_fma_f32 v[10:11], v[100:101], v[128:129], v[8:9] op_sel:[0,0,1] op_sel_hi:[1,1,0] neg_lo:[0,0,1] neg_hi:[0,0,1]
	v_pk_fma_f32 v[8:9], v[100:101], v[128:129], v[8:9] op_sel:[0,0,1] op_sel_hi:[1,0,0]
	s_waitcnt vmcnt(3)
	v_mov_b32_e32 v8, v131
	v_mov_b32_e32 v11, v9
	v_pk_mul_f32 v[8:9], v[102:103], v[8:9] op_sel_hi:[1,0]
	v_pk_add_f32 v[4:5], v[4:5], v[10:11]
	s_waitcnt vmcnt(2)
	v_pk_fma_f32 v[10:11], v[102:103], v[130:131], v[8:9] op_sel:[0,0,1] op_sel_hi:[1,1,0] neg_lo:[0,0,1] neg_hi:[0,0,1]
	v_pk_fma_f32 v[8:9], v[102:103], v[130:131], v[8:9] op_sel:[0,0,1] op_sel_hi:[1,0,0]
	s_waitcnt vmcnt(1)
	v_mov_b32_e32 v8, v133
	v_mov_b32_e32 v11, v9
	s_waitcnt lgkmcnt(0)
	v_pk_mul_f32 v[8:9], v[2:3], v[8:9] op_sel_hi:[1,0]
	v_pk_add_f32 v[4:5], v[4:5], v[10:11]
	s_waitcnt vmcnt(0)
	v_pk_fma_f32 v[10:11], v[2:3], v[132:133], v[8:9] op_sel:[0,0,1] op_sel_hi:[1,1,0] neg_lo:[0,0,1] neg_hi:[0,0,1]
	v_pk_fma_f32 v[2:3], v[2:3], v[132:133], v[8:9] op_sel:[0,0,1] op_sel_hi:[1,0,0]
	v_mov_b32_e32 v11, v3
	v_pk_add_f32 v[2:3], v[4:5], v[10:11]
	v_pk_add_f32 v[2:3], v[6:7], v[2:3] neg_lo:[0,1] neg_hi:[0,1]
	buffer_store_dword v3, off, s[0:3], 0 offset:140
	buffer_store_dword v2, off, s[0:3], 0 offset:136
	s_and_saveexec_b64 s[4:5], vcc
	s_cbranch_execz .LBB38_215
; %bb.214:
	buffer_load_dword v2, off, s[0:3], 0 offset:128
	buffer_load_dword v3, off, s[0:3], 0 offset:132
	s_waitcnt vmcnt(0)
	ds_write_b64 v1, v[2:3]
	buffer_store_dword v12, off, s[0:3], 0 offset:128
	buffer_store_dword v12, off, s[0:3], 0 offset:132
.LBB38_215:
	s_or_b64 exec, exec, s[4:5]
	s_waitcnt lgkmcnt(0)
	; wave barrier
	s_waitcnt lgkmcnt(0)
	ds_read2_b64 v[2:5], v12 offset0:57 offset1:58
	buffer_load_dword v6, off, s[0:3], 0 offset:128
	buffer_load_dword v7, off, s[0:3], 0 offset:132
	;; [unrolled: 1-line block ×16, first 2 shown]
	v_cmp_lt_u32_e32 vcc, 15, v0
	s_waitcnt vmcnt(12) lgkmcnt(0)
	v_mul_f32_e32 v8, v2, v116
	v_fmac_f32_e32 v8, v3, v13
	s_waitcnt vmcnt(10)
	v_mul_f32_e32 v9, v4, v120
	v_add_f32_e32 v8, 0, v8
	v_fmac_f32_e32 v9, v5, v118
	v_add_f32_e32 v14, v8, v9
	ds_read2_b64 v[8:11], v12 offset0:59 offset1:60
	v_mul_f32_e32 v3, v3, v116
	v_fma_f32 v2, v2, v13, -v3
	v_mul_f32_e32 v3, v5, v120
	v_add_f32_e32 v2, 0, v2
	s_waitcnt vmcnt(8) lgkmcnt(0)
	v_mul_f32_e32 v15, v8, v139
	v_fmac_f32_e32 v15, v9, v138
	v_add_f32_e32 v14, v14, v15
	s_waitcnt vmcnt(6)
	v_mul_f32_e32 v15, v10, v141
	v_fmac_f32_e32 v15, v11, v140
	v_add_f32_e32 v96, v14, v15
	ds_read2_b64 v[14:17], v12 offset0:61 offset1:62
	v_fma_f32 v3, v4, v118, -v3
	v_add_f32_e32 v2, v2, v3
	v_mul_f32_e32 v3, v9, v139
	v_fma_f32 v3, v8, v138, -v3
	s_waitcnt vmcnt(4) lgkmcnt(0)
	v_mul_f32_e32 v97, v14, v143
	v_fmac_f32_e32 v97, v15, v142
	v_add_f32_e32 v96, v96, v97
	s_waitcnt vmcnt(2)
	v_mul_f32_e32 v97, v16, v145
	v_fmac_f32_e32 v97, v17, v144
	v_add_f32_e32 v100, v96, v97
	ds_read2_b64 v[96:99], v12 offset0:63 offset1:64
	buffer_load_dword v148, off, s[0:3], 0 offset:192
	buffer_load_dword v149, off, s[0:3], 0 offset:196
	v_add_f32_e32 v2, v2, v3
	v_mul_f32_e32 v3, v11, v141
	v_fma_f32 v3, v10, v140, -v3
	s_waitcnt vmcnt(2) lgkmcnt(0)
	v_mul_f32_e32 v101, v96, v147
	v_fmac_f32_e32 v101, v97, v146
	v_add_f32_e32 v100, v100, v101
	v_add_f32_e32 v2, v2, v3
	v_mul_f32_e32 v3, v15, v143
	v_fma_f32 v3, v14, v142, -v3
	v_add_f32_e32 v2, v2, v3
	v_mul_f32_e32 v3, v17, v145
	v_fma_f32 v3, v16, v144, -v3
	;; [unrolled: 3-line block ×3, first 2 shown]
	v_add_f32_e32 v2, v2, v3
	s_waitcnt vmcnt(0)
	v_mul_f32_e32 v101, v98, v149
	v_fmac_f32_e32 v101, v99, v148
	v_add_f32_e32 v104, v100, v101
	ds_read2_b64 v[100:103], v12 offset0:65 offset1:66
	buffer_load_dword v150, off, s[0:3], 0 offset:200
	buffer_load_dword v151, off, s[0:3], 0 offset:204
	;; [unrolled: 1-line block ×4, first 2 shown]
	v_mul_f32_e32 v3, v99, v149
	v_fma_f32 v3, v98, v148, -v3
	v_add_f32_e32 v2, v2, v3
	s_waitcnt vmcnt(2) lgkmcnt(0)
	v_mul_f32_e32 v105, v100, v151
	v_fmac_f32_e32 v105, v101, v150
	v_add_f32_e32 v104, v104, v105
	s_waitcnt vmcnt(0)
	v_mul_f32_e32 v105, v102, v153
	v_fmac_f32_e32 v105, v103, v152
	v_add_f32_e32 v108, v104, v105
	ds_read2_b64 v[104:107], v12 offset0:67 offset1:68
	buffer_load_dword v154, off, s[0:3], 0 offset:216
	buffer_load_dword v155, off, s[0:3], 0 offset:220
	;; [unrolled: 1-line block ×4, first 2 shown]
	v_mul_f32_e32 v3, v101, v151
	v_fma_f32 v3, v100, v150, -v3
	v_add_f32_e32 v2, v2, v3
	v_mul_f32_e32 v3, v103, v153
	v_fma_f32 v3, v102, v152, -v3
	v_add_f32_e32 v2, v2, v3
	s_waitcnt vmcnt(2) lgkmcnt(0)
	v_mul_f32_e32 v109, v104, v155
	v_fmac_f32_e32 v109, v105, v154
	v_add_f32_e32 v108, v108, v109
	s_waitcnt vmcnt(0)
	v_mul_f32_e32 v109, v106, v157
	v_fmac_f32_e32 v109, v107, v156
	v_add_f32_e32 v117, v108, v109
	ds_read2_b64 v[108:111], v12 offset0:69 offset1:70
	buffer_load_dword v158, off, s[0:3], 0 offset:232
	buffer_load_dword v159, off, s[0:3], 0 offset:236
	;; [unrolled: 1-line block ×6, first 2 shown]
	ds_read2_b64 v[112:115], v12 offset0:71 offset1:72
	buffer_load_dword v125, off, s[0:3], 0 offset:260
	buffer_load_dword v124, off, s[0:3], 0 offset:256
	;; [unrolled: 1-line block ×14, first 2 shown]
	v_mul_f32_e32 v3, v105, v155
	v_fma_f32 v3, v104, v154, -v3
	v_add_f32_e32 v2, v2, v3
	v_mul_f32_e32 v3, v107, v157
	v_fma_f32 v3, v106, v156, -v3
	v_add_f32_e32 v116, v2, v3
	s_waitcnt vmcnt(18) lgkmcnt(1)
	v_mul_f32_e32 v119, v108, v159
	s_waitcnt vmcnt(15)
	v_mov_b32_e32 v96, v123
	v_mul_f32_e32 v2, v109, v159
	s_waitcnt lgkmcnt(0)
	v_pk_mul_f32 v[96:97], v[112:113], v[96:97] op_sel_hi:[1,0]
	v_fmac_f32_e32 v119, v109, v158
	v_mul_f32_e32 v121, v110, v161
	v_fma_f32 v118, v108, v158, -v2
	v_mul_f32_e32 v2, v111, v161
	s_waitcnt vmcnt(14)
	v_pk_fma_f32 v[98:99], v[112:113], v[122:123], v[96:97] op_sel:[0,0,1] op_sel_hi:[1,1,0] neg_lo:[0,0,1] neg_hi:[0,0,1]
	v_pk_fma_f32 v[96:97], v[112:113], v[122:123], v[96:97] op_sel:[0,0,1] op_sel_hi:[1,0,0]
	v_fmac_f32_e32 v121, v111, v160
	v_fma_f32 v120, v110, v160, -v2
	v_pk_add_f32 v[16:17], v[116:117], v[118:119]
	s_waitcnt vmcnt(13)
	v_mov_b32_e32 v96, v125
	ds_read2_b64 v[2:5], v12 offset0:73 offset1:74
	ds_read2_b64 v[8:11], v12 offset0:75 offset1:76
	;; [unrolled: 1-line block ×3, first 2 shown]
	v_pk_add_f32 v[16:17], v[16:17], v[120:121]
	v_mov_b32_e32 v99, v97
	v_pk_mul_f32 v[96:97], v[114:115], v[96:97] op_sel_hi:[1,0]
	v_pk_add_f32 v[16:17], v[16:17], v[98:99]
	s_waitcnt vmcnt(12)
	v_pk_fma_f32 v[98:99], v[114:115], v[124:125], v[96:97] op_sel:[0,0,1] op_sel_hi:[1,1,0] neg_lo:[0,0,1] neg_hi:[0,0,1]
	v_pk_fma_f32 v[96:97], v[114:115], v[124:125], v[96:97] op_sel:[0,0,1] op_sel_hi:[1,0,0]
	s_waitcnt vmcnt(11)
	v_mov_b32_e32 v96, v127
	v_mov_b32_e32 v99, v97
	s_waitcnt lgkmcnt(2)
	v_pk_mul_f32 v[96:97], v[2:3], v[96:97] op_sel_hi:[1,0]
	v_pk_add_f32 v[16:17], v[16:17], v[98:99]
	s_waitcnt vmcnt(10)
	v_pk_fma_f32 v[98:99], v[2:3], v[126:127], v[96:97] op_sel:[0,0,1] op_sel_hi:[1,1,0] neg_lo:[0,0,1] neg_hi:[0,0,1]
	v_pk_fma_f32 v[2:3], v[2:3], v[126:127], v[96:97] op_sel:[0,0,1] op_sel_hi:[1,0,0]
	v_mov_b32_e32 v99, v3
	v_pk_add_f32 v[2:3], v[16:17], v[98:99]
	s_waitcnt vmcnt(9)
	v_mov_b32_e32 v16, v129
	v_pk_mul_f32 v[16:17], v[4:5], v[16:17] op_sel_hi:[1,0]
	s_waitcnt vmcnt(8)
	v_pk_fma_f32 v[96:97], v[4:5], v[128:129], v[16:17] op_sel:[0,0,1] op_sel_hi:[1,1,0] neg_lo:[0,0,1] neg_hi:[0,0,1]
	v_pk_fma_f32 v[4:5], v[4:5], v[128:129], v[16:17] op_sel:[0,0,1] op_sel_hi:[1,0,0]
	s_waitcnt vmcnt(7)
	v_mov_b32_e32 v4, v131
	v_mov_b32_e32 v97, v5
	s_waitcnt lgkmcnt(1)
	v_pk_mul_f32 v[4:5], v[8:9], v[4:5] op_sel_hi:[1,0]
	s_waitcnt vmcnt(6)
	v_pk_fma_f32 v[16:17], v[8:9], v[130:131], v[4:5] op_sel:[0,0,1] op_sel_hi:[1,1,0] neg_lo:[0,0,1] neg_hi:[0,0,1]
	v_pk_fma_f32 v[4:5], v[8:9], v[130:131], v[4:5] op_sel:[0,0,1] op_sel_hi:[1,0,0]
	s_waitcnt vmcnt(5)
	v_mov_b32_e32 v4, v133
	v_mov_b32_e32 v17, v5
	v_pk_mul_f32 v[4:5], v[10:11], v[4:5] op_sel_hi:[1,0]
	s_waitcnt vmcnt(4)
	v_pk_fma_f32 v[8:9], v[10:11], v[132:133], v[4:5] op_sel:[0,0,1] op_sel_hi:[1,1,0] neg_lo:[0,0,1] neg_hi:[0,0,1]
	v_pk_fma_f32 v[4:5], v[10:11], v[132:133], v[4:5] op_sel:[0,0,1] op_sel_hi:[1,0,0]
	v_pk_add_f32 v[2:3], v[2:3], v[96:97]
	s_waitcnt vmcnt(3)
	v_mov_b32_e32 v4, v135
	v_pk_add_f32 v[2:3], v[2:3], v[16:17]
	v_mov_b32_e32 v9, v5
	s_waitcnt lgkmcnt(0)
	v_pk_mul_f32 v[4:5], v[12:13], v[4:5] op_sel_hi:[1,0]
	v_pk_add_f32 v[2:3], v[2:3], v[8:9]
	s_waitcnt vmcnt(2)
	v_pk_fma_f32 v[8:9], v[12:13], v[134:135], v[4:5] op_sel:[0,0,1] op_sel_hi:[1,1,0] neg_lo:[0,0,1] neg_hi:[0,0,1]
	v_pk_fma_f32 v[4:5], v[12:13], v[134:135], v[4:5] op_sel:[0,0,1] op_sel_hi:[1,0,0]
	s_waitcnt vmcnt(1)
	v_mov_b32_e32 v4, v137
	v_mov_b32_e32 v9, v5
	v_pk_mul_f32 v[4:5], v[14:15], v[4:5] op_sel_hi:[1,0]
	v_pk_add_f32 v[2:3], v[2:3], v[8:9]
	s_waitcnt vmcnt(0)
	v_pk_fma_f32 v[8:9], v[14:15], v[136:137], v[4:5] op_sel:[0,0,1] op_sel_hi:[1,1,0] neg_lo:[0,0,1] neg_hi:[0,0,1]
	v_pk_fma_f32 v[4:5], v[14:15], v[136:137], v[4:5] op_sel:[0,0,1] op_sel_hi:[1,0,0]
	v_mov_b32_e32 v9, v5
	v_pk_add_f32 v[2:3], v[2:3], v[8:9]
	v_pk_add_f32 v[2:3], v[6:7], v[2:3] neg_lo:[0,1] neg_hi:[0,1]
	buffer_store_dword v3, off, s[0:3], 0 offset:132
	buffer_store_dword v2, off, s[0:3], 0 offset:128
	s_and_saveexec_b64 s[4:5], vcc
	s_cbranch_execz .LBB38_217
; %bb.216:
	buffer_load_dword v2, off, s[0:3], 0 offset:120
	buffer_load_dword v3, off, s[0:3], 0 offset:124
	v_mov_b32_e32 v4, 0
	buffer_store_dword v4, off, s[0:3], 0 offset:120
	buffer_store_dword v4, off, s[0:3], 0 offset:124
	s_waitcnt vmcnt(2)
	ds_write_b64 v1, v[2:3]
.LBB38_217:
	s_or_b64 exec, exec, s[4:5]
	v_mov_b32_e32 v98, 0
	s_waitcnt lgkmcnt(0)
	; wave barrier
	s_waitcnt lgkmcnt(0)
	ds_read_b128 v[14:17], v98 offset:448
	ds_read_b128 v[10:13], v98 offset:464
	;; [unrolled: 1-line block ×4, first 2 shown]
	buffer_load_dword v96, off, s[0:3], 0 offset:120
	buffer_load_dword v97, off, s[0:3], 0 offset:124
	;; [unrolled: 1-line block ×18, first 2 shown]
	v_cmp_lt_u32_e32 vcc, 14, v0
	s_waitcnt vmcnt(14) lgkmcnt(3)
	v_mul_f32_e32 v100, v14, v116
	v_fmac_f32_e32 v100, v15, v99
	s_waitcnt vmcnt(12)
	v_mul_f32_e32 v101, v16, v120
	v_add_f32_e32 v100, 0, v100
	v_fmac_f32_e32 v101, v17, v118
	v_add_f32_e32 v100, v100, v101
	s_waitcnt vmcnt(10) lgkmcnt(2)
	v_mul_f32_e32 v101, v10, v139
	v_fmac_f32_e32 v101, v11, v138
	v_add_f32_e32 v100, v100, v101
	s_waitcnt vmcnt(8)
	v_mul_f32_e32 v101, v12, v141
	v_fmac_f32_e32 v101, v13, v140
	v_add_f32_e32 v100, v100, v101
	s_waitcnt vmcnt(6) lgkmcnt(1)
	v_mul_f32_e32 v101, v6, v143
	v_fmac_f32_e32 v101, v7, v142
	v_add_f32_e32 v100, v100, v101
	s_waitcnt vmcnt(4)
	v_mul_f32_e32 v101, v8, v145
	v_fmac_f32_e32 v101, v9, v144
	v_add_f32_e32 v100, v100, v101
	s_waitcnt vmcnt(2) lgkmcnt(0)
	v_mul_f32_e32 v101, v2, v147
	v_fmac_f32_e32 v101, v3, v146
	v_add_f32_e32 v100, v100, v101
	s_waitcnt vmcnt(0)
	v_mul_f32_e32 v101, v4, v149
	v_fmac_f32_e32 v101, v5, v148
	v_add_f32_e32 v104, v100, v101
	ds_read_b128 v[100:103], v98 offset:512
	buffer_load_dword v150, off, s[0:3], 0 offset:192
	buffer_load_dword v151, off, s[0:3], 0 offset:196
	;; [unrolled: 1-line block ×4, first 2 shown]
	v_mul_f32_e32 v15, v15, v116
	v_fma_f32 v14, v14, v99, -v15
	v_mul_f32_e32 v15, v17, v120
	v_add_f32_e32 v14, 0, v14
	v_fma_f32 v15, v16, v118, -v15
	v_mul_f32_e32 v11, v11, v139
	v_add_f32_e32 v14, v14, v15
	;; [unrolled: 3-line block ×7, first 2 shown]
	v_fma_f32 v3, v4, v148, -v3
	v_add_f32_e32 v2, v2, v3
	s_waitcnt vmcnt(2) lgkmcnt(0)
	v_mul_f32_e32 v105, v100, v151
	v_fmac_f32_e32 v105, v101, v150
	v_add_f32_e32 v104, v104, v105
	s_waitcnt vmcnt(0)
	v_mul_f32_e32 v105, v102, v153
	v_fmac_f32_e32 v105, v103, v152
	v_add_f32_e32 v108, v104, v105
	ds_read_b128 v[104:107], v98 offset:528
	buffer_load_dword v154, off, s[0:3], 0 offset:208
	buffer_load_dword v155, off, s[0:3], 0 offset:212
	;; [unrolled: 1-line block ×4, first 2 shown]
	v_mul_f32_e32 v3, v101, v151
	v_fma_f32 v3, v100, v150, -v3
	v_add_f32_e32 v2, v2, v3
	v_mul_f32_e32 v3, v103, v153
	v_fma_f32 v3, v102, v152, -v3
	v_add_f32_e32 v2, v2, v3
	s_waitcnt vmcnt(2) lgkmcnt(0)
	v_mul_f32_e32 v109, v104, v155
	v_fmac_f32_e32 v109, v105, v154
	v_add_f32_e32 v108, v108, v109
	s_waitcnt vmcnt(0)
	v_mul_f32_e32 v109, v106, v157
	v_fmac_f32_e32 v109, v107, v156
	v_add_f32_e32 v112, v108, v109
	ds_read_b128 v[108:111], v98 offset:544
	buffer_load_dword v158, off, s[0:3], 0 offset:224
	buffer_load_dword v159, off, s[0:3], 0 offset:228
	;; [unrolled: 1-line block ×4, first 2 shown]
	v_mul_f32_e32 v3, v105, v155
	v_fma_f32 v3, v104, v154, -v3
	v_add_f32_e32 v2, v2, v3
	v_mul_f32_e32 v3, v107, v157
	v_fma_f32 v3, v106, v156, -v3
	v_add_f32_e32 v2, v2, v3
	s_waitcnt vmcnt(2) lgkmcnt(0)
	v_mul_f32_e32 v113, v108, v159
	v_fmac_f32_e32 v113, v109, v158
	v_add_f32_e32 v117, v112, v113
	ds_read_b128 v[112:115], v98 offset:560
	buffer_load_dword v162, off, s[0:3], 0 offset:240
	buffer_load_dword v163, off, s[0:3], 0 offset:244
	;; [unrolled: 1-line block ×18, first 2 shown]
	v_mul_f32_e32 v3, v109, v159
	v_fma_f32 v3, v108, v158, -v3
	v_add_f32_e32 v116, v2, v3
	s_waitcnt vmcnt(18)
	v_mul_f32_e32 v2, v111, v161
	v_mul_f32_e32 v119, v110, v161
	v_fma_f32 v118, v110, v160, -v2
	v_fmac_f32_e32 v119, v111, v160
	v_pk_add_f32 v[16:17], v[116:117], v[118:119]
	s_waitcnt vmcnt(15)
	v_mov_b32_e32 v100, v123
	s_waitcnt lgkmcnt(0)
	v_pk_mul_f32 v[100:101], v[114:115], v[100:101] op_sel_hi:[1,0]
	s_waitcnt vmcnt(14)
	v_pk_fma_f32 v[102:103], v[114:115], v[122:123], v[100:101] op_sel:[0,0,1] op_sel_hi:[1,1,0] neg_lo:[0,0,1] neg_hi:[0,0,1]
	v_pk_fma_f32 v[100:101], v[114:115], v[122:123], v[100:101] op_sel:[0,0,1] op_sel_hi:[1,0,0]
	s_waitcnt vmcnt(13)
	v_mov_b32_e32 v100, v125
	v_mov_b32_e32 v103, v101
	v_mul_f32_e32 v2, v113, v163
	v_mul_f32_e32 v121, v112, v163
	v_fma_f32 v120, v112, v162, -v2
	ds_read_b128 v[2:5], v98 offset:576
	ds_read_b128 v[6:9], v98 offset:592
	;; [unrolled: 1-line block ×3, first 2 shown]
	ds_read_b64 v[14:15], v98 offset:624
	v_fmac_f32_e32 v121, v113, v162
	v_pk_add_f32 v[16:17], v[16:17], v[120:121]
	s_waitcnt lgkmcnt(3)
	v_pk_mul_f32 v[100:101], v[2:3], v[100:101] op_sel_hi:[1,0]
	v_pk_add_f32 v[16:17], v[16:17], v[102:103]
	s_waitcnt vmcnt(12)
	v_pk_fma_f32 v[102:103], v[2:3], v[124:125], v[100:101] op_sel:[0,0,1] op_sel_hi:[1,1,0] neg_lo:[0,0,1] neg_hi:[0,0,1]
	v_pk_fma_f32 v[2:3], v[2:3], v[124:125], v[100:101] op_sel:[0,0,1] op_sel_hi:[1,0,0]
	v_mov_b32_e32 v103, v3
	v_pk_add_f32 v[2:3], v[16:17], v[102:103]
	s_waitcnt vmcnt(11)
	v_mov_b32_e32 v16, v127
	v_pk_mul_f32 v[16:17], v[4:5], v[16:17] op_sel_hi:[1,0]
	s_waitcnt vmcnt(10)
	v_pk_fma_f32 v[100:101], v[4:5], v[126:127], v[16:17] op_sel:[0,0,1] op_sel_hi:[1,1,0] neg_lo:[0,0,1] neg_hi:[0,0,1]
	v_pk_fma_f32 v[4:5], v[4:5], v[126:127], v[16:17] op_sel:[0,0,1] op_sel_hi:[1,0,0]
	s_waitcnt vmcnt(9)
	v_mov_b32_e32 v4, v129
	v_mov_b32_e32 v101, v5
	s_waitcnt lgkmcnt(2)
	v_pk_mul_f32 v[4:5], v[6:7], v[4:5] op_sel_hi:[1,0]
	s_waitcnt vmcnt(8)
	v_pk_fma_f32 v[16:17], v[6:7], v[128:129], v[4:5] op_sel:[0,0,1] op_sel_hi:[1,1,0] neg_lo:[0,0,1] neg_hi:[0,0,1]
	v_pk_fma_f32 v[4:5], v[6:7], v[128:129], v[4:5] op_sel:[0,0,1] op_sel_hi:[1,0,0]
	s_waitcnt vmcnt(7)
	v_mov_b32_e32 v4, v131
	v_mov_b32_e32 v17, v5
	v_pk_mul_f32 v[4:5], v[8:9], v[4:5] op_sel_hi:[1,0]
	s_waitcnt vmcnt(6)
	v_pk_fma_f32 v[6:7], v[8:9], v[130:131], v[4:5] op_sel:[0,0,1] op_sel_hi:[1,1,0] neg_lo:[0,0,1] neg_hi:[0,0,1]
	v_pk_fma_f32 v[4:5], v[8:9], v[130:131], v[4:5] op_sel:[0,0,1] op_sel_hi:[1,0,0]
	v_pk_add_f32 v[2:3], v[2:3], v[100:101]
	s_waitcnt vmcnt(5)
	v_mov_b32_e32 v4, v133
	v_pk_add_f32 v[2:3], v[2:3], v[16:17]
	v_mov_b32_e32 v7, v5
	s_waitcnt lgkmcnt(1)
	v_pk_mul_f32 v[4:5], v[10:11], v[4:5] op_sel_hi:[1,0]
	v_pk_add_f32 v[2:3], v[2:3], v[6:7]
	s_waitcnt vmcnt(4)
	v_pk_fma_f32 v[6:7], v[10:11], v[132:133], v[4:5] op_sel:[0,0,1] op_sel_hi:[1,1,0] neg_lo:[0,0,1] neg_hi:[0,0,1]
	v_pk_fma_f32 v[4:5], v[10:11], v[132:133], v[4:5] op_sel:[0,0,1] op_sel_hi:[1,0,0]
	s_waitcnt vmcnt(3)
	v_mov_b32_e32 v4, v135
	v_mov_b32_e32 v7, v5
	v_pk_mul_f32 v[4:5], v[12:13], v[4:5] op_sel_hi:[1,0]
	v_pk_add_f32 v[2:3], v[2:3], v[6:7]
	s_waitcnt vmcnt(2)
	v_pk_fma_f32 v[6:7], v[12:13], v[134:135], v[4:5] op_sel:[0,0,1] op_sel_hi:[1,1,0] neg_lo:[0,0,1] neg_hi:[0,0,1]
	v_pk_fma_f32 v[4:5], v[12:13], v[134:135], v[4:5] op_sel:[0,0,1] op_sel_hi:[1,0,0]
	s_waitcnt vmcnt(1)
	v_mov_b32_e32 v4, v137
	v_mov_b32_e32 v7, v5
	s_waitcnt lgkmcnt(0)
	v_pk_mul_f32 v[4:5], v[14:15], v[4:5] op_sel_hi:[1,0]
	v_pk_add_f32 v[2:3], v[2:3], v[6:7]
	s_waitcnt vmcnt(0)
	v_pk_fma_f32 v[6:7], v[14:15], v[136:137], v[4:5] op_sel:[0,0,1] op_sel_hi:[1,1,0] neg_lo:[0,0,1] neg_hi:[0,0,1]
	v_pk_fma_f32 v[4:5], v[14:15], v[136:137], v[4:5] op_sel:[0,0,1] op_sel_hi:[1,0,0]
	v_mov_b32_e32 v7, v5
	v_pk_add_f32 v[2:3], v[2:3], v[6:7]
	v_pk_add_f32 v[2:3], v[96:97], v[2:3] neg_lo:[0,1] neg_hi:[0,1]
	buffer_store_dword v3, off, s[0:3], 0 offset:124
	buffer_store_dword v2, off, s[0:3], 0 offset:120
	s_and_saveexec_b64 s[4:5], vcc
	s_cbranch_execz .LBB38_219
; %bb.218:
	buffer_load_dword v2, off, s[0:3], 0 offset:112
	buffer_load_dword v3, off, s[0:3], 0 offset:116
	s_waitcnt vmcnt(0)
	ds_write_b64 v1, v[2:3]
	buffer_store_dword v98, off, s[0:3], 0 offset:112
	buffer_store_dword v98, off, s[0:3], 0 offset:116
.LBB38_219:
	s_or_b64 exec, exec, s[4:5]
	s_waitcnt lgkmcnt(0)
	; wave barrier
	s_waitcnt lgkmcnt(0)
	buffer_load_dword v96, off, s[0:3], 0 offset:124
	buffer_load_dword v97, off, s[0:3], 0 offset:132
	;; [unrolled: 1-line block ×34, first 2 shown]
	ds_read2_b64 v[4:7], v98 offset0:55 offset1:56
	ds_read2_b64 v[8:11], v98 offset0:57 offset1:58
	;; [unrolled: 1-line block ×8, first 2 shown]
	buffer_load_dword v17, off, s[0:3], 0 offset:268
	buffer_load_dword v16, off, s[0:3], 0 offset:264
	;; [unrolled: 1-line block ×10, first 2 shown]
	v_cmp_lt_u32_e32 vcc, 13, v0
	s_waitcnt vmcnt(43) lgkmcnt(7)
	v_mul_f32_e32 v124, v4, v96
	s_waitcnt vmcnt(42)
	v_mul_f32_e32 v128, v6, v97
	s_waitcnt vmcnt(41) lgkmcnt(6)
	v_mul_f32_e32 v130, v8, v99
	s_waitcnt vmcnt(40)
	v_mul_f32_e32 v131, v10, v132
	;; [unrolled: 4-line block ×7, first 2 shown]
	s_waitcnt vmcnt(29)
	v_fmac_f32_e32 v124, v5, v148
	s_waitcnt vmcnt(28)
	v_fmac_f32_e32 v128, v7, v149
	v_add_f32_e32 v124, 0, v124
	s_waitcnt vmcnt(27)
	v_fmac_f32_e32 v130, v9, v150
	v_add_f32_e32 v124, v124, v128
	;; [unrolled: 3-line block ×12, first 2 shown]
	v_add_f32_e32 v133, v124, v169
	buffer_load_dword v128, off, s[0:3], 0 offset:288
	buffer_load_dword v131, off, s[0:3], 0 offset:284
	;; [unrolled: 1-line block ×6, first 2 shown]
	v_mul_f32_e32 v5, v5, v96
	v_fma_f32 v4, v4, v148, -v5
	v_mul_f32_e32 v5, v7, v97
	v_add_f32_e32 v4, 0, v4
	v_fma_f32 v5, v6, v149, -v5
	v_add_f32_e32 v4, v4, v5
	v_mul_f32_e32 v5, v9, v99
	v_fma_f32 v5, v8, v150, -v5
	v_add_f32_e32 v4, v4, v5
	v_mul_f32_e32 v5, v11, v132
	;; [unrolled: 3-line block ×12, first 2 shown]
	s_waitcnt vmcnt(22)
	v_fma_f32 v5, v114, v161, -v5
	v_add_f32_e32 v132, v4, v5
	s_waitcnt vmcnt(21) lgkmcnt(0)
	v_mul_f32_e32 v4, v117, v162
	s_waitcnt vmcnt(20)
	v_fma_f32 v134, v116, v163, -v4
	s_waitcnt vmcnt(19)
	v_mul_f32_e32 v4, v119, v164
	s_waitcnt vmcnt(18)
	v_fma_f32 v136, v118, v165, -v4
	ds_read2_b64 v[4:7], v98 offset0:71 offset1:72
	ds_read2_b64 v[8:11], v98 offset0:73 offset1:74
	;; [unrolled: 1-line block ×4, first 2 shown]
	v_fmac_f32_e32 v170, v115, v161
	v_mul_f32_e32 v135, v116, v162
	s_waitcnt vmcnt(11)
	v_mov_b32_e32 v102, v123
	v_add_f32_e32 v133, v133, v170
	v_fmac_f32_e32 v135, v117, v163
	v_mul_f32_e32 v137, v118, v164
	s_waitcnt lgkmcnt(3)
	v_pk_mul_f32 v[102:103], v[4:5], v[102:103] op_sel_hi:[1,0]
	v_fmac_f32_e32 v137, v119, v165
	v_pk_add_f32 v[100:101], v[132:133], v[134:135]
	s_waitcnt vmcnt(10)
	v_pk_fma_f32 v[104:105], v[4:5], v[122:123], v[102:103] op_sel:[0,0,1] op_sel_hi:[1,1,0] neg_lo:[0,0,1] neg_hi:[0,0,1]
	v_pk_fma_f32 v[4:5], v[4:5], v[122:123], v[102:103] op_sel:[0,0,1] op_sel_hi:[1,0,0]
	v_pk_add_f32 v[100:101], v[100:101], v[136:137]
	v_mov_b32_e32 v105, v5
	v_pk_add_f32 v[4:5], v[100:101], v[104:105]
	v_mov_b32_e32 v100, v121
	v_pk_mul_f32 v[100:101], v[6:7], v[100:101] op_sel_hi:[1,0]
	v_pk_fma_f32 v[102:103], v[6:7], v[120:121], v[100:101] op_sel:[0,0,1] op_sel_hi:[1,1,0] neg_lo:[0,0,1] neg_hi:[0,0,1]
	v_pk_fma_f32 v[6:7], v[6:7], v[120:121], v[100:101] op_sel:[0,0,1] op_sel_hi:[1,0,0]
	v_mov_b32_e32 v6, v17
	v_mov_b32_e32 v103, v7
	s_waitcnt lgkmcnt(2)
	v_pk_mul_f32 v[6:7], v[8:9], v[6:7] op_sel_hi:[1,0]
	v_pk_fma_f32 v[100:101], v[8:9], v[16:17], v[6:7] op_sel:[0,0,1] op_sel_hi:[1,1,0] neg_lo:[0,0,1] neg_hi:[0,0,1]
	v_pk_fma_f32 v[6:7], v[8:9], v[16:17], v[6:7] op_sel:[0,0,1] op_sel_hi:[1,0,0]
	s_waitcnt vmcnt(9)
	v_mov_b32_e32 v6, v125
	v_mov_b32_e32 v101, v7
	v_pk_mul_f32 v[6:7], v[10:11], v[6:7] op_sel_hi:[1,0]
	v_pk_add_f32 v[4:5], v[4:5], v[102:103]
	v_pk_add_f32 v[4:5], v[4:5], v[100:101]
	s_waitcnt vmcnt(2)
	v_pk_fma_f32 v[8:9], v[10:11], v[124:125], v[6:7] op_sel:[0,0,1] op_sel_hi:[1,1,0] neg_lo:[0,0,1] neg_hi:[0,0,1]
	v_pk_fma_f32 v[6:7], v[10:11], v[124:125], v[6:7] op_sel:[0,0,1] op_sel_hi:[1,0,0]
	v_mov_b32_e32 v6, v131
	v_mov_b32_e32 v9, v7
	s_waitcnt lgkmcnt(1)
	v_pk_mul_f32 v[6:7], v[12:13], v[6:7] op_sel_hi:[1,0]
	v_pk_add_f32 v[4:5], v[4:5], v[8:9]
	v_pk_fma_f32 v[8:9], v[12:13], v[130:131], v[6:7] op_sel:[0,0,1] op_sel_hi:[1,1,0] neg_lo:[0,0,1] neg_hi:[0,0,1]
	v_pk_fma_f32 v[6:7], v[12:13], v[130:131], v[6:7] op_sel:[0,0,1] op_sel_hi:[1,0,0]
	v_mov_b32_e32 v6, v129
	v_mov_b32_e32 v9, v7
	v_pk_mul_f32 v[6:7], v[14:15], v[6:7] op_sel_hi:[1,0]
	v_pk_add_f32 v[4:5], v[4:5], v[8:9]
	v_pk_fma_f32 v[8:9], v[14:15], v[128:129], v[6:7] op_sel:[0,0,1] op_sel_hi:[1,1,0] neg_lo:[0,0,1] neg_hi:[0,0,1]
	v_pk_fma_f32 v[6:7], v[14:15], v[128:129], v[6:7] op_sel:[0,0,1] op_sel_hi:[1,0,0]
	v_mov_b32_e32 v6, v127
	v_mov_b32_e32 v9, v7
	s_waitcnt lgkmcnt(0)
	v_pk_mul_f32 v[6:7], v[96:97], v[6:7] op_sel_hi:[1,0]
	v_pk_add_f32 v[4:5], v[4:5], v[8:9]
	v_pk_fma_f32 v[8:9], v[96:97], v[126:127], v[6:7] op_sel:[0,0,1] op_sel_hi:[1,1,0] neg_lo:[0,0,1] neg_hi:[0,0,1]
	v_pk_fma_f32 v[6:7], v[96:97], v[126:127], v[6:7] op_sel:[0,0,1] op_sel_hi:[1,0,0]
	s_waitcnt vmcnt(1)
	v_mov_b32_e32 v6, v139
	v_mov_b32_e32 v9, v7
	v_pk_mul_f32 v[6:7], v[98:99], v[6:7] op_sel_hi:[1,0]
	v_pk_add_f32 v[4:5], v[4:5], v[8:9]
	s_waitcnt vmcnt(0)
	v_pk_fma_f32 v[8:9], v[98:99], v[138:139], v[6:7] op_sel:[0,0,1] op_sel_hi:[1,1,0] neg_lo:[0,0,1] neg_hi:[0,0,1]
	v_pk_fma_f32 v[6:7], v[98:99], v[138:139], v[6:7] op_sel:[0,0,1] op_sel_hi:[1,0,0]
	v_mov_b32_e32 v9, v7
	v_pk_add_f32 v[4:5], v[4:5], v[8:9]
	v_pk_add_f32 v[2:3], v[2:3], v[4:5] neg_lo:[0,1] neg_hi:[0,1]
	buffer_store_dword v3, off, s[0:3], 0 offset:116
	buffer_store_dword v2, off, s[0:3], 0 offset:112
	s_and_saveexec_b64 s[4:5], vcc
	s_cbranch_execz .LBB38_221
; %bb.220:
	buffer_load_dword v2, off, s[0:3], 0 offset:104
	buffer_load_dword v3, off, s[0:3], 0 offset:108
	v_mov_b32_e32 v4, 0
	buffer_store_dword v4, off, s[0:3], 0 offset:104
	buffer_store_dword v4, off, s[0:3], 0 offset:108
	s_waitcnt vmcnt(2)
	ds_write_b64 v1, v[2:3]
.LBB38_221:
	s_or_b64 exec, exec, s[4:5]
	s_waitcnt lgkmcnt(0)
	; wave barrier
	s_waitcnt lgkmcnt(0)
	buffer_load_dword v5, off, s[0:3], 0 offset:116
	buffer_load_dword v136, off, s[0:3], 0 offset:124
	;; [unrolled: 1-line block ×36, first 2 shown]
	v_mov_b32_e32 v4, 0
	buffer_load_dword v125, off, s[0:3], 0 offset:260
	buffer_load_dword v124, off, s[0:3], 0 offset:256
	;; [unrolled: 1-line block ×5, first 2 shown]
	ds_read_b128 v[6:9], v4 offset:432
	ds_read_b128 v[10:13], v4 offset:448
	ds_read_b128 v[14:17], v4 offset:464
	ds_read_b128 v[96:99], v4 offset:480
	ds_read_b128 v[100:103], v4 offset:496
	ds_read_b128 v[104:107], v4 offset:512
	ds_read_b128 v[108:111], v4 offset:528
	ds_read_b128 v[112:115], v4 offset:544
	v_cmp_lt_u32_e32 vcc, 12, v0
	s_waitcnt vmcnt(40) lgkmcnt(7)
	v_mul_f32_e32 v116, v6, v5
	s_waitcnt vmcnt(39)
	v_mul_f32_e32 v117, v8, v136
	s_waitcnt vmcnt(38) lgkmcnt(6)
	v_mul_f32_e32 v118, v10, v138
	s_waitcnt vmcnt(37)
	v_mul_f32_e32 v119, v12, v140
	s_waitcnt vmcnt(36) lgkmcnt(5)
	v_mul_f32_e32 v120, v14, v146
	s_waitcnt vmcnt(35)
	v_mul_f32_e32 v121, v16, v147
	s_waitcnt vmcnt(34) lgkmcnt(4)
	v_mul_f32_e32 v122, v96, v148
	s_waitcnt vmcnt(33)
	v_mul_f32_e32 v123, v98, v149
	s_waitcnt vmcnt(32) lgkmcnt(3)
	v_mul_f32_e32 v128, v100, v150
	s_waitcnt vmcnt(31)
	v_mul_f32_e32 v130, v102, v151
	s_waitcnt vmcnt(30) lgkmcnt(2)
	v_mul_f32_e32 v131, v104, v152
	s_waitcnt vmcnt(29)
	v_mul_f32_e32 v132, v106, v153
	s_waitcnt vmcnt(28) lgkmcnt(1)
	v_mul_f32_e32 v133, v108, v154
	s_waitcnt vmcnt(27)
	v_mul_f32_e32 v134, v110, v155
	s_waitcnt vmcnt(26) lgkmcnt(0)
	v_mul_f32_e32 v137, v112, v156
	s_waitcnt vmcnt(25)
	v_fmac_f32_e32 v116, v7, v157
	s_waitcnt vmcnt(24)
	v_fmac_f32_e32 v117, v9, v158
	v_add_f32_e32 v116, 0, v116
	s_waitcnt vmcnt(23)
	v_fmac_f32_e32 v118, v11, v159
	v_add_f32_e32 v116, v116, v117
	;; [unrolled: 3-line block ×13, first 2 shown]
	v_add_f32_e32 v120, v116, v134
	buffer_load_dword v131, off, s[0:3], 0 offset:292
	buffer_load_dword v130, off, s[0:3], 0 offset:288
	;; [unrolled: 1-line block ×7, first 2 shown]
	s_waitcnt vmcnt(18)
	v_fmac_f32_e32 v137, v113, v171
	ds_read_b128 v[116:119], v4 offset:560
	v_add_f32_e32 v137, v120, v137
	ds_read_b128 v[120:123], v4 offset:576
	buffer_load_dword v143, off, s[0:3], 0 offset:308
	buffer_load_dword v142, off, s[0:3], 0 offset:304
	;; [unrolled: 1-line block ×4, first 2 shown]
	v_mul_f32_e32 v5, v7, v5
	v_fma_f32 v5, v6, v157, -v5
	v_mul_f32_e32 v6, v9, v136
	v_add_f32_e32 v5, 0, v5
	v_fma_f32 v6, v8, v158, -v6
	v_add_f32_e32 v5, v5, v6
	v_mul_f32_e32 v6, v11, v138
	v_fma_f32 v6, v10, v159, -v6
	v_add_f32_e32 v5, v5, v6
	v_mul_f32_e32 v6, v13, v140
	;; [unrolled: 3-line block ×13, first 2 shown]
	v_fma_f32 v6, v112, v171, -v6
	s_waitcnt vmcnt(13)
	v_mov_b32_e32 v96, v127
	v_mul_f32_e32 v139, v114, v172
	v_add_f32_e32 v136, v5, v6
	v_mul_f32_e32 v5, v115, v172
	s_waitcnt lgkmcnt(1)
	v_pk_mul_f32 v[96:97], v[118:119], v[96:97] op_sel_hi:[1,0]
	v_fmac_f32_e32 v139, v115, v173
	v_mul_f32_e32 v141, v116, v174
	v_fma_f32 v138, v114, v173, -v5
	v_mul_f32_e32 v5, v117, v174
	s_waitcnt vmcnt(12)
	v_pk_fma_f32 v[98:99], v[118:119], v[126:127], v[96:97] op_sel:[0,0,1] op_sel_hi:[1,1,0] neg_lo:[0,0,1] neg_hi:[0,0,1]
	v_pk_fma_f32 v[96:97], v[118:119], v[126:127], v[96:97] op_sel:[0,0,1] op_sel_hi:[1,0,0]
	v_fmac_f32_e32 v141, v117, v175
	v_fma_f32 v140, v116, v175, -v5
	v_pk_add_f32 v[16:17], v[136:137], v[138:139]
	v_mov_b32_e32 v96, v125
	v_pk_add_f32 v[16:17], v[16:17], v[140:141]
	v_mov_b32_e32 v99, v97
	s_waitcnt lgkmcnt(0)
	v_pk_mul_f32 v[96:97], v[120:121], v[96:97] op_sel_hi:[1,0]
	v_pk_add_f32 v[16:17], v[16:17], v[98:99]
	v_pk_fma_f32 v[98:99], v[120:121], v[124:125], v[96:97] op_sel:[0,0,1] op_sel_hi:[1,1,0] neg_lo:[0,0,1] neg_hi:[0,0,1]
	v_pk_fma_f32 v[96:97], v[120:121], v[124:125], v[96:97] op_sel:[0,0,1] op_sel_hi:[1,0,0]
	s_waitcnt vmcnt(11)
	v_mov_b32_e32 v96, v129
	ds_read_b128 v[6:9], v4 offset:592
	ds_read_b128 v[10:13], v4 offset:608
	ds_read_b64 v[14:15], v4 offset:624
	v_mov_b32_e32 v99, v97
	v_pk_mul_f32 v[96:97], v[122:123], v[96:97] op_sel_hi:[1,0]
	v_pk_add_f32 v[16:17], v[16:17], v[98:99]
	s_waitcnt vmcnt(4)
	v_pk_fma_f32 v[98:99], v[122:123], v[128:129], v[96:97] op_sel:[0,0,1] op_sel_hi:[1,1,0] neg_lo:[0,0,1] neg_hi:[0,0,1]
	v_pk_fma_f32 v[96:97], v[122:123], v[128:129], v[96:97] op_sel:[0,0,1] op_sel_hi:[1,0,0]
	v_mov_b32_e32 v96, v135
	v_mov_b32_e32 v99, v97
	s_waitcnt lgkmcnt(2)
	v_pk_mul_f32 v[96:97], v[6:7], v[96:97] op_sel_hi:[1,0]
	v_pk_add_f32 v[16:17], v[16:17], v[98:99]
	v_pk_fma_f32 v[98:99], v[6:7], v[134:135], v[96:97] op_sel:[0,0,1] op_sel_hi:[1,1,0] neg_lo:[0,0,1] neg_hi:[0,0,1]
	v_pk_fma_f32 v[6:7], v[6:7], v[134:135], v[96:97] op_sel:[0,0,1] op_sel_hi:[1,0,0]
	v_mov_b32_e32 v99, v7
	v_pk_add_f32 v[6:7], v[16:17], v[98:99]
	v_mov_b32_e32 v16, v133
	v_pk_mul_f32 v[16:17], v[8:9], v[16:17] op_sel_hi:[1,0]
	v_pk_fma_f32 v[96:97], v[8:9], v[132:133], v[16:17] op_sel:[0,0,1] op_sel_hi:[1,1,0] neg_lo:[0,0,1] neg_hi:[0,0,1]
	v_pk_fma_f32 v[8:9], v[8:9], v[132:133], v[16:17] op_sel:[0,0,1] op_sel_hi:[1,0,0]
	v_mov_b32_e32 v8, v131
	v_mov_b32_e32 v97, v9
	s_waitcnt lgkmcnt(1)
	v_pk_mul_f32 v[8:9], v[10:11], v[8:9] op_sel_hi:[1,0]
	v_pk_fma_f32 v[16:17], v[10:11], v[130:131], v[8:9] op_sel:[0,0,1] op_sel_hi:[1,1,0] neg_lo:[0,0,1] neg_hi:[0,0,1]
	v_pk_fma_f32 v[8:9], v[10:11], v[130:131], v[8:9] op_sel:[0,0,1] op_sel_hi:[1,0,0]
	s_waitcnt vmcnt(1)
	v_mov_b32_e32 v8, v145
	v_mov_b32_e32 v17, v9
	v_pk_mul_f32 v[8:9], v[12:13], v[8:9] op_sel_hi:[1,0]
	s_waitcnt vmcnt(0)
	v_pk_fma_f32 v[10:11], v[12:13], v[144:145], v[8:9] op_sel:[0,0,1] op_sel_hi:[1,1,0] neg_lo:[0,0,1] neg_hi:[0,0,1]
	v_pk_fma_f32 v[8:9], v[12:13], v[144:145], v[8:9] op_sel:[0,0,1] op_sel_hi:[1,0,0]
	v_pk_add_f32 v[6:7], v[6:7], v[96:97]
	v_mov_b32_e32 v8, v143
	v_pk_add_f32 v[6:7], v[6:7], v[16:17]
	v_mov_b32_e32 v11, v9
	s_waitcnt lgkmcnt(0)
	v_pk_mul_f32 v[8:9], v[14:15], v[8:9] op_sel_hi:[1,0]
	v_pk_add_f32 v[6:7], v[6:7], v[10:11]
	v_pk_fma_f32 v[10:11], v[14:15], v[142:143], v[8:9] op_sel:[0,0,1] op_sel_hi:[1,1,0] neg_lo:[0,0,1] neg_hi:[0,0,1]
	v_pk_fma_f32 v[8:9], v[14:15], v[142:143], v[8:9] op_sel:[0,0,1] op_sel_hi:[1,0,0]
	v_mov_b32_e32 v11, v9
	v_pk_add_f32 v[6:7], v[6:7], v[10:11]
	v_pk_add_f32 v[2:3], v[2:3], v[6:7] neg_lo:[0,1] neg_hi:[0,1]
	buffer_store_dword v3, off, s[0:3], 0 offset:108
	buffer_store_dword v2, off, s[0:3], 0 offset:104
	s_and_saveexec_b64 s[4:5], vcc
	s_cbranch_execz .LBB38_223
; %bb.222:
	buffer_load_dword v2, off, s[0:3], 0 offset:96
	buffer_load_dword v3, off, s[0:3], 0 offset:100
	s_waitcnt vmcnt(0)
	ds_write_b64 v1, v[2:3]
	buffer_store_dword v4, off, s[0:3], 0 offset:96
	buffer_store_dword v4, off, s[0:3], 0 offset:100
.LBB38_223:
	s_or_b64 exec, exec, s[4:5]
	s_waitcnt lgkmcnt(0)
	; wave barrier
	s_waitcnt lgkmcnt(0)
	buffer_load_dword v2, off, s[0:3], 0 offset:108
	buffer_load_dword v3, off, s[0:3], 0 offset:116
	;; [unrolled: 1-line block ×38, first 2 shown]
	ds_read2_b64 v[6:9], v4 offset0:53 offset1:54
	ds_read2_b64 v[10:13], v4 offset0:55 offset1:56
	;; [unrolled: 1-line block ×8, first 2 shown]
	buffer_load_dword v127, off, s[0:3], 0 offset:252
	buffer_load_dword v126, off, s[0:3], 0 offset:248
	;; [unrolled: 1-line block ×4, first 2 shown]
	v_cmp_lt_u32_e32 vcc, 11, v0
	s_waitcnt vmcnt(41) lgkmcnt(7)
	v_mul_f32_e32 v116, v6, v2
	s_waitcnt vmcnt(40)
	v_mul_f32_e32 v117, v8, v3
	s_waitcnt vmcnt(39) lgkmcnt(6)
	v_mul_f32_e32 v118, v10, v5
	s_waitcnt vmcnt(38)
	v_mul_f32_e32 v119, v12, v136
	;; [unrolled: 4-line block ×7, first 2 shown]
	s_waitcnt vmcnt(27) lgkmcnt(0)
	v_mul_f32_e32 v137, v112, v156
	s_waitcnt vmcnt(26)
	v_fmac_f32_e32 v116, v7, v157
	s_waitcnt vmcnt(25)
	v_fmac_f32_e32 v117, v9, v158
	v_add_f32_e32 v116, 0, v116
	s_waitcnt vmcnt(24)
	v_fmac_f32_e32 v118, v11, v159
	v_add_f32_e32 v116, v116, v117
	;; [unrolled: 3-line block ×13, first 2 shown]
	v_add_f32_e32 v116, v116, v135
	buffer_load_dword v131, off, s[0:3], 0 offset:276
	buffer_load_dword v130, off, s[0:3], 0 offset:272
	;; [unrolled: 1-line block ×6, first 2 shown]
	s_waitcnt vmcnt(18)
	v_fmac_f32_e32 v137, v113, v171
	s_waitcnt vmcnt(17)
	v_mul_f32_e32 v121, v114, v172
	v_add_f32_e32 v120, v116, v137
	s_waitcnt vmcnt(16)
	v_fmac_f32_e32 v121, v115, v173
	ds_read2_b64 v[116:119], v4 offset0:69 offset1:70
	v_add_f32_e32 v137, v120, v121
	ds_read2_b64 v[120:123], v4 offset0:71 offset1:72
	buffer_load_dword v143, off, s[0:3], 0 offset:308
	buffer_load_dword v142, off, s[0:3], 0 offset:304
	;; [unrolled: 1-line block ×6, first 2 shown]
	v_mul_f32_e32 v2, v7, v2
	v_fma_f32 v2, v6, v157, -v2
	v_mul_f32_e32 v3, v9, v3
	v_add_f32_e32 v2, 0, v2
	v_fma_f32 v3, v8, v158, -v3
	v_add_f32_e32 v2, v2, v3
	v_mul_f32_e32 v3, v11, v5
	v_fma_f32 v3, v10, v159, -v3
	v_add_f32_e32 v2, v2, v3
	v_mul_f32_e32 v3, v13, v136
	;; [unrolled: 3-line block ×14, first 2 shown]
	v_fma_f32 v3, v114, v173, -v3
	s_waitcnt vmcnt(15)
	v_mov_b32_e32 v16, v127
	s_waitcnt lgkmcnt(1)
	v_mul_f32_e32 v139, v116, v174
	v_add_f32_e32 v136, v2, v3
	v_mul_f32_e32 v2, v117, v174
	s_waitcnt lgkmcnt(0)
	v_pk_mul_f32 v[16:17], v[120:121], v[16:17] op_sel_hi:[1,0]
	v_fmac_f32_e32 v139, v117, v175
	v_mul_f32_e32 v141, v118, v176
	v_fma_f32 v138, v116, v175, -v2
	v_mul_f32_e32 v2, v119, v176
	s_waitcnt vmcnt(14)
	v_pk_fma_f32 v[96:97], v[120:121], v[126:127], v[16:17] op_sel:[0,0,1] op_sel_hi:[1,1,0] neg_lo:[0,0,1] neg_hi:[0,0,1]
	v_pk_fma_f32 v[16:17], v[120:121], v[126:127], v[16:17] op_sel:[0,0,1] op_sel_hi:[1,0,0]
	v_fmac_f32_e32 v141, v119, v177
	v_fma_f32 v140, v118, v177, -v2
	v_pk_add_f32 v[14:15], v[136:137], v[138:139]
	ds_read2_b64 v[6:9], v4 offset0:73 offset1:74
	ds_read2_b64 v[10:13], v4 offset0:75 offset1:76
	;; [unrolled: 1-line block ×3, first 2 shown]
	v_pk_add_f32 v[14:15], v[14:15], v[140:141]
	v_mov_b32_e32 v97, v17
	v_pk_add_f32 v[14:15], v[14:15], v[96:97]
	s_waitcnt vmcnt(7)
	v_mov_b32_e32 v16, v135
	v_pk_mul_f32 v[16:17], v[122:123], v[16:17] op_sel_hi:[1,0]
	s_waitcnt vmcnt(6)
	v_pk_fma_f32 v[96:97], v[122:123], v[134:135], v[16:17] op_sel:[0,0,1] op_sel_hi:[1,1,0] neg_lo:[0,0,1] neg_hi:[0,0,1]
	v_pk_fma_f32 v[16:17], v[122:123], v[134:135], v[16:17] op_sel:[0,0,1] op_sel_hi:[1,0,0]
	v_mov_b32_e32 v16, v133
	v_mov_b32_e32 v97, v17
	s_waitcnt lgkmcnt(2)
	v_pk_mul_f32 v[16:17], v[6:7], v[16:17] op_sel_hi:[1,0]
	v_pk_add_f32 v[14:15], v[14:15], v[96:97]
	v_pk_fma_f32 v[96:97], v[6:7], v[132:133], v[16:17] op_sel:[0,0,1] op_sel_hi:[1,1,0] neg_lo:[0,0,1] neg_hi:[0,0,1]
	v_pk_fma_f32 v[6:7], v[6:7], v[132:133], v[16:17] op_sel:[0,0,1] op_sel_hi:[1,0,0]
	v_mov_b32_e32 v97, v7
	v_pk_add_f32 v[6:7], v[14:15], v[96:97]
	v_mov_b32_e32 v14, v131
	v_pk_mul_f32 v[14:15], v[8:9], v[14:15] op_sel_hi:[1,0]
	v_pk_fma_f32 v[16:17], v[8:9], v[130:131], v[14:15] op_sel:[0,0,1] op_sel_hi:[1,1,0] neg_lo:[0,0,1] neg_hi:[0,0,1]
	v_pk_fma_f32 v[8:9], v[8:9], v[130:131], v[14:15] op_sel:[0,0,1] op_sel_hi:[1,0,0]
	v_mov_b32_e32 v8, v129
	v_mov_b32_e32 v17, v9
	s_waitcnt lgkmcnt(1)
	v_pk_mul_f32 v[8:9], v[10:11], v[8:9] op_sel_hi:[1,0]
	v_pk_fma_f32 v[14:15], v[10:11], v[128:129], v[8:9] op_sel:[0,0,1] op_sel_hi:[1,1,0] neg_lo:[0,0,1] neg_hi:[0,0,1]
	v_pk_fma_f32 v[8:9], v[10:11], v[128:129], v[8:9] op_sel:[0,0,1] op_sel_hi:[1,0,0]
	s_waitcnt vmcnt(1)
	v_mov_b32_e32 v8, v147
	v_mov_b32_e32 v15, v9
	v_pk_mul_f32 v[8:9], v[12:13], v[8:9] op_sel_hi:[1,0]
	s_waitcnt vmcnt(0)
	v_pk_fma_f32 v[10:11], v[12:13], v[146:147], v[8:9] op_sel:[0,0,1] op_sel_hi:[1,1,0] neg_lo:[0,0,1] neg_hi:[0,0,1]
	v_pk_fma_f32 v[8:9], v[12:13], v[146:147], v[8:9] op_sel:[0,0,1] op_sel_hi:[1,0,0]
	v_pk_add_f32 v[6:7], v[6:7], v[16:17]
	v_mov_b32_e32 v8, v145
	v_pk_add_f32 v[6:7], v[6:7], v[14:15]
	v_mov_b32_e32 v11, v9
	s_waitcnt lgkmcnt(0)
	v_pk_mul_f32 v[8:9], v[2:3], v[8:9] op_sel_hi:[1,0]
	v_pk_add_f32 v[6:7], v[6:7], v[10:11]
	v_pk_fma_f32 v[10:11], v[2:3], v[144:145], v[8:9] op_sel:[0,0,1] op_sel_hi:[1,1,0] neg_lo:[0,0,1] neg_hi:[0,0,1]
	v_pk_fma_f32 v[2:3], v[2:3], v[144:145], v[8:9] op_sel:[0,0,1] op_sel_hi:[1,0,0]
	v_mov_b32_e32 v11, v3
	v_pk_add_f32 v[2:3], v[6:7], v[10:11]
	v_mov_b32_e32 v6, v143
	v_pk_mul_f32 v[6:7], v[4:5], v[6:7] op_sel_hi:[1,0]
	v_pk_fma_f32 v[8:9], v[4:5], v[142:143], v[6:7] op_sel:[0,0,1] op_sel_hi:[1,1,0] neg_lo:[0,0,1] neg_hi:[0,0,1]
	v_pk_fma_f32 v[4:5], v[4:5], v[142:143], v[6:7] op_sel:[0,0,1] op_sel_hi:[1,0,0]
	v_mov_b32_e32 v9, v5
	v_pk_add_f32 v[2:3], v[2:3], v[8:9]
	v_pk_add_f32 v[2:3], v[124:125], v[2:3] neg_lo:[0,1] neg_hi:[0,1]
	buffer_store_dword v3, off, s[0:3], 0 offset:100
	buffer_store_dword v2, off, s[0:3], 0 offset:96
	s_and_saveexec_b64 s[4:5], vcc
	s_cbranch_execz .LBB38_225
; %bb.224:
	buffer_load_dword v2, off, s[0:3], 0 offset:88
	buffer_load_dword v3, off, s[0:3], 0 offset:92
	v_mov_b32_e32 v4, 0
	buffer_store_dword v4, off, s[0:3], 0 offset:88
	buffer_store_dword v4, off, s[0:3], 0 offset:92
	s_waitcnt vmcnt(2)
	ds_write_b64 v1, v[2:3]
.LBB38_225:
	s_or_b64 exec, exec, s[4:5]
	s_waitcnt lgkmcnt(0)
	; wave barrier
	s_waitcnt lgkmcnt(0)
	buffer_load_dword v5, off, s[0:3], 0 offset:100
	buffer_load_dword v132, off, s[0:3], 0 offset:108
	;; [unrolled: 1-line block ×40, first 2 shown]
	v_mov_b32_e32 v4, 0
	ds_read_b128 v[6:9], v4 offset:416
	ds_read_b128 v[10:13], v4 offset:432
	ds_read_b128 v[14:17], v4 offset:448
	ds_read_b128 v[96:99], v4 offset:464
	ds_read_b128 v[100:103], v4 offset:480
	ds_read_b128 v[104:107], v4 offset:496
	ds_read_b128 v[108:111], v4 offset:512
	ds_read_b128 v[112:115], v4 offset:528
	v_cmp_lt_u32_e32 vcc, 10, v0
	s_waitcnt vmcnt(39) lgkmcnt(7)
	v_mul_f32_e32 v116, v6, v5
	s_waitcnt vmcnt(38)
	v_mul_f32_e32 v117, v8, v132
	s_waitcnt vmcnt(37) lgkmcnt(6)
	v_mul_f32_e32 v118, v10, v134
	s_waitcnt vmcnt(36)
	v_mul_f32_e32 v119, v12, v136
	s_waitcnt vmcnt(35) lgkmcnt(5)
	v_mul_f32_e32 v120, v14, v146
	s_waitcnt vmcnt(34)
	v_mul_f32_e32 v121, v16, v147
	s_waitcnt vmcnt(33) lgkmcnt(4)
	v_mul_f32_e32 v122, v96, v148
	s_waitcnt vmcnt(32)
	v_mul_f32_e32 v123, v98, v149
	s_waitcnt vmcnt(31) lgkmcnt(3)
	v_mul_f32_e32 v124, v100, v150
	s_waitcnt vmcnt(30)
	v_mul_f32_e32 v125, v102, v151
	s_waitcnt vmcnt(29) lgkmcnt(2)
	v_mul_f32_e32 v126, v104, v152
	s_waitcnt vmcnt(28)
	v_mul_f32_e32 v127, v106, v153
	s_waitcnt vmcnt(27) lgkmcnt(1)
	v_mul_f32_e32 v128, v108, v154
	s_waitcnt vmcnt(26)
	v_mul_f32_e32 v129, v110, v155
	s_waitcnt vmcnt(25) lgkmcnt(0)
	v_mul_f32_e32 v130, v112, v156
	s_waitcnt vmcnt(24)
	v_mul_f32_e32 v131, v114, v157
	s_waitcnt vmcnt(23)
	v_fmac_f32_e32 v116, v7, v158
	s_waitcnt vmcnt(22)
	v_fmac_f32_e32 v117, v9, v159
	v_add_f32_e32 v116, 0, v116
	s_waitcnt vmcnt(21)
	v_fmac_f32_e32 v118, v11, v160
	v_add_f32_e32 v116, v116, v117
	;; [unrolled: 3-line block ×14, first 2 shown]
	v_add_f32_e32 v116, v116, v130
	s_waitcnt vmcnt(8)
	v_fmac_f32_e32 v131, v115, v173
	v_add_f32_e32 v133, v116, v131
	ds_read_b128 v[116:119], v4 offset:544
	buffer_load_dword v125, off, s[0:3], 0 offset:252
	buffer_load_dword v127, off, s[0:3], 0 offset:276
	;; [unrolled: 1-line block ×8, first 2 shown]
	ds_read_b128 v[120:123], v4 offset:560
	buffer_load_dword v139, off, s[0:3], 0 offset:308
	buffer_load_dword v138, off, s[0:3], 0 offset:304
	;; [unrolled: 1-line block ×8, first 2 shown]
	v_mul_f32_e32 v5, v7, v5
	v_fma_f32 v5, v6, v158, -v5
	v_mul_f32_e32 v6, v9, v132
	v_add_f32_e32 v5, 0, v5
	v_fma_f32 v6, v8, v159, -v6
	v_add_f32_e32 v5, v5, v6
	v_mul_f32_e32 v6, v11, v134
	v_fma_f32 v6, v10, v160, -v6
	v_add_f32_e32 v5, v5, v6
	v_mul_f32_e32 v6, v13, v136
	;; [unrolled: 3-line block ×14, first 2 shown]
	v_fma_f32 v6, v114, v173, -v6
	s_waitcnt vmcnt(23) lgkmcnt(1)
	v_mul_f32_e32 v135, v116, v174
	v_add_f32_e32 v5, v5, v6
	v_mul_f32_e32 v6, v117, v174
	s_waitcnt vmcnt(22)
	v_fmac_f32_e32 v135, v117, v175
	v_fma_f32 v6, v116, v175, -v6
	v_add_f32_e32 v133, v133, v135
	s_waitcnt vmcnt(21)
	v_mul_f32_e32 v135, v118, v176
	v_add_f32_e32 v132, v5, v6
	v_mul_f32_e32 v5, v119, v176
	s_waitcnt vmcnt(20)
	v_fmac_f32_e32 v135, v119, v177
	s_waitcnt vmcnt(19) lgkmcnt(0)
	v_mul_f32_e32 v137, v120, v178
	v_fma_f32 v134, v118, v177, -v5
	v_mul_f32_e32 v5, v121, v178
	ds_read_b128 v[6:9], v4 offset:576
	ds_read_b128 v[10:13], v4 offset:592
	;; [unrolled: 1-line block ×3, first 2 shown]
	ds_read_b64 v[96:97], v4 offset:624
	s_waitcnt vmcnt(18)
	v_fmac_f32_e32 v137, v121, v179
	v_fma_f32 v136, v120, v179, -v5
	v_pk_add_f32 v[98:99], v[132:133], v[134:135]
	v_pk_add_f32 v[98:99], v[98:99], v[136:137]
	s_waitcnt vmcnt(15)
	v_mov_b32_e32 v100, v125
	v_pk_mul_f32 v[100:101], v[122:123], v[100:101] op_sel_hi:[1,0]
	s_waitcnt vmcnt(8)
	v_pk_fma_f32 v[102:103], v[122:123], v[124:125], v[100:101] op_sel:[0,0,1] op_sel_hi:[1,1,0] neg_lo:[0,0,1] neg_hi:[0,0,1]
	v_pk_fma_f32 v[100:101], v[122:123], v[124:125], v[100:101] op_sel:[0,0,1] op_sel_hi:[1,0,0]
	v_mov_b32_e32 v100, v131
	v_mov_b32_e32 v103, v101
	s_waitcnt lgkmcnt(3)
	v_pk_mul_f32 v[100:101], v[6:7], v[100:101] op_sel_hi:[1,0]
	v_pk_add_f32 v[98:99], v[98:99], v[102:103]
	v_pk_fma_f32 v[102:103], v[6:7], v[130:131], v[100:101] op_sel:[0,0,1] op_sel_hi:[1,1,0] neg_lo:[0,0,1] neg_hi:[0,0,1]
	v_pk_fma_f32 v[6:7], v[6:7], v[130:131], v[100:101] op_sel:[0,0,1] op_sel_hi:[1,0,0]
	v_mov_b32_e32 v103, v7
	v_pk_add_f32 v[6:7], v[98:99], v[102:103]
	v_mov_b32_e32 v98, v129
	v_pk_mul_f32 v[98:99], v[8:9], v[98:99] op_sel_hi:[1,0]
	v_pk_fma_f32 v[100:101], v[8:9], v[128:129], v[98:99] op_sel:[0,0,1] op_sel_hi:[1,1,0] neg_lo:[0,0,1] neg_hi:[0,0,1]
	v_pk_fma_f32 v[8:9], v[8:9], v[128:129], v[98:99] op_sel:[0,0,1] op_sel_hi:[1,0,0]
	v_mov_b32_e32 v8, v127
	v_mov_b32_e32 v101, v9
	s_waitcnt lgkmcnt(2)
	v_pk_mul_f32 v[8:9], v[10:11], v[8:9] op_sel_hi:[1,0]
	v_pk_fma_f32 v[98:99], v[10:11], v[126:127], v[8:9] op_sel:[0,0,1] op_sel_hi:[1,1,0] neg_lo:[0,0,1] neg_hi:[0,0,1]
	v_pk_fma_f32 v[8:9], v[10:11], v[126:127], v[8:9] op_sel:[0,0,1] op_sel_hi:[1,0,0]
	s_waitcnt vmcnt(1)
	v_mov_b32_e32 v8, v145
	v_mov_b32_e32 v99, v9
	v_pk_mul_f32 v[8:9], v[12:13], v[8:9] op_sel_hi:[1,0]
	s_waitcnt vmcnt(0)
	v_pk_fma_f32 v[10:11], v[12:13], v[144:145], v[8:9] op_sel:[0,0,1] op_sel_hi:[1,1,0] neg_lo:[0,0,1] neg_hi:[0,0,1]
	v_pk_fma_f32 v[8:9], v[12:13], v[144:145], v[8:9] op_sel:[0,0,1] op_sel_hi:[1,0,0]
	v_pk_add_f32 v[6:7], v[6:7], v[100:101]
	v_mov_b32_e32 v8, v143
	v_pk_add_f32 v[6:7], v[6:7], v[98:99]
	v_mov_b32_e32 v11, v9
	s_waitcnt lgkmcnt(1)
	v_pk_mul_f32 v[8:9], v[14:15], v[8:9] op_sel_hi:[1,0]
	v_pk_add_f32 v[6:7], v[6:7], v[10:11]
	v_pk_fma_f32 v[10:11], v[14:15], v[142:143], v[8:9] op_sel:[0,0,1] op_sel_hi:[1,1,0] neg_lo:[0,0,1] neg_hi:[0,0,1]
	v_pk_fma_f32 v[8:9], v[14:15], v[142:143], v[8:9] op_sel:[0,0,1] op_sel_hi:[1,0,0]
	v_mov_b32_e32 v8, v141
	v_mov_b32_e32 v11, v9
	v_pk_mul_f32 v[8:9], v[16:17], v[8:9] op_sel_hi:[1,0]
	v_pk_add_f32 v[6:7], v[6:7], v[10:11]
	v_pk_fma_f32 v[10:11], v[16:17], v[140:141], v[8:9] op_sel:[0,0,1] op_sel_hi:[1,1,0] neg_lo:[0,0,1] neg_hi:[0,0,1]
	v_pk_fma_f32 v[8:9], v[16:17], v[140:141], v[8:9] op_sel:[0,0,1] op_sel_hi:[1,0,0]
	v_mov_b32_e32 v8, v139
	v_mov_b32_e32 v11, v9
	s_waitcnt lgkmcnt(0)
	v_pk_mul_f32 v[8:9], v[96:97], v[8:9] op_sel_hi:[1,0]
	v_pk_add_f32 v[6:7], v[6:7], v[10:11]
	v_pk_fma_f32 v[10:11], v[96:97], v[138:139], v[8:9] op_sel:[0,0,1] op_sel_hi:[1,1,0] neg_lo:[0,0,1] neg_hi:[0,0,1]
	v_pk_fma_f32 v[8:9], v[96:97], v[138:139], v[8:9] op_sel:[0,0,1] op_sel_hi:[1,0,0]
	v_mov_b32_e32 v11, v9
	v_pk_add_f32 v[6:7], v[6:7], v[10:11]
	v_pk_add_f32 v[2:3], v[2:3], v[6:7] neg_lo:[0,1] neg_hi:[0,1]
	buffer_store_dword v3, off, s[0:3], 0 offset:92
	buffer_store_dword v2, off, s[0:3], 0 offset:88
	s_and_saveexec_b64 s[4:5], vcc
	s_cbranch_execz .LBB38_227
; %bb.226:
	buffer_load_dword v2, off, s[0:3], 0 offset:80
	buffer_load_dword v3, off, s[0:3], 0 offset:84
	s_waitcnt vmcnt(0)
	ds_write_b64 v1, v[2:3]
	buffer_store_dword v4, off, s[0:3], 0 offset:80
	buffer_store_dword v4, off, s[0:3], 0 offset:84
.LBB38_227:
	s_or_b64 exec, exec, s[4:5]
	s_waitcnt lgkmcnt(0)
	; wave barrier
	s_waitcnt lgkmcnt(0)
	buffer_load_dword v5, off, s[0:3], 0 offset:92
	buffer_load_dword v124, off, s[0:3], 0 offset:100
	buffer_load_dword v126, off, s[0:3], 0 offset:108
	buffer_load_dword v134, off, s[0:3], 0 offset:116
	buffer_load_dword v146, off, s[0:3], 0 offset:124
	buffer_load_dword v147, off, s[0:3], 0 offset:132
	buffer_load_dword v148, off, s[0:3], 0 offset:140
	buffer_load_dword v149, off, s[0:3], 0 offset:148
	buffer_load_dword v150, off, s[0:3], 0 offset:156
	buffer_load_dword v151, off, s[0:3], 0 offset:164
	buffer_load_dword v152, off, s[0:3], 0 offset:172
	buffer_load_dword v153, off, s[0:3], 0 offset:180
	buffer_load_dword v154, off, s[0:3], 0 offset:188
	buffer_load_dword v155, off, s[0:3], 0 offset:196
	buffer_load_dword v156, off, s[0:3], 0 offset:204
	buffer_load_dword v157, off, s[0:3], 0 offset:88
	buffer_load_dword v158, off, s[0:3], 0 offset:96
	buffer_load_dword v159, off, s[0:3], 0 offset:104
	buffer_load_dword v160, off, s[0:3], 0 offset:112
	buffer_load_dword v161, off, s[0:3], 0 offset:120
	buffer_load_dword v162, off, s[0:3], 0 offset:128
	buffer_load_dword v163, off, s[0:3], 0 offset:136
	buffer_load_dword v164, off, s[0:3], 0 offset:144
	buffer_load_dword v165, off, s[0:3], 0 offset:152
	buffer_load_dword v166, off, s[0:3], 0 offset:160
	buffer_load_dword v167, off, s[0:3], 0 offset:168
	buffer_load_dword v168, off, s[0:3], 0 offset:176
	buffer_load_dword v169, off, s[0:3], 0 offset:184
	buffer_load_dword v170, off, s[0:3], 0 offset:192
	buffer_load_dword v171, off, s[0:3], 0 offset:200
	buffer_load_dword v172, off, s[0:3], 0 offset:212
	buffer_load_dword v173, off, s[0:3], 0 offset:208
	buffer_load_dword v174, off, s[0:3], 0 offset:220
	buffer_load_dword v175, off, s[0:3], 0 offset:216
	buffer_load_dword v176, off, s[0:3], 0 offset:228
	buffer_load_dword v177, off, s[0:3], 0 offset:224
	buffer_load_dword v178, off, s[0:3], 0 offset:236
	buffer_load_dword v179, off, s[0:3], 0 offset:232
	buffer_load_dword v180, off, s[0:3], 0 offset:244
	buffer_load_dword v181, off, s[0:3], 0 offset:240
	buffer_load_dword v2, off, s[0:3], 0 offset:80
	buffer_load_dword v3, off, s[0:3], 0 offset:84
	ds_read2_b64 v[6:9], v4 offset0:51 offset1:52
	ds_read2_b64 v[10:13], v4 offset0:53 offset1:54
	;; [unrolled: 1-line block ×8, first 2 shown]
	v_cmp_lt_u32_e32 vcc, 9, v0
	s_waitcnt vmcnt(41) lgkmcnt(7)
	v_mul_f32_e32 v116, v6, v5
	s_waitcnt vmcnt(40)
	v_mul_f32_e32 v117, v8, v124
	s_waitcnt vmcnt(39) lgkmcnt(6)
	v_mul_f32_e32 v118, v10, v126
	s_waitcnt vmcnt(38)
	v_mul_f32_e32 v119, v12, v134
	;; [unrolled: 4-line block ×7, first 2 shown]
	s_waitcnt vmcnt(27) lgkmcnt(0)
	v_mul_f32_e32 v132, v112, v156
	s_waitcnt vmcnt(26)
	v_fmac_f32_e32 v116, v7, v157
	s_waitcnt vmcnt(25)
	v_fmac_f32_e32 v117, v9, v158
	v_add_f32_e32 v116, 0, v116
	s_waitcnt vmcnt(24)
	v_fmac_f32_e32 v118, v11, v159
	v_add_f32_e32 v116, v116, v117
	;; [unrolled: 3-line block ×14, first 2 shown]
	s_waitcnt vmcnt(11)
	v_mul_f32_e32 v121, v114, v172
	v_add_f32_e32 v120, v116, v132
	s_waitcnt vmcnt(10)
	v_fmac_f32_e32 v121, v115, v173
	ds_read2_b64 v[116:119], v4 offset0:67 offset1:68
	v_add_f32_e32 v125, v120, v121
	ds_read2_b64 v[120:123], v4 offset0:69 offset1:70
	buffer_load_dword v129, off, s[0:3], 0 offset:252
	buffer_load_dword v131, off, s[0:3], 0 offset:268
	;; [unrolled: 1-line block ×16, first 2 shown]
	v_mul_f32_e32 v5, v7, v5
	v_fma_f32 v5, v6, v157, -v5
	v_mul_f32_e32 v6, v9, v124
	v_add_f32_e32 v5, 0, v5
	v_fma_f32 v6, v8, v158, -v6
	v_add_f32_e32 v5, v5, v6
	v_mul_f32_e32 v6, v11, v126
	v_fma_f32 v6, v10, v159, -v6
	v_add_f32_e32 v5, v5, v6
	v_mul_f32_e32 v6, v13, v134
	;; [unrolled: 3-line block ×14, first 2 shown]
	v_fma_f32 v6, v114, v173, -v6
	v_add_f32_e32 v5, v5, v6
	s_waitcnt vmcnt(25) lgkmcnt(1)
	v_mul_f32_e32 v6, v117, v174
	s_waitcnt vmcnt(24)
	v_fma_f32 v6, v116, v175, -v6
	v_add_f32_e32 v5, v5, v6
	s_waitcnt vmcnt(23)
	v_mul_f32_e32 v6, v119, v176
	s_waitcnt vmcnt(22)
	v_fma_f32 v6, v118, v177, -v6
	v_add_f32_e32 v124, v5, v6
	ds_read2_b64 v[6:9], v4 offset0:71 offset1:72
	ds_read2_b64 v[10:13], v4 offset0:73 offset1:74
	;; [unrolled: 1-line block ×4, first 2 shown]
	v_mul_f32_e32 v127, v116, v174
	v_fmac_f32_e32 v127, v117, v175
	v_add_f32_e32 v125, v125, v127
	v_mul_f32_e32 v127, v118, v176
	v_fmac_f32_e32 v127, v119, v177
	v_add_f32_e32 v125, v125, v127
	s_waitcnt vmcnt(21) lgkmcnt(4)
	v_mul_f32_e32 v127, v120, v178
	v_mul_f32_e32 v5, v121, v178
	s_waitcnt vmcnt(20)
	v_fmac_f32_e32 v127, v121, v179
	s_waitcnt vmcnt(19)
	v_mul_f32_e32 v135, v122, v180
	v_fma_f32 v126, v120, v179, -v5
	v_mul_f32_e32 v5, v123, v180
	s_waitcnt vmcnt(18)
	v_fmac_f32_e32 v135, v123, v181
	v_fma_f32 v134, v122, v181, -v5
	v_pk_add_f32 v[4:5], v[124:125], v[126:127]
	v_pk_add_f32 v[4:5], v[4:5], v[134:135]
	s_waitcnt vmcnt(15)
	v_mov_b32_e32 v100, v129
	s_waitcnt lgkmcnt(3)
	v_pk_mul_f32 v[100:101], v[6:7], v[100:101] op_sel_hi:[1,0]
	s_waitcnt vmcnt(10)
	v_pk_fma_f32 v[102:103], v[6:7], v[128:129], v[100:101] op_sel:[0,0,1] op_sel_hi:[1,1,0] neg_lo:[0,0,1] neg_hi:[0,0,1]
	v_pk_fma_f32 v[6:7], v[6:7], v[128:129], v[100:101] op_sel:[0,0,1] op_sel_hi:[1,0,0]
	v_mov_b32_e32 v6, v133
	v_mov_b32_e32 v103, v7
	v_pk_mul_f32 v[6:7], v[8:9], v[6:7] op_sel_hi:[1,0]
	v_pk_fma_f32 v[100:101], v[8:9], v[132:133], v[6:7] op_sel:[0,0,1] op_sel_hi:[1,1,0] neg_lo:[0,0,1] neg_hi:[0,0,1]
	v_pk_fma_f32 v[6:7], v[8:9], v[132:133], v[6:7] op_sel:[0,0,1] op_sel_hi:[1,0,0]
	v_mov_b32_e32 v6, v131
	v_mov_b32_e32 v101, v7
	s_waitcnt lgkmcnt(2)
	v_pk_mul_f32 v[6:7], v[10:11], v[6:7] op_sel_hi:[1,0]
	v_pk_fma_f32 v[8:9], v[10:11], v[130:131], v[6:7] op_sel:[0,0,1] op_sel_hi:[1,1,0] neg_lo:[0,0,1] neg_hi:[0,0,1]
	v_pk_fma_f32 v[6:7], v[10:11], v[130:131], v[6:7] op_sel:[0,0,1] op_sel_hi:[1,0,0]
	v_pk_add_f32 v[4:5], v[4:5], v[102:103]
	s_waitcnt vmcnt(3)
	v_mov_b32_e32 v6, v143
	v_pk_add_f32 v[4:5], v[4:5], v[100:101]
	v_mov_b32_e32 v9, v7
	v_pk_mul_f32 v[6:7], v[12:13], v[6:7] op_sel_hi:[1,0]
	v_pk_add_f32 v[4:5], v[4:5], v[8:9]
	s_waitcnt vmcnt(2)
	v_pk_fma_f32 v[8:9], v[12:13], v[142:143], v[6:7] op_sel:[0,0,1] op_sel_hi:[1,1,0] neg_lo:[0,0,1] neg_hi:[0,0,1]
	v_pk_fma_f32 v[6:7], v[12:13], v[142:143], v[6:7] op_sel:[0,0,1] op_sel_hi:[1,0,0]
	v_mov_b32_e32 v6, v141
	v_mov_b32_e32 v9, v7
	s_waitcnt lgkmcnt(1)
	v_pk_mul_f32 v[6:7], v[14:15], v[6:7] op_sel_hi:[1,0]
	v_pk_add_f32 v[4:5], v[4:5], v[8:9]
	v_pk_fma_f32 v[8:9], v[14:15], v[140:141], v[6:7] op_sel:[0,0,1] op_sel_hi:[1,1,0] neg_lo:[0,0,1] neg_hi:[0,0,1]
	v_pk_fma_f32 v[6:7], v[14:15], v[140:141], v[6:7] op_sel:[0,0,1] op_sel_hi:[1,0,0]
	v_mov_b32_e32 v6, v139
	v_mov_b32_e32 v9, v7
	v_pk_mul_f32 v[6:7], v[16:17], v[6:7] op_sel_hi:[1,0]
	v_pk_add_f32 v[4:5], v[4:5], v[8:9]
	v_pk_fma_f32 v[8:9], v[16:17], v[138:139], v[6:7] op_sel:[0,0,1] op_sel_hi:[1,1,0] neg_lo:[0,0,1] neg_hi:[0,0,1]
	v_pk_fma_f32 v[6:7], v[16:17], v[138:139], v[6:7] op_sel:[0,0,1] op_sel_hi:[1,0,0]
	v_mov_b32_e32 v6, v137
	v_mov_b32_e32 v9, v7
	s_waitcnt lgkmcnt(0)
	v_pk_mul_f32 v[6:7], v[96:97], v[6:7] op_sel_hi:[1,0]
	v_pk_add_f32 v[4:5], v[4:5], v[8:9]
	v_pk_fma_f32 v[8:9], v[96:97], v[136:137], v[6:7] op_sel:[0,0,1] op_sel_hi:[1,1,0] neg_lo:[0,0,1] neg_hi:[0,0,1]
	v_pk_fma_f32 v[6:7], v[96:97], v[136:137], v[6:7] op_sel:[0,0,1] op_sel_hi:[1,0,0]
	s_waitcnt vmcnt(1)
	v_mov_b32_e32 v6, v145
	v_mov_b32_e32 v9, v7
	v_pk_mul_f32 v[6:7], v[98:99], v[6:7] op_sel_hi:[1,0]
	v_pk_add_f32 v[4:5], v[4:5], v[8:9]
	s_waitcnt vmcnt(0)
	v_pk_fma_f32 v[8:9], v[98:99], v[144:145], v[6:7] op_sel:[0,0,1] op_sel_hi:[1,1,0] neg_lo:[0,0,1] neg_hi:[0,0,1]
	v_pk_fma_f32 v[6:7], v[98:99], v[144:145], v[6:7] op_sel:[0,0,1] op_sel_hi:[1,0,0]
	v_mov_b32_e32 v9, v7
	v_pk_add_f32 v[4:5], v[4:5], v[8:9]
	v_pk_add_f32 v[2:3], v[2:3], v[4:5] neg_lo:[0,1] neg_hi:[0,1]
	buffer_store_dword v3, off, s[0:3], 0 offset:84
	buffer_store_dword v2, off, s[0:3], 0 offset:80
	s_and_saveexec_b64 s[4:5], vcc
	s_cbranch_execz .LBB38_229
; %bb.228:
	buffer_load_dword v2, off, s[0:3], 0 offset:72
	buffer_load_dword v3, off, s[0:3], 0 offset:76
	v_mov_b32_e32 v4, 0
	buffer_store_dword v4, off, s[0:3], 0 offset:72
	buffer_store_dword v4, off, s[0:3], 0 offset:76
	s_waitcnt vmcnt(2)
	ds_write_b64 v1, v[2:3]
.LBB38_229:
	s_or_b64 exec, exec, s[4:5]
	s_waitcnt lgkmcnt(0)
	; wave barrier
	s_waitcnt lgkmcnt(0)
	buffer_load_dword v5, off, s[0:3], 0 offset:84
	buffer_load_dword v132, off, s[0:3], 0 offset:92
	;; [unrolled: 1-line block ×44, first 2 shown]
	v_mov_b32_e32 v4, 0
	ds_read_b128 v[6:9], v4 offset:400
	ds_read_b128 v[10:13], v4 offset:416
	;; [unrolled: 1-line block ×8, first 2 shown]
	v_cmp_lt_u32_e32 vcc, 8, v0
	s_waitcnt vmcnt(43) lgkmcnt(7)
	v_mul_f32_e32 v116, v6, v5
	s_waitcnt vmcnt(42)
	v_mul_f32_e32 v117, v8, v132
	s_waitcnt vmcnt(41) lgkmcnt(6)
	v_mul_f32_e32 v118, v10, v138
	s_waitcnt vmcnt(40)
	v_mul_f32_e32 v119, v12, v140
	;; [unrolled: 4-line block ×7, first 2 shown]
	s_waitcnt vmcnt(29)
	v_fmac_f32_e32 v116, v7, v164
	s_waitcnt vmcnt(28)
	v_fmac_f32_e32 v117, v9, v165
	v_add_f32_e32 v116, 0, v116
	s_waitcnt vmcnt(27)
	v_fmac_f32_e32 v118, v11, v166
	v_add_f32_e32 v116, v116, v117
	;; [unrolled: 3-line block ×12, first 2 shown]
	v_add_f32_e32 v116, v116, v128
	s_waitcnt vmcnt(16)
	v_fmac_f32_e32 v129, v111, v177
	s_waitcnt vmcnt(15) lgkmcnt(0)
	v_mul_f32_e32 v117, v112, v178
	v_add_f32_e32 v116, v116, v129
	s_waitcnt vmcnt(14)
	v_fmac_f32_e32 v117, v113, v179
	v_add_f32_e32 v120, v116, v117
	ds_read_b128 v[116:119], v4 offset:528
	s_waitcnt vmcnt(13)
	v_mul_f32_e32 v121, v114, v180
	s_waitcnt vmcnt(12)
	v_fmac_f32_e32 v121, v115, v181
	v_add_f32_e32 v124, v120, v121
	ds_read_b128 v[120:123], v4 offset:544
	s_waitcnt vmcnt(11) lgkmcnt(1)
	v_mul_f32_e32 v125, v116, v182
	s_waitcnt vmcnt(10)
	v_fmac_f32_e32 v125, v117, v183
	v_add_f32_e32 v124, v124, v125
	s_waitcnt vmcnt(9)
	v_mul_f32_e32 v125, v118, v184
	s_waitcnt vmcnt(8)
	v_fmac_f32_e32 v125, v119, v185
	v_add_f32_e32 v124, v124, v125
	s_waitcnt vmcnt(7) lgkmcnt(0)
	v_mul_f32_e32 v125, v120, v186
	s_waitcnt vmcnt(6)
	v_fmac_f32_e32 v125, v121, v187
	v_add_f32_e32 v133, v124, v125
	ds_read_b128 v[124:127], v4 offset:560
	buffer_load_dword v135, off, s[0:3], 0 offset:260
	buffer_load_dword v134, off, s[0:3], 0 offset:256
	buffer_load_dword v137, off, s[0:3], 0 offset:252
	buffer_load_dword v136, off, s[0:3], 0 offset:248
	ds_read_b128 v[128:131], v4 offset:576
	buffer_load_dword v143, off, s[0:3], 0 offset:292
	buffer_load_dword v142, off, s[0:3], 0 offset:288
	;; [unrolled: 1-line block ×12, first 2 shown]
	v_mul_f32_e32 v5, v7, v5
	v_fma_f32 v5, v6, v164, -v5
	v_mul_f32_e32 v6, v9, v132
	v_add_f32_e32 v5, 0, v5
	v_fma_f32 v6, v8, v165, -v6
	v_add_f32_e32 v5, v5, v6
	v_mul_f32_e32 v6, v11, v138
	v_fma_f32 v6, v10, v166, -v6
	v_add_f32_e32 v5, v5, v6
	v_mul_f32_e32 v6, v13, v140
	;; [unrolled: 3-line block ×17, first 2 shown]
	v_fma_f32 v6, v120, v187, -v6
	s_waitcnt vmcnt(21)
	v_mul_f32_e32 v139, v122, v188
	v_add_f32_e32 v132, v5, v6
	v_mul_f32_e32 v5, v123, v188
	s_waitcnt vmcnt(20)
	v_fmac_f32_e32 v139, v123, v189
	s_waitcnt vmcnt(19) lgkmcnt(1)
	v_mul_f32_e32 v141, v124, v190
	v_fma_f32 v138, v122, v189, -v5
	v_mul_f32_e32 v5, v125, v190
	s_waitcnt vmcnt(18)
	v_fmac_f32_e32 v141, v125, v191
	v_fma_f32 v140, v124, v191, -v5
	v_pk_add_f32 v[16:17], v[132:133], v[138:139]
	v_pk_add_f32 v[16:17], v[16:17], v[140:141]
	ds_read_b128 v[6:9], v4 offset:592
	ds_read_b128 v[10:13], v4 offset:608
	ds_read_b64 v[14:15], v4 offset:624
	s_waitcnt vmcnt(13)
	v_mov_b32_e32 v96, v137
	v_pk_mul_f32 v[96:97], v[126:127], v[96:97] op_sel_hi:[1,0]
	s_waitcnt vmcnt(12)
	v_pk_fma_f32 v[98:99], v[126:127], v[136:137], v[96:97] op_sel:[0,0,1] op_sel_hi:[1,1,0] neg_lo:[0,0,1] neg_hi:[0,0,1]
	v_pk_fma_f32 v[96:97], v[126:127], v[136:137], v[96:97] op_sel:[0,0,1] op_sel_hi:[1,0,0]
	v_mov_b32_e32 v96, v135
	v_mov_b32_e32 v99, v97
	s_waitcnt lgkmcnt(3)
	v_pk_mul_f32 v[96:97], v[128:129], v[96:97] op_sel_hi:[1,0]
	v_pk_add_f32 v[16:17], v[16:17], v[98:99]
	v_pk_fma_f32 v[98:99], v[128:129], v[134:135], v[96:97] op_sel:[0,0,1] op_sel_hi:[1,1,0] neg_lo:[0,0,1] neg_hi:[0,0,1]
	v_pk_fma_f32 v[96:97], v[128:129], v[134:135], v[96:97] op_sel:[0,0,1] op_sel_hi:[1,0,0]
	s_waitcnt vmcnt(5)
	v_mov_b32_e32 v96, v149
	v_mov_b32_e32 v99, v97
	v_pk_mul_f32 v[96:97], v[130:131], v[96:97] op_sel_hi:[1,0]
	v_pk_add_f32 v[16:17], v[16:17], v[98:99]
	s_waitcnt vmcnt(4)
	v_pk_fma_f32 v[98:99], v[130:131], v[148:149], v[96:97] op_sel:[0,0,1] op_sel_hi:[1,1,0] neg_lo:[0,0,1] neg_hi:[0,0,1]
	v_pk_fma_f32 v[96:97], v[130:131], v[148:149], v[96:97] op_sel:[0,0,1] op_sel_hi:[1,0,0]
	v_mov_b32_e32 v96, v147
	v_mov_b32_e32 v99, v97
	s_waitcnt lgkmcnt(2)
	v_pk_mul_f32 v[96:97], v[6:7], v[96:97] op_sel_hi:[1,0]
	v_pk_add_f32 v[16:17], v[16:17], v[98:99]
	v_pk_fma_f32 v[98:99], v[6:7], v[146:147], v[96:97] op_sel:[0,0,1] op_sel_hi:[1,1,0] neg_lo:[0,0,1] neg_hi:[0,0,1]
	v_pk_fma_f32 v[6:7], v[6:7], v[146:147], v[96:97] op_sel:[0,0,1] op_sel_hi:[1,0,0]
	v_mov_b32_e32 v99, v7
	v_pk_add_f32 v[6:7], v[16:17], v[98:99]
	v_mov_b32_e32 v16, v145
	v_pk_mul_f32 v[16:17], v[8:9], v[16:17] op_sel_hi:[1,0]
	v_pk_fma_f32 v[96:97], v[8:9], v[144:145], v[16:17] op_sel:[0,0,1] op_sel_hi:[1,1,0] neg_lo:[0,0,1] neg_hi:[0,0,1]
	v_pk_fma_f32 v[8:9], v[8:9], v[144:145], v[16:17] op_sel:[0,0,1] op_sel_hi:[1,0,0]
	v_mov_b32_e32 v8, v143
	v_mov_b32_e32 v97, v9
	s_waitcnt lgkmcnt(1)
	v_pk_mul_f32 v[8:9], v[10:11], v[8:9] op_sel_hi:[1,0]
	v_pk_fma_f32 v[16:17], v[10:11], v[142:143], v[8:9] op_sel:[0,0,1] op_sel_hi:[1,1,0] neg_lo:[0,0,1] neg_hi:[0,0,1]
	v_pk_fma_f32 v[8:9], v[10:11], v[142:143], v[8:9] op_sel:[0,0,1] op_sel_hi:[1,0,0]
	s_waitcnt vmcnt(1)
	v_mov_b32_e32 v8, v153
	v_mov_b32_e32 v17, v9
	v_pk_mul_f32 v[8:9], v[12:13], v[8:9] op_sel_hi:[1,0]
	s_waitcnt vmcnt(0)
	v_pk_fma_f32 v[10:11], v[12:13], v[152:153], v[8:9] op_sel:[0,0,1] op_sel_hi:[1,1,0] neg_lo:[0,0,1] neg_hi:[0,0,1]
	v_pk_fma_f32 v[8:9], v[12:13], v[152:153], v[8:9] op_sel:[0,0,1] op_sel_hi:[1,0,0]
	v_pk_add_f32 v[6:7], v[6:7], v[96:97]
	v_mov_b32_e32 v8, v151
	v_pk_add_f32 v[6:7], v[6:7], v[16:17]
	v_mov_b32_e32 v11, v9
	s_waitcnt lgkmcnt(0)
	v_pk_mul_f32 v[8:9], v[14:15], v[8:9] op_sel_hi:[1,0]
	v_pk_add_f32 v[6:7], v[6:7], v[10:11]
	v_pk_fma_f32 v[10:11], v[14:15], v[150:151], v[8:9] op_sel:[0,0,1] op_sel_hi:[1,1,0] neg_lo:[0,0,1] neg_hi:[0,0,1]
	v_pk_fma_f32 v[8:9], v[14:15], v[150:151], v[8:9] op_sel:[0,0,1] op_sel_hi:[1,0,0]
	v_mov_b32_e32 v11, v9
	v_pk_add_f32 v[6:7], v[6:7], v[10:11]
	v_pk_add_f32 v[2:3], v[2:3], v[6:7] neg_lo:[0,1] neg_hi:[0,1]
	buffer_store_dword v3, off, s[0:3], 0 offset:76
	buffer_store_dword v2, off, s[0:3], 0 offset:72
	s_and_saveexec_b64 s[4:5], vcc
	s_cbranch_execz .LBB38_231
; %bb.230:
	buffer_load_dword v2, off, s[0:3], 0 offset:64
	buffer_load_dword v3, off, s[0:3], 0 offset:68
	s_waitcnt vmcnt(0)
	ds_write_b64 v1, v[2:3]
	buffer_store_dword v4, off, s[0:3], 0 offset:64
	buffer_store_dword v4, off, s[0:3], 0 offset:68
.LBB38_231:
	s_or_b64 exec, exec, s[4:5]
	s_waitcnt lgkmcnt(0)
	; wave barrier
	s_waitcnt lgkmcnt(0)
	buffer_load_dword v5, off, s[0:3], 0 offset:76
	buffer_load_dword v134, off, s[0:3], 0 offset:84
	;; [unrolled: 1-line block ×46, first 2 shown]
	ds_read2_b64 v[6:9], v4 offset0:49 offset1:50
	ds_read2_b64 v[10:13], v4 offset0:51 offset1:52
	;; [unrolled: 1-line block ×8, first 2 shown]
	v_cmp_lt_u32_e32 vcc, 7, v0
	s_waitcnt vmcnt(45) lgkmcnt(7)
	v_mul_f32_e32 v116, v6, v5
	s_waitcnt vmcnt(44)
	v_mul_f32_e32 v117, v8, v134
	s_waitcnt vmcnt(43) lgkmcnt(6)
	v_mul_f32_e32 v118, v10, v136
	s_waitcnt vmcnt(42)
	v_mul_f32_e32 v119, v12, v138
	;; [unrolled: 4-line block ×6, first 2 shown]
	s_waitcnt vmcnt(33) lgkmcnt(1)
	v_mul_f32_e32 v128, v108, v162
	s_waitcnt vmcnt(32)
	v_fmac_f32_e32 v116, v7, v163
	s_waitcnt vmcnt(31)
	v_fmac_f32_e32 v117, v9, v164
	v_add_f32_e32 v116, 0, v116
	s_waitcnt vmcnt(30)
	v_fmac_f32_e32 v118, v11, v165
	v_add_f32_e32 v116, v116, v117
	;; [unrolled: 3-line block ×12, first 2 shown]
	s_waitcnt vmcnt(19)
	v_mul_f32_e32 v117, v110, v176
	v_add_f32_e32 v116, v116, v128
	s_waitcnt vmcnt(18)
	v_fmac_f32_e32 v117, v111, v177
	v_add_f32_e32 v116, v116, v117
	s_waitcnt vmcnt(17) lgkmcnt(0)
	v_mul_f32_e32 v117, v112, v178
	s_waitcnt vmcnt(16)
	v_fmac_f32_e32 v117, v113, v179
	v_add_f32_e32 v120, v116, v117
	ds_read2_b64 v[116:119], v4 offset0:65 offset1:66
	s_waitcnt vmcnt(15)
	v_mul_f32_e32 v121, v114, v180
	s_waitcnt vmcnt(14)
	v_fmac_f32_e32 v121, v115, v181
	v_add_f32_e32 v124, v120, v121
	ds_read2_b64 v[120:123], v4 offset0:67 offset1:68
	buffer_load_dword v133, off, s[0:3], 0 offset:252
	buffer_load_dword v132, off, s[0:3], 0 offset:248
	s_waitcnt vmcnt(15) lgkmcnt(1)
	v_mul_f32_e32 v125, v116, v182
	s_waitcnt vmcnt(14)
	v_fmac_f32_e32 v125, v117, v183
	v_add_f32_e32 v124, v124, v125
	s_waitcnt vmcnt(13)
	v_mul_f32_e32 v125, v118, v184
	s_waitcnt vmcnt(12)
	v_fmac_f32_e32 v125, v119, v185
	v_add_f32_e32 v124, v124, v125
	s_waitcnt vmcnt(11) lgkmcnt(0)
	v_mul_f32_e32 v125, v120, v186
	s_waitcnt vmcnt(10)
	v_fmac_f32_e32 v125, v121, v187
	s_waitcnt vmcnt(9)
	v_mul_f32_e32 v129, v122, v188
	v_add_f32_e32 v128, v124, v125
	s_waitcnt vmcnt(8)
	v_fmac_f32_e32 v129, v123, v189
	ds_read2_b64 v[124:127], v4 offset0:69 offset1:70
	v_add_f32_e32 v135, v128, v129
	ds_read2_b64 v[128:131], v4 offset0:71 offset1:72
	buffer_load_dword v141, off, s[0:3], 0 offset:284
	buffer_load_dword v140, off, s[0:3], 0 offset:280
	;; [unrolled: 1-line block ×14, first 2 shown]
	v_mul_f32_e32 v5, v7, v5
	v_fma_f32 v5, v6, v163, -v5
	v_mul_f32_e32 v6, v9, v134
	v_add_f32_e32 v5, 0, v5
	v_fma_f32 v6, v8, v164, -v6
	v_add_f32_e32 v5, v5, v6
	v_mul_f32_e32 v6, v11, v136
	v_fma_f32 v6, v10, v165, -v6
	v_add_f32_e32 v5, v5, v6
	v_mul_f32_e32 v6, v13, v138
	;; [unrolled: 3-line block ×18, first 2 shown]
	v_fma_f32 v6, v122, v189, -v6
	s_waitcnt vmcnt(21) lgkmcnt(1)
	v_mul_f32_e32 v137, v124, v190
	v_add_f32_e32 v134, v5, v6
	v_mul_f32_e32 v5, v125, v190
	s_waitcnt vmcnt(20)
	v_fmac_f32_e32 v137, v125, v191
	s_waitcnt vmcnt(15)
	v_mov_b32_e32 v96, v133
	s_waitcnt lgkmcnt(0)
	v_pk_mul_f32 v[96:97], v[128:129], v[96:97] op_sel_hi:[1,0]
	v_mul_f32_e32 v139, v126, v192
	v_fma_f32 v136, v124, v191, -v5
	v_mul_f32_e32 v5, v127, v192
	s_waitcnt vmcnt(14)
	v_pk_fma_f32 v[98:99], v[128:129], v[132:133], v[96:97] op_sel:[0,0,1] op_sel_hi:[1,1,0] neg_lo:[0,0,1] neg_hi:[0,0,1]
	v_pk_fma_f32 v[96:97], v[128:129], v[132:133], v[96:97] op_sel:[0,0,1] op_sel_hi:[1,0,0]
	v_fmac_f32_e32 v139, v127, v193
	v_fma_f32 v138, v126, v193, -v5
	ds_read2_b64 v[6:9], v4 offset0:73 offset1:74
	ds_read2_b64 v[10:13], v4 offset0:75 offset1:76
	;; [unrolled: 1-line block ×3, first 2 shown]
	v_pk_add_f32 v[4:5], v[134:135], v[136:137]
	s_waitcnt vmcnt(7)
	v_mov_b32_e32 v96, v147
	v_pk_add_f32 v[4:5], v[4:5], v[138:139]
	v_mov_b32_e32 v99, v97
	v_pk_mul_f32 v[96:97], v[130:131], v[96:97] op_sel_hi:[1,0]
	v_pk_add_f32 v[4:5], v[4:5], v[98:99]
	s_waitcnt vmcnt(6)
	v_pk_fma_f32 v[98:99], v[130:131], v[146:147], v[96:97] op_sel:[0,0,1] op_sel_hi:[1,1,0] neg_lo:[0,0,1] neg_hi:[0,0,1]
	v_pk_fma_f32 v[96:97], v[130:131], v[146:147], v[96:97] op_sel:[0,0,1] op_sel_hi:[1,0,0]
	v_mov_b32_e32 v96, v145
	v_mov_b32_e32 v99, v97
	s_waitcnt lgkmcnt(2)
	v_pk_mul_f32 v[96:97], v[6:7], v[96:97] op_sel_hi:[1,0]
	v_pk_add_f32 v[4:5], v[4:5], v[98:99]
	v_pk_fma_f32 v[98:99], v[6:7], v[144:145], v[96:97] op_sel:[0,0,1] op_sel_hi:[1,1,0] neg_lo:[0,0,1] neg_hi:[0,0,1]
	v_pk_fma_f32 v[6:7], v[6:7], v[144:145], v[96:97] op_sel:[0,0,1] op_sel_hi:[1,0,0]
	v_mov_b32_e32 v6, v143
	v_mov_b32_e32 v99, v7
	v_pk_mul_f32 v[6:7], v[8:9], v[6:7] op_sel_hi:[1,0]
	v_pk_fma_f32 v[96:97], v[8:9], v[142:143], v[6:7] op_sel:[0,0,1] op_sel_hi:[1,1,0] neg_lo:[0,0,1] neg_hi:[0,0,1]
	v_pk_fma_f32 v[6:7], v[8:9], v[142:143], v[6:7] op_sel:[0,0,1] op_sel_hi:[1,0,0]
	v_mov_b32_e32 v6, v141
	v_mov_b32_e32 v97, v7
	s_waitcnt lgkmcnt(1)
	v_pk_mul_f32 v[6:7], v[10:11], v[6:7] op_sel_hi:[1,0]
	v_pk_fma_f32 v[8:9], v[10:11], v[140:141], v[6:7] op_sel:[0,0,1] op_sel_hi:[1,1,0] neg_lo:[0,0,1] neg_hi:[0,0,1]
	v_pk_fma_f32 v[6:7], v[10:11], v[140:141], v[6:7] op_sel:[0,0,1] op_sel_hi:[1,0,0]
	v_pk_add_f32 v[4:5], v[4:5], v[98:99]
	s_waitcnt vmcnt(1)
	v_mov_b32_e32 v6, v153
	v_pk_add_f32 v[4:5], v[4:5], v[96:97]
	v_mov_b32_e32 v9, v7
	v_pk_mul_f32 v[6:7], v[12:13], v[6:7] op_sel_hi:[1,0]
	v_pk_add_f32 v[4:5], v[4:5], v[8:9]
	s_waitcnt vmcnt(0)
	v_pk_fma_f32 v[8:9], v[12:13], v[152:153], v[6:7] op_sel:[0,0,1] op_sel_hi:[1,1,0] neg_lo:[0,0,1] neg_hi:[0,0,1]
	v_pk_fma_f32 v[6:7], v[12:13], v[152:153], v[6:7] op_sel:[0,0,1] op_sel_hi:[1,0,0]
	v_mov_b32_e32 v6, v151
	v_mov_b32_e32 v9, v7
	s_waitcnt lgkmcnt(0)
	v_pk_mul_f32 v[6:7], v[14:15], v[6:7] op_sel_hi:[1,0]
	v_pk_add_f32 v[4:5], v[4:5], v[8:9]
	v_pk_fma_f32 v[8:9], v[14:15], v[150:151], v[6:7] op_sel:[0,0,1] op_sel_hi:[1,1,0] neg_lo:[0,0,1] neg_hi:[0,0,1]
	v_pk_fma_f32 v[6:7], v[14:15], v[150:151], v[6:7] op_sel:[0,0,1] op_sel_hi:[1,0,0]
	v_mov_b32_e32 v6, v149
	v_mov_b32_e32 v9, v7
	v_pk_mul_f32 v[6:7], v[16:17], v[6:7] op_sel_hi:[1,0]
	v_pk_add_f32 v[4:5], v[4:5], v[8:9]
	v_pk_fma_f32 v[8:9], v[16:17], v[148:149], v[6:7] op_sel:[0,0,1] op_sel_hi:[1,1,0] neg_lo:[0,0,1] neg_hi:[0,0,1]
	v_pk_fma_f32 v[6:7], v[16:17], v[148:149], v[6:7] op_sel:[0,0,1] op_sel_hi:[1,0,0]
	v_mov_b32_e32 v9, v7
	v_pk_add_f32 v[4:5], v[4:5], v[8:9]
	v_pk_add_f32 v[2:3], v[2:3], v[4:5] neg_lo:[0,1] neg_hi:[0,1]
	buffer_store_dword v3, off, s[0:3], 0 offset:68
	buffer_store_dword v2, off, s[0:3], 0 offset:64
	s_and_saveexec_b64 s[4:5], vcc
	s_cbranch_execz .LBB38_233
; %bb.232:
	buffer_load_dword v2, off, s[0:3], 0 offset:56
	buffer_load_dword v3, off, s[0:3], 0 offset:60
	v_mov_b32_e32 v4, 0
	buffer_store_dword v4, off, s[0:3], 0 offset:56
	buffer_store_dword v4, off, s[0:3], 0 offset:60
	s_waitcnt vmcnt(2)
	ds_write_b64 v1, v[2:3]
.LBB38_233:
	s_or_b64 exec, exec, s[4:5]
	s_waitcnt lgkmcnt(0)
	; wave barrier
	s_waitcnt lgkmcnt(0)
	buffer_load_dword v5, off, s[0:3], 0 offset:68
	buffer_load_dword v132, off, s[0:3], 0 offset:76
	;; [unrolled: 1-line block ×48, first 2 shown]
	v_mov_b32_e32 v4, 0
	ds_read_b128 v[6:9], v4 offset:384
	ds_read_b128 v[10:13], v4 offset:400
	;; [unrolled: 1-line block ×6, first 2 shown]
	v_cmp_lt_u32_e32 vcc, 6, v0
	s_waitcnt vmcnt(47) lgkmcnt(5)
	v_mul_f32_e32 v108, v6, v5
	s_waitcnt vmcnt(46)
	v_mul_f32_e32 v109, v8, v132
	s_waitcnt vmcnt(45) lgkmcnt(4)
	v_mul_f32_e32 v110, v10, v134
	s_waitcnt vmcnt(44)
	v_mul_f32_e32 v111, v12, v136
	;; [unrolled: 4-line block ×6, first 2 shown]
	s_waitcnt vmcnt(35)
	v_fmac_f32_e32 v108, v7, v162
	s_waitcnt vmcnt(34)
	v_fmac_f32_e32 v109, v9, v163
	v_add_f32_e32 v108, 0, v108
	s_waitcnt vmcnt(33)
	v_fmac_f32_e32 v110, v11, v164
	v_add_f32_e32 v108, v108, v109
	s_waitcnt vmcnt(32)
	v_fmac_f32_e32 v111, v13, v165
	v_add_f32_e32 v108, v108, v110
	s_waitcnt vmcnt(31)
	v_fmac_f32_e32 v112, v15, v166
	v_add_f32_e32 v108, v108, v111
	s_waitcnt vmcnt(30)
	v_fmac_f32_e32 v113, v17, v167
	v_add_f32_e32 v108, v108, v112
	s_waitcnt vmcnt(29)
	v_fmac_f32_e32 v114, v97, v168
	v_add_f32_e32 v108, v108, v113
	s_waitcnt vmcnt(28)
	v_fmac_f32_e32 v115, v99, v169
	v_add_f32_e32 v108, v108, v114
	s_waitcnt vmcnt(27)
	v_fmac_f32_e32 v116, v101, v170
	v_add_f32_e32 v108, v108, v115
	v_add_f32_e32 v112, v108, v116
	ds_read_b128 v[108:111], v4 offset:480
	s_waitcnt vmcnt(26)
	v_fmac_f32_e32 v117, v103, v171
	s_waitcnt vmcnt(25)
	v_fmac_f32_e32 v118, v105, v172
	v_add_f32_e32 v112, v112, v117
	s_waitcnt vmcnt(24)
	v_fmac_f32_e32 v119, v107, v173
	v_add_f32_e32 v112, v112, v118
	v_add_f32_e32 v116, v112, v119
	ds_read_b128 v[112:115], v4 offset:496
	s_waitcnt vmcnt(23) lgkmcnt(1)
	v_mul_f32_e32 v117, v108, v174
	s_waitcnt vmcnt(22)
	v_fmac_f32_e32 v117, v109, v175
	v_add_f32_e32 v116, v116, v117
	s_waitcnt vmcnt(21)
	v_mul_f32_e32 v117, v110, v176
	s_waitcnt vmcnt(20)
	v_fmac_f32_e32 v117, v111, v177
	v_add_f32_e32 v116, v116, v117
	s_waitcnt vmcnt(19) lgkmcnt(0)
	v_mul_f32_e32 v117, v112, v178
	s_waitcnt vmcnt(18)
	v_fmac_f32_e32 v117, v113, v179
	v_add_f32_e32 v120, v116, v117
	ds_read_b128 v[116:119], v4 offset:512
	s_waitcnt vmcnt(17)
	v_mul_f32_e32 v121, v114, v180
	s_waitcnt vmcnt(16)
	v_fmac_f32_e32 v121, v115, v181
	v_add_f32_e32 v124, v120, v121
	ds_read_b128 v[120:123], v4 offset:528
	s_waitcnt vmcnt(15) lgkmcnt(1)
	v_mul_f32_e32 v125, v116, v182
	s_waitcnt vmcnt(14)
	v_fmac_f32_e32 v125, v117, v183
	v_add_f32_e32 v124, v124, v125
	s_waitcnt vmcnt(13)
	v_mul_f32_e32 v125, v118, v184
	s_waitcnt vmcnt(12)
	v_fmac_f32_e32 v125, v119, v185
	v_add_f32_e32 v124, v124, v125
	s_waitcnt vmcnt(11) lgkmcnt(0)
	v_mul_f32_e32 v125, v120, v186
	s_waitcnt vmcnt(10)
	v_fmac_f32_e32 v125, v121, v187
	s_waitcnt vmcnt(9)
	v_mul_f32_e32 v129, v122, v188
	v_add_f32_e32 v128, v124, v125
	s_waitcnt vmcnt(8)
	v_fmac_f32_e32 v129, v123, v189
	ds_read_b128 v[124:127], v4 offset:544
	v_add_f32_e32 v133, v128, v129
	ds_read_b128 v[128:131], v4 offset:560
	buffer_load_dword v139, off, s[0:3], 0 offset:276
	buffer_load_dword v138, off, s[0:3], 0 offset:272
	;; [unrolled: 1-line block ×16, first 2 shown]
	v_mul_f32_e32 v5, v7, v5
	v_fma_f32 v5, v6, v162, -v5
	v_mul_f32_e32 v6, v9, v132
	v_add_f32_e32 v5, 0, v5
	v_fma_f32 v6, v8, v163, -v6
	v_add_f32_e32 v5, v5, v6
	v_mul_f32_e32 v6, v11, v134
	v_fma_f32 v6, v10, v164, -v6
	v_add_f32_e32 v5, v5, v6
	v_mul_f32_e32 v6, v13, v136
	;; [unrolled: 3-line block ×18, first 2 shown]
	v_fma_f32 v6, v122, v189, -v6
	s_waitcnt vmcnt(22) lgkmcnt(1)
	v_mul_f32_e32 v135, v124, v191
	v_add_f32_e32 v5, v5, v6
	v_mul_f32_e32 v6, v125, v191
	v_fmac_f32_e32 v135, v125, v190
	v_fma_f32 v6, v124, v190, -v6
	v_add_f32_e32 v133, v133, v135
	s_waitcnt vmcnt(19)
	v_mul_f32_e32 v135, v126, v192
	v_add_f32_e32 v132, v5, v6
	v_mul_f32_e32 v5, v127, v192
	s_waitcnt vmcnt(18)
	v_fmac_f32_e32 v135, v127, v193
	s_waitcnt vmcnt(17) lgkmcnt(0)
	v_mul_f32_e32 v137, v128, v194
	s_waitcnt vmcnt(9)
	v_mov_b32_e32 v100, v145
	v_pk_mul_f32 v[100:101], v[130:131], v[100:101] op_sel_hi:[1,0]
	v_fma_f32 v134, v126, v193, -v5
	v_mul_f32_e32 v5, v129, v194
	ds_read_b128 v[6:9], v4 offset:576
	ds_read_b128 v[10:13], v4 offset:592
	;; [unrolled: 1-line block ×3, first 2 shown]
	ds_read_b64 v[96:97], v4 offset:624
	s_waitcnt vmcnt(8)
	v_pk_fma_f32 v[102:103], v[130:131], v[144:145], v[100:101] op_sel:[0,0,1] op_sel_hi:[1,1,0] neg_lo:[0,0,1] neg_hi:[0,0,1]
	v_pk_fma_f32 v[100:101], v[130:131], v[144:145], v[100:101] op_sel:[0,0,1] op_sel_hi:[1,0,0]
	v_fmac_f32_e32 v137, v129, v195
	v_fma_f32 v136, v128, v195, -v5
	v_pk_add_f32 v[98:99], v[132:133], v[134:135]
	v_mov_b32_e32 v100, v143
	v_pk_add_f32 v[98:99], v[98:99], v[136:137]
	v_mov_b32_e32 v103, v101
	s_waitcnt lgkmcnt(3)
	v_pk_mul_f32 v[100:101], v[6:7], v[100:101] op_sel_hi:[1,0]
	v_pk_add_f32 v[98:99], v[98:99], v[102:103]
	v_pk_fma_f32 v[102:103], v[6:7], v[142:143], v[100:101] op_sel:[0,0,1] op_sel_hi:[1,1,0] neg_lo:[0,0,1] neg_hi:[0,0,1]
	v_pk_fma_f32 v[6:7], v[6:7], v[142:143], v[100:101] op_sel:[0,0,1] op_sel_hi:[1,0,0]
	v_mov_b32_e32 v103, v7
	v_pk_add_f32 v[6:7], v[98:99], v[102:103]
	v_mov_b32_e32 v98, v141
	v_pk_mul_f32 v[98:99], v[8:9], v[98:99] op_sel_hi:[1,0]
	v_pk_fma_f32 v[100:101], v[8:9], v[140:141], v[98:99] op_sel:[0,0,1] op_sel_hi:[1,1,0] neg_lo:[0,0,1] neg_hi:[0,0,1]
	v_pk_fma_f32 v[8:9], v[8:9], v[140:141], v[98:99] op_sel:[0,0,1] op_sel_hi:[1,0,0]
	v_mov_b32_e32 v8, v139
	v_mov_b32_e32 v101, v9
	s_waitcnt lgkmcnt(2)
	v_pk_mul_f32 v[8:9], v[10:11], v[8:9] op_sel_hi:[1,0]
	v_pk_fma_f32 v[98:99], v[10:11], v[138:139], v[8:9] op_sel:[0,0,1] op_sel_hi:[1,1,0] neg_lo:[0,0,1] neg_hi:[0,0,1]
	v_pk_fma_f32 v[8:9], v[10:11], v[138:139], v[8:9] op_sel:[0,0,1] op_sel_hi:[1,0,0]
	s_waitcnt vmcnt(1)
	v_mov_b32_e32 v8, v153
	v_mov_b32_e32 v99, v9
	v_pk_mul_f32 v[8:9], v[12:13], v[8:9] op_sel_hi:[1,0]
	s_waitcnt vmcnt(0)
	v_pk_fma_f32 v[10:11], v[12:13], v[152:153], v[8:9] op_sel:[0,0,1] op_sel_hi:[1,1,0] neg_lo:[0,0,1] neg_hi:[0,0,1]
	v_pk_fma_f32 v[8:9], v[12:13], v[152:153], v[8:9] op_sel:[0,0,1] op_sel_hi:[1,0,0]
	v_pk_add_f32 v[6:7], v[6:7], v[100:101]
	v_mov_b32_e32 v8, v151
	v_pk_add_f32 v[6:7], v[6:7], v[98:99]
	v_mov_b32_e32 v11, v9
	s_waitcnt lgkmcnt(1)
	v_pk_mul_f32 v[8:9], v[14:15], v[8:9] op_sel_hi:[1,0]
	v_pk_add_f32 v[6:7], v[6:7], v[10:11]
	v_pk_fma_f32 v[10:11], v[14:15], v[150:151], v[8:9] op_sel:[0,0,1] op_sel_hi:[1,1,0] neg_lo:[0,0,1] neg_hi:[0,0,1]
	v_pk_fma_f32 v[8:9], v[14:15], v[150:151], v[8:9] op_sel:[0,0,1] op_sel_hi:[1,0,0]
	v_mov_b32_e32 v8, v149
	v_mov_b32_e32 v11, v9
	v_pk_mul_f32 v[8:9], v[16:17], v[8:9] op_sel_hi:[1,0]
	v_pk_add_f32 v[6:7], v[6:7], v[10:11]
	v_pk_fma_f32 v[10:11], v[16:17], v[148:149], v[8:9] op_sel:[0,0,1] op_sel_hi:[1,1,0] neg_lo:[0,0,1] neg_hi:[0,0,1]
	v_pk_fma_f32 v[8:9], v[16:17], v[148:149], v[8:9] op_sel:[0,0,1] op_sel_hi:[1,0,0]
	v_mov_b32_e32 v8, v147
	v_mov_b32_e32 v11, v9
	s_waitcnt lgkmcnt(0)
	v_pk_mul_f32 v[8:9], v[96:97], v[8:9] op_sel_hi:[1,0]
	v_pk_add_f32 v[6:7], v[6:7], v[10:11]
	v_pk_fma_f32 v[10:11], v[96:97], v[146:147], v[8:9] op_sel:[0,0,1] op_sel_hi:[1,1,0] neg_lo:[0,0,1] neg_hi:[0,0,1]
	v_pk_fma_f32 v[8:9], v[96:97], v[146:147], v[8:9] op_sel:[0,0,1] op_sel_hi:[1,0,0]
	v_mov_b32_e32 v11, v9
	v_pk_add_f32 v[6:7], v[6:7], v[10:11]
	v_pk_add_f32 v[2:3], v[2:3], v[6:7] neg_lo:[0,1] neg_hi:[0,1]
	buffer_store_dword v3, off, s[0:3], 0 offset:60
	buffer_store_dword v2, off, s[0:3], 0 offset:56
	s_and_saveexec_b64 s[4:5], vcc
	s_cbranch_execz .LBB38_235
; %bb.234:
	buffer_load_dword v2, off, s[0:3], 0 offset:48
	buffer_load_dword v3, off, s[0:3], 0 offset:52
	s_waitcnt vmcnt(0)
	ds_write_b64 v1, v[2:3]
	buffer_store_dword v4, off, s[0:3], 0 offset:48
	buffer_store_dword v4, off, s[0:3], 0 offset:52
.LBB38_235:
	s_or_b64 exec, exec, s[4:5]
	s_waitcnt lgkmcnt(0)
	; wave barrier
	s_waitcnt lgkmcnt(0)
	buffer_load_dword v5, off, s[0:3], 0 offset:60
	buffer_load_dword v132, off, s[0:3], 0 offset:68
	;; [unrolled: 1-line block ×48, first 2 shown]
	ds_read2_b64 v[6:9], v4 offset0:47 offset1:48
	ds_read2_b64 v[10:13], v4 offset0:49 offset1:50
	;; [unrolled: 1-line block ×6, first 2 shown]
	buffer_load_dword v196, off, s[0:3], 0 offset:240
	buffer_load_dword v197, off, s[0:3], 0 offset:244
	v_cmp_lt_u32_e32 vcc, 5, v0
	s_waitcnt vmcnt(49) lgkmcnt(5)
	v_mul_f32_e32 v108, v6, v5
	s_waitcnt vmcnt(48)
	v_mul_f32_e32 v109, v8, v132
	s_waitcnt vmcnt(47) lgkmcnt(4)
	v_mul_f32_e32 v110, v10, v134
	s_waitcnt vmcnt(46)
	v_mul_f32_e32 v111, v12, v142
	s_waitcnt vmcnt(45) lgkmcnt(3)
	v_mul_f32_e32 v112, v14, v154
	s_waitcnt vmcnt(44)
	v_mul_f32_e32 v113, v16, v155
	s_waitcnt vmcnt(43) lgkmcnt(2)
	v_mul_f32_e32 v114, v96, v156
	s_waitcnt vmcnt(42)
	v_mul_f32_e32 v115, v98, v157
	s_waitcnt vmcnt(41) lgkmcnt(1)
	v_mul_f32_e32 v116, v100, v158
	s_waitcnt vmcnt(40)
	v_mul_f32_e32 v117, v102, v159
	s_waitcnt vmcnt(39) lgkmcnt(0)
	v_mul_f32_e32 v118, v104, v160
	s_waitcnt vmcnt(38)
	v_mul_f32_e32 v119, v106, v161
	s_waitcnt vmcnt(37)
	v_fmac_f32_e32 v108, v7, v162
	s_waitcnt vmcnt(36)
	v_fmac_f32_e32 v109, v9, v163
	v_add_f32_e32 v108, 0, v108
	s_waitcnt vmcnt(35)
	v_fmac_f32_e32 v110, v11, v164
	v_add_f32_e32 v108, v108, v109
	;; [unrolled: 3-line block ×9, first 2 shown]
	v_add_f32_e32 v112, v108, v117
	ds_read2_b64 v[108:111], v4 offset0:59 offset1:60
	s_waitcnt vmcnt(27)
	v_fmac_f32_e32 v118, v105, v172
	v_add_f32_e32 v112, v112, v118
	s_waitcnt vmcnt(26)
	v_fmac_f32_e32 v119, v107, v173
	v_add_f32_e32 v116, v112, v119
	ds_read2_b64 v[112:115], v4 offset0:61 offset1:62
	s_waitcnt vmcnt(25) lgkmcnt(1)
	v_mul_f32_e32 v117, v108, v174
	s_waitcnt vmcnt(24)
	v_fmac_f32_e32 v117, v109, v175
	v_add_f32_e32 v116, v116, v117
	s_waitcnt vmcnt(23)
	v_mul_f32_e32 v117, v110, v176
	s_waitcnt vmcnt(22)
	v_fmac_f32_e32 v117, v111, v177
	v_add_f32_e32 v116, v116, v117
	s_waitcnt vmcnt(21) lgkmcnt(0)
	v_mul_f32_e32 v117, v112, v178
	s_waitcnt vmcnt(20)
	v_fmac_f32_e32 v117, v113, v179
	v_add_f32_e32 v120, v116, v117
	ds_read2_b64 v[116:119], v4 offset0:63 offset1:64
	s_waitcnt vmcnt(19)
	v_mul_f32_e32 v121, v114, v180
	s_waitcnt vmcnt(18)
	v_fmac_f32_e32 v121, v115, v181
	v_add_f32_e32 v124, v120, v121
	ds_read2_b64 v[120:123], v4 offset0:65 offset1:66
	s_waitcnt vmcnt(17) lgkmcnt(1)
	v_mul_f32_e32 v125, v116, v182
	s_waitcnt vmcnt(16)
	v_fmac_f32_e32 v125, v117, v183
	v_add_f32_e32 v124, v124, v125
	s_waitcnt vmcnt(15)
	v_mul_f32_e32 v125, v118, v184
	s_waitcnt vmcnt(14)
	v_fmac_f32_e32 v125, v119, v185
	v_add_f32_e32 v124, v124, v125
	s_waitcnt vmcnt(13) lgkmcnt(0)
	v_mul_f32_e32 v125, v120, v186
	s_waitcnt vmcnt(12)
	v_fmac_f32_e32 v125, v121, v187
	s_waitcnt vmcnt(11)
	v_mul_f32_e32 v129, v122, v188
	v_add_f32_e32 v128, v124, v125
	s_waitcnt vmcnt(10)
	v_fmac_f32_e32 v129, v123, v189
	ds_read2_b64 v[124:127], v4 offset0:67 offset1:68
	v_add_f32_e32 v133, v128, v129
	ds_read2_b64 v[128:131], v4 offset0:69 offset1:70
	buffer_load_dword v137, off, s[0:3], 0 offset:268
	buffer_load_dword v136, off, s[0:3], 0 offset:264
	;; [unrolled: 1-line block ×16, first 2 shown]
	v_mul_f32_e32 v5, v7, v5
	v_fma_f32 v5, v6, v162, -v5
	v_mul_f32_e32 v6, v9, v132
	v_add_f32_e32 v5, 0, v5
	v_fma_f32 v6, v8, v163, -v6
	v_add_f32_e32 v5, v5, v6
	v_mul_f32_e32 v6, v11, v134
	v_fma_f32 v6, v10, v164, -v6
	v_add_f32_e32 v5, v5, v6
	v_mul_f32_e32 v6, v13, v142
	;; [unrolled: 3-line block ×18, first 2 shown]
	v_fma_f32 v6, v122, v189, -v6
	v_add_f32_e32 v5, v5, v6
	s_waitcnt vmcnt(23) lgkmcnt(1)
	v_mul_f32_e32 v6, v125, v190
	s_waitcnt vmcnt(22)
	v_fma_f32 v6, v124, v191, -v6
	v_add_f32_e32 v5, v5, v6
	s_waitcnt vmcnt(20)
	v_mul_f32_e32 v6, v127, v193
	v_fma_f32 v6, v126, v192, -v6
	v_add_f32_e32 v132, v5, v6
	ds_read2_b64 v[6:9], v4 offset0:71 offset1:72
	ds_read2_b64 v[10:13], v4 offset0:73 offset1:74
	;; [unrolled: 1-line block ×4, first 2 shown]
	v_mul_f32_e32 v135, v124, v190
	v_fmac_f32_e32 v135, v125, v191
	v_add_f32_e32 v133, v133, v135
	v_mul_f32_e32 v135, v126, v193
	v_fmac_f32_e32 v135, v127, v192
	v_add_f32_e32 v133, v133, v135
	s_waitcnt vmcnt(18) lgkmcnt(4)
	v_mul_f32_e32 v135, v128, v195
	v_mul_f32_e32 v5, v129, v195
	v_fmac_f32_e32 v135, v129, v194
	s_waitcnt vmcnt(16)
	v_mul_f32_e32 v143, v130, v197
	s_waitcnt vmcnt(11)
	v_mov_b32_e32 v100, v141
	s_waitcnt lgkmcnt(3)
	v_pk_mul_f32 v[100:101], v[6:7], v[100:101] op_sel_hi:[1,0]
	s_waitcnt vmcnt(10)
	v_pk_fma_f32 v[102:103], v[6:7], v[140:141], v[100:101] op_sel:[0,0,1] op_sel_hi:[1,1,0] neg_lo:[0,0,1] neg_hi:[0,0,1]
	v_pk_fma_f32 v[6:7], v[6:7], v[140:141], v[100:101] op_sel:[0,0,1] op_sel_hi:[1,0,0]
	v_mov_b32_e32 v6, v139
	v_mov_b32_e32 v103, v7
	v_pk_mul_f32 v[6:7], v[8:9], v[6:7] op_sel_hi:[1,0]
	v_pk_fma_f32 v[100:101], v[8:9], v[138:139], v[6:7] op_sel:[0,0,1] op_sel_hi:[1,1,0] neg_lo:[0,0,1] neg_hi:[0,0,1]
	v_pk_fma_f32 v[6:7], v[8:9], v[138:139], v[6:7] op_sel:[0,0,1] op_sel_hi:[1,0,0]
	v_fma_f32 v134, v128, v194, -v5
	v_mul_f32_e32 v5, v131, v197
	v_mov_b32_e32 v6, v137
	v_fmac_f32_e32 v143, v131, v196
	v_fma_f32 v142, v130, v196, -v5
	v_pk_add_f32 v[4:5], v[132:133], v[134:135]
	v_mov_b32_e32 v101, v7
	s_waitcnt lgkmcnt(2)
	v_pk_mul_f32 v[6:7], v[10:11], v[6:7] op_sel_hi:[1,0]
	v_pk_add_f32 v[4:5], v[4:5], v[142:143]
	v_pk_fma_f32 v[8:9], v[10:11], v[136:137], v[6:7] op_sel:[0,0,1] op_sel_hi:[1,1,0] neg_lo:[0,0,1] neg_hi:[0,0,1]
	v_pk_fma_f32 v[6:7], v[10:11], v[136:137], v[6:7] op_sel:[0,0,1] op_sel_hi:[1,0,0]
	v_pk_add_f32 v[4:5], v[4:5], v[102:103]
	s_waitcnt vmcnt(3)
	v_mov_b32_e32 v6, v151
	v_pk_add_f32 v[4:5], v[4:5], v[100:101]
	v_mov_b32_e32 v9, v7
	v_pk_mul_f32 v[6:7], v[12:13], v[6:7] op_sel_hi:[1,0]
	v_pk_add_f32 v[4:5], v[4:5], v[8:9]
	s_waitcnt vmcnt(2)
	v_pk_fma_f32 v[8:9], v[12:13], v[150:151], v[6:7] op_sel:[0,0,1] op_sel_hi:[1,1,0] neg_lo:[0,0,1] neg_hi:[0,0,1]
	v_pk_fma_f32 v[6:7], v[12:13], v[150:151], v[6:7] op_sel:[0,0,1] op_sel_hi:[1,0,0]
	v_mov_b32_e32 v6, v149
	v_mov_b32_e32 v9, v7
	s_waitcnt lgkmcnt(1)
	v_pk_mul_f32 v[6:7], v[14:15], v[6:7] op_sel_hi:[1,0]
	v_pk_add_f32 v[4:5], v[4:5], v[8:9]
	v_pk_fma_f32 v[8:9], v[14:15], v[148:149], v[6:7] op_sel:[0,0,1] op_sel_hi:[1,1,0] neg_lo:[0,0,1] neg_hi:[0,0,1]
	v_pk_fma_f32 v[6:7], v[14:15], v[148:149], v[6:7] op_sel:[0,0,1] op_sel_hi:[1,0,0]
	v_mov_b32_e32 v6, v147
	v_mov_b32_e32 v9, v7
	v_pk_mul_f32 v[6:7], v[16:17], v[6:7] op_sel_hi:[1,0]
	v_pk_add_f32 v[4:5], v[4:5], v[8:9]
	v_pk_fma_f32 v[8:9], v[16:17], v[146:147], v[6:7] op_sel:[0,0,1] op_sel_hi:[1,1,0] neg_lo:[0,0,1] neg_hi:[0,0,1]
	v_pk_fma_f32 v[6:7], v[16:17], v[146:147], v[6:7] op_sel:[0,0,1] op_sel_hi:[1,0,0]
	v_mov_b32_e32 v6, v145
	v_mov_b32_e32 v9, v7
	s_waitcnt lgkmcnt(0)
	v_pk_mul_f32 v[6:7], v[96:97], v[6:7] op_sel_hi:[1,0]
	v_pk_add_f32 v[4:5], v[4:5], v[8:9]
	v_pk_fma_f32 v[8:9], v[96:97], v[144:145], v[6:7] op_sel:[0,0,1] op_sel_hi:[1,1,0] neg_lo:[0,0,1] neg_hi:[0,0,1]
	v_pk_fma_f32 v[6:7], v[96:97], v[144:145], v[6:7] op_sel:[0,0,1] op_sel_hi:[1,0,0]
	s_waitcnt vmcnt(1)
	v_mov_b32_e32 v6, v153
	v_mov_b32_e32 v9, v7
	v_pk_mul_f32 v[6:7], v[98:99], v[6:7] op_sel_hi:[1,0]
	v_pk_add_f32 v[4:5], v[4:5], v[8:9]
	s_waitcnt vmcnt(0)
	v_pk_fma_f32 v[8:9], v[98:99], v[152:153], v[6:7] op_sel:[0,0,1] op_sel_hi:[1,1,0] neg_lo:[0,0,1] neg_hi:[0,0,1]
	v_pk_fma_f32 v[6:7], v[98:99], v[152:153], v[6:7] op_sel:[0,0,1] op_sel_hi:[1,0,0]
	v_mov_b32_e32 v9, v7
	v_pk_add_f32 v[4:5], v[4:5], v[8:9]
	v_pk_add_f32 v[2:3], v[2:3], v[4:5] neg_lo:[0,1] neg_hi:[0,1]
	buffer_store_dword v3, off, s[0:3], 0 offset:52
	buffer_store_dword v2, off, s[0:3], 0 offset:48
	s_and_saveexec_b64 s[4:5], vcc
	s_cbranch_execz .LBB38_237
; %bb.236:
	buffer_load_dword v2, off, s[0:3], 0 offset:40
	buffer_load_dword v3, off, s[0:3], 0 offset:44
	v_mov_b32_e32 v4, 0
	buffer_store_dword v4, off, s[0:3], 0 offset:40
	buffer_store_dword v4, off, s[0:3], 0 offset:44
	s_waitcnt vmcnt(2)
	ds_write_b64 v1, v[2:3]
.LBB38_237:
	s_or_b64 exec, exec, s[4:5]
	s_waitcnt lgkmcnt(0)
	; wave barrier
	s_waitcnt lgkmcnt(0)
	buffer_load_dword v5, off, s[0:3], 0 offset:52
	buffer_load_dword v140, off, s[0:3], 0 offset:60
	;; [unrolled: 1-line block ×52, first 2 shown]
	v_mov_b32_e32 v4, 0
	ds_read_b128 v[6:9], v4 offset:368
	ds_read_b128 v[10:13], v4 offset:384
	;; [unrolled: 1-line block ×6, first 2 shown]
	v_cmp_lt_u32_e32 vcc, 4, v0
	s_waitcnt vmcnt(51) lgkmcnt(5)
	v_mul_f32_e32 v108, v6, v5
	s_waitcnt vmcnt(50)
	v_mul_f32_e32 v109, v8, v140
	s_waitcnt vmcnt(49) lgkmcnt(4)
	v_mul_f32_e32 v110, v10, v146
	s_waitcnt vmcnt(48)
	v_mul_f32_e32 v111, v12, v148
	;; [unrolled: 4-line block ×5, first 2 shown]
	s_waitcnt vmcnt(41) lgkmcnt(0)
	v_mul_f32_e32 v118, v104, v168
	s_waitcnt vmcnt(40)
	v_fmac_f32_e32 v108, v7, v169
	s_waitcnt vmcnt(39)
	v_fmac_f32_e32 v109, v9, v170
	v_add_f32_e32 v108, 0, v108
	s_waitcnt vmcnt(38)
	v_fmac_f32_e32 v110, v11, v171
	v_add_f32_e32 v108, v108, v109
	s_waitcnt vmcnt(37)
	v_fmac_f32_e32 v111, v13, v172
	v_add_f32_e32 v108, v108, v110
	s_waitcnt vmcnt(36)
	v_fmac_f32_e32 v112, v15, v173
	v_add_f32_e32 v108, v108, v111
	s_waitcnt vmcnt(35)
	v_fmac_f32_e32 v113, v17, v174
	v_add_f32_e32 v108, v108, v112
	s_waitcnt vmcnt(34)
	v_fmac_f32_e32 v114, v97, v175
	v_add_f32_e32 v108, v108, v113
	s_waitcnt vmcnt(33)
	v_fmac_f32_e32 v115, v99, v176
	v_add_f32_e32 v108, v108, v114
	s_waitcnt vmcnt(32)
	v_fmac_f32_e32 v116, v101, v177
	v_add_f32_e32 v108, v108, v115
	s_waitcnt vmcnt(31)
	v_fmac_f32_e32 v117, v103, v178
	v_add_f32_e32 v108, v108, v116
	v_add_f32_e32 v108, v108, v117
	s_waitcnt vmcnt(30)
	v_fmac_f32_e32 v118, v105, v179
	v_add_f32_e32 v112, v108, v118
	ds_read_b128 v[108:111], v4 offset:464
	s_waitcnt vmcnt(29)
	v_mul_f32_e32 v113, v106, v180
	s_waitcnt vmcnt(28)
	v_fmac_f32_e32 v113, v107, v181
	v_add_f32_e32 v116, v112, v113
	ds_read_b128 v[112:115], v4 offset:480
	s_waitcnt vmcnt(27) lgkmcnt(1)
	v_mul_f32_e32 v117, v108, v182
	s_waitcnt vmcnt(26)
	v_fmac_f32_e32 v117, v109, v183
	v_add_f32_e32 v116, v116, v117
	s_waitcnt vmcnt(25)
	v_mul_f32_e32 v117, v110, v184
	s_waitcnt vmcnt(24)
	v_fmac_f32_e32 v117, v111, v185
	v_add_f32_e32 v116, v116, v117
	s_waitcnt vmcnt(23) lgkmcnt(0)
	v_mul_f32_e32 v117, v112, v186
	s_waitcnt vmcnt(22)
	v_fmac_f32_e32 v117, v113, v187
	v_add_f32_e32 v120, v116, v117
	ds_read_b128 v[116:119], v4 offset:496
	s_waitcnt vmcnt(21)
	v_mul_f32_e32 v121, v114, v188
	s_waitcnt vmcnt(20)
	v_fmac_f32_e32 v121, v115, v189
	v_add_f32_e32 v124, v120, v121
	ds_read_b128 v[120:123], v4 offset:512
	s_waitcnt vmcnt(19) lgkmcnt(1)
	v_mul_f32_e32 v125, v116, v190
	s_waitcnt vmcnt(18)
	v_fmac_f32_e32 v125, v117, v191
	v_add_f32_e32 v124, v124, v125
	s_waitcnt vmcnt(17)
	v_mul_f32_e32 v125, v118, v192
	s_waitcnt vmcnt(16)
	v_fmac_f32_e32 v125, v119, v193
	v_add_f32_e32 v124, v124, v125
	s_waitcnt vmcnt(14) lgkmcnt(0)
	v_mul_f32_e32 v125, v120, v195
	v_fmac_f32_e32 v125, v121, v194
	v_add_f32_e32 v128, v124, v125
	ds_read_b128 v[124:127], v4 offset:528
	s_waitcnt vmcnt(10)
	v_mul_f32_e32 v129, v122, v197
	v_fmac_f32_e32 v129, v123, v196
	v_add_f32_e32 v132, v128, v129
	ds_read_b128 v[128:131], v4 offset:544
	s_waitcnt vmcnt(8) lgkmcnt(1)
	v_mul_f32_e32 v133, v124, v199
	v_fmac_f32_e32 v133, v125, v198
	v_add_f32_e32 v132, v132, v133
	s_waitcnt vmcnt(6)
	v_mul_f32_e32 v133, v126, v201
	v_fmac_f32_e32 v133, v127, v200
	v_add_f32_e32 v132, v132, v133
	s_waitcnt vmcnt(4) lgkmcnt(0)
	v_mul_f32_e32 v133, v128, v203
	v_fmac_f32_e32 v133, v129, v202
	v_add_f32_e32 v141, v132, v133
	ds_read_b128 v[132:135], v4 offset:560
	buffer_load_dword v143, off, s[0:3], 0 offset:260
	buffer_load_dword v142, off, s[0:3], 0 offset:256
	;; [unrolled: 1-line block ×4, first 2 shown]
	ds_read_b128 v[136:139], v4 offset:576
	buffer_load_dword v151, off, s[0:3], 0 offset:292
	buffer_load_dword v150, off, s[0:3], 0 offset:288
	;; [unrolled: 1-line block ×12, first 2 shown]
	v_mul_f32_e32 v5, v7, v5
	v_fma_f32 v5, v6, v169, -v5
	v_mul_f32_e32 v6, v9, v140
	v_add_f32_e32 v5, 0, v5
	v_fma_f32 v6, v8, v170, -v6
	v_add_f32_e32 v5, v5, v6
	v_mul_f32_e32 v6, v11, v146
	v_fma_f32 v6, v10, v171, -v6
	v_add_f32_e32 v5, v5, v6
	v_mul_f32_e32 v6, v13, v148
	;; [unrolled: 3-line block ×21, first 2 shown]
	v_fma_f32 v6, v128, v202, -v6
	s_waitcnt vmcnt(18)
	v_mul_f32_e32 v147, v130, v205
	v_add_f32_e32 v140, v5, v6
	v_mul_f32_e32 v5, v131, v205
	v_fmac_f32_e32 v147, v131, v204
	s_waitcnt vmcnt(16) lgkmcnt(1)
	v_mul_f32_e32 v149, v132, v207
	v_fma_f32 v146, v130, v204, -v5
	v_mul_f32_e32 v5, v133, v207
	v_fmac_f32_e32 v149, v133, v206
	s_waitcnt vmcnt(13)
	v_mov_b32_e32 v96, v145
	v_pk_mul_f32 v[96:97], v[134:135], v[96:97] op_sel_hi:[1,0]
	s_waitcnt vmcnt(12)
	v_pk_fma_f32 v[98:99], v[134:135], v[144:145], v[96:97] op_sel:[0,0,1] op_sel_hi:[1,1,0] neg_lo:[0,0,1] neg_hi:[0,0,1]
	v_pk_fma_f32 v[96:97], v[134:135], v[144:145], v[96:97] op_sel:[0,0,1] op_sel_hi:[1,0,0]
	v_fma_f32 v148, v132, v206, -v5
	v_pk_add_f32 v[16:17], v[140:141], v[146:147]
	v_mov_b32_e32 v96, v143
	v_pk_add_f32 v[16:17], v[16:17], v[148:149]
	v_mov_b32_e32 v99, v97
	s_waitcnt lgkmcnt(0)
	v_pk_mul_f32 v[96:97], v[136:137], v[96:97] op_sel_hi:[1,0]
	v_pk_add_f32 v[16:17], v[16:17], v[98:99]
	v_pk_fma_f32 v[98:99], v[136:137], v[142:143], v[96:97] op_sel:[0,0,1] op_sel_hi:[1,1,0] neg_lo:[0,0,1] neg_hi:[0,0,1]
	v_pk_fma_f32 v[96:97], v[136:137], v[142:143], v[96:97] op_sel:[0,0,1] op_sel_hi:[1,0,0]
	s_waitcnt vmcnt(5)
	v_mov_b32_e32 v96, v157
	ds_read_b128 v[6:9], v4 offset:592
	ds_read_b128 v[10:13], v4 offset:608
	ds_read_b64 v[14:15], v4 offset:624
	v_mov_b32_e32 v99, v97
	v_pk_mul_f32 v[96:97], v[138:139], v[96:97] op_sel_hi:[1,0]
	v_pk_add_f32 v[16:17], v[16:17], v[98:99]
	s_waitcnt vmcnt(4)
	v_pk_fma_f32 v[98:99], v[138:139], v[156:157], v[96:97] op_sel:[0,0,1] op_sel_hi:[1,1,0] neg_lo:[0,0,1] neg_hi:[0,0,1]
	v_pk_fma_f32 v[96:97], v[138:139], v[156:157], v[96:97] op_sel:[0,0,1] op_sel_hi:[1,0,0]
	v_mov_b32_e32 v96, v155
	v_mov_b32_e32 v99, v97
	s_waitcnt lgkmcnt(2)
	v_pk_mul_f32 v[96:97], v[6:7], v[96:97] op_sel_hi:[1,0]
	v_pk_add_f32 v[16:17], v[16:17], v[98:99]
	v_pk_fma_f32 v[98:99], v[6:7], v[154:155], v[96:97] op_sel:[0,0,1] op_sel_hi:[1,1,0] neg_lo:[0,0,1] neg_hi:[0,0,1]
	v_pk_fma_f32 v[6:7], v[6:7], v[154:155], v[96:97] op_sel:[0,0,1] op_sel_hi:[1,0,0]
	v_mov_b32_e32 v99, v7
	v_pk_add_f32 v[6:7], v[16:17], v[98:99]
	v_mov_b32_e32 v16, v153
	v_pk_mul_f32 v[16:17], v[8:9], v[16:17] op_sel_hi:[1,0]
	v_pk_fma_f32 v[96:97], v[8:9], v[152:153], v[16:17] op_sel:[0,0,1] op_sel_hi:[1,1,0] neg_lo:[0,0,1] neg_hi:[0,0,1]
	v_pk_fma_f32 v[8:9], v[8:9], v[152:153], v[16:17] op_sel:[0,0,1] op_sel_hi:[1,0,0]
	v_mov_b32_e32 v8, v151
	v_mov_b32_e32 v97, v9
	s_waitcnt lgkmcnt(1)
	v_pk_mul_f32 v[8:9], v[10:11], v[8:9] op_sel_hi:[1,0]
	v_pk_fma_f32 v[16:17], v[10:11], v[150:151], v[8:9] op_sel:[0,0,1] op_sel_hi:[1,1,0] neg_lo:[0,0,1] neg_hi:[0,0,1]
	v_pk_fma_f32 v[8:9], v[10:11], v[150:151], v[8:9] op_sel:[0,0,1] op_sel_hi:[1,0,0]
	s_waitcnt vmcnt(1)
	v_mov_b32_e32 v8, v161
	v_mov_b32_e32 v17, v9
	v_pk_mul_f32 v[8:9], v[12:13], v[8:9] op_sel_hi:[1,0]
	s_waitcnt vmcnt(0)
	v_pk_fma_f32 v[10:11], v[12:13], v[160:161], v[8:9] op_sel:[0,0,1] op_sel_hi:[1,1,0] neg_lo:[0,0,1] neg_hi:[0,0,1]
	v_pk_fma_f32 v[8:9], v[12:13], v[160:161], v[8:9] op_sel:[0,0,1] op_sel_hi:[1,0,0]
	v_pk_add_f32 v[6:7], v[6:7], v[96:97]
	v_mov_b32_e32 v8, v159
	v_pk_add_f32 v[6:7], v[6:7], v[16:17]
	v_mov_b32_e32 v11, v9
	s_waitcnt lgkmcnt(0)
	v_pk_mul_f32 v[8:9], v[14:15], v[8:9] op_sel_hi:[1,0]
	v_pk_add_f32 v[6:7], v[6:7], v[10:11]
	v_pk_fma_f32 v[10:11], v[14:15], v[158:159], v[8:9] op_sel:[0,0,1] op_sel_hi:[1,1,0] neg_lo:[0,0,1] neg_hi:[0,0,1]
	v_pk_fma_f32 v[8:9], v[14:15], v[158:159], v[8:9] op_sel:[0,0,1] op_sel_hi:[1,0,0]
	v_mov_b32_e32 v11, v9
	v_pk_add_f32 v[6:7], v[6:7], v[10:11]
	v_pk_add_f32 v[2:3], v[2:3], v[6:7] neg_lo:[0,1] neg_hi:[0,1]
	buffer_store_dword v3, off, s[0:3], 0 offset:44
	buffer_store_dword v2, off, s[0:3], 0 offset:40
	s_and_saveexec_b64 s[4:5], vcc
	s_cbranch_execz .LBB38_239
; %bb.238:
	buffer_load_dword v2, off, s[0:3], 0 offset:32
	buffer_load_dword v3, off, s[0:3], 0 offset:36
	s_waitcnt vmcnt(0)
	ds_write_b64 v1, v[2:3]
	buffer_store_dword v4, off, s[0:3], 0 offset:32
	buffer_store_dword v4, off, s[0:3], 0 offset:36
.LBB38_239:
	s_or_b64 exec, exec, s[4:5]
	s_waitcnt lgkmcnt(0)
	; wave barrier
	s_waitcnt lgkmcnt(0)
	buffer_load_dword v5, off, s[0:3], 0 offset:44
	buffer_load_dword v142, off, s[0:3], 0 offset:52
	;; [unrolled: 1-line block ×42, first 2 shown]
	ds_read2_b64 v[6:9], v4 offset0:45 offset1:46
	ds_read2_b64 v[10:13], v4 offset0:47 offset1:48
	buffer_load_dword v198, off, s[0:3], 0 offset:200
	buffer_load_dword v199, off, s[0:3], 0 offset:204
	ds_read2_b64 v[14:17], v4 offset0:49 offset1:50
	ds_read2_b64 v[96:99], v4 offset0:51 offset1:52
	buffer_load_dword v200, off, s[0:3], 0 offset:208
	buffer_load_dword v201, off, s[0:3], 0 offset:212
	;; [unrolled: 1-line block ×4, first 2 shown]
	ds_read2_b64 v[100:103], v4 offset0:53 offset1:54
	ds_read2_b64 v[104:107], v4 offset0:55 offset1:56
	buffer_load_dword v204, off, s[0:3], 0 offset:224
	buffer_load_dword v205, off, s[0:3], 0 offset:228
	;; [unrolled: 1-line block ×6, first 2 shown]
	v_cmp_lt_u32_e32 vcc, 3, v0
	s_waitcnt vmcnt(53) lgkmcnt(5)
	v_mul_f32_e32 v108, v6, v5
	s_waitcnt vmcnt(52)
	v_mul_f32_e32 v109, v8, v142
	s_waitcnt vmcnt(51) lgkmcnt(4)
	v_mul_f32_e32 v110, v10, v144
	s_waitcnt vmcnt(50)
	v_mul_f32_e32 v111, v12, v146
	;; [unrolled: 4-line block ×5, first 2 shown]
	s_waitcnt vmcnt(43)
	v_fmac_f32_e32 v108, v7, v168
	s_waitcnt vmcnt(42)
	v_fmac_f32_e32 v109, v9, v169
	v_add_f32_e32 v108, 0, v108
	s_waitcnt vmcnt(41)
	v_fmac_f32_e32 v110, v11, v170
	v_add_f32_e32 v108, v108, v109
	;; [unrolled: 3-line block ×9, first 2 shown]
	s_waitcnt vmcnt(33) lgkmcnt(0)
	v_mul_f32_e32 v109, v104, v178
	v_add_f32_e32 v108, v108, v117
	s_waitcnt vmcnt(32)
	v_fmac_f32_e32 v109, v105, v179
	v_add_f32_e32 v112, v108, v109
	ds_read2_b64 v[108:111], v4 offset0:57 offset1:58
	s_waitcnt vmcnt(31)
	v_mul_f32_e32 v113, v106, v180
	s_waitcnt vmcnt(30)
	v_fmac_f32_e32 v113, v107, v181
	v_add_f32_e32 v116, v112, v113
	ds_read2_b64 v[112:115], v4 offset0:59 offset1:60
	s_waitcnt vmcnt(29) lgkmcnt(1)
	v_mul_f32_e32 v117, v108, v182
	s_waitcnt vmcnt(28)
	v_fmac_f32_e32 v117, v109, v183
	v_add_f32_e32 v116, v116, v117
	s_waitcnt vmcnt(27)
	v_mul_f32_e32 v117, v110, v184
	s_waitcnt vmcnt(26)
	v_fmac_f32_e32 v117, v111, v185
	v_add_f32_e32 v116, v116, v117
	s_waitcnt vmcnt(25) lgkmcnt(0)
	v_mul_f32_e32 v117, v112, v186
	s_waitcnt vmcnt(24)
	v_fmac_f32_e32 v117, v113, v187
	v_add_f32_e32 v120, v116, v117
	ds_read2_b64 v[116:119], v4 offset0:61 offset1:62
	s_waitcnt vmcnt(23)
	v_mul_f32_e32 v121, v114, v188
	s_waitcnt vmcnt(22)
	v_fmac_f32_e32 v121, v115, v189
	v_add_f32_e32 v124, v120, v121
	ds_read2_b64 v[120:123], v4 offset0:63 offset1:64
	s_waitcnt vmcnt(21) lgkmcnt(1)
	v_mul_f32_e32 v125, v116, v190
	s_waitcnt vmcnt(20)
	v_fmac_f32_e32 v125, v117, v191
	v_add_f32_e32 v124, v124, v125
	s_waitcnt vmcnt(18)
	v_mul_f32_e32 v125, v118, v193
	v_fmac_f32_e32 v125, v119, v192
	v_add_f32_e32 v124, v124, v125
	s_waitcnt vmcnt(15) lgkmcnt(0)
	v_mul_f32_e32 v125, v120, v194
	s_waitcnt vmcnt(14)
	v_fmac_f32_e32 v125, v121, v195
	v_add_f32_e32 v128, v124, v125
	ds_read2_b64 v[124:127], v4 offset0:65 offset1:66
	s_waitcnt vmcnt(12)
	v_mul_f32_e32 v129, v122, v197
	v_fmac_f32_e32 v129, v123, v196
	v_add_f32_e32 v132, v128, v129
	ds_read2_b64 v[128:131], v4 offset0:67 offset1:68
	buffer_load_dword v141, off, s[0:3], 0 offset:252
	buffer_load_dword v140, off, s[0:3], 0 offset:248
	s_waitcnt vmcnt(12) lgkmcnt(1)
	v_mul_f32_e32 v133, v124, v199
	v_fmac_f32_e32 v133, v125, v198
	v_add_f32_e32 v132, v132, v133
	s_waitcnt vmcnt(10)
	v_mul_f32_e32 v133, v126, v201
	v_fmac_f32_e32 v133, v127, v200
	v_add_f32_e32 v132, v132, v133
	s_waitcnt vmcnt(8) lgkmcnt(0)
	v_mul_f32_e32 v133, v128, v203
	v_fmac_f32_e32 v133, v129, v202
	s_waitcnt vmcnt(6)
	v_mul_f32_e32 v137, v130, v205
	v_add_f32_e32 v136, v132, v133
	v_fmac_f32_e32 v137, v131, v204
	ds_read2_b64 v[132:135], v4 offset0:69 offset1:70
	v_add_f32_e32 v143, v136, v137
	ds_read2_b64 v[136:139], v4 offset0:71 offset1:72
	buffer_load_dword v149, off, s[0:3], 0 offset:284
	buffer_load_dword v148, off, s[0:3], 0 offset:280
	;; [unrolled: 1-line block ×14, first 2 shown]
	v_mul_f32_e32 v5, v7, v5
	v_fma_f32 v5, v6, v168, -v5
	v_mul_f32_e32 v6, v9, v142
	v_add_f32_e32 v5, 0, v5
	v_fma_f32 v6, v8, v169, -v6
	v_add_f32_e32 v5, v5, v6
	v_mul_f32_e32 v6, v11, v144
	v_fma_f32 v6, v10, v170, -v6
	v_add_f32_e32 v5, v5, v6
	v_mul_f32_e32 v6, v13, v146
	v_fma_f32 v6, v12, v171, -v6
	v_add_f32_e32 v5, v5, v6
	v_mul_f32_e32 v6, v15, v162
	v_fma_f32 v6, v14, v172, -v6
	v_add_f32_e32 v5, v5, v6
	v_mul_f32_e32 v6, v17, v163
	v_fma_f32 v6, v16, v173, -v6
	v_add_f32_e32 v5, v5, v6
	v_mul_f32_e32 v6, v97, v164
	v_fma_f32 v6, v96, v174, -v6
	v_add_f32_e32 v5, v5, v6
	v_mul_f32_e32 v6, v99, v165
	v_fma_f32 v6, v98, v175, -v6
	v_add_f32_e32 v5, v5, v6
	v_mul_f32_e32 v6, v101, v166
	v_fma_f32 v6, v100, v176, -v6
	v_add_f32_e32 v5, v5, v6
	v_mul_f32_e32 v6, v103, v167
	v_fma_f32 v6, v102, v177, -v6
	v_add_f32_e32 v5, v5, v6
	v_mul_f32_e32 v6, v105, v178
	v_fma_f32 v6, v104, v179, -v6
	v_add_f32_e32 v5, v5, v6
	v_mul_f32_e32 v6, v107, v180
	v_fma_f32 v6, v106, v181, -v6
	v_add_f32_e32 v5, v5, v6
	v_mul_f32_e32 v6, v109, v182
	v_fma_f32 v6, v108, v183, -v6
	v_add_f32_e32 v5, v5, v6
	v_mul_f32_e32 v6, v111, v184
	v_fma_f32 v6, v110, v185, -v6
	v_add_f32_e32 v5, v5, v6
	v_mul_f32_e32 v6, v113, v186
	v_fma_f32 v6, v112, v187, -v6
	v_add_f32_e32 v5, v5, v6
	v_mul_f32_e32 v6, v115, v188
	v_fma_f32 v6, v114, v189, -v6
	v_add_f32_e32 v5, v5, v6
	v_mul_f32_e32 v6, v117, v190
	v_fma_f32 v6, v116, v191, -v6
	v_add_f32_e32 v5, v5, v6
	v_mul_f32_e32 v6, v119, v193
	v_fma_f32 v6, v118, v192, -v6
	v_add_f32_e32 v5, v5, v6
	v_mul_f32_e32 v6, v121, v194
	v_fma_f32 v6, v120, v195, -v6
	v_add_f32_e32 v5, v5, v6
	v_mul_f32_e32 v6, v123, v197
	v_fma_f32 v6, v122, v196, -v6
	v_add_f32_e32 v5, v5, v6
	v_mul_f32_e32 v6, v125, v199
	v_fma_f32 v6, v124, v198, -v6
	v_add_f32_e32 v5, v5, v6
	v_mul_f32_e32 v6, v127, v201
	v_fma_f32 v6, v126, v200, -v6
	v_add_f32_e32 v5, v5, v6
	v_mul_f32_e32 v6, v129, v203
	v_fma_f32 v6, v128, v202, -v6
	v_add_f32_e32 v5, v5, v6
	v_mul_f32_e32 v6, v131, v205
	v_fma_f32 v6, v130, v204, -v6
	s_waitcnt vmcnt(15)
	v_mov_b32_e32 v96, v141
	s_waitcnt lgkmcnt(1)
	v_mul_f32_e32 v145, v132, v207
	v_add_f32_e32 v142, v5, v6
	v_mul_f32_e32 v5, v133, v207
	s_waitcnt lgkmcnt(0)
	v_pk_mul_f32 v[96:97], v[136:137], v[96:97] op_sel_hi:[1,0]
	v_fmac_f32_e32 v145, v133, v206
	v_mul_f32_e32 v147, v134, v209
	v_fma_f32 v144, v132, v206, -v5
	v_mul_f32_e32 v5, v135, v209
	s_waitcnt vmcnt(14)
	v_pk_fma_f32 v[98:99], v[136:137], v[140:141], v[96:97] op_sel:[0,0,1] op_sel_hi:[1,1,0] neg_lo:[0,0,1] neg_hi:[0,0,1]
	v_pk_fma_f32 v[96:97], v[136:137], v[140:141], v[96:97] op_sel:[0,0,1] op_sel_hi:[1,0,0]
	v_fmac_f32_e32 v147, v135, v208
	v_fma_f32 v146, v134, v208, -v5
	ds_read2_b64 v[6:9], v4 offset0:73 offset1:74
	ds_read2_b64 v[10:13], v4 offset0:75 offset1:76
	;; [unrolled: 1-line block ×3, first 2 shown]
	v_pk_add_f32 v[4:5], v[142:143], v[144:145]
	s_waitcnt vmcnt(7)
	v_mov_b32_e32 v96, v155
	v_pk_add_f32 v[4:5], v[4:5], v[146:147]
	v_mov_b32_e32 v99, v97
	v_pk_mul_f32 v[96:97], v[138:139], v[96:97] op_sel_hi:[1,0]
	v_pk_add_f32 v[4:5], v[4:5], v[98:99]
	s_waitcnt vmcnt(6)
	v_pk_fma_f32 v[98:99], v[138:139], v[154:155], v[96:97] op_sel:[0,0,1] op_sel_hi:[1,1,0] neg_lo:[0,0,1] neg_hi:[0,0,1]
	v_pk_fma_f32 v[96:97], v[138:139], v[154:155], v[96:97] op_sel:[0,0,1] op_sel_hi:[1,0,0]
	v_mov_b32_e32 v96, v153
	v_mov_b32_e32 v99, v97
	s_waitcnt lgkmcnt(2)
	v_pk_mul_f32 v[96:97], v[6:7], v[96:97] op_sel_hi:[1,0]
	v_pk_add_f32 v[4:5], v[4:5], v[98:99]
	v_pk_fma_f32 v[98:99], v[6:7], v[152:153], v[96:97] op_sel:[0,0,1] op_sel_hi:[1,1,0] neg_lo:[0,0,1] neg_hi:[0,0,1]
	v_pk_fma_f32 v[6:7], v[6:7], v[152:153], v[96:97] op_sel:[0,0,1] op_sel_hi:[1,0,0]
	v_mov_b32_e32 v6, v151
	v_mov_b32_e32 v99, v7
	v_pk_mul_f32 v[6:7], v[8:9], v[6:7] op_sel_hi:[1,0]
	v_pk_fma_f32 v[96:97], v[8:9], v[150:151], v[6:7] op_sel:[0,0,1] op_sel_hi:[1,1,0] neg_lo:[0,0,1] neg_hi:[0,0,1]
	v_pk_fma_f32 v[6:7], v[8:9], v[150:151], v[6:7] op_sel:[0,0,1] op_sel_hi:[1,0,0]
	v_mov_b32_e32 v6, v149
	v_mov_b32_e32 v97, v7
	s_waitcnt lgkmcnt(1)
	v_pk_mul_f32 v[6:7], v[10:11], v[6:7] op_sel_hi:[1,0]
	v_pk_fma_f32 v[8:9], v[10:11], v[148:149], v[6:7] op_sel:[0,0,1] op_sel_hi:[1,1,0] neg_lo:[0,0,1] neg_hi:[0,0,1]
	v_pk_fma_f32 v[6:7], v[10:11], v[148:149], v[6:7] op_sel:[0,0,1] op_sel_hi:[1,0,0]
	v_pk_add_f32 v[4:5], v[4:5], v[98:99]
	s_waitcnt vmcnt(1)
	v_mov_b32_e32 v6, v161
	v_pk_add_f32 v[4:5], v[4:5], v[96:97]
	v_mov_b32_e32 v9, v7
	v_pk_mul_f32 v[6:7], v[12:13], v[6:7] op_sel_hi:[1,0]
	v_pk_add_f32 v[4:5], v[4:5], v[8:9]
	s_waitcnt vmcnt(0)
	v_pk_fma_f32 v[8:9], v[12:13], v[160:161], v[6:7] op_sel:[0,0,1] op_sel_hi:[1,1,0] neg_lo:[0,0,1] neg_hi:[0,0,1]
	v_pk_fma_f32 v[6:7], v[12:13], v[160:161], v[6:7] op_sel:[0,0,1] op_sel_hi:[1,0,0]
	v_mov_b32_e32 v6, v159
	v_mov_b32_e32 v9, v7
	s_waitcnt lgkmcnt(0)
	v_pk_mul_f32 v[6:7], v[14:15], v[6:7] op_sel_hi:[1,0]
	v_pk_add_f32 v[4:5], v[4:5], v[8:9]
	v_pk_fma_f32 v[8:9], v[14:15], v[158:159], v[6:7] op_sel:[0,0,1] op_sel_hi:[1,1,0] neg_lo:[0,0,1] neg_hi:[0,0,1]
	v_pk_fma_f32 v[6:7], v[14:15], v[158:159], v[6:7] op_sel:[0,0,1] op_sel_hi:[1,0,0]
	v_mov_b32_e32 v6, v157
	v_mov_b32_e32 v9, v7
	v_pk_mul_f32 v[6:7], v[16:17], v[6:7] op_sel_hi:[1,0]
	v_pk_add_f32 v[4:5], v[4:5], v[8:9]
	v_pk_fma_f32 v[8:9], v[16:17], v[156:157], v[6:7] op_sel:[0,0,1] op_sel_hi:[1,1,0] neg_lo:[0,0,1] neg_hi:[0,0,1]
	v_pk_fma_f32 v[6:7], v[16:17], v[156:157], v[6:7] op_sel:[0,0,1] op_sel_hi:[1,0,0]
	v_mov_b32_e32 v9, v7
	v_pk_add_f32 v[4:5], v[4:5], v[8:9]
	v_pk_add_f32 v[2:3], v[2:3], v[4:5] neg_lo:[0,1] neg_hi:[0,1]
	buffer_store_dword v3, off, s[0:3], 0 offset:36
	buffer_store_dword v2, off, s[0:3], 0 offset:32
	s_and_saveexec_b64 s[4:5], vcc
	s_cbranch_execz .LBB38_241
; %bb.240:
	buffer_load_dword v2, off, s[0:3], 0 offset:24
	buffer_load_dword v3, off, s[0:3], 0 offset:28
	v_mov_b32_e32 v4, 0
	buffer_store_dword v4, off, s[0:3], 0 offset:24
	buffer_store_dword v4, off, s[0:3], 0 offset:28
	s_waitcnt vmcnt(2)
	ds_write_b64 v1, v[2:3]
.LBB38_241:
	s_or_b64 exec, exec, s[4:5]
	s_waitcnt lgkmcnt(0)
	; wave barrier
	s_waitcnt lgkmcnt(0)
	buffer_load_dword v5, off, s[0:3], 0 offset:36
	buffer_load_dword v140, off, s[0:3], 0 offset:44
	;; [unrolled: 1-line block ×56, first 2 shown]
	v_mov_b32_e32 v4, 0
	ds_read_b128 v[6:9], v4 offset:352
	ds_read_b128 v[10:13], v4 offset:368
	;; [unrolled: 1-line block ×6, first 2 shown]
	v_cmp_lt_u32_e32 vcc, 2, v0
	s_waitcnt vmcnt(55) lgkmcnt(5)
	v_mul_f32_e32 v108, v6, v5
	s_waitcnt vmcnt(54)
	v_mul_f32_e32 v109, v8, v140
	s_waitcnt vmcnt(53) lgkmcnt(4)
	v_mul_f32_e32 v110, v10, v142
	s_waitcnt vmcnt(52)
	v_mul_f32_e32 v111, v12, v144
	;; [unrolled: 4-line block ×4, first 2 shown]
	s_waitcnt vmcnt(47) lgkmcnt(1)
	v_mul_f32_e32 v116, v100, v166
	s_waitcnt vmcnt(46)
	v_fmac_f32_e32 v108, v7, v167
	s_waitcnt vmcnt(45)
	v_fmac_f32_e32 v109, v9, v168
	v_add_f32_e32 v108, 0, v108
	s_waitcnt vmcnt(44)
	v_fmac_f32_e32 v110, v11, v169
	v_add_f32_e32 v108, v108, v109
	;; [unrolled: 3-line block ×7, first 2 shown]
	v_add_f32_e32 v108, v108, v115
	s_waitcnt vmcnt(38)
	v_fmac_f32_e32 v116, v101, v175
	s_waitcnt vmcnt(37)
	v_mul_f32_e32 v109, v102, v176
	v_add_f32_e32 v108, v108, v116
	s_waitcnt vmcnt(36)
	v_fmac_f32_e32 v109, v103, v177
	v_add_f32_e32 v108, v108, v109
	s_waitcnt vmcnt(35) lgkmcnt(0)
	v_mul_f32_e32 v109, v104, v178
	s_waitcnt vmcnt(34)
	v_fmac_f32_e32 v109, v105, v179
	v_add_f32_e32 v112, v108, v109
	ds_read_b128 v[108:111], v4 offset:448
	s_waitcnt vmcnt(33)
	v_mul_f32_e32 v113, v106, v180
	s_waitcnt vmcnt(32)
	v_fmac_f32_e32 v113, v107, v181
	v_add_f32_e32 v116, v112, v113
	ds_read_b128 v[112:115], v4 offset:464
	s_waitcnt vmcnt(31) lgkmcnt(1)
	v_mul_f32_e32 v117, v108, v182
	s_waitcnt vmcnt(30)
	v_fmac_f32_e32 v117, v109, v183
	v_add_f32_e32 v116, v116, v117
	s_waitcnt vmcnt(29)
	v_mul_f32_e32 v117, v110, v184
	s_waitcnt vmcnt(28)
	v_fmac_f32_e32 v117, v111, v185
	v_add_f32_e32 v116, v116, v117
	s_waitcnt vmcnt(27) lgkmcnt(0)
	v_mul_f32_e32 v117, v112, v186
	s_waitcnt vmcnt(26)
	v_fmac_f32_e32 v117, v113, v187
	v_add_f32_e32 v120, v116, v117
	ds_read_b128 v[116:119], v4 offset:480
	s_waitcnt vmcnt(24)
	v_mul_f32_e32 v121, v114, v189
	v_fmac_f32_e32 v121, v115, v188
	v_add_f32_e32 v124, v120, v121
	ds_read_b128 v[120:123], v4 offset:496
	s_waitcnt vmcnt(20) lgkmcnt(1)
	v_mul_f32_e32 v125, v116, v191
	v_fmac_f32_e32 v125, v117, v190
	v_add_f32_e32 v124, v124, v125
	s_waitcnt vmcnt(18)
	v_mul_f32_e32 v125, v118, v193
	v_fmac_f32_e32 v125, v119, v192
	v_add_f32_e32 v124, v124, v125
	s_waitcnt vmcnt(16) lgkmcnt(0)
	v_mul_f32_e32 v125, v120, v195
	v_fmac_f32_e32 v125, v121, v194
	v_add_f32_e32 v128, v124, v125
	ds_read_b128 v[124:127], v4 offset:512
	s_waitcnt vmcnt(14)
	v_mul_f32_e32 v129, v122, v197
	v_fmac_f32_e32 v129, v123, v196
	v_add_f32_e32 v132, v128, v129
	ds_read_b128 v[128:131], v4 offset:528
	s_waitcnt vmcnt(12) lgkmcnt(1)
	v_mul_f32_e32 v133, v124, v199
	v_fmac_f32_e32 v133, v125, v198
	v_add_f32_e32 v132, v132, v133
	s_waitcnt vmcnt(10)
	v_mul_f32_e32 v133, v126, v201
	v_fmac_f32_e32 v133, v127, v200
	v_add_f32_e32 v132, v132, v133
	s_waitcnt vmcnt(8) lgkmcnt(0)
	v_mul_f32_e32 v133, v128, v203
	v_fmac_f32_e32 v133, v129, v202
	s_waitcnt vmcnt(6)
	v_mul_f32_e32 v137, v130, v205
	v_add_f32_e32 v136, v132, v133
	v_fmac_f32_e32 v137, v131, v204
	ds_read_b128 v[132:135], v4 offset:544
	v_add_f32_e32 v141, v136, v137
	ds_read_b128 v[136:139], v4 offset:560
	buffer_load_dword v147, off, s[0:3], 0 offset:276
	buffer_load_dword v146, off, s[0:3], 0 offset:272
	;; [unrolled: 1-line block ×16, first 2 shown]
	v_mul_f32_e32 v5, v7, v5
	v_fma_f32 v5, v6, v167, -v5
	v_mul_f32_e32 v6, v9, v140
	v_add_f32_e32 v5, 0, v5
	v_fma_f32 v6, v8, v168, -v6
	v_add_f32_e32 v5, v5, v6
	v_mul_f32_e32 v6, v11, v142
	v_fma_f32 v6, v10, v169, -v6
	v_add_f32_e32 v5, v5, v6
	v_mul_f32_e32 v6, v13, v144
	;; [unrolled: 3-line block ×22, first 2 shown]
	v_fma_f32 v6, v130, v204, -v6
	s_waitcnt vmcnt(20) lgkmcnt(1)
	v_mul_f32_e32 v143, v132, v207
	v_add_f32_e32 v5, v5, v6
	v_mul_f32_e32 v6, v133, v207
	v_fmac_f32_e32 v143, v133, v206
	v_fma_f32 v6, v132, v206, -v6
	s_waitcnt vmcnt(9)
	v_mov_b32_e32 v100, v153
	v_add_f32_e32 v141, v141, v143
	v_mul_f32_e32 v143, v134, v209
	v_add_f32_e32 v140, v5, v6
	v_mul_f32_e32 v5, v135, v209
	s_waitcnt lgkmcnt(0)
	v_pk_mul_f32 v[100:101], v[138:139], v[100:101] op_sel_hi:[1,0]
	v_fmac_f32_e32 v143, v135, v208
	v_mul_f32_e32 v145, v136, v211
	v_fma_f32 v142, v134, v208, -v5
	v_mul_f32_e32 v5, v137, v211
	ds_read_b128 v[6:9], v4 offset:576
	ds_read_b128 v[10:13], v4 offset:592
	;; [unrolled: 1-line block ×3, first 2 shown]
	ds_read_b64 v[96:97], v4 offset:624
	s_waitcnt vmcnt(8)
	v_pk_fma_f32 v[102:103], v[138:139], v[152:153], v[100:101] op_sel:[0,0,1] op_sel_hi:[1,1,0] neg_lo:[0,0,1] neg_hi:[0,0,1]
	v_pk_fma_f32 v[100:101], v[138:139], v[152:153], v[100:101] op_sel:[0,0,1] op_sel_hi:[1,0,0]
	v_fmac_f32_e32 v145, v137, v210
	v_fma_f32 v144, v136, v210, -v5
	v_pk_add_f32 v[98:99], v[140:141], v[142:143]
	v_mov_b32_e32 v100, v151
	v_pk_add_f32 v[98:99], v[98:99], v[144:145]
	v_mov_b32_e32 v103, v101
	s_waitcnt lgkmcnt(3)
	v_pk_mul_f32 v[100:101], v[6:7], v[100:101] op_sel_hi:[1,0]
	v_pk_add_f32 v[98:99], v[98:99], v[102:103]
	v_pk_fma_f32 v[102:103], v[6:7], v[150:151], v[100:101] op_sel:[0,0,1] op_sel_hi:[1,1,0] neg_lo:[0,0,1] neg_hi:[0,0,1]
	v_pk_fma_f32 v[6:7], v[6:7], v[150:151], v[100:101] op_sel:[0,0,1] op_sel_hi:[1,0,0]
	v_mov_b32_e32 v103, v7
	v_pk_add_f32 v[6:7], v[98:99], v[102:103]
	v_mov_b32_e32 v98, v149
	v_pk_mul_f32 v[98:99], v[8:9], v[98:99] op_sel_hi:[1,0]
	v_pk_fma_f32 v[100:101], v[8:9], v[148:149], v[98:99] op_sel:[0,0,1] op_sel_hi:[1,1,0] neg_lo:[0,0,1] neg_hi:[0,0,1]
	v_pk_fma_f32 v[8:9], v[8:9], v[148:149], v[98:99] op_sel:[0,0,1] op_sel_hi:[1,0,0]
	v_mov_b32_e32 v8, v147
	v_mov_b32_e32 v101, v9
	s_waitcnt lgkmcnt(2)
	v_pk_mul_f32 v[8:9], v[10:11], v[8:9] op_sel_hi:[1,0]
	v_pk_fma_f32 v[98:99], v[10:11], v[146:147], v[8:9] op_sel:[0,0,1] op_sel_hi:[1,1,0] neg_lo:[0,0,1] neg_hi:[0,0,1]
	v_pk_fma_f32 v[8:9], v[10:11], v[146:147], v[8:9] op_sel:[0,0,1] op_sel_hi:[1,0,0]
	s_waitcnt vmcnt(1)
	v_mov_b32_e32 v8, v161
	v_mov_b32_e32 v99, v9
	v_pk_mul_f32 v[8:9], v[12:13], v[8:9] op_sel_hi:[1,0]
	s_waitcnt vmcnt(0)
	v_pk_fma_f32 v[10:11], v[12:13], v[160:161], v[8:9] op_sel:[0,0,1] op_sel_hi:[1,1,0] neg_lo:[0,0,1] neg_hi:[0,0,1]
	v_pk_fma_f32 v[8:9], v[12:13], v[160:161], v[8:9] op_sel:[0,0,1] op_sel_hi:[1,0,0]
	v_pk_add_f32 v[6:7], v[6:7], v[100:101]
	v_mov_b32_e32 v8, v159
	v_pk_add_f32 v[6:7], v[6:7], v[98:99]
	v_mov_b32_e32 v11, v9
	s_waitcnt lgkmcnt(1)
	v_pk_mul_f32 v[8:9], v[14:15], v[8:9] op_sel_hi:[1,0]
	v_pk_add_f32 v[6:7], v[6:7], v[10:11]
	v_pk_fma_f32 v[10:11], v[14:15], v[158:159], v[8:9] op_sel:[0,0,1] op_sel_hi:[1,1,0] neg_lo:[0,0,1] neg_hi:[0,0,1]
	v_pk_fma_f32 v[8:9], v[14:15], v[158:159], v[8:9] op_sel:[0,0,1] op_sel_hi:[1,0,0]
	v_mov_b32_e32 v8, v157
	v_mov_b32_e32 v11, v9
	v_pk_mul_f32 v[8:9], v[16:17], v[8:9] op_sel_hi:[1,0]
	v_pk_add_f32 v[6:7], v[6:7], v[10:11]
	v_pk_fma_f32 v[10:11], v[16:17], v[156:157], v[8:9] op_sel:[0,0,1] op_sel_hi:[1,1,0] neg_lo:[0,0,1] neg_hi:[0,0,1]
	v_pk_fma_f32 v[8:9], v[16:17], v[156:157], v[8:9] op_sel:[0,0,1] op_sel_hi:[1,0,0]
	v_mov_b32_e32 v8, v155
	v_mov_b32_e32 v11, v9
	s_waitcnt lgkmcnt(0)
	v_pk_mul_f32 v[8:9], v[96:97], v[8:9] op_sel_hi:[1,0]
	v_pk_add_f32 v[6:7], v[6:7], v[10:11]
	v_pk_fma_f32 v[10:11], v[96:97], v[154:155], v[8:9] op_sel:[0,0,1] op_sel_hi:[1,1,0] neg_lo:[0,0,1] neg_hi:[0,0,1]
	v_pk_fma_f32 v[8:9], v[96:97], v[154:155], v[8:9] op_sel:[0,0,1] op_sel_hi:[1,0,0]
	v_mov_b32_e32 v11, v9
	v_pk_add_f32 v[6:7], v[6:7], v[10:11]
	v_pk_add_f32 v[2:3], v[2:3], v[6:7] neg_lo:[0,1] neg_hi:[0,1]
	buffer_store_dword v3, off, s[0:3], 0 offset:28
	buffer_store_dword v2, off, s[0:3], 0 offset:24
	s_and_saveexec_b64 s[4:5], vcc
	s_cbranch_execz .LBB38_243
; %bb.242:
	buffer_load_dword v2, off, s[0:3], 0 offset:16
	buffer_load_dword v3, off, s[0:3], 0 offset:20
	s_waitcnt vmcnt(0)
	ds_write_b64 v1, v[2:3]
	buffer_store_dword v4, off, s[0:3], 0 offset:16
	buffer_store_dword v4, off, s[0:3], 0 offset:20
.LBB38_243:
	s_or_b64 exec, exec, s[4:5]
	s_waitcnt lgkmcnt(0)
	; wave barrier
	s_waitcnt lgkmcnt(0)
	buffer_load_dword v5, off, s[0:3], 0 offset:28
	buffer_load_dword v140, off, s[0:3], 0 offset:36
	;; [unrolled: 1-line block ×36, first 2 shown]
	ds_read2_b64 v[6:9], v4 offset0:43 offset1:44
	ds_read2_b64 v[10:13], v4 offset0:45 offset1:46
	buffer_load_dword v192, off, s[0:3], 0 offset:160
	buffer_load_dword v193, off, s[0:3], 0 offset:164
	;; [unrolled: 1-line block ×4, first 2 shown]
	ds_read2_b64 v[14:17], v4 offset0:47 offset1:48
	ds_read2_b64 v[96:99], v4 offset0:49 offset1:50
	buffer_load_dword v196, off, s[0:3], 0 offset:176
	buffer_load_dword v197, off, s[0:3], 0 offset:180
	ds_read2_b64 v[100:103], v4 offset0:51 offset1:52
	ds_read2_b64 v[104:107], v4 offset0:53 offset1:54
	buffer_load_dword v198, off, s[0:3], 0 offset:184
	buffer_load_dword v199, off, s[0:3], 0 offset:188
	;; [unrolled: 1-line block ×16, first 2 shown]
	v_cmp_lt_u32_e32 vcc, 1, v0
	s_waitcnt vmcnt(57) lgkmcnt(5)
	v_mul_f32_e32 v108, v6, v5
	s_waitcnt vmcnt(56)
	v_mul_f32_e32 v109, v8, v140
	s_waitcnt vmcnt(55) lgkmcnt(4)
	v_mul_f32_e32 v110, v10, v142
	s_waitcnt vmcnt(54)
	v_mul_f32_e32 v111, v12, v150
	;; [unrolled: 4-line block ×4, first 2 shown]
	s_waitcnt vmcnt(49)
	v_fmac_f32_e32 v108, v7, v166
	s_waitcnt vmcnt(48)
	v_fmac_f32_e32 v109, v9, v167
	v_add_f32_e32 v108, 0, v108
	s_waitcnt vmcnt(47)
	v_fmac_f32_e32 v110, v11, v168
	v_add_f32_e32 v108, v108, v109
	s_waitcnt vmcnt(46)
	v_fmac_f32_e32 v111, v13, v169
	v_add_f32_e32 v108, v108, v110
	s_waitcnt vmcnt(45)
	v_fmac_f32_e32 v112, v15, v170
	v_add_f32_e32 v108, v108, v111
	s_waitcnt vmcnt(44)
	v_fmac_f32_e32 v113, v17, v171
	v_add_f32_e32 v108, v108, v112
	s_waitcnt vmcnt(43)
	v_fmac_f32_e32 v114, v97, v172
	v_add_f32_e32 v108, v108, v113
	s_waitcnt vmcnt(42)
	v_fmac_f32_e32 v115, v99, v173
	v_add_f32_e32 v108, v108, v114
	s_waitcnt vmcnt(41) lgkmcnt(1)
	v_mul_f32_e32 v109, v100, v174
	v_add_f32_e32 v108, v108, v115
	s_waitcnt vmcnt(40)
	v_fmac_f32_e32 v109, v101, v175
	v_add_f32_e32 v108, v108, v109
	s_waitcnt vmcnt(39)
	v_mul_f32_e32 v109, v102, v176
	s_waitcnt vmcnt(38)
	v_fmac_f32_e32 v109, v103, v177
	v_add_f32_e32 v108, v108, v109
	s_waitcnt vmcnt(37) lgkmcnt(0)
	v_mul_f32_e32 v109, v104, v178
	s_waitcnt vmcnt(36)
	v_fmac_f32_e32 v109, v105, v179
	v_add_f32_e32 v112, v108, v109
	ds_read2_b64 v[108:111], v4 offset0:55 offset1:56
	s_waitcnt vmcnt(35)
	v_mul_f32_e32 v113, v106, v180
	s_waitcnt vmcnt(34)
	v_fmac_f32_e32 v113, v107, v181
	v_add_f32_e32 v116, v112, v113
	ds_read2_b64 v[112:115], v4 offset0:57 offset1:58
	s_waitcnt vmcnt(33) lgkmcnt(1)
	v_mul_f32_e32 v117, v108, v182
	s_waitcnt vmcnt(32)
	v_fmac_f32_e32 v117, v109, v183
	v_add_f32_e32 v116, v116, v117
	s_waitcnt vmcnt(31)
	v_mul_f32_e32 v117, v110, v184
	s_waitcnt vmcnt(30)
	v_fmac_f32_e32 v117, v111, v185
	v_add_f32_e32 v116, v116, v117
	s_waitcnt vmcnt(29) lgkmcnt(0)
	v_mul_f32_e32 v117, v112, v186
	s_waitcnt vmcnt(28)
	v_fmac_f32_e32 v117, v113, v187
	v_add_f32_e32 v120, v116, v117
	ds_read2_b64 v[116:119], v4 offset0:59 offset1:60
	s_waitcnt vmcnt(25)
	v_mul_f32_e32 v121, v114, v188
	s_waitcnt vmcnt(24)
	v_fmac_f32_e32 v121, v115, v189
	v_add_f32_e32 v124, v120, v121
	ds_read2_b64 v[120:123], v4 offset0:61 offset1:62
	s_waitcnt vmcnt(22) lgkmcnt(1)
	v_mul_f32_e32 v125, v116, v191
	v_fmac_f32_e32 v125, v117, v190
	v_add_f32_e32 v124, v124, v125
	s_waitcnt vmcnt(20)
	v_mul_f32_e32 v125, v118, v193
	v_fmac_f32_e32 v125, v119, v192
	v_add_f32_e32 v124, v124, v125
	s_waitcnt vmcnt(18) lgkmcnt(0)
	v_mul_f32_e32 v125, v120, v195
	v_fmac_f32_e32 v125, v121, v194
	v_add_f32_e32 v128, v124, v125
	ds_read2_b64 v[124:127], v4 offset0:63 offset1:64
	s_waitcnt vmcnt(16)
	v_mul_f32_e32 v129, v122, v197
	v_fmac_f32_e32 v129, v123, v196
	v_add_f32_e32 v132, v128, v129
	ds_read2_b64 v[128:131], v4 offset0:65 offset1:66
	s_waitcnt vmcnt(14) lgkmcnt(1)
	v_mul_f32_e32 v133, v124, v199
	v_fmac_f32_e32 v133, v125, v198
	v_add_f32_e32 v132, v132, v133
	s_waitcnt vmcnt(12)
	v_mul_f32_e32 v133, v126, v201
	v_fmac_f32_e32 v133, v127, v200
	v_add_f32_e32 v132, v132, v133
	s_waitcnt vmcnt(10) lgkmcnt(0)
	v_mul_f32_e32 v133, v128, v203
	v_fmac_f32_e32 v133, v129, v202
	s_waitcnt vmcnt(8)
	v_mul_f32_e32 v137, v130, v205
	v_add_f32_e32 v136, v132, v133
	v_fmac_f32_e32 v137, v131, v204
	ds_read2_b64 v[132:135], v4 offset0:67 offset1:68
	v_add_f32_e32 v141, v136, v137
	ds_read2_b64 v[136:139], v4 offset0:69 offset1:70
	buffer_load_dword v145, off, s[0:3], 0 offset:268
	buffer_load_dword v144, off, s[0:3], 0 offset:264
	;; [unrolled: 1-line block ×16, first 2 shown]
	v_mul_f32_e32 v5, v7, v5
	v_fma_f32 v5, v6, v166, -v5
	v_mul_f32_e32 v6, v9, v140
	v_add_f32_e32 v5, 0, v5
	v_fma_f32 v6, v8, v167, -v6
	v_add_f32_e32 v5, v5, v6
	v_mul_f32_e32 v6, v11, v142
	v_fma_f32 v6, v10, v168, -v6
	v_add_f32_e32 v5, v5, v6
	v_mul_f32_e32 v6, v13, v150
	;; [unrolled: 3-line block ×22, first 2 shown]
	v_fma_f32 v6, v130, v204, -v6
	v_add_f32_e32 v5, v5, v6
	s_waitcnt vmcnt(22) lgkmcnt(1)
	v_mul_f32_e32 v6, v133, v207
	v_fma_f32 v6, v132, v206, -v6
	v_add_f32_e32 v5, v5, v6
	s_waitcnt vmcnt(20)
	v_mul_f32_e32 v6, v135, v209
	v_fma_f32 v6, v134, v208, -v6
	v_add_f32_e32 v140, v5, v6
	ds_read2_b64 v[6:9], v4 offset0:71 offset1:72
	ds_read2_b64 v[10:13], v4 offset0:73 offset1:74
	;; [unrolled: 1-line block ×4, first 2 shown]
	s_waitcnt vmcnt(11)
	v_mov_b32_e32 v100, v149
	v_mul_f32_e32 v143, v132, v207
	s_waitcnt lgkmcnt(3)
	v_pk_mul_f32 v[100:101], v[6:7], v[100:101] op_sel_hi:[1,0]
	v_fmac_f32_e32 v143, v133, v206
	s_waitcnt vmcnt(10)
	v_pk_fma_f32 v[102:103], v[6:7], v[148:149], v[100:101] op_sel:[0,0,1] op_sel_hi:[1,1,0] neg_lo:[0,0,1] neg_hi:[0,0,1]
	v_pk_fma_f32 v[6:7], v[6:7], v[148:149], v[100:101] op_sel:[0,0,1] op_sel_hi:[1,0,0]
	v_add_f32_e32 v141, v141, v143
	v_mul_f32_e32 v143, v134, v209
	v_mov_b32_e32 v6, v147
	v_fmac_f32_e32 v143, v135, v208
	v_mov_b32_e32 v103, v7
	v_pk_mul_f32 v[6:7], v[8:9], v[6:7] op_sel_hi:[1,0]
	v_add_f32_e32 v141, v141, v143
	v_mul_f32_e32 v143, v136, v211
	v_mul_f32_e32 v5, v137, v211
	v_pk_fma_f32 v[100:101], v[8:9], v[146:147], v[6:7] op_sel:[0,0,1] op_sel_hi:[1,1,0] neg_lo:[0,0,1] neg_hi:[0,0,1]
	v_pk_fma_f32 v[6:7], v[8:9], v[146:147], v[6:7] op_sel:[0,0,1] op_sel_hi:[1,0,0]
	v_fmac_f32_e32 v143, v137, v210
	v_mul_f32_e32 v151, v138, v213
	v_fma_f32 v142, v136, v210, -v5
	v_mul_f32_e32 v5, v139, v213
	v_mov_b32_e32 v6, v145
	v_fmac_f32_e32 v151, v139, v212
	v_fma_f32 v150, v138, v212, -v5
	v_pk_add_f32 v[4:5], v[140:141], v[142:143]
	v_mov_b32_e32 v101, v7
	s_waitcnt lgkmcnt(2)
	v_pk_mul_f32 v[6:7], v[10:11], v[6:7] op_sel_hi:[1,0]
	v_pk_add_f32 v[4:5], v[4:5], v[150:151]
	v_pk_fma_f32 v[8:9], v[10:11], v[144:145], v[6:7] op_sel:[0,0,1] op_sel_hi:[1,1,0] neg_lo:[0,0,1] neg_hi:[0,0,1]
	v_pk_fma_f32 v[6:7], v[10:11], v[144:145], v[6:7] op_sel:[0,0,1] op_sel_hi:[1,0,0]
	v_pk_add_f32 v[4:5], v[4:5], v[102:103]
	s_waitcnt vmcnt(3)
	v_mov_b32_e32 v6, v159
	v_pk_add_f32 v[4:5], v[4:5], v[100:101]
	v_mov_b32_e32 v9, v7
	v_pk_mul_f32 v[6:7], v[12:13], v[6:7] op_sel_hi:[1,0]
	v_pk_add_f32 v[4:5], v[4:5], v[8:9]
	s_waitcnt vmcnt(2)
	v_pk_fma_f32 v[8:9], v[12:13], v[158:159], v[6:7] op_sel:[0,0,1] op_sel_hi:[1,1,0] neg_lo:[0,0,1] neg_hi:[0,0,1]
	v_pk_fma_f32 v[6:7], v[12:13], v[158:159], v[6:7] op_sel:[0,0,1] op_sel_hi:[1,0,0]
	v_mov_b32_e32 v6, v157
	v_mov_b32_e32 v9, v7
	s_waitcnt lgkmcnt(1)
	v_pk_mul_f32 v[6:7], v[14:15], v[6:7] op_sel_hi:[1,0]
	v_pk_add_f32 v[4:5], v[4:5], v[8:9]
	v_pk_fma_f32 v[8:9], v[14:15], v[156:157], v[6:7] op_sel:[0,0,1] op_sel_hi:[1,1,0] neg_lo:[0,0,1] neg_hi:[0,0,1]
	v_pk_fma_f32 v[6:7], v[14:15], v[156:157], v[6:7] op_sel:[0,0,1] op_sel_hi:[1,0,0]
	v_mov_b32_e32 v6, v155
	v_mov_b32_e32 v9, v7
	v_pk_mul_f32 v[6:7], v[16:17], v[6:7] op_sel_hi:[1,0]
	v_pk_add_f32 v[4:5], v[4:5], v[8:9]
	v_pk_fma_f32 v[8:9], v[16:17], v[154:155], v[6:7] op_sel:[0,0,1] op_sel_hi:[1,1,0] neg_lo:[0,0,1] neg_hi:[0,0,1]
	v_pk_fma_f32 v[6:7], v[16:17], v[154:155], v[6:7] op_sel:[0,0,1] op_sel_hi:[1,0,0]
	v_mov_b32_e32 v6, v153
	v_mov_b32_e32 v9, v7
	s_waitcnt lgkmcnt(0)
	v_pk_mul_f32 v[6:7], v[96:97], v[6:7] op_sel_hi:[1,0]
	v_pk_add_f32 v[4:5], v[4:5], v[8:9]
	v_pk_fma_f32 v[8:9], v[96:97], v[152:153], v[6:7] op_sel:[0,0,1] op_sel_hi:[1,1,0] neg_lo:[0,0,1] neg_hi:[0,0,1]
	v_pk_fma_f32 v[6:7], v[96:97], v[152:153], v[6:7] op_sel:[0,0,1] op_sel_hi:[1,0,0]
	s_waitcnt vmcnt(1)
	v_mov_b32_e32 v6, v161
	v_mov_b32_e32 v9, v7
	v_pk_mul_f32 v[6:7], v[98:99], v[6:7] op_sel_hi:[1,0]
	v_pk_add_f32 v[4:5], v[4:5], v[8:9]
	s_waitcnt vmcnt(0)
	v_pk_fma_f32 v[8:9], v[98:99], v[160:161], v[6:7] op_sel:[0,0,1] op_sel_hi:[1,1,0] neg_lo:[0,0,1] neg_hi:[0,0,1]
	v_pk_fma_f32 v[6:7], v[98:99], v[160:161], v[6:7] op_sel:[0,0,1] op_sel_hi:[1,0,0]
	v_mov_b32_e32 v9, v7
	v_pk_add_f32 v[4:5], v[4:5], v[8:9]
	v_pk_add_f32 v[2:3], v[2:3], v[4:5] neg_lo:[0,1] neg_hi:[0,1]
	buffer_store_dword v3, off, s[0:3], 0 offset:20
	buffer_store_dword v2, off, s[0:3], 0 offset:16
	s_and_saveexec_b64 s[4:5], vcc
	s_cbranch_execz .LBB38_245
; %bb.244:
	buffer_load_dword v2, off, s[0:3], 0 offset:8
	buffer_load_dword v3, off, s[0:3], 0 offset:12
	v_mov_b32_e32 v4, 0
	buffer_store_dword v4, off, s[0:3], 0 offset:8
	buffer_store_dword v4, off, s[0:3], 0 offset:12
	s_waitcnt vmcnt(2)
	ds_write_b64 v1, v[2:3]
.LBB38_245:
	s_or_b64 exec, exec, s[4:5]
	s_waitcnt lgkmcnt(0)
	; wave barrier
	s_waitcnt lgkmcnt(0)
	buffer_load_dword v12, off, s[0:3], 0 offset:20
	buffer_load_dword v15, off, s[0:3], 0 offset:28
	;; [unrolled: 1-line block ×56, first 2 shown]
	v_mov_b32_e32 v14, 0
	ds_read_b128 v[2:5], v14 offset:336
	buffer_load_dword v220, off, s[0:3], 0 offset:232
	buffer_load_dword v221, off, s[0:3], 0 offset:236
	;; [unrolled: 1-line block ×4, first 2 shown]
	ds_read_b128 v[8:11], v14 offset:352
	ds_read_b128 v[96:99], v14 offset:368
	;; [unrolled: 1-line block ×12, first 2 shown]
	v_cmp_ne_u32_e32 vcc, 0, v0
	ds_read_b128 v[108:111], v14 offset:416
	s_waitcnt vmcnt(59) lgkmcnt(13)
	v_mul_f32_e32 v13, v2, v12
	s_waitcnt vmcnt(58)
	v_mul_f32_e32 v16, v4, v15
	s_waitcnt vmcnt(57) lgkmcnt(12)
	v_mul_f32_e32 v17, v8, v154
	s_waitcnt vmcnt(56)
	v_mul_f32_e32 v104, v10, v156
	;; [unrolled: 4-line block ×3, first 2 shown]
	s_waitcnt vmcnt(53) lgkmcnt(10)
	v_mul_f32_e32 v107, v100, v172
	s_waitcnt vmcnt(52)
	v_fmac_f32_e32 v13, v3, v173
	s_waitcnt vmcnt(51)
	v_fmac_f32_e32 v16, v5, v174
	v_add_f32_e32 v13, 0, v13
	s_waitcnt vmcnt(50)
	v_fmac_f32_e32 v17, v9, v175
	v_add_f32_e32 v13, v13, v16
	s_waitcnt vmcnt(49)
	v_fmac_f32_e32 v104, v11, v176
	v_add_f32_e32 v13, v13, v17
	s_waitcnt vmcnt(48)
	v_fmac_f32_e32 v105, v97, v177
	v_add_f32_e32 v13, v13, v104
	s_waitcnt vmcnt(47)
	v_fmac_f32_e32 v106, v99, v178
	v_add_f32_e32 v13, v13, v105
	s_waitcnt vmcnt(46)
	v_fmac_f32_e32 v107, v101, v179
	v_add_f32_e32 v13, v13, v106
	v_add_f32_e32 v13, v13, v107
	ds_read_b128 v[104:107], v14 offset:400
	s_waitcnt vmcnt(45)
	v_mul_f32_e32 v16, v102, v180
	s_waitcnt vmcnt(44)
	v_fmac_f32_e32 v16, v103, v181
	v_add_f32_e32 v13, v13, v16
	v_mul_f32_e32 v3, v3, v12
	s_waitcnt vmcnt(43) lgkmcnt(0)
	v_mul_f32_e32 v16, v104, v182
	s_waitcnt vmcnt(42)
	v_fmac_f32_e32 v16, v105, v183
	v_add_f32_e32 v13, v13, v16
	s_waitcnt vmcnt(41)
	v_mul_f32_e32 v16, v106, v184
	s_waitcnt vmcnt(40)
	v_fmac_f32_e32 v16, v107, v185
	v_add_f32_e32 v13, v13, v16
	s_waitcnt vmcnt(39)
	;; [unrolled: 5-line block ×4, first 2 shown]
	v_mul_f32_e32 v16, v112, v191
	v_fmac_f32_e32 v16, v113, v190
	v_add_f32_e32 v13, v13, v16
	s_waitcnt vmcnt(31)
	v_mul_f32_e32 v16, v114, v192
	s_waitcnt vmcnt(30)
	v_fmac_f32_e32 v16, v115, v193
	v_add_f32_e32 v13, v13, v16
	s_waitcnt vmcnt(28)
	v_mul_f32_e32 v16, v116, v195
	v_fmac_f32_e32 v16, v117, v194
	v_add_f32_e32 v13, v13, v16
	s_waitcnt vmcnt(26)
	v_mul_f32_e32 v16, v118, v197
	v_fmac_f32_e32 v16, v119, v196
	v_add_f32_e32 v13, v13, v16
	s_waitcnt vmcnt(24)
	v_mul_f32_e32 v16, v120, v199
	v_fmac_f32_e32 v16, v121, v198
	v_add_f32_e32 v13, v13, v16
	s_waitcnt vmcnt(22)
	v_mul_f32_e32 v16, v122, v201
	v_fmac_f32_e32 v16, v123, v200
	v_add_f32_e32 v13, v13, v16
	s_waitcnt vmcnt(20)
	v_mul_f32_e32 v16, v124, v203
	v_fmac_f32_e32 v16, v125, v202
	v_add_f32_e32 v13, v13, v16
	s_waitcnt vmcnt(18)
	v_mul_f32_e32 v16, v126, v205
	v_fmac_f32_e32 v16, v127, v204
	v_add_f32_e32 v13, v13, v16
	s_waitcnt vmcnt(16)
	v_mul_f32_e32 v16, v128, v207
	v_fmac_f32_e32 v16, v129, v206
	v_add_f32_e32 v13, v13, v16
	s_waitcnt vmcnt(14)
	v_mul_f32_e32 v16, v130, v209
	v_fmac_f32_e32 v16, v131, v208
	v_add_f32_e32 v13, v13, v16
	s_waitcnt vmcnt(12)
	v_mul_f32_e32 v16, v132, v211
	v_fmac_f32_e32 v16, v133, v210
	v_add_f32_e32 v13, v13, v16
	s_waitcnt vmcnt(10)
	v_mul_f32_e32 v16, v134, v213
	v_fmac_f32_e32 v16, v135, v212
	v_add_f32_e32 v13, v13, v16
	s_waitcnt vmcnt(8)
	v_mul_f32_e32 v16, v136, v215
	v_fmac_f32_e32 v16, v137, v214
	v_add_f32_e32 v13, v13, v16
	s_waitcnt vmcnt(6)
	v_mul_f32_e32 v16, v138, v217
	v_fmac_f32_e32 v16, v139, v216
	v_add_f32_e32 v13, v13, v16
	s_waitcnt vmcnt(4)
	v_mul_f32_e32 v16, v140, v219
	v_fmac_f32_e32 v16, v141, v218
	v_add_f32_e32 v13, v13, v16
	buffer_load_dword v17, off, s[0:3], 0 offset:260
	buffer_load_dword v16, off, s[0:3], 0 offset:256
	;; [unrolled: 1-line block ×4, first 2 shown]
	ds_read_b128 v[148:151], v14 offset:576
	buffer_load_dword v159, off, s[0:3], 0 offset:292
	buffer_load_dword v158, off, s[0:3], 0 offset:288
	;; [unrolled: 1-line block ×12, first 2 shown]
	v_fma_f32 v2, v2, v173, -v3
	v_mul_f32_e32 v3, v5, v15
	v_add_f32_e32 v2, 0, v2
	v_fma_f32 v3, v4, v174, -v3
	v_add_f32_e32 v2, v2, v3
	v_mul_f32_e32 v3, v9, v154
	v_fma_f32 v3, v8, v175, -v3
	v_add_f32_e32 v2, v2, v3
	v_mul_f32_e32 v3, v11, v156
	;; [unrolled: 3-line block ×25, first 2 shown]
	v_fma_f32 v3, v140, v218, -v3
	s_waitcnt vmcnt(13)
	v_mov_b32_e32 v98, v153
	v_mul_f32_e32 v155, v142, v221
	v_add_f32_e32 v12, v2, v3
	v_mul_f32_e32 v2, v143, v221
	v_pk_mul_f32 v[98:99], v[146:147], v[98:99] op_sel_hi:[1,0]
	v_fmac_f32_e32 v155, v143, v220
	v_mul_f32_e32 v157, v144, v223
	v_fma_f32 v154, v142, v220, -v2
	v_mul_f32_e32 v2, v145, v223
	s_waitcnt vmcnt(12)
	v_pk_fma_f32 v[100:101], v[146:147], v[152:153], v[98:99] op_sel:[0,0,1] op_sel_hi:[1,1,0] neg_lo:[0,0,1] neg_hi:[0,0,1]
	v_pk_fma_f32 v[98:99], v[146:147], v[152:153], v[98:99] op_sel:[0,0,1] op_sel_hi:[1,0,0]
	v_fmac_f32_e32 v157, v145, v222
	v_fma_f32 v156, v144, v222, -v2
	v_pk_add_f32 v[12:13], v[12:13], v[154:155]
	v_mov_b32_e32 v98, v17
	v_pk_add_f32 v[12:13], v[12:13], v[156:157]
	v_mov_b32_e32 v101, v99
	s_waitcnt lgkmcnt(0)
	v_pk_mul_f32 v[98:99], v[148:149], v[98:99] op_sel_hi:[1,0]
	v_pk_add_f32 v[12:13], v[12:13], v[100:101]
	v_pk_fma_f32 v[100:101], v[148:149], v[16:17], v[98:99] op_sel:[0,0,1] op_sel_hi:[1,1,0] neg_lo:[0,0,1] neg_hi:[0,0,1]
	v_pk_fma_f32 v[16:17], v[148:149], v[16:17], v[98:99] op_sel:[0,0,1] op_sel_hi:[1,0,0]
	s_waitcnt vmcnt(5)
	v_mov_b32_e32 v16, v165
	ds_read_b128 v[2:5], v14 offset:592
	ds_read_b128 v[8:11], v14 offset:608
	ds_read_b64 v[96:97], v14 offset:624
	v_mov_b32_e32 v101, v17
	v_pk_mul_f32 v[16:17], v[150:151], v[16:17] op_sel_hi:[1,0]
	s_waitcnt vmcnt(4)
	v_pk_fma_f32 v[98:99], v[150:151], v[164:165], v[16:17] op_sel:[0,0,1] op_sel_hi:[1,1,0] neg_lo:[0,0,1] neg_hi:[0,0,1]
	v_pk_fma_f32 v[16:17], v[150:151], v[164:165], v[16:17] op_sel:[0,0,1] op_sel_hi:[1,0,0]
	v_mov_b32_e32 v16, v163
	v_pk_add_f32 v[12:13], v[12:13], v[100:101]
	v_mov_b32_e32 v99, v17
	s_waitcnt lgkmcnt(2)
	v_pk_mul_f32 v[16:17], v[2:3], v[16:17] op_sel_hi:[1,0]
	v_pk_add_f32 v[12:13], v[12:13], v[98:99]
	v_pk_fma_f32 v[98:99], v[2:3], v[162:163], v[16:17] op_sel:[0,0,1] op_sel_hi:[1,1,0] neg_lo:[0,0,1] neg_hi:[0,0,1]
	v_pk_fma_f32 v[2:3], v[2:3], v[162:163], v[16:17] op_sel:[0,0,1] op_sel_hi:[1,0,0]
	v_mov_b32_e32 v99, v3
	v_pk_add_f32 v[2:3], v[12:13], v[98:99]
	v_mov_b32_e32 v12, v161
	v_pk_mul_f32 v[12:13], v[4:5], v[12:13] op_sel_hi:[1,0]
	v_pk_fma_f32 v[16:17], v[4:5], v[160:161], v[12:13] op_sel:[0,0,1] op_sel_hi:[1,1,0] neg_lo:[0,0,1] neg_hi:[0,0,1]
	v_pk_fma_f32 v[4:5], v[4:5], v[160:161], v[12:13] op_sel:[0,0,1] op_sel_hi:[1,0,0]
	v_mov_b32_e32 v4, v159
	v_mov_b32_e32 v17, v5
	s_waitcnt lgkmcnt(1)
	v_pk_mul_f32 v[4:5], v[8:9], v[4:5] op_sel_hi:[1,0]
	v_pk_fma_f32 v[12:13], v[8:9], v[158:159], v[4:5] op_sel:[0,0,1] op_sel_hi:[1,1,0] neg_lo:[0,0,1] neg_hi:[0,0,1]
	v_pk_fma_f32 v[4:5], v[8:9], v[158:159], v[4:5] op_sel:[0,0,1] op_sel_hi:[1,0,0]
	s_waitcnt vmcnt(1)
	v_mov_b32_e32 v4, v169
	v_mov_b32_e32 v13, v5
	v_pk_mul_f32 v[4:5], v[10:11], v[4:5] op_sel_hi:[1,0]
	s_waitcnt vmcnt(0)
	v_pk_fma_f32 v[8:9], v[10:11], v[168:169], v[4:5] op_sel:[0,0,1] op_sel_hi:[1,1,0] neg_lo:[0,0,1] neg_hi:[0,0,1]
	v_pk_fma_f32 v[4:5], v[10:11], v[168:169], v[4:5] op_sel:[0,0,1] op_sel_hi:[1,0,0]
	v_pk_add_f32 v[2:3], v[2:3], v[16:17]
	v_mov_b32_e32 v4, v167
	v_pk_add_f32 v[2:3], v[2:3], v[12:13]
	v_mov_b32_e32 v9, v5
	s_waitcnt lgkmcnt(0)
	v_pk_mul_f32 v[4:5], v[96:97], v[4:5] op_sel_hi:[1,0]
	v_pk_add_f32 v[2:3], v[2:3], v[8:9]
	v_pk_fma_f32 v[8:9], v[96:97], v[166:167], v[4:5] op_sel:[0,0,1] op_sel_hi:[1,1,0] neg_lo:[0,0,1] neg_hi:[0,0,1]
	v_pk_fma_f32 v[4:5], v[96:97], v[166:167], v[4:5] op_sel:[0,0,1] op_sel_hi:[1,0,0]
	v_mov_b32_e32 v9, v5
	v_pk_add_f32 v[2:3], v[2:3], v[8:9]
	v_pk_add_f32 v[2:3], v[6:7], v[2:3] neg_lo:[0,1] neg_hi:[0,1]
	buffer_store_dword v3, off, s[0:3], 0 offset:12
	buffer_store_dword v2, off, s[0:3], 0 offset:8
	s_and_saveexec_b64 s[4:5], vcc
	s_cbranch_execz .LBB38_247
; %bb.246:
	buffer_load_dword v2, off, s[0:3], 0
	buffer_load_dword v3, off, s[0:3], 0 offset:4
	s_waitcnt vmcnt(0)
	ds_write_b64 v1, v[2:3]
	buffer_store_dword v14, off, s[0:3], 0
	buffer_store_dword v14, off, s[0:3], 0 offset:4
.LBB38_247:
	s_or_b64 exec, exec, s[4:5]
	s_waitcnt lgkmcnt(0)
	; wave barrier
	s_waitcnt lgkmcnt(0)
	buffer_load_dword v15, off, s[0:3], 0 offset:12
	buffer_load_dword v148, off, s[0:3], 0 offset:20
	;; [unrolled: 1-line block ×24, first 2 shown]
	buffer_load_dword v12, off, s[0:3], 0
	buffer_load_dword v13, off, s[0:3], 0 offset:4
	buffer_load_dword v188, off, s[0:3], 0 offset:108
	;; [unrolled: 1-line block ×7, first 2 shown]
	ds_read2_b64 v[96:99], v14 offset0:41 offset1:42
	ds_read2_b64 v[4:7], v14 offset0:43 offset1:44
	buffer_load_dword v194, off, s[0:3], 0 offset:128
	buffer_load_dword v195, off, s[0:3], 0 offset:132
	ds_read2_b64 v[8:11], v14 offset0:45 offset1:46
	ds_read2_b64 v[0:3], v14 offset0:47 offset1:48
	buffer_load_dword v196, off, s[0:3], 0 offset:136
	buffer_load_dword v197, off, s[0:3], 0 offset:140
	;; [unrolled: 1-line block ×28, first 2 shown]
	ds_read2_b64 v[108:111], v14 offset0:53 offset1:54
	ds_read2_b64 v[112:115], v14 offset0:55 offset1:56
	;; [unrolled: 1-line block ×8, first 2 shown]
	s_and_b64 vcc, exec, s[20:21]
	s_waitcnt vmcnt(61) lgkmcnt(11)
	v_mul_f32_e32 v16, v96, v15
	s_waitcnt vmcnt(60)
	v_mul_f32_e32 v17, v98, v148
	s_waitcnt vmcnt(59) lgkmcnt(10)
	v_mul_f32_e32 v100, v4, v150
	s_waitcnt vmcnt(58)
	v_mul_f32_e32 v101, v6, v152
	;; [unrolled: 4-line block ×3, first 2 shown]
	s_waitcnt vmcnt(55) lgkmcnt(8)
	v_mul_f32_e32 v104, v0, v170
	s_waitcnt vmcnt(54)
	v_fmac_f32_e32 v16, v97, v171
	s_waitcnt vmcnt(53)
	v_fmac_f32_e32 v17, v99, v172
	v_add_f32_e32 v16, 0, v16
	s_waitcnt vmcnt(52)
	v_fmac_f32_e32 v100, v5, v173
	v_add_f32_e32 v16, v16, v17
	;; [unrolled: 3-line block ×5, first 2 shown]
	v_add_f32_e32 v16, v16, v103
	ds_read2_b64 v[100:103], v14 offset0:49 offset1:50
	s_waitcnt vmcnt(48)
	v_fmac_f32_e32 v104, v1, v177
	s_waitcnt vmcnt(47)
	v_mul_f32_e32 v17, v2, v178
	v_add_f32_e32 v16, v16, v104
	ds_read2_b64 v[104:107], v14 offset0:51 offset1:52
	s_waitcnt vmcnt(46)
	v_fmac_f32_e32 v17, v3, v179
	v_add_f32_e32 v16, v16, v17
	s_waitcnt vmcnt(45) lgkmcnt(1)
	v_mul_f32_e32 v17, v100, v180
	s_waitcnt vmcnt(44)
	v_fmac_f32_e32 v17, v101, v181
	v_add_f32_e32 v16, v16, v17
	s_waitcnt vmcnt(43)
	v_mul_f32_e32 v17, v102, v182
	s_waitcnt vmcnt(42)
	v_fmac_f32_e32 v17, v103, v183
	v_add_f32_e32 v16, v16, v17
	s_waitcnt vmcnt(41) lgkmcnt(0)
	v_mul_f32_e32 v17, v104, v184
	s_waitcnt vmcnt(40)
	v_fmac_f32_e32 v17, v105, v185
	v_add_f32_e32 v16, v16, v17
	s_waitcnt vmcnt(39)
	v_mul_f32_e32 v17, v106, v186
	s_waitcnt vmcnt(38)
	v_fmac_f32_e32 v17, v107, v187
	v_add_f32_e32 v16, v16, v17
	s_waitcnt vmcnt(35)
	;; [unrolled: 5-line block ×3, first 2 shown]
	v_mul_f32_e32 v17, v110, v191
	v_fmac_f32_e32 v17, v111, v190
	v_add_f32_e32 v16, v16, v17
	s_waitcnt vmcnt(30)
	v_mul_f32_e32 v17, v112, v193
	v_fmac_f32_e32 v17, v113, v192
	v_add_f32_e32 v16, v16, v17
	s_waitcnt vmcnt(28)
	;; [unrolled: 4-line block ×13, first 2 shown]
	v_mul_f32_e32 v17, v136, v217
	v_fmac_f32_e32 v17, v137, v216
	v_add_f32_e32 v144, v16, v17
	buffer_load_dword v17, off, s[0:3], 0 offset:252
	buffer_load_dword v16, off, s[0:3], 0 offset:248
	s_waitcnt vmcnt(6)
	v_mul_f32_e32 v145, v138, v219
	v_fmac_f32_e32 v145, v139, v218
	ds_read2_b64 v[140:143], v14 offset0:69 offset1:70
	v_add_f32_e32 v149, v144, v145
	ds_read2_b64 v[144:147], v14 offset0:71 offset1:72
	buffer_load_dword v155, off, s[0:3], 0 offset:284
	buffer_load_dword v154, off, s[0:3], 0 offset:280
	;; [unrolled: 1-line block ×14, first 2 shown]
	v_mul_f32_e32 v15, v97, v15
	v_fma_f32 v15, v96, v171, -v15
	v_mul_f32_e32 v96, v99, v148
	v_add_f32_e32 v15, 0, v15
	v_fma_f32 v96, v98, v172, -v96
	v_mul_f32_e32 v5, v5, v150
	v_add_f32_e32 v15, v15, v96
	;; [unrolled: 3-line block ×3, first 2 shown]
	v_fma_f32 v5, v6, v174, -v5
	v_add_f32_e32 v4, v4, v5
	v_mul_f32_e32 v5, v9, v168
	v_fma_f32 v5, v8, v175, -v5
	v_add_f32_e32 v4, v4, v5
	v_mul_f32_e32 v5, v11, v169
	v_fma_f32 v5, v10, v176, -v5
	v_mul_f32_e32 v1, v1, v170
	v_add_f32_e32 v4, v4, v5
	v_fma_f32 v0, v0, v177, -v1
	v_mul_f32_e32 v1, v3, v178
	v_add_f32_e32 v0, v4, v0
	v_fma_f32 v1, v2, v179, -v1
	v_add_f32_e32 v0, v0, v1
	v_mul_f32_e32 v1, v101, v180
	v_fma_f32 v1, v100, v181, -v1
	v_add_f32_e32 v0, v0, v1
	v_mul_f32_e32 v1, v103, v182
	;; [unrolled: 3-line block ×20, first 2 shown]
	s_waitcnt vmcnt(15)
	v_mov_b32_e32 v96, v17
	v_fma_f32 v1, v138, v218, -v1
	s_waitcnt lgkmcnt(0)
	v_pk_mul_f32 v[96:97], v[144:145], v[96:97] op_sel_hi:[1,0]
	v_add_f32_e32 v148, v0, v1
	v_mul_f32_e32 v0, v141, v221
	s_waitcnt vmcnt(14)
	v_pk_fma_f32 v[98:99], v[144:145], v[16:17], v[96:97] op_sel:[0,0,1] op_sel_hi:[1,1,0] neg_lo:[0,0,1] neg_hi:[0,0,1]
	v_pk_fma_f32 v[16:17], v[144:145], v[16:17], v[96:97] op_sel:[0,0,1] op_sel_hi:[1,0,0]
	v_mul_f32_e32 v151, v140, v221
	v_fma_f32 v150, v140, v220, -v0
	v_mul_f32_e32 v0, v143, v223
	s_waitcnt vmcnt(7)
	v_mov_b32_e32 v16, v161
	v_fmac_f32_e32 v151, v141, v220
	v_mul_f32_e32 v153, v142, v223
	v_fma_f32 v152, v142, v222, -v0
	ds_read2_b64 v[0:3], v14 offset0:73 offset1:74
	ds_read2_b64 v[4:7], v14 offset0:75 offset1:76
	;; [unrolled: 1-line block ×3, first 2 shown]
	v_mov_b32_e32 v99, v17
	v_pk_mul_f32 v[16:17], v[146:147], v[16:17] op_sel_hi:[1,0]
	v_fmac_f32_e32 v153, v143, v222
	v_pk_add_f32 v[14:15], v[148:149], v[150:151]
	s_waitcnt vmcnt(6)
	v_pk_fma_f32 v[96:97], v[146:147], v[160:161], v[16:17] op_sel:[0,0,1] op_sel_hi:[1,1,0] neg_lo:[0,0,1] neg_hi:[0,0,1]
	v_pk_fma_f32 v[16:17], v[146:147], v[160:161], v[16:17] op_sel:[0,0,1] op_sel_hi:[1,0,0]
	v_pk_add_f32 v[14:15], v[14:15], v[152:153]
	v_mov_b32_e32 v16, v159
	v_pk_add_f32 v[14:15], v[14:15], v[98:99]
	v_mov_b32_e32 v97, v17
	s_waitcnt lgkmcnt(2)
	v_pk_mul_f32 v[16:17], v[0:1], v[16:17] op_sel_hi:[1,0]
	v_pk_add_f32 v[14:15], v[14:15], v[96:97]
	v_pk_fma_f32 v[96:97], v[0:1], v[158:159], v[16:17] op_sel:[0,0,1] op_sel_hi:[1,1,0] neg_lo:[0,0,1] neg_hi:[0,0,1]
	v_pk_fma_f32 v[0:1], v[0:1], v[158:159], v[16:17] op_sel:[0,0,1] op_sel_hi:[1,0,0]
	v_mov_b32_e32 v97, v1
	v_pk_add_f32 v[0:1], v[14:15], v[96:97]
	v_mov_b32_e32 v14, v157
	v_pk_mul_f32 v[14:15], v[2:3], v[14:15] op_sel_hi:[1,0]
	v_pk_fma_f32 v[16:17], v[2:3], v[156:157], v[14:15] op_sel:[0,0,1] op_sel_hi:[1,1,0] neg_lo:[0,0,1] neg_hi:[0,0,1]
	v_pk_fma_f32 v[2:3], v[2:3], v[156:157], v[14:15] op_sel:[0,0,1] op_sel_hi:[1,0,0]
	v_mov_b32_e32 v2, v155
	v_mov_b32_e32 v17, v3
	s_waitcnt lgkmcnt(1)
	v_pk_mul_f32 v[2:3], v[4:5], v[2:3] op_sel_hi:[1,0]
	v_pk_fma_f32 v[14:15], v[4:5], v[154:155], v[2:3] op_sel:[0,0,1] op_sel_hi:[1,1,0] neg_lo:[0,0,1] neg_hi:[0,0,1]
	v_pk_fma_f32 v[2:3], v[4:5], v[154:155], v[2:3] op_sel:[0,0,1] op_sel_hi:[1,0,0]
	s_waitcnt vmcnt(1)
	v_mov_b32_e32 v2, v167
	v_mov_b32_e32 v15, v3
	v_pk_mul_f32 v[2:3], v[6:7], v[2:3] op_sel_hi:[1,0]
	s_waitcnt vmcnt(0)
	v_pk_fma_f32 v[4:5], v[6:7], v[166:167], v[2:3] op_sel:[0,0,1] op_sel_hi:[1,1,0] neg_lo:[0,0,1] neg_hi:[0,0,1]
	v_pk_fma_f32 v[2:3], v[6:7], v[166:167], v[2:3] op_sel:[0,0,1] op_sel_hi:[1,0,0]
	v_pk_add_f32 v[0:1], v[0:1], v[16:17]
	v_mov_b32_e32 v2, v165
	v_pk_add_f32 v[0:1], v[0:1], v[14:15]
	v_mov_b32_e32 v5, v3
	s_waitcnt lgkmcnt(0)
	v_pk_mul_f32 v[2:3], v[8:9], v[2:3] op_sel_hi:[1,0]
	v_pk_add_f32 v[0:1], v[0:1], v[4:5]
	v_pk_fma_f32 v[4:5], v[8:9], v[164:165], v[2:3] op_sel:[0,0,1] op_sel_hi:[1,1,0] neg_lo:[0,0,1] neg_hi:[0,0,1]
	v_pk_fma_f32 v[2:3], v[8:9], v[164:165], v[2:3] op_sel:[0,0,1] op_sel_hi:[1,0,0]
	v_mov_b32_e32 v2, v163
	v_mov_b32_e32 v5, v3
	v_pk_mul_f32 v[2:3], v[10:11], v[2:3] op_sel_hi:[1,0]
	v_pk_add_f32 v[0:1], v[0:1], v[4:5]
	v_pk_fma_f32 v[4:5], v[10:11], v[162:163], v[2:3] op_sel:[0,0,1] op_sel_hi:[1,1,0] neg_lo:[0,0,1] neg_hi:[0,0,1]
	v_pk_fma_f32 v[2:3], v[10:11], v[162:163], v[2:3] op_sel:[0,0,1] op_sel_hi:[1,0,0]
	v_mov_b32_e32 v5, v3
	v_pk_add_f32 v[0:1], v[0:1], v[4:5]
	v_pk_add_f32 v[0:1], v[12:13], v[0:1] neg_lo:[0,1] neg_hi:[0,1]
	buffer_store_dword v1, off, s[0:3], 0 offset:4
	buffer_store_dword v0, off, s[0:3], 0
	s_cbranch_vccz .LBB38_325
; %bb.248:
	v_pk_mov_b32 v[0:1], s[10:11], s[10:11] op_sel:[0,1]
	flat_load_dword v0, v[0:1] offset:148
	s_waitcnt vmcnt(0) lgkmcnt(0)
	v_add_u32_e32 v0, -1, v0
	v_cmp_ne_u32_e32 vcc, 37, v0
	s_and_saveexec_b64 s[4:5], vcc
	s_cbranch_execz .LBB38_250
; %bb.249:
	v_mov_b32_e32 v1, 0
	v_lshl_add_u32 v0, v0, 3, v1
	buffer_load_dword v1, v0, s[0:3], 0 offen
	buffer_load_dword v2, v0, s[0:3], 0 offen offset:4
	buffer_load_dword v3, off, s[0:3], 0 offset:296
	buffer_load_dword v4, off, s[0:3], 0 offset:300
	s_waitcnt vmcnt(3)
	buffer_store_dword v1, off, s[0:3], 0 offset:296
	s_waitcnt vmcnt(3)
	buffer_store_dword v2, off, s[0:3], 0 offset:300
	s_waitcnt vmcnt(3)
	buffer_store_dword v3, v0, s[0:3], 0 offen
	s_waitcnt vmcnt(3)
	buffer_store_dword v4, v0, s[0:3], 0 offen offset:4
.LBB38_250:
	s_or_b64 exec, exec, s[4:5]
	v_pk_mov_b32 v[0:1], s[10:11], s[10:11] op_sel:[0,1]
	flat_load_dword v0, v[0:1] offset:144
	s_waitcnt vmcnt(0) lgkmcnt(0)
	v_add_u32_e32 v0, -1, v0
	v_cmp_ne_u32_e32 vcc, 36, v0
	s_and_saveexec_b64 s[4:5], vcc
	s_cbranch_execz .LBB38_252
; %bb.251:
	v_mov_b32_e32 v1, 0
	v_lshl_add_u32 v0, v0, 3, v1
	buffer_load_dword v1, v0, s[0:3], 0 offen
	buffer_load_dword v2, v0, s[0:3], 0 offen offset:4
	buffer_load_dword v3, off, s[0:3], 0 offset:292
	buffer_load_dword v4, off, s[0:3], 0 offset:288
	s_waitcnt vmcnt(3)
	buffer_store_dword v1, off, s[0:3], 0 offset:288
	s_waitcnt vmcnt(3)
	buffer_store_dword v2, off, s[0:3], 0 offset:292
	s_waitcnt vmcnt(3)
	buffer_store_dword v3, v0, s[0:3], 0 offen offset:4
	s_waitcnt vmcnt(3)
	buffer_store_dword v4, v0, s[0:3], 0 offen
.LBB38_252:
	s_or_b64 exec, exec, s[4:5]
	v_pk_mov_b32 v[0:1], s[10:11], s[10:11] op_sel:[0,1]
	flat_load_dword v0, v[0:1] offset:140
	s_waitcnt vmcnt(0) lgkmcnt(0)
	v_add_u32_e32 v0, -1, v0
	v_cmp_ne_u32_e32 vcc, 35, v0
	s_and_saveexec_b64 s[4:5], vcc
	s_cbranch_execz .LBB38_254
; %bb.253:
	v_mov_b32_e32 v1, 0
	v_lshl_add_u32 v0, v0, 3, v1
	buffer_load_dword v1, v0, s[0:3], 0 offen
	buffer_load_dword v2, v0, s[0:3], 0 offen offset:4
	buffer_load_dword v3, off, s[0:3], 0 offset:280
	buffer_load_dword v4, off, s[0:3], 0 offset:284
	s_waitcnt vmcnt(3)
	buffer_store_dword v1, off, s[0:3], 0 offset:280
	s_waitcnt vmcnt(3)
	buffer_store_dword v2, off, s[0:3], 0 offset:284
	s_waitcnt vmcnt(3)
	buffer_store_dword v3, v0, s[0:3], 0 offen
	s_waitcnt vmcnt(3)
	buffer_store_dword v4, v0, s[0:3], 0 offen offset:4
.LBB38_254:
	s_or_b64 exec, exec, s[4:5]
	v_pk_mov_b32 v[0:1], s[10:11], s[10:11] op_sel:[0,1]
	flat_load_dword v0, v[0:1] offset:136
	s_waitcnt vmcnt(0) lgkmcnt(0)
	v_add_u32_e32 v0, -1, v0
	v_cmp_ne_u32_e32 vcc, 34, v0
	s_and_saveexec_b64 s[4:5], vcc
	s_cbranch_execz .LBB38_256
; %bb.255:
	v_mov_b32_e32 v1, 0
	v_lshl_add_u32 v0, v0, 3, v1
	buffer_load_dword v1, v0, s[0:3], 0 offen
	buffer_load_dword v2, v0, s[0:3], 0 offen offset:4
	buffer_load_dword v3, off, s[0:3], 0 offset:276
	buffer_load_dword v4, off, s[0:3], 0 offset:272
	s_waitcnt vmcnt(3)
	buffer_store_dword v1, off, s[0:3], 0 offset:272
	s_waitcnt vmcnt(3)
	buffer_store_dword v2, off, s[0:3], 0 offset:276
	s_waitcnt vmcnt(3)
	buffer_store_dword v3, v0, s[0:3], 0 offen offset:4
	s_waitcnt vmcnt(3)
	buffer_store_dword v4, v0, s[0:3], 0 offen
.LBB38_256:
	s_or_b64 exec, exec, s[4:5]
	v_pk_mov_b32 v[0:1], s[10:11], s[10:11] op_sel:[0,1]
	flat_load_dword v0, v[0:1] offset:132
	s_waitcnt vmcnt(0) lgkmcnt(0)
	v_add_u32_e32 v0, -1, v0
	v_cmp_ne_u32_e32 vcc, 33, v0
	s_and_saveexec_b64 s[4:5], vcc
	s_cbranch_execz .LBB38_258
; %bb.257:
	v_mov_b32_e32 v1, 0
	v_lshl_add_u32 v0, v0, 3, v1
	buffer_load_dword v1, v0, s[0:3], 0 offen
	buffer_load_dword v2, v0, s[0:3], 0 offen offset:4
	buffer_load_dword v3, off, s[0:3], 0 offset:264
	buffer_load_dword v4, off, s[0:3], 0 offset:268
	s_waitcnt vmcnt(3)
	buffer_store_dword v1, off, s[0:3], 0 offset:264
	s_waitcnt vmcnt(3)
	buffer_store_dword v2, off, s[0:3], 0 offset:268
	s_waitcnt vmcnt(3)
	buffer_store_dword v3, v0, s[0:3], 0 offen
	s_waitcnt vmcnt(3)
	buffer_store_dword v4, v0, s[0:3], 0 offen offset:4
.LBB38_258:
	s_or_b64 exec, exec, s[4:5]
	v_pk_mov_b32 v[0:1], s[10:11], s[10:11] op_sel:[0,1]
	flat_load_dword v0, v[0:1] offset:128
	s_waitcnt vmcnt(0) lgkmcnt(0)
	v_add_u32_e32 v0, -1, v0
	v_cmp_ne_u32_e32 vcc, 32, v0
	s_and_saveexec_b64 s[4:5], vcc
	s_cbranch_execz .LBB38_260
; %bb.259:
	v_mov_b32_e32 v1, 0
	v_lshl_add_u32 v0, v0, 3, v1
	buffer_load_dword v1, v0, s[0:3], 0 offen
	buffer_load_dword v2, v0, s[0:3], 0 offen offset:4
	buffer_load_dword v3, off, s[0:3], 0 offset:260
	buffer_load_dword v4, off, s[0:3], 0 offset:256
	s_waitcnt vmcnt(3)
	buffer_store_dword v1, off, s[0:3], 0 offset:256
	s_waitcnt vmcnt(3)
	buffer_store_dword v2, off, s[0:3], 0 offset:260
	s_waitcnt vmcnt(3)
	buffer_store_dword v3, v0, s[0:3], 0 offen offset:4
	s_waitcnt vmcnt(3)
	buffer_store_dword v4, v0, s[0:3], 0 offen
.LBB38_260:
	s_or_b64 exec, exec, s[4:5]
	v_pk_mov_b32 v[0:1], s[10:11], s[10:11] op_sel:[0,1]
	flat_load_dword v0, v[0:1] offset:124
	s_waitcnt vmcnt(0) lgkmcnt(0)
	v_add_u32_e32 v0, -1, v0
	v_cmp_ne_u32_e32 vcc, 31, v0
	s_and_saveexec_b64 s[4:5], vcc
	s_cbranch_execz .LBB38_262
; %bb.261:
	v_mov_b32_e32 v1, 0
	v_lshl_add_u32 v0, v0, 3, v1
	buffer_load_dword v1, v0, s[0:3], 0 offen
	buffer_load_dword v2, v0, s[0:3], 0 offen offset:4
	buffer_load_dword v3, off, s[0:3], 0 offset:248
	buffer_load_dword v4, off, s[0:3], 0 offset:252
	s_waitcnt vmcnt(3)
	buffer_store_dword v1, off, s[0:3], 0 offset:248
	s_waitcnt vmcnt(3)
	buffer_store_dword v2, off, s[0:3], 0 offset:252
	s_waitcnt vmcnt(3)
	buffer_store_dword v3, v0, s[0:3], 0 offen
	s_waitcnt vmcnt(3)
	buffer_store_dword v4, v0, s[0:3], 0 offen offset:4
.LBB38_262:
	s_or_b64 exec, exec, s[4:5]
	v_pk_mov_b32 v[0:1], s[10:11], s[10:11] op_sel:[0,1]
	flat_load_dword v0, v[0:1] offset:120
	s_waitcnt vmcnt(0) lgkmcnt(0)
	v_add_u32_e32 v0, -1, v0
	v_cmp_ne_u32_e32 vcc, 30, v0
	s_and_saveexec_b64 s[4:5], vcc
	s_cbranch_execz .LBB38_264
; %bb.263:
	v_mov_b32_e32 v1, 0
	v_lshl_add_u32 v0, v0, 3, v1
	buffer_load_dword v1, v0, s[0:3], 0 offen
	buffer_load_dword v2, v0, s[0:3], 0 offen offset:4
	buffer_load_dword v3, off, s[0:3], 0 offset:244
	buffer_load_dword v4, off, s[0:3], 0 offset:240
	s_waitcnt vmcnt(3)
	buffer_store_dword v1, off, s[0:3], 0 offset:240
	s_waitcnt vmcnt(3)
	buffer_store_dword v2, off, s[0:3], 0 offset:244
	s_waitcnt vmcnt(3)
	buffer_store_dword v3, v0, s[0:3], 0 offen offset:4
	s_waitcnt vmcnt(3)
	buffer_store_dword v4, v0, s[0:3], 0 offen
.LBB38_264:
	s_or_b64 exec, exec, s[4:5]
	v_pk_mov_b32 v[0:1], s[10:11], s[10:11] op_sel:[0,1]
	flat_load_dword v0, v[0:1] offset:116
	s_waitcnt vmcnt(0) lgkmcnt(0)
	v_add_u32_e32 v0, -1, v0
	v_cmp_ne_u32_e32 vcc, 29, v0
	s_and_saveexec_b64 s[4:5], vcc
	s_cbranch_execz .LBB38_266
; %bb.265:
	v_mov_b32_e32 v1, 0
	v_lshl_add_u32 v0, v0, 3, v1
	buffer_load_dword v1, v0, s[0:3], 0 offen
	buffer_load_dword v2, v0, s[0:3], 0 offen offset:4
	buffer_load_dword v3, off, s[0:3], 0 offset:232
	buffer_load_dword v4, off, s[0:3], 0 offset:236
	s_waitcnt vmcnt(3)
	buffer_store_dword v1, off, s[0:3], 0 offset:232
	s_waitcnt vmcnt(3)
	buffer_store_dword v2, off, s[0:3], 0 offset:236
	s_waitcnt vmcnt(3)
	buffer_store_dword v3, v0, s[0:3], 0 offen
	s_waitcnt vmcnt(3)
	buffer_store_dword v4, v0, s[0:3], 0 offen offset:4
.LBB38_266:
	s_or_b64 exec, exec, s[4:5]
	v_pk_mov_b32 v[0:1], s[10:11], s[10:11] op_sel:[0,1]
	flat_load_dword v0, v[0:1] offset:112
	s_waitcnt vmcnt(0) lgkmcnt(0)
	v_add_u32_e32 v0, -1, v0
	v_cmp_ne_u32_e32 vcc, 28, v0
	s_and_saveexec_b64 s[4:5], vcc
	s_cbranch_execz .LBB38_268
; %bb.267:
	v_mov_b32_e32 v1, 0
	v_lshl_add_u32 v0, v0, 3, v1
	buffer_load_dword v1, v0, s[0:3], 0 offen
	buffer_load_dword v2, v0, s[0:3], 0 offen offset:4
	buffer_load_dword v3, off, s[0:3], 0 offset:228
	buffer_load_dword v4, off, s[0:3], 0 offset:224
	s_waitcnt vmcnt(3)
	buffer_store_dword v1, off, s[0:3], 0 offset:224
	s_waitcnt vmcnt(3)
	buffer_store_dword v2, off, s[0:3], 0 offset:228
	s_waitcnt vmcnt(3)
	buffer_store_dword v3, v0, s[0:3], 0 offen offset:4
	s_waitcnt vmcnt(3)
	buffer_store_dword v4, v0, s[0:3], 0 offen
.LBB38_268:
	s_or_b64 exec, exec, s[4:5]
	v_pk_mov_b32 v[0:1], s[10:11], s[10:11] op_sel:[0,1]
	flat_load_dword v0, v[0:1] offset:108
	s_waitcnt vmcnt(0) lgkmcnt(0)
	v_add_u32_e32 v0, -1, v0
	v_cmp_ne_u32_e32 vcc, 27, v0
	s_and_saveexec_b64 s[4:5], vcc
	s_cbranch_execz .LBB38_270
; %bb.269:
	v_mov_b32_e32 v1, 0
	v_lshl_add_u32 v0, v0, 3, v1
	buffer_load_dword v1, v0, s[0:3], 0 offen
	buffer_load_dword v2, v0, s[0:3], 0 offen offset:4
	buffer_load_dword v3, off, s[0:3], 0 offset:216
	buffer_load_dword v4, off, s[0:3], 0 offset:220
	s_waitcnt vmcnt(3)
	buffer_store_dword v1, off, s[0:3], 0 offset:216
	s_waitcnt vmcnt(3)
	buffer_store_dword v2, off, s[0:3], 0 offset:220
	s_waitcnt vmcnt(3)
	buffer_store_dword v3, v0, s[0:3], 0 offen
	s_waitcnt vmcnt(3)
	buffer_store_dword v4, v0, s[0:3], 0 offen offset:4
.LBB38_270:
	s_or_b64 exec, exec, s[4:5]
	v_pk_mov_b32 v[0:1], s[10:11], s[10:11] op_sel:[0,1]
	flat_load_dword v0, v[0:1] offset:104
	s_waitcnt vmcnt(0) lgkmcnt(0)
	v_add_u32_e32 v0, -1, v0
	v_cmp_ne_u32_e32 vcc, 26, v0
	s_and_saveexec_b64 s[4:5], vcc
	s_cbranch_execz .LBB38_272
; %bb.271:
	v_mov_b32_e32 v1, 0
	v_lshl_add_u32 v0, v0, 3, v1
	buffer_load_dword v1, v0, s[0:3], 0 offen
	buffer_load_dword v2, v0, s[0:3], 0 offen offset:4
	buffer_load_dword v3, off, s[0:3], 0 offset:212
	buffer_load_dword v4, off, s[0:3], 0 offset:208
	s_waitcnt vmcnt(3)
	buffer_store_dword v1, off, s[0:3], 0 offset:208
	s_waitcnt vmcnt(3)
	buffer_store_dword v2, off, s[0:3], 0 offset:212
	s_waitcnt vmcnt(3)
	buffer_store_dword v3, v0, s[0:3], 0 offen offset:4
	s_waitcnt vmcnt(3)
	buffer_store_dword v4, v0, s[0:3], 0 offen
.LBB38_272:
	s_or_b64 exec, exec, s[4:5]
	v_pk_mov_b32 v[0:1], s[10:11], s[10:11] op_sel:[0,1]
	flat_load_dword v0, v[0:1] offset:100
	s_waitcnt vmcnt(0) lgkmcnt(0)
	v_add_u32_e32 v0, -1, v0
	v_cmp_ne_u32_e32 vcc, 25, v0
	s_and_saveexec_b64 s[4:5], vcc
	s_cbranch_execz .LBB38_274
; %bb.273:
	v_mov_b32_e32 v1, 0
	v_lshl_add_u32 v0, v0, 3, v1
	buffer_load_dword v1, v0, s[0:3], 0 offen
	buffer_load_dword v2, v0, s[0:3], 0 offen offset:4
	buffer_load_dword v3, off, s[0:3], 0 offset:200
	buffer_load_dword v4, off, s[0:3], 0 offset:204
	s_waitcnt vmcnt(3)
	buffer_store_dword v1, off, s[0:3], 0 offset:200
	s_waitcnt vmcnt(3)
	buffer_store_dword v2, off, s[0:3], 0 offset:204
	s_waitcnt vmcnt(3)
	buffer_store_dword v3, v0, s[0:3], 0 offen
	s_waitcnt vmcnt(3)
	buffer_store_dword v4, v0, s[0:3], 0 offen offset:4
.LBB38_274:
	s_or_b64 exec, exec, s[4:5]
	v_pk_mov_b32 v[0:1], s[10:11], s[10:11] op_sel:[0,1]
	flat_load_dword v0, v[0:1] offset:96
	s_waitcnt vmcnt(0) lgkmcnt(0)
	v_add_u32_e32 v0, -1, v0
	v_cmp_ne_u32_e32 vcc, 24, v0
	s_and_saveexec_b64 s[4:5], vcc
	s_cbranch_execz .LBB38_276
; %bb.275:
	v_mov_b32_e32 v1, 0
	v_lshl_add_u32 v0, v0, 3, v1
	buffer_load_dword v1, v0, s[0:3], 0 offen
	buffer_load_dword v2, v0, s[0:3], 0 offen offset:4
	buffer_load_dword v3, off, s[0:3], 0 offset:196
	buffer_load_dword v4, off, s[0:3], 0 offset:192
	s_waitcnt vmcnt(3)
	buffer_store_dword v1, off, s[0:3], 0 offset:192
	s_waitcnt vmcnt(3)
	buffer_store_dword v2, off, s[0:3], 0 offset:196
	s_waitcnt vmcnt(3)
	buffer_store_dword v3, v0, s[0:3], 0 offen offset:4
	s_waitcnt vmcnt(3)
	buffer_store_dword v4, v0, s[0:3], 0 offen
.LBB38_276:
	s_or_b64 exec, exec, s[4:5]
	v_pk_mov_b32 v[0:1], s[10:11], s[10:11] op_sel:[0,1]
	flat_load_dword v0, v[0:1] offset:92
	s_waitcnt vmcnt(0) lgkmcnt(0)
	v_add_u32_e32 v0, -1, v0
	v_cmp_ne_u32_e32 vcc, 23, v0
	s_and_saveexec_b64 s[4:5], vcc
	s_cbranch_execz .LBB38_278
; %bb.277:
	v_mov_b32_e32 v1, 0
	v_lshl_add_u32 v0, v0, 3, v1
	buffer_load_dword v1, v0, s[0:3], 0 offen
	buffer_load_dword v2, v0, s[0:3], 0 offen offset:4
	buffer_load_dword v3, off, s[0:3], 0 offset:184
	buffer_load_dword v4, off, s[0:3], 0 offset:188
	s_waitcnt vmcnt(3)
	buffer_store_dword v1, off, s[0:3], 0 offset:184
	s_waitcnt vmcnt(3)
	buffer_store_dword v2, off, s[0:3], 0 offset:188
	s_waitcnt vmcnt(3)
	buffer_store_dword v3, v0, s[0:3], 0 offen
	s_waitcnt vmcnt(3)
	buffer_store_dword v4, v0, s[0:3], 0 offen offset:4
.LBB38_278:
	s_or_b64 exec, exec, s[4:5]
	v_pk_mov_b32 v[0:1], s[10:11], s[10:11] op_sel:[0,1]
	flat_load_dword v0, v[0:1] offset:88
	s_waitcnt vmcnt(0) lgkmcnt(0)
	v_add_u32_e32 v0, -1, v0
	v_cmp_ne_u32_e32 vcc, 22, v0
	s_and_saveexec_b64 s[4:5], vcc
	s_cbranch_execz .LBB38_280
; %bb.279:
	v_mov_b32_e32 v1, 0
	v_lshl_add_u32 v0, v0, 3, v1
	buffer_load_dword v1, v0, s[0:3], 0 offen
	buffer_load_dword v2, v0, s[0:3], 0 offen offset:4
	buffer_load_dword v3, off, s[0:3], 0 offset:180
	buffer_load_dword v4, off, s[0:3], 0 offset:176
	s_waitcnt vmcnt(3)
	buffer_store_dword v1, off, s[0:3], 0 offset:176
	s_waitcnt vmcnt(3)
	buffer_store_dword v2, off, s[0:3], 0 offset:180
	s_waitcnt vmcnt(3)
	buffer_store_dword v3, v0, s[0:3], 0 offen offset:4
	s_waitcnt vmcnt(3)
	buffer_store_dword v4, v0, s[0:3], 0 offen
.LBB38_280:
	s_or_b64 exec, exec, s[4:5]
	v_pk_mov_b32 v[0:1], s[10:11], s[10:11] op_sel:[0,1]
	flat_load_dword v0, v[0:1] offset:84
	s_waitcnt vmcnt(0) lgkmcnt(0)
	v_add_u32_e32 v0, -1, v0
	v_cmp_ne_u32_e32 vcc, 21, v0
	s_and_saveexec_b64 s[4:5], vcc
	s_cbranch_execz .LBB38_282
; %bb.281:
	v_mov_b32_e32 v1, 0
	v_lshl_add_u32 v0, v0, 3, v1
	buffer_load_dword v1, v0, s[0:3], 0 offen
	buffer_load_dword v2, v0, s[0:3], 0 offen offset:4
	buffer_load_dword v3, off, s[0:3], 0 offset:168
	buffer_load_dword v4, off, s[0:3], 0 offset:172
	s_waitcnt vmcnt(3)
	buffer_store_dword v1, off, s[0:3], 0 offset:168
	s_waitcnt vmcnt(3)
	buffer_store_dword v2, off, s[0:3], 0 offset:172
	s_waitcnt vmcnt(3)
	buffer_store_dword v3, v0, s[0:3], 0 offen
	s_waitcnt vmcnt(3)
	buffer_store_dword v4, v0, s[0:3], 0 offen offset:4
.LBB38_282:
	s_or_b64 exec, exec, s[4:5]
	v_pk_mov_b32 v[0:1], s[10:11], s[10:11] op_sel:[0,1]
	flat_load_dword v0, v[0:1] offset:80
	s_waitcnt vmcnt(0) lgkmcnt(0)
	v_add_u32_e32 v0, -1, v0
	v_cmp_ne_u32_e32 vcc, 20, v0
	s_and_saveexec_b64 s[4:5], vcc
	s_cbranch_execz .LBB38_284
; %bb.283:
	v_mov_b32_e32 v1, 0
	v_lshl_add_u32 v0, v0, 3, v1
	buffer_load_dword v1, v0, s[0:3], 0 offen
	buffer_load_dword v2, v0, s[0:3], 0 offen offset:4
	buffer_load_dword v3, off, s[0:3], 0 offset:164
	buffer_load_dword v4, off, s[0:3], 0 offset:160
	s_waitcnt vmcnt(3)
	buffer_store_dword v1, off, s[0:3], 0 offset:160
	s_waitcnt vmcnt(3)
	buffer_store_dword v2, off, s[0:3], 0 offset:164
	s_waitcnt vmcnt(3)
	buffer_store_dword v3, v0, s[0:3], 0 offen offset:4
	s_waitcnt vmcnt(3)
	buffer_store_dword v4, v0, s[0:3], 0 offen
.LBB38_284:
	s_or_b64 exec, exec, s[4:5]
	v_pk_mov_b32 v[0:1], s[10:11], s[10:11] op_sel:[0,1]
	flat_load_dword v0, v[0:1] offset:76
	s_waitcnt vmcnt(0) lgkmcnt(0)
	v_add_u32_e32 v0, -1, v0
	v_cmp_ne_u32_e32 vcc, 19, v0
	s_and_saveexec_b64 s[4:5], vcc
	s_cbranch_execz .LBB38_286
; %bb.285:
	v_mov_b32_e32 v1, 0
	v_lshl_add_u32 v0, v0, 3, v1
	buffer_load_dword v1, v0, s[0:3], 0 offen
	buffer_load_dword v2, v0, s[0:3], 0 offen offset:4
	buffer_load_dword v3, off, s[0:3], 0 offset:152
	buffer_load_dword v4, off, s[0:3], 0 offset:156
	s_waitcnt vmcnt(3)
	buffer_store_dword v1, off, s[0:3], 0 offset:152
	s_waitcnt vmcnt(3)
	buffer_store_dword v2, off, s[0:3], 0 offset:156
	s_waitcnt vmcnt(3)
	buffer_store_dword v3, v0, s[0:3], 0 offen
	s_waitcnt vmcnt(3)
	buffer_store_dword v4, v0, s[0:3], 0 offen offset:4
.LBB38_286:
	s_or_b64 exec, exec, s[4:5]
	v_pk_mov_b32 v[0:1], s[10:11], s[10:11] op_sel:[0,1]
	flat_load_dword v0, v[0:1] offset:72
	s_waitcnt vmcnt(0) lgkmcnt(0)
	v_add_u32_e32 v0, -1, v0
	v_cmp_ne_u32_e32 vcc, 18, v0
	s_and_saveexec_b64 s[4:5], vcc
	s_cbranch_execz .LBB38_288
; %bb.287:
	v_mov_b32_e32 v1, 0
	v_lshl_add_u32 v0, v0, 3, v1
	buffer_load_dword v1, v0, s[0:3], 0 offen
	buffer_load_dword v2, v0, s[0:3], 0 offen offset:4
	buffer_load_dword v3, off, s[0:3], 0 offset:148
	buffer_load_dword v4, off, s[0:3], 0 offset:144
	s_waitcnt vmcnt(3)
	buffer_store_dword v1, off, s[0:3], 0 offset:144
	s_waitcnt vmcnt(3)
	buffer_store_dword v2, off, s[0:3], 0 offset:148
	s_waitcnt vmcnt(3)
	buffer_store_dword v3, v0, s[0:3], 0 offen offset:4
	s_waitcnt vmcnt(3)
	buffer_store_dword v4, v0, s[0:3], 0 offen
.LBB38_288:
	s_or_b64 exec, exec, s[4:5]
	v_pk_mov_b32 v[0:1], s[10:11], s[10:11] op_sel:[0,1]
	flat_load_dword v0, v[0:1] offset:68
	s_waitcnt vmcnt(0) lgkmcnt(0)
	v_add_u32_e32 v0, -1, v0
	v_cmp_ne_u32_e32 vcc, 17, v0
	s_and_saveexec_b64 s[4:5], vcc
	s_cbranch_execz .LBB38_290
; %bb.289:
	v_mov_b32_e32 v1, 0
	v_lshl_add_u32 v0, v0, 3, v1
	buffer_load_dword v1, v0, s[0:3], 0 offen
	buffer_load_dword v2, v0, s[0:3], 0 offen offset:4
	buffer_load_dword v3, off, s[0:3], 0 offset:136
	buffer_load_dword v4, off, s[0:3], 0 offset:140
	s_waitcnt vmcnt(3)
	buffer_store_dword v1, off, s[0:3], 0 offset:136
	s_waitcnt vmcnt(3)
	buffer_store_dword v2, off, s[0:3], 0 offset:140
	s_waitcnt vmcnt(3)
	buffer_store_dword v3, v0, s[0:3], 0 offen
	s_waitcnt vmcnt(3)
	buffer_store_dword v4, v0, s[0:3], 0 offen offset:4
.LBB38_290:
	s_or_b64 exec, exec, s[4:5]
	v_pk_mov_b32 v[0:1], s[10:11], s[10:11] op_sel:[0,1]
	flat_load_dword v0, v[0:1] offset:64
	s_waitcnt vmcnt(0) lgkmcnt(0)
	v_add_u32_e32 v0, -1, v0
	v_cmp_ne_u32_e32 vcc, 16, v0
	s_and_saveexec_b64 s[4:5], vcc
	s_cbranch_execz .LBB38_292
; %bb.291:
	v_mov_b32_e32 v1, 0
	v_lshl_add_u32 v0, v0, 3, v1
	buffer_load_dword v1, v0, s[0:3], 0 offen
	buffer_load_dword v2, v0, s[0:3], 0 offen offset:4
	buffer_load_dword v3, off, s[0:3], 0 offset:132
	buffer_load_dword v4, off, s[0:3], 0 offset:128
	s_waitcnt vmcnt(3)
	buffer_store_dword v1, off, s[0:3], 0 offset:128
	s_waitcnt vmcnt(3)
	buffer_store_dword v2, off, s[0:3], 0 offset:132
	s_waitcnt vmcnt(3)
	buffer_store_dword v3, v0, s[0:3], 0 offen offset:4
	s_waitcnt vmcnt(3)
	buffer_store_dword v4, v0, s[0:3], 0 offen
.LBB38_292:
	s_or_b64 exec, exec, s[4:5]
	v_pk_mov_b32 v[0:1], s[10:11], s[10:11] op_sel:[0,1]
	flat_load_dword v0, v[0:1] offset:60
	s_waitcnt vmcnt(0) lgkmcnt(0)
	v_add_u32_e32 v0, -1, v0
	v_cmp_ne_u32_e32 vcc, 15, v0
	s_and_saveexec_b64 s[4:5], vcc
	s_cbranch_execz .LBB38_294
; %bb.293:
	v_mov_b32_e32 v1, 0
	v_lshl_add_u32 v0, v0, 3, v1
	buffer_load_dword v1, v0, s[0:3], 0 offen
	buffer_load_dword v2, v0, s[0:3], 0 offen offset:4
	buffer_load_dword v3, off, s[0:3], 0 offset:120
	buffer_load_dword v4, off, s[0:3], 0 offset:124
	s_waitcnt vmcnt(3)
	buffer_store_dword v1, off, s[0:3], 0 offset:120
	s_waitcnt vmcnt(3)
	buffer_store_dword v2, off, s[0:3], 0 offset:124
	s_waitcnt vmcnt(3)
	buffer_store_dword v3, v0, s[0:3], 0 offen
	s_waitcnt vmcnt(3)
	buffer_store_dword v4, v0, s[0:3], 0 offen offset:4
.LBB38_294:
	s_or_b64 exec, exec, s[4:5]
	v_pk_mov_b32 v[0:1], s[10:11], s[10:11] op_sel:[0,1]
	flat_load_dword v0, v[0:1] offset:56
	s_waitcnt vmcnt(0) lgkmcnt(0)
	v_add_u32_e32 v0, -1, v0
	v_cmp_ne_u32_e32 vcc, 14, v0
	s_and_saveexec_b64 s[4:5], vcc
	s_cbranch_execz .LBB38_296
; %bb.295:
	v_mov_b32_e32 v1, 0
	v_lshl_add_u32 v0, v0, 3, v1
	buffer_load_dword v1, v0, s[0:3], 0 offen
	buffer_load_dword v2, v0, s[0:3], 0 offen offset:4
	buffer_load_dword v3, off, s[0:3], 0 offset:116
	buffer_load_dword v4, off, s[0:3], 0 offset:112
	s_waitcnt vmcnt(3)
	buffer_store_dword v1, off, s[0:3], 0 offset:112
	s_waitcnt vmcnt(3)
	buffer_store_dword v2, off, s[0:3], 0 offset:116
	s_waitcnt vmcnt(3)
	buffer_store_dword v3, v0, s[0:3], 0 offen offset:4
	s_waitcnt vmcnt(3)
	buffer_store_dword v4, v0, s[0:3], 0 offen
.LBB38_296:
	s_or_b64 exec, exec, s[4:5]
	v_pk_mov_b32 v[0:1], s[10:11], s[10:11] op_sel:[0,1]
	flat_load_dword v0, v[0:1] offset:52
	s_waitcnt vmcnt(0) lgkmcnt(0)
	v_add_u32_e32 v0, -1, v0
	v_cmp_ne_u32_e32 vcc, 13, v0
	s_and_saveexec_b64 s[4:5], vcc
	s_cbranch_execz .LBB38_298
; %bb.297:
	v_mov_b32_e32 v1, 0
	v_lshl_add_u32 v0, v0, 3, v1
	buffer_load_dword v1, v0, s[0:3], 0 offen
	buffer_load_dword v2, v0, s[0:3], 0 offen offset:4
	buffer_load_dword v3, off, s[0:3], 0 offset:104
	buffer_load_dword v4, off, s[0:3], 0 offset:108
	s_waitcnt vmcnt(3)
	buffer_store_dword v1, off, s[0:3], 0 offset:104
	s_waitcnt vmcnt(3)
	buffer_store_dword v2, off, s[0:3], 0 offset:108
	s_waitcnt vmcnt(3)
	buffer_store_dword v3, v0, s[0:3], 0 offen
	s_waitcnt vmcnt(3)
	buffer_store_dword v4, v0, s[0:3], 0 offen offset:4
.LBB38_298:
	s_or_b64 exec, exec, s[4:5]
	v_pk_mov_b32 v[0:1], s[10:11], s[10:11] op_sel:[0,1]
	flat_load_dword v0, v[0:1] offset:48
	s_waitcnt vmcnt(0) lgkmcnt(0)
	v_add_u32_e32 v0, -1, v0
	v_cmp_ne_u32_e32 vcc, 12, v0
	s_and_saveexec_b64 s[4:5], vcc
	s_cbranch_execz .LBB38_300
; %bb.299:
	v_mov_b32_e32 v1, 0
	v_lshl_add_u32 v0, v0, 3, v1
	buffer_load_dword v1, v0, s[0:3], 0 offen
	buffer_load_dword v2, v0, s[0:3], 0 offen offset:4
	buffer_load_dword v3, off, s[0:3], 0 offset:100
	buffer_load_dword v4, off, s[0:3], 0 offset:96
	s_waitcnt vmcnt(3)
	buffer_store_dword v1, off, s[0:3], 0 offset:96
	s_waitcnt vmcnt(3)
	buffer_store_dword v2, off, s[0:3], 0 offset:100
	s_waitcnt vmcnt(3)
	buffer_store_dword v3, v0, s[0:3], 0 offen offset:4
	s_waitcnt vmcnt(3)
	buffer_store_dword v4, v0, s[0:3], 0 offen
.LBB38_300:
	s_or_b64 exec, exec, s[4:5]
	v_pk_mov_b32 v[0:1], s[10:11], s[10:11] op_sel:[0,1]
	flat_load_dword v0, v[0:1] offset:44
	s_waitcnt vmcnt(0) lgkmcnt(0)
	v_add_u32_e32 v0, -1, v0
	v_cmp_ne_u32_e32 vcc, 11, v0
	s_and_saveexec_b64 s[4:5], vcc
	s_cbranch_execz .LBB38_302
; %bb.301:
	v_mov_b32_e32 v1, 0
	v_lshl_add_u32 v0, v0, 3, v1
	buffer_load_dword v1, v0, s[0:3], 0 offen
	buffer_load_dword v2, v0, s[0:3], 0 offen offset:4
	buffer_load_dword v3, off, s[0:3], 0 offset:88
	buffer_load_dword v4, off, s[0:3], 0 offset:92
	s_waitcnt vmcnt(3)
	buffer_store_dword v1, off, s[0:3], 0 offset:88
	s_waitcnt vmcnt(3)
	buffer_store_dword v2, off, s[0:3], 0 offset:92
	s_waitcnt vmcnt(3)
	buffer_store_dword v3, v0, s[0:3], 0 offen
	s_waitcnt vmcnt(3)
	buffer_store_dword v4, v0, s[0:3], 0 offen offset:4
.LBB38_302:
	s_or_b64 exec, exec, s[4:5]
	v_pk_mov_b32 v[0:1], s[10:11], s[10:11] op_sel:[0,1]
	flat_load_dword v0, v[0:1] offset:40
	s_waitcnt vmcnt(0) lgkmcnt(0)
	v_add_u32_e32 v0, -1, v0
	v_cmp_ne_u32_e32 vcc, 10, v0
	s_and_saveexec_b64 s[4:5], vcc
	s_cbranch_execz .LBB38_304
; %bb.303:
	v_mov_b32_e32 v1, 0
	v_lshl_add_u32 v0, v0, 3, v1
	buffer_load_dword v1, v0, s[0:3], 0 offen
	buffer_load_dword v2, v0, s[0:3], 0 offen offset:4
	buffer_load_dword v3, off, s[0:3], 0 offset:84
	buffer_load_dword v4, off, s[0:3], 0 offset:80
	s_waitcnt vmcnt(3)
	buffer_store_dword v1, off, s[0:3], 0 offset:80
	s_waitcnt vmcnt(3)
	buffer_store_dword v2, off, s[0:3], 0 offset:84
	s_waitcnt vmcnt(3)
	buffer_store_dword v3, v0, s[0:3], 0 offen offset:4
	s_waitcnt vmcnt(3)
	buffer_store_dword v4, v0, s[0:3], 0 offen
.LBB38_304:
	s_or_b64 exec, exec, s[4:5]
	v_pk_mov_b32 v[0:1], s[10:11], s[10:11] op_sel:[0,1]
	flat_load_dword v0, v[0:1] offset:36
	s_waitcnt vmcnt(0) lgkmcnt(0)
	v_add_u32_e32 v0, -1, v0
	v_cmp_ne_u32_e32 vcc, 9, v0
	s_and_saveexec_b64 s[4:5], vcc
	s_cbranch_execz .LBB38_306
; %bb.305:
	v_mov_b32_e32 v1, 0
	v_lshl_add_u32 v0, v0, 3, v1
	buffer_load_dword v1, v0, s[0:3], 0 offen
	buffer_load_dword v2, v0, s[0:3], 0 offen offset:4
	buffer_load_dword v3, off, s[0:3], 0 offset:72
	buffer_load_dword v4, off, s[0:3], 0 offset:76
	s_waitcnt vmcnt(3)
	buffer_store_dword v1, off, s[0:3], 0 offset:72
	s_waitcnt vmcnt(3)
	buffer_store_dword v2, off, s[0:3], 0 offset:76
	s_waitcnt vmcnt(3)
	buffer_store_dword v3, v0, s[0:3], 0 offen
	s_waitcnt vmcnt(3)
	buffer_store_dword v4, v0, s[0:3], 0 offen offset:4
.LBB38_306:
	s_or_b64 exec, exec, s[4:5]
	v_pk_mov_b32 v[0:1], s[10:11], s[10:11] op_sel:[0,1]
	flat_load_dword v0, v[0:1] offset:32
	s_waitcnt vmcnt(0) lgkmcnt(0)
	v_add_u32_e32 v0, -1, v0
	v_cmp_ne_u32_e32 vcc, 8, v0
	s_and_saveexec_b64 s[4:5], vcc
	s_cbranch_execz .LBB38_308
; %bb.307:
	v_mov_b32_e32 v1, 0
	v_lshl_add_u32 v0, v0, 3, v1
	buffer_load_dword v1, v0, s[0:3], 0 offen
	buffer_load_dword v2, v0, s[0:3], 0 offen offset:4
	buffer_load_dword v3, off, s[0:3], 0 offset:68
	buffer_load_dword v4, off, s[0:3], 0 offset:64
	s_waitcnt vmcnt(3)
	buffer_store_dword v1, off, s[0:3], 0 offset:64
	s_waitcnt vmcnt(3)
	buffer_store_dword v2, off, s[0:3], 0 offset:68
	s_waitcnt vmcnt(3)
	buffer_store_dword v3, v0, s[0:3], 0 offen offset:4
	s_waitcnt vmcnt(3)
	buffer_store_dword v4, v0, s[0:3], 0 offen
.LBB38_308:
	s_or_b64 exec, exec, s[4:5]
	v_pk_mov_b32 v[0:1], s[10:11], s[10:11] op_sel:[0,1]
	flat_load_dword v0, v[0:1] offset:28
	s_waitcnt vmcnt(0) lgkmcnt(0)
	v_add_u32_e32 v0, -1, v0
	v_cmp_ne_u32_e32 vcc, 7, v0
	s_and_saveexec_b64 s[4:5], vcc
	s_cbranch_execz .LBB38_310
; %bb.309:
	v_mov_b32_e32 v1, 0
	v_lshl_add_u32 v0, v0, 3, v1
	buffer_load_dword v1, v0, s[0:3], 0 offen
	buffer_load_dword v2, v0, s[0:3], 0 offen offset:4
	buffer_load_dword v3, off, s[0:3], 0 offset:56
	buffer_load_dword v4, off, s[0:3], 0 offset:60
	s_waitcnt vmcnt(3)
	buffer_store_dword v1, off, s[0:3], 0 offset:56
	s_waitcnt vmcnt(3)
	buffer_store_dword v2, off, s[0:3], 0 offset:60
	s_waitcnt vmcnt(3)
	buffer_store_dword v3, v0, s[0:3], 0 offen
	s_waitcnt vmcnt(3)
	buffer_store_dword v4, v0, s[0:3], 0 offen offset:4
.LBB38_310:
	s_or_b64 exec, exec, s[4:5]
	v_pk_mov_b32 v[0:1], s[10:11], s[10:11] op_sel:[0,1]
	flat_load_dword v0, v[0:1] offset:24
	s_waitcnt vmcnt(0) lgkmcnt(0)
	v_add_u32_e32 v0, -1, v0
	v_cmp_ne_u32_e32 vcc, 6, v0
	s_and_saveexec_b64 s[4:5], vcc
	s_cbranch_execz .LBB38_312
; %bb.311:
	v_mov_b32_e32 v1, 0
	v_lshl_add_u32 v0, v0, 3, v1
	buffer_load_dword v1, v0, s[0:3], 0 offen
	buffer_load_dword v2, v0, s[0:3], 0 offen offset:4
	buffer_load_dword v3, off, s[0:3], 0 offset:52
	buffer_load_dword v4, off, s[0:3], 0 offset:48
	s_waitcnt vmcnt(3)
	buffer_store_dword v1, off, s[0:3], 0 offset:48
	s_waitcnt vmcnt(3)
	buffer_store_dword v2, off, s[0:3], 0 offset:52
	s_waitcnt vmcnt(3)
	buffer_store_dword v3, v0, s[0:3], 0 offen offset:4
	s_waitcnt vmcnt(3)
	buffer_store_dword v4, v0, s[0:3], 0 offen
.LBB38_312:
	s_or_b64 exec, exec, s[4:5]
	v_pk_mov_b32 v[0:1], s[10:11], s[10:11] op_sel:[0,1]
	flat_load_dword v0, v[0:1] offset:20
	s_waitcnt vmcnt(0) lgkmcnt(0)
	v_add_u32_e32 v0, -1, v0
	v_cmp_ne_u32_e32 vcc, 5, v0
	s_and_saveexec_b64 s[4:5], vcc
	s_cbranch_execz .LBB38_314
; %bb.313:
	v_mov_b32_e32 v1, 0
	v_lshl_add_u32 v0, v0, 3, v1
	buffer_load_dword v1, v0, s[0:3], 0 offen
	buffer_load_dword v2, v0, s[0:3], 0 offen offset:4
	buffer_load_dword v3, off, s[0:3], 0 offset:40
	buffer_load_dword v4, off, s[0:3], 0 offset:44
	s_waitcnt vmcnt(3)
	buffer_store_dword v1, off, s[0:3], 0 offset:40
	s_waitcnt vmcnt(3)
	buffer_store_dword v2, off, s[0:3], 0 offset:44
	s_waitcnt vmcnt(3)
	buffer_store_dword v3, v0, s[0:3], 0 offen
	s_waitcnt vmcnt(3)
	buffer_store_dword v4, v0, s[0:3], 0 offen offset:4
.LBB38_314:
	s_or_b64 exec, exec, s[4:5]
	v_pk_mov_b32 v[0:1], s[10:11], s[10:11] op_sel:[0,1]
	flat_load_dword v0, v[0:1] offset:16
	s_waitcnt vmcnt(0) lgkmcnt(0)
	v_add_u32_e32 v0, -1, v0
	v_cmp_ne_u32_e32 vcc, 4, v0
	s_and_saveexec_b64 s[4:5], vcc
	s_cbranch_execz .LBB38_316
; %bb.315:
	v_mov_b32_e32 v1, 0
	v_lshl_add_u32 v0, v0, 3, v1
	buffer_load_dword v1, v0, s[0:3], 0 offen
	buffer_load_dword v2, v0, s[0:3], 0 offen offset:4
	buffer_load_dword v3, off, s[0:3], 0 offset:36
	buffer_load_dword v4, off, s[0:3], 0 offset:32
	s_waitcnt vmcnt(3)
	buffer_store_dword v1, off, s[0:3], 0 offset:32
	s_waitcnt vmcnt(3)
	buffer_store_dword v2, off, s[0:3], 0 offset:36
	s_waitcnt vmcnt(3)
	buffer_store_dword v3, v0, s[0:3], 0 offen offset:4
	s_waitcnt vmcnt(3)
	buffer_store_dword v4, v0, s[0:3], 0 offen
.LBB38_316:
	s_or_b64 exec, exec, s[4:5]
	v_pk_mov_b32 v[0:1], s[10:11], s[10:11] op_sel:[0,1]
	flat_load_dword v0, v[0:1] offset:12
	s_waitcnt vmcnt(0) lgkmcnt(0)
	v_add_u32_e32 v0, -1, v0
	v_cmp_ne_u32_e32 vcc, 3, v0
	s_and_saveexec_b64 s[4:5], vcc
	s_cbranch_execz .LBB38_318
; %bb.317:
	v_mov_b32_e32 v1, 0
	v_lshl_add_u32 v0, v0, 3, v1
	buffer_load_dword v1, v0, s[0:3], 0 offen
	buffer_load_dword v2, v0, s[0:3], 0 offen offset:4
	buffer_load_dword v3, off, s[0:3], 0 offset:24
	buffer_load_dword v4, off, s[0:3], 0 offset:28
	s_waitcnt vmcnt(3)
	buffer_store_dword v1, off, s[0:3], 0 offset:24
	s_waitcnt vmcnt(3)
	buffer_store_dword v2, off, s[0:3], 0 offset:28
	s_waitcnt vmcnt(3)
	buffer_store_dword v3, v0, s[0:3], 0 offen
	s_waitcnt vmcnt(3)
	buffer_store_dword v4, v0, s[0:3], 0 offen offset:4
.LBB38_318:
	s_or_b64 exec, exec, s[4:5]
	v_pk_mov_b32 v[0:1], s[10:11], s[10:11] op_sel:[0,1]
	flat_load_dword v0, v[0:1] offset:8
	s_waitcnt vmcnt(0) lgkmcnt(0)
	v_add_u32_e32 v0, -1, v0
	v_cmp_ne_u32_e32 vcc, 2, v0
	s_and_saveexec_b64 s[4:5], vcc
	s_cbranch_execz .LBB38_320
; %bb.319:
	v_mov_b32_e32 v1, 0
	v_lshl_add_u32 v0, v0, 3, v1
	buffer_load_dword v1, v0, s[0:3], 0 offen
	buffer_load_dword v2, v0, s[0:3], 0 offen offset:4
	buffer_load_dword v3, off, s[0:3], 0 offset:20
	buffer_load_dword v4, off, s[0:3], 0 offset:16
	s_waitcnt vmcnt(3)
	buffer_store_dword v1, off, s[0:3], 0 offset:16
	s_waitcnt vmcnt(3)
	buffer_store_dword v2, off, s[0:3], 0 offset:20
	s_waitcnt vmcnt(3)
	buffer_store_dword v3, v0, s[0:3], 0 offen offset:4
	s_waitcnt vmcnt(3)
	buffer_store_dword v4, v0, s[0:3], 0 offen
.LBB38_320:
	s_or_b64 exec, exec, s[4:5]
	v_pk_mov_b32 v[0:1], s[10:11], s[10:11] op_sel:[0,1]
	flat_load_dword v0, v[0:1] offset:4
	s_waitcnt vmcnt(0) lgkmcnt(0)
	v_add_u32_e32 v0, -1, v0
	v_cmp_ne_u32_e32 vcc, 1, v0
	s_and_saveexec_b64 s[4:5], vcc
	s_cbranch_execz .LBB38_322
; %bb.321:
	v_mov_b32_e32 v1, 0
	v_lshl_add_u32 v0, v0, 3, v1
	buffer_load_dword v1, v0, s[0:3], 0 offen
	buffer_load_dword v2, v0, s[0:3], 0 offen offset:4
	buffer_load_dword v3, off, s[0:3], 0 offset:8
	buffer_load_dword v4, off, s[0:3], 0 offset:12
	s_waitcnt vmcnt(3)
	buffer_store_dword v1, off, s[0:3], 0 offset:8
	s_waitcnt vmcnt(3)
	buffer_store_dword v2, off, s[0:3], 0 offset:12
	s_waitcnt vmcnt(3)
	buffer_store_dword v3, v0, s[0:3], 0 offen
	s_waitcnt vmcnt(3)
	buffer_store_dword v4, v0, s[0:3], 0 offen offset:4
.LBB38_322:
	s_or_b64 exec, exec, s[4:5]
	v_pk_mov_b32 v[0:1], s[10:11], s[10:11] op_sel:[0,1]
	flat_load_dword v2, v[0:1]
	s_nop 0
	buffer_load_dword v0, off, s[0:3], 0
	buffer_load_dword v1, off, s[0:3], 0 offset:4
	s_waitcnt vmcnt(0) lgkmcnt(0)
	v_add_u32_e32 v2, -1, v2
	v_cmp_ne_u32_e32 vcc, 0, v2
	s_and_saveexec_b64 s[4:5], vcc
	s_cbranch_execz .LBB38_324
; %bb.323:
	v_mov_b32_e32 v3, 0
	v_lshl_add_u32 v2, v2, 3, v3
	buffer_load_dword v3, v2, s[0:3], 0 offen offset:4
	buffer_load_dword v4, v2, s[0:3], 0 offen
	s_waitcnt vmcnt(1)
	buffer_store_dword v3, off, s[0:3], 0 offset:4
	s_waitcnt vmcnt(1)
	buffer_store_dword v4, off, s[0:3], 0
	buffer_store_dword v1, v2, s[0:3], 0 offen offset:4
	buffer_store_dword v0, v2, s[0:3], 0 offen
	buffer_load_dword v0, off, s[0:3], 0
	s_nop 0
	buffer_load_dword v1, off, s[0:3], 0 offset:4
.LBB38_324:
	s_or_b64 exec, exec, s[4:5]
.LBB38_325:
	buffer_load_dword v2, off, s[0:3], 0 offset:8
	buffer_load_dword v3, off, s[0:3], 0 offset:12
	;; [unrolled: 1-line block ×76, first 2 shown]
	s_waitcnt vmcnt(62)
	global_store_dwordx2 v[84:85], v[0:1], off
	global_store_dwordx2 v[86:87], v[2:3], off
	;; [unrolled: 1-line block ×8, first 2 shown]
	s_waitcnt vmcnt(62)
	global_store_dwordx2 v[30:31], v[16:17], off
	global_store_dwordx2 v[32:33], v[96:97], off
	;; [unrolled: 1-line block ×4, first 2 shown]
	s_waitcnt vmcnt(62)
	global_store_dwordx2 v[38:39], v[102:103], off
	global_store_dwordx2 v[40:41], v[104:105], off
	s_waitcnt vmcnt(62)
	global_store_dwordx2 v[42:43], v[106:107], off
	s_waitcnt vmcnt(61)
	;; [unrolled: 2-line block ×25, first 2 shown]
	global_store_dwordx2 v[94:95], v[154:155], off
	s_endpgm
	.section	.rodata,"a",@progbits
	.p2align	6, 0x0
	.amdhsa_kernel _ZN9rocsolver6v33100L18getri_kernel_smallILi39E19rocblas_complex_numIfEPS3_EEvT1_iilPiilS6_bb
		.amdhsa_group_segment_fixed_size 632
		.amdhsa_private_segment_fixed_size 320
		.amdhsa_kernarg_size 60
		.amdhsa_user_sgpr_count 8
		.amdhsa_user_sgpr_private_segment_buffer 1
		.amdhsa_user_sgpr_dispatch_ptr 0
		.amdhsa_user_sgpr_queue_ptr 0
		.amdhsa_user_sgpr_kernarg_segment_ptr 1
		.amdhsa_user_sgpr_dispatch_id 0
		.amdhsa_user_sgpr_flat_scratch_init 1
		.amdhsa_user_sgpr_kernarg_preload_length 0
		.amdhsa_user_sgpr_kernarg_preload_offset 0
		.amdhsa_user_sgpr_private_segment_size 0
		.amdhsa_uses_dynamic_stack 0
		.amdhsa_system_sgpr_private_segment_wavefront_offset 1
		.amdhsa_system_sgpr_workgroup_id_x 1
		.amdhsa_system_sgpr_workgroup_id_y 0
		.amdhsa_system_sgpr_workgroup_id_z 0
		.amdhsa_system_sgpr_workgroup_info 0
		.amdhsa_system_vgpr_workitem_id 0
		.amdhsa_next_free_vgpr 224
		.amdhsa_next_free_sgpr 23
		.amdhsa_accum_offset 224
		.amdhsa_reserve_vcc 1
		.amdhsa_reserve_flat_scratch 1
		.amdhsa_float_round_mode_32 0
		.amdhsa_float_round_mode_16_64 0
		.amdhsa_float_denorm_mode_32 3
		.amdhsa_float_denorm_mode_16_64 3
		.amdhsa_dx10_clamp 1
		.amdhsa_ieee_mode 1
		.amdhsa_fp16_overflow 0
		.amdhsa_tg_split 0
		.amdhsa_exception_fp_ieee_invalid_op 0
		.amdhsa_exception_fp_denorm_src 0
		.amdhsa_exception_fp_ieee_div_zero 0
		.amdhsa_exception_fp_ieee_overflow 0
		.amdhsa_exception_fp_ieee_underflow 0
		.amdhsa_exception_fp_ieee_inexact 0
		.amdhsa_exception_int_div_zero 0
	.end_amdhsa_kernel
	.section	.text._ZN9rocsolver6v33100L18getri_kernel_smallILi39E19rocblas_complex_numIfEPS3_EEvT1_iilPiilS6_bb,"axG",@progbits,_ZN9rocsolver6v33100L18getri_kernel_smallILi39E19rocblas_complex_numIfEPS3_EEvT1_iilPiilS6_bb,comdat
.Lfunc_end38:
	.size	_ZN9rocsolver6v33100L18getri_kernel_smallILi39E19rocblas_complex_numIfEPS3_EEvT1_iilPiilS6_bb, .Lfunc_end38-_ZN9rocsolver6v33100L18getri_kernel_smallILi39E19rocblas_complex_numIfEPS3_EEvT1_iilPiilS6_bb
                                        ; -- End function
	.section	.AMDGPU.csdata,"",@progbits
; Kernel info:
; codeLenInByte = 65668
; NumSgprs: 29
; NumVgprs: 224
; NumAgprs: 0
; TotalNumVgprs: 224
; ScratchSize: 320
; MemoryBound: 0
; FloatMode: 240
; IeeeMode: 1
; LDSByteSize: 632 bytes/workgroup (compile time only)
; SGPRBlocks: 3
; VGPRBlocks: 27
; NumSGPRsForWavesPerEU: 29
; NumVGPRsForWavesPerEU: 224
; AccumOffset: 224
; Occupancy: 2
; WaveLimiterHint : 1
; COMPUTE_PGM_RSRC2:SCRATCH_EN: 1
; COMPUTE_PGM_RSRC2:USER_SGPR: 8
; COMPUTE_PGM_RSRC2:TRAP_HANDLER: 0
; COMPUTE_PGM_RSRC2:TGID_X_EN: 1
; COMPUTE_PGM_RSRC2:TGID_Y_EN: 0
; COMPUTE_PGM_RSRC2:TGID_Z_EN: 0
; COMPUTE_PGM_RSRC2:TIDIG_COMP_CNT: 0
; COMPUTE_PGM_RSRC3_GFX90A:ACCUM_OFFSET: 55
; COMPUTE_PGM_RSRC3_GFX90A:TG_SPLIT: 0
	.section	.text._ZN9rocsolver6v33100L18getri_kernel_smallILi40E19rocblas_complex_numIfEPS3_EEvT1_iilPiilS6_bb,"axG",@progbits,_ZN9rocsolver6v33100L18getri_kernel_smallILi40E19rocblas_complex_numIfEPS3_EEvT1_iilPiilS6_bb,comdat
	.globl	_ZN9rocsolver6v33100L18getri_kernel_smallILi40E19rocblas_complex_numIfEPS3_EEvT1_iilPiilS6_bb ; -- Begin function _ZN9rocsolver6v33100L18getri_kernel_smallILi40E19rocblas_complex_numIfEPS3_EEvT1_iilPiilS6_bb
	.p2align	8
	.type	_ZN9rocsolver6v33100L18getri_kernel_smallILi40E19rocblas_complex_numIfEPS3_EEvT1_iilPiilS6_bb,@function
_ZN9rocsolver6v33100L18getri_kernel_smallILi40E19rocblas_complex_numIfEPS3_EEvT1_iilPiilS6_bb: ; @_ZN9rocsolver6v33100L18getri_kernel_smallILi40E19rocblas_complex_numIfEPS3_EEvT1_iilPiilS6_bb
; %bb.0:
	s_add_u32 flat_scratch_lo, s6, s9
	s_addc_u32 flat_scratch_hi, s7, 0
	s_add_u32 s0, s0, s9
	s_addc_u32 s1, s1, 0
	v_cmp_gt_u32_e32 vcc, 40, v0
	s_and_saveexec_b64 s[6:7], vcc
	s_cbranch_execz .LBB39_174
; %bb.1:
	s_load_dword s22, s[4:5], 0x38
	s_load_dwordx4 s[16:19], s[4:5], 0x10
	s_load_dwordx4 s[12:15], s[4:5], 0x28
                                        ; implicit-def: $sgpr10_sgpr11
	s_waitcnt lgkmcnt(0)
	s_bitcmp1_b32 s22, 8
	s_cselect_b64 s[20:21], -1, 0
	s_ashr_i32 s9, s8, 31
	s_bfe_u32 s6, s22, 0x10008
	s_cmp_eq_u32 s6, 0
	s_cbranch_scc1 .LBB39_3
; %bb.2:
	s_load_dword s6, s[4:5], 0x20
	s_mul_i32 s7, s8, s13
	s_mul_hi_u32 s10, s8, s12
	s_mul_i32 s11, s9, s12
	s_add_i32 s10, s10, s7
	s_add_i32 s11, s10, s11
	s_mul_i32 s10, s8, s12
	s_waitcnt lgkmcnt(0)
	s_ashr_i32 s7, s6, 31
	s_lshl_b64 s[10:11], s[10:11], 2
	s_add_u32 s10, s18, s10
	s_addc_u32 s11, s19, s11
	s_lshl_b64 s[6:7], s[6:7], 2
	s_add_u32 s10, s10, s6
	s_addc_u32 s11, s11, s7
.LBB39_3:
	s_load_dwordx4 s[4:7], s[4:5], 0x0
	s_mul_i32 s12, s8, s17
	s_mul_hi_u32 s13, s8, s16
	s_add_i32 s17, s13, s12
	v_lshlrev_b32_e32 v6, 3, v0
	s_waitcnt lgkmcnt(0)
	s_ashr_i32 s13, s6, 31
	s_mov_b32 s12, s6
	s_mul_i32 s6, s9, s16
	s_add_i32 s17, s17, s6
	s_mul_i32 s16, s8, s16
	s_lshl_b64 s[16:17], s[16:17], 3
	s_add_u32 s6, s4, s16
	s_addc_u32 s16, s5, s17
	s_lshl_b64 s[4:5], s[12:13], 3
	s_add_u32 s4, s6, s4
	s_addc_u32 s5, s16, s5
	s_add_i32 s6, s7, s7
	v_add_u32_e32 v2, s6, v0
	v_ashrrev_i32_e32 v3, 31, v2
	v_lshlrev_b64 v[4:5], 3, v[2:3]
	v_add_u32_e32 v2, s7, v2
	v_mov_b32_e32 v1, s5
	v_add_co_u32_e32 v18, vcc, s4, v4
	v_ashrrev_i32_e32 v3, 31, v2
	v_addc_co_u32_e32 v19, vcc, v1, v5, vcc
	v_lshlrev_b64 v[4:5], 3, v[2:3]
	v_add_u32_e32 v2, s7, v2
	v_add_co_u32_e32 v20, vcc, s4, v4
	v_ashrrev_i32_e32 v3, 31, v2
	v_addc_co_u32_e32 v21, vcc, v1, v5, vcc
	v_lshlrev_b64 v[4:5], 3, v[2:3]
	v_add_u32_e32 v2, s7, v2
	;; [unrolled: 5-line block ×31, first 2 shown]
	v_add_co_u32_e32 v80, vcc, s4, v4
	v_ashrrev_i32_e32 v3, 31, v2
	v_addc_co_u32_e32 v81, vcc, v1, v5, vcc
	v_lshlrev_b64 v[4:5], 3, v[2:3]
	v_add_co_u32_e32 v82, vcc, s4, v4
	v_addc_co_u32_e32 v83, vcc, v1, v5, vcc
	v_add_co_u32_e32 v86, vcc, s4, v6
	s_ashr_i32 s13, s7, 31
	s_mov_b32 s12, s7
	v_add_u32_e32 v2, s7, v2
	v_addc_co_u32_e32 v87, vcc, 0, v1, vcc
	s_lshl_b64 s[12:13], s[12:13], 3
	v_ashrrev_i32_e32 v3, 31, v2
	v_mov_b32_e32 v1, s13
	v_add_co_u32_e32 v88, vcc, s12, v86
	v_addc_co_u32_e32 v89, vcc, v87, v1, vcc
	v_lshlrev_b64 v[12:13], 3, v[2:3]
	v_add_u32_e32 v2, s7, v2
	v_mov_b32_e32 v1, s5
	v_add_co_u32_e32 v84, vcc, s4, v12
	v_ashrrev_i32_e32 v3, 31, v2
	v_addc_co_u32_e32 v85, vcc, v1, v13, vcc
	v_lshlrev_b64 v[90:91], 3, v[2:3]
	v_add_u32_e32 v2, s7, v2
	v_add_co_u32_e32 v90, vcc, s4, v90
	v_ashrrev_i32_e32 v3, 31, v2
	v_addc_co_u32_e32 v91, vcc, v1, v91, vcc
	v_lshlrev_b64 v[92:93], 3, v[2:3]
	v_add_u32_e32 v2, s7, v2
	v_add_co_u32_e32 v92, vcc, s4, v92
	v_ashrrev_i32_e32 v3, 31, v2
	v_addc_co_u32_e32 v93, vcc, v1, v93, vcc
	v_lshlrev_b64 v[94:95], 3, v[2:3]
	v_add_co_u32_e32 v94, vcc, s4, v94
	global_load_dwordx2 v[4:5], v6, s[4:5]
	global_load_dwordx2 v[10:11], v[18:19], off
	global_load_dwordx2 v[8:9], v[88:89], off
	;; [unrolled: 1-line block ×30, first 2 shown]
	v_addc_co_u32_e32 v95, vcc, v1, v95, vcc
	global_load_dwordx2 v[148:149], v[76:77], off
	global_load_dwordx2 v[150:151], v[78:79], off
	;; [unrolled: 1-line block ×8, first 2 shown]
	v_add_u32_e32 v2, s7, v2
	v_ashrrev_i32_e32 v3, 31, v2
	v_lshlrev_b64 v[2:3], 3, v[2:3]
	v_add_co_u32_e32 v96, vcc, s4, v2
	v_addc_co_u32_e32 v97, vcc, v1, v3, vcc
	global_load_dwordx2 v[2:3], v[96:97], off
	s_bitcmp0_b32 s22, 0
	s_mov_b64 s[6:7], -1
	s_waitcnt vmcnt(39)
	buffer_store_dword v5, off, s[0:3], 0 offset:4
	buffer_store_dword v4, off, s[0:3], 0
	s_waitcnt vmcnt(39)
	buffer_store_dword v9, off, s[0:3], 0 offset:12
	buffer_store_dword v8, off, s[0:3], 0 offset:8
	;; [unrolled: 1-line block ×4, first 2 shown]
	s_waitcnt vmcnt(42)
	buffer_store_dword v15, off, s[0:3], 0 offset:28
	buffer_store_dword v14, off, s[0:3], 0 offset:24
	s_waitcnt vmcnt(43)
	buffer_store_dword v17, off, s[0:3], 0 offset:36
	buffer_store_dword v16, off, s[0:3], 0 offset:32
	;; [unrolled: 3-line block ×22, first 2 shown]
	buffer_store_dword v137, off, s[0:3], 0 offset:204
	buffer_store_dword v136, off, s[0:3], 0 offset:200
	s_waitcnt vmcnt(62)
	buffer_store_dword v139, off, s[0:3], 0 offset:212
	buffer_store_dword v138, off, s[0:3], 0 offset:208
	buffer_store_dword v140, off, s[0:3], 0 offset:216
	buffer_store_dword v141, off, s[0:3], 0 offset:220
	buffer_store_dword v142, off, s[0:3], 0 offset:224
	buffer_store_dword v143, off, s[0:3], 0 offset:228
	buffer_store_dword v144, off, s[0:3], 0 offset:232
	buffer_store_dword v145, off, s[0:3], 0 offset:236
	s_waitcnt vmcnt(62)
	buffer_store_dword v146, off, s[0:3], 0 offset:240
	buffer_store_dword v147, off, s[0:3], 0 offset:244
	buffer_store_dword v149, off, s[0:3], 0 offset:252
	buffer_store_dword v148, off, s[0:3], 0 offset:248
	buffer_store_dword v151, off, s[0:3], 0 offset:260
	buffer_store_dword v150, off, s[0:3], 0 offset:256
	buffer_store_dword v152, off, s[0:3], 0 offset:264
	buffer_store_dword v153, off, s[0:3], 0 offset:268
	buffer_store_dword v154, off, s[0:3], 0 offset:272
	buffer_store_dword v155, off, s[0:3], 0 offset:276
	buffer_store_dword v156, off, s[0:3], 0 offset:280
	buffer_store_dword v157, off, s[0:3], 0 offset:284
	buffer_store_dword v158, off, s[0:3], 0 offset:288
	buffer_store_dword v159, off, s[0:3], 0 offset:292
	buffer_store_dword v161, off, s[0:3], 0 offset:300
	buffer_store_dword v160, off, s[0:3], 0 offset:296
	s_waitcnt vmcnt(62)
	buffer_store_dword v163, off, s[0:3], 0 offset:308
	buffer_store_dword v162, off, s[0:3], 0 offset:304
	;; [unrolled: 1-line block ×4, first 2 shown]
	s_cbranch_scc1 .LBB39_172
; %bb.4:
	v_cmp_eq_u32_e64 s[4:5], 0, v0
	s_and_saveexec_b64 s[6:7], s[4:5]
	s_cbranch_execz .LBB39_6
; %bb.5:
	v_mov_b32_e32 v1, 0
	ds_write_b32 v1, v1 offset:640
.LBB39_6:
	s_or_b64 exec, exec, s[6:7]
	v_mov_b32_e32 v1, 0
	v_lshl_add_u32 v7, v0, 3, v1
	s_waitcnt lgkmcnt(0)
	; wave barrier
	s_waitcnt lgkmcnt(0)
	buffer_load_dword v1, v7, s[0:3], 0 offen
	buffer_load_dword v2, v7, s[0:3], 0 offen offset:4
	s_waitcnt vmcnt(1)
	v_cmp_eq_f32_e32 vcc, 0, v1
	s_waitcnt vmcnt(0)
	v_cmp_eq_f32_e64 s[6:7], 0, v2
	s_and_b64 s[6:7], vcc, s[6:7]
	s_and_saveexec_b64 s[12:13], s[6:7]
	s_cbranch_execz .LBB39_10
; %bb.7:
	v_mov_b32_e32 v1, 0
	ds_read_b32 v3, v1 offset:640
	v_add_u32_e32 v2, 1, v0
	s_waitcnt lgkmcnt(0)
	v_readfirstlane_b32 s6, v3
	s_cmp_eq_u32 s6, 0
	s_cselect_b64 s[16:17], -1, 0
	v_cmp_gt_i32_e32 vcc, s6, v2
	s_or_b64 s[16:17], s[16:17], vcc
	s_and_b64 exec, exec, s[16:17]
	s_cbranch_execz .LBB39_10
; %bb.8:
	s_mov_b64 s[16:17], 0
	v_mov_b32_e32 v3, s6
.LBB39_9:                               ; =>This Inner Loop Header: Depth=1
	ds_cmpst_rtn_b32 v3, v1, v3, v2 offset:640
	s_waitcnt lgkmcnt(0)
	v_cmp_ne_u32_e32 vcc, 0, v3
	v_cmp_le_i32_e64 s[6:7], v3, v2
	s_and_b64 s[6:7], vcc, s[6:7]
	s_and_b64 s[6:7], exec, s[6:7]
	s_or_b64 s[16:17], s[6:7], s[16:17]
	s_andn2_b64 exec, exec, s[16:17]
	s_cbranch_execnz .LBB39_9
.LBB39_10:
	s_or_b64 exec, exec, s[12:13]
	v_mov_b32_e32 v2, 0
	s_waitcnt lgkmcnt(0)
	; wave barrier
	ds_read_b32 v1, v2 offset:640
	s_and_saveexec_b64 s[6:7], s[4:5]
	s_cbranch_execz .LBB39_12
; %bb.11:
	s_lshl_b64 s[12:13], s[8:9], 2
	s_add_u32 s12, s14, s12
	s_addc_u32 s13, s15, s13
	s_waitcnt lgkmcnt(0)
	global_store_dword v2, v1, s[12:13]
.LBB39_12:
	s_or_b64 exec, exec, s[6:7]
	s_waitcnt lgkmcnt(0)
	v_cmp_ne_u32_e32 vcc, 0, v1
	s_mov_b64 s[6:7], 0
	s_cbranch_vccnz .LBB39_172
; %bb.13:
	buffer_load_dword v8, v7, s[0:3], 0 offen offset:4
	buffer_load_dword v3, v7, s[0:3], 0 offen
	s_waitcnt vmcnt(1)
	v_cmp_gt_f32_e32 vcc, 0, v8
	v_cndmask_b32_e64 v1, v8, -v8, vcc
	s_waitcnt vmcnt(0)
	v_cmp_gt_f32_e32 vcc, 0, v3
	v_cndmask_b32_e64 v2, v3, -v3, vcc
	v_cmp_ngt_f32_e32 vcc, v2, v1
                                        ; implicit-def: $vgpr1
                                        ; implicit-def: $vgpr2
	s_and_saveexec_b64 s[6:7], vcc
	s_xor_b64 s[6:7], exec, s[6:7]
                                        ; implicit-def: $vgpr4_vgpr5
	s_cbranch_execz .LBB39_15
; %bb.14:
	v_div_scale_f32 v1, s[12:13], v8, v8, v3
	v_rcp_f32_e32 v2, v1
	v_div_scale_f32 v4, vcc, v3, v8, v3
	v_fma_f32 v5, -v1, v2, 1.0
	v_fmac_f32_e32 v2, v5, v2
	v_mul_f32_e32 v5, v4, v2
	v_fma_f32 v9, -v1, v5, v4
	v_fmac_f32_e32 v5, v9, v2
	v_fma_f32 v1, -v1, v5, v4
	v_div_fmas_f32 v1, v1, v2, v5
	v_div_fixup_f32 v2, v1, v8, v3
	v_fmac_f32_e32 v8, v3, v2
	v_div_scale_f32 v1, s[12:13], v8, v8, -1.0
	v_rcp_f32_e32 v3, v1
	v_fma_f32 v4, -v1, v3, 1.0
	v_fmac_f32_e32 v3, v4, v3
	v_div_scale_f32 v4, vcc, -1.0, v8, -1.0
	v_mul_f32_e32 v5, v4, v3
	v_fma_f32 v9, -v1, v5, v4
	v_fmac_f32_e32 v5, v9, v3
	v_fma_f32 v1, -v1, v5, v4
	v_div_fmas_f32 v1, v1, v3, v5
	v_div_fixup_f32 v1, v1, v8, -1.0
	v_mul_f32_e32 v2, v2, v1
	v_xor_b32_e32 v4, 0x80000000, v2
                                        ; implicit-def: $vgpr3
                                        ; implicit-def: $vgpr8
.LBB39_15:
	s_andn2_saveexec_b64 s[6:7], s[6:7]
	s_cbranch_execz .LBB39_17
; %bb.16:
	v_div_scale_f32 v1, s[12:13], v3, v3, v8
	v_rcp_f32_e32 v2, v1
	v_div_scale_f32 v4, vcc, v8, v3, v8
	v_fma_f32 v5, -v1, v2, 1.0
	v_fmac_f32_e32 v2, v5, v2
	v_mul_f32_e32 v5, v4, v2
	v_fma_f32 v9, -v1, v5, v4
	v_fmac_f32_e32 v5, v9, v2
	v_fma_f32 v1, -v1, v5, v4
	v_div_fmas_f32 v1, v1, v2, v5
	v_div_fixup_f32 v1, v1, v3, v8
	v_fmac_f32_e32 v3, v8, v1
	v_div_scale_f32 v2, s[12:13], v3, v3, 1.0
	v_rcp_f32_e32 v4, v2
	v_fma_f32 v5, -v2, v4, 1.0
	v_fmac_f32_e32 v4, v5, v4
	v_div_scale_f32 v5, vcc, 1.0, v3, 1.0
	v_mul_f32_e32 v8, v5, v4
	v_fma_f32 v9, -v2, v8, v5
	v_fmac_f32_e32 v8, v9, v4
	v_fma_f32 v2, -v2, v8, v5
	v_div_fmas_f32 v2, v2, v4, v8
	v_div_fixup_f32 v4, v2, v3, 1.0
	v_xor_b32_e32 v2, 0x80000000, v4
	v_mul_f32_e64 v1, v1, -v4
.LBB39_17:
	s_or_b64 exec, exec, s[6:7]
	buffer_store_dword v1, v7, s[0:3], 0 offen offset:4
	buffer_store_dword v4, v7, s[0:3], 0 offen
	buffer_load_dword v5, off, s[0:3], 0 offset:12
	s_nop 0
	buffer_load_dword v4, off, s[0:3], 0 offset:8
	v_xor_b32_e32 v3, 0x80000000, v1
	v_add_u32_e32 v1, 0x140, v6
	s_waitcnt vmcnt(0)
	ds_write2_b64 v6, v[2:3], v[4:5] offset1:40
	s_waitcnt lgkmcnt(0)
	; wave barrier
	s_waitcnt lgkmcnt(0)
	s_and_saveexec_b64 s[6:7], s[4:5]
	s_cbranch_execz .LBB39_19
; %bb.18:
	buffer_load_dword v8, v7, s[0:3], 0 offen offset:4
	buffer_load_dword v9, v7, s[0:3], 0 offen
	ds_read_b64 v[2:3], v1
	v_mov_b32_e32 v4, 0
	ds_read_b64 v[4:5], v4 offset:8
	s_waitcnt vmcnt(1) lgkmcnt(1)
	v_mul_f32_e32 v10, v3, v8
	v_mul_f32_e32 v8, v2, v8
	s_waitcnt vmcnt(0)
	v_fmac_f32_e32 v8, v3, v9
	v_fma_f32 v2, v2, v9, -v10
	v_add_f32_e32 v3, 0, v8
	v_add_f32_e32 v2, 0, v2
	s_waitcnt lgkmcnt(0)
	v_mul_f32_e32 v8, v3, v5
	v_mul_f32_e32 v5, v2, v5
	v_fma_f32 v2, v2, v4, -v8
	v_fmac_f32_e32 v5, v3, v4
	buffer_store_dword v2, off, s[0:3], 0 offset:8
	buffer_store_dword v5, off, s[0:3], 0 offset:12
.LBB39_19:
	s_or_b64 exec, exec, s[6:7]
	s_waitcnt lgkmcnt(0)
	; wave barrier
	buffer_load_dword v2, off, s[0:3], 0 offset:16
	buffer_load_dword v3, off, s[0:3], 0 offset:20
	v_cmp_gt_u32_e32 vcc, 2, v0
	s_waitcnt vmcnt(0)
	ds_write_b64 v1, v[2:3]
	s_waitcnt lgkmcnt(0)
	; wave barrier
	s_waitcnt lgkmcnt(0)
	s_and_saveexec_b64 s[6:7], vcc
	s_cbranch_execz .LBB39_23
; %bb.20:
	buffer_load_dword v4, v7, s[0:3], 0 offen offset:4
	buffer_load_dword v5, v7, s[0:3], 0 offen
	ds_read_b64 v[2:3], v1
	s_waitcnt vmcnt(1) lgkmcnt(0)
	v_mul_f32_e32 v7, v3, v4
	v_mul_f32_e32 v4, v2, v4
	s_waitcnt vmcnt(0)
	v_fma_f32 v2, v2, v5, -v7
	v_fmac_f32_e32 v4, v3, v5
	v_add_f32_e32 v3, 0, v2
	v_add_f32_e32 v2, 0, v4
	s_and_saveexec_b64 s[12:13], s[4:5]
	s_cbranch_execz .LBB39_22
; %bb.21:
	buffer_load_dword v7, off, s[0:3], 0 offset:12
	buffer_load_dword v8, off, s[0:3], 0 offset:8
	v_mov_b32_e32 v4, 0
	ds_read_b64 v[4:5], v4 offset:328
	s_waitcnt vmcnt(1) lgkmcnt(0)
	v_mul_f32_e32 v9, v4, v7
	v_mul_f32_e32 v7, v5, v7
	s_waitcnt vmcnt(0)
	v_fmac_f32_e32 v9, v5, v8
	v_fma_f32 v4, v4, v8, -v7
	v_add_f32_e32 v2, v2, v9
	v_add_f32_e32 v3, v3, v4
.LBB39_22:
	s_or_b64 exec, exec, s[12:13]
	v_mov_b32_e32 v4, 0
	ds_read_b64 v[4:5], v4 offset:16
	s_waitcnt lgkmcnt(0)
	v_mul_f32_e32 v7, v2, v5
	v_mul_f32_e32 v5, v3, v5
	v_fma_f32 v3, v3, v4, -v7
	v_fmac_f32_e32 v5, v2, v4
	buffer_store_dword v3, off, s[0:3], 0 offset:16
	buffer_store_dword v5, off, s[0:3], 0 offset:20
.LBB39_23:
	s_or_b64 exec, exec, s[6:7]
	s_waitcnt lgkmcnt(0)
	; wave barrier
	buffer_load_dword v2, off, s[0:3], 0 offset:24
	buffer_load_dword v3, off, s[0:3], 0 offset:28
	v_cmp_gt_u32_e32 vcc, 3, v0
	s_waitcnt vmcnt(0)
	ds_write_b64 v1, v[2:3]
	v_add_u32_e32 v2, -1, v0
	s_waitcnt lgkmcnt(0)
	; wave barrier
	s_waitcnt lgkmcnt(0)
	s_and_saveexec_b64 s[4:5], vcc
	s_cbranch_execz .LBB39_27
; %bb.24:
	v_add_u32_e32 v4, -1, v0
	v_add_u32_e32 v5, 0x140, v6
	v_add_u32_e32 v7, 0, v6
	s_mov_b64 s[6:7], 0
	v_mov_b32_e32 v3, 0
	v_mov_b32_e32 v8, 0
.LBB39_25:                              ; =>This Inner Loop Header: Depth=1
	buffer_load_dword v9, v7, s[0:3], 0 offen offset:4
	buffer_load_dword v12, v7, s[0:3], 0 offen
	ds_read_b64 v[10:11], v5
	v_add_u32_e32 v4, 1, v4
	v_cmp_lt_u32_e32 vcc, 1, v4
	v_add_u32_e32 v5, 8, v5
	v_add_u32_e32 v7, 8, v7
	s_or_b64 s[6:7], vcc, s[6:7]
	s_waitcnt vmcnt(1) lgkmcnt(0)
	v_mul_f32_e32 v13, v11, v9
	v_mul_f32_e32 v9, v10, v9
	s_waitcnt vmcnt(0)
	v_fma_f32 v10, v10, v12, -v13
	v_fmac_f32_e32 v9, v11, v12
	v_add_f32_e32 v8, v8, v10
	v_add_f32_e32 v3, v3, v9
	s_andn2_b64 exec, exec, s[6:7]
	s_cbranch_execnz .LBB39_25
; %bb.26:
	s_or_b64 exec, exec, s[6:7]
	v_mov_b32_e32 v4, 0
	ds_read_b64 v[4:5], v4 offset:24
	s_waitcnt lgkmcnt(0)
	v_mul_f32_e32 v7, v3, v5
	v_mul_f32_e32 v5, v8, v5
	v_fma_f32 v7, v8, v4, -v7
	v_fmac_f32_e32 v5, v3, v4
	buffer_store_dword v7, off, s[0:3], 0 offset:24
	buffer_store_dword v5, off, s[0:3], 0 offset:28
.LBB39_27:
	s_or_b64 exec, exec, s[4:5]
	s_waitcnt lgkmcnt(0)
	; wave barrier
	buffer_load_dword v4, off, s[0:3], 0 offset:32
	buffer_load_dword v5, off, s[0:3], 0 offset:36
	v_cmp_gt_u32_e32 vcc, 4, v0
	s_waitcnt vmcnt(0)
	ds_write_b64 v1, v[4:5]
	s_waitcnt lgkmcnt(0)
	; wave barrier
	s_waitcnt lgkmcnt(0)
	s_and_saveexec_b64 s[4:5], vcc
	s_cbranch_execz .LBB39_31
; %bb.28:
	v_add_u32_e32 v4, -1, v0
	v_add_u32_e32 v5, 0x140, v6
	v_add_u32_e32 v7, 0, v6
	s_mov_b64 s[6:7], 0
	v_mov_b32_e32 v3, 0
	v_mov_b32_e32 v8, 0
.LBB39_29:                              ; =>This Inner Loop Header: Depth=1
	buffer_load_dword v9, v7, s[0:3], 0 offen offset:4
	buffer_load_dword v12, v7, s[0:3], 0 offen
	ds_read_b64 v[10:11], v5
	v_add_u32_e32 v4, 1, v4
	v_cmp_lt_u32_e32 vcc, 2, v4
	v_add_u32_e32 v5, 8, v5
	v_add_u32_e32 v7, 8, v7
	s_or_b64 s[6:7], vcc, s[6:7]
	s_waitcnt vmcnt(1) lgkmcnt(0)
	v_mul_f32_e32 v13, v11, v9
	v_mul_f32_e32 v9, v10, v9
	s_waitcnt vmcnt(0)
	v_fma_f32 v10, v10, v12, -v13
	v_fmac_f32_e32 v9, v11, v12
	v_add_f32_e32 v8, v8, v10
	v_add_f32_e32 v3, v3, v9
	s_andn2_b64 exec, exec, s[6:7]
	s_cbranch_execnz .LBB39_29
; %bb.30:
	s_or_b64 exec, exec, s[6:7]
	v_mov_b32_e32 v4, 0
	ds_read_b64 v[4:5], v4 offset:32
	s_waitcnt lgkmcnt(0)
	v_mul_f32_e32 v7, v3, v5
	v_mul_f32_e32 v5, v8, v5
	v_fma_f32 v7, v8, v4, -v7
	v_fmac_f32_e32 v5, v3, v4
	buffer_store_dword v7, off, s[0:3], 0 offset:32
	buffer_store_dword v5, off, s[0:3], 0 offset:36
.LBB39_31:
	s_or_b64 exec, exec, s[4:5]
	s_waitcnt lgkmcnt(0)
	; wave barrier
	buffer_load_dword v4, off, s[0:3], 0 offset:40
	buffer_load_dword v5, off, s[0:3], 0 offset:44
	v_cmp_gt_u32_e32 vcc, 5, v0
	s_waitcnt vmcnt(0)
	ds_write_b64 v1, v[4:5]
	s_waitcnt lgkmcnt(0)
	; wave barrier
	s_waitcnt lgkmcnt(0)
	s_and_saveexec_b64 s[4:5], vcc
	s_cbranch_execz .LBB39_35
; %bb.32:
	v_add_u32_e32 v4, -1, v0
	v_add_u32_e32 v5, 0x140, v6
	v_add_u32_e32 v7, 0, v6
	s_mov_b64 s[6:7], 0
	v_mov_b32_e32 v3, 0
	v_mov_b32_e32 v8, 0
.LBB39_33:                              ; =>This Inner Loop Header: Depth=1
	buffer_load_dword v9, v7, s[0:3], 0 offen offset:4
	buffer_load_dword v12, v7, s[0:3], 0 offen
	ds_read_b64 v[10:11], v5
	v_add_u32_e32 v4, 1, v4
	v_cmp_lt_u32_e32 vcc, 3, v4
	v_add_u32_e32 v5, 8, v5
	v_add_u32_e32 v7, 8, v7
	s_or_b64 s[6:7], vcc, s[6:7]
	s_waitcnt vmcnt(1) lgkmcnt(0)
	v_mul_f32_e32 v13, v11, v9
	v_mul_f32_e32 v9, v10, v9
	s_waitcnt vmcnt(0)
	v_fma_f32 v10, v10, v12, -v13
	v_fmac_f32_e32 v9, v11, v12
	v_add_f32_e32 v8, v8, v10
	v_add_f32_e32 v3, v3, v9
	s_andn2_b64 exec, exec, s[6:7]
	s_cbranch_execnz .LBB39_33
; %bb.34:
	s_or_b64 exec, exec, s[6:7]
	v_mov_b32_e32 v4, 0
	ds_read_b64 v[4:5], v4 offset:40
	s_waitcnt lgkmcnt(0)
	v_mul_f32_e32 v7, v3, v5
	v_mul_f32_e32 v5, v8, v5
	v_fma_f32 v7, v8, v4, -v7
	v_fmac_f32_e32 v5, v3, v4
	buffer_store_dword v7, off, s[0:3], 0 offset:40
	buffer_store_dword v5, off, s[0:3], 0 offset:44
.LBB39_35:
	s_or_b64 exec, exec, s[4:5]
	s_waitcnt lgkmcnt(0)
	; wave barrier
	buffer_load_dword v4, off, s[0:3], 0 offset:48
	buffer_load_dword v5, off, s[0:3], 0 offset:52
	v_cmp_gt_u32_e32 vcc, 6, v0
	s_waitcnt vmcnt(0)
	ds_write_b64 v1, v[4:5]
	s_waitcnt lgkmcnt(0)
	; wave barrier
	s_waitcnt lgkmcnt(0)
	s_and_saveexec_b64 s[4:5], vcc
	s_cbranch_execz .LBB39_39
; %bb.36:
	v_add_u32_e32 v4, -1, v0
	v_add_u32_e32 v5, 0x140, v6
	v_add_u32_e32 v7, 0, v6
	s_mov_b64 s[6:7], 0
	v_mov_b32_e32 v3, 0
	v_mov_b32_e32 v8, 0
.LBB39_37:                              ; =>This Inner Loop Header: Depth=1
	buffer_load_dword v9, v7, s[0:3], 0 offen offset:4
	buffer_load_dword v12, v7, s[0:3], 0 offen
	ds_read_b64 v[10:11], v5
	v_add_u32_e32 v4, 1, v4
	v_cmp_lt_u32_e32 vcc, 4, v4
	v_add_u32_e32 v5, 8, v5
	v_add_u32_e32 v7, 8, v7
	s_or_b64 s[6:7], vcc, s[6:7]
	s_waitcnt vmcnt(1) lgkmcnt(0)
	v_mul_f32_e32 v13, v11, v9
	v_mul_f32_e32 v9, v10, v9
	s_waitcnt vmcnt(0)
	v_fma_f32 v10, v10, v12, -v13
	v_fmac_f32_e32 v9, v11, v12
	v_add_f32_e32 v8, v8, v10
	v_add_f32_e32 v3, v3, v9
	s_andn2_b64 exec, exec, s[6:7]
	s_cbranch_execnz .LBB39_37
; %bb.38:
	s_or_b64 exec, exec, s[6:7]
	v_mov_b32_e32 v4, 0
	ds_read_b64 v[4:5], v4 offset:48
	s_waitcnt lgkmcnt(0)
	v_mul_f32_e32 v7, v3, v5
	v_mul_f32_e32 v5, v8, v5
	v_fma_f32 v7, v8, v4, -v7
	v_fmac_f32_e32 v5, v3, v4
	buffer_store_dword v7, off, s[0:3], 0 offset:48
	buffer_store_dword v5, off, s[0:3], 0 offset:52
.LBB39_39:
	s_or_b64 exec, exec, s[4:5]
	s_waitcnt lgkmcnt(0)
	; wave barrier
	buffer_load_dword v4, off, s[0:3], 0 offset:56
	buffer_load_dword v5, off, s[0:3], 0 offset:60
	v_cmp_gt_u32_e32 vcc, 7, v0
	s_waitcnt vmcnt(0)
	ds_write_b64 v1, v[4:5]
	s_waitcnt lgkmcnt(0)
	; wave barrier
	s_waitcnt lgkmcnt(0)
	s_and_saveexec_b64 s[4:5], vcc
	s_cbranch_execz .LBB39_43
; %bb.40:
	v_add_u32_e32 v4, -1, v0
	v_add_u32_e32 v5, 0x140, v6
	v_add_u32_e32 v7, 0, v6
	s_mov_b64 s[6:7], 0
	v_mov_b32_e32 v3, 0
	v_mov_b32_e32 v8, 0
.LBB39_41:                              ; =>This Inner Loop Header: Depth=1
	buffer_load_dword v9, v7, s[0:3], 0 offen offset:4
	buffer_load_dword v12, v7, s[0:3], 0 offen
	ds_read_b64 v[10:11], v5
	v_add_u32_e32 v4, 1, v4
	v_cmp_lt_u32_e32 vcc, 5, v4
	v_add_u32_e32 v5, 8, v5
	v_add_u32_e32 v7, 8, v7
	s_or_b64 s[6:7], vcc, s[6:7]
	s_waitcnt vmcnt(1) lgkmcnt(0)
	v_mul_f32_e32 v13, v11, v9
	v_mul_f32_e32 v9, v10, v9
	s_waitcnt vmcnt(0)
	v_fma_f32 v10, v10, v12, -v13
	v_fmac_f32_e32 v9, v11, v12
	v_add_f32_e32 v8, v8, v10
	v_add_f32_e32 v3, v3, v9
	s_andn2_b64 exec, exec, s[6:7]
	s_cbranch_execnz .LBB39_41
; %bb.42:
	s_or_b64 exec, exec, s[6:7]
	v_mov_b32_e32 v4, 0
	ds_read_b64 v[4:5], v4 offset:56
	s_waitcnt lgkmcnt(0)
	v_mul_f32_e32 v7, v3, v5
	v_mul_f32_e32 v5, v8, v5
	v_fma_f32 v7, v8, v4, -v7
	v_fmac_f32_e32 v5, v3, v4
	buffer_store_dword v7, off, s[0:3], 0 offset:56
	buffer_store_dword v5, off, s[0:3], 0 offset:60
.LBB39_43:
	s_or_b64 exec, exec, s[4:5]
	s_waitcnt lgkmcnt(0)
	; wave barrier
	buffer_load_dword v4, off, s[0:3], 0 offset:64
	buffer_load_dword v5, off, s[0:3], 0 offset:68
	v_cmp_gt_u32_e32 vcc, 8, v0
	s_waitcnt vmcnt(0)
	ds_write_b64 v1, v[4:5]
	s_waitcnt lgkmcnt(0)
	; wave barrier
	s_waitcnt lgkmcnt(0)
	s_and_saveexec_b64 s[4:5], vcc
	s_cbranch_execz .LBB39_47
; %bb.44:
	v_add_u32_e32 v4, -1, v0
	v_add_u32_e32 v5, 0x140, v6
	v_add_u32_e32 v7, 0, v6
	s_mov_b64 s[6:7], 0
	v_mov_b32_e32 v3, 0
	v_mov_b32_e32 v8, 0
.LBB39_45:                              ; =>This Inner Loop Header: Depth=1
	buffer_load_dword v9, v7, s[0:3], 0 offen offset:4
	buffer_load_dword v12, v7, s[0:3], 0 offen
	ds_read_b64 v[10:11], v5
	v_add_u32_e32 v4, 1, v4
	v_cmp_lt_u32_e32 vcc, 6, v4
	v_add_u32_e32 v5, 8, v5
	v_add_u32_e32 v7, 8, v7
	s_or_b64 s[6:7], vcc, s[6:7]
	s_waitcnt vmcnt(1) lgkmcnt(0)
	v_mul_f32_e32 v13, v11, v9
	v_mul_f32_e32 v9, v10, v9
	s_waitcnt vmcnt(0)
	v_fma_f32 v10, v10, v12, -v13
	v_fmac_f32_e32 v9, v11, v12
	v_add_f32_e32 v8, v8, v10
	v_add_f32_e32 v3, v3, v9
	s_andn2_b64 exec, exec, s[6:7]
	s_cbranch_execnz .LBB39_45
; %bb.46:
	s_or_b64 exec, exec, s[6:7]
	v_mov_b32_e32 v4, 0
	ds_read_b64 v[4:5], v4 offset:64
	s_waitcnt lgkmcnt(0)
	v_mul_f32_e32 v7, v3, v5
	v_mul_f32_e32 v5, v8, v5
	v_fma_f32 v7, v8, v4, -v7
	v_fmac_f32_e32 v5, v3, v4
	buffer_store_dword v7, off, s[0:3], 0 offset:64
	buffer_store_dword v5, off, s[0:3], 0 offset:68
.LBB39_47:
	s_or_b64 exec, exec, s[4:5]
	s_waitcnt lgkmcnt(0)
	; wave barrier
	buffer_load_dword v4, off, s[0:3], 0 offset:72
	buffer_load_dword v5, off, s[0:3], 0 offset:76
	v_cmp_gt_u32_e32 vcc, 9, v0
	s_waitcnt vmcnt(0)
	ds_write_b64 v1, v[4:5]
	s_waitcnt lgkmcnt(0)
	; wave barrier
	s_waitcnt lgkmcnt(0)
	s_and_saveexec_b64 s[4:5], vcc
	s_cbranch_execz .LBB39_51
; %bb.48:
	v_add_u32_e32 v4, -1, v0
	v_add_u32_e32 v5, 0x140, v6
	v_add_u32_e32 v7, 0, v6
	s_mov_b64 s[6:7], 0
	v_mov_b32_e32 v3, 0
	v_mov_b32_e32 v8, 0
.LBB39_49:                              ; =>This Inner Loop Header: Depth=1
	buffer_load_dword v9, v7, s[0:3], 0 offen offset:4
	buffer_load_dword v12, v7, s[0:3], 0 offen
	ds_read_b64 v[10:11], v5
	v_add_u32_e32 v4, 1, v4
	v_cmp_lt_u32_e32 vcc, 7, v4
	v_add_u32_e32 v5, 8, v5
	v_add_u32_e32 v7, 8, v7
	s_or_b64 s[6:7], vcc, s[6:7]
	s_waitcnt vmcnt(1) lgkmcnt(0)
	v_mul_f32_e32 v13, v11, v9
	v_mul_f32_e32 v9, v10, v9
	s_waitcnt vmcnt(0)
	v_fma_f32 v10, v10, v12, -v13
	v_fmac_f32_e32 v9, v11, v12
	v_add_f32_e32 v8, v8, v10
	v_add_f32_e32 v3, v3, v9
	s_andn2_b64 exec, exec, s[6:7]
	s_cbranch_execnz .LBB39_49
; %bb.50:
	s_or_b64 exec, exec, s[6:7]
	v_mov_b32_e32 v4, 0
	ds_read_b64 v[4:5], v4 offset:72
	s_waitcnt lgkmcnt(0)
	v_mul_f32_e32 v7, v3, v5
	v_mul_f32_e32 v5, v8, v5
	v_fma_f32 v7, v8, v4, -v7
	v_fmac_f32_e32 v5, v3, v4
	buffer_store_dword v7, off, s[0:3], 0 offset:72
	buffer_store_dword v5, off, s[0:3], 0 offset:76
.LBB39_51:
	s_or_b64 exec, exec, s[4:5]
	s_waitcnt lgkmcnt(0)
	; wave barrier
	buffer_load_dword v4, off, s[0:3], 0 offset:80
	buffer_load_dword v5, off, s[0:3], 0 offset:84
	v_cmp_gt_u32_e32 vcc, 10, v0
	s_waitcnt vmcnt(0)
	ds_write_b64 v1, v[4:5]
	s_waitcnt lgkmcnt(0)
	; wave barrier
	s_waitcnt lgkmcnt(0)
	s_and_saveexec_b64 s[4:5], vcc
	s_cbranch_execz .LBB39_55
; %bb.52:
	v_add_u32_e32 v4, -1, v0
	v_add_u32_e32 v5, 0x140, v6
	v_add_u32_e32 v7, 0, v6
	s_mov_b64 s[6:7], 0
	v_mov_b32_e32 v3, 0
	v_mov_b32_e32 v8, 0
.LBB39_53:                              ; =>This Inner Loop Header: Depth=1
	buffer_load_dword v9, v7, s[0:3], 0 offen offset:4
	buffer_load_dword v12, v7, s[0:3], 0 offen
	ds_read_b64 v[10:11], v5
	v_add_u32_e32 v4, 1, v4
	v_cmp_lt_u32_e32 vcc, 8, v4
	v_add_u32_e32 v5, 8, v5
	v_add_u32_e32 v7, 8, v7
	s_or_b64 s[6:7], vcc, s[6:7]
	s_waitcnt vmcnt(1) lgkmcnt(0)
	v_mul_f32_e32 v13, v11, v9
	v_mul_f32_e32 v9, v10, v9
	s_waitcnt vmcnt(0)
	v_fma_f32 v10, v10, v12, -v13
	v_fmac_f32_e32 v9, v11, v12
	v_add_f32_e32 v8, v8, v10
	v_add_f32_e32 v3, v3, v9
	s_andn2_b64 exec, exec, s[6:7]
	s_cbranch_execnz .LBB39_53
; %bb.54:
	s_or_b64 exec, exec, s[6:7]
	v_mov_b32_e32 v4, 0
	ds_read_b64 v[4:5], v4 offset:80
	s_waitcnt lgkmcnt(0)
	v_mul_f32_e32 v7, v3, v5
	v_mul_f32_e32 v5, v8, v5
	v_fma_f32 v7, v8, v4, -v7
	v_fmac_f32_e32 v5, v3, v4
	buffer_store_dword v7, off, s[0:3], 0 offset:80
	buffer_store_dword v5, off, s[0:3], 0 offset:84
.LBB39_55:
	s_or_b64 exec, exec, s[4:5]
	s_waitcnt lgkmcnt(0)
	; wave barrier
	buffer_load_dword v4, off, s[0:3], 0 offset:88
	buffer_load_dword v5, off, s[0:3], 0 offset:92
	v_cmp_gt_u32_e32 vcc, 11, v0
	s_waitcnt vmcnt(0)
	ds_write_b64 v1, v[4:5]
	s_waitcnt lgkmcnt(0)
	; wave barrier
	s_waitcnt lgkmcnt(0)
	s_and_saveexec_b64 s[4:5], vcc
	s_cbranch_execz .LBB39_59
; %bb.56:
	v_add_u32_e32 v4, -1, v0
	v_add_u32_e32 v5, 0x140, v6
	v_add_u32_e32 v7, 0, v6
	s_mov_b64 s[6:7], 0
	v_mov_b32_e32 v3, 0
	v_mov_b32_e32 v8, 0
.LBB39_57:                              ; =>This Inner Loop Header: Depth=1
	buffer_load_dword v9, v7, s[0:3], 0 offen offset:4
	buffer_load_dword v12, v7, s[0:3], 0 offen
	ds_read_b64 v[10:11], v5
	v_add_u32_e32 v4, 1, v4
	v_cmp_lt_u32_e32 vcc, 9, v4
	v_add_u32_e32 v5, 8, v5
	v_add_u32_e32 v7, 8, v7
	s_or_b64 s[6:7], vcc, s[6:7]
	s_waitcnt vmcnt(1) lgkmcnt(0)
	v_mul_f32_e32 v13, v11, v9
	v_mul_f32_e32 v9, v10, v9
	s_waitcnt vmcnt(0)
	v_fma_f32 v10, v10, v12, -v13
	v_fmac_f32_e32 v9, v11, v12
	v_add_f32_e32 v8, v8, v10
	v_add_f32_e32 v3, v3, v9
	s_andn2_b64 exec, exec, s[6:7]
	s_cbranch_execnz .LBB39_57
; %bb.58:
	s_or_b64 exec, exec, s[6:7]
	v_mov_b32_e32 v4, 0
	ds_read_b64 v[4:5], v4 offset:88
	s_waitcnt lgkmcnt(0)
	v_mul_f32_e32 v7, v3, v5
	v_mul_f32_e32 v5, v8, v5
	v_fma_f32 v7, v8, v4, -v7
	v_fmac_f32_e32 v5, v3, v4
	buffer_store_dword v7, off, s[0:3], 0 offset:88
	buffer_store_dword v5, off, s[0:3], 0 offset:92
.LBB39_59:
	s_or_b64 exec, exec, s[4:5]
	s_waitcnt lgkmcnt(0)
	; wave barrier
	buffer_load_dword v4, off, s[0:3], 0 offset:96
	buffer_load_dword v5, off, s[0:3], 0 offset:100
	v_cmp_gt_u32_e32 vcc, 12, v0
	s_waitcnt vmcnt(0)
	ds_write_b64 v1, v[4:5]
	s_waitcnt lgkmcnt(0)
	; wave barrier
	s_waitcnt lgkmcnt(0)
	s_and_saveexec_b64 s[4:5], vcc
	s_cbranch_execz .LBB39_63
; %bb.60:
	v_add_u32_e32 v4, -1, v0
	v_add_u32_e32 v5, 0x140, v6
	v_add_u32_e32 v7, 0, v6
	s_mov_b64 s[6:7], 0
	v_mov_b32_e32 v3, 0
	v_mov_b32_e32 v8, 0
.LBB39_61:                              ; =>This Inner Loop Header: Depth=1
	buffer_load_dword v9, v7, s[0:3], 0 offen offset:4
	buffer_load_dword v12, v7, s[0:3], 0 offen
	ds_read_b64 v[10:11], v5
	v_add_u32_e32 v4, 1, v4
	v_cmp_lt_u32_e32 vcc, 10, v4
	v_add_u32_e32 v5, 8, v5
	v_add_u32_e32 v7, 8, v7
	s_or_b64 s[6:7], vcc, s[6:7]
	s_waitcnt vmcnt(1) lgkmcnt(0)
	v_mul_f32_e32 v13, v11, v9
	v_mul_f32_e32 v9, v10, v9
	s_waitcnt vmcnt(0)
	v_fma_f32 v10, v10, v12, -v13
	v_fmac_f32_e32 v9, v11, v12
	v_add_f32_e32 v8, v8, v10
	v_add_f32_e32 v3, v3, v9
	s_andn2_b64 exec, exec, s[6:7]
	s_cbranch_execnz .LBB39_61
; %bb.62:
	s_or_b64 exec, exec, s[6:7]
	v_mov_b32_e32 v4, 0
	ds_read_b64 v[4:5], v4 offset:96
	s_waitcnt lgkmcnt(0)
	v_mul_f32_e32 v7, v3, v5
	v_mul_f32_e32 v5, v8, v5
	v_fma_f32 v7, v8, v4, -v7
	v_fmac_f32_e32 v5, v3, v4
	buffer_store_dword v7, off, s[0:3], 0 offset:96
	buffer_store_dword v5, off, s[0:3], 0 offset:100
.LBB39_63:
	s_or_b64 exec, exec, s[4:5]
	s_waitcnt lgkmcnt(0)
	; wave barrier
	buffer_load_dword v4, off, s[0:3], 0 offset:104
	buffer_load_dword v5, off, s[0:3], 0 offset:108
	v_cmp_gt_u32_e32 vcc, 13, v0
	s_waitcnt vmcnt(0)
	ds_write_b64 v1, v[4:5]
	s_waitcnt lgkmcnt(0)
	; wave barrier
	s_waitcnt lgkmcnt(0)
	s_and_saveexec_b64 s[4:5], vcc
	s_cbranch_execz .LBB39_67
; %bb.64:
	v_add_u32_e32 v4, -1, v0
	v_add_u32_e32 v5, 0x140, v6
	v_add_u32_e32 v7, 0, v6
	s_mov_b64 s[6:7], 0
	v_mov_b32_e32 v3, 0
	v_mov_b32_e32 v8, 0
.LBB39_65:                              ; =>This Inner Loop Header: Depth=1
	buffer_load_dword v9, v7, s[0:3], 0 offen offset:4
	buffer_load_dword v12, v7, s[0:3], 0 offen
	ds_read_b64 v[10:11], v5
	v_add_u32_e32 v4, 1, v4
	v_cmp_lt_u32_e32 vcc, 11, v4
	v_add_u32_e32 v5, 8, v5
	v_add_u32_e32 v7, 8, v7
	s_or_b64 s[6:7], vcc, s[6:7]
	s_waitcnt vmcnt(1) lgkmcnt(0)
	v_mul_f32_e32 v13, v11, v9
	v_mul_f32_e32 v9, v10, v9
	s_waitcnt vmcnt(0)
	v_fma_f32 v10, v10, v12, -v13
	v_fmac_f32_e32 v9, v11, v12
	v_add_f32_e32 v8, v8, v10
	v_add_f32_e32 v3, v3, v9
	s_andn2_b64 exec, exec, s[6:7]
	s_cbranch_execnz .LBB39_65
; %bb.66:
	s_or_b64 exec, exec, s[6:7]
	v_mov_b32_e32 v4, 0
	ds_read_b64 v[4:5], v4 offset:104
	s_waitcnt lgkmcnt(0)
	v_mul_f32_e32 v7, v3, v5
	v_mul_f32_e32 v5, v8, v5
	v_fma_f32 v7, v8, v4, -v7
	v_fmac_f32_e32 v5, v3, v4
	buffer_store_dword v7, off, s[0:3], 0 offset:104
	buffer_store_dword v5, off, s[0:3], 0 offset:108
.LBB39_67:
	s_or_b64 exec, exec, s[4:5]
	s_waitcnt lgkmcnt(0)
	; wave barrier
	buffer_load_dword v4, off, s[0:3], 0 offset:112
	buffer_load_dword v5, off, s[0:3], 0 offset:116
	v_cmp_gt_u32_e32 vcc, 14, v0
	s_waitcnt vmcnt(0)
	ds_write_b64 v1, v[4:5]
	s_waitcnt lgkmcnt(0)
	; wave barrier
	s_waitcnt lgkmcnt(0)
	s_and_saveexec_b64 s[4:5], vcc
	s_cbranch_execz .LBB39_71
; %bb.68:
	v_add_u32_e32 v4, -1, v0
	v_add_u32_e32 v5, 0x140, v6
	v_add_u32_e32 v7, 0, v6
	s_mov_b64 s[6:7], 0
	v_mov_b32_e32 v3, 0
	v_mov_b32_e32 v8, 0
.LBB39_69:                              ; =>This Inner Loop Header: Depth=1
	buffer_load_dword v9, v7, s[0:3], 0 offen offset:4
	buffer_load_dword v12, v7, s[0:3], 0 offen
	ds_read_b64 v[10:11], v5
	v_add_u32_e32 v4, 1, v4
	v_cmp_lt_u32_e32 vcc, 12, v4
	v_add_u32_e32 v5, 8, v5
	v_add_u32_e32 v7, 8, v7
	s_or_b64 s[6:7], vcc, s[6:7]
	s_waitcnt vmcnt(1) lgkmcnt(0)
	v_mul_f32_e32 v13, v11, v9
	v_mul_f32_e32 v9, v10, v9
	s_waitcnt vmcnt(0)
	v_fma_f32 v10, v10, v12, -v13
	v_fmac_f32_e32 v9, v11, v12
	v_add_f32_e32 v8, v8, v10
	v_add_f32_e32 v3, v3, v9
	s_andn2_b64 exec, exec, s[6:7]
	s_cbranch_execnz .LBB39_69
; %bb.70:
	s_or_b64 exec, exec, s[6:7]
	v_mov_b32_e32 v4, 0
	ds_read_b64 v[4:5], v4 offset:112
	s_waitcnt lgkmcnt(0)
	v_mul_f32_e32 v7, v3, v5
	v_mul_f32_e32 v5, v8, v5
	v_fma_f32 v7, v8, v4, -v7
	v_fmac_f32_e32 v5, v3, v4
	buffer_store_dword v7, off, s[0:3], 0 offset:112
	buffer_store_dword v5, off, s[0:3], 0 offset:116
.LBB39_71:
	s_or_b64 exec, exec, s[4:5]
	s_waitcnt lgkmcnt(0)
	; wave barrier
	buffer_load_dword v4, off, s[0:3], 0 offset:120
	buffer_load_dword v5, off, s[0:3], 0 offset:124
	v_cmp_gt_u32_e32 vcc, 15, v0
	s_waitcnt vmcnt(0)
	ds_write_b64 v1, v[4:5]
	s_waitcnt lgkmcnt(0)
	; wave barrier
	s_waitcnt lgkmcnt(0)
	s_and_saveexec_b64 s[4:5], vcc
	s_cbranch_execz .LBB39_75
; %bb.72:
	v_add_u32_e32 v4, -1, v0
	v_add_u32_e32 v5, 0x140, v6
	v_add_u32_e32 v7, 0, v6
	s_mov_b64 s[6:7], 0
	v_mov_b32_e32 v3, 0
	v_mov_b32_e32 v8, 0
.LBB39_73:                              ; =>This Inner Loop Header: Depth=1
	buffer_load_dword v9, v7, s[0:3], 0 offen offset:4
	buffer_load_dword v12, v7, s[0:3], 0 offen
	ds_read_b64 v[10:11], v5
	v_add_u32_e32 v4, 1, v4
	v_cmp_lt_u32_e32 vcc, 13, v4
	v_add_u32_e32 v5, 8, v5
	v_add_u32_e32 v7, 8, v7
	s_or_b64 s[6:7], vcc, s[6:7]
	s_waitcnt vmcnt(1) lgkmcnt(0)
	v_mul_f32_e32 v13, v11, v9
	v_mul_f32_e32 v9, v10, v9
	s_waitcnt vmcnt(0)
	v_fma_f32 v10, v10, v12, -v13
	v_fmac_f32_e32 v9, v11, v12
	v_add_f32_e32 v8, v8, v10
	v_add_f32_e32 v3, v3, v9
	s_andn2_b64 exec, exec, s[6:7]
	s_cbranch_execnz .LBB39_73
; %bb.74:
	s_or_b64 exec, exec, s[6:7]
	v_mov_b32_e32 v4, 0
	ds_read_b64 v[4:5], v4 offset:120
	s_waitcnt lgkmcnt(0)
	v_mul_f32_e32 v7, v3, v5
	v_mul_f32_e32 v5, v8, v5
	v_fma_f32 v7, v8, v4, -v7
	v_fmac_f32_e32 v5, v3, v4
	buffer_store_dword v7, off, s[0:3], 0 offset:120
	buffer_store_dword v5, off, s[0:3], 0 offset:124
.LBB39_75:
	s_or_b64 exec, exec, s[4:5]
	s_waitcnt lgkmcnt(0)
	; wave barrier
	buffer_load_dword v4, off, s[0:3], 0 offset:128
	buffer_load_dword v5, off, s[0:3], 0 offset:132
	v_cmp_gt_u32_e32 vcc, 16, v0
	s_waitcnt vmcnt(0)
	ds_write_b64 v1, v[4:5]
	s_waitcnt lgkmcnt(0)
	; wave barrier
	s_waitcnt lgkmcnt(0)
	s_and_saveexec_b64 s[4:5], vcc
	s_cbranch_execz .LBB39_79
; %bb.76:
	v_add_u32_e32 v4, -1, v0
	v_add_u32_e32 v5, 0x140, v6
	v_add_u32_e32 v7, 0, v6
	s_mov_b64 s[6:7], 0
	v_mov_b32_e32 v3, 0
	v_mov_b32_e32 v8, 0
.LBB39_77:                              ; =>This Inner Loop Header: Depth=1
	buffer_load_dword v9, v7, s[0:3], 0 offen offset:4
	buffer_load_dword v12, v7, s[0:3], 0 offen
	ds_read_b64 v[10:11], v5
	v_add_u32_e32 v4, 1, v4
	v_cmp_lt_u32_e32 vcc, 14, v4
	v_add_u32_e32 v5, 8, v5
	v_add_u32_e32 v7, 8, v7
	s_or_b64 s[6:7], vcc, s[6:7]
	s_waitcnt vmcnt(1) lgkmcnt(0)
	v_mul_f32_e32 v13, v11, v9
	v_mul_f32_e32 v9, v10, v9
	s_waitcnt vmcnt(0)
	v_fma_f32 v10, v10, v12, -v13
	v_fmac_f32_e32 v9, v11, v12
	v_add_f32_e32 v8, v8, v10
	v_add_f32_e32 v3, v3, v9
	s_andn2_b64 exec, exec, s[6:7]
	s_cbranch_execnz .LBB39_77
; %bb.78:
	s_or_b64 exec, exec, s[6:7]
	v_mov_b32_e32 v4, 0
	ds_read_b64 v[4:5], v4 offset:128
	s_waitcnt lgkmcnt(0)
	v_mul_f32_e32 v7, v3, v5
	v_mul_f32_e32 v5, v8, v5
	v_fma_f32 v7, v8, v4, -v7
	v_fmac_f32_e32 v5, v3, v4
	buffer_store_dword v7, off, s[0:3], 0 offset:128
	buffer_store_dword v5, off, s[0:3], 0 offset:132
.LBB39_79:
	s_or_b64 exec, exec, s[4:5]
	s_waitcnt lgkmcnt(0)
	; wave barrier
	buffer_load_dword v4, off, s[0:3], 0 offset:136
	buffer_load_dword v5, off, s[0:3], 0 offset:140
	v_cmp_gt_u32_e32 vcc, 17, v0
	s_waitcnt vmcnt(0)
	ds_write_b64 v1, v[4:5]
	s_waitcnt lgkmcnt(0)
	; wave barrier
	s_waitcnt lgkmcnt(0)
	s_and_saveexec_b64 s[4:5], vcc
	s_cbranch_execz .LBB39_83
; %bb.80:
	v_add_u32_e32 v4, -1, v0
	v_add_u32_e32 v5, 0x140, v6
	v_add_u32_e32 v7, 0, v6
	s_mov_b64 s[6:7], 0
	v_mov_b32_e32 v3, 0
	v_mov_b32_e32 v8, 0
.LBB39_81:                              ; =>This Inner Loop Header: Depth=1
	buffer_load_dword v9, v7, s[0:3], 0 offen offset:4
	buffer_load_dword v12, v7, s[0:3], 0 offen
	ds_read_b64 v[10:11], v5
	v_add_u32_e32 v4, 1, v4
	v_cmp_lt_u32_e32 vcc, 15, v4
	v_add_u32_e32 v5, 8, v5
	v_add_u32_e32 v7, 8, v7
	s_or_b64 s[6:7], vcc, s[6:7]
	s_waitcnt vmcnt(1) lgkmcnt(0)
	v_mul_f32_e32 v13, v11, v9
	v_mul_f32_e32 v9, v10, v9
	s_waitcnt vmcnt(0)
	v_fma_f32 v10, v10, v12, -v13
	v_fmac_f32_e32 v9, v11, v12
	v_add_f32_e32 v8, v8, v10
	v_add_f32_e32 v3, v3, v9
	s_andn2_b64 exec, exec, s[6:7]
	s_cbranch_execnz .LBB39_81
; %bb.82:
	s_or_b64 exec, exec, s[6:7]
	v_mov_b32_e32 v4, 0
	ds_read_b64 v[4:5], v4 offset:136
	s_waitcnt lgkmcnt(0)
	v_mul_f32_e32 v7, v3, v5
	v_mul_f32_e32 v5, v8, v5
	v_fma_f32 v7, v8, v4, -v7
	v_fmac_f32_e32 v5, v3, v4
	buffer_store_dword v7, off, s[0:3], 0 offset:136
	buffer_store_dword v5, off, s[0:3], 0 offset:140
.LBB39_83:
	s_or_b64 exec, exec, s[4:5]
	s_waitcnt lgkmcnt(0)
	; wave barrier
	buffer_load_dword v4, off, s[0:3], 0 offset:144
	buffer_load_dword v5, off, s[0:3], 0 offset:148
	v_cmp_gt_u32_e32 vcc, 18, v0
	s_waitcnt vmcnt(0)
	ds_write_b64 v1, v[4:5]
	s_waitcnt lgkmcnt(0)
	; wave barrier
	s_waitcnt lgkmcnt(0)
	s_and_saveexec_b64 s[4:5], vcc
	s_cbranch_execz .LBB39_87
; %bb.84:
	v_add_u32_e32 v4, -1, v0
	v_add_u32_e32 v5, 0x140, v6
	v_add_u32_e32 v7, 0, v6
	s_mov_b64 s[6:7], 0
	v_mov_b32_e32 v3, 0
	v_mov_b32_e32 v8, 0
.LBB39_85:                              ; =>This Inner Loop Header: Depth=1
	buffer_load_dword v9, v7, s[0:3], 0 offen offset:4
	buffer_load_dword v12, v7, s[0:3], 0 offen
	ds_read_b64 v[10:11], v5
	v_add_u32_e32 v4, 1, v4
	v_cmp_lt_u32_e32 vcc, 16, v4
	v_add_u32_e32 v5, 8, v5
	v_add_u32_e32 v7, 8, v7
	s_or_b64 s[6:7], vcc, s[6:7]
	s_waitcnt vmcnt(1) lgkmcnt(0)
	v_mul_f32_e32 v13, v11, v9
	v_mul_f32_e32 v9, v10, v9
	s_waitcnt vmcnt(0)
	v_fma_f32 v10, v10, v12, -v13
	v_fmac_f32_e32 v9, v11, v12
	v_add_f32_e32 v8, v8, v10
	v_add_f32_e32 v3, v3, v9
	s_andn2_b64 exec, exec, s[6:7]
	s_cbranch_execnz .LBB39_85
; %bb.86:
	s_or_b64 exec, exec, s[6:7]
	v_mov_b32_e32 v4, 0
	ds_read_b64 v[4:5], v4 offset:144
	s_waitcnt lgkmcnt(0)
	v_mul_f32_e32 v7, v3, v5
	v_mul_f32_e32 v5, v8, v5
	v_fma_f32 v7, v8, v4, -v7
	v_fmac_f32_e32 v5, v3, v4
	buffer_store_dword v7, off, s[0:3], 0 offset:144
	buffer_store_dword v5, off, s[0:3], 0 offset:148
.LBB39_87:
	s_or_b64 exec, exec, s[4:5]
	s_waitcnt lgkmcnt(0)
	; wave barrier
	buffer_load_dword v4, off, s[0:3], 0 offset:152
	buffer_load_dword v5, off, s[0:3], 0 offset:156
	v_cmp_gt_u32_e32 vcc, 19, v0
	s_waitcnt vmcnt(0)
	ds_write_b64 v1, v[4:5]
	s_waitcnt lgkmcnt(0)
	; wave barrier
	s_waitcnt lgkmcnt(0)
	s_and_saveexec_b64 s[4:5], vcc
	s_cbranch_execz .LBB39_91
; %bb.88:
	v_add_u32_e32 v4, -1, v0
	v_add_u32_e32 v5, 0x140, v6
	v_add_u32_e32 v7, 0, v6
	s_mov_b64 s[6:7], 0
	v_mov_b32_e32 v3, 0
	v_mov_b32_e32 v8, 0
.LBB39_89:                              ; =>This Inner Loop Header: Depth=1
	buffer_load_dword v9, v7, s[0:3], 0 offen offset:4
	buffer_load_dword v12, v7, s[0:3], 0 offen
	ds_read_b64 v[10:11], v5
	v_add_u32_e32 v4, 1, v4
	v_cmp_lt_u32_e32 vcc, 17, v4
	v_add_u32_e32 v5, 8, v5
	v_add_u32_e32 v7, 8, v7
	s_or_b64 s[6:7], vcc, s[6:7]
	s_waitcnt vmcnt(1) lgkmcnt(0)
	v_mul_f32_e32 v13, v11, v9
	v_mul_f32_e32 v9, v10, v9
	s_waitcnt vmcnt(0)
	v_fma_f32 v10, v10, v12, -v13
	v_fmac_f32_e32 v9, v11, v12
	v_add_f32_e32 v8, v8, v10
	v_add_f32_e32 v3, v3, v9
	s_andn2_b64 exec, exec, s[6:7]
	s_cbranch_execnz .LBB39_89
; %bb.90:
	s_or_b64 exec, exec, s[6:7]
	v_mov_b32_e32 v4, 0
	ds_read_b64 v[4:5], v4 offset:152
	s_waitcnt lgkmcnt(0)
	v_mul_f32_e32 v7, v3, v5
	v_mul_f32_e32 v5, v8, v5
	v_fma_f32 v7, v8, v4, -v7
	v_fmac_f32_e32 v5, v3, v4
	buffer_store_dword v7, off, s[0:3], 0 offset:152
	buffer_store_dword v5, off, s[0:3], 0 offset:156
.LBB39_91:
	s_or_b64 exec, exec, s[4:5]
	s_waitcnt lgkmcnt(0)
	; wave barrier
	buffer_load_dword v4, off, s[0:3], 0 offset:160
	buffer_load_dword v5, off, s[0:3], 0 offset:164
	v_cmp_gt_u32_e32 vcc, 20, v0
	s_waitcnt vmcnt(0)
	ds_write_b64 v1, v[4:5]
	s_waitcnt lgkmcnt(0)
	; wave barrier
	s_waitcnt lgkmcnt(0)
	s_and_saveexec_b64 s[4:5], vcc
	s_cbranch_execz .LBB39_95
; %bb.92:
	v_add_u32_e32 v4, -1, v0
	v_add_u32_e32 v5, 0x140, v6
	v_add_u32_e32 v7, 0, v6
	s_mov_b64 s[6:7], 0
	v_mov_b32_e32 v3, 0
	v_mov_b32_e32 v8, 0
.LBB39_93:                              ; =>This Inner Loop Header: Depth=1
	buffer_load_dword v9, v7, s[0:3], 0 offen offset:4
	buffer_load_dword v12, v7, s[0:3], 0 offen
	ds_read_b64 v[10:11], v5
	v_add_u32_e32 v4, 1, v4
	v_cmp_lt_u32_e32 vcc, 18, v4
	v_add_u32_e32 v5, 8, v5
	v_add_u32_e32 v7, 8, v7
	s_or_b64 s[6:7], vcc, s[6:7]
	s_waitcnt vmcnt(1) lgkmcnt(0)
	v_mul_f32_e32 v13, v11, v9
	v_mul_f32_e32 v9, v10, v9
	s_waitcnt vmcnt(0)
	v_fma_f32 v10, v10, v12, -v13
	v_fmac_f32_e32 v9, v11, v12
	v_add_f32_e32 v8, v8, v10
	v_add_f32_e32 v3, v3, v9
	s_andn2_b64 exec, exec, s[6:7]
	s_cbranch_execnz .LBB39_93
; %bb.94:
	s_or_b64 exec, exec, s[6:7]
	v_mov_b32_e32 v4, 0
	ds_read_b64 v[4:5], v4 offset:160
	s_waitcnt lgkmcnt(0)
	v_mul_f32_e32 v7, v3, v5
	v_mul_f32_e32 v5, v8, v5
	v_fma_f32 v7, v8, v4, -v7
	v_fmac_f32_e32 v5, v3, v4
	buffer_store_dword v7, off, s[0:3], 0 offset:160
	buffer_store_dword v5, off, s[0:3], 0 offset:164
.LBB39_95:
	s_or_b64 exec, exec, s[4:5]
	s_waitcnt lgkmcnt(0)
	; wave barrier
	buffer_load_dword v4, off, s[0:3], 0 offset:168
	buffer_load_dword v5, off, s[0:3], 0 offset:172
	v_cmp_gt_u32_e32 vcc, 21, v0
	s_waitcnt vmcnt(0)
	ds_write_b64 v1, v[4:5]
	s_waitcnt lgkmcnt(0)
	; wave barrier
	s_waitcnt lgkmcnt(0)
	s_and_saveexec_b64 s[4:5], vcc
	s_cbranch_execz .LBB39_99
; %bb.96:
	v_add_u32_e32 v4, -1, v0
	v_add_u32_e32 v5, 0x140, v6
	v_add_u32_e32 v7, 0, v6
	s_mov_b64 s[6:7], 0
	v_mov_b32_e32 v3, 0
	v_mov_b32_e32 v8, 0
.LBB39_97:                              ; =>This Inner Loop Header: Depth=1
	buffer_load_dword v9, v7, s[0:3], 0 offen offset:4
	buffer_load_dword v12, v7, s[0:3], 0 offen
	ds_read_b64 v[10:11], v5
	v_add_u32_e32 v4, 1, v4
	v_cmp_lt_u32_e32 vcc, 19, v4
	v_add_u32_e32 v5, 8, v5
	v_add_u32_e32 v7, 8, v7
	s_or_b64 s[6:7], vcc, s[6:7]
	s_waitcnt vmcnt(1) lgkmcnt(0)
	v_mul_f32_e32 v13, v11, v9
	v_mul_f32_e32 v9, v10, v9
	s_waitcnt vmcnt(0)
	v_fma_f32 v10, v10, v12, -v13
	v_fmac_f32_e32 v9, v11, v12
	v_add_f32_e32 v8, v8, v10
	v_add_f32_e32 v3, v3, v9
	s_andn2_b64 exec, exec, s[6:7]
	s_cbranch_execnz .LBB39_97
; %bb.98:
	s_or_b64 exec, exec, s[6:7]
	v_mov_b32_e32 v4, 0
	ds_read_b64 v[4:5], v4 offset:168
	s_waitcnt lgkmcnt(0)
	v_mul_f32_e32 v7, v3, v5
	v_mul_f32_e32 v5, v8, v5
	v_fma_f32 v7, v8, v4, -v7
	v_fmac_f32_e32 v5, v3, v4
	buffer_store_dword v7, off, s[0:3], 0 offset:168
	buffer_store_dword v5, off, s[0:3], 0 offset:172
.LBB39_99:
	s_or_b64 exec, exec, s[4:5]
	s_waitcnt lgkmcnt(0)
	; wave barrier
	buffer_load_dword v4, off, s[0:3], 0 offset:176
	buffer_load_dword v5, off, s[0:3], 0 offset:180
	v_cmp_gt_u32_e32 vcc, 22, v0
	s_waitcnt vmcnt(0)
	ds_write_b64 v1, v[4:5]
	s_waitcnt lgkmcnt(0)
	; wave barrier
	s_waitcnt lgkmcnt(0)
	s_and_saveexec_b64 s[4:5], vcc
	s_cbranch_execz .LBB39_103
; %bb.100:
	v_add_u32_e32 v4, -1, v0
	v_add_u32_e32 v5, 0x140, v6
	v_add_u32_e32 v7, 0, v6
	s_mov_b64 s[6:7], 0
	v_mov_b32_e32 v3, 0
	v_mov_b32_e32 v8, 0
.LBB39_101:                             ; =>This Inner Loop Header: Depth=1
	buffer_load_dword v9, v7, s[0:3], 0 offen offset:4
	buffer_load_dword v12, v7, s[0:3], 0 offen
	ds_read_b64 v[10:11], v5
	v_add_u32_e32 v4, 1, v4
	v_cmp_lt_u32_e32 vcc, 20, v4
	v_add_u32_e32 v5, 8, v5
	v_add_u32_e32 v7, 8, v7
	s_or_b64 s[6:7], vcc, s[6:7]
	s_waitcnt vmcnt(1) lgkmcnt(0)
	v_mul_f32_e32 v13, v11, v9
	v_mul_f32_e32 v9, v10, v9
	s_waitcnt vmcnt(0)
	v_fma_f32 v10, v10, v12, -v13
	v_fmac_f32_e32 v9, v11, v12
	v_add_f32_e32 v8, v8, v10
	v_add_f32_e32 v3, v3, v9
	s_andn2_b64 exec, exec, s[6:7]
	s_cbranch_execnz .LBB39_101
; %bb.102:
	s_or_b64 exec, exec, s[6:7]
	v_mov_b32_e32 v4, 0
	ds_read_b64 v[4:5], v4 offset:176
	s_waitcnt lgkmcnt(0)
	v_mul_f32_e32 v7, v3, v5
	v_mul_f32_e32 v5, v8, v5
	v_fma_f32 v7, v8, v4, -v7
	v_fmac_f32_e32 v5, v3, v4
	buffer_store_dword v7, off, s[0:3], 0 offset:176
	buffer_store_dword v5, off, s[0:3], 0 offset:180
.LBB39_103:
	s_or_b64 exec, exec, s[4:5]
	s_waitcnt lgkmcnt(0)
	; wave barrier
	buffer_load_dword v4, off, s[0:3], 0 offset:184
	buffer_load_dword v5, off, s[0:3], 0 offset:188
	v_cmp_gt_u32_e32 vcc, 23, v0
	s_waitcnt vmcnt(0)
	ds_write_b64 v1, v[4:5]
	s_waitcnt lgkmcnt(0)
	; wave barrier
	s_waitcnt lgkmcnt(0)
	s_and_saveexec_b64 s[4:5], vcc
	s_cbranch_execz .LBB39_107
; %bb.104:
	v_add_u32_e32 v4, -1, v0
	v_add_u32_e32 v5, 0x140, v6
	v_add_u32_e32 v7, 0, v6
	s_mov_b64 s[6:7], 0
	v_mov_b32_e32 v3, 0
	v_mov_b32_e32 v8, 0
.LBB39_105:                             ; =>This Inner Loop Header: Depth=1
	buffer_load_dword v9, v7, s[0:3], 0 offen offset:4
	buffer_load_dword v12, v7, s[0:3], 0 offen
	ds_read_b64 v[10:11], v5
	v_add_u32_e32 v4, 1, v4
	v_cmp_lt_u32_e32 vcc, 21, v4
	v_add_u32_e32 v5, 8, v5
	v_add_u32_e32 v7, 8, v7
	s_or_b64 s[6:7], vcc, s[6:7]
	s_waitcnt vmcnt(1) lgkmcnt(0)
	v_mul_f32_e32 v13, v11, v9
	v_mul_f32_e32 v9, v10, v9
	s_waitcnt vmcnt(0)
	v_fma_f32 v10, v10, v12, -v13
	v_fmac_f32_e32 v9, v11, v12
	v_add_f32_e32 v8, v8, v10
	v_add_f32_e32 v3, v3, v9
	s_andn2_b64 exec, exec, s[6:7]
	s_cbranch_execnz .LBB39_105
; %bb.106:
	s_or_b64 exec, exec, s[6:7]
	v_mov_b32_e32 v4, 0
	ds_read_b64 v[4:5], v4 offset:184
	s_waitcnt lgkmcnt(0)
	v_mul_f32_e32 v7, v3, v5
	v_mul_f32_e32 v5, v8, v5
	v_fma_f32 v7, v8, v4, -v7
	v_fmac_f32_e32 v5, v3, v4
	buffer_store_dword v7, off, s[0:3], 0 offset:184
	buffer_store_dword v5, off, s[0:3], 0 offset:188
.LBB39_107:
	s_or_b64 exec, exec, s[4:5]
	s_waitcnt lgkmcnt(0)
	; wave barrier
	buffer_load_dword v4, off, s[0:3], 0 offset:192
	buffer_load_dword v5, off, s[0:3], 0 offset:196
	v_cmp_gt_u32_e32 vcc, 24, v0
	s_waitcnt vmcnt(0)
	ds_write_b64 v1, v[4:5]
	s_waitcnt lgkmcnt(0)
	; wave barrier
	s_waitcnt lgkmcnt(0)
	s_and_saveexec_b64 s[4:5], vcc
	s_cbranch_execz .LBB39_111
; %bb.108:
	v_add_u32_e32 v4, -1, v0
	v_add_u32_e32 v5, 0x140, v6
	v_add_u32_e32 v7, 0, v6
	s_mov_b64 s[6:7], 0
	v_mov_b32_e32 v3, 0
	v_mov_b32_e32 v8, 0
.LBB39_109:                             ; =>This Inner Loop Header: Depth=1
	buffer_load_dword v9, v7, s[0:3], 0 offen offset:4
	buffer_load_dword v12, v7, s[0:3], 0 offen
	ds_read_b64 v[10:11], v5
	v_add_u32_e32 v4, 1, v4
	v_cmp_lt_u32_e32 vcc, 22, v4
	v_add_u32_e32 v5, 8, v5
	v_add_u32_e32 v7, 8, v7
	s_or_b64 s[6:7], vcc, s[6:7]
	s_waitcnt vmcnt(1) lgkmcnt(0)
	v_mul_f32_e32 v13, v11, v9
	v_mul_f32_e32 v9, v10, v9
	s_waitcnt vmcnt(0)
	v_fma_f32 v10, v10, v12, -v13
	v_fmac_f32_e32 v9, v11, v12
	v_add_f32_e32 v8, v8, v10
	v_add_f32_e32 v3, v3, v9
	s_andn2_b64 exec, exec, s[6:7]
	s_cbranch_execnz .LBB39_109
; %bb.110:
	s_or_b64 exec, exec, s[6:7]
	v_mov_b32_e32 v4, 0
	ds_read_b64 v[4:5], v4 offset:192
	s_waitcnt lgkmcnt(0)
	v_mul_f32_e32 v7, v3, v5
	v_mul_f32_e32 v5, v8, v5
	v_fma_f32 v7, v8, v4, -v7
	v_fmac_f32_e32 v5, v3, v4
	buffer_store_dword v7, off, s[0:3], 0 offset:192
	buffer_store_dword v5, off, s[0:3], 0 offset:196
.LBB39_111:
	s_or_b64 exec, exec, s[4:5]
	s_waitcnt lgkmcnt(0)
	; wave barrier
	buffer_load_dword v4, off, s[0:3], 0 offset:200
	buffer_load_dword v5, off, s[0:3], 0 offset:204
	v_cmp_gt_u32_e32 vcc, 25, v0
	s_waitcnt vmcnt(0)
	ds_write_b64 v1, v[4:5]
	s_waitcnt lgkmcnt(0)
	; wave barrier
	s_waitcnt lgkmcnt(0)
	s_and_saveexec_b64 s[4:5], vcc
	s_cbranch_execz .LBB39_115
; %bb.112:
	v_add_u32_e32 v4, -1, v0
	v_add_u32_e32 v5, 0x140, v6
	v_add_u32_e32 v7, 0, v6
	s_mov_b64 s[6:7], 0
	v_mov_b32_e32 v3, 0
	v_mov_b32_e32 v8, 0
.LBB39_113:                             ; =>This Inner Loop Header: Depth=1
	buffer_load_dword v9, v7, s[0:3], 0 offen offset:4
	buffer_load_dword v12, v7, s[0:3], 0 offen
	ds_read_b64 v[10:11], v5
	v_add_u32_e32 v4, 1, v4
	v_cmp_lt_u32_e32 vcc, 23, v4
	v_add_u32_e32 v5, 8, v5
	v_add_u32_e32 v7, 8, v7
	s_or_b64 s[6:7], vcc, s[6:7]
	s_waitcnt vmcnt(1) lgkmcnt(0)
	v_mul_f32_e32 v13, v11, v9
	v_mul_f32_e32 v9, v10, v9
	s_waitcnt vmcnt(0)
	v_fma_f32 v10, v10, v12, -v13
	v_fmac_f32_e32 v9, v11, v12
	v_add_f32_e32 v8, v8, v10
	v_add_f32_e32 v3, v3, v9
	s_andn2_b64 exec, exec, s[6:7]
	s_cbranch_execnz .LBB39_113
; %bb.114:
	s_or_b64 exec, exec, s[6:7]
	v_mov_b32_e32 v4, 0
	ds_read_b64 v[4:5], v4 offset:200
	s_waitcnt lgkmcnt(0)
	v_mul_f32_e32 v7, v3, v5
	v_mul_f32_e32 v5, v8, v5
	v_fma_f32 v7, v8, v4, -v7
	v_fmac_f32_e32 v5, v3, v4
	buffer_store_dword v7, off, s[0:3], 0 offset:200
	buffer_store_dword v5, off, s[0:3], 0 offset:204
.LBB39_115:
	s_or_b64 exec, exec, s[4:5]
	s_waitcnt lgkmcnt(0)
	; wave barrier
	buffer_load_dword v4, off, s[0:3], 0 offset:208
	buffer_load_dword v5, off, s[0:3], 0 offset:212
	v_cmp_gt_u32_e32 vcc, 26, v0
	s_waitcnt vmcnt(0)
	ds_write_b64 v1, v[4:5]
	s_waitcnt lgkmcnt(0)
	; wave barrier
	s_waitcnt lgkmcnt(0)
	s_and_saveexec_b64 s[4:5], vcc
	s_cbranch_execz .LBB39_119
; %bb.116:
	v_add_u32_e32 v4, -1, v0
	v_add_u32_e32 v5, 0x140, v6
	v_add_u32_e32 v7, 0, v6
	s_mov_b64 s[6:7], 0
	v_mov_b32_e32 v3, 0
	v_mov_b32_e32 v8, 0
.LBB39_117:                             ; =>This Inner Loop Header: Depth=1
	buffer_load_dword v9, v7, s[0:3], 0 offen offset:4
	buffer_load_dword v12, v7, s[0:3], 0 offen
	ds_read_b64 v[10:11], v5
	v_add_u32_e32 v4, 1, v4
	v_cmp_lt_u32_e32 vcc, 24, v4
	v_add_u32_e32 v5, 8, v5
	v_add_u32_e32 v7, 8, v7
	s_or_b64 s[6:7], vcc, s[6:7]
	s_waitcnt vmcnt(1) lgkmcnt(0)
	v_mul_f32_e32 v13, v11, v9
	v_mul_f32_e32 v9, v10, v9
	s_waitcnt vmcnt(0)
	v_fma_f32 v10, v10, v12, -v13
	v_fmac_f32_e32 v9, v11, v12
	v_add_f32_e32 v8, v8, v10
	v_add_f32_e32 v3, v3, v9
	s_andn2_b64 exec, exec, s[6:7]
	s_cbranch_execnz .LBB39_117
; %bb.118:
	s_or_b64 exec, exec, s[6:7]
	v_mov_b32_e32 v4, 0
	ds_read_b64 v[4:5], v4 offset:208
	s_waitcnt lgkmcnt(0)
	v_mul_f32_e32 v7, v3, v5
	v_mul_f32_e32 v5, v8, v5
	v_fma_f32 v7, v8, v4, -v7
	v_fmac_f32_e32 v5, v3, v4
	buffer_store_dword v7, off, s[0:3], 0 offset:208
	buffer_store_dword v5, off, s[0:3], 0 offset:212
.LBB39_119:
	s_or_b64 exec, exec, s[4:5]
	s_waitcnt lgkmcnt(0)
	; wave barrier
	buffer_load_dword v4, off, s[0:3], 0 offset:216
	buffer_load_dword v5, off, s[0:3], 0 offset:220
	v_cmp_gt_u32_e32 vcc, 27, v0
	s_waitcnt vmcnt(0)
	ds_write_b64 v1, v[4:5]
	s_waitcnt lgkmcnt(0)
	; wave barrier
	s_waitcnt lgkmcnt(0)
	s_and_saveexec_b64 s[4:5], vcc
	s_cbranch_execz .LBB39_123
; %bb.120:
	v_add_u32_e32 v4, -1, v0
	v_add_u32_e32 v5, 0x140, v6
	v_add_u32_e32 v7, 0, v6
	s_mov_b64 s[6:7], 0
	v_mov_b32_e32 v3, 0
	v_mov_b32_e32 v8, 0
.LBB39_121:                             ; =>This Inner Loop Header: Depth=1
	buffer_load_dword v9, v7, s[0:3], 0 offen offset:4
	buffer_load_dword v12, v7, s[0:3], 0 offen
	ds_read_b64 v[10:11], v5
	v_add_u32_e32 v4, 1, v4
	v_cmp_lt_u32_e32 vcc, 25, v4
	v_add_u32_e32 v5, 8, v5
	v_add_u32_e32 v7, 8, v7
	s_or_b64 s[6:7], vcc, s[6:7]
	s_waitcnt vmcnt(1) lgkmcnt(0)
	v_mul_f32_e32 v13, v11, v9
	v_mul_f32_e32 v9, v10, v9
	s_waitcnt vmcnt(0)
	v_fma_f32 v10, v10, v12, -v13
	v_fmac_f32_e32 v9, v11, v12
	v_add_f32_e32 v8, v8, v10
	v_add_f32_e32 v3, v3, v9
	s_andn2_b64 exec, exec, s[6:7]
	s_cbranch_execnz .LBB39_121
; %bb.122:
	s_or_b64 exec, exec, s[6:7]
	v_mov_b32_e32 v4, 0
	ds_read_b64 v[4:5], v4 offset:216
	s_waitcnt lgkmcnt(0)
	v_mul_f32_e32 v7, v3, v5
	v_mul_f32_e32 v5, v8, v5
	v_fma_f32 v7, v8, v4, -v7
	v_fmac_f32_e32 v5, v3, v4
	buffer_store_dword v7, off, s[0:3], 0 offset:216
	buffer_store_dword v5, off, s[0:3], 0 offset:220
.LBB39_123:
	s_or_b64 exec, exec, s[4:5]
	s_waitcnt lgkmcnt(0)
	; wave barrier
	buffer_load_dword v4, off, s[0:3], 0 offset:224
	buffer_load_dword v5, off, s[0:3], 0 offset:228
	v_cmp_gt_u32_e32 vcc, 28, v0
	s_waitcnt vmcnt(0)
	ds_write_b64 v1, v[4:5]
	s_waitcnt lgkmcnt(0)
	; wave barrier
	s_waitcnt lgkmcnt(0)
	s_and_saveexec_b64 s[4:5], vcc
	s_cbranch_execz .LBB39_127
; %bb.124:
	v_add_u32_e32 v4, -1, v0
	v_add_u32_e32 v5, 0x140, v6
	v_add_u32_e32 v7, 0, v6
	s_mov_b64 s[6:7], 0
	v_mov_b32_e32 v3, 0
	v_mov_b32_e32 v8, 0
.LBB39_125:                             ; =>This Inner Loop Header: Depth=1
	buffer_load_dword v9, v7, s[0:3], 0 offen offset:4
	buffer_load_dword v12, v7, s[0:3], 0 offen
	ds_read_b64 v[10:11], v5
	v_add_u32_e32 v4, 1, v4
	v_cmp_lt_u32_e32 vcc, 26, v4
	v_add_u32_e32 v5, 8, v5
	v_add_u32_e32 v7, 8, v7
	s_or_b64 s[6:7], vcc, s[6:7]
	s_waitcnt vmcnt(1) lgkmcnt(0)
	v_mul_f32_e32 v13, v11, v9
	v_mul_f32_e32 v9, v10, v9
	s_waitcnt vmcnt(0)
	v_fma_f32 v10, v10, v12, -v13
	v_fmac_f32_e32 v9, v11, v12
	v_add_f32_e32 v8, v8, v10
	v_add_f32_e32 v3, v3, v9
	s_andn2_b64 exec, exec, s[6:7]
	s_cbranch_execnz .LBB39_125
; %bb.126:
	s_or_b64 exec, exec, s[6:7]
	v_mov_b32_e32 v4, 0
	ds_read_b64 v[4:5], v4 offset:224
	s_waitcnt lgkmcnt(0)
	v_mul_f32_e32 v7, v3, v5
	v_mul_f32_e32 v5, v8, v5
	v_fma_f32 v7, v8, v4, -v7
	v_fmac_f32_e32 v5, v3, v4
	buffer_store_dword v7, off, s[0:3], 0 offset:224
	buffer_store_dword v5, off, s[0:3], 0 offset:228
.LBB39_127:
	s_or_b64 exec, exec, s[4:5]
	s_waitcnt lgkmcnt(0)
	; wave barrier
	buffer_load_dword v4, off, s[0:3], 0 offset:232
	buffer_load_dword v5, off, s[0:3], 0 offset:236
	v_cmp_gt_u32_e32 vcc, 29, v0
	s_waitcnt vmcnt(0)
	ds_write_b64 v1, v[4:5]
	s_waitcnt lgkmcnt(0)
	; wave barrier
	s_waitcnt lgkmcnt(0)
	s_and_saveexec_b64 s[4:5], vcc
	s_cbranch_execz .LBB39_131
; %bb.128:
	v_add_u32_e32 v4, -1, v0
	v_add_u32_e32 v5, 0x140, v6
	v_add_u32_e32 v7, 0, v6
	s_mov_b64 s[6:7], 0
	v_mov_b32_e32 v3, 0
	v_mov_b32_e32 v8, 0
.LBB39_129:                             ; =>This Inner Loop Header: Depth=1
	buffer_load_dword v9, v7, s[0:3], 0 offen offset:4
	buffer_load_dword v12, v7, s[0:3], 0 offen
	ds_read_b64 v[10:11], v5
	v_add_u32_e32 v4, 1, v4
	v_cmp_lt_u32_e32 vcc, 27, v4
	v_add_u32_e32 v5, 8, v5
	v_add_u32_e32 v7, 8, v7
	s_or_b64 s[6:7], vcc, s[6:7]
	s_waitcnt vmcnt(1) lgkmcnt(0)
	v_mul_f32_e32 v13, v11, v9
	v_mul_f32_e32 v9, v10, v9
	s_waitcnt vmcnt(0)
	v_fma_f32 v10, v10, v12, -v13
	v_fmac_f32_e32 v9, v11, v12
	v_add_f32_e32 v8, v8, v10
	v_add_f32_e32 v3, v3, v9
	s_andn2_b64 exec, exec, s[6:7]
	s_cbranch_execnz .LBB39_129
; %bb.130:
	s_or_b64 exec, exec, s[6:7]
	v_mov_b32_e32 v4, 0
	ds_read_b64 v[4:5], v4 offset:232
	s_waitcnt lgkmcnt(0)
	v_mul_f32_e32 v7, v3, v5
	v_mul_f32_e32 v5, v8, v5
	v_fma_f32 v7, v8, v4, -v7
	v_fmac_f32_e32 v5, v3, v4
	buffer_store_dword v7, off, s[0:3], 0 offset:232
	buffer_store_dword v5, off, s[0:3], 0 offset:236
.LBB39_131:
	s_or_b64 exec, exec, s[4:5]
	s_waitcnt lgkmcnt(0)
	; wave barrier
	buffer_load_dword v4, off, s[0:3], 0 offset:240
	buffer_load_dword v5, off, s[0:3], 0 offset:244
	v_cmp_gt_u32_e32 vcc, 30, v0
	s_waitcnt vmcnt(0)
	ds_write_b64 v1, v[4:5]
	s_waitcnt lgkmcnt(0)
	; wave barrier
	s_waitcnt lgkmcnt(0)
	s_and_saveexec_b64 s[4:5], vcc
	s_cbranch_execz .LBB39_135
; %bb.132:
	v_add_u32_e32 v4, -1, v0
	v_add_u32_e32 v5, 0x140, v6
	v_add_u32_e32 v7, 0, v6
	s_mov_b64 s[6:7], 0
	v_mov_b32_e32 v3, 0
	v_mov_b32_e32 v8, 0
.LBB39_133:                             ; =>This Inner Loop Header: Depth=1
	buffer_load_dword v9, v7, s[0:3], 0 offen offset:4
	buffer_load_dword v12, v7, s[0:3], 0 offen
	ds_read_b64 v[10:11], v5
	v_add_u32_e32 v4, 1, v4
	v_cmp_lt_u32_e32 vcc, 28, v4
	v_add_u32_e32 v5, 8, v5
	v_add_u32_e32 v7, 8, v7
	s_or_b64 s[6:7], vcc, s[6:7]
	s_waitcnt vmcnt(1) lgkmcnt(0)
	v_mul_f32_e32 v13, v11, v9
	v_mul_f32_e32 v9, v10, v9
	s_waitcnt vmcnt(0)
	v_fma_f32 v10, v10, v12, -v13
	v_fmac_f32_e32 v9, v11, v12
	v_add_f32_e32 v8, v8, v10
	v_add_f32_e32 v3, v3, v9
	s_andn2_b64 exec, exec, s[6:7]
	s_cbranch_execnz .LBB39_133
; %bb.134:
	s_or_b64 exec, exec, s[6:7]
	v_mov_b32_e32 v4, 0
	ds_read_b64 v[4:5], v4 offset:240
	s_waitcnt lgkmcnt(0)
	v_mul_f32_e32 v7, v3, v5
	v_mul_f32_e32 v5, v8, v5
	v_fma_f32 v7, v8, v4, -v7
	v_fmac_f32_e32 v5, v3, v4
	buffer_store_dword v7, off, s[0:3], 0 offset:240
	buffer_store_dword v5, off, s[0:3], 0 offset:244
.LBB39_135:
	s_or_b64 exec, exec, s[4:5]
	s_waitcnt lgkmcnt(0)
	; wave barrier
	buffer_load_dword v4, off, s[0:3], 0 offset:248
	buffer_load_dword v5, off, s[0:3], 0 offset:252
	v_cmp_gt_u32_e32 vcc, 31, v0
	s_waitcnt vmcnt(0)
	ds_write_b64 v1, v[4:5]
	s_waitcnt lgkmcnt(0)
	; wave barrier
	s_waitcnt lgkmcnt(0)
	s_and_saveexec_b64 s[4:5], vcc
	s_cbranch_execz .LBB39_139
; %bb.136:
	v_add_u32_e32 v4, -1, v0
	v_add_u32_e32 v5, 0x140, v6
	v_add_u32_e32 v7, 0, v6
	s_mov_b64 s[6:7], 0
	v_mov_b32_e32 v3, 0
	v_mov_b32_e32 v8, 0
.LBB39_137:                             ; =>This Inner Loop Header: Depth=1
	buffer_load_dword v9, v7, s[0:3], 0 offen offset:4
	buffer_load_dword v12, v7, s[0:3], 0 offen
	ds_read_b64 v[10:11], v5
	v_add_u32_e32 v4, 1, v4
	v_cmp_lt_u32_e32 vcc, 29, v4
	v_add_u32_e32 v5, 8, v5
	v_add_u32_e32 v7, 8, v7
	s_or_b64 s[6:7], vcc, s[6:7]
	s_waitcnt vmcnt(1) lgkmcnt(0)
	v_mul_f32_e32 v13, v11, v9
	v_mul_f32_e32 v9, v10, v9
	s_waitcnt vmcnt(0)
	v_fma_f32 v10, v10, v12, -v13
	v_fmac_f32_e32 v9, v11, v12
	v_add_f32_e32 v8, v8, v10
	v_add_f32_e32 v3, v3, v9
	s_andn2_b64 exec, exec, s[6:7]
	s_cbranch_execnz .LBB39_137
; %bb.138:
	s_or_b64 exec, exec, s[6:7]
	v_mov_b32_e32 v4, 0
	ds_read_b64 v[4:5], v4 offset:248
	s_waitcnt lgkmcnt(0)
	v_mul_f32_e32 v7, v3, v5
	v_mul_f32_e32 v5, v8, v5
	v_fma_f32 v7, v8, v4, -v7
	v_fmac_f32_e32 v5, v3, v4
	buffer_store_dword v7, off, s[0:3], 0 offset:248
	buffer_store_dword v5, off, s[0:3], 0 offset:252
.LBB39_139:
	s_or_b64 exec, exec, s[4:5]
	s_waitcnt lgkmcnt(0)
	; wave barrier
	buffer_load_dword v4, off, s[0:3], 0 offset:256
	buffer_load_dword v5, off, s[0:3], 0 offset:260
	v_cmp_gt_u32_e32 vcc, 32, v0
	s_waitcnt vmcnt(0)
	ds_write_b64 v1, v[4:5]
	s_waitcnt lgkmcnt(0)
	; wave barrier
	s_waitcnt lgkmcnt(0)
	s_and_saveexec_b64 s[4:5], vcc
	s_cbranch_execz .LBB39_143
; %bb.140:
	v_add_u32_e32 v4, -1, v0
	v_add_u32_e32 v5, 0x140, v6
	v_add_u32_e32 v7, 0, v6
	s_mov_b64 s[6:7], 0
	v_mov_b32_e32 v3, 0
	v_mov_b32_e32 v8, 0
.LBB39_141:                             ; =>This Inner Loop Header: Depth=1
	buffer_load_dword v9, v7, s[0:3], 0 offen offset:4
	buffer_load_dword v12, v7, s[0:3], 0 offen
	ds_read_b64 v[10:11], v5
	v_add_u32_e32 v4, 1, v4
	v_cmp_lt_u32_e32 vcc, 30, v4
	v_add_u32_e32 v5, 8, v5
	v_add_u32_e32 v7, 8, v7
	s_or_b64 s[6:7], vcc, s[6:7]
	s_waitcnt vmcnt(1) lgkmcnt(0)
	v_mul_f32_e32 v13, v11, v9
	v_mul_f32_e32 v9, v10, v9
	s_waitcnt vmcnt(0)
	v_fma_f32 v10, v10, v12, -v13
	v_fmac_f32_e32 v9, v11, v12
	v_add_f32_e32 v8, v8, v10
	v_add_f32_e32 v3, v3, v9
	s_andn2_b64 exec, exec, s[6:7]
	s_cbranch_execnz .LBB39_141
; %bb.142:
	s_or_b64 exec, exec, s[6:7]
	v_mov_b32_e32 v4, 0
	ds_read_b64 v[4:5], v4 offset:256
	s_waitcnt lgkmcnt(0)
	v_mul_f32_e32 v7, v3, v5
	v_mul_f32_e32 v5, v8, v5
	v_fma_f32 v7, v8, v4, -v7
	v_fmac_f32_e32 v5, v3, v4
	buffer_store_dword v7, off, s[0:3], 0 offset:256
	buffer_store_dword v5, off, s[0:3], 0 offset:260
.LBB39_143:
	s_or_b64 exec, exec, s[4:5]
	s_waitcnt lgkmcnt(0)
	; wave barrier
	buffer_load_dword v4, off, s[0:3], 0 offset:264
	buffer_load_dword v5, off, s[0:3], 0 offset:268
	v_cmp_gt_u32_e32 vcc, 33, v0
	s_waitcnt vmcnt(0)
	ds_write_b64 v1, v[4:5]
	s_waitcnt lgkmcnt(0)
	; wave barrier
	s_waitcnt lgkmcnt(0)
	s_and_saveexec_b64 s[4:5], vcc
	s_cbranch_execz .LBB39_147
; %bb.144:
	v_add_u32_e32 v4, -1, v0
	v_add_u32_e32 v5, 0x140, v6
	v_add_u32_e32 v7, 0, v6
	s_mov_b64 s[6:7], 0
	v_mov_b32_e32 v3, 0
	v_mov_b32_e32 v8, 0
.LBB39_145:                             ; =>This Inner Loop Header: Depth=1
	buffer_load_dword v9, v7, s[0:3], 0 offen offset:4
	buffer_load_dword v12, v7, s[0:3], 0 offen
	ds_read_b64 v[10:11], v5
	v_add_u32_e32 v4, 1, v4
	v_cmp_lt_u32_e32 vcc, 31, v4
	v_add_u32_e32 v5, 8, v5
	v_add_u32_e32 v7, 8, v7
	s_or_b64 s[6:7], vcc, s[6:7]
	s_waitcnt vmcnt(1) lgkmcnt(0)
	v_mul_f32_e32 v13, v11, v9
	v_mul_f32_e32 v9, v10, v9
	s_waitcnt vmcnt(0)
	v_fma_f32 v10, v10, v12, -v13
	v_fmac_f32_e32 v9, v11, v12
	v_add_f32_e32 v8, v8, v10
	v_add_f32_e32 v3, v3, v9
	s_andn2_b64 exec, exec, s[6:7]
	s_cbranch_execnz .LBB39_145
; %bb.146:
	s_or_b64 exec, exec, s[6:7]
	v_mov_b32_e32 v4, 0
	ds_read_b64 v[4:5], v4 offset:264
	s_waitcnt lgkmcnt(0)
	v_mul_f32_e32 v7, v3, v5
	v_mul_f32_e32 v5, v8, v5
	v_fma_f32 v7, v8, v4, -v7
	v_fmac_f32_e32 v5, v3, v4
	buffer_store_dword v7, off, s[0:3], 0 offset:264
	buffer_store_dword v5, off, s[0:3], 0 offset:268
.LBB39_147:
	s_or_b64 exec, exec, s[4:5]
	s_waitcnt lgkmcnt(0)
	; wave barrier
	buffer_load_dword v4, off, s[0:3], 0 offset:272
	buffer_load_dword v5, off, s[0:3], 0 offset:276
	v_cmp_gt_u32_e32 vcc, 34, v0
	s_waitcnt vmcnt(0)
	ds_write_b64 v1, v[4:5]
	s_waitcnt lgkmcnt(0)
	; wave barrier
	s_waitcnt lgkmcnt(0)
	s_and_saveexec_b64 s[4:5], vcc
	s_cbranch_execz .LBB39_151
; %bb.148:
	v_add_u32_e32 v4, -1, v0
	v_add_u32_e32 v5, 0x140, v6
	v_add_u32_e32 v7, 0, v6
	s_mov_b64 s[6:7], 0
	v_mov_b32_e32 v3, 0
	v_mov_b32_e32 v8, 0
.LBB39_149:                             ; =>This Inner Loop Header: Depth=1
	buffer_load_dword v9, v7, s[0:3], 0 offen offset:4
	buffer_load_dword v12, v7, s[0:3], 0 offen
	ds_read_b64 v[10:11], v5
	v_add_u32_e32 v4, 1, v4
	v_cmp_lt_u32_e32 vcc, 32, v4
	v_add_u32_e32 v5, 8, v5
	v_add_u32_e32 v7, 8, v7
	s_or_b64 s[6:7], vcc, s[6:7]
	s_waitcnt vmcnt(1) lgkmcnt(0)
	v_mul_f32_e32 v13, v11, v9
	v_mul_f32_e32 v9, v10, v9
	s_waitcnt vmcnt(0)
	v_fma_f32 v10, v10, v12, -v13
	v_fmac_f32_e32 v9, v11, v12
	v_add_f32_e32 v8, v8, v10
	v_add_f32_e32 v3, v3, v9
	s_andn2_b64 exec, exec, s[6:7]
	s_cbranch_execnz .LBB39_149
; %bb.150:
	s_or_b64 exec, exec, s[6:7]
	v_mov_b32_e32 v4, 0
	ds_read_b64 v[4:5], v4 offset:272
	s_waitcnt lgkmcnt(0)
	v_mul_f32_e32 v7, v3, v5
	v_mul_f32_e32 v5, v8, v5
	v_fma_f32 v7, v8, v4, -v7
	v_fmac_f32_e32 v5, v3, v4
	buffer_store_dword v7, off, s[0:3], 0 offset:272
	buffer_store_dword v5, off, s[0:3], 0 offset:276
.LBB39_151:
	s_or_b64 exec, exec, s[4:5]
	s_waitcnt lgkmcnt(0)
	; wave barrier
	buffer_load_dword v4, off, s[0:3], 0 offset:280
	buffer_load_dword v5, off, s[0:3], 0 offset:284
	v_cmp_gt_u32_e32 vcc, 35, v0
	s_waitcnt vmcnt(0)
	ds_write_b64 v1, v[4:5]
	s_waitcnt lgkmcnt(0)
	; wave barrier
	s_waitcnt lgkmcnt(0)
	s_and_saveexec_b64 s[4:5], vcc
	s_cbranch_execz .LBB39_155
; %bb.152:
	v_add_u32_e32 v4, -1, v0
	v_add_u32_e32 v5, 0x140, v6
	v_add_u32_e32 v7, 0, v6
	s_mov_b64 s[6:7], 0
	v_mov_b32_e32 v3, 0
	v_mov_b32_e32 v8, 0
.LBB39_153:                             ; =>This Inner Loop Header: Depth=1
	buffer_load_dword v9, v7, s[0:3], 0 offen offset:4
	buffer_load_dword v12, v7, s[0:3], 0 offen
	ds_read_b64 v[10:11], v5
	v_add_u32_e32 v4, 1, v4
	v_cmp_lt_u32_e32 vcc, 33, v4
	v_add_u32_e32 v5, 8, v5
	v_add_u32_e32 v7, 8, v7
	s_or_b64 s[6:7], vcc, s[6:7]
	s_waitcnt vmcnt(1) lgkmcnt(0)
	v_mul_f32_e32 v13, v11, v9
	v_mul_f32_e32 v9, v10, v9
	s_waitcnt vmcnt(0)
	v_fma_f32 v10, v10, v12, -v13
	v_fmac_f32_e32 v9, v11, v12
	v_add_f32_e32 v8, v8, v10
	v_add_f32_e32 v3, v3, v9
	s_andn2_b64 exec, exec, s[6:7]
	s_cbranch_execnz .LBB39_153
; %bb.154:
	s_or_b64 exec, exec, s[6:7]
	v_mov_b32_e32 v4, 0
	ds_read_b64 v[4:5], v4 offset:280
	s_waitcnt lgkmcnt(0)
	v_mul_f32_e32 v7, v3, v5
	v_mul_f32_e32 v5, v8, v5
	v_fma_f32 v7, v8, v4, -v7
	v_fmac_f32_e32 v5, v3, v4
	buffer_store_dword v7, off, s[0:3], 0 offset:280
	buffer_store_dword v5, off, s[0:3], 0 offset:284
.LBB39_155:
	s_or_b64 exec, exec, s[4:5]
	s_waitcnt lgkmcnt(0)
	; wave barrier
	buffer_load_dword v4, off, s[0:3], 0 offset:288
	buffer_load_dword v5, off, s[0:3], 0 offset:292
	v_cmp_gt_u32_e32 vcc, 36, v0
	s_waitcnt vmcnt(0)
	ds_write_b64 v1, v[4:5]
	s_waitcnt lgkmcnt(0)
	; wave barrier
	s_waitcnt lgkmcnt(0)
	s_and_saveexec_b64 s[4:5], vcc
	s_cbranch_execz .LBB39_159
; %bb.156:
	v_add_u32_e32 v4, -1, v0
	v_add_u32_e32 v5, 0x140, v6
	v_add_u32_e32 v7, 0, v6
	s_mov_b64 s[6:7], 0
	v_mov_b32_e32 v3, 0
	v_mov_b32_e32 v8, 0
.LBB39_157:                             ; =>This Inner Loop Header: Depth=1
	buffer_load_dword v9, v7, s[0:3], 0 offen offset:4
	buffer_load_dword v12, v7, s[0:3], 0 offen
	ds_read_b64 v[10:11], v5
	v_add_u32_e32 v4, 1, v4
	v_cmp_lt_u32_e32 vcc, 34, v4
	v_add_u32_e32 v5, 8, v5
	v_add_u32_e32 v7, 8, v7
	s_or_b64 s[6:7], vcc, s[6:7]
	s_waitcnt vmcnt(1) lgkmcnt(0)
	v_mul_f32_e32 v13, v11, v9
	v_mul_f32_e32 v9, v10, v9
	s_waitcnt vmcnt(0)
	v_fma_f32 v10, v10, v12, -v13
	v_fmac_f32_e32 v9, v11, v12
	v_add_f32_e32 v8, v8, v10
	v_add_f32_e32 v3, v3, v9
	s_andn2_b64 exec, exec, s[6:7]
	s_cbranch_execnz .LBB39_157
; %bb.158:
	s_or_b64 exec, exec, s[6:7]
	v_mov_b32_e32 v4, 0
	ds_read_b64 v[4:5], v4 offset:288
	s_waitcnt lgkmcnt(0)
	v_mul_f32_e32 v7, v3, v5
	v_mul_f32_e32 v5, v8, v5
	v_fma_f32 v7, v8, v4, -v7
	v_fmac_f32_e32 v5, v3, v4
	buffer_store_dword v7, off, s[0:3], 0 offset:288
	buffer_store_dword v5, off, s[0:3], 0 offset:292
.LBB39_159:
	s_or_b64 exec, exec, s[4:5]
	s_waitcnt lgkmcnt(0)
	; wave barrier
	buffer_load_dword v4, off, s[0:3], 0 offset:296
	buffer_load_dword v5, off, s[0:3], 0 offset:300
	v_cmp_gt_u32_e32 vcc, 37, v0
	s_waitcnt vmcnt(0)
	ds_write_b64 v1, v[4:5]
	s_waitcnt lgkmcnt(0)
	; wave barrier
	s_waitcnt lgkmcnt(0)
	s_and_saveexec_b64 s[4:5], vcc
	s_cbranch_execz .LBB39_163
; %bb.160:
	v_add_u32_e32 v4, -1, v0
	v_add_u32_e32 v5, 0x140, v6
	v_add_u32_e32 v7, 0, v6
	s_mov_b64 s[6:7], 0
	v_mov_b32_e32 v3, 0
	v_mov_b32_e32 v8, 0
.LBB39_161:                             ; =>This Inner Loop Header: Depth=1
	buffer_load_dword v9, v7, s[0:3], 0 offen offset:4
	buffer_load_dword v12, v7, s[0:3], 0 offen
	ds_read_b64 v[10:11], v5
	v_add_u32_e32 v4, 1, v4
	v_cmp_lt_u32_e32 vcc, 35, v4
	v_add_u32_e32 v5, 8, v5
	v_add_u32_e32 v7, 8, v7
	s_or_b64 s[6:7], vcc, s[6:7]
	s_waitcnt vmcnt(1) lgkmcnt(0)
	v_mul_f32_e32 v13, v11, v9
	v_mul_f32_e32 v9, v10, v9
	s_waitcnt vmcnt(0)
	v_fma_f32 v10, v10, v12, -v13
	v_fmac_f32_e32 v9, v11, v12
	v_add_f32_e32 v8, v8, v10
	v_add_f32_e32 v3, v3, v9
	s_andn2_b64 exec, exec, s[6:7]
	s_cbranch_execnz .LBB39_161
; %bb.162:
	s_or_b64 exec, exec, s[6:7]
	v_mov_b32_e32 v4, 0
	ds_read_b64 v[4:5], v4 offset:296
	s_waitcnt lgkmcnt(0)
	v_mul_f32_e32 v7, v3, v5
	v_mul_f32_e32 v5, v8, v5
	v_fma_f32 v7, v8, v4, -v7
	v_fmac_f32_e32 v5, v3, v4
	buffer_store_dword v7, off, s[0:3], 0 offset:296
	buffer_store_dword v5, off, s[0:3], 0 offset:300
.LBB39_163:
	s_or_b64 exec, exec, s[4:5]
	s_waitcnt lgkmcnt(0)
	; wave barrier
	buffer_load_dword v4, off, s[0:3], 0 offset:304
	buffer_load_dword v5, off, s[0:3], 0 offset:308
	v_cmp_gt_u32_e32 vcc, 38, v0
	s_waitcnt vmcnt(0)
	ds_write_b64 v1, v[4:5]
	s_waitcnt lgkmcnt(0)
	; wave barrier
	s_waitcnt lgkmcnt(0)
	s_and_saveexec_b64 s[4:5], vcc
	s_cbranch_execz .LBB39_167
; %bb.164:
	v_add_u32_e32 v4, -1, v0
	v_add_u32_e32 v5, 0x140, v6
	v_add_u32_e32 v7, 0, v6
	s_mov_b64 s[6:7], 0
	v_mov_b32_e32 v3, 0
	v_mov_b32_e32 v8, 0
.LBB39_165:                             ; =>This Inner Loop Header: Depth=1
	buffer_load_dword v9, v7, s[0:3], 0 offen offset:4
	buffer_load_dword v12, v7, s[0:3], 0 offen
	ds_read_b64 v[10:11], v5
	v_add_u32_e32 v4, 1, v4
	v_cmp_lt_u32_e32 vcc, 36, v4
	v_add_u32_e32 v5, 8, v5
	v_add_u32_e32 v7, 8, v7
	s_or_b64 s[6:7], vcc, s[6:7]
	s_waitcnt vmcnt(1) lgkmcnt(0)
	v_mul_f32_e32 v13, v11, v9
	v_mul_f32_e32 v9, v10, v9
	s_waitcnt vmcnt(0)
	v_fma_f32 v10, v10, v12, -v13
	v_fmac_f32_e32 v9, v11, v12
	v_add_f32_e32 v8, v8, v10
	v_add_f32_e32 v3, v3, v9
	s_andn2_b64 exec, exec, s[6:7]
	s_cbranch_execnz .LBB39_165
; %bb.166:
	s_or_b64 exec, exec, s[6:7]
	v_mov_b32_e32 v4, 0
	ds_read_b64 v[4:5], v4 offset:304
	s_waitcnt lgkmcnt(0)
	v_mul_f32_e32 v7, v3, v5
	v_mul_f32_e32 v5, v8, v5
	v_fma_f32 v7, v8, v4, -v7
	v_fmac_f32_e32 v5, v3, v4
	buffer_store_dword v7, off, s[0:3], 0 offset:304
	buffer_store_dword v5, off, s[0:3], 0 offset:308
.LBB39_167:
	s_or_b64 exec, exec, s[4:5]
	s_waitcnt lgkmcnt(0)
	; wave barrier
	buffer_load_dword v4, off, s[0:3], 0 offset:312
	buffer_load_dword v5, off, s[0:3], 0 offset:316
	v_cmp_ne_u32_e32 vcc, 39, v0
	s_waitcnt vmcnt(0)
	ds_write_b64 v1, v[4:5]
	s_waitcnt lgkmcnt(0)
	; wave barrier
	s_waitcnt lgkmcnt(0)
	s_and_saveexec_b64 s[4:5], vcc
	s_cbranch_execz .LBB39_171
; %bb.168:
	v_add_u32_e32 v3, 0x140, v6
	v_add_u32_e32 v4, 0, v6
	s_mov_b64 s[6:7], 0
	v_mov_b32_e32 v1, 0
	v_mov_b32_e32 v5, 0
.LBB39_169:                             ; =>This Inner Loop Header: Depth=1
	buffer_load_dword v8, v4, s[0:3], 0 offen offset:4
	buffer_load_dword v9, v4, s[0:3], 0 offen
	ds_read_b64 v[6:7], v3
	v_add_u32_e32 v2, 1, v2
	v_cmp_lt_u32_e32 vcc, 37, v2
	v_add_u32_e32 v3, 8, v3
	v_add_u32_e32 v4, 8, v4
	s_or_b64 s[6:7], vcc, s[6:7]
	s_waitcnt vmcnt(1) lgkmcnt(0)
	v_mul_f32_e32 v10, v7, v8
	v_mul_f32_e32 v8, v6, v8
	s_waitcnt vmcnt(0)
	v_fma_f32 v6, v6, v9, -v10
	v_fmac_f32_e32 v8, v7, v9
	v_add_f32_e32 v5, v5, v6
	v_add_f32_e32 v1, v1, v8
	s_andn2_b64 exec, exec, s[6:7]
	s_cbranch_execnz .LBB39_169
; %bb.170:
	s_or_b64 exec, exec, s[6:7]
	v_mov_b32_e32 v2, 0
	ds_read_b64 v[2:3], v2 offset:312
	s_waitcnt lgkmcnt(0)
	v_mul_f32_e32 v4, v1, v3
	v_mul_f32_e32 v3, v5, v3
	v_fma_f32 v4, v5, v2, -v4
	v_fmac_f32_e32 v3, v1, v2
	buffer_store_dword v4, off, s[0:3], 0 offset:312
	buffer_store_dword v3, off, s[0:3], 0 offset:316
.LBB39_171:
	s_or_b64 exec, exec, s[4:5]
	s_mov_b64 s[6:7], -1
	s_waitcnt lgkmcnt(0)
	; wave barrier
.LBB39_172:
	s_and_b64 vcc, exec, s[6:7]
	s_cbranch_vccz .LBB39_174
; %bb.173:
	s_lshl_b64 s[4:5], s[8:9], 2
	s_add_u32 s4, s14, s4
	s_addc_u32 s5, s15, s5
	v_mov_b32_e32 v1, 0
	global_load_dword v1, v1, s[4:5]
	s_waitcnt vmcnt(0)
	v_cmp_ne_u32_e32 vcc, 0, v1
	s_cbranch_vccz .LBB39_175
.LBB39_174:
	s_endpgm
.LBB39_175:
	v_mov_b32_e32 v1, 0x140
	v_lshl_add_u32 v1, v0, 3, v1
	v_cmp_eq_u32_e32 vcc, 39, v0
	s_and_saveexec_b64 s[4:5], vcc
	s_cbranch_execz .LBB39_177
; %bb.176:
	buffer_load_dword v2, off, s[0:3], 0 offset:304
	buffer_load_dword v3, off, s[0:3], 0 offset:308
	v_mov_b32_e32 v4, 0
	buffer_store_dword v4, off, s[0:3], 0 offset:304
	buffer_store_dword v4, off, s[0:3], 0 offset:308
	s_waitcnt vmcnt(2)
	ds_write_b64 v1, v[2:3]
.LBB39_177:
	s_or_b64 exec, exec, s[4:5]
	s_waitcnt lgkmcnt(0)
	; wave barrier
	s_waitcnt lgkmcnt(0)
	buffer_load_dword v5, off, s[0:3], 0 offset:316
	buffer_load_dword v4, off, s[0:3], 0 offset:312
	;; [unrolled: 1-line block ×4, first 2 shown]
	v_mov_b32_e32 v2, 0
	ds_read_b64 v[8:9], v2 offset:632
	v_cmp_lt_u32_e32 vcc, 37, v0
	s_waitcnt vmcnt(3)
	v_mov_b32_e32 v10, v5
	s_waitcnt lgkmcnt(0)
	v_pk_mul_f32 v[10:11], v[8:9], v[10:11] op_sel_hi:[1,0]
	s_waitcnt vmcnt(2)
	v_pk_fma_f32 v[12:13], v[8:9], v[4:5], v[10:11] op_sel:[0,0,1] op_sel_hi:[1,1,0] neg_lo:[0,0,1] neg_hi:[0,0,1]
	v_pk_fma_f32 v[4:5], v[8:9], v[4:5], v[10:11] op_sel:[0,0,1] op_sel_hi:[1,0,0]
	v_mov_b32_e32 v13, v5
	v_pk_add_f32 v[4:5], v[12:13], 0 op_sel_hi:[1,0]
	s_waitcnt vmcnt(0)
	v_pk_add_f32 v[4:5], v[6:7], v[4:5] neg_lo:[0,1] neg_hi:[0,1]
	buffer_store_dword v4, off, s[0:3], 0 offset:304
	buffer_store_dword v5, off, s[0:3], 0 offset:308
	s_and_saveexec_b64 s[4:5], vcc
	s_cbranch_execz .LBB39_179
; %bb.178:
	buffer_load_dword v4, off, s[0:3], 0 offset:296
	buffer_load_dword v5, off, s[0:3], 0 offset:300
	s_waitcnt vmcnt(0)
	ds_write_b64 v1, v[4:5]
	buffer_store_dword v2, off, s[0:3], 0 offset:296
	buffer_store_dword v2, off, s[0:3], 0 offset:300
.LBB39_179:
	s_or_b64 exec, exec, s[4:5]
	s_waitcnt lgkmcnt(0)
	; wave barrier
	s_waitcnt lgkmcnt(0)
	buffer_load_dword v7, off, s[0:3], 0 offset:308
	buffer_load_dword v9, off, s[0:3], 0 offset:316
	;; [unrolled: 1-line block ×6, first 2 shown]
	ds_read_b128 v[2:5], v2 offset:624
	v_cmp_lt_u32_e32 vcc, 36, v0
	s_waitcnt vmcnt(5)
	v_mov_b32_e32 v12, v7
	s_waitcnt vmcnt(4)
	v_mov_b32_e32 v14, v9
	s_waitcnt lgkmcnt(0)
	v_pk_mul_f32 v[12:13], v[2:3], v[12:13] op_sel_hi:[1,0]
	v_pk_mul_f32 v[14:15], v[4:5], v[14:15] op_sel_hi:[1,0]
	s_waitcnt vmcnt(3)
	v_pk_fma_f32 v[16:17], v[2:3], v[6:7], v[12:13] op_sel:[0,0,1] op_sel_hi:[1,1,0] neg_lo:[0,0,1] neg_hi:[0,0,1]
	v_pk_fma_f32 v[2:3], v[2:3], v[6:7], v[12:13] op_sel:[0,0,1] op_sel_hi:[1,0,0]
	s_waitcnt vmcnt(2)
	v_pk_fma_f32 v[6:7], v[4:5], v[8:9], v[14:15] op_sel:[0,0,1] op_sel_hi:[1,1,0] neg_lo:[0,0,1] neg_hi:[0,0,1]
	v_pk_fma_f32 v[4:5], v[4:5], v[8:9], v[14:15] op_sel:[0,0,1] op_sel_hi:[1,0,0]
	v_mov_b32_e32 v17, v3
	v_mov_b32_e32 v7, v5
	v_pk_add_f32 v[2:3], v[16:17], 0 op_sel_hi:[1,0]
	v_pk_add_f32 v[2:3], v[2:3], v[6:7]
	s_waitcnt vmcnt(0)
	v_pk_add_f32 v[2:3], v[10:11], v[2:3] neg_lo:[0,1] neg_hi:[0,1]
	buffer_store_dword v2, off, s[0:3], 0 offset:296
	buffer_store_dword v3, off, s[0:3], 0 offset:300
	s_and_saveexec_b64 s[4:5], vcc
	s_cbranch_execz .LBB39_181
; %bb.180:
	buffer_load_dword v2, off, s[0:3], 0 offset:288
	buffer_load_dword v3, off, s[0:3], 0 offset:292
	v_mov_b32_e32 v4, 0
	buffer_store_dword v4, off, s[0:3], 0 offset:288
	buffer_store_dword v4, off, s[0:3], 0 offset:292
	s_waitcnt vmcnt(2)
	ds_write_b64 v1, v[2:3]
.LBB39_181:
	s_or_b64 exec, exec, s[4:5]
	s_waitcnt lgkmcnt(0)
	; wave barrier
	s_waitcnt lgkmcnt(0)
	buffer_load_dword v9, off, s[0:3], 0 offset:300
	buffer_load_dword v11, off, s[0:3], 0 offset:308
	;; [unrolled: 1-line block ×8, first 2 shown]
	v_mov_b32_e32 v2, 0
	ds_read2_b64 v[4:7], v2 offset0:77 offset1:78
	ds_read_b64 v[16:17], v2 offset:632
	v_cmp_lt_u32_e32 vcc, 35, v0
	s_waitcnt vmcnt(7)
	v_mov_b32_e32 v98, v9
	s_waitcnt vmcnt(6)
	v_mov_b32_e32 v100, v11
	s_waitcnt lgkmcnt(1)
	v_pk_mul_f32 v[98:99], v[4:5], v[98:99] op_sel_hi:[1,0]
	s_waitcnt vmcnt(5)
	v_mov_b32_e32 v102, v13
	v_pk_mul_f32 v[100:101], v[6:7], v[100:101] op_sel_hi:[1,0]
	s_waitcnt vmcnt(4)
	v_pk_fma_f32 v[104:105], v[4:5], v[8:9], v[98:99] op_sel:[0,0,1] op_sel_hi:[1,1,0] neg_lo:[0,0,1] neg_hi:[0,0,1]
	v_pk_fma_f32 v[4:5], v[4:5], v[8:9], v[98:99] op_sel:[0,0,1] op_sel_hi:[1,0,0]
	s_waitcnt lgkmcnt(0)
	v_pk_mul_f32 v[102:103], v[16:17], v[102:103] op_sel_hi:[1,0]
	s_waitcnt vmcnt(3)
	v_pk_fma_f32 v[8:9], v[6:7], v[10:11], v[100:101] op_sel:[0,0,1] op_sel_hi:[1,1,0] neg_lo:[0,0,1] neg_hi:[0,0,1]
	v_pk_fma_f32 v[6:7], v[6:7], v[10:11], v[100:101] op_sel:[0,0,1] op_sel_hi:[1,0,0]
	v_mov_b32_e32 v105, v5
	s_waitcnt vmcnt(2)
	v_pk_fma_f32 v[10:11], v[16:17], v[12:13], v[102:103] op_sel:[0,0,1] op_sel_hi:[1,1,0] neg_lo:[0,0,1] neg_hi:[0,0,1]
	v_pk_fma_f32 v[12:13], v[16:17], v[12:13], v[102:103] op_sel:[0,0,1] op_sel_hi:[1,0,0]
	v_mov_b32_e32 v9, v7
	v_pk_add_f32 v[4:5], v[104:105], 0 op_sel_hi:[1,0]
	v_mov_b32_e32 v11, v13
	v_pk_add_f32 v[4:5], v[4:5], v[8:9]
	v_pk_add_f32 v[4:5], v[4:5], v[10:11]
	s_waitcnt vmcnt(0)
	v_pk_add_f32 v[4:5], v[14:15], v[4:5] neg_lo:[0,1] neg_hi:[0,1]
	buffer_store_dword v4, off, s[0:3], 0 offset:288
	buffer_store_dword v5, off, s[0:3], 0 offset:292
	s_and_saveexec_b64 s[4:5], vcc
	s_cbranch_execz .LBB39_183
; %bb.182:
	buffer_load_dword v4, off, s[0:3], 0 offset:280
	buffer_load_dword v5, off, s[0:3], 0 offset:284
	s_waitcnt vmcnt(0)
	ds_write_b64 v1, v[4:5]
	buffer_store_dword v2, off, s[0:3], 0 offset:280
	buffer_store_dword v2, off, s[0:3], 0 offset:284
.LBB39_183:
	s_or_b64 exec, exec, s[4:5]
	s_waitcnt lgkmcnt(0)
	; wave barrier
	s_waitcnt lgkmcnt(0)
	buffer_load_dword v13, off, s[0:3], 0 offset:292
	buffer_load_dword v15, off, s[0:3], 0 offset:300
	;; [unrolled: 1-line block ×10, first 2 shown]
	ds_read_b128 v[4:7], v2 offset:608
	ds_read_b128 v[8:11], v2 offset:624
	v_cmp_lt_u32_e32 vcc, 34, v0
	s_waitcnt vmcnt(9)
	v_mov_b32_e32 v2, v13
	s_waitcnt vmcnt(8)
	v_mov_b32_e32 v102, v15
	s_waitcnt lgkmcnt(1)
	v_pk_mul_f32 v[2:3], v[4:5], v[2:3] op_sel_hi:[1,0]
	s_waitcnt vmcnt(7)
	v_mov_b32_e32 v104, v17
	v_pk_mul_f32 v[102:103], v[6:7], v[102:103] op_sel_hi:[1,0]
	s_waitcnt vmcnt(5)
	v_pk_fma_f32 v[108:109], v[4:5], v[12:13], v[2:3] op_sel:[0,0,1] op_sel_hi:[1,1,0] neg_lo:[0,0,1] neg_hi:[0,0,1]
	v_pk_fma_f32 v[2:3], v[4:5], v[12:13], v[2:3] op_sel:[0,0,1] op_sel_hi:[1,0,0]
	v_mov_b32_e32 v106, v99
	s_waitcnt lgkmcnt(0)
	v_pk_mul_f32 v[104:105], v[8:9], v[104:105] op_sel_hi:[1,0]
	s_waitcnt vmcnt(4)
	v_pk_fma_f32 v[4:5], v[6:7], v[14:15], v[102:103] op_sel:[0,0,1] op_sel_hi:[1,1,0] neg_lo:[0,0,1] neg_hi:[0,0,1]
	v_pk_fma_f32 v[6:7], v[6:7], v[14:15], v[102:103] op_sel:[0,0,1] op_sel_hi:[1,0,0]
	v_mov_b32_e32 v109, v3
	v_pk_mul_f32 v[106:107], v[10:11], v[106:107] op_sel_hi:[1,0]
	s_waitcnt vmcnt(3)
	v_pk_fma_f32 v[12:13], v[8:9], v[16:17], v[104:105] op_sel:[0,0,1] op_sel_hi:[1,1,0] neg_lo:[0,0,1] neg_hi:[0,0,1]
	v_pk_fma_f32 v[8:9], v[8:9], v[16:17], v[104:105] op_sel:[0,0,1] op_sel_hi:[1,0,0]
	v_mov_b32_e32 v5, v7
	v_pk_add_f32 v[2:3], v[108:109], 0 op_sel_hi:[1,0]
	s_waitcnt vmcnt(2)
	v_pk_fma_f32 v[14:15], v[10:11], v[98:99], v[106:107] op_sel:[0,0,1] op_sel_hi:[1,1,0] neg_lo:[0,0,1] neg_hi:[0,0,1]
	v_pk_fma_f32 v[10:11], v[10:11], v[98:99], v[106:107] op_sel:[0,0,1] op_sel_hi:[1,0,0]
	v_mov_b32_e32 v13, v9
	v_pk_add_f32 v[2:3], v[2:3], v[4:5]
	v_mov_b32_e32 v15, v11
	v_pk_add_f32 v[2:3], v[2:3], v[12:13]
	v_pk_add_f32 v[2:3], v[2:3], v[14:15]
	s_waitcnt vmcnt(0)
	v_pk_add_f32 v[2:3], v[100:101], v[2:3] neg_lo:[0,1] neg_hi:[0,1]
	buffer_store_dword v2, off, s[0:3], 0 offset:280
	buffer_store_dword v3, off, s[0:3], 0 offset:284
	s_and_saveexec_b64 s[4:5], vcc
	s_cbranch_execz .LBB39_185
; %bb.184:
	buffer_load_dword v2, off, s[0:3], 0 offset:272
	buffer_load_dword v3, off, s[0:3], 0 offset:276
	v_mov_b32_e32 v4, 0
	buffer_store_dword v4, off, s[0:3], 0 offset:272
	buffer_store_dword v4, off, s[0:3], 0 offset:276
	s_waitcnt vmcnt(2)
	ds_write_b64 v1, v[2:3]
.LBB39_185:
	s_or_b64 exec, exec, s[4:5]
	s_waitcnt lgkmcnt(0)
	; wave barrier
	s_waitcnt lgkmcnt(0)
	buffer_load_dword v13, off, s[0:3], 0 offset:284
	buffer_load_dword v15, off, s[0:3], 0 offset:292
	;; [unrolled: 1-line block ×12, first 2 shown]
	v_mov_b32_e32 v2, 0
	ds_read2_b64 v[4:7], v2 offset0:75 offset1:76
	ds_read2_b64 v[8:11], v2 offset0:77 offset1:78
	ds_read_b64 v[104:105], v2 offset:632
	v_cmp_lt_u32_e32 vcc, 33, v0
	s_waitcnt vmcnt(11)
	v_mov_b32_e32 v106, v13
	s_waitcnt vmcnt(10)
	v_mov_b32_e32 v108, v15
	s_waitcnt lgkmcnt(2)
	v_pk_mul_f32 v[106:107], v[4:5], v[106:107] op_sel_hi:[1,0]
	s_waitcnt vmcnt(9)
	v_mov_b32_e32 v110, v17
	v_pk_mul_f32 v[108:109], v[6:7], v[108:109] op_sel_hi:[1,0]
	s_waitcnt vmcnt(6)
	v_pk_fma_f32 v[116:117], v[4:5], v[12:13], v[106:107] op_sel:[0,0,1] op_sel_hi:[1,1,0] neg_lo:[0,0,1] neg_hi:[0,0,1]
	v_pk_fma_f32 v[4:5], v[4:5], v[12:13], v[106:107] op_sel:[0,0,1] op_sel_hi:[1,0,0]
	v_mov_b32_e32 v112, v99
	s_waitcnt lgkmcnt(1)
	v_pk_mul_f32 v[110:111], v[8:9], v[110:111] op_sel_hi:[1,0]
	s_waitcnt vmcnt(5)
	v_pk_fma_f32 v[12:13], v[6:7], v[14:15], v[108:109] op_sel:[0,0,1] op_sel_hi:[1,1,0] neg_lo:[0,0,1] neg_hi:[0,0,1]
	v_pk_fma_f32 v[6:7], v[6:7], v[14:15], v[108:109] op_sel:[0,0,1] op_sel_hi:[1,0,0]
	v_mov_b32_e32 v117, v5
	v_mov_b32_e32 v114, v101
	v_pk_mul_f32 v[112:113], v[10:11], v[112:113] op_sel_hi:[1,0]
	s_waitcnt vmcnt(4)
	v_pk_fma_f32 v[14:15], v[8:9], v[16:17], v[110:111] op_sel:[0,0,1] op_sel_hi:[1,1,0] neg_lo:[0,0,1] neg_hi:[0,0,1]
	v_pk_fma_f32 v[8:9], v[8:9], v[16:17], v[110:111] op_sel:[0,0,1] op_sel_hi:[1,0,0]
	v_mov_b32_e32 v13, v7
	v_pk_add_f32 v[4:5], v[116:117], 0 op_sel_hi:[1,0]
	s_waitcnt lgkmcnt(0)
	v_pk_mul_f32 v[114:115], v[104:105], v[114:115] op_sel_hi:[1,0]
	s_waitcnt vmcnt(3)
	v_pk_fma_f32 v[16:17], v[10:11], v[98:99], v[112:113] op_sel:[0,0,1] op_sel_hi:[1,1,0] neg_lo:[0,0,1] neg_hi:[0,0,1]
	v_pk_fma_f32 v[10:11], v[10:11], v[98:99], v[112:113] op_sel:[0,0,1] op_sel_hi:[1,0,0]
	v_mov_b32_e32 v15, v9
	v_pk_add_f32 v[4:5], v[4:5], v[12:13]
	s_waitcnt vmcnt(2)
	v_pk_fma_f32 v[98:99], v[104:105], v[100:101], v[114:115] op_sel:[0,0,1] op_sel_hi:[1,1,0] neg_lo:[0,0,1] neg_hi:[0,0,1]
	v_pk_fma_f32 v[100:101], v[104:105], v[100:101], v[114:115] op_sel:[0,0,1] op_sel_hi:[1,0,0]
	v_mov_b32_e32 v17, v11
	v_pk_add_f32 v[4:5], v[4:5], v[14:15]
	v_mov_b32_e32 v99, v101
	v_pk_add_f32 v[4:5], v[4:5], v[16:17]
	v_pk_add_f32 v[4:5], v[4:5], v[98:99]
	s_waitcnt vmcnt(0)
	v_pk_add_f32 v[4:5], v[102:103], v[4:5] neg_lo:[0,1] neg_hi:[0,1]
	buffer_store_dword v4, off, s[0:3], 0 offset:272
	buffer_store_dword v5, off, s[0:3], 0 offset:276
	s_and_saveexec_b64 s[4:5], vcc
	s_cbranch_execz .LBB39_187
; %bb.186:
	buffer_load_dword v4, off, s[0:3], 0 offset:264
	buffer_load_dword v5, off, s[0:3], 0 offset:268
	s_waitcnt vmcnt(0)
	ds_write_b64 v1, v[4:5]
	buffer_store_dword v2, off, s[0:3], 0 offset:264
	buffer_store_dword v2, off, s[0:3], 0 offset:268
.LBB39_187:
	s_or_b64 exec, exec, s[4:5]
	s_waitcnt lgkmcnt(0)
	; wave barrier
	s_waitcnt lgkmcnt(0)
	buffer_load_dword v17, off, s[0:3], 0 offset:276
	buffer_load_dword v99, off, s[0:3], 0 offset:284
	;; [unrolled: 1-line block ×14, first 2 shown]
	ds_read_b128 v[4:7], v2 offset:592
	ds_read_b128 v[8:11], v2 offset:608
	;; [unrolled: 1-line block ×3, first 2 shown]
	v_cmp_lt_u32_e32 vcc, 32, v0
	s_waitcnt vmcnt(13)
	v_mov_b32_e32 v2, v17
	s_waitcnt vmcnt(12)
	v_mov_b32_e32 v110, v99
	s_waitcnt lgkmcnt(2)
	v_pk_mul_f32 v[2:3], v[4:5], v[2:3] op_sel_hi:[1,0]
	s_waitcnt vmcnt(11)
	v_mov_b32_e32 v112, v101
	v_pk_mul_f32 v[110:111], v[6:7], v[110:111] op_sel_hi:[1,0]
	s_waitcnt vmcnt(10)
	v_mov_b32_e32 v114, v103
	s_waitcnt vmcnt(7)
	v_pk_fma_f32 v[120:121], v[4:5], v[16:17], v[2:3] op_sel:[0,0,1] op_sel_hi:[1,1,0] neg_lo:[0,0,1] neg_hi:[0,0,1]
	v_pk_fma_f32 v[2:3], v[4:5], v[16:17], v[2:3] op_sel:[0,0,1] op_sel_hi:[1,0,0]
	s_waitcnt lgkmcnt(1)
	v_pk_mul_f32 v[112:113], v[8:9], v[112:113] op_sel_hi:[1,0]
	s_waitcnt vmcnt(6)
	v_pk_fma_f32 v[4:5], v[6:7], v[98:99], v[110:111] op_sel:[0,0,1] op_sel_hi:[1,1,0] neg_lo:[0,0,1] neg_hi:[0,0,1]
	v_pk_fma_f32 v[6:7], v[6:7], v[98:99], v[110:111] op_sel:[0,0,1] op_sel_hi:[1,0,0]
	v_mov_b32_e32 v121, v3
	v_mov_b32_e32 v116, v105
	v_pk_mul_f32 v[114:115], v[10:11], v[114:115] op_sel_hi:[1,0]
	s_waitcnt vmcnt(5)
	v_pk_fma_f32 v[16:17], v[8:9], v[100:101], v[112:113] op_sel:[0,0,1] op_sel_hi:[1,1,0] neg_lo:[0,0,1] neg_hi:[0,0,1]
	v_pk_fma_f32 v[8:9], v[8:9], v[100:101], v[112:113] op_sel:[0,0,1] op_sel_hi:[1,0,0]
	v_mov_b32_e32 v5, v7
	v_pk_add_f32 v[2:3], v[120:121], 0 op_sel_hi:[1,0]
	v_mov_b32_e32 v118, v107
	s_waitcnt lgkmcnt(0)
	v_pk_mul_f32 v[116:117], v[12:13], v[116:117] op_sel_hi:[1,0]
	s_waitcnt vmcnt(4)
	v_pk_fma_f32 v[98:99], v[10:11], v[102:103], v[114:115] op_sel:[0,0,1] op_sel_hi:[1,1,0] neg_lo:[0,0,1] neg_hi:[0,0,1]
	v_pk_fma_f32 v[10:11], v[10:11], v[102:103], v[114:115] op_sel:[0,0,1] op_sel_hi:[1,0,0]
	v_mov_b32_e32 v17, v9
	v_pk_add_f32 v[2:3], v[2:3], v[4:5]
	v_pk_mul_f32 v[118:119], v[14:15], v[118:119] op_sel_hi:[1,0]
	s_waitcnt vmcnt(3)
	v_pk_fma_f32 v[100:101], v[12:13], v[104:105], v[116:117] op_sel:[0,0,1] op_sel_hi:[1,1,0] neg_lo:[0,0,1] neg_hi:[0,0,1]
	v_pk_fma_f32 v[12:13], v[12:13], v[104:105], v[116:117] op_sel:[0,0,1] op_sel_hi:[1,0,0]
	v_mov_b32_e32 v99, v11
	v_pk_add_f32 v[2:3], v[2:3], v[16:17]
	s_waitcnt vmcnt(2)
	v_pk_fma_f32 v[102:103], v[14:15], v[106:107], v[118:119] op_sel:[0,0,1] op_sel_hi:[1,1,0] neg_lo:[0,0,1] neg_hi:[0,0,1]
	v_pk_fma_f32 v[14:15], v[14:15], v[106:107], v[118:119] op_sel:[0,0,1] op_sel_hi:[1,0,0]
	v_mov_b32_e32 v101, v13
	v_pk_add_f32 v[2:3], v[2:3], v[98:99]
	v_mov_b32_e32 v103, v15
	v_pk_add_f32 v[2:3], v[2:3], v[100:101]
	v_pk_add_f32 v[2:3], v[2:3], v[102:103]
	s_waitcnt vmcnt(0)
	v_pk_add_f32 v[2:3], v[108:109], v[2:3] neg_lo:[0,1] neg_hi:[0,1]
	buffer_store_dword v2, off, s[0:3], 0 offset:264
	buffer_store_dword v3, off, s[0:3], 0 offset:268
	s_and_saveexec_b64 s[4:5], vcc
	s_cbranch_execz .LBB39_189
; %bb.188:
	buffer_load_dword v2, off, s[0:3], 0 offset:256
	buffer_load_dword v3, off, s[0:3], 0 offset:260
	v_mov_b32_e32 v4, 0
	buffer_store_dword v4, off, s[0:3], 0 offset:256
	buffer_store_dword v4, off, s[0:3], 0 offset:260
	s_waitcnt vmcnt(2)
	ds_write_b64 v1, v[2:3]
.LBB39_189:
	s_or_b64 exec, exec, s[4:5]
	s_waitcnt lgkmcnt(0)
	; wave barrier
	s_waitcnt lgkmcnt(0)
	buffer_load_dword v16, off, s[0:3], 0 offset:256
	buffer_load_dword v17, off, s[0:3], 0 offset:260
	;; [unrolled: 1-line block ×16, first 2 shown]
	v_mov_b32_e32 v2, 0
	ds_read2_b64 v[4:7], v2 offset0:73 offset1:74
	ds_read2_b64 v[8:11], v2 offset0:75 offset1:76
	;; [unrolled: 1-line block ×3, first 2 shown]
	ds_read_b64 v[112:113], v2 offset:632
	v_cmp_lt_u32_e32 vcc, 31, v0
	s_waitcnt vmcnt(12)
	v_mov_b32_e32 v114, v99
	s_waitcnt lgkmcnt(3)
	v_pk_mul_f32 v[114:115], v[4:5], v[114:115] op_sel_hi:[1,0]
	v_pk_fma_f32 v[116:117], v[4:5], v[98:99], v[114:115] op_sel:[0,0,1] op_sel_hi:[1,1,0] neg_lo:[0,0,1] neg_hi:[0,0,1]
	v_pk_fma_f32 v[4:5], v[4:5], v[98:99], v[114:115] op_sel:[0,0,1] op_sel_hi:[1,0,0]
	s_waitcnt vmcnt(10)
	v_mov_b32_e32 v98, v101
	v_pk_mul_f32 v[98:99], v[6:7], v[98:99] op_sel_hi:[1,0]
	v_pk_fma_f32 v[114:115], v[6:7], v[100:101], v[98:99] op_sel:[0,0,1] op_sel_hi:[1,1,0] neg_lo:[0,0,1] neg_hi:[0,0,1]
	v_pk_fma_f32 v[6:7], v[6:7], v[100:101], v[98:99] op_sel:[0,0,1] op_sel_hi:[1,0,0]
	s_waitcnt vmcnt(8)
	v_mov_b32_e32 v6, v103
	v_mov_b32_e32 v115, v7
	s_waitcnt lgkmcnt(2)
	v_pk_mul_f32 v[6:7], v[8:9], v[6:7] op_sel_hi:[1,0]
	v_pk_fma_f32 v[98:99], v[8:9], v[102:103], v[6:7] op_sel:[0,0,1] op_sel_hi:[1,1,0] neg_lo:[0,0,1] neg_hi:[0,0,1]
	v_pk_fma_f32 v[6:7], v[8:9], v[102:103], v[6:7] op_sel:[0,0,1] op_sel_hi:[1,0,0]
	s_waitcnt vmcnt(6)
	v_mov_b32_e32 v6, v105
	v_mov_b32_e32 v117, v5
	;; [unrolled: 1-line block ×3, first 2 shown]
	v_pk_mul_f32 v[6:7], v[10:11], v[6:7] op_sel_hi:[1,0]
	v_pk_add_f32 v[4:5], v[116:117], 0 op_sel_hi:[1,0]
	v_pk_fma_f32 v[8:9], v[10:11], v[104:105], v[6:7] op_sel:[0,0,1] op_sel_hi:[1,1,0] neg_lo:[0,0,1] neg_hi:[0,0,1]
	v_pk_fma_f32 v[6:7], v[10:11], v[104:105], v[6:7] op_sel:[0,0,1] op_sel_hi:[1,0,0]
	v_pk_add_f32 v[4:5], v[4:5], v[114:115]
	s_waitcnt vmcnt(4)
	v_mov_b32_e32 v6, v107
	v_pk_add_f32 v[4:5], v[4:5], v[98:99]
	v_mov_b32_e32 v9, v7
	s_waitcnt lgkmcnt(1)
	v_pk_mul_f32 v[6:7], v[12:13], v[6:7] op_sel_hi:[1,0]
	v_pk_add_f32 v[4:5], v[4:5], v[8:9]
	v_pk_fma_f32 v[8:9], v[12:13], v[106:107], v[6:7] op_sel:[0,0,1] op_sel_hi:[1,1,0] neg_lo:[0,0,1] neg_hi:[0,0,1]
	v_pk_fma_f32 v[6:7], v[12:13], v[106:107], v[6:7] op_sel:[0,0,1] op_sel_hi:[1,0,0]
	s_waitcnt vmcnt(2)
	v_mov_b32_e32 v6, v109
	v_mov_b32_e32 v9, v7
	v_pk_mul_f32 v[6:7], v[14:15], v[6:7] op_sel_hi:[1,0]
	v_pk_add_f32 v[4:5], v[4:5], v[8:9]
	v_pk_fma_f32 v[8:9], v[14:15], v[108:109], v[6:7] op_sel:[0,0,1] op_sel_hi:[1,1,0] neg_lo:[0,0,1] neg_hi:[0,0,1]
	v_pk_fma_f32 v[6:7], v[14:15], v[108:109], v[6:7] op_sel:[0,0,1] op_sel_hi:[1,0,0]
	s_waitcnt vmcnt(0)
	v_mov_b32_e32 v6, v111
	v_mov_b32_e32 v9, v7
	s_waitcnt lgkmcnt(0)
	v_pk_mul_f32 v[6:7], v[112:113], v[6:7] op_sel_hi:[1,0]
	v_pk_add_f32 v[4:5], v[4:5], v[8:9]
	v_pk_fma_f32 v[8:9], v[112:113], v[110:111], v[6:7] op_sel:[0,0,1] op_sel_hi:[1,1,0] neg_lo:[0,0,1] neg_hi:[0,0,1]
	v_pk_fma_f32 v[6:7], v[112:113], v[110:111], v[6:7] op_sel:[0,0,1] op_sel_hi:[1,0,0]
	v_mov_b32_e32 v9, v7
	v_pk_add_f32 v[4:5], v[4:5], v[8:9]
	v_pk_add_f32 v[4:5], v[16:17], v[4:5] neg_lo:[0,1] neg_hi:[0,1]
	buffer_store_dword v4, off, s[0:3], 0 offset:256
	buffer_store_dword v5, off, s[0:3], 0 offset:260
	s_and_saveexec_b64 s[4:5], vcc
	s_cbranch_execz .LBB39_191
; %bb.190:
	buffer_load_dword v4, off, s[0:3], 0 offset:248
	buffer_load_dword v5, off, s[0:3], 0 offset:252
	s_waitcnt vmcnt(0)
	ds_write_b64 v1, v[4:5]
	buffer_store_dword v2, off, s[0:3], 0 offset:248
	buffer_store_dword v2, off, s[0:3], 0 offset:252
.LBB39_191:
	s_or_b64 exec, exec, s[4:5]
	s_waitcnt lgkmcnt(0)
	; wave barrier
	s_waitcnt lgkmcnt(0)
	buffer_load_dword v16, off, s[0:3], 0 offset:248
	buffer_load_dword v17, off, s[0:3], 0 offset:252
	;; [unrolled: 1-line block ×16, first 2 shown]
	ds_read_b128 v[4:7], v2 offset:576
	ds_read_b128 v[8:11], v2 offset:592
	;; [unrolled: 1-line block ×4, first 2 shown]
	buffer_load_dword v3, off, s[0:3], 0 offset:316
	buffer_load_dword v2, off, s[0:3], 0 offset:312
	v_cmp_lt_u32_e32 vcc, 30, v0
	s_waitcnt vmcnt(14)
	v_mov_b32_e32 v116, v103
	s_waitcnt lgkmcnt(3)
	v_pk_mul_f32 v[116:117], v[4:5], v[116:117] op_sel_hi:[1,0]
	v_pk_fma_f32 v[118:119], v[4:5], v[102:103], v[116:117] op_sel:[0,0,1] op_sel_hi:[1,1,0] neg_lo:[0,0,1] neg_hi:[0,0,1]
	v_pk_fma_f32 v[4:5], v[4:5], v[102:103], v[116:117] op_sel:[0,0,1] op_sel_hi:[1,0,0]
	s_waitcnt vmcnt(12)
	v_mov_b32_e32 v102, v105
	v_pk_mul_f32 v[102:103], v[6:7], v[102:103] op_sel_hi:[1,0]
	v_pk_fma_f32 v[116:117], v[6:7], v[104:105], v[102:103] op_sel:[0,0,1] op_sel_hi:[1,1,0] neg_lo:[0,0,1] neg_hi:[0,0,1]
	v_pk_fma_f32 v[6:7], v[6:7], v[104:105], v[102:103] op_sel:[0,0,1] op_sel_hi:[1,0,0]
	s_waitcnt vmcnt(10)
	v_mov_b32_e32 v6, v107
	v_mov_b32_e32 v117, v7
	s_waitcnt lgkmcnt(2)
	v_pk_mul_f32 v[6:7], v[8:9], v[6:7] op_sel_hi:[1,0]
	v_pk_fma_f32 v[102:103], v[8:9], v[106:107], v[6:7] op_sel:[0,0,1] op_sel_hi:[1,1,0] neg_lo:[0,0,1] neg_hi:[0,0,1]
	v_pk_fma_f32 v[6:7], v[8:9], v[106:107], v[6:7] op_sel:[0,0,1] op_sel_hi:[1,0,0]
	s_waitcnt vmcnt(8)
	v_mov_b32_e32 v6, v109
	v_mov_b32_e32 v119, v5
	;; [unrolled: 1-line block ×3, first 2 shown]
	v_pk_mul_f32 v[6:7], v[10:11], v[6:7] op_sel_hi:[1,0]
	v_pk_add_f32 v[4:5], v[118:119], 0 op_sel_hi:[1,0]
	v_pk_fma_f32 v[8:9], v[10:11], v[108:109], v[6:7] op_sel:[0,0,1] op_sel_hi:[1,1,0] neg_lo:[0,0,1] neg_hi:[0,0,1]
	v_pk_fma_f32 v[6:7], v[10:11], v[108:109], v[6:7] op_sel:[0,0,1] op_sel_hi:[1,0,0]
	v_pk_add_f32 v[4:5], v[4:5], v[116:117]
	s_waitcnt vmcnt(6)
	v_mov_b32_e32 v6, v111
	v_pk_add_f32 v[4:5], v[4:5], v[102:103]
	v_mov_b32_e32 v9, v7
	s_waitcnt lgkmcnt(1)
	v_pk_mul_f32 v[6:7], v[12:13], v[6:7] op_sel_hi:[1,0]
	v_pk_add_f32 v[4:5], v[4:5], v[8:9]
	v_pk_fma_f32 v[8:9], v[12:13], v[110:111], v[6:7] op_sel:[0,0,1] op_sel_hi:[1,1,0] neg_lo:[0,0,1] neg_hi:[0,0,1]
	v_pk_fma_f32 v[6:7], v[12:13], v[110:111], v[6:7] op_sel:[0,0,1] op_sel_hi:[1,0,0]
	s_waitcnt vmcnt(4)
	v_mov_b32_e32 v6, v113
	v_mov_b32_e32 v9, v7
	v_pk_mul_f32 v[6:7], v[14:15], v[6:7] op_sel_hi:[1,0]
	v_pk_add_f32 v[4:5], v[4:5], v[8:9]
	v_pk_fma_f32 v[8:9], v[14:15], v[112:113], v[6:7] op_sel:[0,0,1] op_sel_hi:[1,1,0] neg_lo:[0,0,1] neg_hi:[0,0,1]
	v_pk_fma_f32 v[6:7], v[14:15], v[112:113], v[6:7] op_sel:[0,0,1] op_sel_hi:[1,0,0]
	s_waitcnt vmcnt(2)
	v_mov_b32_e32 v6, v115
	v_mov_b32_e32 v9, v7
	s_waitcnt lgkmcnt(0)
	v_pk_mul_f32 v[6:7], v[98:99], v[6:7] op_sel_hi:[1,0]
	v_pk_add_f32 v[4:5], v[4:5], v[8:9]
	v_pk_fma_f32 v[8:9], v[98:99], v[114:115], v[6:7] op_sel:[0,0,1] op_sel_hi:[1,1,0] neg_lo:[0,0,1] neg_hi:[0,0,1]
	v_pk_fma_f32 v[6:7], v[98:99], v[114:115], v[6:7] op_sel:[0,0,1] op_sel_hi:[1,0,0]
	s_waitcnt vmcnt(1)
	v_mov_b32_e32 v6, v3
	v_mov_b32_e32 v9, v7
	v_pk_mul_f32 v[6:7], v[100:101], v[6:7] op_sel_hi:[1,0]
	v_pk_add_f32 v[4:5], v[4:5], v[8:9]
	s_waitcnt vmcnt(0)
	v_pk_fma_f32 v[8:9], v[100:101], v[2:3], v[6:7] op_sel:[0,0,1] op_sel_hi:[1,1,0] neg_lo:[0,0,1] neg_hi:[0,0,1]
	v_pk_fma_f32 v[2:3], v[100:101], v[2:3], v[6:7] op_sel:[0,0,1] op_sel_hi:[1,0,0]
	v_mov_b32_e32 v9, v3
	v_pk_add_f32 v[2:3], v[4:5], v[8:9]
	v_pk_add_f32 v[2:3], v[16:17], v[2:3] neg_lo:[0,1] neg_hi:[0,1]
	buffer_store_dword v2, off, s[0:3], 0 offset:248
	buffer_store_dword v3, off, s[0:3], 0 offset:252
	s_and_saveexec_b64 s[4:5], vcc
	s_cbranch_execz .LBB39_193
; %bb.192:
	buffer_load_dword v2, off, s[0:3], 0 offset:240
	buffer_load_dword v3, off, s[0:3], 0 offset:244
	v_mov_b32_e32 v4, 0
	buffer_store_dword v4, off, s[0:3], 0 offset:240
	buffer_store_dword v4, off, s[0:3], 0 offset:244
	s_waitcnt vmcnt(2)
	ds_write_b64 v1, v[2:3]
.LBB39_193:
	s_or_b64 exec, exec, s[4:5]
	v_mov_b32_e32 v4, 0
	s_waitcnt lgkmcnt(0)
	; wave barrier
	s_waitcnt lgkmcnt(0)
	ds_read2_b64 v[6:9], v4 offset0:71 offset1:72
	buffer_load_dword v2, off, s[0:3], 0 offset:240
	buffer_load_dword v3, off, s[0:3], 0 offset:244
	;; [unrolled: 1-line block ×20, first 2 shown]
	v_cmp_lt_u32_e32 vcc, 29, v0
	s_waitcnt vmcnt(16) lgkmcnt(0)
	v_mul_f32_e32 v115, v6, v10
	v_fmac_f32_e32 v115, v7, v5
	v_mul_f32_e32 v7, v7, v10
	s_waitcnt vmcnt(14)
	v_mov_b32_e32 v120, v103
	v_fma_f32 v114, v6, v5, -v7
	ds_read2_b64 v[10:13], v4 offset0:73 offset1:74
	ds_read2_b64 v[14:17], v4 offset0:75 offset1:76
	;; [unrolled: 1-line block ×3, first 2 shown]
	ds_read_b64 v[6:7], v4 offset:632
	v_pk_mul_f32 v[120:121], v[8:9], v[120:121] op_sel_hi:[1,0]
	v_pk_fma_f32 v[122:123], v[8:9], v[102:103], v[120:121] op_sel:[0,0,1] op_sel_hi:[1,1,0] neg_lo:[0,0,1] neg_hi:[0,0,1]
	v_pk_fma_f32 v[8:9], v[8:9], v[102:103], v[120:121] op_sel:[0,0,1] op_sel_hi:[1,0,0]
	s_waitcnt vmcnt(12)
	v_mov_b32_e32 v102, v105
	v_pk_add_f32 v[114:115], v[114:115], 0 op_sel_hi:[1,0]
	v_mov_b32_e32 v123, v9
	s_waitcnt lgkmcnt(3)
	v_pk_mul_f32 v[102:103], v[10:11], v[102:103] op_sel_hi:[1,0]
	v_pk_add_f32 v[8:9], v[114:115], v[122:123]
	v_pk_fma_f32 v[114:115], v[10:11], v[104:105], v[102:103] op_sel:[0,0,1] op_sel_hi:[1,1,0] neg_lo:[0,0,1] neg_hi:[0,0,1]
	v_pk_fma_f32 v[10:11], v[10:11], v[104:105], v[102:103] op_sel:[0,0,1] op_sel_hi:[1,0,0]
	s_waitcnt vmcnt(10)
	v_mov_b32_e32 v10, v107
	v_mov_b32_e32 v115, v11
	v_pk_mul_f32 v[10:11], v[12:13], v[10:11] op_sel_hi:[1,0]
	v_pk_fma_f32 v[102:103], v[12:13], v[106:107], v[10:11] op_sel:[0,0,1] op_sel_hi:[1,1,0] neg_lo:[0,0,1] neg_hi:[0,0,1]
	v_pk_fma_f32 v[10:11], v[12:13], v[106:107], v[10:11] op_sel:[0,0,1] op_sel_hi:[1,0,0]
	s_waitcnt vmcnt(8)
	v_mov_b32_e32 v10, v109
	v_mov_b32_e32 v103, v11
	s_waitcnt lgkmcnt(2)
	v_pk_mul_f32 v[10:11], v[14:15], v[10:11] op_sel_hi:[1,0]
	v_pk_fma_f32 v[12:13], v[14:15], v[108:109], v[10:11] op_sel:[0,0,1] op_sel_hi:[1,1,0] neg_lo:[0,0,1] neg_hi:[0,0,1]
	v_pk_fma_f32 v[10:11], v[14:15], v[108:109], v[10:11] op_sel:[0,0,1] op_sel_hi:[1,0,0]
	v_pk_add_f32 v[8:9], v[8:9], v[114:115]
	s_waitcnt vmcnt(6)
	v_mov_b32_e32 v10, v111
	v_pk_add_f32 v[8:9], v[8:9], v[102:103]
	v_mov_b32_e32 v13, v11
	v_pk_mul_f32 v[10:11], v[16:17], v[10:11] op_sel_hi:[1,0]
	v_pk_add_f32 v[8:9], v[8:9], v[12:13]
	v_pk_fma_f32 v[12:13], v[16:17], v[110:111], v[10:11] op_sel:[0,0,1] op_sel_hi:[1,1,0] neg_lo:[0,0,1] neg_hi:[0,0,1]
	v_pk_fma_f32 v[10:11], v[16:17], v[110:111], v[10:11] op_sel:[0,0,1] op_sel_hi:[1,0,0]
	s_waitcnt vmcnt(4)
	v_mov_b32_e32 v10, v113
	v_mov_b32_e32 v13, v11
	s_waitcnt lgkmcnt(1)
	v_pk_mul_f32 v[10:11], v[98:99], v[10:11] op_sel_hi:[1,0]
	v_pk_add_f32 v[8:9], v[8:9], v[12:13]
	v_pk_fma_f32 v[12:13], v[98:99], v[112:113], v[10:11] op_sel:[0,0,1] op_sel_hi:[1,1,0] neg_lo:[0,0,1] neg_hi:[0,0,1]
	v_pk_fma_f32 v[10:11], v[98:99], v[112:113], v[10:11] op_sel:[0,0,1] op_sel_hi:[1,0,0]
	s_waitcnt vmcnt(3)
	v_mov_b32_e32 v10, v117
	v_mov_b32_e32 v13, v11
	v_pk_mul_f32 v[10:11], v[100:101], v[10:11] op_sel_hi:[1,0]
	v_pk_add_f32 v[8:9], v[8:9], v[12:13]
	s_waitcnt vmcnt(2)
	v_pk_fma_f32 v[12:13], v[100:101], v[116:117], v[10:11] op_sel:[0,0,1] op_sel_hi:[1,1,0] neg_lo:[0,0,1] neg_hi:[0,0,1]
	v_pk_fma_f32 v[10:11], v[100:101], v[116:117], v[10:11] op_sel:[0,0,1] op_sel_hi:[1,0,0]
	s_waitcnt vmcnt(1)
	v_mov_b32_e32 v10, v119
	v_mov_b32_e32 v13, v11
	s_waitcnt lgkmcnt(0)
	v_pk_mul_f32 v[10:11], v[6:7], v[10:11] op_sel_hi:[1,0]
	v_pk_add_f32 v[8:9], v[8:9], v[12:13]
	s_waitcnt vmcnt(0)
	v_pk_fma_f32 v[12:13], v[6:7], v[118:119], v[10:11] op_sel:[0,0,1] op_sel_hi:[1,1,0] neg_lo:[0,0,1] neg_hi:[0,0,1]
	v_pk_fma_f32 v[6:7], v[6:7], v[118:119], v[10:11] op_sel:[0,0,1] op_sel_hi:[1,0,0]
	v_mov_b32_e32 v13, v7
	v_pk_add_f32 v[6:7], v[8:9], v[12:13]
	v_pk_add_f32 v[2:3], v[2:3], v[6:7] neg_lo:[0,1] neg_hi:[0,1]
	buffer_store_dword v2, off, s[0:3], 0 offset:240
	buffer_store_dword v3, off, s[0:3], 0 offset:244
	s_and_saveexec_b64 s[4:5], vcc
	s_cbranch_execz .LBB39_195
; %bb.194:
	buffer_load_dword v2, off, s[0:3], 0 offset:232
	buffer_load_dword v3, off, s[0:3], 0 offset:236
	s_waitcnt vmcnt(0)
	ds_write_b64 v1, v[2:3]
	buffer_store_dword v4, off, s[0:3], 0 offset:232
	buffer_store_dword v4, off, s[0:3], 0 offset:236
.LBB39_195:
	s_or_b64 exec, exec, s[4:5]
	s_waitcnt lgkmcnt(0)
	; wave barrier
	s_waitcnt lgkmcnt(0)
	ds_read_b128 v[6:9], v4 offset:560
	ds_read_b128 v[10:13], v4 offset:576
	;; [unrolled: 1-line block ×4, first 2 shown]
	buffer_load_dword v2, off, s[0:3], 0 offset:232
	buffer_load_dword v3, off, s[0:3], 0 offset:236
	;; [unrolled: 1-line block ×22, first 2 shown]
	v_cmp_lt_u32_e32 vcc, 28, v0
	s_waitcnt vmcnt(18) lgkmcnt(3)
	v_mul_f32_e32 v113, v6, v112
	v_fmac_f32_e32 v113, v7, v5
	v_mul_f32_e32 v7, v7, v112
	s_waitcnt vmcnt(16)
	v_mul_f32_e32 v115, v8, v122
	v_fma_f32 v112, v6, v5, -v7
	v_mul_f32_e32 v5, v9, v122
	v_fmac_f32_e32 v115, v9, v114
	v_fma_f32 v114, v8, v114, -v5
	v_pk_add_f32 v[8:9], v[112:113], 0 op_sel_hi:[1,0]
	s_waitcnt vmcnt(14)
	v_mov_b32_e32 v112, v103
	s_waitcnt lgkmcnt(2)
	v_pk_mul_f32 v[112:113], v[10:11], v[112:113] op_sel_hi:[1,0]
	v_pk_add_f32 v[8:9], v[8:9], v[114:115]
	v_pk_fma_f32 v[114:115], v[10:11], v[102:103], v[112:113] op_sel:[0,0,1] op_sel_hi:[1,1,0] neg_lo:[0,0,1] neg_hi:[0,0,1]
	v_pk_fma_f32 v[10:11], v[10:11], v[102:103], v[112:113] op_sel:[0,0,1] op_sel_hi:[1,0,0]
	s_waitcnt vmcnt(12)
	v_mov_b32_e32 v10, v105
	v_mov_b32_e32 v115, v11
	v_pk_mul_f32 v[10:11], v[12:13], v[10:11] op_sel_hi:[1,0]
	v_pk_fma_f32 v[102:103], v[12:13], v[104:105], v[10:11] op_sel:[0,0,1] op_sel_hi:[1,1,0] neg_lo:[0,0,1] neg_hi:[0,0,1]
	v_pk_fma_f32 v[10:11], v[12:13], v[104:105], v[10:11] op_sel:[0,0,1] op_sel_hi:[1,0,0]
	s_waitcnt vmcnt(10)
	v_mov_b32_e32 v10, v107
	v_mov_b32_e32 v103, v11
	s_waitcnt lgkmcnt(1)
	v_pk_mul_f32 v[10:11], v[14:15], v[10:11] op_sel_hi:[1,0]
	v_pk_fma_f32 v[12:13], v[14:15], v[106:107], v[10:11] op_sel:[0,0,1] op_sel_hi:[1,1,0] neg_lo:[0,0,1] neg_hi:[0,0,1]
	v_pk_fma_f32 v[10:11], v[14:15], v[106:107], v[10:11] op_sel:[0,0,1] op_sel_hi:[1,0,0]
	v_pk_add_f32 v[8:9], v[8:9], v[114:115]
	s_waitcnt vmcnt(8)
	v_mov_b32_e32 v10, v109
	v_pk_add_f32 v[8:9], v[8:9], v[102:103]
	v_mov_b32_e32 v13, v11
	v_pk_mul_f32 v[10:11], v[16:17], v[10:11] op_sel_hi:[1,0]
	v_pk_add_f32 v[8:9], v[8:9], v[12:13]
	v_pk_fma_f32 v[12:13], v[16:17], v[108:109], v[10:11] op_sel:[0,0,1] op_sel_hi:[1,1,0] neg_lo:[0,0,1] neg_hi:[0,0,1]
	v_pk_fma_f32 v[10:11], v[16:17], v[108:109], v[10:11] op_sel:[0,0,1] op_sel_hi:[1,0,0]
	s_waitcnt vmcnt(6)
	v_mov_b32_e32 v10, v111
	v_mov_b32_e32 v13, v11
	s_waitcnt lgkmcnt(0)
	v_pk_mul_f32 v[10:11], v[98:99], v[10:11] op_sel_hi:[1,0]
	ds_read_b128 v[4:7], v4 offset:624
	v_pk_add_f32 v[8:9], v[8:9], v[12:13]
	v_pk_fma_f32 v[12:13], v[98:99], v[110:111], v[10:11] op_sel:[0,0,1] op_sel_hi:[1,1,0] neg_lo:[0,0,1] neg_hi:[0,0,1]
	v_pk_fma_f32 v[10:11], v[98:99], v[110:111], v[10:11] op_sel:[0,0,1] op_sel_hi:[1,0,0]
	s_waitcnt vmcnt(5)
	v_mov_b32_e32 v10, v117
	v_mov_b32_e32 v13, v11
	v_pk_mul_f32 v[10:11], v[100:101], v[10:11] op_sel_hi:[1,0]
	v_pk_add_f32 v[8:9], v[8:9], v[12:13]
	s_waitcnt vmcnt(4)
	v_pk_fma_f32 v[12:13], v[100:101], v[116:117], v[10:11] op_sel:[0,0,1] op_sel_hi:[1,1,0] neg_lo:[0,0,1] neg_hi:[0,0,1]
	v_pk_fma_f32 v[10:11], v[100:101], v[116:117], v[10:11] op_sel:[0,0,1] op_sel_hi:[1,0,0]
	s_waitcnt vmcnt(3)
	v_mov_b32_e32 v10, v119
	v_mov_b32_e32 v13, v11
	s_waitcnt lgkmcnt(0)
	v_pk_mul_f32 v[10:11], v[4:5], v[10:11] op_sel_hi:[1,0]
	v_pk_add_f32 v[8:9], v[8:9], v[12:13]
	s_waitcnt vmcnt(2)
	v_pk_fma_f32 v[12:13], v[4:5], v[118:119], v[10:11] op_sel:[0,0,1] op_sel_hi:[1,1,0] neg_lo:[0,0,1] neg_hi:[0,0,1]
	v_pk_fma_f32 v[4:5], v[4:5], v[118:119], v[10:11] op_sel:[0,0,1] op_sel_hi:[1,0,0]
	v_mov_b32_e32 v13, v5
	v_pk_add_f32 v[4:5], v[8:9], v[12:13]
	s_waitcnt vmcnt(1)
	v_mov_b32_e32 v8, v121
	v_pk_mul_f32 v[8:9], v[6:7], v[8:9] op_sel_hi:[1,0]
	s_waitcnt vmcnt(0)
	v_pk_fma_f32 v[10:11], v[6:7], v[120:121], v[8:9] op_sel:[0,0,1] op_sel_hi:[1,1,0] neg_lo:[0,0,1] neg_hi:[0,0,1]
	v_pk_fma_f32 v[6:7], v[6:7], v[120:121], v[8:9] op_sel:[0,0,1] op_sel_hi:[1,0,0]
	v_mov_b32_e32 v11, v7
	v_pk_add_f32 v[4:5], v[4:5], v[10:11]
	v_pk_add_f32 v[2:3], v[2:3], v[4:5] neg_lo:[0,1] neg_hi:[0,1]
	buffer_store_dword v2, off, s[0:3], 0 offset:232
	buffer_store_dword v3, off, s[0:3], 0 offset:236
	s_and_saveexec_b64 s[4:5], vcc
	s_cbranch_execz .LBB39_197
; %bb.196:
	buffer_load_dword v2, off, s[0:3], 0 offset:224
	buffer_load_dword v3, off, s[0:3], 0 offset:228
	v_mov_b32_e32 v4, 0
	buffer_store_dword v4, off, s[0:3], 0 offset:224
	buffer_store_dword v4, off, s[0:3], 0 offset:228
	s_waitcnt vmcnt(2)
	ds_write_b64 v1, v[2:3]
.LBB39_197:
	s_or_b64 exec, exec, s[4:5]
	v_mov_b32_e32 v4, 0
	s_waitcnt lgkmcnt(0)
	; wave barrier
	s_waitcnt lgkmcnt(0)
	ds_read2_b64 v[6:9], v4 offset0:69 offset1:70
	buffer_load_dword v2, off, s[0:3], 0 offset:224
	buffer_load_dword v3, off, s[0:3], 0 offset:228
	;; [unrolled: 1-line block ×16, first 2 shown]
	v_cmp_lt_u32_e32 vcc, 27, v0
	s_waitcnt vmcnt(12) lgkmcnt(0)
	v_mul_f32_e32 v10, v6, v14
	v_fmac_f32_e32 v10, v7, v5
	v_add_f32_e32 v111, 0, v10
	ds_read2_b64 v[10:13], v4 offset0:71 offset1:72
	buffer_load_dword v117, off, s[0:3], 0 offset:292
	buffer_load_dword v116, off, s[0:3], 0 offset:288
	buffer_load_dword v119, off, s[0:3], 0 offset:300
	buffer_load_dword v118, off, s[0:3], 0 offset:296
	buffer_load_dword v121, off, s[0:3], 0 offset:308
	buffer_load_dword v120, off, s[0:3], 0 offset:304
	buffer_load_dword v123, off, s[0:3], 0 offset:316
	buffer_load_dword v122, off, s[0:3], 0 offset:312
	v_mul_f32_e32 v7, v7, v14
	v_fma_f32 v5, v6, v5, -v7
	s_waitcnt vmcnt(18)
	v_mul_f32_e32 v113, v8, v16
	v_add_f32_e32 v110, 0, v5
	v_mul_f32_e32 v5, v9, v16
	v_fmac_f32_e32 v113, v9, v15
	v_fma_f32 v112, v8, v15, -v5
	s_waitcnt vmcnt(16) lgkmcnt(0)
	v_mul_f32_e32 v115, v10, v98
	v_mul_f32_e32 v5, v11, v98
	v_pk_add_f32 v[110:111], v[110:111], v[112:113]
	s_waitcnt vmcnt(14)
	v_mov_b32_e32 v112, v103
	v_fmac_f32_e32 v115, v11, v17
	v_fma_f32 v114, v10, v17, -v5
	ds_read2_b64 v[6:9], v4 offset0:73 offset1:74
	ds_read2_b64 v[14:17], v4 offset0:75 offset1:76
	;; [unrolled: 1-line block ×3, first 2 shown]
	ds_read_b64 v[10:11], v4 offset:632
	v_pk_mul_f32 v[112:113], v[12:13], v[112:113] op_sel_hi:[1,0]
	v_pk_add_f32 v[110:111], v[110:111], v[114:115]
	v_pk_fma_f32 v[114:115], v[12:13], v[102:103], v[112:113] op_sel:[0,0,1] op_sel_hi:[1,1,0] neg_lo:[0,0,1] neg_hi:[0,0,1]
	v_pk_fma_f32 v[12:13], v[12:13], v[102:103], v[112:113] op_sel:[0,0,1] op_sel_hi:[1,0,0]
	s_waitcnt vmcnt(12)
	v_mov_b32_e32 v102, v105
	v_mov_b32_e32 v115, v13
	s_waitcnt lgkmcnt(3)
	v_pk_mul_f32 v[102:103], v[6:7], v[102:103] op_sel_hi:[1,0]
	v_pk_add_f32 v[12:13], v[110:111], v[114:115]
	v_pk_fma_f32 v[110:111], v[6:7], v[104:105], v[102:103] op_sel:[0,0,1] op_sel_hi:[1,1,0] neg_lo:[0,0,1] neg_hi:[0,0,1]
	v_pk_fma_f32 v[6:7], v[6:7], v[104:105], v[102:103] op_sel:[0,0,1] op_sel_hi:[1,0,0]
	v_mov_b32_e32 v111, v7
	v_pk_add_f32 v[6:7], v[12:13], v[110:111]
	s_waitcnt vmcnt(10)
	v_mov_b32_e32 v12, v107
	v_pk_mul_f32 v[12:13], v[8:9], v[12:13] op_sel_hi:[1,0]
	v_pk_fma_f32 v[102:103], v[8:9], v[106:107], v[12:13] op_sel:[0,0,1] op_sel_hi:[1,1,0] neg_lo:[0,0,1] neg_hi:[0,0,1]
	v_pk_fma_f32 v[8:9], v[8:9], v[106:107], v[12:13] op_sel:[0,0,1] op_sel_hi:[1,0,0]
	s_waitcnt vmcnt(8)
	v_mov_b32_e32 v8, v109
	v_mov_b32_e32 v103, v9
	s_waitcnt lgkmcnt(2)
	v_pk_mul_f32 v[8:9], v[14:15], v[8:9] op_sel_hi:[1,0]
	v_pk_fma_f32 v[12:13], v[14:15], v[108:109], v[8:9] op_sel:[0,0,1] op_sel_hi:[1,1,0] neg_lo:[0,0,1] neg_hi:[0,0,1]
	v_pk_fma_f32 v[8:9], v[14:15], v[108:109], v[8:9] op_sel:[0,0,1] op_sel_hi:[1,0,0]
	v_pk_add_f32 v[6:7], v[6:7], v[102:103]
	v_mov_b32_e32 v13, v9
	v_pk_add_f32 v[6:7], v[6:7], v[12:13]
	s_waitcnt vmcnt(7)
	v_mov_b32_e32 v8, v117
	v_pk_mul_f32 v[8:9], v[16:17], v[8:9] op_sel_hi:[1,0]
	s_waitcnt vmcnt(6)
	v_pk_fma_f32 v[12:13], v[16:17], v[116:117], v[8:9] op_sel:[0,0,1] op_sel_hi:[1,1,0] neg_lo:[0,0,1] neg_hi:[0,0,1]
	v_pk_fma_f32 v[8:9], v[16:17], v[116:117], v[8:9] op_sel:[0,0,1] op_sel_hi:[1,0,0]
	s_waitcnt vmcnt(5)
	v_mov_b32_e32 v8, v119
	v_mov_b32_e32 v13, v9
	s_waitcnt lgkmcnt(1)
	v_pk_mul_f32 v[8:9], v[98:99], v[8:9] op_sel_hi:[1,0]
	v_pk_add_f32 v[6:7], v[6:7], v[12:13]
	s_waitcnt vmcnt(4)
	v_pk_fma_f32 v[12:13], v[98:99], v[118:119], v[8:9] op_sel:[0,0,1] op_sel_hi:[1,1,0] neg_lo:[0,0,1] neg_hi:[0,0,1]
	v_pk_fma_f32 v[8:9], v[98:99], v[118:119], v[8:9] op_sel:[0,0,1] op_sel_hi:[1,0,0]
	s_waitcnt vmcnt(3)
	v_mov_b32_e32 v8, v121
	v_mov_b32_e32 v13, v9
	v_pk_mul_f32 v[8:9], v[100:101], v[8:9] op_sel_hi:[1,0]
	v_pk_add_f32 v[6:7], v[6:7], v[12:13]
	s_waitcnt vmcnt(2)
	v_pk_fma_f32 v[12:13], v[100:101], v[120:121], v[8:9] op_sel:[0,0,1] op_sel_hi:[1,1,0] neg_lo:[0,0,1] neg_hi:[0,0,1]
	v_pk_fma_f32 v[8:9], v[100:101], v[120:121], v[8:9] op_sel:[0,0,1] op_sel_hi:[1,0,0]
	s_waitcnt vmcnt(1)
	v_mov_b32_e32 v8, v123
	v_mov_b32_e32 v13, v9
	s_waitcnt lgkmcnt(0)
	v_pk_mul_f32 v[8:9], v[10:11], v[8:9] op_sel_hi:[1,0]
	v_pk_add_f32 v[6:7], v[6:7], v[12:13]
	s_waitcnt vmcnt(0)
	v_pk_fma_f32 v[12:13], v[10:11], v[122:123], v[8:9] op_sel:[0,0,1] op_sel_hi:[1,1,0] neg_lo:[0,0,1] neg_hi:[0,0,1]
	v_pk_fma_f32 v[8:9], v[10:11], v[122:123], v[8:9] op_sel:[0,0,1] op_sel_hi:[1,0,0]
	v_mov_b32_e32 v13, v9
	v_pk_add_f32 v[6:7], v[6:7], v[12:13]
	v_pk_add_f32 v[2:3], v[2:3], v[6:7] neg_lo:[0,1] neg_hi:[0,1]
	buffer_store_dword v3, off, s[0:3], 0 offset:228
	buffer_store_dword v2, off, s[0:3], 0 offset:224
	s_and_saveexec_b64 s[4:5], vcc
	s_cbranch_execz .LBB39_199
; %bb.198:
	buffer_load_dword v2, off, s[0:3], 0 offset:216
	buffer_load_dword v3, off, s[0:3], 0 offset:220
	s_waitcnt vmcnt(0)
	ds_write_b64 v1, v[2:3]
	buffer_store_dword v4, off, s[0:3], 0 offset:216
	buffer_store_dword v4, off, s[0:3], 0 offset:220
.LBB39_199:
	s_or_b64 exec, exec, s[4:5]
	s_waitcnt lgkmcnt(0)
	; wave barrier
	s_waitcnt lgkmcnt(0)
	buffer_load_dword v124, off, s[0:3], 0 offset:228
	buffer_load_dword v126, off, s[0:3], 0 offset:236
	buffer_load_dword v128, off, s[0:3], 0 offset:244
	buffer_load_dword v129, off, s[0:3], 0 offset:252
	buffer_load_dword v107, off, s[0:3], 0 offset:260
	buffer_load_dword v109, off, s[0:3], 0 offset:268
	buffer_load_dword v111, off, s[0:3], 0 offset:276
	buffer_load_dword v113, off, s[0:3], 0 offset:284
	buffer_load_dword v115, off, s[0:3], 0 offset:292
	buffer_load_dword v117, off, s[0:3], 0 offset:300
	buffer_load_dword v131, off, s[0:3], 0 offset:224
	buffer_load_dword v133, off, s[0:3], 0 offset:232
	buffer_load_dword v135, off, s[0:3], 0 offset:240
	buffer_load_dword v137, off, s[0:3], 0 offset:248
	buffer_load_dword v106, off, s[0:3], 0 offset:256
	buffer_load_dword v108, off, s[0:3], 0 offset:264
	buffer_load_dword v110, off, s[0:3], 0 offset:272
	buffer_load_dword v118, off, s[0:3], 0 offset:304
	buffer_load_dword v116, off, s[0:3], 0 offset:296
	buffer_load_dword v114, off, s[0:3], 0 offset:288
	buffer_load_dword v112, off, s[0:3], 0 offset:280
	buffer_load_dword v119, off, s[0:3], 0 offset:308
	buffer_load_dword v121, off, s[0:3], 0 offset:316
	buffer_load_dword v120, off, s[0:3], 0 offset:312
	buffer_load_dword v122, off, s[0:3], 0 offset:216
	buffer_load_dword v123, off, s[0:3], 0 offset:220
	ds_read_b128 v[6:9], v4 offset:544
	ds_read_b128 v[10:13], v4 offset:560
	;; [unrolled: 1-line block ×6, first 2 shown]
	v_cmp_lt_u32_e32 vcc, 26, v0
	s_waitcnt vmcnt(25) lgkmcnt(5)
	v_mul_f32_e32 v139, v6, v124
	v_mul_f32_e32 v124, v7, v124
	s_waitcnt vmcnt(24)
	v_mul_f32_e32 v140, v8, v126
	s_waitcnt vmcnt(23) lgkmcnt(4)
	v_mul_f32_e32 v125, v10, v128
	s_waitcnt vmcnt(22)
	v_mul_f32_e32 v127, v12, v129
	v_mul_f32_e32 v126, v9, v126
	v_mul_f32_e32 v141, v11, v128
	v_mul_f32_e32 v129, v13, v129
	s_waitcnt vmcnt(21)
	v_mov_b32_e32 v128, v107
	s_waitcnt vmcnt(20)
	v_mov_b32_e32 v130, v109
	;; [unrolled: 2-line block ×3, first 2 shown]
	s_waitcnt vmcnt(15)
	v_fmac_f32_e32 v139, v7, v131
	v_fma_f32 v142, v6, v131, -v124
	v_mov_b32_e32 v132, v111
	s_waitcnt vmcnt(14)
	v_fmac_f32_e32 v140, v9, v133
	s_waitcnt vmcnt(13)
	v_fmac_f32_e32 v125, v11, v135
	s_waitcnt vmcnt(12)
	v_fmac_f32_e32 v127, v13, v137
	v_fma_f32 v143, v8, v133, -v126
	v_fma_f32 v124, v10, v135, -v141
	;; [unrolled: 1-line block ×3, first 2 shown]
	s_waitcnt lgkmcnt(3)
	v_pk_mul_f32 v[6:7], v[14:15], v[128:129] op_sel_hi:[1,0]
	v_pk_mul_f32 v[8:9], v[16:17], v[130:131] op_sel_hi:[1,0]
	s_waitcnt lgkmcnt(2)
	v_pk_mul_f32 v[12:13], v[100:101], v[134:135] op_sel_hi:[1,0]
	v_add_f32_e32 v134, 0, v139
	v_add_f32_e32 v135, 0, v142
	v_pk_mul_f32 v[10:11], v[98:99], v[132:133] op_sel_hi:[1,0]
	s_waitcnt vmcnt(11)
	v_pk_fma_f32 v[132:133], v[14:15], v[106:107], v[6:7] op_sel:[0,0,1] op_sel_hi:[1,1,0] neg_lo:[0,0,1] neg_hi:[0,0,1]
	v_pk_fma_f32 v[6:7], v[14:15], v[106:107], v[6:7] op_sel:[0,0,1] op_sel_hi:[1,0,0]
	s_waitcnt vmcnt(10)
	v_pk_fma_f32 v[14:15], v[16:17], v[108:109], v[8:9] op_sel:[0,0,1] op_sel_hi:[1,1,0] neg_lo:[0,0,1] neg_hi:[0,0,1]
	v_pk_fma_f32 v[8:9], v[16:17], v[108:109], v[8:9] op_sel:[0,0,1] op_sel_hi:[1,0,0]
	v_add_f32_e32 v109, v134, v140
	v_add_f32_e32 v108, v135, v143
	v_mov_b32_e32 v133, v7
	v_pk_add_f32 v[6:7], v[108:109], v[124:125]
	v_pk_add_f32 v[6:7], v[6:7], v[126:127]
	v_mov_b32_e32 v136, v115
	s_waitcnt vmcnt(9)
	v_pk_fma_f32 v[16:17], v[98:99], v[110:111], v[10:11] op_sel:[0,0,1] op_sel_hi:[1,1,0] neg_lo:[0,0,1] neg_hi:[0,0,1]
	v_pk_fma_f32 v[10:11], v[98:99], v[110:111], v[10:11] op_sel:[0,0,1] op_sel_hi:[1,0,0]
	v_mov_b32_e32 v15, v9
	v_pk_add_f32 v[6:7], v[6:7], v[132:133]
	v_mov_b32_e32 v138, v117
	s_waitcnt lgkmcnt(1)
	v_pk_mul_f32 v[128:129], v[102:103], v[136:137] op_sel_hi:[1,0]
	s_waitcnt vmcnt(5)
	v_pk_fma_f32 v[98:99], v[100:101], v[112:113], v[12:13] op_sel:[0,0,1] op_sel_hi:[1,1,0] neg_lo:[0,0,1] neg_hi:[0,0,1]
	v_pk_fma_f32 v[12:13], v[100:101], v[112:113], v[12:13] op_sel:[0,0,1] op_sel_hi:[1,0,0]
	v_mov_b32_e32 v17, v11
	v_pk_add_f32 v[6:7], v[6:7], v[14:15]
	v_pk_mul_f32 v[130:131], v[104:105], v[138:139] op_sel_hi:[1,0]
	v_pk_fma_f32 v[100:101], v[102:103], v[114:115], v[128:129] op_sel:[0,0,1] op_sel_hi:[1,1,0] neg_lo:[0,0,1] neg_hi:[0,0,1]
	v_pk_fma_f32 v[102:103], v[102:103], v[114:115], v[128:129] op_sel:[0,0,1] op_sel_hi:[1,0,0]
	v_mov_b32_e32 v99, v13
	v_pk_add_f32 v[6:7], v[6:7], v[16:17]
	s_waitcnt vmcnt(4)
	v_mov_b32_e32 v8, v119
	v_pk_fma_f32 v[106:107], v[104:105], v[116:117], v[130:131] op_sel:[0,0,1] op_sel_hi:[1,1,0] neg_lo:[0,0,1] neg_hi:[0,0,1]
	v_pk_fma_f32 v[104:105], v[104:105], v[116:117], v[130:131] op_sel:[0,0,1] op_sel_hi:[1,0,0]
	v_mov_b32_e32 v101, v103
	v_pk_add_f32 v[6:7], v[6:7], v[98:99]
	s_waitcnt lgkmcnt(0)
	v_pk_mul_f32 v[8:9], v[2:3], v[8:9] op_sel_hi:[1,0]
	v_mov_b32_e32 v107, v105
	v_pk_add_f32 v[6:7], v[6:7], v[100:101]
	v_pk_fma_f32 v[10:11], v[2:3], v[118:119], v[8:9] op_sel:[0,0,1] op_sel_hi:[1,1,0] neg_lo:[0,0,1] neg_hi:[0,0,1]
	v_pk_fma_f32 v[2:3], v[2:3], v[118:119], v[8:9] op_sel:[0,0,1] op_sel_hi:[1,0,0]
	v_pk_add_f32 v[6:7], v[6:7], v[106:107]
	v_mov_b32_e32 v11, v3
	v_pk_add_f32 v[2:3], v[6:7], v[10:11]
	s_waitcnt vmcnt(3)
	v_mov_b32_e32 v6, v121
	v_pk_mul_f32 v[6:7], v[4:5], v[6:7] op_sel_hi:[1,0]
	s_waitcnt vmcnt(2)
	v_pk_fma_f32 v[8:9], v[4:5], v[120:121], v[6:7] op_sel:[0,0,1] op_sel_hi:[1,1,0] neg_lo:[0,0,1] neg_hi:[0,0,1]
	v_pk_fma_f32 v[4:5], v[4:5], v[120:121], v[6:7] op_sel:[0,0,1] op_sel_hi:[1,0,0]
	v_mov_b32_e32 v9, v5
	v_pk_add_f32 v[2:3], v[2:3], v[8:9]
	s_waitcnt vmcnt(0)
	v_pk_add_f32 v[2:3], v[122:123], v[2:3] neg_lo:[0,1] neg_hi:[0,1]
	buffer_store_dword v3, off, s[0:3], 0 offset:220
	buffer_store_dword v2, off, s[0:3], 0 offset:216
	s_and_saveexec_b64 s[4:5], vcc
	s_cbranch_execz .LBB39_201
; %bb.200:
	buffer_load_dword v2, off, s[0:3], 0 offset:208
	buffer_load_dword v3, off, s[0:3], 0 offset:212
	v_mov_b32_e32 v4, 0
	buffer_store_dword v4, off, s[0:3], 0 offset:208
	buffer_store_dword v4, off, s[0:3], 0 offset:212
	s_waitcnt vmcnt(2)
	ds_write_b64 v1, v[2:3]
.LBB39_201:
	s_or_b64 exec, exec, s[4:5]
	s_waitcnt lgkmcnt(0)
	; wave barrier
	s_waitcnt lgkmcnt(0)
	buffer_load_dword v3, off, s[0:3], 0 offset:220
	buffer_load_dword v128, off, s[0:3], 0 offset:228
	;; [unrolled: 1-line block ×28, first 2 shown]
	v_mov_b32_e32 v2, 0
	ds_read2_b64 v[4:7], v2 offset0:67 offset1:68
	ds_read2_b64 v[8:11], v2 offset0:69 offset1:70
	;; [unrolled: 1-line block ×6, first 2 shown]
	ds_read_b64 v[126:127], v2 offset:632
	v_cmp_lt_u32_e32 vcc, 25, v0
	s_waitcnt vmcnt(27) lgkmcnt(6)
	v_mul_f32_e32 v143, v4, v3
	v_mul_f32_e32 v3, v5, v3
	s_waitcnt vmcnt(26)
	v_mul_f32_e32 v144, v6, v128
	s_waitcnt vmcnt(24) lgkmcnt(5)
	v_mul_f32_e32 v129, v10, v132
	s_waitcnt vmcnt(23) lgkmcnt(4)
	v_mul_f32_e32 v131, v12, v133
	v_mul_f32_e32 v146, v11, v132
	;; [unrolled: 1-line block ×3, first 2 shown]
	s_waitcnt vmcnt(22)
	v_mov_b32_e32 v132, v17
	v_mul_f32_e32 v145, v8, v130
	v_mul_f32_e32 v128, v7, v128
	;; [unrolled: 1-line block ×3, first 2 shown]
	s_waitcnt vmcnt(17)
	v_fmac_f32_e32 v143, v5, v135
	v_fma_f32 v3, v4, v135, -v3
	v_pk_mul_f32 v[4:5], v[14:15], v[132:133] op_sel_hi:[1,0]
	s_waitcnt vmcnt(16)
	v_fmac_f32_e32 v144, v7, v137
	s_waitcnt vmcnt(13)
	v_fmac_f32_e32 v131, v13, v142
	v_fma_f32 v135, v6, v137, -v128
	v_fma_f32 v137, v8, v139, -v130
	;; [unrolled: 1-line block ×3, first 2 shown]
	v_add_f32_e32 v132, 0, v143
	v_add_f32_e32 v3, 0, v3
	s_waitcnt vmcnt(12)
	v_pk_fma_f32 v[12:13], v[14:15], v[16:17], v[4:5] op_sel:[0,0,1] op_sel_hi:[1,1,0] neg_lo:[0,0,1] neg_hi:[0,0,1]
	v_pk_fma_f32 v[4:5], v[14:15], v[16:17], v[4:5] op_sel:[0,0,1] op_sel_hi:[1,0,0]
	v_fmac_f32_e32 v145, v9, v139
	v_add_f32_e32 v4, v132, v144
	v_add_f32_e32 v3, v3, v135
	v_mov_b32_e32 v134, v111
	v_fmac_f32_e32 v129, v11, v141
	v_fma_f32 v128, v10, v141, -v146
	v_mov_b32_e32 v13, v5
	v_add_f32_e32 v5, v4, v145
	v_add_f32_e32 v4, v3, v137
	v_mov_b32_e32 v136, v113
	s_waitcnt lgkmcnt(3)
	v_pk_mul_f32 v[6:7], v[98:99], v[134:135] op_sel_hi:[1,0]
	v_pk_add_f32 v[4:5], v[4:5], v[128:129]
	v_mov_b32_e32 v138, v115
	v_mov_b32_e32 v140, v117
	v_pk_mul_f32 v[8:9], v[100:101], v[136:137] op_sel_hi:[1,0]
	s_waitcnt vmcnt(11)
	v_pk_fma_f32 v[14:15], v[98:99], v[110:111], v[6:7] op_sel:[0,0,1] op_sel_hi:[1,1,0] neg_lo:[0,0,1] neg_hi:[0,0,1]
	v_pk_fma_f32 v[6:7], v[98:99], v[110:111], v[6:7] op_sel:[0,0,1] op_sel_hi:[1,0,0]
	v_pk_add_f32 v[4:5], v[4:5], v[130:131]
	s_waitcnt lgkmcnt(2)
	v_pk_mul_f32 v[10:11], v[102:103], v[138:139] op_sel_hi:[1,0]
	s_waitcnt vmcnt(7)
	v_pk_fma_f32 v[16:17], v[100:101], v[112:113], v[8:9] op_sel:[0,0,1] op_sel_hi:[1,1,0] neg_lo:[0,0,1] neg_hi:[0,0,1]
	v_pk_fma_f32 v[8:9], v[100:101], v[112:113], v[8:9] op_sel:[0,0,1] op_sel_hi:[1,0,0]
	v_mov_b32_e32 v15, v7
	v_pk_add_f32 v[4:5], v[4:5], v[12:13]
	v_pk_mul_f32 v[6:7], v[104:105], v[140:141] op_sel_hi:[1,0]
	v_pk_fma_f32 v[98:99], v[102:103], v[114:115], v[10:11] op_sel:[0,0,1] op_sel_hi:[1,1,0] neg_lo:[0,0,1] neg_hi:[0,0,1]
	v_pk_fma_f32 v[10:11], v[102:103], v[114:115], v[10:11] op_sel:[0,0,1] op_sel_hi:[1,0,0]
	v_mov_b32_e32 v17, v9
	v_pk_add_f32 v[4:5], v[4:5], v[14:15]
	v_pk_fma_f32 v[8:9], v[104:105], v[116:117], v[6:7] op_sel:[0,0,1] op_sel_hi:[1,1,0] neg_lo:[0,0,1] neg_hi:[0,0,1]
	v_pk_fma_f32 v[6:7], v[104:105], v[116:117], v[6:7] op_sel:[0,0,1] op_sel_hi:[1,0,0]
	v_mov_b32_e32 v99, v11
	v_pk_add_f32 v[4:5], v[4:5], v[16:17]
	s_waitcnt vmcnt(6)
	v_mov_b32_e32 v6, v119
	v_pk_add_f32 v[4:5], v[4:5], v[98:99]
	v_mov_b32_e32 v9, v7
	s_waitcnt lgkmcnt(1)
	v_pk_mul_f32 v[6:7], v[106:107], v[6:7] op_sel_hi:[1,0]
	v_pk_add_f32 v[4:5], v[4:5], v[8:9]
	v_pk_fma_f32 v[8:9], v[106:107], v[118:119], v[6:7] op_sel:[0,0,1] op_sel_hi:[1,1,0] neg_lo:[0,0,1] neg_hi:[0,0,1]
	v_pk_fma_f32 v[6:7], v[106:107], v[118:119], v[6:7] op_sel:[0,0,1] op_sel_hi:[1,0,0]
	s_waitcnt vmcnt(5)
	v_mov_b32_e32 v6, v121
	v_mov_b32_e32 v9, v7
	v_pk_mul_f32 v[6:7], v[108:109], v[6:7] op_sel_hi:[1,0]
	v_pk_add_f32 v[4:5], v[4:5], v[8:9]
	s_waitcnt vmcnt(3)
	v_pk_fma_f32 v[8:9], v[108:109], v[120:121], v[6:7] op_sel:[0,0,1] op_sel_hi:[1,1,0] neg_lo:[0,0,1] neg_hi:[0,0,1]
	v_pk_fma_f32 v[6:7], v[108:109], v[120:121], v[6:7] op_sel:[0,0,1] op_sel_hi:[1,0,0]
	s_waitcnt vmcnt(2)
	v_mov_b32_e32 v6, v123
	v_mov_b32_e32 v9, v7
	s_waitcnt lgkmcnt(0)
	v_pk_mul_f32 v[6:7], v[126:127], v[6:7] op_sel_hi:[1,0]
	v_pk_add_f32 v[4:5], v[4:5], v[8:9]
	v_pk_fma_f32 v[8:9], v[126:127], v[122:123], v[6:7] op_sel:[0,0,1] op_sel_hi:[1,1,0] neg_lo:[0,0,1] neg_hi:[0,0,1]
	v_pk_fma_f32 v[6:7], v[126:127], v[122:123], v[6:7] op_sel:[0,0,1] op_sel_hi:[1,0,0]
	v_mov_b32_e32 v9, v7
	v_pk_add_f32 v[4:5], v[4:5], v[8:9]
	s_waitcnt vmcnt(0)
	v_pk_add_f32 v[4:5], v[124:125], v[4:5] neg_lo:[0,1] neg_hi:[0,1]
	buffer_store_dword v5, off, s[0:3], 0 offset:212
	buffer_store_dword v4, off, s[0:3], 0 offset:208
	s_and_saveexec_b64 s[4:5], vcc
	s_cbranch_execz .LBB39_203
; %bb.202:
	buffer_load_dword v4, off, s[0:3], 0 offset:200
	buffer_load_dword v5, off, s[0:3], 0 offset:204
	s_waitcnt vmcnt(0)
	ds_write_b64 v1, v[4:5]
	buffer_store_dword v2, off, s[0:3], 0 offset:200
	buffer_store_dword v2, off, s[0:3], 0 offset:204
.LBB39_203:
	s_or_b64 exec, exec, s[4:5]
	s_waitcnt lgkmcnt(0)
	; wave barrier
	s_waitcnt lgkmcnt(0)
	buffer_load_dword v130, off, s[0:3], 0 offset:212
	buffer_load_dword v132, off, s[0:3], 0 offset:220
	;; [unrolled: 1-line block ×30, first 2 shown]
	ds_read_b128 v[4:7], v2 offset:528
	ds_read_b128 v[8:11], v2 offset:544
	;; [unrolled: 1-line block ×7, first 2 shown]
	v_cmp_lt_u32_e32 vcc, 24, v0
	s_waitcnt vmcnt(29) lgkmcnt(6)
	v_mul_f32_e32 v143, v4, v130
	s_waitcnt vmcnt(28)
	v_mul_f32_e32 v144, v6, v132
	s_waitcnt vmcnt(27) lgkmcnt(5)
	v_mul_f32_e32 v145, v8, v133
	v_mul_f32_e32 v133, v9, v133
	s_waitcnt vmcnt(26)
	v_mul_f32_e32 v146, v10, v134
	s_waitcnt vmcnt(25) lgkmcnt(4)
	v_mul_f32_e32 v3, v12, v135
	v_mul_f32_e32 v2, v5, v130
	;; [unrolled: 1-line block ×5, first 2 shown]
	s_waitcnt vmcnt(23)
	v_mov_b32_e32 v132, v17
	s_waitcnt vmcnt(22)
	v_mov_b32_e32 v134, v115
	s_waitcnt vmcnt(18)
	v_fma_f32 v133, v8, v139, -v133
	v_fmac_f32_e32 v143, v5, v137
	v_fmac_f32_e32 v144, v7, v138
	s_waitcnt vmcnt(17)
	v_fmac_f32_e32 v146, v11, v140
	v_fma_f32 v11, v4, v137, -v2
	v_fma_f32 v137, v6, v138, -v130
	s_waitcnt lgkmcnt(3)
	v_pk_mul_f32 v[4:5], v[98:99], v[132:133] op_sel_hi:[1,0]
	v_pk_mul_f32 v[6:7], v[100:101], v[134:135] op_sel_hi:[1,0]
	s_waitcnt vmcnt(16)
	v_fmac_f32_e32 v3, v13, v141
	v_fma_f32 v138, v10, v140, -v147
	v_fma_f32 v2, v12, v141, -v135
	v_add_f32_e32 v132, 0, v143
	v_add_f32_e32 v134, 0, v11
	s_waitcnt vmcnt(14)
	v_pk_fma_f32 v[10:11], v[98:99], v[16:17], v[4:5] op_sel:[0,0,1] op_sel_hi:[1,1,0] neg_lo:[0,0,1] neg_hi:[0,0,1]
	v_pk_fma_f32 v[4:5], v[98:99], v[16:17], v[4:5] op_sel:[0,0,1] op_sel_hi:[1,0,0]
	s_waitcnt vmcnt(10)
	v_pk_fma_f32 v[12:13], v[100:101], v[114:115], v[6:7] op_sel:[0,0,1] op_sel_hi:[1,1,0] neg_lo:[0,0,1] neg_hi:[0,0,1]
	v_pk_fma_f32 v[6:7], v[100:101], v[114:115], v[6:7] op_sel:[0,0,1] op_sel_hi:[1,0,0]
	v_fmac_f32_e32 v145, v9, v139
	v_add_f32_e32 v4, v132, v144
	v_add_f32_e32 v6, v134, v137
	;; [unrolled: 1-line block ×4, first 2 shown]
	v_mul_f32_e32 v131, v14, v136
	v_mul_f32_e32 v148, v15, v136
	v_mov_b32_e32 v11, v5
	v_add_f32_e32 v5, v4, v146
	v_add_f32_e32 v4, v6, v138
	v_mov_b32_e32 v136, v117
	v_fmac_f32_e32 v131, v15, v142
	v_fma_f32 v130, v14, v142, -v148
	v_pk_add_f32 v[2:3], v[4:5], v[2:3]
	s_waitcnt vmcnt(9)
	v_mov_b32_e32 v4, v121
	s_waitcnt lgkmcnt(2)
	v_pk_mul_f32 v[8:9], v[102:103], v[136:137] op_sel_hi:[1,0]
	v_pk_add_f32 v[2:3], v[2:3], v[130:131]
	v_pk_mul_f32 v[4:5], v[104:105], v[4:5] op_sel_hi:[1,0]
	v_pk_fma_f32 v[14:15], v[102:103], v[116:117], v[8:9] op_sel:[0,0,1] op_sel_hi:[1,1,0] neg_lo:[0,0,1] neg_hi:[0,0,1]
	v_pk_fma_f32 v[8:9], v[102:103], v[116:117], v[8:9] op_sel:[0,0,1] op_sel_hi:[1,0,0]
	v_mov_b32_e32 v13, v7
	v_pk_add_f32 v[2:3], v[2:3], v[10:11]
	v_pk_fma_f32 v[6:7], v[104:105], v[120:121], v[4:5] op_sel:[0,0,1] op_sel_hi:[1,1,0] neg_lo:[0,0,1] neg_hi:[0,0,1]
	v_pk_fma_f32 v[4:5], v[104:105], v[120:121], v[4:5] op_sel:[0,0,1] op_sel_hi:[1,0,0]
	v_mov_b32_e32 v15, v9
	v_pk_add_f32 v[2:3], v[2:3], v[12:13]
	s_waitcnt vmcnt(8)
	v_mov_b32_e32 v4, v119
	v_pk_add_f32 v[2:3], v[2:3], v[14:15]
	v_mov_b32_e32 v7, v5
	s_waitcnt lgkmcnt(1)
	v_pk_mul_f32 v[4:5], v[106:107], v[4:5] op_sel_hi:[1,0]
	v_pk_add_f32 v[2:3], v[2:3], v[6:7]
	v_pk_fma_f32 v[6:7], v[106:107], v[118:119], v[4:5] op_sel:[0,0,1] op_sel_hi:[1,1,0] neg_lo:[0,0,1] neg_hi:[0,0,1]
	v_pk_fma_f32 v[4:5], v[106:107], v[118:119], v[4:5] op_sel:[0,0,1] op_sel_hi:[1,0,0]
	s_waitcnt vmcnt(7)
	v_mov_b32_e32 v4, v123
	v_mov_b32_e32 v7, v5
	v_pk_mul_f32 v[4:5], v[108:109], v[4:5] op_sel_hi:[1,0]
	v_pk_add_f32 v[2:3], v[2:3], v[6:7]
	s_waitcnt vmcnt(4)
	v_pk_fma_f32 v[6:7], v[108:109], v[122:123], v[4:5] op_sel:[0,0,1] op_sel_hi:[1,1,0] neg_lo:[0,0,1] neg_hi:[0,0,1]
	v_pk_fma_f32 v[4:5], v[108:109], v[122:123], v[4:5] op_sel:[0,0,1] op_sel_hi:[1,0,0]
	s_waitcnt vmcnt(3)
	v_mov_b32_e32 v4, v127
	v_mov_b32_e32 v7, v5
	s_waitcnt lgkmcnt(0)
	v_pk_mul_f32 v[4:5], v[110:111], v[4:5] op_sel_hi:[1,0]
	v_pk_add_f32 v[2:3], v[2:3], v[6:7]
	v_pk_fma_f32 v[6:7], v[110:111], v[126:127], v[4:5] op_sel:[0,0,1] op_sel_hi:[1,1,0] neg_lo:[0,0,1] neg_hi:[0,0,1]
	v_pk_fma_f32 v[4:5], v[110:111], v[126:127], v[4:5] op_sel:[0,0,1] op_sel_hi:[1,0,0]
	s_waitcnt vmcnt(0)
	v_mov_b32_e32 v4, v125
	v_mov_b32_e32 v7, v5
	v_pk_mul_f32 v[4:5], v[112:113], v[4:5] op_sel_hi:[1,0]
	v_pk_add_f32 v[2:3], v[2:3], v[6:7]
	v_pk_fma_f32 v[6:7], v[112:113], v[124:125], v[4:5] op_sel:[0,0,1] op_sel_hi:[1,1,0] neg_lo:[0,0,1] neg_hi:[0,0,1]
	v_pk_fma_f32 v[4:5], v[112:113], v[124:125], v[4:5] op_sel:[0,0,1] op_sel_hi:[1,0,0]
	v_mov_b32_e32 v7, v5
	v_pk_add_f32 v[2:3], v[2:3], v[6:7]
	v_pk_add_f32 v[2:3], v[128:129], v[2:3] neg_lo:[0,1] neg_hi:[0,1]
	buffer_store_dword v3, off, s[0:3], 0 offset:204
	buffer_store_dword v2, off, s[0:3], 0 offset:200
	s_and_saveexec_b64 s[4:5], vcc
	s_cbranch_execz .LBB39_205
; %bb.204:
	buffer_load_dword v2, off, s[0:3], 0 offset:192
	buffer_load_dword v3, off, s[0:3], 0 offset:196
	v_mov_b32_e32 v4, 0
	buffer_store_dword v4, off, s[0:3], 0 offset:192
	buffer_store_dword v4, off, s[0:3], 0 offset:196
	s_waitcnt vmcnt(2)
	ds_write_b64 v1, v[2:3]
.LBB39_205:
	s_or_b64 exec, exec, s[4:5]
	s_waitcnt lgkmcnt(0)
	; wave barrier
	s_waitcnt lgkmcnt(0)
	buffer_load_dword v3, off, s[0:3], 0 offset:204
	buffer_load_dword v132, off, s[0:3], 0 offset:212
	;; [unrolled: 1-line block ×32, first 2 shown]
	v_mov_b32_e32 v2, 0
	ds_read2_b64 v[4:7], v2 offset0:65 offset1:66
	ds_read2_b64 v[8:11], v2 offset0:67 offset1:68
	;; [unrolled: 1-line block ×7, first 2 shown]
	ds_read_b64 v[130:131], v2 offset:632
	v_cmp_lt_u32_e32 vcc, 23, v0
	s_waitcnt vmcnt(31) lgkmcnt(7)
	v_mul_f32_e32 v147, v4, v3
	v_mul_f32_e32 v3, v5, v3
	s_waitcnt vmcnt(30)
	v_mul_f32_e32 v148, v6, v132
	s_waitcnt vmcnt(28) lgkmcnt(6)
	v_mul_f32_e32 v150, v10, v136
	s_waitcnt vmcnt(27) lgkmcnt(5)
	v_mul_f32_e32 v151, v12, v137
	v_mul_f32_e32 v152, v11, v136
	;; [unrolled: 1-line block ×3, first 2 shown]
	s_waitcnt vmcnt(24)
	v_mov_b32_e32 v136, v17
	v_mul_f32_e32 v149, v8, v134
	v_mul_f32_e32 v132, v7, v132
	s_waitcnt vmcnt(22)
	v_fmac_f32_e32 v147, v5, v140
	v_fma_f32 v3, v4, v140, -v3
	s_waitcnt lgkmcnt(4)
	v_pk_mul_f32 v[4:5], v[100:101], v[136:137] op_sel_hi:[1,0]
	v_mul_f32_e32 v134, v9, v134
	s_waitcnt vmcnt(21)
	v_fmac_f32_e32 v148, v7, v141
	s_waitcnt vmcnt(20)
	v_fmac_f32_e32 v149, v9, v142
	;; [unrolled: 2-line block ×3, first 2 shown]
	v_fma_f32 v9, v6, v141, -v132
	s_waitcnt vmcnt(18)
	v_fma_f32 v11, v12, v144, -v137
	v_add_f32_e32 v12, 0, v147
	v_add_f32_e32 v3, 0, v3
	s_waitcnt vmcnt(12)
	v_pk_fma_f32 v[6:7], v[100:101], v[16:17], v[4:5] op_sel:[0,0,1] op_sel_hi:[1,1,0] neg_lo:[0,0,1] neg_hi:[0,0,1]
	v_pk_fma_f32 v[4:5], v[100:101], v[16:17], v[4:5] op_sel:[0,0,1] op_sel_hi:[1,0,0]
	v_fma_f32 v8, v8, v142, -v134
	v_add_f32_e32 v4, v12, v148
	v_add_f32_e32 v3, v3, v9
	v_fma_f32 v10, v10, v143, -v152
	v_add_f32_e32 v4, v4, v149
	v_add_f32_e32 v3, v3, v8
	v_mul_f32_e32 v133, v14, v138
	v_mul_f32_e32 v153, v15, v138
	v_fmac_f32_e32 v151, v13, v144
	v_add_f32_e32 v4, v4, v150
	v_add_f32_e32 v3, v3, v10
	v_mul_f32_e32 v135, v98, v139
	v_mul_f32_e32 v139, v99, v139
	v_fmac_f32_e32 v133, v15, v145
	v_fma_f32 v132, v14, v145, -v153
	v_mov_b32_e32 v7, v5
	v_add_f32_e32 v5, v4, v151
	v_add_f32_e32 v4, v3, v11
	v_fmac_f32_e32 v135, v99, v146
	v_fma_f32 v134, v98, v146, -v139
	v_pk_add_f32 v[4:5], v[4:5], v[132:133]
	v_mov_b32_e32 v138, v115
	v_pk_add_f32 v[4:5], v[4:5], v[134:135]
	v_pk_add_f32 v[4:5], v[4:5], v[6:7]
	s_waitcnt lgkmcnt(3)
	v_pk_mul_f32 v[6:7], v[102:103], v[138:139] op_sel_hi:[1,0]
	v_pk_fma_f32 v[8:9], v[102:103], v[114:115], v[6:7] op_sel:[0,0,1] op_sel_hi:[1,1,0] neg_lo:[0,0,1] neg_hi:[0,0,1]
	v_pk_fma_f32 v[6:7], v[102:103], v[114:115], v[6:7] op_sel:[0,0,1] op_sel_hi:[1,0,0]
	s_waitcnt vmcnt(11)
	v_mov_b32_e32 v6, v119
	v_mov_b32_e32 v9, v7
	v_pk_mul_f32 v[6:7], v[104:105], v[6:7] op_sel_hi:[1,0]
	v_pk_add_f32 v[4:5], v[4:5], v[8:9]
	v_pk_fma_f32 v[8:9], v[104:105], v[118:119], v[6:7] op_sel:[0,0,1] op_sel_hi:[1,1,0] neg_lo:[0,0,1] neg_hi:[0,0,1]
	v_pk_fma_f32 v[6:7], v[104:105], v[118:119], v[6:7] op_sel:[0,0,1] op_sel_hi:[1,0,0]
	s_waitcnt vmcnt(10)
	v_mov_b32_e32 v6, v117
	v_mov_b32_e32 v9, v7
	s_waitcnt lgkmcnt(2)
	v_pk_mul_f32 v[6:7], v[106:107], v[6:7] op_sel_hi:[1,0]
	v_pk_add_f32 v[4:5], v[4:5], v[8:9]
	v_pk_fma_f32 v[8:9], v[106:107], v[116:117], v[6:7] op_sel:[0,0,1] op_sel_hi:[1,1,0] neg_lo:[0,0,1] neg_hi:[0,0,1]
	v_pk_fma_f32 v[6:7], v[106:107], v[116:117], v[6:7] op_sel:[0,0,1] op_sel_hi:[1,0,0]
	s_waitcnt vmcnt(9)
	v_mov_b32_e32 v6, v121
	v_mov_b32_e32 v9, v7
	v_pk_mul_f32 v[6:7], v[108:109], v[6:7] op_sel_hi:[1,0]
	v_pk_add_f32 v[4:5], v[4:5], v[8:9]
	s_waitcnt vmcnt(4)
	v_pk_fma_f32 v[8:9], v[108:109], v[120:121], v[6:7] op_sel:[0,0,1] op_sel_hi:[1,1,0] neg_lo:[0,0,1] neg_hi:[0,0,1]
	v_pk_fma_f32 v[6:7], v[108:109], v[120:121], v[6:7] op_sel:[0,0,1] op_sel_hi:[1,0,0]
	v_mov_b32_e32 v6, v127
	v_mov_b32_e32 v9, v7
	s_waitcnt lgkmcnt(1)
	v_pk_mul_f32 v[6:7], v[110:111], v[6:7] op_sel_hi:[1,0]
	v_pk_add_f32 v[4:5], v[4:5], v[8:9]
	v_pk_fma_f32 v[8:9], v[110:111], v[126:127], v[6:7] op_sel:[0,0,1] op_sel_hi:[1,1,0] neg_lo:[0,0,1] neg_hi:[0,0,1]
	v_pk_fma_f32 v[6:7], v[110:111], v[126:127], v[6:7] op_sel:[0,0,1] op_sel_hi:[1,0,0]
	s_waitcnt vmcnt(3)
	v_mov_b32_e32 v6, v125
	v_mov_b32_e32 v9, v7
	v_pk_mul_f32 v[6:7], v[112:113], v[6:7] op_sel_hi:[1,0]
	v_pk_add_f32 v[4:5], v[4:5], v[8:9]
	v_pk_fma_f32 v[8:9], v[112:113], v[124:125], v[6:7] op_sel:[0,0,1] op_sel_hi:[1,1,0] neg_lo:[0,0,1] neg_hi:[0,0,1]
	v_pk_fma_f32 v[6:7], v[112:113], v[124:125], v[6:7] op_sel:[0,0,1] op_sel_hi:[1,0,0]
	s_waitcnt vmcnt(0)
	v_mov_b32_e32 v6, v123
	v_mov_b32_e32 v9, v7
	s_waitcnt lgkmcnt(0)
	v_pk_mul_f32 v[6:7], v[130:131], v[6:7] op_sel_hi:[1,0]
	v_pk_add_f32 v[4:5], v[4:5], v[8:9]
	v_pk_fma_f32 v[8:9], v[130:131], v[122:123], v[6:7] op_sel:[0,0,1] op_sel_hi:[1,1,0] neg_lo:[0,0,1] neg_hi:[0,0,1]
	v_pk_fma_f32 v[6:7], v[130:131], v[122:123], v[6:7] op_sel:[0,0,1] op_sel_hi:[1,0,0]
	v_mov_b32_e32 v9, v7
	v_pk_add_f32 v[4:5], v[4:5], v[8:9]
	v_pk_add_f32 v[4:5], v[128:129], v[4:5] neg_lo:[0,1] neg_hi:[0,1]
	buffer_store_dword v5, off, s[0:3], 0 offset:196
	buffer_store_dword v4, off, s[0:3], 0 offset:192
	s_and_saveexec_b64 s[4:5], vcc
	s_cbranch_execz .LBB39_207
; %bb.206:
	buffer_load_dword v4, off, s[0:3], 0 offset:184
	buffer_load_dword v5, off, s[0:3], 0 offset:188
	s_waitcnt vmcnt(0)
	ds_write_b64 v1, v[4:5]
	buffer_store_dword v2, off, s[0:3], 0 offset:184
	buffer_store_dword v2, off, s[0:3], 0 offset:188
.LBB39_207:
	s_or_b64 exec, exec, s[4:5]
	s_waitcnt lgkmcnt(0)
	; wave barrier
	s_waitcnt lgkmcnt(0)
	buffer_load_dword v134, off, s[0:3], 0 offset:196
	buffer_load_dword v136, off, s[0:3], 0 offset:204
	;; [unrolled: 1-line block ×32, first 2 shown]
	ds_read_b128 v[4:7], v2 offset:512
	ds_read_b128 v[8:11], v2 offset:528
	;; [unrolled: 1-line block ×4, first 2 shown]
	buffer_load_dword v133, off, s[0:3], 0 offset:316
	buffer_load_dword v132, off, s[0:3], 0 offset:312
	ds_read_b128 v[102:105], v2 offset:576
	ds_read_b128 v[106:109], v2 offset:592
	;; [unrolled: 1-line block ×4, first 2 shown]
	v_cmp_lt_u32_e32 vcc, 22, v0
	s_waitcnt vmcnt(33) lgkmcnt(7)
	v_mul_f32_e32 v151, v4, v134
	v_mul_f32_e32 v2, v5, v134
	s_waitcnt vmcnt(32)
	v_mul_f32_e32 v152, v6, v136
	s_waitcnt vmcnt(31) lgkmcnt(6)
	v_mul_f32_e32 v153, v8, v137
	v_mul_f32_e32 v134, v7, v136
	;; [unrolled: 1-line block ×3, first 2 shown]
	s_waitcnt vmcnt(30)
	v_mul_f32_e32 v137, v11, v138
	v_mul_f32_e32 v154, v10, v138
	s_waitcnt vmcnt(25)
	v_fmac_f32_e32 v151, v5, v143
	v_fma_f32 v4, v4, v143, -v2
	s_waitcnt vmcnt(24)
	v_fmac_f32_e32 v152, v7, v144
	v_fma_f32 v5, v6, v144, -v134
	s_waitcnt vmcnt(22)
	v_fma_f32 v7, v10, v146, -v137
	v_add_f32_e32 v10, 0, v151
	v_add_f32_e32 v4, 0, v4
	v_fmac_f32_e32 v153, v9, v145
	v_fma_f32 v6, v8, v145, -v136
	v_add_f32_e32 v10, v10, v152
	v_add_f32_e32 v4, v4, v5
	s_waitcnt lgkmcnt(5)
	v_mul_f32_e32 v155, v12, v139
	v_mul_f32_e32 v138, v13, v139
	v_fmac_f32_e32 v154, v11, v146
	v_add_f32_e32 v5, v10, v153
	v_add_f32_e32 v4, v4, v6
	v_mul_f32_e32 v156, v14, v140
	v_mul_f32_e32 v139, v15, v140
	s_waitcnt vmcnt(21)
	v_fmac_f32_e32 v155, v13, v147
	v_fma_f32 v8, v12, v147, -v138
	v_add_f32_e32 v5, v5, v154
	v_add_f32_e32 v4, v4, v7
	s_waitcnt lgkmcnt(4)
	v_mul_f32_e32 v3, v98, v141
	v_mul_f32_e32 v140, v99, v141
	s_waitcnt vmcnt(20)
	v_fmac_f32_e32 v156, v15, v148
	v_fma_f32 v9, v14, v148, -v139
	v_add_f32_e32 v5, v5, v155
	v_add_f32_e32 v4, v4, v8
	s_waitcnt vmcnt(19)
	v_fmac_f32_e32 v3, v99, v149
	v_fma_f32 v2, v98, v149, -v140
	v_add_f32_e32 v5, v5, v156
	v_add_f32_e32 v4, v4, v9
	v_pk_add_f32 v[2:3], v[4:5], v[2:3]
	s_waitcnt vmcnt(17)
	v_mov_b32_e32 v4, v17
	s_waitcnt lgkmcnt(3)
	v_pk_mul_f32 v[4:5], v[102:103], v[4:5] op_sel_hi:[1,0]
	v_mul_f32_e32 v135, v100, v142
	v_mul_f32_e32 v141, v101, v142
	s_waitcnt vmcnt(14)
	v_pk_fma_f32 v[6:7], v[102:103], v[16:17], v[4:5] op_sel:[0,0,1] op_sel_hi:[1,1,0] neg_lo:[0,0,1] neg_hi:[0,0,1]
	v_pk_fma_f32 v[4:5], v[102:103], v[16:17], v[4:5] op_sel:[0,0,1] op_sel_hi:[1,0,0]
	v_fmac_f32_e32 v135, v101, v150
	v_fma_f32 v134, v100, v150, -v141
	s_waitcnt vmcnt(13)
	v_mov_b32_e32 v4, v121
	v_pk_add_f32 v[2:3], v[2:3], v[134:135]
	v_mov_b32_e32 v7, v5
	v_pk_mul_f32 v[4:5], v[104:105], v[4:5] op_sel_hi:[1,0]
	v_pk_add_f32 v[2:3], v[2:3], v[6:7]
	v_pk_fma_f32 v[6:7], v[104:105], v[120:121], v[4:5] op_sel:[0,0,1] op_sel_hi:[1,1,0] neg_lo:[0,0,1] neg_hi:[0,0,1]
	v_pk_fma_f32 v[4:5], v[104:105], v[120:121], v[4:5] op_sel:[0,0,1] op_sel_hi:[1,0,0]
	s_waitcnt vmcnt(12)
	v_mov_b32_e32 v4, v119
	v_mov_b32_e32 v7, v5
	s_waitcnt lgkmcnt(2)
	v_pk_mul_f32 v[4:5], v[106:107], v[4:5] op_sel_hi:[1,0]
	v_pk_add_f32 v[2:3], v[2:3], v[6:7]
	v_pk_fma_f32 v[6:7], v[106:107], v[118:119], v[4:5] op_sel:[0,0,1] op_sel_hi:[1,1,0] neg_lo:[0,0,1] neg_hi:[0,0,1]
	v_pk_fma_f32 v[4:5], v[106:107], v[118:119], v[4:5] op_sel:[0,0,1] op_sel_hi:[1,0,0]
	s_waitcnt vmcnt(11)
	v_mov_b32_e32 v4, v123
	v_mov_b32_e32 v7, v5
	v_pk_mul_f32 v[4:5], v[108:109], v[4:5] op_sel_hi:[1,0]
	v_pk_add_f32 v[2:3], v[2:3], v[6:7]
	s_waitcnt vmcnt(5)
	v_pk_fma_f32 v[6:7], v[108:109], v[122:123], v[4:5] op_sel:[0,0,1] op_sel_hi:[1,1,0] neg_lo:[0,0,1] neg_hi:[0,0,1]
	v_pk_fma_f32 v[4:5], v[108:109], v[122:123], v[4:5] op_sel:[0,0,1] op_sel_hi:[1,0,0]
	v_mov_b32_e32 v4, v129
	v_mov_b32_e32 v7, v5
	s_waitcnt lgkmcnt(1)
	v_pk_mul_f32 v[4:5], v[110:111], v[4:5] op_sel_hi:[1,0]
	v_pk_add_f32 v[2:3], v[2:3], v[6:7]
	v_pk_fma_f32 v[6:7], v[110:111], v[128:129], v[4:5] op_sel:[0,0,1] op_sel_hi:[1,1,0] neg_lo:[0,0,1] neg_hi:[0,0,1]
	v_pk_fma_f32 v[4:5], v[110:111], v[128:129], v[4:5] op_sel:[0,0,1] op_sel_hi:[1,0,0]
	v_mov_b32_e32 v4, v127
	v_mov_b32_e32 v7, v5
	v_pk_mul_f32 v[4:5], v[112:113], v[4:5] op_sel_hi:[1,0]
	v_pk_add_f32 v[2:3], v[2:3], v[6:7]
	v_pk_fma_f32 v[6:7], v[112:113], v[126:127], v[4:5] op_sel:[0,0,1] op_sel_hi:[1,1,0] neg_lo:[0,0,1] neg_hi:[0,0,1]
	v_pk_fma_f32 v[4:5], v[112:113], v[126:127], v[4:5] op_sel:[0,0,1] op_sel_hi:[1,0,0]
	s_waitcnt vmcnt(2)
	v_mov_b32_e32 v4, v125
	v_mov_b32_e32 v7, v5
	s_waitcnt lgkmcnt(0)
	v_pk_mul_f32 v[4:5], v[114:115], v[4:5] op_sel_hi:[1,0]
	v_pk_add_f32 v[2:3], v[2:3], v[6:7]
	v_pk_fma_f32 v[6:7], v[114:115], v[124:125], v[4:5] op_sel:[0,0,1] op_sel_hi:[1,1,0] neg_lo:[0,0,1] neg_hi:[0,0,1]
	v_pk_fma_f32 v[4:5], v[114:115], v[124:125], v[4:5] op_sel:[0,0,1] op_sel_hi:[1,0,0]
	s_waitcnt vmcnt(1)
	v_mov_b32_e32 v4, v133
	v_mov_b32_e32 v7, v5
	v_pk_mul_f32 v[4:5], v[116:117], v[4:5] op_sel_hi:[1,0]
	v_pk_add_f32 v[2:3], v[2:3], v[6:7]
	s_waitcnt vmcnt(0)
	v_pk_fma_f32 v[6:7], v[116:117], v[132:133], v[4:5] op_sel:[0,0,1] op_sel_hi:[1,1,0] neg_lo:[0,0,1] neg_hi:[0,0,1]
	v_pk_fma_f32 v[4:5], v[116:117], v[132:133], v[4:5] op_sel:[0,0,1] op_sel_hi:[1,0,0]
	v_mov_b32_e32 v7, v5
	v_pk_add_f32 v[2:3], v[2:3], v[6:7]
	v_pk_add_f32 v[2:3], v[130:131], v[2:3] neg_lo:[0,1] neg_hi:[0,1]
	buffer_store_dword v3, off, s[0:3], 0 offset:188
	buffer_store_dword v2, off, s[0:3], 0 offset:184
	s_and_saveexec_b64 s[4:5], vcc
	s_cbranch_execz .LBB39_209
; %bb.208:
	buffer_load_dword v2, off, s[0:3], 0 offset:176
	buffer_load_dword v3, off, s[0:3], 0 offset:180
	v_mov_b32_e32 v4, 0
	buffer_store_dword v4, off, s[0:3], 0 offset:176
	buffer_store_dword v4, off, s[0:3], 0 offset:180
	s_waitcnt vmcnt(2)
	ds_write_b64 v1, v[2:3]
.LBB39_209:
	s_or_b64 exec, exec, s[4:5]
	s_waitcnt lgkmcnt(0)
	; wave barrier
	s_waitcnt lgkmcnt(0)
	buffer_load_dword v3, off, s[0:3], 0 offset:188
	buffer_load_dword v126, off, s[0:3], 0 offset:196
	;; [unrolled: 1-line block ×36, first 2 shown]
	v_mov_b32_e32 v2, 0
	ds_read2_b64 v[4:7], v2 offset0:63 offset1:64
	ds_read2_b64 v[8:11], v2 offset0:65 offset1:66
	;; [unrolled: 1-line block ×6, first 2 shown]
	v_cmp_lt_u32_e32 vcc, 21, v0
	s_waitcnt vmcnt(35) lgkmcnt(5)
	v_mul_f32_e32 v145, v4, v3
	s_waitcnt vmcnt(34)
	v_mul_f32_e32 v146, v6, v126
	s_waitcnt vmcnt(33) lgkmcnt(4)
	v_mul_f32_e32 v147, v8, v128
	v_mul_f32_e32 v3, v5, v3
	;; [unrolled: 1-line block ×4, first 2 shown]
	s_waitcnt vmcnt(32)
	v_mul_f32_e32 v148, v10, v130
	s_waitcnt vmcnt(31) lgkmcnt(3)
	v_mul_f32_e32 v149, v12, v131
	v_mul_f32_e32 v130, v11, v130
	s_waitcnt vmcnt(26)
	v_fmac_f32_e32 v145, v5, v136
	s_waitcnt vmcnt(25)
	v_fmac_f32_e32 v146, v7, v137
	;; [unrolled: 2-line block ×3, first 2 shown]
	v_fma_f32 v3, v4, v136, -v3
	v_add_f32_e32 v9, 0, v145
	v_fma_f32 v4, v6, v137, -v126
	v_add_f32_e32 v3, 0, v3
	v_add_f32_e32 v9, v9, v146
	s_waitcnt vmcnt(23)
	v_fmac_f32_e32 v148, v11, v139
	v_fma_f32 v5, v8, v138, -v128
	v_add_f32_e32 v3, v3, v4
	v_add_f32_e32 v4, v9, v147
	v_mul_f32_e32 v150, v14, v132
	v_mul_f32_e32 v131, v13, v131
	s_waitcnt vmcnt(22)
	v_fmac_f32_e32 v149, v13, v140
	v_fma_f32 v6, v10, v139, -v130
	v_add_f32_e32 v3, v3, v5
	v_add_f32_e32 v4, v4, v148
	s_waitcnt lgkmcnt(2)
	v_mul_f32_e32 v151, v98, v133
	v_mul_f32_e32 v132, v15, v132
	s_waitcnt vmcnt(21)
	v_fmac_f32_e32 v150, v15, v141
	v_fma_f32 v7, v12, v140, -v131
	v_add_f32_e32 v3, v3, v6
	v_add_f32_e32 v4, v4, v149
	v_mul_f32_e32 v133, v99, v133
	s_waitcnt vmcnt(20)
	v_fmac_f32_e32 v151, v99, v142
	v_fma_f32 v8, v14, v141, -v132
	v_add_f32_e32 v3, v3, v7
	v_add_f32_e32 v4, v4, v150
	;; [unrolled: 1-line block ×4, first 2 shown]
	v_fma_f32 v4, v98, v142, -v133
	s_waitcnt vmcnt(17)
	v_mov_b32_e32 v98, v17
	v_mul_f32_e32 v127, v100, v134
	v_add_f32_e32 v12, v3, v4
	v_mul_f32_e32 v3, v101, v134
	s_waitcnt lgkmcnt(1)
	v_pk_mul_f32 v[98:99], v[104:105], v[98:99] op_sel_hi:[1,0]
	v_fmac_f32_e32 v127, v101, v143
	v_fma_f32 v126, v100, v143, -v3
	s_waitcnt vmcnt(15)
	v_pk_fma_f32 v[100:101], v[104:105], v[16:17], v[98:99] op_sel:[0,0,1] op_sel_hi:[1,1,0] neg_lo:[0,0,1] neg_hi:[0,0,1]
	v_pk_fma_f32 v[16:17], v[104:105], v[16:17], v[98:99] op_sel:[0,0,1] op_sel_hi:[1,0,0]
	s_waitcnt vmcnt(12)
	v_mov_b32_e32 v16, v111
	v_mul_f32_e32 v129, v102, v135
	v_mul_f32_e32 v3, v103, v135
	v_mov_b32_e32 v101, v17
	s_waitcnt lgkmcnt(0)
	v_pk_mul_f32 v[16:17], v[106:107], v[16:17] op_sel_hi:[1,0]
	v_fmac_f32_e32 v129, v103, v144
	v_fma_f32 v128, v102, v144, -v3
	v_pk_add_f32 v[12:13], v[12:13], v[126:127]
	v_pk_fma_f32 v[98:99], v[106:107], v[110:111], v[16:17] op_sel:[0,0,1] op_sel_hi:[1,1,0] neg_lo:[0,0,1] neg_hi:[0,0,1]
	v_pk_fma_f32 v[16:17], v[106:107], v[110:111], v[16:17] op_sel:[0,0,1] op_sel_hi:[1,0,0]
	v_pk_add_f32 v[12:13], v[12:13], v[128:129]
	s_waitcnt vmcnt(11)
	v_mov_b32_e32 v16, v115
	ds_read2_b64 v[4:7], v2 offset0:75 offset1:76
	ds_read2_b64 v[8:11], v2 offset0:77 offset1:78
	ds_read_b64 v[14:15], v2 offset:632
	v_pk_add_f32 v[12:13], v[12:13], v[100:101]
	v_mov_b32_e32 v99, v17
	v_pk_mul_f32 v[16:17], v[108:109], v[16:17] op_sel_hi:[1,0]
	v_pk_add_f32 v[12:13], v[12:13], v[98:99]
	s_waitcnt vmcnt(4)
	v_pk_fma_f32 v[98:99], v[108:109], v[114:115], v[16:17] op_sel:[0,0,1] op_sel_hi:[1,1,0] neg_lo:[0,0,1] neg_hi:[0,0,1]
	v_pk_fma_f32 v[16:17], v[108:109], v[114:115], v[16:17] op_sel:[0,0,1] op_sel_hi:[1,0,0]
	v_mov_b32_e32 v16, v121
	v_mov_b32_e32 v99, v17
	s_waitcnt lgkmcnt(2)
	v_pk_mul_f32 v[16:17], v[4:5], v[16:17] op_sel_hi:[1,0]
	v_pk_add_f32 v[12:13], v[12:13], v[98:99]
	v_pk_fma_f32 v[98:99], v[4:5], v[120:121], v[16:17] op_sel:[0,0,1] op_sel_hi:[1,1,0] neg_lo:[0,0,1] neg_hi:[0,0,1]
	v_pk_fma_f32 v[4:5], v[4:5], v[120:121], v[16:17] op_sel:[0,0,1] op_sel_hi:[1,0,0]
	v_mov_b32_e32 v99, v5
	v_pk_add_f32 v[4:5], v[12:13], v[98:99]
	v_mov_b32_e32 v12, v119
	v_pk_mul_f32 v[12:13], v[6:7], v[12:13] op_sel_hi:[1,0]
	v_pk_fma_f32 v[16:17], v[6:7], v[118:119], v[12:13] op_sel:[0,0,1] op_sel_hi:[1,1,0] neg_lo:[0,0,1] neg_hi:[0,0,1]
	v_pk_fma_f32 v[6:7], v[6:7], v[118:119], v[12:13] op_sel:[0,0,1] op_sel_hi:[1,0,0]
	v_mov_b32_e32 v6, v117
	v_mov_b32_e32 v17, v7
	s_waitcnt lgkmcnt(1)
	v_pk_mul_f32 v[6:7], v[8:9], v[6:7] op_sel_hi:[1,0]
	v_pk_fma_f32 v[12:13], v[8:9], v[116:117], v[6:7] op_sel:[0,0,1] op_sel_hi:[1,1,0] neg_lo:[0,0,1] neg_hi:[0,0,1]
	v_pk_fma_f32 v[6:7], v[8:9], v[116:117], v[6:7] op_sel:[0,0,1] op_sel_hi:[1,0,0]
	s_waitcnt vmcnt(1)
	v_mov_b32_e32 v6, v125
	v_mov_b32_e32 v13, v7
	v_pk_mul_f32 v[6:7], v[10:11], v[6:7] op_sel_hi:[1,0]
	s_waitcnt vmcnt(0)
	v_pk_fma_f32 v[8:9], v[10:11], v[124:125], v[6:7] op_sel:[0,0,1] op_sel_hi:[1,1,0] neg_lo:[0,0,1] neg_hi:[0,0,1]
	v_pk_fma_f32 v[6:7], v[10:11], v[124:125], v[6:7] op_sel:[0,0,1] op_sel_hi:[1,0,0]
	v_pk_add_f32 v[4:5], v[4:5], v[16:17]
	v_mov_b32_e32 v6, v123
	v_pk_add_f32 v[4:5], v[4:5], v[12:13]
	v_mov_b32_e32 v9, v7
	s_waitcnt lgkmcnt(0)
	v_pk_mul_f32 v[6:7], v[14:15], v[6:7] op_sel_hi:[1,0]
	v_pk_add_f32 v[4:5], v[4:5], v[8:9]
	v_pk_fma_f32 v[8:9], v[14:15], v[122:123], v[6:7] op_sel:[0,0,1] op_sel_hi:[1,1,0] neg_lo:[0,0,1] neg_hi:[0,0,1]
	v_pk_fma_f32 v[6:7], v[14:15], v[122:123], v[6:7] op_sel:[0,0,1] op_sel_hi:[1,0,0]
	v_mov_b32_e32 v9, v7
	v_pk_add_f32 v[4:5], v[4:5], v[8:9]
	v_pk_add_f32 v[4:5], v[112:113], v[4:5] neg_lo:[0,1] neg_hi:[0,1]
	buffer_store_dword v5, off, s[0:3], 0 offset:180
	buffer_store_dword v4, off, s[0:3], 0 offset:176
	s_and_saveexec_b64 s[4:5], vcc
	s_cbranch_execz .LBB39_211
; %bb.210:
	buffer_load_dword v4, off, s[0:3], 0 offset:168
	buffer_load_dword v5, off, s[0:3], 0 offset:172
	s_waitcnt vmcnt(0)
	ds_write_b64 v1, v[4:5]
	buffer_store_dword v2, off, s[0:3], 0 offset:168
	buffer_store_dword v2, off, s[0:3], 0 offset:172
.LBB39_211:
	s_or_b64 exec, exec, s[4:5]
	s_waitcnt lgkmcnt(0)
	; wave barrier
	s_waitcnt lgkmcnt(0)
	buffer_load_dword v3, off, s[0:3], 0 offset:180
	buffer_load_dword v126, off, s[0:3], 0 offset:188
	;; [unrolled: 1-line block ×22, first 2 shown]
	ds_read_b128 v[4:7], v2 offset:496
	ds_read_b128 v[8:11], v2 offset:512
	buffer_load_dword v111, off, s[0:3], 0 offset:260
	buffer_load_dword v110, off, s[0:3], 0 offset:256
	;; [unrolled: 1-line block ×10, first 2 shown]
	ds_read_b128 v[12:15], v2 offset:528
	ds_read_b128 v[98:101], v2 offset:544
	;; [unrolled: 1-line block ×4, first 2 shown]
	buffer_load_dword v121, off, s[0:3], 0 offset:316
	buffer_load_dword v120, off, s[0:3], 0 offset:312
	;; [unrolled: 1-line block ×6, first 2 shown]
	v_cmp_lt_u32_e32 vcc, 20, v0
	s_waitcnt vmcnt(37) lgkmcnt(5)
	v_mul_f32_e32 v147, v4, v3
	s_waitcnt vmcnt(36)
	v_mul_f32_e32 v148, v6, v126
	s_waitcnt vmcnt(35) lgkmcnt(4)
	v_mul_f32_e32 v149, v8, v128
	v_mul_f32_e32 v3, v5, v3
	;; [unrolled: 1-line block ×4, first 2 shown]
	s_waitcnt vmcnt(34)
	v_mul_f32_e32 v150, v10, v130
	s_waitcnt vmcnt(33) lgkmcnt(3)
	v_mul_f32_e32 v151, v12, v131
	s_waitcnt vmcnt(32)
	v_mul_f32_e32 v152, v14, v132
	s_waitcnt vmcnt(31) lgkmcnt(2)
	v_mul_f32_e32 v153, v98, v133
	s_waitcnt vmcnt(27)
	v_fmac_f32_e32 v147, v5, v137
	s_waitcnt vmcnt(26)
	v_fmac_f32_e32 v148, v7, v138
	v_fma_f32 v3, v4, v137, -v3
	s_waitcnt vmcnt(25)
	v_fma_f32 v5, v8, v139, -v128
	v_add_f32_e32 v8, 0, v147
	v_fmac_f32_e32 v149, v9, v139
	v_fma_f32 v4, v6, v138, -v126
	v_add_f32_e32 v3, 0, v3
	v_add_f32_e32 v8, v8, v148
	s_waitcnt vmcnt(24)
	v_fmac_f32_e32 v150, v11, v140
	v_add_f32_e32 v3, v3, v4
	v_add_f32_e32 v4, v8, v149
	s_waitcnt vmcnt(23)
	v_fmac_f32_e32 v151, v13, v141
	v_add_f32_e32 v4, v4, v150
	v_mul_f32_e32 v130, v11, v130
	s_waitcnt vmcnt(22)
	v_fmac_f32_e32 v152, v15, v142
	v_add_f32_e32 v4, v4, v151
	v_mul_f32_e32 v154, v100, v134
	v_mul_f32_e32 v131, v13, v131
	s_waitcnt vmcnt(21)
	v_fmac_f32_e32 v153, v99, v143
	v_fma_f32 v6, v10, v140, -v130
	v_add_f32_e32 v3, v3, v5
	v_add_f32_e32 v4, v4, v152
	v_mul_f32_e32 v132, v15, v132
	s_waitcnt vmcnt(20)
	v_fmac_f32_e32 v154, v101, v144
	v_fma_f32 v7, v12, v141, -v131
	v_add_f32_e32 v3, v3, v6
	v_add_f32_e32 v4, v4, v153
	;; [unrolled: 1-line block ×4, first 2 shown]
	v_fma_f32 v4, v14, v142, -v132
	v_add_f32_e32 v3, v3, v4
	v_mul_f32_e32 v4, v99, v133
	v_fma_f32 v4, v98, v143, -v4
	v_add_f32_e32 v3, v3, v4
	v_mul_f32_e32 v4, v101, v134
	v_fma_f32 v4, v100, v144, -v4
	s_waitcnt vmcnt(15)
	v_mov_b32_e32 v98, v111
	s_waitcnt lgkmcnt(1)
	v_mul_f32_e32 v127, v102, v135
	v_add_f32_e32 v130, v3, v4
	v_mul_f32_e32 v3, v103, v135
	s_waitcnt lgkmcnt(0)
	v_pk_mul_f32 v[98:99], v[106:107], v[98:99] op_sel_hi:[1,0]
	v_mul_f32_e32 v129, v104, v136
	v_fmac_f32_e32 v127, v103, v145
	v_fma_f32 v126, v102, v145, -v3
	v_mul_f32_e32 v3, v105, v136
	s_waitcnt vmcnt(14)
	v_pk_fma_f32 v[100:101], v[106:107], v[110:111], v[98:99] op_sel:[0,0,1] op_sel_hi:[1,1,0] neg_lo:[0,0,1] neg_hi:[0,0,1]
	v_pk_fma_f32 v[98:99], v[106:107], v[110:111], v[98:99] op_sel:[0,0,1] op_sel_hi:[1,0,0]
	v_fmac_f32_e32 v129, v105, v146
	v_fma_f32 v128, v104, v146, -v3
	ds_read_b128 v[4:7], v2 offset:592
	ds_read_b128 v[8:11], v2 offset:608
	;; [unrolled: 1-line block ×3, first 2 shown]
	v_pk_add_f32 v[2:3], v[130:131], v[126:127]
	s_waitcnt vmcnt(13)
	v_mov_b32_e32 v98, v113
	v_pk_add_f32 v[2:3], v[2:3], v[128:129]
	v_mov_b32_e32 v101, v99
	v_pk_mul_f32 v[98:99], v[108:109], v[98:99] op_sel_hi:[1,0]
	v_pk_add_f32 v[2:3], v[2:3], v[100:101]
	s_waitcnt vmcnt(6)
	v_pk_fma_f32 v[100:101], v[108:109], v[112:113], v[98:99] op_sel:[0,0,1] op_sel_hi:[1,1,0] neg_lo:[0,0,1] neg_hi:[0,0,1]
	v_pk_fma_f32 v[98:99], v[108:109], v[112:113], v[98:99] op_sel:[0,0,1] op_sel_hi:[1,0,0]
	v_mov_b32_e32 v98, v119
	v_mov_b32_e32 v101, v99
	s_waitcnt lgkmcnt(2)
	v_pk_mul_f32 v[98:99], v[4:5], v[98:99] op_sel_hi:[1,0]
	v_pk_add_f32 v[2:3], v[2:3], v[100:101]
	v_pk_fma_f32 v[100:101], v[4:5], v[118:119], v[98:99] op_sel:[0,0,1] op_sel_hi:[1,1,0] neg_lo:[0,0,1] neg_hi:[0,0,1]
	v_pk_fma_f32 v[4:5], v[4:5], v[118:119], v[98:99] op_sel:[0,0,1] op_sel_hi:[1,0,0]
	v_mov_b32_e32 v4, v117
	v_mov_b32_e32 v101, v5
	v_pk_mul_f32 v[4:5], v[6:7], v[4:5] op_sel_hi:[1,0]
	v_pk_fma_f32 v[98:99], v[6:7], v[116:117], v[4:5] op_sel:[0,0,1] op_sel_hi:[1,1,0] neg_lo:[0,0,1] neg_hi:[0,0,1]
	v_pk_fma_f32 v[4:5], v[6:7], v[116:117], v[4:5] op_sel:[0,0,1] op_sel_hi:[1,0,0]
	v_mov_b32_e32 v4, v115
	v_mov_b32_e32 v99, v5
	s_waitcnt lgkmcnt(1)
	v_pk_mul_f32 v[4:5], v[8:9], v[4:5] op_sel_hi:[1,0]
	v_pk_fma_f32 v[6:7], v[8:9], v[114:115], v[4:5] op_sel:[0,0,1] op_sel_hi:[1,1,0] neg_lo:[0,0,1] neg_hi:[0,0,1]
	v_pk_fma_f32 v[4:5], v[8:9], v[114:115], v[4:5] op_sel:[0,0,1] op_sel_hi:[1,0,0]
	v_pk_add_f32 v[2:3], v[2:3], v[100:101]
	s_waitcnt vmcnt(1)
	v_mov_b32_e32 v4, v125
	v_pk_add_f32 v[2:3], v[2:3], v[98:99]
	v_mov_b32_e32 v7, v5
	v_pk_mul_f32 v[4:5], v[10:11], v[4:5] op_sel_hi:[1,0]
	v_pk_add_f32 v[2:3], v[2:3], v[6:7]
	s_waitcnt vmcnt(0)
	v_pk_fma_f32 v[6:7], v[10:11], v[124:125], v[4:5] op_sel:[0,0,1] op_sel_hi:[1,1,0] neg_lo:[0,0,1] neg_hi:[0,0,1]
	v_pk_fma_f32 v[4:5], v[10:11], v[124:125], v[4:5] op_sel:[0,0,1] op_sel_hi:[1,0,0]
	v_mov_b32_e32 v4, v123
	v_mov_b32_e32 v7, v5
	s_waitcnt lgkmcnt(0)
	v_pk_mul_f32 v[4:5], v[12:13], v[4:5] op_sel_hi:[1,0]
	v_pk_add_f32 v[2:3], v[2:3], v[6:7]
	v_pk_fma_f32 v[6:7], v[12:13], v[122:123], v[4:5] op_sel:[0,0,1] op_sel_hi:[1,1,0] neg_lo:[0,0,1] neg_hi:[0,0,1]
	v_pk_fma_f32 v[4:5], v[12:13], v[122:123], v[4:5] op_sel:[0,0,1] op_sel_hi:[1,0,0]
	v_mov_b32_e32 v4, v121
	v_mov_b32_e32 v7, v5
	v_pk_mul_f32 v[4:5], v[14:15], v[4:5] op_sel_hi:[1,0]
	v_pk_add_f32 v[2:3], v[2:3], v[6:7]
	v_pk_fma_f32 v[6:7], v[14:15], v[120:121], v[4:5] op_sel:[0,0,1] op_sel_hi:[1,1,0] neg_lo:[0,0,1] neg_hi:[0,0,1]
	v_pk_fma_f32 v[4:5], v[14:15], v[120:121], v[4:5] op_sel:[0,0,1] op_sel_hi:[1,0,0]
	v_mov_b32_e32 v7, v5
	v_pk_add_f32 v[2:3], v[2:3], v[6:7]
	v_pk_add_f32 v[2:3], v[16:17], v[2:3] neg_lo:[0,1] neg_hi:[0,1]
	buffer_store_dword v3, off, s[0:3], 0 offset:172
	buffer_store_dword v2, off, s[0:3], 0 offset:168
	s_and_saveexec_b64 s[4:5], vcc
	s_cbranch_execz .LBB39_213
; %bb.212:
	buffer_load_dword v2, off, s[0:3], 0 offset:160
	buffer_load_dword v3, off, s[0:3], 0 offset:164
	v_mov_b32_e32 v4, 0
	buffer_store_dword v4, off, s[0:3], 0 offset:160
	buffer_store_dword v4, off, s[0:3], 0 offset:164
	s_waitcnt vmcnt(2)
	ds_write_b64 v1, v[2:3]
.LBB39_213:
	s_or_b64 exec, exec, s[4:5]
	s_waitcnt lgkmcnt(0)
	; wave barrier
	s_waitcnt lgkmcnt(0)
	buffer_load_dword v3, off, s[0:3], 0 offset:172
	buffer_load_dword v126, off, s[0:3], 0 offset:180
	;; [unrolled: 1-line block ×40, first 2 shown]
	v_mov_b32_e32 v2, 0
	ds_read2_b64 v[4:7], v2 offset0:61 offset1:62
	ds_read2_b64 v[8:11], v2 offset0:63 offset1:64
	;; [unrolled: 1-line block ×6, first 2 shown]
	v_cmp_lt_u32_e32 vcc, 19, v0
	s_waitcnt vmcnt(39) lgkmcnt(5)
	v_mul_f32_e32 v149, v4, v3
	s_waitcnt vmcnt(38)
	v_mul_f32_e32 v150, v6, v126
	v_mul_f32_e32 v3, v5, v3
	s_waitcnt vmcnt(37) lgkmcnt(4)
	v_mul_f32_e32 v151, v8, v128
	v_mul_f32_e32 v126, v7, v126
	s_waitcnt vmcnt(36)
	v_mul_f32_e32 v152, v10, v130
	s_waitcnt vmcnt(35) lgkmcnt(3)
	v_mul_f32_e32 v153, v12, v132
	s_waitcnt vmcnt(34)
	v_mul_f32_e32 v154, v14, v133
	s_waitcnt vmcnt(33) lgkmcnt(2)
	;; [unrolled: 4-line block ×3, first 2 shown]
	v_mul_f32_e32 v157, v102, v136
	s_waitcnt vmcnt(28)
	v_fmac_f32_e32 v149, v5, v131
	s_waitcnt vmcnt(27)
	v_fmac_f32_e32 v150, v7, v139
	v_fma_f32 v3, v4, v131, -v3
	v_add_f32_e32 v7, 0, v149
	s_waitcnt vmcnt(26)
	v_fmac_f32_e32 v151, v9, v140
	v_fma_f32 v4, v6, v139, -v126
	v_add_f32_e32 v3, 0, v3
	v_add_f32_e32 v7, v7, v150
	s_waitcnt vmcnt(25)
	v_fmac_f32_e32 v152, v11, v141
	v_add_f32_e32 v3, v3, v4
	v_add_f32_e32 v4, v7, v151
	s_waitcnt vmcnt(24)
	v_fmac_f32_e32 v153, v13, v142
	v_add_f32_e32 v4, v4, v152
	s_waitcnt vmcnt(23)
	v_fmac_f32_e32 v154, v15, v143
	;; [unrolled: 3-line block ×3, first 2 shown]
	v_add_f32_e32 v4, v4, v154
	v_mul_f32_e32 v128, v9, v128
	s_waitcnt vmcnt(21)
	v_fmac_f32_e32 v156, v101, v145
	v_add_f32_e32 v4, v4, v155
	v_mul_f32_e32 v130, v11, v130
	s_waitcnt vmcnt(20)
	v_fmac_f32_e32 v157, v103, v146
	v_fma_f32 v5, v8, v140, -v128
	v_add_f32_e32 v4, v4, v156
	v_fma_f32 v6, v10, v141, -v130
	v_add_f32_e32 v3, v3, v5
	v_add_f32_e32 v131, v4, v157
	v_mul_f32_e32 v4, v13, v132
	v_add_f32_e32 v3, v3, v6
	v_fma_f32 v4, v12, v142, -v4
	v_add_f32_e32 v3, v3, v4
	v_mul_f32_e32 v4, v15, v133
	v_fma_f32 v4, v14, v143, -v4
	v_add_f32_e32 v3, v3, v4
	v_mul_f32_e32 v4, v99, v134
	v_fma_f32 v4, v98, v144, -v4
	v_add_f32_e32 v3, v3, v4
	v_mul_f32_e32 v4, v101, v135
	v_fma_f32 v4, v100, v145, -v4
	v_add_f32_e32 v3, v3, v4
	v_mul_f32_e32 v4, v103, v136
	v_fma_f32 v4, v102, v146, -v4
	s_waitcnt vmcnt(9)
	v_mov_b32_e32 v102, v117
	v_mul_f32_e32 v127, v104, v137
	v_add_f32_e32 v130, v3, v4
	v_mul_f32_e32 v3, v105, v137
	s_waitcnt lgkmcnt(0)
	v_pk_mul_f32 v[102:103], v[108:109], v[102:103] op_sel_hi:[1,0]
	v_mul_f32_e32 v129, v106, v138
	v_fmac_f32_e32 v127, v105, v147
	v_fma_f32 v126, v104, v147, -v3
	v_mul_f32_e32 v3, v107, v138
	ds_read2_b64 v[4:7], v2 offset0:73 offset1:74
	ds_read2_b64 v[8:11], v2 offset0:75 offset1:76
	;; [unrolled: 1-line block ×3, first 2 shown]
	ds_read_b64 v[98:99], v2 offset:632
	s_waitcnt vmcnt(8)
	v_pk_fma_f32 v[104:105], v[108:109], v[116:117], v[102:103] op_sel:[0,0,1] op_sel_hi:[1,1,0] neg_lo:[0,0,1] neg_hi:[0,0,1]
	v_pk_fma_f32 v[102:103], v[108:109], v[116:117], v[102:103] op_sel:[0,0,1] op_sel_hi:[1,0,0]
	v_fmac_f32_e32 v129, v107, v148
	v_fma_f32 v128, v106, v148, -v3
	v_pk_add_f32 v[100:101], v[130:131], v[126:127]
	v_mov_b32_e32 v102, v115
	v_pk_add_f32 v[100:101], v[100:101], v[128:129]
	v_mov_b32_e32 v105, v103
	s_waitcnt lgkmcnt(3)
	v_pk_mul_f32 v[102:103], v[4:5], v[102:103] op_sel_hi:[1,0]
	v_pk_add_f32 v[100:101], v[100:101], v[104:105]
	v_pk_fma_f32 v[104:105], v[4:5], v[114:115], v[102:103] op_sel:[0,0,1] op_sel_hi:[1,1,0] neg_lo:[0,0,1] neg_hi:[0,0,1]
	v_pk_fma_f32 v[4:5], v[4:5], v[114:115], v[102:103] op_sel:[0,0,1] op_sel_hi:[1,0,0]
	v_mov_b32_e32 v105, v5
	v_pk_add_f32 v[4:5], v[100:101], v[104:105]
	v_mov_b32_e32 v100, v113
	v_pk_mul_f32 v[100:101], v[6:7], v[100:101] op_sel_hi:[1,0]
	v_pk_fma_f32 v[102:103], v[6:7], v[112:113], v[100:101] op_sel:[0,0,1] op_sel_hi:[1,1,0] neg_lo:[0,0,1] neg_hi:[0,0,1]
	v_pk_fma_f32 v[6:7], v[6:7], v[112:113], v[100:101] op_sel:[0,0,1] op_sel_hi:[1,0,0]
	v_mov_b32_e32 v6, v111
	v_mov_b32_e32 v103, v7
	s_waitcnt lgkmcnt(2)
	v_pk_mul_f32 v[6:7], v[8:9], v[6:7] op_sel_hi:[1,0]
	v_pk_fma_f32 v[100:101], v[8:9], v[110:111], v[6:7] op_sel:[0,0,1] op_sel_hi:[1,1,0] neg_lo:[0,0,1] neg_hi:[0,0,1]
	v_pk_fma_f32 v[6:7], v[8:9], v[110:111], v[6:7] op_sel:[0,0,1] op_sel_hi:[1,0,0]
	s_waitcnt vmcnt(1)
	v_mov_b32_e32 v6, v125
	v_mov_b32_e32 v101, v7
	v_pk_mul_f32 v[6:7], v[10:11], v[6:7] op_sel_hi:[1,0]
	s_waitcnt vmcnt(0)
	v_pk_fma_f32 v[8:9], v[10:11], v[124:125], v[6:7] op_sel:[0,0,1] op_sel_hi:[1,1,0] neg_lo:[0,0,1] neg_hi:[0,0,1]
	v_pk_fma_f32 v[6:7], v[10:11], v[124:125], v[6:7] op_sel:[0,0,1] op_sel_hi:[1,0,0]
	v_pk_add_f32 v[4:5], v[4:5], v[102:103]
	v_mov_b32_e32 v6, v123
	v_pk_add_f32 v[4:5], v[4:5], v[100:101]
	v_mov_b32_e32 v9, v7
	s_waitcnt lgkmcnt(1)
	v_pk_mul_f32 v[6:7], v[12:13], v[6:7] op_sel_hi:[1,0]
	v_pk_add_f32 v[4:5], v[4:5], v[8:9]
	v_pk_fma_f32 v[8:9], v[12:13], v[122:123], v[6:7] op_sel:[0,0,1] op_sel_hi:[1,1,0] neg_lo:[0,0,1] neg_hi:[0,0,1]
	v_pk_fma_f32 v[6:7], v[12:13], v[122:123], v[6:7] op_sel:[0,0,1] op_sel_hi:[1,0,0]
	v_mov_b32_e32 v6, v121
	v_mov_b32_e32 v9, v7
	v_pk_mul_f32 v[6:7], v[14:15], v[6:7] op_sel_hi:[1,0]
	v_pk_add_f32 v[4:5], v[4:5], v[8:9]
	v_pk_fma_f32 v[8:9], v[14:15], v[120:121], v[6:7] op_sel:[0,0,1] op_sel_hi:[1,1,0] neg_lo:[0,0,1] neg_hi:[0,0,1]
	v_pk_fma_f32 v[6:7], v[14:15], v[120:121], v[6:7] op_sel:[0,0,1] op_sel_hi:[1,0,0]
	v_mov_b32_e32 v6, v119
	v_mov_b32_e32 v9, v7
	s_waitcnt lgkmcnt(0)
	v_pk_mul_f32 v[6:7], v[98:99], v[6:7] op_sel_hi:[1,0]
	v_pk_add_f32 v[4:5], v[4:5], v[8:9]
	v_pk_fma_f32 v[8:9], v[98:99], v[118:119], v[6:7] op_sel:[0,0,1] op_sel_hi:[1,1,0] neg_lo:[0,0,1] neg_hi:[0,0,1]
	v_pk_fma_f32 v[6:7], v[98:99], v[118:119], v[6:7] op_sel:[0,0,1] op_sel_hi:[1,0,0]
	v_mov_b32_e32 v9, v7
	v_pk_add_f32 v[4:5], v[4:5], v[8:9]
	v_pk_add_f32 v[4:5], v[16:17], v[4:5] neg_lo:[0,1] neg_hi:[0,1]
	buffer_store_dword v5, off, s[0:3], 0 offset:164
	buffer_store_dword v4, off, s[0:3], 0 offset:160
	s_and_saveexec_b64 s[4:5], vcc
	s_cbranch_execz .LBB39_215
; %bb.214:
	buffer_load_dword v4, off, s[0:3], 0 offset:152
	buffer_load_dword v5, off, s[0:3], 0 offset:156
	s_waitcnt vmcnt(0)
	ds_write_b64 v1, v[4:5]
	buffer_store_dword v2, off, s[0:3], 0 offset:152
	buffer_store_dword v2, off, s[0:3], 0 offset:156
.LBB39_215:
	s_or_b64 exec, exec, s[4:5]
	s_waitcnt lgkmcnt(0)
	; wave barrier
	s_waitcnt lgkmcnt(0)
	buffer_load_dword v3, off, s[0:3], 0 offset:164
	buffer_load_dword v126, off, s[0:3], 0 offset:172
	;; [unrolled: 1-line block ×26, first 2 shown]
	ds_read_b128 v[4:7], v2 offset:480
	ds_read_b128 v[8:11], v2 offset:496
	;; [unrolled: 1-line block ×6, first 2 shown]
	buffer_load_dword v111, off, s[0:3], 0 offset:276
	buffer_load_dword v110, off, s[0:3], 0 offset:272
	;; [unrolled: 1-line block ×16, first 2 shown]
	v_cmp_lt_u32_e32 vcc, 18, v0
	s_waitcnt vmcnt(41) lgkmcnt(5)
	v_mul_f32_e32 v151, v4, v3
	s_waitcnt vmcnt(40)
	v_mul_f32_e32 v152, v6, v126
	v_mul_f32_e32 v3, v5, v3
	;; [unrolled: 1-line block ×3, first 2 shown]
	s_waitcnt vmcnt(39) lgkmcnt(4)
	v_mul_f32_e32 v153, v8, v128
	s_waitcnt vmcnt(38)
	v_mul_f32_e32 v154, v10, v130
	s_waitcnt vmcnt(37) lgkmcnt(3)
	v_mul_f32_e32 v155, v12, v132
	s_waitcnt vmcnt(36)
	v_mul_f32_e32 v156, v14, v133
	;; [unrolled: 4-line block ×4, first 2 shown]
	s_waitcnt vmcnt(29)
	v_fmac_f32_e32 v151, v5, v131
	s_waitcnt vmcnt(28)
	v_fmac_f32_e32 v152, v7, v140
	v_fma_f32 v3, v4, v131, -v3
	v_fma_f32 v4, v6, v140, -v126
	v_add_f32_e32 v6, 0, v151
	s_waitcnt vmcnt(27)
	v_fmac_f32_e32 v153, v9, v141
	v_add_f32_e32 v3, 0, v3
	v_add_f32_e32 v6, v6, v152
	s_waitcnt vmcnt(26)
	v_fmac_f32_e32 v154, v11, v142
	v_add_f32_e32 v3, v3, v4
	;; [unrolled: 4-line block ×3, first 2 shown]
	s_waitcnt vmcnt(24)
	v_fmac_f32_e32 v156, v15, v144
	v_add_f32_e32 v4, v4, v155
	s_waitcnt vmcnt(23)
	v_fmac_f32_e32 v157, v99, v145
	v_add_f32_e32 v4, v4, v156
	;; [unrolled: 3-line block ×4, first 2 shown]
	v_mul_f32_e32 v128, v9, v128
	s_waitcnt vmcnt(20)
	v_fmac_f32_e32 v160, v105, v148
	v_add_f32_e32 v4, v4, v159
	v_fma_f32 v5, v8, v141, -v128
	v_add_f32_e32 v131, v4, v160
	v_mul_f32_e32 v4, v11, v130
	v_add_f32_e32 v3, v3, v5
	v_fma_f32 v4, v10, v142, -v4
	v_add_f32_e32 v3, v3, v4
	v_mul_f32_e32 v4, v13, v132
	v_fma_f32 v4, v12, v143, -v4
	v_add_f32_e32 v3, v3, v4
	v_mul_f32_e32 v4, v15, v133
	;; [unrolled: 3-line block ×6, first 2 shown]
	v_fma_f32 v4, v104, v148, -v4
	v_add_f32_e32 v130, v3, v4
	ds_read_b128 v[4:7], v2 offset:576
	ds_read_b128 v[8:11], v2 offset:592
	ds_read_b128 v[12:15], v2 offset:608
	ds_read_b128 v[98:101], v2 offset:624
	s_waitcnt vmcnt(11)
	v_mov_b32_e32 v102, v115
	s_waitcnt lgkmcnt(3)
	v_pk_mul_f32 v[102:103], v[4:5], v[102:103] op_sel_hi:[1,0]
	s_waitcnt vmcnt(10)
	v_pk_fma_f32 v[104:105], v[4:5], v[114:115], v[102:103] op_sel:[0,0,1] op_sel_hi:[1,1,0] neg_lo:[0,0,1] neg_hi:[0,0,1]
	v_pk_fma_f32 v[4:5], v[4:5], v[114:115], v[102:103] op_sel:[0,0,1] op_sel_hi:[1,0,0]
	v_mov_b32_e32 v4, v113
	v_mov_b32_e32 v105, v5
	v_pk_mul_f32 v[4:5], v[6:7], v[4:5] op_sel_hi:[1,0]
	v_mul_f32_e32 v127, v106, v138
	v_mul_f32_e32 v3, v107, v138
	v_pk_fma_f32 v[102:103], v[6:7], v[112:113], v[4:5] op_sel:[0,0,1] op_sel_hi:[1,1,0] neg_lo:[0,0,1] neg_hi:[0,0,1]
	v_pk_fma_f32 v[4:5], v[6:7], v[112:113], v[4:5] op_sel:[0,0,1] op_sel_hi:[1,0,0]
	v_mul_f32_e32 v129, v108, v139
	v_fmac_f32_e32 v127, v107, v149
	v_fma_f32 v126, v106, v149, -v3
	v_mul_f32_e32 v3, v109, v139
	v_mov_b32_e32 v4, v111
	v_fmac_f32_e32 v129, v109, v150
	v_fma_f32 v128, v108, v150, -v3
	v_pk_add_f32 v[2:3], v[130:131], v[126:127]
	v_mov_b32_e32 v103, v5
	s_waitcnt lgkmcnt(2)
	v_pk_mul_f32 v[4:5], v[8:9], v[4:5] op_sel_hi:[1,0]
	v_pk_add_f32 v[2:3], v[2:3], v[128:129]
	v_pk_fma_f32 v[6:7], v[8:9], v[110:111], v[4:5] op_sel:[0,0,1] op_sel_hi:[1,1,0] neg_lo:[0,0,1] neg_hi:[0,0,1]
	v_pk_fma_f32 v[4:5], v[8:9], v[110:111], v[4:5] op_sel:[0,0,1] op_sel_hi:[1,0,0]
	v_pk_add_f32 v[2:3], v[2:3], v[104:105]
	s_waitcnt vmcnt(3)
	v_mov_b32_e32 v4, v123
	v_pk_add_f32 v[2:3], v[2:3], v[102:103]
	v_mov_b32_e32 v7, v5
	v_pk_mul_f32 v[4:5], v[10:11], v[4:5] op_sel_hi:[1,0]
	v_pk_add_f32 v[2:3], v[2:3], v[6:7]
	s_waitcnt vmcnt(2)
	v_pk_fma_f32 v[6:7], v[10:11], v[122:123], v[4:5] op_sel:[0,0,1] op_sel_hi:[1,1,0] neg_lo:[0,0,1] neg_hi:[0,0,1]
	v_pk_fma_f32 v[4:5], v[10:11], v[122:123], v[4:5] op_sel:[0,0,1] op_sel_hi:[1,0,0]
	v_mov_b32_e32 v4, v121
	v_mov_b32_e32 v7, v5
	s_waitcnt lgkmcnt(1)
	v_pk_mul_f32 v[4:5], v[12:13], v[4:5] op_sel_hi:[1,0]
	v_pk_add_f32 v[2:3], v[2:3], v[6:7]
	v_pk_fma_f32 v[6:7], v[12:13], v[120:121], v[4:5] op_sel:[0,0,1] op_sel_hi:[1,1,0] neg_lo:[0,0,1] neg_hi:[0,0,1]
	v_pk_fma_f32 v[4:5], v[12:13], v[120:121], v[4:5] op_sel:[0,0,1] op_sel_hi:[1,0,0]
	v_mov_b32_e32 v4, v119
	v_mov_b32_e32 v7, v5
	v_pk_mul_f32 v[4:5], v[14:15], v[4:5] op_sel_hi:[1,0]
	v_pk_add_f32 v[2:3], v[2:3], v[6:7]
	v_pk_fma_f32 v[6:7], v[14:15], v[118:119], v[4:5] op_sel:[0,0,1] op_sel_hi:[1,1,0] neg_lo:[0,0,1] neg_hi:[0,0,1]
	v_pk_fma_f32 v[4:5], v[14:15], v[118:119], v[4:5] op_sel:[0,0,1] op_sel_hi:[1,0,0]
	v_mov_b32_e32 v4, v117
	v_mov_b32_e32 v7, v5
	s_waitcnt lgkmcnt(0)
	v_pk_mul_f32 v[4:5], v[98:99], v[4:5] op_sel_hi:[1,0]
	v_pk_add_f32 v[2:3], v[2:3], v[6:7]
	v_pk_fma_f32 v[6:7], v[98:99], v[116:117], v[4:5] op_sel:[0,0,1] op_sel_hi:[1,1,0] neg_lo:[0,0,1] neg_hi:[0,0,1]
	v_pk_fma_f32 v[4:5], v[98:99], v[116:117], v[4:5] op_sel:[0,0,1] op_sel_hi:[1,0,0]
	s_waitcnt vmcnt(1)
	v_mov_b32_e32 v4, v125
	v_mov_b32_e32 v7, v5
	v_pk_mul_f32 v[4:5], v[100:101], v[4:5] op_sel_hi:[1,0]
	v_pk_add_f32 v[2:3], v[2:3], v[6:7]
	s_waitcnt vmcnt(0)
	v_pk_fma_f32 v[6:7], v[100:101], v[124:125], v[4:5] op_sel:[0,0,1] op_sel_hi:[1,1,0] neg_lo:[0,0,1] neg_hi:[0,0,1]
	v_pk_fma_f32 v[4:5], v[100:101], v[124:125], v[4:5] op_sel:[0,0,1] op_sel_hi:[1,0,0]
	v_mov_b32_e32 v7, v5
	v_pk_add_f32 v[2:3], v[2:3], v[6:7]
	v_pk_add_f32 v[2:3], v[16:17], v[2:3] neg_lo:[0,1] neg_hi:[0,1]
	buffer_store_dword v3, off, s[0:3], 0 offset:156
	buffer_store_dword v2, off, s[0:3], 0 offset:152
	s_and_saveexec_b64 s[4:5], vcc
	s_cbranch_execz .LBB39_217
; %bb.216:
	buffer_load_dword v2, off, s[0:3], 0 offset:144
	buffer_load_dword v3, off, s[0:3], 0 offset:148
	v_mov_b32_e32 v4, 0
	buffer_store_dword v4, off, s[0:3], 0 offset:144
	buffer_store_dword v4, off, s[0:3], 0 offset:148
	s_waitcnt vmcnt(2)
	ds_write_b64 v1, v[2:3]
.LBB39_217:
	s_or_b64 exec, exec, s[4:5]
	v_mov_b32_e32 v100, 0
	s_waitcnt lgkmcnt(0)
	; wave barrier
	s_waitcnt lgkmcnt(0)
	ds_read2_b64 v[12:15], v100 offset0:59 offset1:60
	buffer_load_dword v6, off, s[0:3], 0 offset:144
	buffer_load_dword v7, off, s[0:3], 0 offset:148
	;; [unrolled: 1-line block ×16, first 2 shown]
	ds_read2_b64 v[102:105], v100 offset0:61 offset1:62
	ds_read2_b64 v[106:109], v100 offset0:63 offset1:64
	;; [unrolled: 1-line block ×3, first 2 shown]
	buffer_load_dword v146, off, s[0:3], 0 offset:208
	buffer_load_dword v147, off, s[0:3], 0 offset:212
	ds_read2_b64 v[114:117], v100 offset0:67 offset1:68
	buffer_load_dword v148, off, s[0:3], 0 offset:216
	buffer_load_dword v149, off, s[0:3], 0 offset:220
	;; [unrolled: 1-line block ×4, first 2 shown]
	ds_read2_b64 v[118:121], v100 offset0:69 offset1:70
	buffer_load_dword v152, off, s[0:3], 0 offset:232
	buffer_load_dword v153, off, s[0:3], 0 offset:236
	;; [unrolled: 1-line block ×4, first 2 shown]
	v_cmp_lt_u32_e32 vcc, 17, v0
	s_waitcnt vmcnt(22) lgkmcnt(5)
	v_mul_f32_e32 v2, v12, v10
	v_fmac_f32_e32 v2, v13, v8
	s_waitcnt vmcnt(20)
	v_mul_f32_e32 v3, v14, v101
	v_add_f32_e32 v2, 0, v2
	v_fmac_f32_e32 v3, v15, v16
	v_add_f32_e32 v2, v2, v3
	s_waitcnt vmcnt(18) lgkmcnt(4)
	v_mul_f32_e32 v3, v102, v137
	v_fmac_f32_e32 v3, v103, v136
	v_add_f32_e32 v2, v2, v3
	s_waitcnt vmcnt(16)
	v_mul_f32_e32 v3, v104, v139
	v_fmac_f32_e32 v3, v105, v138
	v_add_f32_e32 v2, v2, v3
	s_waitcnt vmcnt(14) lgkmcnt(3)
	v_mul_f32_e32 v3, v106, v141
	v_fmac_f32_e32 v3, v107, v140
	v_add_f32_e32 v2, v2, v3
	s_waitcnt vmcnt(12)
	v_mul_f32_e32 v3, v108, v143
	;; [unrolled: 8-line block ×4, first 2 shown]
	v_fmac_f32_e32 v3, v117, v150
	v_add_f32_e32 v2, v2, v3
	s_waitcnt vmcnt(2) lgkmcnt(0)
	v_mul_f32_e32 v3, v118, v153
	v_fmac_f32_e32 v3, v119, v152
	v_add_f32_e32 v9, v2, v3
	ds_read2_b64 v[2:5], v100 offset0:71 offset1:72
	buffer_load_dword v156, off, s[0:3], 0 offset:248
	buffer_load_dword v157, off, s[0:3], 0 offset:252
	;; [unrolled: 1-line block ×18, first 2 shown]
	v_mul_f32_e32 v10, v13, v10
	v_fma_f32 v8, v12, v8, -v10
	v_mul_f32_e32 v10, v15, v101
	v_add_f32_e32 v8, 0, v8
	v_fma_f32 v10, v14, v16, -v10
	v_add_f32_e32 v8, v8, v10
	v_mul_f32_e32 v10, v103, v137
	v_fma_f32 v10, v102, v136, -v10
	v_add_f32_e32 v8, v8, v10
	v_mul_f32_e32 v10, v105, v139
	;; [unrolled: 3-line block ×9, first 2 shown]
	v_fma_f32 v10, v118, v152, -v10
	s_waitcnt vmcnt(18)
	v_mul_f32_e32 v11, v120, v155
	v_add_f32_e32 v8, v8, v10
	v_mul_f32_e32 v10, v121, v155
	v_fmac_f32_e32 v11, v121, v154
	v_fma_f32 v10, v120, v154, -v10
	v_pk_add_f32 v[8:9], v[8:9], v[10:11]
	s_waitcnt vmcnt(15)
	v_mov_b32_e32 v10, v99
	s_waitcnt lgkmcnt(0)
	v_pk_mul_f32 v[10:11], v[4:5], v[10:11] op_sel_hi:[1,0]
	v_mul_f32_e32 v17, v2, v157
	v_fmac_f32_e32 v17, v3, v156
	v_mul_f32_e32 v3, v3, v157
	v_fma_f32 v16, v2, v156, -v3
	v_pk_add_f32 v[8:9], v[8:9], v[16:17]
	s_waitcnt vmcnt(14)
	v_pk_fma_f32 v[16:17], v[4:5], v[98:99], v[10:11] op_sel:[0,0,1] op_sel_hi:[1,1,0] neg_lo:[0,0,1] neg_hi:[0,0,1]
	v_pk_fma_f32 v[4:5], v[4:5], v[98:99], v[10:11] op_sel:[0,0,1] op_sel_hi:[1,0,0]
	ds_read2_b64 v[12:15], v100 offset0:73 offset1:74
	ds_read2_b64 v[102:105], v100 offset0:75 offset1:76
	;; [unrolled: 1-line block ×3, first 2 shown]
	ds_read_b64 v[2:3], v100 offset:632
	v_mov_b32_e32 v17, v5
	v_pk_add_f32 v[4:5], v[8:9], v[16:17]
	s_waitcnt vmcnt(13)
	v_mov_b32_e32 v8, v123
	s_waitcnt lgkmcnt(3)
	v_pk_mul_f32 v[8:9], v[12:13], v[8:9] op_sel_hi:[1,0]
	s_waitcnt vmcnt(12)
	v_pk_fma_f32 v[10:11], v[12:13], v[122:123], v[8:9] op_sel:[0,0,1] op_sel_hi:[1,1,0] neg_lo:[0,0,1] neg_hi:[0,0,1]
	v_pk_fma_f32 v[8:9], v[12:13], v[122:123], v[8:9] op_sel:[0,0,1] op_sel_hi:[1,0,0]
	s_waitcnt vmcnt(11)
	v_mov_b32_e32 v8, v125
	v_mov_b32_e32 v11, v9
	v_pk_mul_f32 v[8:9], v[14:15], v[8:9] op_sel_hi:[1,0]
	v_pk_add_f32 v[4:5], v[4:5], v[10:11]
	s_waitcnt vmcnt(10)
	v_pk_fma_f32 v[10:11], v[14:15], v[124:125], v[8:9] op_sel:[0,0,1] op_sel_hi:[1,1,0] neg_lo:[0,0,1] neg_hi:[0,0,1]
	v_pk_fma_f32 v[8:9], v[14:15], v[124:125], v[8:9] op_sel:[0,0,1] op_sel_hi:[1,0,0]
	s_waitcnt vmcnt(9)
	v_mov_b32_e32 v8, v127
	v_mov_b32_e32 v11, v9
	s_waitcnt lgkmcnt(2)
	v_pk_mul_f32 v[8:9], v[102:103], v[8:9] op_sel_hi:[1,0]
	v_pk_add_f32 v[4:5], v[4:5], v[10:11]
	s_waitcnt vmcnt(8)
	v_pk_fma_f32 v[10:11], v[102:103], v[126:127], v[8:9] op_sel:[0,0,1] op_sel_hi:[1,1,0] neg_lo:[0,0,1] neg_hi:[0,0,1]
	v_pk_fma_f32 v[8:9], v[102:103], v[126:127], v[8:9] op_sel:[0,0,1] op_sel_hi:[1,0,0]
	s_waitcnt vmcnt(7)
	v_mov_b32_e32 v8, v129
	v_mov_b32_e32 v11, v9
	v_pk_mul_f32 v[8:9], v[104:105], v[8:9] op_sel_hi:[1,0]
	v_pk_add_f32 v[4:5], v[4:5], v[10:11]
	s_waitcnt vmcnt(6)
	v_pk_fma_f32 v[10:11], v[104:105], v[128:129], v[8:9] op_sel:[0,0,1] op_sel_hi:[1,1,0] neg_lo:[0,0,1] neg_hi:[0,0,1]
	v_pk_fma_f32 v[8:9], v[104:105], v[128:129], v[8:9] op_sel:[0,0,1] op_sel_hi:[1,0,0]
	s_waitcnt vmcnt(5)
	v_mov_b32_e32 v8, v131
	v_mov_b32_e32 v11, v9
	s_waitcnt lgkmcnt(1)
	v_pk_mul_f32 v[8:9], v[106:107], v[8:9] op_sel_hi:[1,0]
	v_pk_add_f32 v[4:5], v[4:5], v[10:11]
	;; [unrolled: 17-line block ×3, first 2 shown]
	s_waitcnt vmcnt(0)
	v_pk_fma_f32 v[10:11], v[2:3], v[134:135], v[8:9] op_sel:[0,0,1] op_sel_hi:[1,1,0] neg_lo:[0,0,1] neg_hi:[0,0,1]
	v_pk_fma_f32 v[2:3], v[2:3], v[134:135], v[8:9] op_sel:[0,0,1] op_sel_hi:[1,0,0]
	v_mov_b32_e32 v11, v3
	v_pk_add_f32 v[2:3], v[4:5], v[10:11]
	v_pk_add_f32 v[2:3], v[6:7], v[2:3] neg_lo:[0,1] neg_hi:[0,1]
	buffer_store_dword v3, off, s[0:3], 0 offset:148
	buffer_store_dword v2, off, s[0:3], 0 offset:144
	s_and_saveexec_b64 s[4:5], vcc
	s_cbranch_execz .LBB39_219
; %bb.218:
	buffer_load_dword v2, off, s[0:3], 0 offset:136
	buffer_load_dword v3, off, s[0:3], 0 offset:140
	s_waitcnt vmcnt(0)
	ds_write_b64 v1, v[2:3]
	buffer_store_dword v100, off, s[0:3], 0 offset:136
	buffer_store_dword v100, off, s[0:3], 0 offset:140
.LBB39_219:
	s_or_b64 exec, exec, s[4:5]
	s_waitcnt lgkmcnt(0)
	; wave barrier
	s_waitcnt lgkmcnt(0)
	ds_read_b128 v[14:17], v100 offset:464
	ds_read_b128 v[10:13], v100 offset:480
	ds_read_b128 v[6:9], v100 offset:496
	ds_read_b128 v[2:5], v100 offset:512
	buffer_load_dword v98, off, s[0:3], 0 offset:136
	buffer_load_dword v99, off, s[0:3], 0 offset:140
	;; [unrolled: 1-line block ×18, first 2 shown]
	v_cmp_lt_u32_e32 vcc, 16, v0
	s_waitcnt vmcnt(14) lgkmcnt(3)
	v_mul_f32_e32 v102, v14, v118
	v_fmac_f32_e32 v102, v15, v101
	s_waitcnt vmcnt(12)
	v_mul_f32_e32 v103, v16, v122
	v_add_f32_e32 v102, 0, v102
	v_fmac_f32_e32 v103, v17, v120
	v_add_f32_e32 v102, v102, v103
	s_waitcnt vmcnt(10) lgkmcnt(2)
	v_mul_f32_e32 v103, v10, v141
	v_fmac_f32_e32 v103, v11, v140
	v_add_f32_e32 v102, v102, v103
	s_waitcnt vmcnt(8)
	v_mul_f32_e32 v103, v12, v143
	v_fmac_f32_e32 v103, v13, v142
	v_add_f32_e32 v102, v102, v103
	s_waitcnt vmcnt(6) lgkmcnt(1)
	v_mul_f32_e32 v103, v6, v145
	v_fmac_f32_e32 v103, v7, v144
	v_add_f32_e32 v102, v102, v103
	s_waitcnt vmcnt(4)
	v_mul_f32_e32 v103, v8, v147
	;; [unrolled: 8-line block ×3, first 2 shown]
	v_fmac_f32_e32 v103, v5, v150
	v_add_f32_e32 v106, v102, v103
	ds_read_b128 v[102:105], v100 offset:528
	buffer_load_dword v152, off, s[0:3], 0 offset:208
	buffer_load_dword v153, off, s[0:3], 0 offset:212
	;; [unrolled: 1-line block ×4, first 2 shown]
	v_mul_f32_e32 v15, v15, v118
	v_fma_f32 v14, v14, v101, -v15
	v_mul_f32_e32 v15, v17, v122
	v_add_f32_e32 v14, 0, v14
	v_fma_f32 v15, v16, v120, -v15
	v_mul_f32_e32 v11, v11, v141
	v_add_f32_e32 v14, v14, v15
	;; [unrolled: 3-line block ×7, first 2 shown]
	v_fma_f32 v3, v4, v150, -v3
	v_add_f32_e32 v2, v2, v3
	s_waitcnt vmcnt(2) lgkmcnt(0)
	v_mul_f32_e32 v107, v102, v153
	v_fmac_f32_e32 v107, v103, v152
	v_add_f32_e32 v106, v106, v107
	s_waitcnt vmcnt(0)
	v_mul_f32_e32 v107, v104, v155
	v_fmac_f32_e32 v107, v105, v154
	v_add_f32_e32 v110, v106, v107
	ds_read_b128 v[106:109], v100 offset:544
	buffer_load_dword v156, off, s[0:3], 0 offset:224
	buffer_load_dword v157, off, s[0:3], 0 offset:228
	;; [unrolled: 1-line block ×4, first 2 shown]
	v_mul_f32_e32 v3, v103, v153
	v_fma_f32 v3, v102, v152, -v3
	v_add_f32_e32 v2, v2, v3
	v_mul_f32_e32 v3, v105, v155
	v_fma_f32 v3, v104, v154, -v3
	v_add_f32_e32 v2, v2, v3
	s_waitcnt vmcnt(2) lgkmcnt(0)
	v_mul_f32_e32 v111, v106, v157
	v_fmac_f32_e32 v111, v107, v156
	v_add_f32_e32 v110, v110, v111
	s_waitcnt vmcnt(0)
	v_mul_f32_e32 v111, v108, v159
	v_fmac_f32_e32 v111, v109, v158
	v_add_f32_e32 v119, v110, v111
	ds_read_b128 v[110:113], v100 offset:560
	buffer_load_dword v160, off, s[0:3], 0 offset:240
	buffer_load_dword v161, off, s[0:3], 0 offset:244
	;; [unrolled: 1-line block ×6, first 2 shown]
	ds_read_b128 v[114:117], v100 offset:576
	buffer_load_dword v127, off, s[0:3], 0 offset:268
	buffer_load_dword v126, off, s[0:3], 0 offset:264
	;; [unrolled: 1-line block ×14, first 2 shown]
	v_mul_f32_e32 v3, v107, v157
	v_fma_f32 v3, v106, v156, -v3
	v_add_f32_e32 v2, v2, v3
	v_mul_f32_e32 v3, v109, v159
	v_fma_f32 v3, v108, v158, -v3
	v_add_f32_e32 v118, v2, v3
	s_waitcnt vmcnt(18) lgkmcnt(1)
	v_mul_f32_e32 v2, v111, v161
	s_waitcnt vmcnt(15)
	v_mov_b32_e32 v16, v125
	v_mul_f32_e32 v121, v110, v161
	v_fma_f32 v120, v110, v160, -v2
	v_mul_f32_e32 v2, v113, v163
	s_waitcnt lgkmcnt(0)
	v_pk_mul_f32 v[16:17], v[114:115], v[16:17] op_sel_hi:[1,0]
	v_fmac_f32_e32 v121, v111, v160
	v_mul_f32_e32 v123, v112, v163
	v_fma_f32 v122, v112, v162, -v2
	ds_read_b128 v[2:5], v100 offset:592
	ds_read_b128 v[6:9], v100 offset:608
	;; [unrolled: 1-line block ×3, first 2 shown]
	s_waitcnt vmcnt(14)
	v_pk_fma_f32 v[100:101], v[114:115], v[124:125], v[16:17] op_sel:[0,0,1] op_sel_hi:[1,1,0] neg_lo:[0,0,1] neg_hi:[0,0,1]
	v_pk_fma_f32 v[16:17], v[114:115], v[124:125], v[16:17] op_sel:[0,0,1] op_sel_hi:[1,0,0]
	v_fmac_f32_e32 v123, v113, v162
	v_pk_add_f32 v[14:15], v[118:119], v[120:121]
	s_waitcnt vmcnt(13)
	v_mov_b32_e32 v16, v127
	v_pk_add_f32 v[14:15], v[14:15], v[122:123]
	v_mov_b32_e32 v101, v17
	v_pk_mul_f32 v[16:17], v[116:117], v[16:17] op_sel_hi:[1,0]
	v_pk_add_f32 v[14:15], v[14:15], v[100:101]
	s_waitcnt vmcnt(12)
	v_pk_fma_f32 v[100:101], v[116:117], v[126:127], v[16:17] op_sel:[0,0,1] op_sel_hi:[1,1,0] neg_lo:[0,0,1] neg_hi:[0,0,1]
	v_pk_fma_f32 v[16:17], v[116:117], v[126:127], v[16:17] op_sel:[0,0,1] op_sel_hi:[1,0,0]
	s_waitcnt vmcnt(11)
	v_mov_b32_e32 v16, v129
	v_mov_b32_e32 v101, v17
	s_waitcnt lgkmcnt(2)
	v_pk_mul_f32 v[16:17], v[2:3], v[16:17] op_sel_hi:[1,0]
	v_pk_add_f32 v[14:15], v[14:15], v[100:101]
	s_waitcnt vmcnt(10)
	v_pk_fma_f32 v[100:101], v[2:3], v[128:129], v[16:17] op_sel:[0,0,1] op_sel_hi:[1,1,0] neg_lo:[0,0,1] neg_hi:[0,0,1]
	v_pk_fma_f32 v[2:3], v[2:3], v[128:129], v[16:17] op_sel:[0,0,1] op_sel_hi:[1,0,0]
	v_mov_b32_e32 v101, v3
	v_pk_add_f32 v[2:3], v[14:15], v[100:101]
	s_waitcnt vmcnt(9)
	v_mov_b32_e32 v14, v131
	v_pk_mul_f32 v[14:15], v[4:5], v[14:15] op_sel_hi:[1,0]
	s_waitcnt vmcnt(8)
	v_pk_fma_f32 v[16:17], v[4:5], v[130:131], v[14:15] op_sel:[0,0,1] op_sel_hi:[1,1,0] neg_lo:[0,0,1] neg_hi:[0,0,1]
	v_pk_fma_f32 v[4:5], v[4:5], v[130:131], v[14:15] op_sel:[0,0,1] op_sel_hi:[1,0,0]
	s_waitcnt vmcnt(7)
	v_mov_b32_e32 v4, v133
	v_mov_b32_e32 v17, v5
	s_waitcnt lgkmcnt(1)
	v_pk_mul_f32 v[4:5], v[6:7], v[4:5] op_sel_hi:[1,0]
	s_waitcnt vmcnt(6)
	v_pk_fma_f32 v[14:15], v[6:7], v[132:133], v[4:5] op_sel:[0,0,1] op_sel_hi:[1,1,0] neg_lo:[0,0,1] neg_hi:[0,0,1]
	v_pk_fma_f32 v[4:5], v[6:7], v[132:133], v[4:5] op_sel:[0,0,1] op_sel_hi:[1,0,0]
	s_waitcnt vmcnt(5)
	v_mov_b32_e32 v4, v135
	v_mov_b32_e32 v15, v5
	v_pk_mul_f32 v[4:5], v[8:9], v[4:5] op_sel_hi:[1,0]
	s_waitcnt vmcnt(4)
	v_pk_fma_f32 v[6:7], v[8:9], v[134:135], v[4:5] op_sel:[0,0,1] op_sel_hi:[1,1,0] neg_lo:[0,0,1] neg_hi:[0,0,1]
	v_pk_fma_f32 v[4:5], v[8:9], v[134:135], v[4:5] op_sel:[0,0,1] op_sel_hi:[1,0,0]
	v_pk_add_f32 v[2:3], v[2:3], v[16:17]
	s_waitcnt vmcnt(3)
	v_mov_b32_e32 v4, v137
	v_pk_add_f32 v[2:3], v[2:3], v[14:15]
	v_mov_b32_e32 v7, v5
	s_waitcnt lgkmcnt(0)
	v_pk_mul_f32 v[4:5], v[10:11], v[4:5] op_sel_hi:[1,0]
	v_pk_add_f32 v[2:3], v[2:3], v[6:7]
	s_waitcnt vmcnt(2)
	v_pk_fma_f32 v[6:7], v[10:11], v[136:137], v[4:5] op_sel:[0,0,1] op_sel_hi:[1,1,0] neg_lo:[0,0,1] neg_hi:[0,0,1]
	v_pk_fma_f32 v[4:5], v[10:11], v[136:137], v[4:5] op_sel:[0,0,1] op_sel_hi:[1,0,0]
	s_waitcnt vmcnt(1)
	v_mov_b32_e32 v4, v139
	v_mov_b32_e32 v7, v5
	v_pk_mul_f32 v[4:5], v[12:13], v[4:5] op_sel_hi:[1,0]
	v_pk_add_f32 v[2:3], v[2:3], v[6:7]
	s_waitcnt vmcnt(0)
	v_pk_fma_f32 v[6:7], v[12:13], v[138:139], v[4:5] op_sel:[0,0,1] op_sel_hi:[1,1,0] neg_lo:[0,0,1] neg_hi:[0,0,1]
	v_pk_fma_f32 v[4:5], v[12:13], v[138:139], v[4:5] op_sel:[0,0,1] op_sel_hi:[1,0,0]
	v_mov_b32_e32 v7, v5
	v_pk_add_f32 v[2:3], v[2:3], v[6:7]
	v_pk_add_f32 v[2:3], v[98:99], v[2:3] neg_lo:[0,1] neg_hi:[0,1]
	buffer_store_dword v3, off, s[0:3], 0 offset:140
	buffer_store_dword v2, off, s[0:3], 0 offset:136
	s_and_saveexec_b64 s[4:5], vcc
	s_cbranch_execz .LBB39_221
; %bb.220:
	buffer_load_dword v2, off, s[0:3], 0 offset:128
	buffer_load_dword v3, off, s[0:3], 0 offset:132
	v_mov_b32_e32 v4, 0
	buffer_store_dword v4, off, s[0:3], 0 offset:128
	buffer_store_dword v4, off, s[0:3], 0 offset:132
	s_waitcnt vmcnt(2)
	ds_write_b64 v1, v[2:3]
.LBB39_221:
	s_or_b64 exec, exec, s[4:5]
	v_mov_b32_e32 v100, 0
	s_waitcnt lgkmcnt(0)
	; wave barrier
	s_waitcnt lgkmcnt(0)
	ds_read2_b64 v[2:5], v100 offset0:57 offset1:58
	buffer_load_dword v98, off, s[0:3], 0 offset:128
	buffer_load_dword v99, off, s[0:3], 0 offset:132
	;; [unrolled: 1-line block ×16, first 2 shown]
	v_cmp_lt_u32_e32 vcc, 15, v0
	s_waitcnt vmcnt(12) lgkmcnt(0)
	v_mul_f32_e32 v6, v2, v118
	v_fmac_f32_e32 v6, v3, v101
	s_waitcnt vmcnt(10)
	v_mul_f32_e32 v7, v4, v122
	v_add_f32_e32 v6, 0, v6
	v_fmac_f32_e32 v7, v5, v120
	v_add_f32_e32 v10, v6, v7
	ds_read2_b64 v[6:9], v100 offset0:59 offset1:60
	v_mul_f32_e32 v3, v3, v118
	v_fma_f32 v2, v2, v101, -v3
	v_mul_f32_e32 v3, v5, v122
	v_add_f32_e32 v2, 0, v2
	s_waitcnt vmcnt(8) lgkmcnt(0)
	v_mul_f32_e32 v11, v6, v141
	v_fmac_f32_e32 v11, v7, v140
	v_add_f32_e32 v10, v10, v11
	s_waitcnt vmcnt(6)
	v_mul_f32_e32 v11, v8, v143
	v_fmac_f32_e32 v11, v9, v142
	v_add_f32_e32 v14, v10, v11
	ds_read2_b64 v[10:13], v100 offset0:61 offset1:62
	v_fma_f32 v3, v4, v120, -v3
	v_add_f32_e32 v2, v2, v3
	v_mul_f32_e32 v3, v7, v141
	v_fma_f32 v3, v6, v140, -v3
	s_waitcnt vmcnt(4) lgkmcnt(0)
	v_mul_f32_e32 v15, v10, v145
	v_fmac_f32_e32 v15, v11, v144
	v_add_f32_e32 v14, v14, v15
	s_waitcnt vmcnt(2)
	v_mul_f32_e32 v15, v12, v147
	v_fmac_f32_e32 v15, v13, v146
	v_add_f32_e32 v102, v14, v15
	ds_read2_b64 v[14:17], v100 offset0:63 offset1:64
	buffer_load_dword v150, off, s[0:3], 0 offset:192
	buffer_load_dword v151, off, s[0:3], 0 offset:196
	v_add_f32_e32 v2, v2, v3
	v_mul_f32_e32 v3, v9, v143
	v_fma_f32 v3, v8, v142, -v3
	s_waitcnt vmcnt(2) lgkmcnt(0)
	v_mul_f32_e32 v103, v14, v149
	v_fmac_f32_e32 v103, v15, v148
	v_add_f32_e32 v102, v102, v103
	v_add_f32_e32 v2, v2, v3
	v_mul_f32_e32 v3, v11, v145
	v_fma_f32 v3, v10, v144, -v3
	v_add_f32_e32 v2, v2, v3
	v_mul_f32_e32 v3, v13, v147
	v_fma_f32 v3, v12, v146, -v3
	;; [unrolled: 3-line block ×3, first 2 shown]
	v_add_f32_e32 v2, v2, v3
	s_waitcnt vmcnt(0)
	v_mul_f32_e32 v103, v16, v151
	v_fmac_f32_e32 v103, v17, v150
	v_add_f32_e32 v106, v102, v103
	ds_read2_b64 v[102:105], v100 offset0:65 offset1:66
	buffer_load_dword v152, off, s[0:3], 0 offset:200
	buffer_load_dword v153, off, s[0:3], 0 offset:204
	;; [unrolled: 1-line block ×4, first 2 shown]
	v_mul_f32_e32 v3, v17, v151
	v_fma_f32 v3, v16, v150, -v3
	v_add_f32_e32 v2, v2, v3
	s_waitcnt vmcnt(2) lgkmcnt(0)
	v_mul_f32_e32 v107, v102, v153
	v_fmac_f32_e32 v107, v103, v152
	v_add_f32_e32 v106, v106, v107
	s_waitcnt vmcnt(0)
	v_mul_f32_e32 v107, v104, v155
	v_fmac_f32_e32 v107, v105, v154
	v_add_f32_e32 v110, v106, v107
	ds_read2_b64 v[106:109], v100 offset0:67 offset1:68
	buffer_load_dword v156, off, s[0:3], 0 offset:216
	buffer_load_dword v157, off, s[0:3], 0 offset:220
	;; [unrolled: 1-line block ×4, first 2 shown]
	v_mul_f32_e32 v3, v103, v153
	v_fma_f32 v3, v102, v152, -v3
	v_add_f32_e32 v2, v2, v3
	v_mul_f32_e32 v3, v105, v155
	v_fma_f32 v3, v104, v154, -v3
	v_add_f32_e32 v2, v2, v3
	s_waitcnt vmcnt(2) lgkmcnt(0)
	v_mul_f32_e32 v111, v106, v157
	v_fmac_f32_e32 v111, v107, v156
	v_add_f32_e32 v110, v110, v111
	s_waitcnt vmcnt(0)
	v_mul_f32_e32 v111, v108, v159
	v_fmac_f32_e32 v111, v109, v158
	v_add_f32_e32 v114, v110, v111
	ds_read2_b64 v[110:113], v100 offset0:69 offset1:70
	buffer_load_dword v160, off, s[0:3], 0 offset:232
	buffer_load_dword v161, off, s[0:3], 0 offset:236
	;; [unrolled: 1-line block ×4, first 2 shown]
	v_mul_f32_e32 v3, v107, v157
	v_fma_f32 v3, v106, v156, -v3
	v_add_f32_e32 v2, v2, v3
	v_mul_f32_e32 v3, v109, v159
	v_fma_f32 v3, v108, v158, -v3
	v_add_f32_e32 v2, v2, v3
	s_waitcnt vmcnt(2) lgkmcnt(0)
	v_mul_f32_e32 v115, v110, v161
	v_fmac_f32_e32 v115, v111, v160
	v_add_f32_e32 v119, v114, v115
	ds_read2_b64 v[114:117], v100 offset0:71 offset1:72
	buffer_load_dword v164, off, s[0:3], 0 offset:248
	buffer_load_dword v165, off, s[0:3], 0 offset:252
	;; [unrolled: 1-line block ×18, first 2 shown]
	v_mul_f32_e32 v3, v111, v161
	v_fma_f32 v3, v110, v160, -v3
	v_add_f32_e32 v118, v2, v3
	s_waitcnt vmcnt(18)
	v_mul_f32_e32 v2, v113, v163
	v_mul_f32_e32 v121, v112, v163
	v_fma_f32 v120, v112, v162, -v2
	v_fmac_f32_e32 v121, v113, v162
	v_pk_add_f32 v[16:17], v[118:119], v[120:121]
	s_waitcnt vmcnt(15)
	v_mov_b32_e32 v102, v125
	s_waitcnt lgkmcnt(0)
	v_pk_mul_f32 v[102:103], v[116:117], v[102:103] op_sel_hi:[1,0]
	s_waitcnt vmcnt(14)
	v_pk_fma_f32 v[104:105], v[116:117], v[124:125], v[102:103] op_sel:[0,0,1] op_sel_hi:[1,1,0] neg_lo:[0,0,1] neg_hi:[0,0,1]
	v_pk_fma_f32 v[102:103], v[116:117], v[124:125], v[102:103] op_sel:[0,0,1] op_sel_hi:[1,0,0]
	s_waitcnt vmcnt(13)
	v_mov_b32_e32 v102, v127
	v_mov_b32_e32 v105, v103
	v_mul_f32_e32 v2, v115, v165
	v_mul_f32_e32 v123, v114, v165
	v_fma_f32 v122, v114, v164, -v2
	ds_read2_b64 v[2:5], v100 offset0:73 offset1:74
	ds_read2_b64 v[6:9], v100 offset0:75 offset1:76
	;; [unrolled: 1-line block ×3, first 2 shown]
	ds_read_b64 v[14:15], v100 offset:632
	v_fmac_f32_e32 v123, v115, v164
	v_pk_add_f32 v[16:17], v[16:17], v[122:123]
	s_waitcnt lgkmcnt(3)
	v_pk_mul_f32 v[102:103], v[2:3], v[102:103] op_sel_hi:[1,0]
	v_pk_add_f32 v[16:17], v[16:17], v[104:105]
	s_waitcnt vmcnt(12)
	v_pk_fma_f32 v[104:105], v[2:3], v[126:127], v[102:103] op_sel:[0,0,1] op_sel_hi:[1,1,0] neg_lo:[0,0,1] neg_hi:[0,0,1]
	v_pk_fma_f32 v[2:3], v[2:3], v[126:127], v[102:103] op_sel:[0,0,1] op_sel_hi:[1,0,0]
	v_mov_b32_e32 v105, v3
	v_pk_add_f32 v[2:3], v[16:17], v[104:105]
	s_waitcnt vmcnt(11)
	v_mov_b32_e32 v16, v129
	v_pk_mul_f32 v[16:17], v[4:5], v[16:17] op_sel_hi:[1,0]
	s_waitcnt vmcnt(10)
	v_pk_fma_f32 v[102:103], v[4:5], v[128:129], v[16:17] op_sel:[0,0,1] op_sel_hi:[1,1,0] neg_lo:[0,0,1] neg_hi:[0,0,1]
	v_pk_fma_f32 v[4:5], v[4:5], v[128:129], v[16:17] op_sel:[0,0,1] op_sel_hi:[1,0,0]
	s_waitcnt vmcnt(9)
	v_mov_b32_e32 v4, v131
	v_mov_b32_e32 v103, v5
	s_waitcnt lgkmcnt(2)
	v_pk_mul_f32 v[4:5], v[6:7], v[4:5] op_sel_hi:[1,0]
	s_waitcnt vmcnt(8)
	v_pk_fma_f32 v[16:17], v[6:7], v[130:131], v[4:5] op_sel:[0,0,1] op_sel_hi:[1,1,0] neg_lo:[0,0,1] neg_hi:[0,0,1]
	v_pk_fma_f32 v[4:5], v[6:7], v[130:131], v[4:5] op_sel:[0,0,1] op_sel_hi:[1,0,0]
	s_waitcnt vmcnt(7)
	v_mov_b32_e32 v4, v133
	v_mov_b32_e32 v17, v5
	v_pk_mul_f32 v[4:5], v[8:9], v[4:5] op_sel_hi:[1,0]
	s_waitcnt vmcnt(6)
	v_pk_fma_f32 v[6:7], v[8:9], v[132:133], v[4:5] op_sel:[0,0,1] op_sel_hi:[1,1,0] neg_lo:[0,0,1] neg_hi:[0,0,1]
	v_pk_fma_f32 v[4:5], v[8:9], v[132:133], v[4:5] op_sel:[0,0,1] op_sel_hi:[1,0,0]
	v_pk_add_f32 v[2:3], v[2:3], v[102:103]
	s_waitcnt vmcnt(5)
	v_mov_b32_e32 v4, v135
	v_pk_add_f32 v[2:3], v[2:3], v[16:17]
	v_mov_b32_e32 v7, v5
	s_waitcnt lgkmcnt(1)
	v_pk_mul_f32 v[4:5], v[10:11], v[4:5] op_sel_hi:[1,0]
	v_pk_add_f32 v[2:3], v[2:3], v[6:7]
	s_waitcnt vmcnt(4)
	v_pk_fma_f32 v[6:7], v[10:11], v[134:135], v[4:5] op_sel:[0,0,1] op_sel_hi:[1,1,0] neg_lo:[0,0,1] neg_hi:[0,0,1]
	v_pk_fma_f32 v[4:5], v[10:11], v[134:135], v[4:5] op_sel:[0,0,1] op_sel_hi:[1,0,0]
	s_waitcnt vmcnt(3)
	v_mov_b32_e32 v4, v137
	v_mov_b32_e32 v7, v5
	v_pk_mul_f32 v[4:5], v[12:13], v[4:5] op_sel_hi:[1,0]
	v_pk_add_f32 v[2:3], v[2:3], v[6:7]
	s_waitcnt vmcnt(2)
	v_pk_fma_f32 v[6:7], v[12:13], v[136:137], v[4:5] op_sel:[0,0,1] op_sel_hi:[1,1,0] neg_lo:[0,0,1] neg_hi:[0,0,1]
	v_pk_fma_f32 v[4:5], v[12:13], v[136:137], v[4:5] op_sel:[0,0,1] op_sel_hi:[1,0,0]
	s_waitcnt vmcnt(1)
	v_mov_b32_e32 v4, v139
	v_mov_b32_e32 v7, v5
	s_waitcnt lgkmcnt(0)
	v_pk_mul_f32 v[4:5], v[14:15], v[4:5] op_sel_hi:[1,0]
	v_pk_add_f32 v[2:3], v[2:3], v[6:7]
	s_waitcnt vmcnt(0)
	v_pk_fma_f32 v[6:7], v[14:15], v[138:139], v[4:5] op_sel:[0,0,1] op_sel_hi:[1,1,0] neg_lo:[0,0,1] neg_hi:[0,0,1]
	v_pk_fma_f32 v[4:5], v[14:15], v[138:139], v[4:5] op_sel:[0,0,1] op_sel_hi:[1,0,0]
	v_mov_b32_e32 v7, v5
	v_pk_add_f32 v[2:3], v[2:3], v[6:7]
	v_pk_add_f32 v[2:3], v[98:99], v[2:3] neg_lo:[0,1] neg_hi:[0,1]
	buffer_store_dword v3, off, s[0:3], 0 offset:132
	buffer_store_dword v2, off, s[0:3], 0 offset:128
	s_and_saveexec_b64 s[4:5], vcc
	s_cbranch_execz .LBB39_223
; %bb.222:
	buffer_load_dword v2, off, s[0:3], 0 offset:120
	buffer_load_dword v3, off, s[0:3], 0 offset:124
	s_waitcnt vmcnt(0)
	ds_write_b64 v1, v[2:3]
	buffer_store_dword v100, off, s[0:3], 0 offset:120
	buffer_store_dword v100, off, s[0:3], 0 offset:124
.LBB39_223:
	s_or_b64 exec, exec, s[4:5]
	s_waitcnt lgkmcnt(0)
	; wave barrier
	s_waitcnt lgkmcnt(0)
	buffer_load_dword v98, off, s[0:3], 0 offset:132
	buffer_load_dword v99, off, s[0:3], 0 offset:140
	;; [unrolled: 1-line block ×34, first 2 shown]
	ds_read_b128 v[4:7], v100 offset:448
	ds_read_b128 v[8:11], v100 offset:464
	;; [unrolled: 1-line block ×8, first 2 shown]
	buffer_load_dword v17, off, s[0:3], 0 offset:276
	buffer_load_dword v16, off, s[0:3], 0 offset:272
	;; [unrolled: 1-line block ×10, first 2 shown]
	v_cmp_lt_u32_e32 vcc, 14, v0
	s_waitcnt vmcnt(43) lgkmcnt(7)
	v_mul_f32_e32 v126, v4, v98
	s_waitcnt vmcnt(42)
	v_mul_f32_e32 v130, v6, v99
	s_waitcnt vmcnt(41) lgkmcnt(6)
	v_mul_f32_e32 v132, v8, v101
	s_waitcnt vmcnt(40)
	v_mul_f32_e32 v133, v10, v134
	;; [unrolled: 4-line block ×7, first 2 shown]
	s_waitcnt vmcnt(29)
	v_fmac_f32_e32 v126, v5, v150
	s_waitcnt vmcnt(28)
	v_fmac_f32_e32 v130, v7, v151
	v_add_f32_e32 v126, 0, v126
	s_waitcnt vmcnt(27)
	v_fmac_f32_e32 v132, v9, v152
	v_add_f32_e32 v126, v126, v130
	;; [unrolled: 3-line block ×12, first 2 shown]
	v_add_f32_e32 v135, v126, v171
	buffer_load_dword v130, off, s[0:3], 0 offset:296
	buffer_load_dword v133, off, s[0:3], 0 offset:292
	;; [unrolled: 1-line block ×6, first 2 shown]
	v_mul_f32_e32 v5, v5, v98
	v_fma_f32 v4, v4, v150, -v5
	v_mul_f32_e32 v5, v7, v99
	v_add_f32_e32 v4, 0, v4
	v_fma_f32 v5, v6, v151, -v5
	v_add_f32_e32 v4, v4, v5
	v_mul_f32_e32 v5, v9, v101
	v_fma_f32 v5, v8, v152, -v5
	v_add_f32_e32 v4, v4, v5
	v_mul_f32_e32 v5, v11, v134
	;; [unrolled: 3-line block ×12, first 2 shown]
	s_waitcnt vmcnt(22)
	v_fma_f32 v5, v116, v163, -v5
	v_add_f32_e32 v134, v4, v5
	s_waitcnt vmcnt(21) lgkmcnt(0)
	v_mul_f32_e32 v4, v119, v164
	s_waitcnt vmcnt(20)
	v_fma_f32 v136, v118, v165, -v4
	s_waitcnt vmcnt(19)
	v_mul_f32_e32 v4, v121, v166
	s_waitcnt vmcnt(18)
	v_fma_f32 v138, v120, v167, -v4
	ds_read_b128 v[4:7], v100 offset:576
	ds_read_b128 v[8:11], v100 offset:592
	;; [unrolled: 1-line block ×4, first 2 shown]
	v_fmac_f32_e32 v172, v117, v163
	v_mul_f32_e32 v137, v118, v164
	s_waitcnt vmcnt(11)
	v_mov_b32_e32 v104, v125
	v_add_f32_e32 v135, v135, v172
	v_fmac_f32_e32 v137, v119, v165
	v_mul_f32_e32 v139, v120, v166
	s_waitcnt lgkmcnt(3)
	v_pk_mul_f32 v[104:105], v[4:5], v[104:105] op_sel_hi:[1,0]
	v_fmac_f32_e32 v139, v121, v167
	v_pk_add_f32 v[102:103], v[134:135], v[136:137]
	s_waitcnt vmcnt(10)
	v_pk_fma_f32 v[106:107], v[4:5], v[124:125], v[104:105] op_sel:[0,0,1] op_sel_hi:[1,1,0] neg_lo:[0,0,1] neg_hi:[0,0,1]
	v_pk_fma_f32 v[4:5], v[4:5], v[124:125], v[104:105] op_sel:[0,0,1] op_sel_hi:[1,0,0]
	v_pk_add_f32 v[102:103], v[102:103], v[138:139]
	v_mov_b32_e32 v107, v5
	v_pk_add_f32 v[4:5], v[102:103], v[106:107]
	v_mov_b32_e32 v102, v123
	v_pk_mul_f32 v[102:103], v[6:7], v[102:103] op_sel_hi:[1,0]
	v_pk_fma_f32 v[104:105], v[6:7], v[122:123], v[102:103] op_sel:[0,0,1] op_sel_hi:[1,1,0] neg_lo:[0,0,1] neg_hi:[0,0,1]
	v_pk_fma_f32 v[6:7], v[6:7], v[122:123], v[102:103] op_sel:[0,0,1] op_sel_hi:[1,0,0]
	v_mov_b32_e32 v6, v17
	v_mov_b32_e32 v105, v7
	s_waitcnt lgkmcnt(2)
	v_pk_mul_f32 v[6:7], v[8:9], v[6:7] op_sel_hi:[1,0]
	v_pk_fma_f32 v[102:103], v[8:9], v[16:17], v[6:7] op_sel:[0,0,1] op_sel_hi:[1,1,0] neg_lo:[0,0,1] neg_hi:[0,0,1]
	v_pk_fma_f32 v[6:7], v[8:9], v[16:17], v[6:7] op_sel:[0,0,1] op_sel_hi:[1,0,0]
	s_waitcnt vmcnt(9)
	v_mov_b32_e32 v6, v127
	v_mov_b32_e32 v103, v7
	v_pk_mul_f32 v[6:7], v[10:11], v[6:7] op_sel_hi:[1,0]
	v_pk_add_f32 v[4:5], v[4:5], v[104:105]
	v_pk_add_f32 v[4:5], v[4:5], v[102:103]
	s_waitcnt vmcnt(2)
	v_pk_fma_f32 v[8:9], v[10:11], v[126:127], v[6:7] op_sel:[0,0,1] op_sel_hi:[1,1,0] neg_lo:[0,0,1] neg_hi:[0,0,1]
	v_pk_fma_f32 v[6:7], v[10:11], v[126:127], v[6:7] op_sel:[0,0,1] op_sel_hi:[1,0,0]
	v_mov_b32_e32 v6, v133
	v_mov_b32_e32 v9, v7
	s_waitcnt lgkmcnt(1)
	v_pk_mul_f32 v[6:7], v[12:13], v[6:7] op_sel_hi:[1,0]
	v_pk_add_f32 v[4:5], v[4:5], v[8:9]
	v_pk_fma_f32 v[8:9], v[12:13], v[132:133], v[6:7] op_sel:[0,0,1] op_sel_hi:[1,1,0] neg_lo:[0,0,1] neg_hi:[0,0,1]
	v_pk_fma_f32 v[6:7], v[12:13], v[132:133], v[6:7] op_sel:[0,0,1] op_sel_hi:[1,0,0]
	v_mov_b32_e32 v6, v131
	v_mov_b32_e32 v9, v7
	v_pk_mul_f32 v[6:7], v[14:15], v[6:7] op_sel_hi:[1,0]
	v_pk_add_f32 v[4:5], v[4:5], v[8:9]
	v_pk_fma_f32 v[8:9], v[14:15], v[130:131], v[6:7] op_sel:[0,0,1] op_sel_hi:[1,1,0] neg_lo:[0,0,1] neg_hi:[0,0,1]
	v_pk_fma_f32 v[6:7], v[14:15], v[130:131], v[6:7] op_sel:[0,0,1] op_sel_hi:[1,0,0]
	v_mov_b32_e32 v6, v129
	v_mov_b32_e32 v9, v7
	s_waitcnt lgkmcnt(0)
	v_pk_mul_f32 v[6:7], v[98:99], v[6:7] op_sel_hi:[1,0]
	v_pk_add_f32 v[4:5], v[4:5], v[8:9]
	v_pk_fma_f32 v[8:9], v[98:99], v[128:129], v[6:7] op_sel:[0,0,1] op_sel_hi:[1,1,0] neg_lo:[0,0,1] neg_hi:[0,0,1]
	v_pk_fma_f32 v[6:7], v[98:99], v[128:129], v[6:7] op_sel:[0,0,1] op_sel_hi:[1,0,0]
	s_waitcnt vmcnt(1)
	v_mov_b32_e32 v6, v141
	v_mov_b32_e32 v9, v7
	v_pk_mul_f32 v[6:7], v[100:101], v[6:7] op_sel_hi:[1,0]
	v_pk_add_f32 v[4:5], v[4:5], v[8:9]
	s_waitcnt vmcnt(0)
	v_pk_fma_f32 v[8:9], v[100:101], v[140:141], v[6:7] op_sel:[0,0,1] op_sel_hi:[1,1,0] neg_lo:[0,0,1] neg_hi:[0,0,1]
	v_pk_fma_f32 v[6:7], v[100:101], v[140:141], v[6:7] op_sel:[0,0,1] op_sel_hi:[1,0,0]
	v_mov_b32_e32 v9, v7
	v_pk_add_f32 v[4:5], v[4:5], v[8:9]
	v_pk_add_f32 v[2:3], v[2:3], v[4:5] neg_lo:[0,1] neg_hi:[0,1]
	buffer_store_dword v3, off, s[0:3], 0 offset:124
	buffer_store_dword v2, off, s[0:3], 0 offset:120
	s_and_saveexec_b64 s[4:5], vcc
	s_cbranch_execz .LBB39_225
; %bb.224:
	buffer_load_dword v2, off, s[0:3], 0 offset:112
	buffer_load_dword v3, off, s[0:3], 0 offset:116
	v_mov_b32_e32 v4, 0
	buffer_store_dword v4, off, s[0:3], 0 offset:112
	buffer_store_dword v4, off, s[0:3], 0 offset:116
	s_waitcnt vmcnt(2)
	ds_write_b64 v1, v[2:3]
.LBB39_225:
	s_or_b64 exec, exec, s[4:5]
	s_waitcnt lgkmcnt(0)
	; wave barrier
	s_waitcnt lgkmcnt(0)
	buffer_load_dword v5, off, s[0:3], 0 offset:124
	buffer_load_dword v138, off, s[0:3], 0 offset:132
	;; [unrolled: 1-line block ×36, first 2 shown]
	v_mov_b32_e32 v4, 0
	buffer_load_dword v127, off, s[0:3], 0 offset:268
	buffer_load_dword v126, off, s[0:3], 0 offset:264
	buffer_load_dword v129, off, s[0:3], 0 offset:260
	buffer_load_dword v128, off, s[0:3], 0 offset:256
	buffer_load_dword v131, off, s[0:3], 0 offset:276
	ds_read2_b64 v[6:9], v4 offset0:55 offset1:56
	ds_read2_b64 v[10:13], v4 offset0:57 offset1:58
	ds_read2_b64 v[14:17], v4 offset0:59 offset1:60
	ds_read2_b64 v[98:101], v4 offset0:61 offset1:62
	ds_read2_b64 v[102:105], v4 offset0:63 offset1:64
	ds_read2_b64 v[106:109], v4 offset0:65 offset1:66
	ds_read2_b64 v[110:113], v4 offset0:67 offset1:68
	ds_read2_b64 v[114:117], v4 offset0:69 offset1:70
	v_cmp_lt_u32_e32 vcc, 13, v0
	s_waitcnt vmcnt(40) lgkmcnt(7)
	v_mul_f32_e32 v118, v6, v5
	s_waitcnt vmcnt(39)
	v_mul_f32_e32 v119, v8, v138
	s_waitcnt vmcnt(38) lgkmcnt(6)
	v_mul_f32_e32 v120, v10, v140
	s_waitcnt vmcnt(37)
	v_mul_f32_e32 v121, v12, v142
	;; [unrolled: 4-line block ×7, first 2 shown]
	s_waitcnt vmcnt(26) lgkmcnt(0)
	v_mul_f32_e32 v139, v114, v158
	s_waitcnt vmcnt(25)
	v_fmac_f32_e32 v118, v7, v159
	s_waitcnt vmcnt(24)
	v_fmac_f32_e32 v119, v9, v160
	v_add_f32_e32 v118, 0, v118
	s_waitcnt vmcnt(23)
	v_fmac_f32_e32 v120, v11, v161
	v_add_f32_e32 v118, v118, v119
	;; [unrolled: 3-line block ×13, first 2 shown]
	v_add_f32_e32 v122, v118, v136
	buffer_load_dword v133, off, s[0:3], 0 offset:300
	buffer_load_dword v132, off, s[0:3], 0 offset:296
	;; [unrolled: 1-line block ×7, first 2 shown]
	s_waitcnt vmcnt(18)
	v_fmac_f32_e32 v139, v115, v173
	ds_read2_b64 v[118:121], v4 offset0:71 offset1:72
	v_add_f32_e32 v139, v122, v139
	ds_read2_b64 v[122:125], v4 offset0:73 offset1:74
	buffer_load_dword v145, off, s[0:3], 0 offset:316
	buffer_load_dword v144, off, s[0:3], 0 offset:312
	;; [unrolled: 1-line block ×4, first 2 shown]
	v_mul_f32_e32 v5, v7, v5
	v_fma_f32 v5, v6, v159, -v5
	v_mul_f32_e32 v6, v9, v138
	v_add_f32_e32 v5, 0, v5
	v_fma_f32 v6, v8, v160, -v6
	v_add_f32_e32 v5, v5, v6
	v_mul_f32_e32 v6, v11, v140
	v_fma_f32 v6, v10, v161, -v6
	v_add_f32_e32 v5, v5, v6
	v_mul_f32_e32 v6, v13, v142
	;; [unrolled: 3-line block ×13, first 2 shown]
	v_fma_f32 v6, v114, v173, -v6
	s_waitcnt vmcnt(13)
	v_mov_b32_e32 v98, v129
	v_mul_f32_e32 v141, v116, v174
	v_add_f32_e32 v138, v5, v6
	v_mul_f32_e32 v5, v117, v174
	s_waitcnt lgkmcnt(1)
	v_pk_mul_f32 v[98:99], v[120:121], v[98:99] op_sel_hi:[1,0]
	v_fmac_f32_e32 v141, v117, v175
	v_mul_f32_e32 v143, v118, v176
	v_fma_f32 v140, v116, v175, -v5
	v_mul_f32_e32 v5, v119, v176
	s_waitcnt vmcnt(12)
	v_pk_fma_f32 v[100:101], v[120:121], v[128:129], v[98:99] op_sel:[0,0,1] op_sel_hi:[1,1,0] neg_lo:[0,0,1] neg_hi:[0,0,1]
	v_pk_fma_f32 v[98:99], v[120:121], v[128:129], v[98:99] op_sel:[0,0,1] op_sel_hi:[1,0,0]
	v_fmac_f32_e32 v143, v119, v177
	v_fma_f32 v142, v118, v177, -v5
	v_pk_add_f32 v[16:17], v[138:139], v[140:141]
	v_mov_b32_e32 v98, v127
	v_pk_add_f32 v[16:17], v[16:17], v[142:143]
	v_mov_b32_e32 v101, v99
	s_waitcnt lgkmcnt(0)
	v_pk_mul_f32 v[98:99], v[122:123], v[98:99] op_sel_hi:[1,0]
	v_pk_add_f32 v[16:17], v[16:17], v[100:101]
	v_pk_fma_f32 v[100:101], v[122:123], v[126:127], v[98:99] op_sel:[0,0,1] op_sel_hi:[1,1,0] neg_lo:[0,0,1] neg_hi:[0,0,1]
	v_pk_fma_f32 v[98:99], v[122:123], v[126:127], v[98:99] op_sel:[0,0,1] op_sel_hi:[1,0,0]
	s_waitcnt vmcnt(11)
	v_mov_b32_e32 v98, v131
	ds_read2_b64 v[6:9], v4 offset0:75 offset1:76
	ds_read2_b64 v[10:13], v4 offset0:77 offset1:78
	ds_read_b64 v[14:15], v4 offset:632
	v_mov_b32_e32 v101, v99
	v_pk_mul_f32 v[98:99], v[124:125], v[98:99] op_sel_hi:[1,0]
	v_pk_add_f32 v[16:17], v[16:17], v[100:101]
	s_waitcnt vmcnt(4)
	v_pk_fma_f32 v[100:101], v[124:125], v[130:131], v[98:99] op_sel:[0,0,1] op_sel_hi:[1,1,0] neg_lo:[0,0,1] neg_hi:[0,0,1]
	v_pk_fma_f32 v[98:99], v[124:125], v[130:131], v[98:99] op_sel:[0,0,1] op_sel_hi:[1,0,0]
	v_mov_b32_e32 v98, v137
	v_mov_b32_e32 v101, v99
	s_waitcnt lgkmcnt(2)
	v_pk_mul_f32 v[98:99], v[6:7], v[98:99] op_sel_hi:[1,0]
	v_pk_add_f32 v[16:17], v[16:17], v[100:101]
	v_pk_fma_f32 v[100:101], v[6:7], v[136:137], v[98:99] op_sel:[0,0,1] op_sel_hi:[1,1,0] neg_lo:[0,0,1] neg_hi:[0,0,1]
	v_pk_fma_f32 v[6:7], v[6:7], v[136:137], v[98:99] op_sel:[0,0,1] op_sel_hi:[1,0,0]
	v_mov_b32_e32 v101, v7
	v_pk_add_f32 v[6:7], v[16:17], v[100:101]
	v_mov_b32_e32 v16, v135
	v_pk_mul_f32 v[16:17], v[8:9], v[16:17] op_sel_hi:[1,0]
	v_pk_fma_f32 v[98:99], v[8:9], v[134:135], v[16:17] op_sel:[0,0,1] op_sel_hi:[1,1,0] neg_lo:[0,0,1] neg_hi:[0,0,1]
	v_pk_fma_f32 v[8:9], v[8:9], v[134:135], v[16:17] op_sel:[0,0,1] op_sel_hi:[1,0,0]
	v_mov_b32_e32 v8, v133
	v_mov_b32_e32 v99, v9
	s_waitcnt lgkmcnt(1)
	v_pk_mul_f32 v[8:9], v[10:11], v[8:9] op_sel_hi:[1,0]
	v_pk_fma_f32 v[16:17], v[10:11], v[132:133], v[8:9] op_sel:[0,0,1] op_sel_hi:[1,1,0] neg_lo:[0,0,1] neg_hi:[0,0,1]
	v_pk_fma_f32 v[8:9], v[10:11], v[132:133], v[8:9] op_sel:[0,0,1] op_sel_hi:[1,0,0]
	s_waitcnt vmcnt(1)
	v_mov_b32_e32 v8, v147
	v_mov_b32_e32 v17, v9
	v_pk_mul_f32 v[8:9], v[12:13], v[8:9] op_sel_hi:[1,0]
	s_waitcnt vmcnt(0)
	v_pk_fma_f32 v[10:11], v[12:13], v[146:147], v[8:9] op_sel:[0,0,1] op_sel_hi:[1,1,0] neg_lo:[0,0,1] neg_hi:[0,0,1]
	v_pk_fma_f32 v[8:9], v[12:13], v[146:147], v[8:9] op_sel:[0,0,1] op_sel_hi:[1,0,0]
	v_pk_add_f32 v[6:7], v[6:7], v[98:99]
	v_mov_b32_e32 v8, v145
	v_pk_add_f32 v[6:7], v[6:7], v[16:17]
	v_mov_b32_e32 v11, v9
	s_waitcnt lgkmcnt(0)
	v_pk_mul_f32 v[8:9], v[14:15], v[8:9] op_sel_hi:[1,0]
	v_pk_add_f32 v[6:7], v[6:7], v[10:11]
	v_pk_fma_f32 v[10:11], v[14:15], v[144:145], v[8:9] op_sel:[0,0,1] op_sel_hi:[1,1,0] neg_lo:[0,0,1] neg_hi:[0,0,1]
	v_pk_fma_f32 v[8:9], v[14:15], v[144:145], v[8:9] op_sel:[0,0,1] op_sel_hi:[1,0,0]
	v_mov_b32_e32 v11, v9
	v_pk_add_f32 v[6:7], v[6:7], v[10:11]
	v_pk_add_f32 v[2:3], v[2:3], v[6:7] neg_lo:[0,1] neg_hi:[0,1]
	buffer_store_dword v3, off, s[0:3], 0 offset:116
	buffer_store_dword v2, off, s[0:3], 0 offset:112
	s_and_saveexec_b64 s[4:5], vcc
	s_cbranch_execz .LBB39_227
; %bb.226:
	buffer_load_dword v2, off, s[0:3], 0 offset:104
	buffer_load_dword v3, off, s[0:3], 0 offset:108
	s_waitcnt vmcnt(0)
	ds_write_b64 v1, v[2:3]
	buffer_store_dword v4, off, s[0:3], 0 offset:104
	buffer_store_dword v4, off, s[0:3], 0 offset:108
.LBB39_227:
	s_or_b64 exec, exec, s[4:5]
	s_waitcnt lgkmcnt(0)
	; wave barrier
	s_waitcnt lgkmcnt(0)
	buffer_load_dword v2, off, s[0:3], 0 offset:116
	buffer_load_dword v3, off, s[0:3], 0 offset:124
	;; [unrolled: 1-line block ×38, first 2 shown]
	ds_read_b128 v[6:9], v4 offset:432
	ds_read_b128 v[10:13], v4 offset:448
	;; [unrolled: 1-line block ×8, first 2 shown]
	buffer_load_dword v129, off, s[0:3], 0 offset:260
	buffer_load_dword v128, off, s[0:3], 0 offset:256
	buffer_load_dword v131, off, s[0:3], 0 offset:292
	buffer_load_dword v130, off, s[0:3], 0 offset:288
	v_cmp_lt_u32_e32 vcc, 12, v0
	s_waitcnt vmcnt(41) lgkmcnt(7)
	v_mul_f32_e32 v118, v6, v2
	s_waitcnt vmcnt(40)
	v_mul_f32_e32 v119, v8, v3
	s_waitcnt vmcnt(39) lgkmcnt(6)
	v_mul_f32_e32 v120, v10, v5
	s_waitcnt vmcnt(38)
	v_mul_f32_e32 v121, v12, v138
	;; [unrolled: 4-line block ×7, first 2 shown]
	s_waitcnt vmcnt(27) lgkmcnt(0)
	v_mul_f32_e32 v139, v114, v158
	s_waitcnt vmcnt(26)
	v_fmac_f32_e32 v118, v7, v159
	s_waitcnt vmcnt(25)
	v_fmac_f32_e32 v119, v9, v160
	v_add_f32_e32 v118, 0, v118
	s_waitcnt vmcnt(24)
	v_fmac_f32_e32 v120, v11, v161
	v_add_f32_e32 v118, v118, v119
	;; [unrolled: 3-line block ×13, first 2 shown]
	v_add_f32_e32 v118, v118, v137
	buffer_load_dword v133, off, s[0:3], 0 offset:284
	buffer_load_dword v132, off, s[0:3], 0 offset:280
	;; [unrolled: 1-line block ×6, first 2 shown]
	s_waitcnt vmcnt(18)
	v_fmac_f32_e32 v139, v115, v173
	s_waitcnt vmcnt(17)
	v_mul_f32_e32 v123, v116, v174
	v_add_f32_e32 v122, v118, v139
	s_waitcnt vmcnt(16)
	v_fmac_f32_e32 v123, v117, v175
	ds_read_b128 v[118:121], v4 offset:560
	v_add_f32_e32 v139, v122, v123
	ds_read_b128 v[122:125], v4 offset:576
	buffer_load_dword v145, off, s[0:3], 0 offset:316
	buffer_load_dword v144, off, s[0:3], 0 offset:312
	;; [unrolled: 1-line block ×6, first 2 shown]
	v_mul_f32_e32 v2, v7, v2
	v_fma_f32 v2, v6, v159, -v2
	v_mul_f32_e32 v3, v9, v3
	v_add_f32_e32 v2, 0, v2
	v_fma_f32 v3, v8, v160, -v3
	v_add_f32_e32 v2, v2, v3
	v_mul_f32_e32 v3, v11, v5
	v_fma_f32 v3, v10, v161, -v3
	v_add_f32_e32 v2, v2, v3
	v_mul_f32_e32 v3, v13, v138
	;; [unrolled: 3-line block ×14, first 2 shown]
	v_fma_f32 v3, v116, v175, -v3
	s_waitcnt vmcnt(15)
	v_mov_b32_e32 v16, v129
	s_waitcnt lgkmcnt(1)
	v_mul_f32_e32 v141, v118, v176
	v_add_f32_e32 v138, v2, v3
	v_mul_f32_e32 v2, v119, v176
	s_waitcnt lgkmcnt(0)
	v_pk_mul_f32 v[16:17], v[122:123], v[16:17] op_sel_hi:[1,0]
	v_fmac_f32_e32 v141, v119, v177
	v_mul_f32_e32 v143, v120, v178
	v_fma_f32 v140, v118, v177, -v2
	v_mul_f32_e32 v2, v121, v178
	s_waitcnt vmcnt(14)
	v_pk_fma_f32 v[98:99], v[122:123], v[128:129], v[16:17] op_sel:[0,0,1] op_sel_hi:[1,1,0] neg_lo:[0,0,1] neg_hi:[0,0,1]
	v_pk_fma_f32 v[16:17], v[122:123], v[128:129], v[16:17] op_sel:[0,0,1] op_sel_hi:[1,0,0]
	v_fmac_f32_e32 v143, v121, v179
	v_fma_f32 v142, v120, v179, -v2
	v_pk_add_f32 v[14:15], v[138:139], v[140:141]
	ds_read_b128 v[6:9], v4 offset:592
	ds_read_b128 v[10:13], v4 offset:608
	;; [unrolled: 1-line block ×3, first 2 shown]
	v_pk_add_f32 v[14:15], v[14:15], v[142:143]
	v_mov_b32_e32 v99, v17
	v_pk_add_f32 v[14:15], v[14:15], v[98:99]
	s_waitcnt vmcnt(7)
	v_mov_b32_e32 v16, v137
	v_pk_mul_f32 v[16:17], v[124:125], v[16:17] op_sel_hi:[1,0]
	s_waitcnt vmcnt(6)
	v_pk_fma_f32 v[98:99], v[124:125], v[136:137], v[16:17] op_sel:[0,0,1] op_sel_hi:[1,1,0] neg_lo:[0,0,1] neg_hi:[0,0,1]
	v_pk_fma_f32 v[16:17], v[124:125], v[136:137], v[16:17] op_sel:[0,0,1] op_sel_hi:[1,0,0]
	v_mov_b32_e32 v16, v135
	v_mov_b32_e32 v99, v17
	s_waitcnt lgkmcnt(2)
	v_pk_mul_f32 v[16:17], v[6:7], v[16:17] op_sel_hi:[1,0]
	v_pk_add_f32 v[14:15], v[14:15], v[98:99]
	v_pk_fma_f32 v[98:99], v[6:7], v[134:135], v[16:17] op_sel:[0,0,1] op_sel_hi:[1,1,0] neg_lo:[0,0,1] neg_hi:[0,0,1]
	v_pk_fma_f32 v[6:7], v[6:7], v[134:135], v[16:17] op_sel:[0,0,1] op_sel_hi:[1,0,0]
	v_mov_b32_e32 v99, v7
	v_pk_add_f32 v[6:7], v[14:15], v[98:99]
	v_mov_b32_e32 v14, v133
	v_pk_mul_f32 v[14:15], v[8:9], v[14:15] op_sel_hi:[1,0]
	v_pk_fma_f32 v[16:17], v[8:9], v[132:133], v[14:15] op_sel:[0,0,1] op_sel_hi:[1,1,0] neg_lo:[0,0,1] neg_hi:[0,0,1]
	v_pk_fma_f32 v[8:9], v[8:9], v[132:133], v[14:15] op_sel:[0,0,1] op_sel_hi:[1,0,0]
	v_mov_b32_e32 v8, v131
	v_mov_b32_e32 v17, v9
	s_waitcnt lgkmcnt(1)
	v_pk_mul_f32 v[8:9], v[10:11], v[8:9] op_sel_hi:[1,0]
	v_pk_fma_f32 v[14:15], v[10:11], v[130:131], v[8:9] op_sel:[0,0,1] op_sel_hi:[1,1,0] neg_lo:[0,0,1] neg_hi:[0,0,1]
	v_pk_fma_f32 v[8:9], v[10:11], v[130:131], v[8:9] op_sel:[0,0,1] op_sel_hi:[1,0,0]
	s_waitcnt vmcnt(1)
	v_mov_b32_e32 v8, v149
	v_mov_b32_e32 v15, v9
	v_pk_mul_f32 v[8:9], v[12:13], v[8:9] op_sel_hi:[1,0]
	s_waitcnt vmcnt(0)
	v_pk_fma_f32 v[10:11], v[12:13], v[148:149], v[8:9] op_sel:[0,0,1] op_sel_hi:[1,1,0] neg_lo:[0,0,1] neg_hi:[0,0,1]
	v_pk_fma_f32 v[8:9], v[12:13], v[148:149], v[8:9] op_sel:[0,0,1] op_sel_hi:[1,0,0]
	v_pk_add_f32 v[6:7], v[6:7], v[16:17]
	v_mov_b32_e32 v8, v147
	v_pk_add_f32 v[6:7], v[6:7], v[14:15]
	v_mov_b32_e32 v11, v9
	s_waitcnt lgkmcnt(0)
	v_pk_mul_f32 v[8:9], v[2:3], v[8:9] op_sel_hi:[1,0]
	v_pk_add_f32 v[6:7], v[6:7], v[10:11]
	v_pk_fma_f32 v[10:11], v[2:3], v[146:147], v[8:9] op_sel:[0,0,1] op_sel_hi:[1,1,0] neg_lo:[0,0,1] neg_hi:[0,0,1]
	v_pk_fma_f32 v[2:3], v[2:3], v[146:147], v[8:9] op_sel:[0,0,1] op_sel_hi:[1,0,0]
	v_mov_b32_e32 v11, v3
	v_pk_add_f32 v[2:3], v[6:7], v[10:11]
	v_mov_b32_e32 v6, v145
	v_pk_mul_f32 v[6:7], v[4:5], v[6:7] op_sel_hi:[1,0]
	v_pk_fma_f32 v[8:9], v[4:5], v[144:145], v[6:7] op_sel:[0,0,1] op_sel_hi:[1,1,0] neg_lo:[0,0,1] neg_hi:[0,0,1]
	v_pk_fma_f32 v[4:5], v[4:5], v[144:145], v[6:7] op_sel:[0,0,1] op_sel_hi:[1,0,0]
	v_mov_b32_e32 v9, v5
	v_pk_add_f32 v[2:3], v[2:3], v[8:9]
	v_pk_add_f32 v[2:3], v[126:127], v[2:3] neg_lo:[0,1] neg_hi:[0,1]
	buffer_store_dword v3, off, s[0:3], 0 offset:108
	buffer_store_dword v2, off, s[0:3], 0 offset:104
	s_and_saveexec_b64 s[4:5], vcc
	s_cbranch_execz .LBB39_229
; %bb.228:
	buffer_load_dword v2, off, s[0:3], 0 offset:96
	buffer_load_dword v3, off, s[0:3], 0 offset:100
	v_mov_b32_e32 v4, 0
	buffer_store_dword v4, off, s[0:3], 0 offset:96
	buffer_store_dword v4, off, s[0:3], 0 offset:100
	s_waitcnt vmcnt(2)
	ds_write_b64 v1, v[2:3]
.LBB39_229:
	s_or_b64 exec, exec, s[4:5]
	s_waitcnt lgkmcnt(0)
	; wave barrier
	s_waitcnt lgkmcnt(0)
	buffer_load_dword v5, off, s[0:3], 0 offset:108
	buffer_load_dword v134, off, s[0:3], 0 offset:116
	;; [unrolled: 1-line block ×40, first 2 shown]
	v_mov_b32_e32 v4, 0
	ds_read2_b64 v[6:9], v4 offset0:53 offset1:54
	ds_read2_b64 v[10:13], v4 offset0:55 offset1:56
	;; [unrolled: 1-line block ×8, first 2 shown]
	v_cmp_lt_u32_e32 vcc, 11, v0
	s_waitcnt vmcnt(39) lgkmcnt(7)
	v_mul_f32_e32 v118, v6, v5
	s_waitcnt vmcnt(38)
	v_mul_f32_e32 v119, v8, v134
	s_waitcnt vmcnt(37) lgkmcnt(6)
	v_mul_f32_e32 v120, v10, v136
	s_waitcnt vmcnt(36)
	v_mul_f32_e32 v121, v12, v138
	;; [unrolled: 4-line block ×8, first 2 shown]
	s_waitcnt vmcnt(23)
	v_fmac_f32_e32 v118, v7, v160
	s_waitcnt vmcnt(22)
	v_fmac_f32_e32 v119, v9, v161
	v_add_f32_e32 v118, 0, v118
	s_waitcnt vmcnt(21)
	v_fmac_f32_e32 v120, v11, v162
	v_add_f32_e32 v118, v118, v119
	;; [unrolled: 3-line block ×14, first 2 shown]
	v_add_f32_e32 v118, v118, v132
	s_waitcnt vmcnt(8)
	v_fmac_f32_e32 v133, v117, v175
	v_add_f32_e32 v135, v118, v133
	ds_read2_b64 v[118:121], v4 offset0:69 offset1:70
	buffer_load_dword v127, off, s[0:3], 0 offset:260
	buffer_load_dword v129, off, s[0:3], 0 offset:284
	;; [unrolled: 1-line block ×8, first 2 shown]
	ds_read2_b64 v[122:125], v4 offset0:71 offset1:72
	buffer_load_dword v141, off, s[0:3], 0 offset:316
	buffer_load_dword v140, off, s[0:3], 0 offset:312
	;; [unrolled: 1-line block ×8, first 2 shown]
	v_mul_f32_e32 v5, v7, v5
	v_fma_f32 v5, v6, v160, -v5
	v_mul_f32_e32 v6, v9, v134
	v_add_f32_e32 v5, 0, v5
	v_fma_f32 v6, v8, v161, -v6
	v_add_f32_e32 v5, v5, v6
	v_mul_f32_e32 v6, v11, v136
	v_fma_f32 v6, v10, v162, -v6
	v_add_f32_e32 v5, v5, v6
	v_mul_f32_e32 v6, v13, v138
	;; [unrolled: 3-line block ×14, first 2 shown]
	v_fma_f32 v6, v116, v175, -v6
	s_waitcnt vmcnt(23) lgkmcnt(1)
	v_mul_f32_e32 v137, v118, v176
	v_add_f32_e32 v5, v5, v6
	v_mul_f32_e32 v6, v119, v176
	s_waitcnt vmcnt(22)
	v_fmac_f32_e32 v137, v119, v177
	v_fma_f32 v6, v118, v177, -v6
	v_add_f32_e32 v135, v135, v137
	s_waitcnt vmcnt(21)
	v_mul_f32_e32 v137, v120, v178
	v_add_f32_e32 v134, v5, v6
	v_mul_f32_e32 v5, v121, v178
	s_waitcnt vmcnt(20)
	v_fmac_f32_e32 v137, v121, v179
	s_waitcnt vmcnt(19) lgkmcnt(0)
	v_mul_f32_e32 v139, v122, v180
	v_fma_f32 v136, v120, v179, -v5
	v_mul_f32_e32 v5, v123, v180
	ds_read2_b64 v[6:9], v4 offset0:73 offset1:74
	ds_read2_b64 v[10:13], v4 offset0:75 offset1:76
	;; [unrolled: 1-line block ×3, first 2 shown]
	ds_read_b64 v[98:99], v4 offset:632
	s_waitcnt vmcnt(18)
	v_fmac_f32_e32 v139, v123, v181
	v_fma_f32 v138, v122, v181, -v5
	v_pk_add_f32 v[100:101], v[134:135], v[136:137]
	v_pk_add_f32 v[100:101], v[100:101], v[138:139]
	s_waitcnt vmcnt(15)
	v_mov_b32_e32 v102, v127
	v_pk_mul_f32 v[102:103], v[124:125], v[102:103] op_sel_hi:[1,0]
	s_waitcnt vmcnt(8)
	v_pk_fma_f32 v[104:105], v[124:125], v[126:127], v[102:103] op_sel:[0,0,1] op_sel_hi:[1,1,0] neg_lo:[0,0,1] neg_hi:[0,0,1]
	v_pk_fma_f32 v[102:103], v[124:125], v[126:127], v[102:103] op_sel:[0,0,1] op_sel_hi:[1,0,0]
	v_mov_b32_e32 v102, v133
	v_mov_b32_e32 v105, v103
	s_waitcnt lgkmcnt(3)
	v_pk_mul_f32 v[102:103], v[6:7], v[102:103] op_sel_hi:[1,0]
	v_pk_add_f32 v[100:101], v[100:101], v[104:105]
	v_pk_fma_f32 v[104:105], v[6:7], v[132:133], v[102:103] op_sel:[0,0,1] op_sel_hi:[1,1,0] neg_lo:[0,0,1] neg_hi:[0,0,1]
	v_pk_fma_f32 v[6:7], v[6:7], v[132:133], v[102:103] op_sel:[0,0,1] op_sel_hi:[1,0,0]
	v_mov_b32_e32 v105, v7
	v_pk_add_f32 v[6:7], v[100:101], v[104:105]
	v_mov_b32_e32 v100, v131
	v_pk_mul_f32 v[100:101], v[8:9], v[100:101] op_sel_hi:[1,0]
	v_pk_fma_f32 v[102:103], v[8:9], v[130:131], v[100:101] op_sel:[0,0,1] op_sel_hi:[1,1,0] neg_lo:[0,0,1] neg_hi:[0,0,1]
	v_pk_fma_f32 v[8:9], v[8:9], v[130:131], v[100:101] op_sel:[0,0,1] op_sel_hi:[1,0,0]
	v_mov_b32_e32 v8, v129
	v_mov_b32_e32 v103, v9
	s_waitcnt lgkmcnt(2)
	v_pk_mul_f32 v[8:9], v[10:11], v[8:9] op_sel_hi:[1,0]
	v_pk_fma_f32 v[100:101], v[10:11], v[128:129], v[8:9] op_sel:[0,0,1] op_sel_hi:[1,1,0] neg_lo:[0,0,1] neg_hi:[0,0,1]
	v_pk_fma_f32 v[8:9], v[10:11], v[128:129], v[8:9] op_sel:[0,0,1] op_sel_hi:[1,0,0]
	s_waitcnt vmcnt(1)
	v_mov_b32_e32 v8, v147
	v_mov_b32_e32 v101, v9
	v_pk_mul_f32 v[8:9], v[12:13], v[8:9] op_sel_hi:[1,0]
	s_waitcnt vmcnt(0)
	v_pk_fma_f32 v[10:11], v[12:13], v[146:147], v[8:9] op_sel:[0,0,1] op_sel_hi:[1,1,0] neg_lo:[0,0,1] neg_hi:[0,0,1]
	v_pk_fma_f32 v[8:9], v[12:13], v[146:147], v[8:9] op_sel:[0,0,1] op_sel_hi:[1,0,0]
	v_pk_add_f32 v[6:7], v[6:7], v[102:103]
	v_mov_b32_e32 v8, v145
	v_pk_add_f32 v[6:7], v[6:7], v[100:101]
	v_mov_b32_e32 v11, v9
	s_waitcnt lgkmcnt(1)
	v_pk_mul_f32 v[8:9], v[14:15], v[8:9] op_sel_hi:[1,0]
	v_pk_add_f32 v[6:7], v[6:7], v[10:11]
	v_pk_fma_f32 v[10:11], v[14:15], v[144:145], v[8:9] op_sel:[0,0,1] op_sel_hi:[1,1,0] neg_lo:[0,0,1] neg_hi:[0,0,1]
	v_pk_fma_f32 v[8:9], v[14:15], v[144:145], v[8:9] op_sel:[0,0,1] op_sel_hi:[1,0,0]
	v_mov_b32_e32 v8, v143
	v_mov_b32_e32 v11, v9
	v_pk_mul_f32 v[8:9], v[16:17], v[8:9] op_sel_hi:[1,0]
	v_pk_add_f32 v[6:7], v[6:7], v[10:11]
	v_pk_fma_f32 v[10:11], v[16:17], v[142:143], v[8:9] op_sel:[0,0,1] op_sel_hi:[1,1,0] neg_lo:[0,0,1] neg_hi:[0,0,1]
	v_pk_fma_f32 v[8:9], v[16:17], v[142:143], v[8:9] op_sel:[0,0,1] op_sel_hi:[1,0,0]
	v_mov_b32_e32 v8, v141
	v_mov_b32_e32 v11, v9
	s_waitcnt lgkmcnt(0)
	v_pk_mul_f32 v[8:9], v[98:99], v[8:9] op_sel_hi:[1,0]
	v_pk_add_f32 v[6:7], v[6:7], v[10:11]
	v_pk_fma_f32 v[10:11], v[98:99], v[140:141], v[8:9] op_sel:[0,0,1] op_sel_hi:[1,1,0] neg_lo:[0,0,1] neg_hi:[0,0,1]
	v_pk_fma_f32 v[8:9], v[98:99], v[140:141], v[8:9] op_sel:[0,0,1] op_sel_hi:[1,0,0]
	v_mov_b32_e32 v11, v9
	v_pk_add_f32 v[6:7], v[6:7], v[10:11]
	v_pk_add_f32 v[2:3], v[2:3], v[6:7] neg_lo:[0,1] neg_hi:[0,1]
	buffer_store_dword v3, off, s[0:3], 0 offset:100
	buffer_store_dword v2, off, s[0:3], 0 offset:96
	s_and_saveexec_b64 s[4:5], vcc
	s_cbranch_execz .LBB39_231
; %bb.230:
	buffer_load_dword v2, off, s[0:3], 0 offset:88
	buffer_load_dword v3, off, s[0:3], 0 offset:92
	s_waitcnt vmcnt(0)
	ds_write_b64 v1, v[2:3]
	buffer_store_dword v4, off, s[0:3], 0 offset:88
	buffer_store_dword v4, off, s[0:3], 0 offset:92
.LBB39_231:
	s_or_b64 exec, exec, s[4:5]
	s_waitcnt lgkmcnt(0)
	; wave barrier
	s_waitcnt lgkmcnt(0)
	buffer_load_dword v5, off, s[0:3], 0 offset:100
	buffer_load_dword v126, off, s[0:3], 0 offset:108
	;; [unrolled: 1-line block ×42, first 2 shown]
	ds_read_b128 v[6:9], v4 offset:416
	ds_read_b128 v[10:13], v4 offset:432
	;; [unrolled: 1-line block ×8, first 2 shown]
	v_cmp_lt_u32_e32 vcc, 10, v0
	s_waitcnt vmcnt(41) lgkmcnt(7)
	v_mul_f32_e32 v118, v6, v5
	s_waitcnt vmcnt(40)
	v_mul_f32_e32 v119, v8, v126
	s_waitcnt vmcnt(39) lgkmcnt(6)
	v_mul_f32_e32 v120, v10, v128
	s_waitcnt vmcnt(38)
	v_mul_f32_e32 v121, v12, v136
	;; [unrolled: 4-line block ×7, first 2 shown]
	s_waitcnt vmcnt(27) lgkmcnt(0)
	v_mul_f32_e32 v134, v114, v158
	s_waitcnt vmcnt(26)
	v_fmac_f32_e32 v118, v7, v159
	s_waitcnt vmcnt(25)
	v_fmac_f32_e32 v119, v9, v160
	v_add_f32_e32 v118, 0, v118
	s_waitcnt vmcnt(24)
	v_fmac_f32_e32 v120, v11, v161
	v_add_f32_e32 v118, v118, v119
	;; [unrolled: 3-line block ×14, first 2 shown]
	s_waitcnt vmcnt(11)
	v_mul_f32_e32 v123, v116, v174
	v_add_f32_e32 v122, v118, v134
	s_waitcnt vmcnt(10)
	v_fmac_f32_e32 v123, v117, v175
	ds_read_b128 v[118:121], v4 offset:544
	v_add_f32_e32 v127, v122, v123
	ds_read_b128 v[122:125], v4 offset:560
	buffer_load_dword v131, off, s[0:3], 0 offset:260
	buffer_load_dword v133, off, s[0:3], 0 offset:276
	;; [unrolled: 1-line block ×16, first 2 shown]
	v_mul_f32_e32 v5, v7, v5
	v_fma_f32 v5, v6, v159, -v5
	v_mul_f32_e32 v6, v9, v126
	v_add_f32_e32 v5, 0, v5
	v_fma_f32 v6, v8, v160, -v6
	v_add_f32_e32 v5, v5, v6
	v_mul_f32_e32 v6, v11, v128
	v_fma_f32 v6, v10, v161, -v6
	v_add_f32_e32 v5, v5, v6
	v_mul_f32_e32 v6, v13, v136
	;; [unrolled: 3-line block ×14, first 2 shown]
	v_fma_f32 v6, v116, v175, -v6
	v_add_f32_e32 v5, v5, v6
	s_waitcnt vmcnt(25) lgkmcnt(1)
	v_mul_f32_e32 v6, v119, v176
	s_waitcnt vmcnt(24)
	v_fma_f32 v6, v118, v177, -v6
	v_add_f32_e32 v5, v5, v6
	s_waitcnt vmcnt(23)
	v_mul_f32_e32 v6, v121, v178
	s_waitcnt vmcnt(22)
	v_fma_f32 v6, v120, v179, -v6
	v_add_f32_e32 v126, v5, v6
	ds_read_b128 v[6:9], v4 offset:576
	ds_read_b128 v[10:13], v4 offset:592
	;; [unrolled: 1-line block ×4, first 2 shown]
	v_mul_f32_e32 v129, v118, v176
	v_fmac_f32_e32 v129, v119, v177
	v_add_f32_e32 v127, v127, v129
	v_mul_f32_e32 v129, v120, v178
	v_fmac_f32_e32 v129, v121, v179
	v_add_f32_e32 v127, v127, v129
	s_waitcnt vmcnt(21) lgkmcnt(4)
	v_mul_f32_e32 v129, v122, v180
	v_mul_f32_e32 v5, v123, v180
	s_waitcnt vmcnt(20)
	v_fmac_f32_e32 v129, v123, v181
	s_waitcnt vmcnt(19)
	v_mul_f32_e32 v137, v124, v182
	v_fma_f32 v128, v122, v181, -v5
	v_mul_f32_e32 v5, v125, v182
	s_waitcnt vmcnt(18)
	v_fmac_f32_e32 v137, v125, v183
	v_fma_f32 v136, v124, v183, -v5
	v_pk_add_f32 v[4:5], v[126:127], v[128:129]
	v_pk_add_f32 v[4:5], v[4:5], v[136:137]
	s_waitcnt vmcnt(15)
	v_mov_b32_e32 v102, v131
	s_waitcnt lgkmcnt(3)
	v_pk_mul_f32 v[102:103], v[6:7], v[102:103] op_sel_hi:[1,0]
	s_waitcnt vmcnt(10)
	v_pk_fma_f32 v[104:105], v[6:7], v[130:131], v[102:103] op_sel:[0,0,1] op_sel_hi:[1,1,0] neg_lo:[0,0,1] neg_hi:[0,0,1]
	v_pk_fma_f32 v[6:7], v[6:7], v[130:131], v[102:103] op_sel:[0,0,1] op_sel_hi:[1,0,0]
	v_mov_b32_e32 v6, v135
	v_mov_b32_e32 v105, v7
	v_pk_mul_f32 v[6:7], v[8:9], v[6:7] op_sel_hi:[1,0]
	v_pk_fma_f32 v[102:103], v[8:9], v[134:135], v[6:7] op_sel:[0,0,1] op_sel_hi:[1,1,0] neg_lo:[0,0,1] neg_hi:[0,0,1]
	v_pk_fma_f32 v[6:7], v[8:9], v[134:135], v[6:7] op_sel:[0,0,1] op_sel_hi:[1,0,0]
	v_mov_b32_e32 v6, v133
	v_mov_b32_e32 v103, v7
	s_waitcnt lgkmcnt(2)
	v_pk_mul_f32 v[6:7], v[10:11], v[6:7] op_sel_hi:[1,0]
	v_pk_fma_f32 v[8:9], v[10:11], v[132:133], v[6:7] op_sel:[0,0,1] op_sel_hi:[1,1,0] neg_lo:[0,0,1] neg_hi:[0,0,1]
	v_pk_fma_f32 v[6:7], v[10:11], v[132:133], v[6:7] op_sel:[0,0,1] op_sel_hi:[1,0,0]
	v_pk_add_f32 v[4:5], v[4:5], v[104:105]
	s_waitcnt vmcnt(3)
	v_mov_b32_e32 v6, v145
	v_pk_add_f32 v[4:5], v[4:5], v[102:103]
	v_mov_b32_e32 v9, v7
	v_pk_mul_f32 v[6:7], v[12:13], v[6:7] op_sel_hi:[1,0]
	v_pk_add_f32 v[4:5], v[4:5], v[8:9]
	s_waitcnt vmcnt(2)
	v_pk_fma_f32 v[8:9], v[12:13], v[144:145], v[6:7] op_sel:[0,0,1] op_sel_hi:[1,1,0] neg_lo:[0,0,1] neg_hi:[0,0,1]
	v_pk_fma_f32 v[6:7], v[12:13], v[144:145], v[6:7] op_sel:[0,0,1] op_sel_hi:[1,0,0]
	v_mov_b32_e32 v6, v143
	v_mov_b32_e32 v9, v7
	s_waitcnt lgkmcnt(1)
	v_pk_mul_f32 v[6:7], v[14:15], v[6:7] op_sel_hi:[1,0]
	v_pk_add_f32 v[4:5], v[4:5], v[8:9]
	v_pk_fma_f32 v[8:9], v[14:15], v[142:143], v[6:7] op_sel:[0,0,1] op_sel_hi:[1,1,0] neg_lo:[0,0,1] neg_hi:[0,0,1]
	v_pk_fma_f32 v[6:7], v[14:15], v[142:143], v[6:7] op_sel:[0,0,1] op_sel_hi:[1,0,0]
	v_mov_b32_e32 v6, v141
	v_mov_b32_e32 v9, v7
	v_pk_mul_f32 v[6:7], v[16:17], v[6:7] op_sel_hi:[1,0]
	v_pk_add_f32 v[4:5], v[4:5], v[8:9]
	v_pk_fma_f32 v[8:9], v[16:17], v[140:141], v[6:7] op_sel:[0,0,1] op_sel_hi:[1,1,0] neg_lo:[0,0,1] neg_hi:[0,0,1]
	v_pk_fma_f32 v[6:7], v[16:17], v[140:141], v[6:7] op_sel:[0,0,1] op_sel_hi:[1,0,0]
	v_mov_b32_e32 v6, v139
	v_mov_b32_e32 v9, v7
	s_waitcnt lgkmcnt(0)
	v_pk_mul_f32 v[6:7], v[98:99], v[6:7] op_sel_hi:[1,0]
	v_pk_add_f32 v[4:5], v[4:5], v[8:9]
	v_pk_fma_f32 v[8:9], v[98:99], v[138:139], v[6:7] op_sel:[0,0,1] op_sel_hi:[1,1,0] neg_lo:[0,0,1] neg_hi:[0,0,1]
	v_pk_fma_f32 v[6:7], v[98:99], v[138:139], v[6:7] op_sel:[0,0,1] op_sel_hi:[1,0,0]
	s_waitcnt vmcnt(1)
	v_mov_b32_e32 v6, v147
	v_mov_b32_e32 v9, v7
	v_pk_mul_f32 v[6:7], v[100:101], v[6:7] op_sel_hi:[1,0]
	v_pk_add_f32 v[4:5], v[4:5], v[8:9]
	s_waitcnt vmcnt(0)
	v_pk_fma_f32 v[8:9], v[100:101], v[146:147], v[6:7] op_sel:[0,0,1] op_sel_hi:[1,1,0] neg_lo:[0,0,1] neg_hi:[0,0,1]
	v_pk_fma_f32 v[6:7], v[100:101], v[146:147], v[6:7] op_sel:[0,0,1] op_sel_hi:[1,0,0]
	v_mov_b32_e32 v9, v7
	v_pk_add_f32 v[4:5], v[4:5], v[8:9]
	v_pk_add_f32 v[2:3], v[2:3], v[4:5] neg_lo:[0,1] neg_hi:[0,1]
	buffer_store_dword v3, off, s[0:3], 0 offset:92
	buffer_store_dword v2, off, s[0:3], 0 offset:88
	s_and_saveexec_b64 s[4:5], vcc
	s_cbranch_execz .LBB39_233
; %bb.232:
	buffer_load_dword v2, off, s[0:3], 0 offset:80
	buffer_load_dword v3, off, s[0:3], 0 offset:84
	v_mov_b32_e32 v4, 0
	buffer_store_dword v4, off, s[0:3], 0 offset:80
	buffer_store_dword v4, off, s[0:3], 0 offset:84
	s_waitcnt vmcnt(2)
	ds_write_b64 v1, v[2:3]
.LBB39_233:
	s_or_b64 exec, exec, s[4:5]
	s_waitcnt lgkmcnt(0)
	; wave barrier
	s_waitcnt lgkmcnt(0)
	buffer_load_dword v5, off, s[0:3], 0 offset:92
	buffer_load_dword v134, off, s[0:3], 0 offset:100
	;; [unrolled: 1-line block ×44, first 2 shown]
	v_mov_b32_e32 v4, 0
	ds_read2_b64 v[6:9], v4 offset0:51 offset1:52
	ds_read2_b64 v[10:13], v4 offset0:53 offset1:54
	;; [unrolled: 1-line block ×8, first 2 shown]
	v_cmp_lt_u32_e32 vcc, 9, v0
	s_waitcnt vmcnt(43) lgkmcnt(7)
	v_mul_f32_e32 v118, v6, v5
	s_waitcnt vmcnt(42)
	v_mul_f32_e32 v119, v8, v134
	s_waitcnt vmcnt(41) lgkmcnt(6)
	v_mul_f32_e32 v120, v10, v140
	s_waitcnt vmcnt(40)
	v_mul_f32_e32 v121, v12, v142
	;; [unrolled: 4-line block ×7, first 2 shown]
	s_waitcnt vmcnt(29)
	v_fmac_f32_e32 v118, v7, v166
	s_waitcnt vmcnt(28)
	v_fmac_f32_e32 v119, v9, v167
	v_add_f32_e32 v118, 0, v118
	s_waitcnt vmcnt(27)
	v_fmac_f32_e32 v120, v11, v168
	v_add_f32_e32 v118, v118, v119
	;; [unrolled: 3-line block ×12, first 2 shown]
	v_add_f32_e32 v118, v118, v130
	s_waitcnt vmcnt(16)
	v_fmac_f32_e32 v131, v113, v179
	s_waitcnt vmcnt(15) lgkmcnt(0)
	v_mul_f32_e32 v119, v114, v180
	v_add_f32_e32 v118, v118, v131
	s_waitcnt vmcnt(14)
	v_fmac_f32_e32 v119, v115, v181
	v_add_f32_e32 v122, v118, v119
	ds_read2_b64 v[118:121], v4 offset0:67 offset1:68
	s_waitcnt vmcnt(13)
	v_mul_f32_e32 v123, v116, v182
	s_waitcnt vmcnt(12)
	v_fmac_f32_e32 v123, v117, v183
	v_add_f32_e32 v126, v122, v123
	ds_read2_b64 v[122:125], v4 offset0:69 offset1:70
	s_waitcnt vmcnt(11) lgkmcnt(1)
	v_mul_f32_e32 v127, v118, v184
	s_waitcnt vmcnt(10)
	v_fmac_f32_e32 v127, v119, v185
	v_add_f32_e32 v126, v126, v127
	s_waitcnt vmcnt(9)
	v_mul_f32_e32 v127, v120, v186
	s_waitcnt vmcnt(8)
	v_fmac_f32_e32 v127, v121, v187
	v_add_f32_e32 v126, v126, v127
	s_waitcnt vmcnt(7) lgkmcnt(0)
	v_mul_f32_e32 v127, v122, v188
	s_waitcnt vmcnt(6)
	v_fmac_f32_e32 v127, v123, v189
	v_add_f32_e32 v135, v126, v127
	ds_read2_b64 v[126:129], v4 offset0:71 offset1:72
	buffer_load_dword v137, off, s[0:3], 0 offset:268
	buffer_load_dword v136, off, s[0:3], 0 offset:264
	;; [unrolled: 1-line block ×4, first 2 shown]
	ds_read2_b64 v[130:133], v4 offset0:73 offset1:74
	buffer_load_dword v145, off, s[0:3], 0 offset:300
	buffer_load_dword v144, off, s[0:3], 0 offset:296
	;; [unrolled: 1-line block ×12, first 2 shown]
	v_mul_f32_e32 v5, v7, v5
	v_fma_f32 v5, v6, v166, -v5
	v_mul_f32_e32 v6, v9, v134
	v_add_f32_e32 v5, 0, v5
	v_fma_f32 v6, v8, v167, -v6
	v_add_f32_e32 v5, v5, v6
	v_mul_f32_e32 v6, v11, v140
	v_fma_f32 v6, v10, v168, -v6
	v_add_f32_e32 v5, v5, v6
	v_mul_f32_e32 v6, v13, v142
	;; [unrolled: 3-line block ×17, first 2 shown]
	v_fma_f32 v6, v122, v189, -v6
	s_waitcnt vmcnt(21)
	v_mul_f32_e32 v141, v124, v190
	v_add_f32_e32 v134, v5, v6
	v_mul_f32_e32 v5, v125, v190
	s_waitcnt vmcnt(20)
	v_fmac_f32_e32 v141, v125, v191
	s_waitcnt vmcnt(19) lgkmcnt(1)
	v_mul_f32_e32 v143, v126, v192
	v_fma_f32 v140, v124, v191, -v5
	v_mul_f32_e32 v5, v127, v192
	s_waitcnt vmcnt(18)
	v_fmac_f32_e32 v143, v127, v193
	v_fma_f32 v142, v126, v193, -v5
	v_pk_add_f32 v[16:17], v[134:135], v[140:141]
	v_pk_add_f32 v[16:17], v[16:17], v[142:143]
	ds_read2_b64 v[6:9], v4 offset0:75 offset1:76
	ds_read2_b64 v[10:13], v4 offset0:77 offset1:78
	ds_read_b64 v[14:15], v4 offset:632
	s_waitcnt vmcnt(13)
	v_mov_b32_e32 v98, v139
	v_pk_mul_f32 v[98:99], v[128:129], v[98:99] op_sel_hi:[1,0]
	s_waitcnt vmcnt(12)
	v_pk_fma_f32 v[100:101], v[128:129], v[138:139], v[98:99] op_sel:[0,0,1] op_sel_hi:[1,1,0] neg_lo:[0,0,1] neg_hi:[0,0,1]
	v_pk_fma_f32 v[98:99], v[128:129], v[138:139], v[98:99] op_sel:[0,0,1] op_sel_hi:[1,0,0]
	v_mov_b32_e32 v98, v137
	v_mov_b32_e32 v101, v99
	s_waitcnt lgkmcnt(3)
	v_pk_mul_f32 v[98:99], v[130:131], v[98:99] op_sel_hi:[1,0]
	v_pk_add_f32 v[16:17], v[16:17], v[100:101]
	v_pk_fma_f32 v[100:101], v[130:131], v[136:137], v[98:99] op_sel:[0,0,1] op_sel_hi:[1,1,0] neg_lo:[0,0,1] neg_hi:[0,0,1]
	v_pk_fma_f32 v[98:99], v[130:131], v[136:137], v[98:99] op_sel:[0,0,1] op_sel_hi:[1,0,0]
	s_waitcnt vmcnt(5)
	v_mov_b32_e32 v98, v151
	v_mov_b32_e32 v101, v99
	v_pk_mul_f32 v[98:99], v[132:133], v[98:99] op_sel_hi:[1,0]
	v_pk_add_f32 v[16:17], v[16:17], v[100:101]
	s_waitcnt vmcnt(4)
	v_pk_fma_f32 v[100:101], v[132:133], v[150:151], v[98:99] op_sel:[0,0,1] op_sel_hi:[1,1,0] neg_lo:[0,0,1] neg_hi:[0,0,1]
	v_pk_fma_f32 v[98:99], v[132:133], v[150:151], v[98:99] op_sel:[0,0,1] op_sel_hi:[1,0,0]
	v_mov_b32_e32 v98, v149
	v_mov_b32_e32 v101, v99
	s_waitcnt lgkmcnt(2)
	v_pk_mul_f32 v[98:99], v[6:7], v[98:99] op_sel_hi:[1,0]
	v_pk_add_f32 v[16:17], v[16:17], v[100:101]
	v_pk_fma_f32 v[100:101], v[6:7], v[148:149], v[98:99] op_sel:[0,0,1] op_sel_hi:[1,1,0] neg_lo:[0,0,1] neg_hi:[0,0,1]
	v_pk_fma_f32 v[6:7], v[6:7], v[148:149], v[98:99] op_sel:[0,0,1] op_sel_hi:[1,0,0]
	v_mov_b32_e32 v101, v7
	v_pk_add_f32 v[6:7], v[16:17], v[100:101]
	v_mov_b32_e32 v16, v147
	v_pk_mul_f32 v[16:17], v[8:9], v[16:17] op_sel_hi:[1,0]
	v_pk_fma_f32 v[98:99], v[8:9], v[146:147], v[16:17] op_sel:[0,0,1] op_sel_hi:[1,1,0] neg_lo:[0,0,1] neg_hi:[0,0,1]
	v_pk_fma_f32 v[8:9], v[8:9], v[146:147], v[16:17] op_sel:[0,0,1] op_sel_hi:[1,0,0]
	v_mov_b32_e32 v8, v145
	v_mov_b32_e32 v99, v9
	s_waitcnt lgkmcnt(1)
	v_pk_mul_f32 v[8:9], v[10:11], v[8:9] op_sel_hi:[1,0]
	v_pk_fma_f32 v[16:17], v[10:11], v[144:145], v[8:9] op_sel:[0,0,1] op_sel_hi:[1,1,0] neg_lo:[0,0,1] neg_hi:[0,0,1]
	v_pk_fma_f32 v[8:9], v[10:11], v[144:145], v[8:9] op_sel:[0,0,1] op_sel_hi:[1,0,0]
	s_waitcnt vmcnt(1)
	v_mov_b32_e32 v8, v155
	v_mov_b32_e32 v17, v9
	v_pk_mul_f32 v[8:9], v[12:13], v[8:9] op_sel_hi:[1,0]
	s_waitcnt vmcnt(0)
	v_pk_fma_f32 v[10:11], v[12:13], v[154:155], v[8:9] op_sel:[0,0,1] op_sel_hi:[1,1,0] neg_lo:[0,0,1] neg_hi:[0,0,1]
	v_pk_fma_f32 v[8:9], v[12:13], v[154:155], v[8:9] op_sel:[0,0,1] op_sel_hi:[1,0,0]
	v_pk_add_f32 v[6:7], v[6:7], v[98:99]
	v_mov_b32_e32 v8, v153
	v_pk_add_f32 v[6:7], v[6:7], v[16:17]
	v_mov_b32_e32 v11, v9
	s_waitcnt lgkmcnt(0)
	v_pk_mul_f32 v[8:9], v[14:15], v[8:9] op_sel_hi:[1,0]
	v_pk_add_f32 v[6:7], v[6:7], v[10:11]
	v_pk_fma_f32 v[10:11], v[14:15], v[152:153], v[8:9] op_sel:[0,0,1] op_sel_hi:[1,1,0] neg_lo:[0,0,1] neg_hi:[0,0,1]
	v_pk_fma_f32 v[8:9], v[14:15], v[152:153], v[8:9] op_sel:[0,0,1] op_sel_hi:[1,0,0]
	v_mov_b32_e32 v11, v9
	v_pk_add_f32 v[6:7], v[6:7], v[10:11]
	v_pk_add_f32 v[2:3], v[2:3], v[6:7] neg_lo:[0,1] neg_hi:[0,1]
	buffer_store_dword v3, off, s[0:3], 0 offset:84
	buffer_store_dword v2, off, s[0:3], 0 offset:80
	s_and_saveexec_b64 s[4:5], vcc
	s_cbranch_execz .LBB39_235
; %bb.234:
	buffer_load_dword v2, off, s[0:3], 0 offset:72
	buffer_load_dword v3, off, s[0:3], 0 offset:76
	s_waitcnt vmcnt(0)
	ds_write_b64 v1, v[2:3]
	buffer_store_dword v4, off, s[0:3], 0 offset:72
	buffer_store_dword v4, off, s[0:3], 0 offset:76
.LBB39_235:
	s_or_b64 exec, exec, s[4:5]
	s_waitcnt lgkmcnt(0)
	; wave barrier
	s_waitcnt lgkmcnt(0)
	buffer_load_dword v5, off, s[0:3], 0 offset:84
	buffer_load_dword v136, off, s[0:3], 0 offset:92
	;; [unrolled: 1-line block ×46, first 2 shown]
	ds_read_b128 v[6:9], v4 offset:400
	ds_read_b128 v[10:13], v4 offset:416
	;; [unrolled: 1-line block ×8, first 2 shown]
	v_cmp_lt_u32_e32 vcc, 8, v0
	s_waitcnt vmcnt(45) lgkmcnt(7)
	v_mul_f32_e32 v118, v6, v5
	s_waitcnt vmcnt(44)
	v_mul_f32_e32 v119, v8, v136
	s_waitcnt vmcnt(43) lgkmcnt(6)
	v_mul_f32_e32 v120, v10, v138
	s_waitcnt vmcnt(42)
	v_mul_f32_e32 v121, v12, v140
	s_waitcnt vmcnt(41) lgkmcnt(5)
	v_mul_f32_e32 v122, v14, v156
	s_waitcnt vmcnt(40)
	v_mul_f32_e32 v123, v16, v157
	s_waitcnt vmcnt(39) lgkmcnt(4)
	v_mul_f32_e32 v124, v98, v158
	s_waitcnt vmcnt(38)
	v_mul_f32_e32 v125, v100, v159
	s_waitcnt vmcnt(37) lgkmcnt(3)
	v_mul_f32_e32 v126, v102, v160
	s_waitcnt vmcnt(36)
	v_mul_f32_e32 v127, v104, v161
	s_waitcnt vmcnt(35) lgkmcnt(2)
	v_mul_f32_e32 v128, v106, v162
	s_waitcnt vmcnt(34)
	v_mul_f32_e32 v129, v108, v163
	s_waitcnt vmcnt(33) lgkmcnt(1)
	v_mul_f32_e32 v130, v110, v164
	s_waitcnt vmcnt(32)
	v_fmac_f32_e32 v118, v7, v165
	s_waitcnt vmcnt(31)
	v_fmac_f32_e32 v119, v9, v166
	v_add_f32_e32 v118, 0, v118
	s_waitcnt vmcnt(30)
	v_fmac_f32_e32 v120, v11, v167
	v_add_f32_e32 v118, v118, v119
	;; [unrolled: 3-line block ×12, first 2 shown]
	s_waitcnt vmcnt(19)
	v_mul_f32_e32 v119, v112, v178
	v_add_f32_e32 v118, v118, v130
	s_waitcnt vmcnt(18)
	v_fmac_f32_e32 v119, v113, v179
	v_add_f32_e32 v118, v118, v119
	s_waitcnt vmcnt(17) lgkmcnt(0)
	v_mul_f32_e32 v119, v114, v180
	s_waitcnt vmcnt(16)
	v_fmac_f32_e32 v119, v115, v181
	v_add_f32_e32 v122, v118, v119
	ds_read_b128 v[118:121], v4 offset:528
	s_waitcnt vmcnt(15)
	v_mul_f32_e32 v123, v116, v182
	s_waitcnt vmcnt(14)
	v_fmac_f32_e32 v123, v117, v183
	v_add_f32_e32 v126, v122, v123
	ds_read_b128 v[122:125], v4 offset:544
	buffer_load_dword v135, off, s[0:3], 0 offset:260
	buffer_load_dword v134, off, s[0:3], 0 offset:256
	s_waitcnt vmcnt(15) lgkmcnt(1)
	v_mul_f32_e32 v127, v118, v184
	s_waitcnt vmcnt(14)
	v_fmac_f32_e32 v127, v119, v185
	v_add_f32_e32 v126, v126, v127
	s_waitcnt vmcnt(13)
	v_mul_f32_e32 v127, v120, v186
	s_waitcnt vmcnt(12)
	v_fmac_f32_e32 v127, v121, v187
	v_add_f32_e32 v126, v126, v127
	s_waitcnt vmcnt(11) lgkmcnt(0)
	v_mul_f32_e32 v127, v122, v188
	s_waitcnt vmcnt(10)
	v_fmac_f32_e32 v127, v123, v189
	s_waitcnt vmcnt(9)
	v_mul_f32_e32 v131, v124, v190
	v_add_f32_e32 v130, v126, v127
	s_waitcnt vmcnt(8)
	v_fmac_f32_e32 v131, v125, v191
	ds_read_b128 v[126:129], v4 offset:560
	v_add_f32_e32 v137, v130, v131
	ds_read_b128 v[130:133], v4 offset:576
	buffer_load_dword v143, off, s[0:3], 0 offset:292
	buffer_load_dword v142, off, s[0:3], 0 offset:288
	;; [unrolled: 1-line block ×14, first 2 shown]
	v_mul_f32_e32 v5, v7, v5
	v_fma_f32 v5, v6, v165, -v5
	v_mul_f32_e32 v6, v9, v136
	v_add_f32_e32 v5, 0, v5
	v_fma_f32 v6, v8, v166, -v6
	v_add_f32_e32 v5, v5, v6
	v_mul_f32_e32 v6, v11, v138
	v_fma_f32 v6, v10, v167, -v6
	v_add_f32_e32 v5, v5, v6
	v_mul_f32_e32 v6, v13, v140
	;; [unrolled: 3-line block ×18, first 2 shown]
	v_fma_f32 v6, v124, v191, -v6
	s_waitcnt vmcnt(21) lgkmcnt(1)
	v_mul_f32_e32 v139, v126, v192
	v_add_f32_e32 v136, v5, v6
	v_mul_f32_e32 v5, v127, v192
	s_waitcnt vmcnt(20)
	v_fmac_f32_e32 v139, v127, v193
	s_waitcnt vmcnt(15)
	v_mov_b32_e32 v98, v135
	s_waitcnt lgkmcnt(0)
	v_pk_mul_f32 v[98:99], v[130:131], v[98:99] op_sel_hi:[1,0]
	v_mul_f32_e32 v141, v128, v194
	v_fma_f32 v138, v126, v193, -v5
	v_mul_f32_e32 v5, v129, v194
	s_waitcnt vmcnt(14)
	v_pk_fma_f32 v[100:101], v[130:131], v[134:135], v[98:99] op_sel:[0,0,1] op_sel_hi:[1,1,0] neg_lo:[0,0,1] neg_hi:[0,0,1]
	v_pk_fma_f32 v[98:99], v[130:131], v[134:135], v[98:99] op_sel:[0,0,1] op_sel_hi:[1,0,0]
	v_fmac_f32_e32 v141, v129, v195
	v_fma_f32 v140, v128, v195, -v5
	ds_read_b128 v[6:9], v4 offset:592
	ds_read_b128 v[10:13], v4 offset:608
	;; [unrolled: 1-line block ×3, first 2 shown]
	v_pk_add_f32 v[4:5], v[136:137], v[138:139]
	s_waitcnt vmcnt(7)
	v_mov_b32_e32 v98, v149
	v_pk_add_f32 v[4:5], v[4:5], v[140:141]
	v_mov_b32_e32 v101, v99
	v_pk_mul_f32 v[98:99], v[132:133], v[98:99] op_sel_hi:[1,0]
	v_pk_add_f32 v[4:5], v[4:5], v[100:101]
	s_waitcnt vmcnt(6)
	v_pk_fma_f32 v[100:101], v[132:133], v[148:149], v[98:99] op_sel:[0,0,1] op_sel_hi:[1,1,0] neg_lo:[0,0,1] neg_hi:[0,0,1]
	v_pk_fma_f32 v[98:99], v[132:133], v[148:149], v[98:99] op_sel:[0,0,1] op_sel_hi:[1,0,0]
	v_mov_b32_e32 v98, v147
	v_mov_b32_e32 v101, v99
	s_waitcnt lgkmcnt(2)
	v_pk_mul_f32 v[98:99], v[6:7], v[98:99] op_sel_hi:[1,0]
	v_pk_add_f32 v[4:5], v[4:5], v[100:101]
	v_pk_fma_f32 v[100:101], v[6:7], v[146:147], v[98:99] op_sel:[0,0,1] op_sel_hi:[1,1,0] neg_lo:[0,0,1] neg_hi:[0,0,1]
	v_pk_fma_f32 v[6:7], v[6:7], v[146:147], v[98:99] op_sel:[0,0,1] op_sel_hi:[1,0,0]
	v_mov_b32_e32 v6, v145
	v_mov_b32_e32 v101, v7
	v_pk_mul_f32 v[6:7], v[8:9], v[6:7] op_sel_hi:[1,0]
	v_pk_fma_f32 v[98:99], v[8:9], v[144:145], v[6:7] op_sel:[0,0,1] op_sel_hi:[1,1,0] neg_lo:[0,0,1] neg_hi:[0,0,1]
	v_pk_fma_f32 v[6:7], v[8:9], v[144:145], v[6:7] op_sel:[0,0,1] op_sel_hi:[1,0,0]
	v_mov_b32_e32 v6, v143
	v_mov_b32_e32 v99, v7
	s_waitcnt lgkmcnt(1)
	v_pk_mul_f32 v[6:7], v[10:11], v[6:7] op_sel_hi:[1,0]
	v_pk_fma_f32 v[8:9], v[10:11], v[142:143], v[6:7] op_sel:[0,0,1] op_sel_hi:[1,1,0] neg_lo:[0,0,1] neg_hi:[0,0,1]
	v_pk_fma_f32 v[6:7], v[10:11], v[142:143], v[6:7] op_sel:[0,0,1] op_sel_hi:[1,0,0]
	v_pk_add_f32 v[4:5], v[4:5], v[100:101]
	s_waitcnt vmcnt(1)
	v_mov_b32_e32 v6, v155
	v_pk_add_f32 v[4:5], v[4:5], v[98:99]
	v_mov_b32_e32 v9, v7
	v_pk_mul_f32 v[6:7], v[12:13], v[6:7] op_sel_hi:[1,0]
	v_pk_add_f32 v[4:5], v[4:5], v[8:9]
	s_waitcnt vmcnt(0)
	v_pk_fma_f32 v[8:9], v[12:13], v[154:155], v[6:7] op_sel:[0,0,1] op_sel_hi:[1,1,0] neg_lo:[0,0,1] neg_hi:[0,0,1]
	v_pk_fma_f32 v[6:7], v[12:13], v[154:155], v[6:7] op_sel:[0,0,1] op_sel_hi:[1,0,0]
	v_mov_b32_e32 v6, v153
	v_mov_b32_e32 v9, v7
	s_waitcnt lgkmcnt(0)
	v_pk_mul_f32 v[6:7], v[14:15], v[6:7] op_sel_hi:[1,0]
	v_pk_add_f32 v[4:5], v[4:5], v[8:9]
	v_pk_fma_f32 v[8:9], v[14:15], v[152:153], v[6:7] op_sel:[0,0,1] op_sel_hi:[1,1,0] neg_lo:[0,0,1] neg_hi:[0,0,1]
	v_pk_fma_f32 v[6:7], v[14:15], v[152:153], v[6:7] op_sel:[0,0,1] op_sel_hi:[1,0,0]
	v_mov_b32_e32 v6, v151
	v_mov_b32_e32 v9, v7
	v_pk_mul_f32 v[6:7], v[16:17], v[6:7] op_sel_hi:[1,0]
	v_pk_add_f32 v[4:5], v[4:5], v[8:9]
	v_pk_fma_f32 v[8:9], v[16:17], v[150:151], v[6:7] op_sel:[0,0,1] op_sel_hi:[1,1,0] neg_lo:[0,0,1] neg_hi:[0,0,1]
	v_pk_fma_f32 v[6:7], v[16:17], v[150:151], v[6:7] op_sel:[0,0,1] op_sel_hi:[1,0,0]
	v_mov_b32_e32 v9, v7
	v_pk_add_f32 v[4:5], v[4:5], v[8:9]
	v_pk_add_f32 v[2:3], v[2:3], v[4:5] neg_lo:[0,1] neg_hi:[0,1]
	buffer_store_dword v3, off, s[0:3], 0 offset:76
	buffer_store_dword v2, off, s[0:3], 0 offset:72
	s_and_saveexec_b64 s[4:5], vcc
	s_cbranch_execz .LBB39_237
; %bb.236:
	buffer_load_dword v2, off, s[0:3], 0 offset:64
	buffer_load_dword v3, off, s[0:3], 0 offset:68
	v_mov_b32_e32 v4, 0
	buffer_store_dword v4, off, s[0:3], 0 offset:64
	buffer_store_dword v4, off, s[0:3], 0 offset:68
	s_waitcnt vmcnt(2)
	ds_write_b64 v1, v[2:3]
.LBB39_237:
	s_or_b64 exec, exec, s[4:5]
	s_waitcnt lgkmcnt(0)
	; wave barrier
	s_waitcnt lgkmcnt(0)
	buffer_load_dword v5, off, s[0:3], 0 offset:76
	buffer_load_dword v134, off, s[0:3], 0 offset:84
	;; [unrolled: 1-line block ×48, first 2 shown]
	v_mov_b32_e32 v4, 0
	ds_read2_b64 v[6:9], v4 offset0:49 offset1:50
	ds_read2_b64 v[10:13], v4 offset0:51 offset1:52
	ds_read2_b64 v[14:17], v4 offset0:53 offset1:54
	ds_read2_b64 v[98:101], v4 offset0:55 offset1:56
	ds_read2_b64 v[102:105], v4 offset0:57 offset1:58
	ds_read2_b64 v[106:109], v4 offset0:59 offset1:60
	v_cmp_lt_u32_e32 vcc, 7, v0
	s_waitcnt vmcnt(47) lgkmcnt(5)
	v_mul_f32_e32 v110, v6, v5
	s_waitcnt vmcnt(46)
	v_mul_f32_e32 v111, v8, v134
	s_waitcnt vmcnt(45) lgkmcnt(4)
	v_mul_f32_e32 v112, v10, v136
	s_waitcnt vmcnt(44)
	v_mul_f32_e32 v113, v12, v138
	;; [unrolled: 4-line block ×6, first 2 shown]
	s_waitcnt vmcnt(35)
	v_fmac_f32_e32 v110, v7, v164
	s_waitcnt vmcnt(34)
	v_fmac_f32_e32 v111, v9, v165
	v_add_f32_e32 v110, 0, v110
	s_waitcnt vmcnt(33)
	v_fmac_f32_e32 v112, v11, v166
	v_add_f32_e32 v110, v110, v111
	;; [unrolled: 3-line block ×8, first 2 shown]
	v_add_f32_e32 v114, v110, v118
	ds_read2_b64 v[110:113], v4 offset0:61 offset1:62
	s_waitcnt vmcnt(26)
	v_fmac_f32_e32 v119, v105, v173
	s_waitcnt vmcnt(25)
	v_fmac_f32_e32 v120, v107, v174
	v_add_f32_e32 v114, v114, v119
	s_waitcnt vmcnt(24)
	v_fmac_f32_e32 v121, v109, v175
	v_add_f32_e32 v114, v114, v120
	v_add_f32_e32 v118, v114, v121
	ds_read2_b64 v[114:117], v4 offset0:63 offset1:64
	s_waitcnt vmcnt(23) lgkmcnt(1)
	v_mul_f32_e32 v119, v110, v176
	s_waitcnt vmcnt(22)
	v_fmac_f32_e32 v119, v111, v177
	v_add_f32_e32 v118, v118, v119
	s_waitcnt vmcnt(21)
	v_mul_f32_e32 v119, v112, v178
	s_waitcnt vmcnt(20)
	v_fmac_f32_e32 v119, v113, v179
	v_add_f32_e32 v118, v118, v119
	s_waitcnt vmcnt(19) lgkmcnt(0)
	v_mul_f32_e32 v119, v114, v180
	s_waitcnt vmcnt(18)
	v_fmac_f32_e32 v119, v115, v181
	v_add_f32_e32 v122, v118, v119
	ds_read2_b64 v[118:121], v4 offset0:65 offset1:66
	s_waitcnt vmcnt(17)
	v_mul_f32_e32 v123, v116, v182
	s_waitcnt vmcnt(16)
	v_fmac_f32_e32 v123, v117, v183
	v_add_f32_e32 v126, v122, v123
	ds_read2_b64 v[122:125], v4 offset0:67 offset1:68
	s_waitcnt vmcnt(15) lgkmcnt(1)
	v_mul_f32_e32 v127, v118, v184
	s_waitcnt vmcnt(14)
	v_fmac_f32_e32 v127, v119, v185
	v_add_f32_e32 v126, v126, v127
	s_waitcnt vmcnt(13)
	v_mul_f32_e32 v127, v120, v186
	s_waitcnt vmcnt(12)
	v_fmac_f32_e32 v127, v121, v187
	v_add_f32_e32 v126, v126, v127
	s_waitcnt vmcnt(11) lgkmcnt(0)
	v_mul_f32_e32 v127, v122, v188
	s_waitcnt vmcnt(10)
	v_fmac_f32_e32 v127, v123, v189
	s_waitcnt vmcnt(9)
	v_mul_f32_e32 v131, v124, v190
	v_add_f32_e32 v130, v126, v127
	s_waitcnt vmcnt(8)
	v_fmac_f32_e32 v131, v125, v191
	ds_read2_b64 v[126:129], v4 offset0:69 offset1:70
	v_add_f32_e32 v135, v130, v131
	ds_read2_b64 v[130:133], v4 offset0:71 offset1:72
	buffer_load_dword v141, off, s[0:3], 0 offset:284
	buffer_load_dword v140, off, s[0:3], 0 offset:280
	;; [unrolled: 1-line block ×16, first 2 shown]
	v_mul_f32_e32 v5, v7, v5
	v_fma_f32 v5, v6, v164, -v5
	v_mul_f32_e32 v6, v9, v134
	v_add_f32_e32 v5, 0, v5
	v_fma_f32 v6, v8, v165, -v6
	v_add_f32_e32 v5, v5, v6
	v_mul_f32_e32 v6, v11, v136
	v_fma_f32 v6, v10, v166, -v6
	v_add_f32_e32 v5, v5, v6
	v_mul_f32_e32 v6, v13, v138
	;; [unrolled: 3-line block ×18, first 2 shown]
	v_fma_f32 v6, v124, v191, -v6
	s_waitcnt vmcnt(22) lgkmcnt(1)
	v_mul_f32_e32 v137, v126, v193
	v_add_f32_e32 v5, v5, v6
	v_mul_f32_e32 v6, v127, v193
	v_fmac_f32_e32 v137, v127, v192
	v_fma_f32 v6, v126, v192, -v6
	v_add_f32_e32 v135, v135, v137
	s_waitcnt vmcnt(19)
	v_mul_f32_e32 v137, v128, v194
	v_add_f32_e32 v134, v5, v6
	v_mul_f32_e32 v5, v129, v194
	s_waitcnt vmcnt(18)
	v_fmac_f32_e32 v137, v129, v195
	s_waitcnt vmcnt(17) lgkmcnt(0)
	v_mul_f32_e32 v139, v130, v196
	s_waitcnt vmcnt(9)
	v_mov_b32_e32 v102, v147
	v_pk_mul_f32 v[102:103], v[132:133], v[102:103] op_sel_hi:[1,0]
	v_fma_f32 v136, v128, v195, -v5
	v_mul_f32_e32 v5, v131, v196
	ds_read2_b64 v[6:9], v4 offset0:73 offset1:74
	ds_read2_b64 v[10:13], v4 offset0:75 offset1:76
	;; [unrolled: 1-line block ×3, first 2 shown]
	ds_read_b64 v[98:99], v4 offset:632
	s_waitcnt vmcnt(8)
	v_pk_fma_f32 v[104:105], v[132:133], v[146:147], v[102:103] op_sel:[0,0,1] op_sel_hi:[1,1,0] neg_lo:[0,0,1] neg_hi:[0,0,1]
	v_pk_fma_f32 v[102:103], v[132:133], v[146:147], v[102:103] op_sel:[0,0,1] op_sel_hi:[1,0,0]
	v_fmac_f32_e32 v139, v131, v197
	v_fma_f32 v138, v130, v197, -v5
	v_pk_add_f32 v[100:101], v[134:135], v[136:137]
	v_mov_b32_e32 v102, v145
	v_pk_add_f32 v[100:101], v[100:101], v[138:139]
	v_mov_b32_e32 v105, v103
	s_waitcnt lgkmcnt(3)
	v_pk_mul_f32 v[102:103], v[6:7], v[102:103] op_sel_hi:[1,0]
	v_pk_add_f32 v[100:101], v[100:101], v[104:105]
	v_pk_fma_f32 v[104:105], v[6:7], v[144:145], v[102:103] op_sel:[0,0,1] op_sel_hi:[1,1,0] neg_lo:[0,0,1] neg_hi:[0,0,1]
	v_pk_fma_f32 v[6:7], v[6:7], v[144:145], v[102:103] op_sel:[0,0,1] op_sel_hi:[1,0,0]
	v_mov_b32_e32 v105, v7
	v_pk_add_f32 v[6:7], v[100:101], v[104:105]
	v_mov_b32_e32 v100, v143
	v_pk_mul_f32 v[100:101], v[8:9], v[100:101] op_sel_hi:[1,0]
	v_pk_fma_f32 v[102:103], v[8:9], v[142:143], v[100:101] op_sel:[0,0,1] op_sel_hi:[1,1,0] neg_lo:[0,0,1] neg_hi:[0,0,1]
	v_pk_fma_f32 v[8:9], v[8:9], v[142:143], v[100:101] op_sel:[0,0,1] op_sel_hi:[1,0,0]
	v_mov_b32_e32 v8, v141
	v_mov_b32_e32 v103, v9
	s_waitcnt lgkmcnt(2)
	v_pk_mul_f32 v[8:9], v[10:11], v[8:9] op_sel_hi:[1,0]
	v_pk_fma_f32 v[100:101], v[10:11], v[140:141], v[8:9] op_sel:[0,0,1] op_sel_hi:[1,1,0] neg_lo:[0,0,1] neg_hi:[0,0,1]
	v_pk_fma_f32 v[8:9], v[10:11], v[140:141], v[8:9] op_sel:[0,0,1] op_sel_hi:[1,0,0]
	s_waitcnt vmcnt(1)
	v_mov_b32_e32 v8, v155
	v_mov_b32_e32 v101, v9
	v_pk_mul_f32 v[8:9], v[12:13], v[8:9] op_sel_hi:[1,0]
	s_waitcnt vmcnt(0)
	v_pk_fma_f32 v[10:11], v[12:13], v[154:155], v[8:9] op_sel:[0,0,1] op_sel_hi:[1,1,0] neg_lo:[0,0,1] neg_hi:[0,0,1]
	v_pk_fma_f32 v[8:9], v[12:13], v[154:155], v[8:9] op_sel:[0,0,1] op_sel_hi:[1,0,0]
	v_pk_add_f32 v[6:7], v[6:7], v[102:103]
	v_mov_b32_e32 v8, v153
	v_pk_add_f32 v[6:7], v[6:7], v[100:101]
	v_mov_b32_e32 v11, v9
	s_waitcnt lgkmcnt(1)
	v_pk_mul_f32 v[8:9], v[14:15], v[8:9] op_sel_hi:[1,0]
	v_pk_add_f32 v[6:7], v[6:7], v[10:11]
	v_pk_fma_f32 v[10:11], v[14:15], v[152:153], v[8:9] op_sel:[0,0,1] op_sel_hi:[1,1,0] neg_lo:[0,0,1] neg_hi:[0,0,1]
	v_pk_fma_f32 v[8:9], v[14:15], v[152:153], v[8:9] op_sel:[0,0,1] op_sel_hi:[1,0,0]
	v_mov_b32_e32 v8, v151
	v_mov_b32_e32 v11, v9
	v_pk_mul_f32 v[8:9], v[16:17], v[8:9] op_sel_hi:[1,0]
	v_pk_add_f32 v[6:7], v[6:7], v[10:11]
	v_pk_fma_f32 v[10:11], v[16:17], v[150:151], v[8:9] op_sel:[0,0,1] op_sel_hi:[1,1,0] neg_lo:[0,0,1] neg_hi:[0,0,1]
	v_pk_fma_f32 v[8:9], v[16:17], v[150:151], v[8:9] op_sel:[0,0,1] op_sel_hi:[1,0,0]
	v_mov_b32_e32 v8, v149
	v_mov_b32_e32 v11, v9
	s_waitcnt lgkmcnt(0)
	v_pk_mul_f32 v[8:9], v[98:99], v[8:9] op_sel_hi:[1,0]
	v_pk_add_f32 v[6:7], v[6:7], v[10:11]
	v_pk_fma_f32 v[10:11], v[98:99], v[148:149], v[8:9] op_sel:[0,0,1] op_sel_hi:[1,1,0] neg_lo:[0,0,1] neg_hi:[0,0,1]
	v_pk_fma_f32 v[8:9], v[98:99], v[148:149], v[8:9] op_sel:[0,0,1] op_sel_hi:[1,0,0]
	v_mov_b32_e32 v11, v9
	v_pk_add_f32 v[6:7], v[6:7], v[10:11]
	v_pk_add_f32 v[2:3], v[2:3], v[6:7] neg_lo:[0,1] neg_hi:[0,1]
	buffer_store_dword v3, off, s[0:3], 0 offset:68
	buffer_store_dword v2, off, s[0:3], 0 offset:64
	s_and_saveexec_b64 s[4:5], vcc
	s_cbranch_execz .LBB39_239
; %bb.238:
	buffer_load_dword v2, off, s[0:3], 0 offset:56
	buffer_load_dword v3, off, s[0:3], 0 offset:60
	s_waitcnt vmcnt(0)
	ds_write_b64 v1, v[2:3]
	buffer_store_dword v4, off, s[0:3], 0 offset:56
	buffer_store_dword v4, off, s[0:3], 0 offset:60
.LBB39_239:
	s_or_b64 exec, exec, s[4:5]
	s_waitcnt lgkmcnt(0)
	; wave barrier
	s_waitcnt lgkmcnt(0)
	buffer_load_dword v5, off, s[0:3], 0 offset:68
	buffer_load_dword v134, off, s[0:3], 0 offset:76
	;; [unrolled: 1-line block ×48, first 2 shown]
	ds_read_b128 v[6:9], v4 offset:384
	ds_read_b128 v[10:13], v4 offset:400
	;; [unrolled: 1-line block ×6, first 2 shown]
	buffer_load_dword v198, off, s[0:3], 0 offset:248
	buffer_load_dword v199, off, s[0:3], 0 offset:252
	v_cmp_lt_u32_e32 vcc, 6, v0
	s_waitcnt vmcnt(49) lgkmcnt(5)
	v_mul_f32_e32 v110, v6, v5
	s_waitcnt vmcnt(48)
	v_mul_f32_e32 v111, v8, v134
	s_waitcnt vmcnt(47) lgkmcnt(4)
	v_mul_f32_e32 v112, v10, v136
	s_waitcnt vmcnt(46)
	v_mul_f32_e32 v113, v12, v144
	;; [unrolled: 4-line block ×6, first 2 shown]
	s_waitcnt vmcnt(37)
	v_fmac_f32_e32 v110, v7, v164
	s_waitcnt vmcnt(36)
	v_fmac_f32_e32 v111, v9, v165
	v_add_f32_e32 v110, 0, v110
	s_waitcnt vmcnt(35)
	v_fmac_f32_e32 v112, v11, v166
	v_add_f32_e32 v110, v110, v111
	;; [unrolled: 3-line block ×9, first 2 shown]
	v_add_f32_e32 v114, v110, v119
	ds_read_b128 v[110:113], v4 offset:480
	s_waitcnt vmcnt(27)
	v_fmac_f32_e32 v120, v107, v174
	v_add_f32_e32 v114, v114, v120
	s_waitcnt vmcnt(26)
	v_fmac_f32_e32 v121, v109, v175
	v_add_f32_e32 v118, v114, v121
	ds_read_b128 v[114:117], v4 offset:496
	s_waitcnt vmcnt(25) lgkmcnt(1)
	v_mul_f32_e32 v119, v110, v176
	s_waitcnt vmcnt(24)
	v_fmac_f32_e32 v119, v111, v177
	v_add_f32_e32 v118, v118, v119
	s_waitcnt vmcnt(23)
	v_mul_f32_e32 v119, v112, v178
	s_waitcnt vmcnt(22)
	v_fmac_f32_e32 v119, v113, v179
	v_add_f32_e32 v118, v118, v119
	s_waitcnt vmcnt(21) lgkmcnt(0)
	v_mul_f32_e32 v119, v114, v180
	s_waitcnt vmcnt(20)
	v_fmac_f32_e32 v119, v115, v181
	v_add_f32_e32 v122, v118, v119
	ds_read_b128 v[118:121], v4 offset:512
	s_waitcnt vmcnt(19)
	v_mul_f32_e32 v123, v116, v182
	s_waitcnt vmcnt(18)
	v_fmac_f32_e32 v123, v117, v183
	v_add_f32_e32 v126, v122, v123
	ds_read_b128 v[122:125], v4 offset:528
	s_waitcnt vmcnt(17) lgkmcnt(1)
	v_mul_f32_e32 v127, v118, v184
	s_waitcnt vmcnt(16)
	v_fmac_f32_e32 v127, v119, v185
	v_add_f32_e32 v126, v126, v127
	s_waitcnt vmcnt(15)
	v_mul_f32_e32 v127, v120, v186
	s_waitcnt vmcnt(14)
	v_fmac_f32_e32 v127, v121, v187
	v_add_f32_e32 v126, v126, v127
	s_waitcnt vmcnt(13) lgkmcnt(0)
	v_mul_f32_e32 v127, v122, v188
	s_waitcnt vmcnt(12)
	v_fmac_f32_e32 v127, v123, v189
	s_waitcnt vmcnt(11)
	v_mul_f32_e32 v131, v124, v190
	v_add_f32_e32 v130, v126, v127
	s_waitcnt vmcnt(10)
	v_fmac_f32_e32 v131, v125, v191
	ds_read_b128 v[126:129], v4 offset:544
	v_add_f32_e32 v135, v130, v131
	ds_read_b128 v[130:133], v4 offset:560
	buffer_load_dword v139, off, s[0:3], 0 offset:276
	buffer_load_dword v138, off, s[0:3], 0 offset:272
	;; [unrolled: 1-line block ×16, first 2 shown]
	v_mul_f32_e32 v5, v7, v5
	v_fma_f32 v5, v6, v164, -v5
	v_mul_f32_e32 v6, v9, v134
	v_add_f32_e32 v5, 0, v5
	v_fma_f32 v6, v8, v165, -v6
	v_add_f32_e32 v5, v5, v6
	v_mul_f32_e32 v6, v11, v136
	v_fma_f32 v6, v10, v166, -v6
	v_add_f32_e32 v5, v5, v6
	v_mul_f32_e32 v6, v13, v144
	;; [unrolled: 3-line block ×18, first 2 shown]
	v_fma_f32 v6, v124, v191, -v6
	v_add_f32_e32 v5, v5, v6
	s_waitcnt vmcnt(23) lgkmcnt(1)
	v_mul_f32_e32 v6, v127, v192
	s_waitcnt vmcnt(22)
	v_fma_f32 v6, v126, v193, -v6
	v_add_f32_e32 v5, v5, v6
	s_waitcnt vmcnt(20)
	v_mul_f32_e32 v6, v129, v195
	v_fma_f32 v6, v128, v194, -v6
	v_add_f32_e32 v134, v5, v6
	ds_read_b128 v[6:9], v4 offset:576
	ds_read_b128 v[10:13], v4 offset:592
	;; [unrolled: 1-line block ×4, first 2 shown]
	v_mul_f32_e32 v137, v126, v192
	v_fmac_f32_e32 v137, v127, v193
	v_add_f32_e32 v135, v135, v137
	v_mul_f32_e32 v137, v128, v195
	v_fmac_f32_e32 v137, v129, v194
	v_add_f32_e32 v135, v135, v137
	s_waitcnt vmcnt(18) lgkmcnt(4)
	v_mul_f32_e32 v137, v130, v197
	v_mul_f32_e32 v5, v131, v197
	v_fmac_f32_e32 v137, v131, v196
	s_waitcnt vmcnt(16)
	v_mul_f32_e32 v145, v132, v199
	s_waitcnt vmcnt(11)
	v_mov_b32_e32 v102, v143
	s_waitcnt lgkmcnt(3)
	v_pk_mul_f32 v[102:103], v[6:7], v[102:103] op_sel_hi:[1,0]
	s_waitcnt vmcnt(10)
	v_pk_fma_f32 v[104:105], v[6:7], v[142:143], v[102:103] op_sel:[0,0,1] op_sel_hi:[1,1,0] neg_lo:[0,0,1] neg_hi:[0,0,1]
	v_pk_fma_f32 v[6:7], v[6:7], v[142:143], v[102:103] op_sel:[0,0,1] op_sel_hi:[1,0,0]
	v_mov_b32_e32 v6, v141
	v_mov_b32_e32 v105, v7
	v_pk_mul_f32 v[6:7], v[8:9], v[6:7] op_sel_hi:[1,0]
	v_pk_fma_f32 v[102:103], v[8:9], v[140:141], v[6:7] op_sel:[0,0,1] op_sel_hi:[1,1,0] neg_lo:[0,0,1] neg_hi:[0,0,1]
	v_pk_fma_f32 v[6:7], v[8:9], v[140:141], v[6:7] op_sel:[0,0,1] op_sel_hi:[1,0,0]
	v_fma_f32 v136, v130, v196, -v5
	v_mul_f32_e32 v5, v133, v199
	v_mov_b32_e32 v6, v139
	v_fmac_f32_e32 v145, v133, v198
	v_fma_f32 v144, v132, v198, -v5
	v_pk_add_f32 v[4:5], v[134:135], v[136:137]
	v_mov_b32_e32 v103, v7
	s_waitcnt lgkmcnt(2)
	v_pk_mul_f32 v[6:7], v[10:11], v[6:7] op_sel_hi:[1,0]
	v_pk_add_f32 v[4:5], v[4:5], v[144:145]
	v_pk_fma_f32 v[8:9], v[10:11], v[138:139], v[6:7] op_sel:[0,0,1] op_sel_hi:[1,1,0] neg_lo:[0,0,1] neg_hi:[0,0,1]
	v_pk_fma_f32 v[6:7], v[10:11], v[138:139], v[6:7] op_sel:[0,0,1] op_sel_hi:[1,0,0]
	v_pk_add_f32 v[4:5], v[4:5], v[104:105]
	s_waitcnt vmcnt(3)
	v_mov_b32_e32 v6, v153
	v_pk_add_f32 v[4:5], v[4:5], v[102:103]
	v_mov_b32_e32 v9, v7
	v_pk_mul_f32 v[6:7], v[12:13], v[6:7] op_sel_hi:[1,0]
	v_pk_add_f32 v[4:5], v[4:5], v[8:9]
	s_waitcnt vmcnt(2)
	v_pk_fma_f32 v[8:9], v[12:13], v[152:153], v[6:7] op_sel:[0,0,1] op_sel_hi:[1,1,0] neg_lo:[0,0,1] neg_hi:[0,0,1]
	v_pk_fma_f32 v[6:7], v[12:13], v[152:153], v[6:7] op_sel:[0,0,1] op_sel_hi:[1,0,0]
	v_mov_b32_e32 v6, v151
	v_mov_b32_e32 v9, v7
	s_waitcnt lgkmcnt(1)
	v_pk_mul_f32 v[6:7], v[14:15], v[6:7] op_sel_hi:[1,0]
	v_pk_add_f32 v[4:5], v[4:5], v[8:9]
	v_pk_fma_f32 v[8:9], v[14:15], v[150:151], v[6:7] op_sel:[0,0,1] op_sel_hi:[1,1,0] neg_lo:[0,0,1] neg_hi:[0,0,1]
	v_pk_fma_f32 v[6:7], v[14:15], v[150:151], v[6:7] op_sel:[0,0,1] op_sel_hi:[1,0,0]
	v_mov_b32_e32 v6, v149
	v_mov_b32_e32 v9, v7
	v_pk_mul_f32 v[6:7], v[16:17], v[6:7] op_sel_hi:[1,0]
	v_pk_add_f32 v[4:5], v[4:5], v[8:9]
	v_pk_fma_f32 v[8:9], v[16:17], v[148:149], v[6:7] op_sel:[0,0,1] op_sel_hi:[1,1,0] neg_lo:[0,0,1] neg_hi:[0,0,1]
	v_pk_fma_f32 v[6:7], v[16:17], v[148:149], v[6:7] op_sel:[0,0,1] op_sel_hi:[1,0,0]
	v_mov_b32_e32 v6, v147
	v_mov_b32_e32 v9, v7
	s_waitcnt lgkmcnt(0)
	v_pk_mul_f32 v[6:7], v[98:99], v[6:7] op_sel_hi:[1,0]
	v_pk_add_f32 v[4:5], v[4:5], v[8:9]
	v_pk_fma_f32 v[8:9], v[98:99], v[146:147], v[6:7] op_sel:[0,0,1] op_sel_hi:[1,1,0] neg_lo:[0,0,1] neg_hi:[0,0,1]
	v_pk_fma_f32 v[6:7], v[98:99], v[146:147], v[6:7] op_sel:[0,0,1] op_sel_hi:[1,0,0]
	s_waitcnt vmcnt(1)
	v_mov_b32_e32 v6, v155
	v_mov_b32_e32 v9, v7
	v_pk_mul_f32 v[6:7], v[100:101], v[6:7] op_sel_hi:[1,0]
	v_pk_add_f32 v[4:5], v[4:5], v[8:9]
	s_waitcnt vmcnt(0)
	v_pk_fma_f32 v[8:9], v[100:101], v[154:155], v[6:7] op_sel:[0,0,1] op_sel_hi:[1,1,0] neg_lo:[0,0,1] neg_hi:[0,0,1]
	v_pk_fma_f32 v[6:7], v[100:101], v[154:155], v[6:7] op_sel:[0,0,1] op_sel_hi:[1,0,0]
	v_mov_b32_e32 v9, v7
	v_pk_add_f32 v[4:5], v[4:5], v[8:9]
	v_pk_add_f32 v[2:3], v[2:3], v[4:5] neg_lo:[0,1] neg_hi:[0,1]
	buffer_store_dword v3, off, s[0:3], 0 offset:60
	buffer_store_dword v2, off, s[0:3], 0 offset:56
	s_and_saveexec_b64 s[4:5], vcc
	s_cbranch_execz .LBB39_241
; %bb.240:
	buffer_load_dword v2, off, s[0:3], 0 offset:48
	buffer_load_dword v3, off, s[0:3], 0 offset:52
	v_mov_b32_e32 v4, 0
	buffer_store_dword v4, off, s[0:3], 0 offset:48
	buffer_store_dword v4, off, s[0:3], 0 offset:52
	s_waitcnt vmcnt(2)
	ds_write_b64 v1, v[2:3]
.LBB39_241:
	s_or_b64 exec, exec, s[4:5]
	s_waitcnt lgkmcnt(0)
	; wave barrier
	s_waitcnt lgkmcnt(0)
	buffer_load_dword v5, off, s[0:3], 0 offset:60
	buffer_load_dword v142, off, s[0:3], 0 offset:68
	;; [unrolled: 1-line block ×52, first 2 shown]
	v_mov_b32_e32 v4, 0
	ds_read2_b64 v[6:9], v4 offset0:47 offset1:48
	ds_read2_b64 v[10:13], v4 offset0:49 offset1:50
	;; [unrolled: 1-line block ×6, first 2 shown]
	v_cmp_lt_u32_e32 vcc, 5, v0
	s_waitcnt vmcnt(51) lgkmcnt(5)
	v_mul_f32_e32 v110, v6, v5
	s_waitcnt vmcnt(50)
	v_mul_f32_e32 v111, v8, v142
	s_waitcnt vmcnt(49) lgkmcnt(4)
	v_mul_f32_e32 v112, v10, v148
	s_waitcnt vmcnt(48)
	v_mul_f32_e32 v113, v12, v150
	s_waitcnt vmcnt(47) lgkmcnt(3)
	v_mul_f32_e32 v114, v14, v164
	s_waitcnt vmcnt(46)
	v_mul_f32_e32 v115, v16, v165
	s_waitcnt vmcnt(45) lgkmcnt(2)
	v_mul_f32_e32 v116, v98, v166
	s_waitcnt vmcnt(44)
	v_mul_f32_e32 v117, v100, v167
	s_waitcnt vmcnt(43) lgkmcnt(1)
	v_mul_f32_e32 v118, v102, v168
	s_waitcnt vmcnt(42)
	v_mul_f32_e32 v119, v104, v169
	s_waitcnt vmcnt(41) lgkmcnt(0)
	v_mul_f32_e32 v120, v106, v170
	s_waitcnt vmcnt(40)
	v_fmac_f32_e32 v110, v7, v171
	s_waitcnt vmcnt(39)
	v_fmac_f32_e32 v111, v9, v172
	v_add_f32_e32 v110, 0, v110
	s_waitcnt vmcnt(38)
	v_fmac_f32_e32 v112, v11, v173
	v_add_f32_e32 v110, v110, v111
	;; [unrolled: 3-line block ×9, first 2 shown]
	v_add_f32_e32 v110, v110, v119
	s_waitcnt vmcnt(30)
	v_fmac_f32_e32 v120, v107, v181
	v_add_f32_e32 v114, v110, v120
	ds_read2_b64 v[110:113], v4 offset0:59 offset1:60
	s_waitcnt vmcnt(29)
	v_mul_f32_e32 v115, v108, v182
	s_waitcnt vmcnt(28)
	v_fmac_f32_e32 v115, v109, v183
	v_add_f32_e32 v118, v114, v115
	ds_read2_b64 v[114:117], v4 offset0:61 offset1:62
	s_waitcnt vmcnt(27) lgkmcnt(1)
	v_mul_f32_e32 v119, v110, v184
	s_waitcnt vmcnt(26)
	v_fmac_f32_e32 v119, v111, v185
	v_add_f32_e32 v118, v118, v119
	s_waitcnt vmcnt(25)
	v_mul_f32_e32 v119, v112, v186
	s_waitcnt vmcnt(24)
	v_fmac_f32_e32 v119, v113, v187
	v_add_f32_e32 v118, v118, v119
	s_waitcnt vmcnt(23) lgkmcnt(0)
	v_mul_f32_e32 v119, v114, v188
	s_waitcnt vmcnt(22)
	v_fmac_f32_e32 v119, v115, v189
	v_add_f32_e32 v122, v118, v119
	ds_read2_b64 v[118:121], v4 offset0:63 offset1:64
	s_waitcnt vmcnt(21)
	v_mul_f32_e32 v123, v116, v190
	s_waitcnt vmcnt(20)
	v_fmac_f32_e32 v123, v117, v191
	v_add_f32_e32 v126, v122, v123
	ds_read2_b64 v[122:125], v4 offset0:65 offset1:66
	s_waitcnt vmcnt(19) lgkmcnt(1)
	v_mul_f32_e32 v127, v118, v192
	s_waitcnt vmcnt(18)
	v_fmac_f32_e32 v127, v119, v193
	v_add_f32_e32 v126, v126, v127
	s_waitcnt vmcnt(17)
	v_mul_f32_e32 v127, v120, v194
	s_waitcnt vmcnt(16)
	v_fmac_f32_e32 v127, v121, v195
	v_add_f32_e32 v126, v126, v127
	s_waitcnt vmcnt(14) lgkmcnt(0)
	v_mul_f32_e32 v127, v122, v197
	v_fmac_f32_e32 v127, v123, v196
	v_add_f32_e32 v130, v126, v127
	ds_read2_b64 v[126:129], v4 offset0:67 offset1:68
	s_waitcnt vmcnt(10)
	v_mul_f32_e32 v131, v124, v199
	v_fmac_f32_e32 v131, v125, v198
	v_add_f32_e32 v134, v130, v131
	ds_read2_b64 v[130:133], v4 offset0:69 offset1:70
	s_waitcnt vmcnt(8) lgkmcnt(1)
	v_mul_f32_e32 v135, v126, v201
	v_fmac_f32_e32 v135, v127, v200
	v_add_f32_e32 v134, v134, v135
	s_waitcnt vmcnt(6)
	v_mul_f32_e32 v135, v128, v203
	v_fmac_f32_e32 v135, v129, v202
	v_add_f32_e32 v134, v134, v135
	s_waitcnt vmcnt(4) lgkmcnt(0)
	v_mul_f32_e32 v135, v130, v205
	v_fmac_f32_e32 v135, v131, v204
	v_add_f32_e32 v143, v134, v135
	ds_read2_b64 v[134:137], v4 offset0:71 offset1:72
	buffer_load_dword v145, off, s[0:3], 0 offset:268
	buffer_load_dword v144, off, s[0:3], 0 offset:264
	;; [unrolled: 1-line block ×4, first 2 shown]
	ds_read2_b64 v[138:141], v4 offset0:73 offset1:74
	buffer_load_dword v153, off, s[0:3], 0 offset:300
	buffer_load_dword v152, off, s[0:3], 0 offset:296
	;; [unrolled: 1-line block ×12, first 2 shown]
	v_mul_f32_e32 v5, v7, v5
	v_fma_f32 v5, v6, v171, -v5
	v_mul_f32_e32 v6, v9, v142
	v_add_f32_e32 v5, 0, v5
	v_fma_f32 v6, v8, v172, -v6
	v_add_f32_e32 v5, v5, v6
	v_mul_f32_e32 v6, v11, v148
	v_fma_f32 v6, v10, v173, -v6
	v_add_f32_e32 v5, v5, v6
	v_mul_f32_e32 v6, v13, v150
	;; [unrolled: 3-line block ×21, first 2 shown]
	v_fma_f32 v6, v130, v204, -v6
	s_waitcnt vmcnt(18)
	v_mul_f32_e32 v149, v132, v207
	v_add_f32_e32 v142, v5, v6
	v_mul_f32_e32 v5, v133, v207
	v_fmac_f32_e32 v149, v133, v206
	s_waitcnt vmcnt(16) lgkmcnt(1)
	v_mul_f32_e32 v151, v134, v209
	v_fma_f32 v148, v132, v206, -v5
	v_mul_f32_e32 v5, v135, v209
	v_fmac_f32_e32 v151, v135, v208
	s_waitcnt vmcnt(13)
	v_mov_b32_e32 v98, v147
	v_pk_mul_f32 v[98:99], v[136:137], v[98:99] op_sel_hi:[1,0]
	s_waitcnt vmcnt(12)
	v_pk_fma_f32 v[100:101], v[136:137], v[146:147], v[98:99] op_sel:[0,0,1] op_sel_hi:[1,1,0] neg_lo:[0,0,1] neg_hi:[0,0,1]
	v_pk_fma_f32 v[98:99], v[136:137], v[146:147], v[98:99] op_sel:[0,0,1] op_sel_hi:[1,0,0]
	v_fma_f32 v150, v134, v208, -v5
	v_pk_add_f32 v[16:17], v[142:143], v[148:149]
	v_mov_b32_e32 v98, v145
	v_pk_add_f32 v[16:17], v[16:17], v[150:151]
	v_mov_b32_e32 v101, v99
	s_waitcnt lgkmcnt(0)
	v_pk_mul_f32 v[98:99], v[138:139], v[98:99] op_sel_hi:[1,0]
	v_pk_add_f32 v[16:17], v[16:17], v[100:101]
	v_pk_fma_f32 v[100:101], v[138:139], v[144:145], v[98:99] op_sel:[0,0,1] op_sel_hi:[1,1,0] neg_lo:[0,0,1] neg_hi:[0,0,1]
	v_pk_fma_f32 v[98:99], v[138:139], v[144:145], v[98:99] op_sel:[0,0,1] op_sel_hi:[1,0,0]
	s_waitcnt vmcnt(5)
	v_mov_b32_e32 v98, v159
	ds_read2_b64 v[6:9], v4 offset0:75 offset1:76
	ds_read2_b64 v[10:13], v4 offset0:77 offset1:78
	ds_read_b64 v[14:15], v4 offset:632
	v_mov_b32_e32 v101, v99
	v_pk_mul_f32 v[98:99], v[140:141], v[98:99] op_sel_hi:[1,0]
	v_pk_add_f32 v[16:17], v[16:17], v[100:101]
	s_waitcnt vmcnt(4)
	v_pk_fma_f32 v[100:101], v[140:141], v[158:159], v[98:99] op_sel:[0,0,1] op_sel_hi:[1,1,0] neg_lo:[0,0,1] neg_hi:[0,0,1]
	v_pk_fma_f32 v[98:99], v[140:141], v[158:159], v[98:99] op_sel:[0,0,1] op_sel_hi:[1,0,0]
	v_mov_b32_e32 v98, v157
	v_mov_b32_e32 v101, v99
	s_waitcnt lgkmcnt(2)
	v_pk_mul_f32 v[98:99], v[6:7], v[98:99] op_sel_hi:[1,0]
	v_pk_add_f32 v[16:17], v[16:17], v[100:101]
	v_pk_fma_f32 v[100:101], v[6:7], v[156:157], v[98:99] op_sel:[0,0,1] op_sel_hi:[1,1,0] neg_lo:[0,0,1] neg_hi:[0,0,1]
	v_pk_fma_f32 v[6:7], v[6:7], v[156:157], v[98:99] op_sel:[0,0,1] op_sel_hi:[1,0,0]
	v_mov_b32_e32 v101, v7
	v_pk_add_f32 v[6:7], v[16:17], v[100:101]
	v_mov_b32_e32 v16, v155
	v_pk_mul_f32 v[16:17], v[8:9], v[16:17] op_sel_hi:[1,0]
	v_pk_fma_f32 v[98:99], v[8:9], v[154:155], v[16:17] op_sel:[0,0,1] op_sel_hi:[1,1,0] neg_lo:[0,0,1] neg_hi:[0,0,1]
	v_pk_fma_f32 v[8:9], v[8:9], v[154:155], v[16:17] op_sel:[0,0,1] op_sel_hi:[1,0,0]
	v_mov_b32_e32 v8, v153
	v_mov_b32_e32 v99, v9
	s_waitcnt lgkmcnt(1)
	v_pk_mul_f32 v[8:9], v[10:11], v[8:9] op_sel_hi:[1,0]
	v_pk_fma_f32 v[16:17], v[10:11], v[152:153], v[8:9] op_sel:[0,0,1] op_sel_hi:[1,1,0] neg_lo:[0,0,1] neg_hi:[0,0,1]
	v_pk_fma_f32 v[8:9], v[10:11], v[152:153], v[8:9] op_sel:[0,0,1] op_sel_hi:[1,0,0]
	s_waitcnt vmcnt(1)
	v_mov_b32_e32 v8, v163
	v_mov_b32_e32 v17, v9
	v_pk_mul_f32 v[8:9], v[12:13], v[8:9] op_sel_hi:[1,0]
	s_waitcnt vmcnt(0)
	v_pk_fma_f32 v[10:11], v[12:13], v[162:163], v[8:9] op_sel:[0,0,1] op_sel_hi:[1,1,0] neg_lo:[0,0,1] neg_hi:[0,0,1]
	v_pk_fma_f32 v[8:9], v[12:13], v[162:163], v[8:9] op_sel:[0,0,1] op_sel_hi:[1,0,0]
	v_pk_add_f32 v[6:7], v[6:7], v[98:99]
	v_mov_b32_e32 v8, v161
	v_pk_add_f32 v[6:7], v[6:7], v[16:17]
	v_mov_b32_e32 v11, v9
	s_waitcnt lgkmcnt(0)
	v_pk_mul_f32 v[8:9], v[14:15], v[8:9] op_sel_hi:[1,0]
	v_pk_add_f32 v[6:7], v[6:7], v[10:11]
	v_pk_fma_f32 v[10:11], v[14:15], v[160:161], v[8:9] op_sel:[0,0,1] op_sel_hi:[1,1,0] neg_lo:[0,0,1] neg_hi:[0,0,1]
	v_pk_fma_f32 v[8:9], v[14:15], v[160:161], v[8:9] op_sel:[0,0,1] op_sel_hi:[1,0,0]
	v_mov_b32_e32 v11, v9
	v_pk_add_f32 v[6:7], v[6:7], v[10:11]
	v_pk_add_f32 v[2:3], v[2:3], v[6:7] neg_lo:[0,1] neg_hi:[0,1]
	buffer_store_dword v3, off, s[0:3], 0 offset:52
	buffer_store_dword v2, off, s[0:3], 0 offset:48
	s_and_saveexec_b64 s[4:5], vcc
	s_cbranch_execz .LBB39_243
; %bb.242:
	buffer_load_dword v2, off, s[0:3], 0 offset:40
	buffer_load_dword v3, off, s[0:3], 0 offset:44
	s_waitcnt vmcnt(0)
	ds_write_b64 v1, v[2:3]
	buffer_store_dword v4, off, s[0:3], 0 offset:40
	buffer_store_dword v4, off, s[0:3], 0 offset:44
.LBB39_243:
	s_or_b64 exec, exec, s[4:5]
	s_waitcnt lgkmcnt(0)
	; wave barrier
	s_waitcnt lgkmcnt(0)
	buffer_load_dword v5, off, s[0:3], 0 offset:52
	buffer_load_dword v144, off, s[0:3], 0 offset:60
	;; [unrolled: 1-line block ×42, first 2 shown]
	ds_read_b128 v[6:9], v4 offset:368
	ds_read_b128 v[10:13], v4 offset:384
	buffer_load_dword v200, off, s[0:3], 0 offset:208
	buffer_load_dword v201, off, s[0:3], 0 offset:212
	ds_read_b128 v[14:17], v4 offset:400
	ds_read_b128 v[98:101], v4 offset:416
	buffer_load_dword v202, off, s[0:3], 0 offset:216
	buffer_load_dword v203, off, s[0:3], 0 offset:220
	;; [unrolled: 1-line block ×4, first 2 shown]
	ds_read_b128 v[102:105], v4 offset:432
	ds_read_b128 v[106:109], v4 offset:448
	buffer_load_dword v206, off, s[0:3], 0 offset:232
	buffer_load_dword v207, off, s[0:3], 0 offset:236
	;; [unrolled: 1-line block ×6, first 2 shown]
	v_cmp_lt_u32_e32 vcc, 4, v0
	s_waitcnt vmcnt(53) lgkmcnt(5)
	v_mul_f32_e32 v110, v6, v5
	s_waitcnt vmcnt(52)
	v_mul_f32_e32 v111, v8, v144
	s_waitcnt vmcnt(51) lgkmcnt(4)
	v_mul_f32_e32 v112, v10, v146
	s_waitcnt vmcnt(50)
	v_mul_f32_e32 v113, v12, v148
	s_waitcnt vmcnt(49) lgkmcnt(3)
	v_mul_f32_e32 v114, v14, v164
	s_waitcnt vmcnt(48)
	v_mul_f32_e32 v115, v16, v165
	s_waitcnt vmcnt(47) lgkmcnt(2)
	v_mul_f32_e32 v116, v98, v166
	s_waitcnt vmcnt(46)
	v_mul_f32_e32 v117, v100, v167
	s_waitcnt vmcnt(45) lgkmcnt(1)
	v_mul_f32_e32 v118, v102, v168
	s_waitcnt vmcnt(44)
	v_mul_f32_e32 v119, v104, v169
	s_waitcnt vmcnt(43)
	v_fmac_f32_e32 v110, v7, v170
	s_waitcnt vmcnt(42)
	v_fmac_f32_e32 v111, v9, v171
	v_add_f32_e32 v110, 0, v110
	s_waitcnt vmcnt(41)
	v_fmac_f32_e32 v112, v11, v172
	v_add_f32_e32 v110, v110, v111
	;; [unrolled: 3-line block ×9, first 2 shown]
	s_waitcnt vmcnt(33) lgkmcnt(0)
	v_mul_f32_e32 v111, v106, v180
	v_add_f32_e32 v110, v110, v119
	s_waitcnt vmcnt(32)
	v_fmac_f32_e32 v111, v107, v181
	v_add_f32_e32 v114, v110, v111
	ds_read_b128 v[110:113], v4 offset:464
	s_waitcnt vmcnt(31)
	v_mul_f32_e32 v115, v108, v182
	s_waitcnt vmcnt(30)
	v_fmac_f32_e32 v115, v109, v183
	v_add_f32_e32 v118, v114, v115
	ds_read_b128 v[114:117], v4 offset:480
	s_waitcnt vmcnt(29) lgkmcnt(1)
	v_mul_f32_e32 v119, v110, v184
	s_waitcnt vmcnt(28)
	v_fmac_f32_e32 v119, v111, v185
	v_add_f32_e32 v118, v118, v119
	s_waitcnt vmcnt(27)
	v_mul_f32_e32 v119, v112, v186
	s_waitcnt vmcnt(26)
	v_fmac_f32_e32 v119, v113, v187
	v_add_f32_e32 v118, v118, v119
	s_waitcnt vmcnt(25) lgkmcnt(0)
	v_mul_f32_e32 v119, v114, v188
	s_waitcnt vmcnt(24)
	v_fmac_f32_e32 v119, v115, v189
	v_add_f32_e32 v122, v118, v119
	ds_read_b128 v[118:121], v4 offset:496
	s_waitcnt vmcnt(23)
	v_mul_f32_e32 v123, v116, v190
	s_waitcnt vmcnt(22)
	v_fmac_f32_e32 v123, v117, v191
	v_add_f32_e32 v126, v122, v123
	ds_read_b128 v[122:125], v4 offset:512
	s_waitcnt vmcnt(21) lgkmcnt(1)
	v_mul_f32_e32 v127, v118, v192
	s_waitcnt vmcnt(20)
	v_fmac_f32_e32 v127, v119, v193
	v_add_f32_e32 v126, v126, v127
	s_waitcnt vmcnt(18)
	v_mul_f32_e32 v127, v120, v195
	v_fmac_f32_e32 v127, v121, v194
	v_add_f32_e32 v126, v126, v127
	s_waitcnt vmcnt(15) lgkmcnt(0)
	v_mul_f32_e32 v127, v122, v196
	s_waitcnt vmcnt(14)
	v_fmac_f32_e32 v127, v123, v197
	v_add_f32_e32 v130, v126, v127
	ds_read_b128 v[126:129], v4 offset:528
	s_waitcnt vmcnt(12)
	v_mul_f32_e32 v131, v124, v199
	v_fmac_f32_e32 v131, v125, v198
	v_add_f32_e32 v134, v130, v131
	ds_read_b128 v[130:133], v4 offset:544
	buffer_load_dword v143, off, s[0:3], 0 offset:260
	buffer_load_dword v142, off, s[0:3], 0 offset:256
	s_waitcnt vmcnt(12) lgkmcnt(1)
	v_mul_f32_e32 v135, v126, v201
	v_fmac_f32_e32 v135, v127, v200
	v_add_f32_e32 v134, v134, v135
	s_waitcnt vmcnt(10)
	v_mul_f32_e32 v135, v128, v203
	v_fmac_f32_e32 v135, v129, v202
	v_add_f32_e32 v134, v134, v135
	s_waitcnt vmcnt(8) lgkmcnt(0)
	v_mul_f32_e32 v135, v130, v205
	v_fmac_f32_e32 v135, v131, v204
	s_waitcnt vmcnt(6)
	v_mul_f32_e32 v139, v132, v207
	v_add_f32_e32 v138, v134, v135
	v_fmac_f32_e32 v139, v133, v206
	ds_read_b128 v[134:137], v4 offset:560
	v_add_f32_e32 v145, v138, v139
	ds_read_b128 v[138:141], v4 offset:576
	buffer_load_dword v151, off, s[0:3], 0 offset:292
	buffer_load_dword v150, off, s[0:3], 0 offset:288
	;; [unrolled: 1-line block ×14, first 2 shown]
	v_mul_f32_e32 v5, v7, v5
	v_fma_f32 v5, v6, v170, -v5
	v_mul_f32_e32 v6, v9, v144
	v_add_f32_e32 v5, 0, v5
	v_fma_f32 v6, v8, v171, -v6
	v_add_f32_e32 v5, v5, v6
	v_mul_f32_e32 v6, v11, v146
	v_fma_f32 v6, v10, v172, -v6
	v_add_f32_e32 v5, v5, v6
	v_mul_f32_e32 v6, v13, v148
	;; [unrolled: 3-line block ×22, first 2 shown]
	v_fma_f32 v6, v132, v206, -v6
	s_waitcnt vmcnt(15)
	v_mov_b32_e32 v98, v143
	s_waitcnt lgkmcnt(1)
	v_mul_f32_e32 v147, v134, v209
	v_add_f32_e32 v144, v5, v6
	v_mul_f32_e32 v5, v135, v209
	s_waitcnt lgkmcnt(0)
	v_pk_mul_f32 v[98:99], v[138:139], v[98:99] op_sel_hi:[1,0]
	v_fmac_f32_e32 v147, v135, v208
	v_mul_f32_e32 v149, v136, v211
	v_fma_f32 v146, v134, v208, -v5
	v_mul_f32_e32 v5, v137, v211
	s_waitcnt vmcnt(14)
	v_pk_fma_f32 v[100:101], v[138:139], v[142:143], v[98:99] op_sel:[0,0,1] op_sel_hi:[1,1,0] neg_lo:[0,0,1] neg_hi:[0,0,1]
	v_pk_fma_f32 v[98:99], v[138:139], v[142:143], v[98:99] op_sel:[0,0,1] op_sel_hi:[1,0,0]
	v_fmac_f32_e32 v149, v137, v210
	v_fma_f32 v148, v136, v210, -v5
	ds_read_b128 v[6:9], v4 offset:592
	ds_read_b128 v[10:13], v4 offset:608
	;; [unrolled: 1-line block ×3, first 2 shown]
	v_pk_add_f32 v[4:5], v[144:145], v[146:147]
	s_waitcnt vmcnt(7)
	v_mov_b32_e32 v98, v157
	v_pk_add_f32 v[4:5], v[4:5], v[148:149]
	v_mov_b32_e32 v101, v99
	v_pk_mul_f32 v[98:99], v[140:141], v[98:99] op_sel_hi:[1,0]
	v_pk_add_f32 v[4:5], v[4:5], v[100:101]
	s_waitcnt vmcnt(6)
	v_pk_fma_f32 v[100:101], v[140:141], v[156:157], v[98:99] op_sel:[0,0,1] op_sel_hi:[1,1,0] neg_lo:[0,0,1] neg_hi:[0,0,1]
	v_pk_fma_f32 v[98:99], v[140:141], v[156:157], v[98:99] op_sel:[0,0,1] op_sel_hi:[1,0,0]
	v_mov_b32_e32 v98, v155
	v_mov_b32_e32 v101, v99
	s_waitcnt lgkmcnt(2)
	v_pk_mul_f32 v[98:99], v[6:7], v[98:99] op_sel_hi:[1,0]
	v_pk_add_f32 v[4:5], v[4:5], v[100:101]
	v_pk_fma_f32 v[100:101], v[6:7], v[154:155], v[98:99] op_sel:[0,0,1] op_sel_hi:[1,1,0] neg_lo:[0,0,1] neg_hi:[0,0,1]
	v_pk_fma_f32 v[6:7], v[6:7], v[154:155], v[98:99] op_sel:[0,0,1] op_sel_hi:[1,0,0]
	v_mov_b32_e32 v6, v153
	v_mov_b32_e32 v101, v7
	v_pk_mul_f32 v[6:7], v[8:9], v[6:7] op_sel_hi:[1,0]
	v_pk_fma_f32 v[98:99], v[8:9], v[152:153], v[6:7] op_sel:[0,0,1] op_sel_hi:[1,1,0] neg_lo:[0,0,1] neg_hi:[0,0,1]
	v_pk_fma_f32 v[6:7], v[8:9], v[152:153], v[6:7] op_sel:[0,0,1] op_sel_hi:[1,0,0]
	v_mov_b32_e32 v6, v151
	v_mov_b32_e32 v99, v7
	s_waitcnt lgkmcnt(1)
	v_pk_mul_f32 v[6:7], v[10:11], v[6:7] op_sel_hi:[1,0]
	v_pk_fma_f32 v[8:9], v[10:11], v[150:151], v[6:7] op_sel:[0,0,1] op_sel_hi:[1,1,0] neg_lo:[0,0,1] neg_hi:[0,0,1]
	v_pk_fma_f32 v[6:7], v[10:11], v[150:151], v[6:7] op_sel:[0,0,1] op_sel_hi:[1,0,0]
	v_pk_add_f32 v[4:5], v[4:5], v[100:101]
	s_waitcnt vmcnt(1)
	v_mov_b32_e32 v6, v163
	v_pk_add_f32 v[4:5], v[4:5], v[98:99]
	v_mov_b32_e32 v9, v7
	v_pk_mul_f32 v[6:7], v[12:13], v[6:7] op_sel_hi:[1,0]
	v_pk_add_f32 v[4:5], v[4:5], v[8:9]
	s_waitcnt vmcnt(0)
	v_pk_fma_f32 v[8:9], v[12:13], v[162:163], v[6:7] op_sel:[0,0,1] op_sel_hi:[1,1,0] neg_lo:[0,0,1] neg_hi:[0,0,1]
	v_pk_fma_f32 v[6:7], v[12:13], v[162:163], v[6:7] op_sel:[0,0,1] op_sel_hi:[1,0,0]
	v_mov_b32_e32 v6, v161
	v_mov_b32_e32 v9, v7
	s_waitcnt lgkmcnt(0)
	v_pk_mul_f32 v[6:7], v[14:15], v[6:7] op_sel_hi:[1,0]
	v_pk_add_f32 v[4:5], v[4:5], v[8:9]
	v_pk_fma_f32 v[8:9], v[14:15], v[160:161], v[6:7] op_sel:[0,0,1] op_sel_hi:[1,1,0] neg_lo:[0,0,1] neg_hi:[0,0,1]
	v_pk_fma_f32 v[6:7], v[14:15], v[160:161], v[6:7] op_sel:[0,0,1] op_sel_hi:[1,0,0]
	v_mov_b32_e32 v6, v159
	v_mov_b32_e32 v9, v7
	v_pk_mul_f32 v[6:7], v[16:17], v[6:7] op_sel_hi:[1,0]
	v_pk_add_f32 v[4:5], v[4:5], v[8:9]
	v_pk_fma_f32 v[8:9], v[16:17], v[158:159], v[6:7] op_sel:[0,0,1] op_sel_hi:[1,1,0] neg_lo:[0,0,1] neg_hi:[0,0,1]
	v_pk_fma_f32 v[6:7], v[16:17], v[158:159], v[6:7] op_sel:[0,0,1] op_sel_hi:[1,0,0]
	v_mov_b32_e32 v9, v7
	v_pk_add_f32 v[4:5], v[4:5], v[8:9]
	v_pk_add_f32 v[2:3], v[2:3], v[4:5] neg_lo:[0,1] neg_hi:[0,1]
	buffer_store_dword v3, off, s[0:3], 0 offset:44
	buffer_store_dword v2, off, s[0:3], 0 offset:40
	s_and_saveexec_b64 s[4:5], vcc
	s_cbranch_execz .LBB39_245
; %bb.244:
	buffer_load_dword v2, off, s[0:3], 0 offset:32
	buffer_load_dword v3, off, s[0:3], 0 offset:36
	v_mov_b32_e32 v4, 0
	buffer_store_dword v4, off, s[0:3], 0 offset:32
	buffer_store_dword v4, off, s[0:3], 0 offset:36
	s_waitcnt vmcnt(2)
	ds_write_b64 v1, v[2:3]
.LBB39_245:
	s_or_b64 exec, exec, s[4:5]
	s_waitcnt lgkmcnt(0)
	; wave barrier
	s_waitcnt lgkmcnt(0)
	buffer_load_dword v5, off, s[0:3], 0 offset:44
	buffer_load_dword v142, off, s[0:3], 0 offset:52
	;; [unrolled: 1-line block ×56, first 2 shown]
	v_mov_b32_e32 v4, 0
	ds_read2_b64 v[6:9], v4 offset0:45 offset1:46
	ds_read2_b64 v[10:13], v4 offset0:47 offset1:48
	;; [unrolled: 1-line block ×6, first 2 shown]
	v_cmp_lt_u32_e32 vcc, 3, v0
	s_waitcnt vmcnt(55) lgkmcnt(5)
	v_mul_f32_e32 v110, v6, v5
	s_waitcnt vmcnt(54)
	v_mul_f32_e32 v111, v8, v142
	s_waitcnt vmcnt(53) lgkmcnt(4)
	v_mul_f32_e32 v112, v10, v144
	s_waitcnt vmcnt(52)
	v_mul_f32_e32 v113, v12, v146
	s_waitcnt vmcnt(51) lgkmcnt(3)
	v_mul_f32_e32 v114, v14, v164
	s_waitcnt vmcnt(50)
	v_mul_f32_e32 v115, v16, v165
	s_waitcnt vmcnt(49) lgkmcnt(2)
	v_mul_f32_e32 v116, v98, v166
	s_waitcnt vmcnt(48)
	v_mul_f32_e32 v117, v100, v167
	s_waitcnt vmcnt(47) lgkmcnt(1)
	v_mul_f32_e32 v118, v102, v168
	s_waitcnt vmcnt(46)
	v_fmac_f32_e32 v110, v7, v169
	s_waitcnt vmcnt(45)
	v_fmac_f32_e32 v111, v9, v170
	v_add_f32_e32 v110, 0, v110
	s_waitcnt vmcnt(44)
	v_fmac_f32_e32 v112, v11, v171
	v_add_f32_e32 v110, v110, v111
	;; [unrolled: 3-line block ×7, first 2 shown]
	v_add_f32_e32 v110, v110, v117
	s_waitcnt vmcnt(38)
	v_fmac_f32_e32 v118, v103, v177
	s_waitcnt vmcnt(37)
	v_mul_f32_e32 v111, v104, v178
	v_add_f32_e32 v110, v110, v118
	s_waitcnt vmcnt(36)
	v_fmac_f32_e32 v111, v105, v179
	v_add_f32_e32 v110, v110, v111
	s_waitcnt vmcnt(35) lgkmcnt(0)
	v_mul_f32_e32 v111, v106, v180
	s_waitcnt vmcnt(34)
	v_fmac_f32_e32 v111, v107, v181
	v_add_f32_e32 v114, v110, v111
	ds_read2_b64 v[110:113], v4 offset0:57 offset1:58
	s_waitcnt vmcnt(33)
	v_mul_f32_e32 v115, v108, v182
	s_waitcnt vmcnt(32)
	v_fmac_f32_e32 v115, v109, v183
	v_add_f32_e32 v118, v114, v115
	ds_read2_b64 v[114:117], v4 offset0:59 offset1:60
	s_waitcnt vmcnt(31) lgkmcnt(1)
	v_mul_f32_e32 v119, v110, v184
	s_waitcnt vmcnt(30)
	v_fmac_f32_e32 v119, v111, v185
	v_add_f32_e32 v118, v118, v119
	s_waitcnt vmcnt(29)
	v_mul_f32_e32 v119, v112, v186
	s_waitcnt vmcnt(28)
	v_fmac_f32_e32 v119, v113, v187
	v_add_f32_e32 v118, v118, v119
	s_waitcnt vmcnt(27) lgkmcnt(0)
	v_mul_f32_e32 v119, v114, v188
	s_waitcnt vmcnt(26)
	v_fmac_f32_e32 v119, v115, v189
	v_add_f32_e32 v122, v118, v119
	ds_read2_b64 v[118:121], v4 offset0:61 offset1:62
	s_waitcnt vmcnt(24)
	v_mul_f32_e32 v123, v116, v191
	v_fmac_f32_e32 v123, v117, v190
	v_add_f32_e32 v126, v122, v123
	ds_read2_b64 v[122:125], v4 offset0:63 offset1:64
	s_waitcnt vmcnt(20) lgkmcnt(1)
	v_mul_f32_e32 v127, v118, v193
	v_fmac_f32_e32 v127, v119, v192
	v_add_f32_e32 v126, v126, v127
	s_waitcnt vmcnt(18)
	v_mul_f32_e32 v127, v120, v195
	v_fmac_f32_e32 v127, v121, v194
	v_add_f32_e32 v126, v126, v127
	s_waitcnt vmcnt(16) lgkmcnt(0)
	v_mul_f32_e32 v127, v122, v197
	v_fmac_f32_e32 v127, v123, v196
	v_add_f32_e32 v130, v126, v127
	ds_read2_b64 v[126:129], v4 offset0:65 offset1:66
	s_waitcnt vmcnt(14)
	v_mul_f32_e32 v131, v124, v199
	v_fmac_f32_e32 v131, v125, v198
	v_add_f32_e32 v134, v130, v131
	ds_read2_b64 v[130:133], v4 offset0:67 offset1:68
	s_waitcnt vmcnt(12) lgkmcnt(1)
	v_mul_f32_e32 v135, v126, v201
	v_fmac_f32_e32 v135, v127, v200
	v_add_f32_e32 v134, v134, v135
	s_waitcnt vmcnt(10)
	v_mul_f32_e32 v135, v128, v203
	v_fmac_f32_e32 v135, v129, v202
	v_add_f32_e32 v134, v134, v135
	s_waitcnt vmcnt(8) lgkmcnt(0)
	v_mul_f32_e32 v135, v130, v205
	v_fmac_f32_e32 v135, v131, v204
	s_waitcnt vmcnt(6)
	v_mul_f32_e32 v139, v132, v207
	v_add_f32_e32 v138, v134, v135
	v_fmac_f32_e32 v139, v133, v206
	ds_read2_b64 v[134:137], v4 offset0:69 offset1:70
	v_add_f32_e32 v143, v138, v139
	ds_read2_b64 v[138:141], v4 offset0:71 offset1:72
	buffer_load_dword v149, off, s[0:3], 0 offset:284
	buffer_load_dword v148, off, s[0:3], 0 offset:280
	;; [unrolled: 1-line block ×16, first 2 shown]
	v_mul_f32_e32 v5, v7, v5
	v_fma_f32 v5, v6, v169, -v5
	v_mul_f32_e32 v6, v9, v142
	v_add_f32_e32 v5, 0, v5
	v_fma_f32 v6, v8, v170, -v6
	v_add_f32_e32 v5, v5, v6
	v_mul_f32_e32 v6, v11, v144
	v_fma_f32 v6, v10, v171, -v6
	v_add_f32_e32 v5, v5, v6
	v_mul_f32_e32 v6, v13, v146
	;; [unrolled: 3-line block ×22, first 2 shown]
	v_fma_f32 v6, v132, v206, -v6
	s_waitcnt vmcnt(20) lgkmcnt(1)
	v_mul_f32_e32 v145, v134, v209
	v_add_f32_e32 v5, v5, v6
	v_mul_f32_e32 v6, v135, v209
	v_fmac_f32_e32 v145, v135, v208
	v_fma_f32 v6, v134, v208, -v6
	s_waitcnt vmcnt(9)
	v_mov_b32_e32 v102, v155
	v_add_f32_e32 v143, v143, v145
	v_mul_f32_e32 v145, v136, v211
	v_add_f32_e32 v142, v5, v6
	v_mul_f32_e32 v5, v137, v211
	s_waitcnt lgkmcnt(0)
	v_pk_mul_f32 v[102:103], v[140:141], v[102:103] op_sel_hi:[1,0]
	v_fmac_f32_e32 v145, v137, v210
	v_mul_f32_e32 v147, v138, v213
	v_fma_f32 v144, v136, v210, -v5
	v_mul_f32_e32 v5, v139, v213
	ds_read2_b64 v[6:9], v4 offset0:73 offset1:74
	ds_read2_b64 v[10:13], v4 offset0:75 offset1:76
	;; [unrolled: 1-line block ×3, first 2 shown]
	ds_read_b64 v[98:99], v4 offset:632
	s_waitcnt vmcnt(8)
	v_pk_fma_f32 v[104:105], v[140:141], v[154:155], v[102:103] op_sel:[0,0,1] op_sel_hi:[1,1,0] neg_lo:[0,0,1] neg_hi:[0,0,1]
	v_pk_fma_f32 v[102:103], v[140:141], v[154:155], v[102:103] op_sel:[0,0,1] op_sel_hi:[1,0,0]
	v_fmac_f32_e32 v147, v139, v212
	v_fma_f32 v146, v138, v212, -v5
	v_pk_add_f32 v[100:101], v[142:143], v[144:145]
	v_mov_b32_e32 v102, v153
	v_pk_add_f32 v[100:101], v[100:101], v[146:147]
	v_mov_b32_e32 v105, v103
	s_waitcnt lgkmcnt(3)
	v_pk_mul_f32 v[102:103], v[6:7], v[102:103] op_sel_hi:[1,0]
	v_pk_add_f32 v[100:101], v[100:101], v[104:105]
	v_pk_fma_f32 v[104:105], v[6:7], v[152:153], v[102:103] op_sel:[0,0,1] op_sel_hi:[1,1,0] neg_lo:[0,0,1] neg_hi:[0,0,1]
	v_pk_fma_f32 v[6:7], v[6:7], v[152:153], v[102:103] op_sel:[0,0,1] op_sel_hi:[1,0,0]
	v_mov_b32_e32 v105, v7
	v_pk_add_f32 v[6:7], v[100:101], v[104:105]
	v_mov_b32_e32 v100, v151
	v_pk_mul_f32 v[100:101], v[8:9], v[100:101] op_sel_hi:[1,0]
	v_pk_fma_f32 v[102:103], v[8:9], v[150:151], v[100:101] op_sel:[0,0,1] op_sel_hi:[1,1,0] neg_lo:[0,0,1] neg_hi:[0,0,1]
	v_pk_fma_f32 v[8:9], v[8:9], v[150:151], v[100:101] op_sel:[0,0,1] op_sel_hi:[1,0,0]
	v_mov_b32_e32 v8, v149
	v_mov_b32_e32 v103, v9
	s_waitcnt lgkmcnt(2)
	v_pk_mul_f32 v[8:9], v[10:11], v[8:9] op_sel_hi:[1,0]
	v_pk_fma_f32 v[100:101], v[10:11], v[148:149], v[8:9] op_sel:[0,0,1] op_sel_hi:[1,1,0] neg_lo:[0,0,1] neg_hi:[0,0,1]
	v_pk_fma_f32 v[8:9], v[10:11], v[148:149], v[8:9] op_sel:[0,0,1] op_sel_hi:[1,0,0]
	s_waitcnt vmcnt(1)
	v_mov_b32_e32 v8, v163
	v_mov_b32_e32 v101, v9
	v_pk_mul_f32 v[8:9], v[12:13], v[8:9] op_sel_hi:[1,0]
	s_waitcnt vmcnt(0)
	v_pk_fma_f32 v[10:11], v[12:13], v[162:163], v[8:9] op_sel:[0,0,1] op_sel_hi:[1,1,0] neg_lo:[0,0,1] neg_hi:[0,0,1]
	v_pk_fma_f32 v[8:9], v[12:13], v[162:163], v[8:9] op_sel:[0,0,1] op_sel_hi:[1,0,0]
	v_pk_add_f32 v[6:7], v[6:7], v[102:103]
	v_mov_b32_e32 v8, v161
	v_pk_add_f32 v[6:7], v[6:7], v[100:101]
	v_mov_b32_e32 v11, v9
	s_waitcnt lgkmcnt(1)
	v_pk_mul_f32 v[8:9], v[14:15], v[8:9] op_sel_hi:[1,0]
	v_pk_add_f32 v[6:7], v[6:7], v[10:11]
	v_pk_fma_f32 v[10:11], v[14:15], v[160:161], v[8:9] op_sel:[0,0,1] op_sel_hi:[1,1,0] neg_lo:[0,0,1] neg_hi:[0,0,1]
	v_pk_fma_f32 v[8:9], v[14:15], v[160:161], v[8:9] op_sel:[0,0,1] op_sel_hi:[1,0,0]
	v_mov_b32_e32 v8, v159
	v_mov_b32_e32 v11, v9
	v_pk_mul_f32 v[8:9], v[16:17], v[8:9] op_sel_hi:[1,0]
	v_pk_add_f32 v[6:7], v[6:7], v[10:11]
	v_pk_fma_f32 v[10:11], v[16:17], v[158:159], v[8:9] op_sel:[0,0,1] op_sel_hi:[1,1,0] neg_lo:[0,0,1] neg_hi:[0,0,1]
	v_pk_fma_f32 v[8:9], v[16:17], v[158:159], v[8:9] op_sel:[0,0,1] op_sel_hi:[1,0,0]
	v_mov_b32_e32 v8, v157
	v_mov_b32_e32 v11, v9
	s_waitcnt lgkmcnt(0)
	v_pk_mul_f32 v[8:9], v[98:99], v[8:9] op_sel_hi:[1,0]
	v_pk_add_f32 v[6:7], v[6:7], v[10:11]
	v_pk_fma_f32 v[10:11], v[98:99], v[156:157], v[8:9] op_sel:[0,0,1] op_sel_hi:[1,1,0] neg_lo:[0,0,1] neg_hi:[0,0,1]
	v_pk_fma_f32 v[8:9], v[98:99], v[156:157], v[8:9] op_sel:[0,0,1] op_sel_hi:[1,0,0]
	v_mov_b32_e32 v11, v9
	v_pk_add_f32 v[6:7], v[6:7], v[10:11]
	v_pk_add_f32 v[2:3], v[2:3], v[6:7] neg_lo:[0,1] neg_hi:[0,1]
	buffer_store_dword v3, off, s[0:3], 0 offset:36
	buffer_store_dword v2, off, s[0:3], 0 offset:32
	s_and_saveexec_b64 s[4:5], vcc
	s_cbranch_execz .LBB39_247
; %bb.246:
	buffer_load_dword v2, off, s[0:3], 0 offset:24
	buffer_load_dword v3, off, s[0:3], 0 offset:28
	s_waitcnt vmcnt(0)
	ds_write_b64 v1, v[2:3]
	buffer_store_dword v4, off, s[0:3], 0 offset:24
	buffer_store_dword v4, off, s[0:3], 0 offset:28
.LBB39_247:
	s_or_b64 exec, exec, s[4:5]
	s_waitcnt lgkmcnt(0)
	; wave barrier
	s_waitcnt lgkmcnt(0)
	buffer_load_dword v5, off, s[0:3], 0 offset:36
	buffer_load_dword v142, off, s[0:3], 0 offset:44
	;; [unrolled: 1-line block ×36, first 2 shown]
	ds_read_b128 v[6:9], v4 offset:352
	ds_read_b128 v[10:13], v4 offset:368
	buffer_load_dword v194, off, s[0:3], 0 offset:168
	buffer_load_dword v195, off, s[0:3], 0 offset:172
	;; [unrolled: 1-line block ×4, first 2 shown]
	ds_read_b128 v[14:17], v4 offset:384
	ds_read_b128 v[98:101], v4 offset:400
	buffer_load_dword v198, off, s[0:3], 0 offset:184
	buffer_load_dword v199, off, s[0:3], 0 offset:188
	ds_read_b128 v[102:105], v4 offset:416
	ds_read_b128 v[106:109], v4 offset:432
	buffer_load_dword v200, off, s[0:3], 0 offset:192
	buffer_load_dword v201, off, s[0:3], 0 offset:196
	;; [unrolled: 1-line block ×16, first 2 shown]
	v_cmp_lt_u32_e32 vcc, 2, v0
	s_waitcnt vmcnt(57) lgkmcnt(5)
	v_mul_f32_e32 v110, v6, v5
	s_waitcnt vmcnt(56)
	v_mul_f32_e32 v111, v8, v142
	s_waitcnt vmcnt(55) lgkmcnt(4)
	v_mul_f32_e32 v112, v10, v144
	s_waitcnt vmcnt(54)
	v_mul_f32_e32 v113, v12, v152
	;; [unrolled: 4-line block ×4, first 2 shown]
	s_waitcnt vmcnt(49)
	v_fmac_f32_e32 v110, v7, v168
	s_waitcnt vmcnt(48)
	v_fmac_f32_e32 v111, v9, v169
	v_add_f32_e32 v110, 0, v110
	s_waitcnt vmcnt(47)
	v_fmac_f32_e32 v112, v11, v170
	v_add_f32_e32 v110, v110, v111
	;; [unrolled: 3-line block ×7, first 2 shown]
	s_waitcnt vmcnt(41) lgkmcnt(1)
	v_mul_f32_e32 v111, v102, v176
	v_add_f32_e32 v110, v110, v117
	s_waitcnt vmcnt(40)
	v_fmac_f32_e32 v111, v103, v177
	v_add_f32_e32 v110, v110, v111
	s_waitcnt vmcnt(39)
	v_mul_f32_e32 v111, v104, v178
	s_waitcnt vmcnt(38)
	v_fmac_f32_e32 v111, v105, v179
	v_add_f32_e32 v110, v110, v111
	s_waitcnt vmcnt(37) lgkmcnt(0)
	v_mul_f32_e32 v111, v106, v180
	s_waitcnt vmcnt(36)
	v_fmac_f32_e32 v111, v107, v181
	v_add_f32_e32 v114, v110, v111
	ds_read_b128 v[110:113], v4 offset:448
	s_waitcnt vmcnt(35)
	v_mul_f32_e32 v115, v108, v182
	s_waitcnt vmcnt(34)
	v_fmac_f32_e32 v115, v109, v183
	v_add_f32_e32 v118, v114, v115
	ds_read_b128 v[114:117], v4 offset:464
	s_waitcnt vmcnt(33) lgkmcnt(1)
	v_mul_f32_e32 v119, v110, v184
	s_waitcnt vmcnt(32)
	v_fmac_f32_e32 v119, v111, v185
	v_add_f32_e32 v118, v118, v119
	s_waitcnt vmcnt(31)
	v_mul_f32_e32 v119, v112, v186
	s_waitcnt vmcnt(30)
	v_fmac_f32_e32 v119, v113, v187
	v_add_f32_e32 v118, v118, v119
	s_waitcnt vmcnt(29) lgkmcnt(0)
	v_mul_f32_e32 v119, v114, v188
	s_waitcnt vmcnt(28)
	v_fmac_f32_e32 v119, v115, v189
	v_add_f32_e32 v122, v118, v119
	ds_read_b128 v[118:121], v4 offset:480
	s_waitcnt vmcnt(25)
	v_mul_f32_e32 v123, v116, v190
	s_waitcnt vmcnt(24)
	v_fmac_f32_e32 v123, v117, v191
	v_add_f32_e32 v126, v122, v123
	ds_read_b128 v[122:125], v4 offset:496
	s_waitcnt vmcnt(22) lgkmcnt(1)
	v_mul_f32_e32 v127, v118, v193
	v_fmac_f32_e32 v127, v119, v192
	v_add_f32_e32 v126, v126, v127
	s_waitcnt vmcnt(20)
	v_mul_f32_e32 v127, v120, v195
	v_fmac_f32_e32 v127, v121, v194
	v_add_f32_e32 v126, v126, v127
	s_waitcnt vmcnt(18) lgkmcnt(0)
	v_mul_f32_e32 v127, v122, v197
	v_fmac_f32_e32 v127, v123, v196
	v_add_f32_e32 v130, v126, v127
	ds_read_b128 v[126:129], v4 offset:512
	s_waitcnt vmcnt(16)
	v_mul_f32_e32 v131, v124, v199
	v_fmac_f32_e32 v131, v125, v198
	v_add_f32_e32 v134, v130, v131
	ds_read_b128 v[130:133], v4 offset:528
	s_waitcnt vmcnt(14) lgkmcnt(1)
	v_mul_f32_e32 v135, v126, v201
	v_fmac_f32_e32 v135, v127, v200
	v_add_f32_e32 v134, v134, v135
	s_waitcnt vmcnt(12)
	v_mul_f32_e32 v135, v128, v203
	v_fmac_f32_e32 v135, v129, v202
	v_add_f32_e32 v134, v134, v135
	s_waitcnt vmcnt(10) lgkmcnt(0)
	v_mul_f32_e32 v135, v130, v205
	v_fmac_f32_e32 v135, v131, v204
	s_waitcnt vmcnt(8)
	v_mul_f32_e32 v139, v132, v207
	v_add_f32_e32 v138, v134, v135
	v_fmac_f32_e32 v139, v133, v206
	ds_read_b128 v[134:137], v4 offset:544
	v_add_f32_e32 v143, v138, v139
	ds_read_b128 v[138:141], v4 offset:560
	buffer_load_dword v147, off, s[0:3], 0 offset:276
	buffer_load_dword v146, off, s[0:3], 0 offset:272
	;; [unrolled: 1-line block ×16, first 2 shown]
	v_mul_f32_e32 v5, v7, v5
	v_fma_f32 v5, v6, v168, -v5
	v_mul_f32_e32 v6, v9, v142
	v_add_f32_e32 v5, 0, v5
	v_fma_f32 v6, v8, v169, -v6
	v_add_f32_e32 v5, v5, v6
	v_mul_f32_e32 v6, v11, v144
	v_fma_f32 v6, v10, v170, -v6
	v_add_f32_e32 v5, v5, v6
	v_mul_f32_e32 v6, v13, v152
	v_fma_f32 v6, v12, v171, -v6
	v_add_f32_e32 v5, v5, v6
	v_mul_f32_e32 v6, v15, v164
	v_fma_f32 v6, v14, v172, -v6
	v_add_f32_e32 v5, v5, v6
	v_mul_f32_e32 v6, v17, v165
	v_fma_f32 v6, v16, v173, -v6
	v_add_f32_e32 v5, v5, v6
	v_mul_f32_e32 v6, v99, v166
	v_fma_f32 v6, v98, v174, -v6
	v_add_f32_e32 v5, v5, v6
	v_mul_f32_e32 v6, v101, v167
	v_fma_f32 v6, v100, v175, -v6
	v_add_f32_e32 v5, v5, v6
	v_mul_f32_e32 v6, v103, v176
	v_fma_f32 v6, v102, v177, -v6
	v_add_f32_e32 v5, v5, v6
	v_mul_f32_e32 v6, v105, v178
	v_fma_f32 v6, v104, v179, -v6
	v_add_f32_e32 v5, v5, v6
	v_mul_f32_e32 v6, v107, v180
	v_fma_f32 v6, v106, v181, -v6
	v_add_f32_e32 v5, v5, v6
	v_mul_f32_e32 v6, v109, v182
	v_fma_f32 v6, v108, v183, -v6
	v_add_f32_e32 v5, v5, v6
	v_mul_f32_e32 v6, v111, v184
	v_fma_f32 v6, v110, v185, -v6
	v_add_f32_e32 v5, v5, v6
	v_mul_f32_e32 v6, v113, v186
	v_fma_f32 v6, v112, v187, -v6
	v_add_f32_e32 v5, v5, v6
	v_mul_f32_e32 v6, v115, v188
	v_fma_f32 v6, v114, v189, -v6
	v_add_f32_e32 v5, v5, v6
	v_mul_f32_e32 v6, v117, v190
	v_fma_f32 v6, v116, v191, -v6
	v_add_f32_e32 v5, v5, v6
	v_mul_f32_e32 v6, v119, v193
	v_fma_f32 v6, v118, v192, -v6
	v_add_f32_e32 v5, v5, v6
	v_mul_f32_e32 v6, v121, v195
	v_fma_f32 v6, v120, v194, -v6
	v_add_f32_e32 v5, v5, v6
	v_mul_f32_e32 v6, v123, v197
	v_fma_f32 v6, v122, v196, -v6
	v_add_f32_e32 v5, v5, v6
	v_mul_f32_e32 v6, v125, v199
	v_fma_f32 v6, v124, v198, -v6
	v_add_f32_e32 v5, v5, v6
	v_mul_f32_e32 v6, v127, v201
	v_fma_f32 v6, v126, v200, -v6
	v_add_f32_e32 v5, v5, v6
	v_mul_f32_e32 v6, v129, v203
	v_fma_f32 v6, v128, v202, -v6
	v_add_f32_e32 v5, v5, v6
	v_mul_f32_e32 v6, v131, v205
	v_fma_f32 v6, v130, v204, -v6
	v_add_f32_e32 v5, v5, v6
	v_mul_f32_e32 v6, v133, v207
	v_fma_f32 v6, v132, v206, -v6
	v_add_f32_e32 v5, v5, v6
	s_waitcnt vmcnt(22) lgkmcnt(1)
	v_mul_f32_e32 v6, v135, v209
	v_fma_f32 v6, v134, v208, -v6
	v_add_f32_e32 v5, v5, v6
	s_waitcnt vmcnt(20)
	v_mul_f32_e32 v6, v137, v211
	v_fma_f32 v6, v136, v210, -v6
	v_add_f32_e32 v142, v5, v6
	ds_read_b128 v[6:9], v4 offset:576
	ds_read_b128 v[10:13], v4 offset:592
	;; [unrolled: 1-line block ×4, first 2 shown]
	s_waitcnt vmcnt(11)
	v_mov_b32_e32 v102, v151
	v_mul_f32_e32 v145, v134, v209
	s_waitcnt lgkmcnt(3)
	v_pk_mul_f32 v[102:103], v[6:7], v[102:103] op_sel_hi:[1,0]
	v_fmac_f32_e32 v145, v135, v208
	s_waitcnt vmcnt(10)
	v_pk_fma_f32 v[104:105], v[6:7], v[150:151], v[102:103] op_sel:[0,0,1] op_sel_hi:[1,1,0] neg_lo:[0,0,1] neg_hi:[0,0,1]
	v_pk_fma_f32 v[6:7], v[6:7], v[150:151], v[102:103] op_sel:[0,0,1] op_sel_hi:[1,0,0]
	v_add_f32_e32 v143, v143, v145
	v_mul_f32_e32 v145, v136, v211
	v_mov_b32_e32 v6, v149
	v_fmac_f32_e32 v145, v137, v210
	v_mov_b32_e32 v105, v7
	v_pk_mul_f32 v[6:7], v[8:9], v[6:7] op_sel_hi:[1,0]
	v_add_f32_e32 v143, v143, v145
	v_mul_f32_e32 v145, v138, v213
	v_mul_f32_e32 v5, v139, v213
	v_pk_fma_f32 v[102:103], v[8:9], v[148:149], v[6:7] op_sel:[0,0,1] op_sel_hi:[1,1,0] neg_lo:[0,0,1] neg_hi:[0,0,1]
	v_pk_fma_f32 v[6:7], v[8:9], v[148:149], v[6:7] op_sel:[0,0,1] op_sel_hi:[1,0,0]
	v_fmac_f32_e32 v145, v139, v212
	v_mul_f32_e32 v153, v140, v215
	v_fma_f32 v144, v138, v212, -v5
	v_mul_f32_e32 v5, v141, v215
	v_mov_b32_e32 v6, v147
	v_fmac_f32_e32 v153, v141, v214
	v_fma_f32 v152, v140, v214, -v5
	v_pk_add_f32 v[4:5], v[142:143], v[144:145]
	v_mov_b32_e32 v103, v7
	s_waitcnt lgkmcnt(2)
	v_pk_mul_f32 v[6:7], v[10:11], v[6:7] op_sel_hi:[1,0]
	v_pk_add_f32 v[4:5], v[4:5], v[152:153]
	v_pk_fma_f32 v[8:9], v[10:11], v[146:147], v[6:7] op_sel:[0,0,1] op_sel_hi:[1,1,0] neg_lo:[0,0,1] neg_hi:[0,0,1]
	v_pk_fma_f32 v[6:7], v[10:11], v[146:147], v[6:7] op_sel:[0,0,1] op_sel_hi:[1,0,0]
	v_pk_add_f32 v[4:5], v[4:5], v[104:105]
	s_waitcnt vmcnt(3)
	v_mov_b32_e32 v6, v161
	v_pk_add_f32 v[4:5], v[4:5], v[102:103]
	v_mov_b32_e32 v9, v7
	v_pk_mul_f32 v[6:7], v[12:13], v[6:7] op_sel_hi:[1,0]
	v_pk_add_f32 v[4:5], v[4:5], v[8:9]
	s_waitcnt vmcnt(2)
	v_pk_fma_f32 v[8:9], v[12:13], v[160:161], v[6:7] op_sel:[0,0,1] op_sel_hi:[1,1,0] neg_lo:[0,0,1] neg_hi:[0,0,1]
	v_pk_fma_f32 v[6:7], v[12:13], v[160:161], v[6:7] op_sel:[0,0,1] op_sel_hi:[1,0,0]
	v_mov_b32_e32 v6, v159
	v_mov_b32_e32 v9, v7
	s_waitcnt lgkmcnt(1)
	v_pk_mul_f32 v[6:7], v[14:15], v[6:7] op_sel_hi:[1,0]
	v_pk_add_f32 v[4:5], v[4:5], v[8:9]
	v_pk_fma_f32 v[8:9], v[14:15], v[158:159], v[6:7] op_sel:[0,0,1] op_sel_hi:[1,1,0] neg_lo:[0,0,1] neg_hi:[0,0,1]
	v_pk_fma_f32 v[6:7], v[14:15], v[158:159], v[6:7] op_sel:[0,0,1] op_sel_hi:[1,0,0]
	v_mov_b32_e32 v6, v157
	v_mov_b32_e32 v9, v7
	v_pk_mul_f32 v[6:7], v[16:17], v[6:7] op_sel_hi:[1,0]
	v_pk_add_f32 v[4:5], v[4:5], v[8:9]
	v_pk_fma_f32 v[8:9], v[16:17], v[156:157], v[6:7] op_sel:[0,0,1] op_sel_hi:[1,1,0] neg_lo:[0,0,1] neg_hi:[0,0,1]
	v_pk_fma_f32 v[6:7], v[16:17], v[156:157], v[6:7] op_sel:[0,0,1] op_sel_hi:[1,0,0]
	v_mov_b32_e32 v6, v155
	v_mov_b32_e32 v9, v7
	s_waitcnt lgkmcnt(0)
	v_pk_mul_f32 v[6:7], v[98:99], v[6:7] op_sel_hi:[1,0]
	v_pk_add_f32 v[4:5], v[4:5], v[8:9]
	v_pk_fma_f32 v[8:9], v[98:99], v[154:155], v[6:7] op_sel:[0,0,1] op_sel_hi:[1,1,0] neg_lo:[0,0,1] neg_hi:[0,0,1]
	v_pk_fma_f32 v[6:7], v[98:99], v[154:155], v[6:7] op_sel:[0,0,1] op_sel_hi:[1,0,0]
	s_waitcnt vmcnt(1)
	v_mov_b32_e32 v6, v163
	v_mov_b32_e32 v9, v7
	v_pk_mul_f32 v[6:7], v[100:101], v[6:7] op_sel_hi:[1,0]
	v_pk_add_f32 v[4:5], v[4:5], v[8:9]
	s_waitcnt vmcnt(0)
	v_pk_fma_f32 v[8:9], v[100:101], v[162:163], v[6:7] op_sel:[0,0,1] op_sel_hi:[1,1,0] neg_lo:[0,0,1] neg_hi:[0,0,1]
	v_pk_fma_f32 v[6:7], v[100:101], v[162:163], v[6:7] op_sel:[0,0,1] op_sel_hi:[1,0,0]
	v_mov_b32_e32 v9, v7
	v_pk_add_f32 v[4:5], v[4:5], v[8:9]
	v_pk_add_f32 v[2:3], v[2:3], v[4:5] neg_lo:[0,1] neg_hi:[0,1]
	buffer_store_dword v3, off, s[0:3], 0 offset:28
	buffer_store_dword v2, off, s[0:3], 0 offset:24
	s_and_saveexec_b64 s[4:5], vcc
	s_cbranch_execz .LBB39_249
; %bb.248:
	buffer_load_dword v2, off, s[0:3], 0 offset:16
	buffer_load_dword v3, off, s[0:3], 0 offset:20
	v_mov_b32_e32 v4, 0
	buffer_store_dword v4, off, s[0:3], 0 offset:16
	buffer_store_dword v4, off, s[0:3], 0 offset:20
	s_waitcnt vmcnt(2)
	ds_write_b64 v1, v[2:3]
.LBB39_249:
	s_or_b64 exec, exec, s[4:5]
	s_waitcnt lgkmcnt(0)
	; wave barrier
	s_waitcnt lgkmcnt(0)
	buffer_load_dword v17, off, s[0:3], 0 offset:28
	buffer_load_dword v150, off, s[0:3], 0 offset:36
	;; [unrolled: 1-line block ×56, first 2 shown]
	v_mov_b32_e32 v16, 0
	ds_read2_b64 v[2:5], v16 offset0:43 offset1:44
	buffer_load_dword v222, off, s[0:3], 0 offset:240
	buffer_load_dword v223, off, s[0:3], 0 offset:244
	;; [unrolled: 1-line block ×4, first 2 shown]
	ds_read2_b64 v[8:11], v16 offset0:45 offset1:46
	ds_read2_b64 v[12:15], v16 offset0:47 offset1:48
	;; [unrolled: 1-line block ×3, first 2 shown]
	v_cmp_lt_u32_e32 vcc, 1, v0
	s_waitcnt vmcnt(59) lgkmcnt(3)
	v_mul_f32_e32 v102, v2, v17
	s_waitcnt vmcnt(58)
	v_mul_f32_e32 v103, v4, v150
	s_waitcnt vmcnt(57) lgkmcnt(2)
	v_mul_f32_e32 v104, v8, v156
	s_waitcnt vmcnt(56)
	v_mul_f32_e32 v105, v10, v158
	;; [unrolled: 4-line block ×3, first 2 shown]
	s_waitcnt vmcnt(53) lgkmcnt(0)
	v_mul_f32_e32 v108, v98, v174
	s_waitcnt vmcnt(52)
	v_fmac_f32_e32 v102, v3, v175
	s_waitcnt vmcnt(51)
	v_fmac_f32_e32 v103, v5, v176
	v_add_f32_e32 v102, 0, v102
	s_waitcnt vmcnt(50)
	v_fmac_f32_e32 v104, v9, v177
	v_add_f32_e32 v102, v102, v103
	;; [unrolled: 3-line block ×6, first 2 shown]
	v_add_f32_e32 v106, v102, v108
	ds_read2_b64 v[102:105], v16 offset0:51 offset1:52
	s_waitcnt vmcnt(45)
	v_mul_f32_e32 v107, v100, v182
	s_waitcnt vmcnt(44)
	v_fmac_f32_e32 v107, v101, v183
	v_add_f32_e32 v110, v106, v107
	ds_read2_b64 v[106:109], v16 offset0:53 offset1:54
	s_waitcnt vmcnt(43) lgkmcnt(1)
	v_mul_f32_e32 v111, v102, v184
	s_waitcnt vmcnt(42)
	v_fmac_f32_e32 v111, v103, v185
	v_add_f32_e32 v110, v110, v111
	s_waitcnt vmcnt(41)
	v_mul_f32_e32 v111, v104, v186
	s_waitcnt vmcnt(40)
	v_fmac_f32_e32 v111, v105, v187
	v_add_f32_e32 v110, v110, v111
	s_waitcnt vmcnt(39) lgkmcnt(0)
	v_mul_f32_e32 v111, v106, v188
	s_waitcnt vmcnt(38)
	v_fmac_f32_e32 v111, v107, v189
	v_add_f32_e32 v114, v110, v111
	ds_read2_b64 v[110:113], v16 offset0:55 offset1:56
	s_waitcnt vmcnt(37)
	v_mul_f32_e32 v115, v108, v190
	s_waitcnt vmcnt(36)
	v_fmac_f32_e32 v115, v109, v191
	v_add_f32_e32 v118, v114, v115
	ds_read2_b64 v[114:117], v16 offset0:57 offset1:58
	s_waitcnt vmcnt(34) lgkmcnt(1)
	v_mul_f32_e32 v119, v110, v193
	v_fmac_f32_e32 v119, v111, v192
	v_add_f32_e32 v118, v118, v119
	s_waitcnt vmcnt(31)
	v_mul_f32_e32 v119, v112, v194
	s_waitcnt vmcnt(30)
	v_fmac_f32_e32 v119, v113, v195
	v_add_f32_e32 v118, v118, v119
	s_waitcnt vmcnt(28) lgkmcnt(0)
	v_mul_f32_e32 v119, v114, v197
	v_fmac_f32_e32 v119, v115, v196
	v_add_f32_e32 v122, v118, v119
	ds_read2_b64 v[118:121], v16 offset0:59 offset1:60
	s_waitcnt vmcnt(26)
	v_mul_f32_e32 v123, v116, v199
	v_fmac_f32_e32 v123, v117, v198
	v_add_f32_e32 v126, v122, v123
	ds_read2_b64 v[122:125], v16 offset0:61 offset1:62
	s_waitcnt vmcnt(24) lgkmcnt(1)
	v_mul_f32_e32 v127, v118, v201
	v_fmac_f32_e32 v127, v119, v200
	v_add_f32_e32 v126, v126, v127
	s_waitcnt vmcnt(22)
	v_mul_f32_e32 v127, v120, v203
	v_fmac_f32_e32 v127, v121, v202
	v_add_f32_e32 v126, v126, v127
	s_waitcnt vmcnt(20) lgkmcnt(0)
	v_mul_f32_e32 v127, v122, v205
	v_fmac_f32_e32 v127, v123, v204
	v_add_f32_e32 v130, v126, v127
	ds_read2_b64 v[126:129], v16 offset0:63 offset1:64
	s_waitcnt vmcnt(18)
	v_mul_f32_e32 v131, v124, v207
	v_fmac_f32_e32 v131, v125, v206
	v_add_f32_e32 v134, v130, v131
	ds_read2_b64 v[130:133], v16 offset0:65 offset1:66
	s_waitcnt vmcnt(16) lgkmcnt(1)
	v_mul_f32_e32 v135, v126, v209
	v_fmac_f32_e32 v135, v127, v208
	v_add_f32_e32 v134, v134, v135
	s_waitcnt vmcnt(14)
	v_mul_f32_e32 v135, v128, v211
	;; [unrolled: 18-line block ×3, first 2 shown]
	v_fmac_f32_e32 v143, v137, v218
	v_add_f32_e32 v142, v142, v143
	s_waitcnt vmcnt(4) lgkmcnt(0)
	v_mul_f32_e32 v143, v138, v221
	v_fmac_f32_e32 v143, v139, v220
	v_add_f32_e32 v151, v142, v143
	ds_read2_b64 v[142:145], v16 offset0:71 offset1:72
	buffer_load_dword v153, off, s[0:3], 0 offset:268
	buffer_load_dword v152, off, s[0:3], 0 offset:264
	;; [unrolled: 1-line block ×4, first 2 shown]
	ds_read2_b64 v[146:149], v16 offset0:73 offset1:74
	buffer_load_dword v161, off, s[0:3], 0 offset:300
	buffer_load_dword v160, off, s[0:3], 0 offset:296
	;; [unrolled: 1-line block ×12, first 2 shown]
	v_mul_f32_e32 v3, v3, v17
	v_fma_f32 v2, v2, v175, -v3
	v_mul_f32_e32 v3, v5, v150
	v_add_f32_e32 v2, 0, v2
	v_fma_f32 v3, v4, v176, -v3
	v_add_f32_e32 v2, v2, v3
	v_mul_f32_e32 v3, v9, v156
	v_fma_f32 v3, v8, v177, -v3
	v_add_f32_e32 v2, v2, v3
	v_mul_f32_e32 v3, v11, v158
	;; [unrolled: 3-line block ×25, first 2 shown]
	v_fma_f32 v3, v138, v220, -v3
	s_waitcnt vmcnt(13)
	v_mov_b32_e32 v98, v155
	v_mul_f32_e32 v157, v140, v223
	v_add_f32_e32 v150, v2, v3
	v_mul_f32_e32 v2, v141, v223
	s_waitcnt lgkmcnt(1)
	v_pk_mul_f32 v[98:99], v[144:145], v[98:99] op_sel_hi:[1,0]
	v_fmac_f32_e32 v157, v141, v222
	v_mul_f32_e32 v159, v142, v225
	v_fma_f32 v156, v140, v222, -v2
	v_mul_f32_e32 v2, v143, v225
	s_waitcnt vmcnt(12)
	v_pk_fma_f32 v[100:101], v[144:145], v[154:155], v[98:99] op_sel:[0,0,1] op_sel_hi:[1,1,0] neg_lo:[0,0,1] neg_hi:[0,0,1]
	v_pk_fma_f32 v[98:99], v[144:145], v[154:155], v[98:99] op_sel:[0,0,1] op_sel_hi:[1,0,0]
	v_fmac_f32_e32 v159, v143, v224
	v_fma_f32 v158, v142, v224, -v2
	v_pk_add_f32 v[14:15], v[150:151], v[156:157]
	v_mov_b32_e32 v98, v153
	v_pk_add_f32 v[14:15], v[14:15], v[158:159]
	v_mov_b32_e32 v101, v99
	s_waitcnt lgkmcnt(0)
	v_pk_mul_f32 v[98:99], v[146:147], v[98:99] op_sel_hi:[1,0]
	v_pk_add_f32 v[14:15], v[14:15], v[100:101]
	v_pk_fma_f32 v[100:101], v[146:147], v[152:153], v[98:99] op_sel:[0,0,1] op_sel_hi:[1,1,0] neg_lo:[0,0,1] neg_hi:[0,0,1]
	v_pk_fma_f32 v[98:99], v[146:147], v[152:153], v[98:99] op_sel:[0,0,1] op_sel_hi:[1,0,0]
	s_waitcnt vmcnt(5)
	v_mov_b32_e32 v98, v167
	ds_read2_b64 v[2:5], v16 offset0:75 offset1:76
	ds_read2_b64 v[8:11], v16 offset0:77 offset1:78
	ds_read_b64 v[12:13], v16 offset:632
	v_mov_b32_e32 v101, v99
	v_pk_mul_f32 v[98:99], v[148:149], v[98:99] op_sel_hi:[1,0]
	v_pk_add_f32 v[14:15], v[14:15], v[100:101]
	s_waitcnt vmcnt(4)
	v_pk_fma_f32 v[100:101], v[148:149], v[166:167], v[98:99] op_sel:[0,0,1] op_sel_hi:[1,1,0] neg_lo:[0,0,1] neg_hi:[0,0,1]
	v_pk_fma_f32 v[98:99], v[148:149], v[166:167], v[98:99] op_sel:[0,0,1] op_sel_hi:[1,0,0]
	v_mov_b32_e32 v98, v165
	v_mov_b32_e32 v101, v99
	s_waitcnt lgkmcnt(2)
	v_pk_mul_f32 v[98:99], v[2:3], v[98:99] op_sel_hi:[1,0]
	v_pk_add_f32 v[14:15], v[14:15], v[100:101]
	v_pk_fma_f32 v[100:101], v[2:3], v[164:165], v[98:99] op_sel:[0,0,1] op_sel_hi:[1,1,0] neg_lo:[0,0,1] neg_hi:[0,0,1]
	v_pk_fma_f32 v[2:3], v[2:3], v[164:165], v[98:99] op_sel:[0,0,1] op_sel_hi:[1,0,0]
	v_mov_b32_e32 v101, v3
	v_pk_add_f32 v[2:3], v[14:15], v[100:101]
	v_mov_b32_e32 v14, v163
	v_pk_mul_f32 v[14:15], v[4:5], v[14:15] op_sel_hi:[1,0]
	v_pk_fma_f32 v[98:99], v[4:5], v[162:163], v[14:15] op_sel:[0,0,1] op_sel_hi:[1,1,0] neg_lo:[0,0,1] neg_hi:[0,0,1]
	v_pk_fma_f32 v[4:5], v[4:5], v[162:163], v[14:15] op_sel:[0,0,1] op_sel_hi:[1,0,0]
	v_mov_b32_e32 v4, v161
	v_mov_b32_e32 v99, v5
	s_waitcnt lgkmcnt(1)
	v_pk_mul_f32 v[4:5], v[8:9], v[4:5] op_sel_hi:[1,0]
	v_pk_fma_f32 v[14:15], v[8:9], v[160:161], v[4:5] op_sel:[0,0,1] op_sel_hi:[1,1,0] neg_lo:[0,0,1] neg_hi:[0,0,1]
	v_pk_fma_f32 v[4:5], v[8:9], v[160:161], v[4:5] op_sel:[0,0,1] op_sel_hi:[1,0,0]
	s_waitcnt vmcnt(1)
	v_mov_b32_e32 v4, v171
	v_mov_b32_e32 v15, v5
	v_pk_mul_f32 v[4:5], v[10:11], v[4:5] op_sel_hi:[1,0]
	s_waitcnt vmcnt(0)
	v_pk_fma_f32 v[8:9], v[10:11], v[170:171], v[4:5] op_sel:[0,0,1] op_sel_hi:[1,1,0] neg_lo:[0,0,1] neg_hi:[0,0,1]
	v_pk_fma_f32 v[4:5], v[10:11], v[170:171], v[4:5] op_sel:[0,0,1] op_sel_hi:[1,0,0]
	v_pk_add_f32 v[2:3], v[2:3], v[98:99]
	v_mov_b32_e32 v4, v169
	v_pk_add_f32 v[2:3], v[2:3], v[14:15]
	v_mov_b32_e32 v9, v5
	s_waitcnt lgkmcnt(0)
	v_pk_mul_f32 v[4:5], v[12:13], v[4:5] op_sel_hi:[1,0]
	v_pk_add_f32 v[2:3], v[2:3], v[8:9]
	v_pk_fma_f32 v[8:9], v[12:13], v[168:169], v[4:5] op_sel:[0,0,1] op_sel_hi:[1,1,0] neg_lo:[0,0,1] neg_hi:[0,0,1]
	v_pk_fma_f32 v[4:5], v[12:13], v[168:169], v[4:5] op_sel:[0,0,1] op_sel_hi:[1,0,0]
	v_mov_b32_e32 v9, v5
	v_pk_add_f32 v[2:3], v[2:3], v[8:9]
	v_pk_add_f32 v[2:3], v[6:7], v[2:3] neg_lo:[0,1] neg_hi:[0,1]
	buffer_store_dword v3, off, s[0:3], 0 offset:20
	buffer_store_dword v2, off, s[0:3], 0 offset:16
	s_and_saveexec_b64 s[4:5], vcc
	s_cbranch_execz .LBB39_251
; %bb.250:
	buffer_load_dword v2, off, s[0:3], 0 offset:8
	buffer_load_dword v3, off, s[0:3], 0 offset:12
	s_waitcnt vmcnt(0)
	ds_write_b64 v1, v[2:3]
	buffer_store_dword v16, off, s[0:3], 0 offset:8
	buffer_store_dword v16, off, s[0:3], 0 offset:12
.LBB39_251:
	s_or_b64 exec, exec, s[4:5]
	s_waitcnt lgkmcnt(0)
	; wave barrier
	s_waitcnt lgkmcnt(0)
	buffer_load_dword v17, off, s[0:3], 0 offset:20
	buffer_load_dword v152, off, s[0:3], 0 offset:28
	;; [unrolled: 1-line block ×32, first 2 shown]
	ds_read_b128 v[98:101], v16 offset:336
	ds_read_b128 v[6:9], v16 offset:352
	buffer_load_dword v198, off, s[0:3], 0 offset:136
	buffer_load_dword v199, off, s[0:3], 0 offset:140
	ds_read_b128 v[10:13], v16 offset:368
	ds_read_b128 v[2:5], v16 offset:384
	buffer_load_dword v200, off, s[0:3], 0 offset:144
	buffer_load_dword v201, off, s[0:3], 0 offset:148
	;; [unrolled: 1-line block ×28, first 2 shown]
	v_cmp_ne_u32_e32 vcc, 0, v0
	s_waitcnt vmcnt(61) lgkmcnt(3)
	v_mul_f32_e32 v102, v98, v17
	s_waitcnt vmcnt(60)
	v_mul_f32_e32 v103, v100, v152
	s_waitcnt vmcnt(59) lgkmcnt(2)
	v_mul_f32_e32 v104, v6, v154
	s_waitcnt vmcnt(58)
	v_mul_f32_e32 v105, v8, v156
	;; [unrolled: 4-line block ×3, first 2 shown]
	s_waitcnt vmcnt(55) lgkmcnt(0)
	v_mul_f32_e32 v108, v2, v174
	s_waitcnt vmcnt(54)
	v_fmac_f32_e32 v102, v99, v175
	s_waitcnt vmcnt(53)
	v_fmac_f32_e32 v103, v101, v176
	v_add_f32_e32 v102, 0, v102
	s_waitcnt vmcnt(52)
	v_fmac_f32_e32 v104, v7, v177
	v_add_f32_e32 v102, v102, v103
	;; [unrolled: 3-line block ×6, first 2 shown]
	v_add_f32_e32 v106, v102, v108
	ds_read_b128 v[102:105], v16 offset:400
	s_waitcnt vmcnt(47)
	v_mul_f32_e32 v107, v4, v182
	s_waitcnt vmcnt(46)
	v_fmac_f32_e32 v107, v5, v183
	v_add_f32_e32 v110, v106, v107
	ds_read_b128 v[106:109], v16 offset:416
	s_waitcnt vmcnt(45) lgkmcnt(1)
	v_mul_f32_e32 v111, v102, v184
	s_waitcnt vmcnt(44)
	v_fmac_f32_e32 v111, v103, v185
	v_add_f32_e32 v110, v110, v111
	s_waitcnt vmcnt(43)
	v_mul_f32_e32 v111, v104, v186
	s_waitcnt vmcnt(42)
	v_fmac_f32_e32 v111, v105, v187
	v_add_f32_e32 v110, v110, v111
	s_waitcnt vmcnt(41) lgkmcnt(0)
	v_mul_f32_e32 v111, v106, v188
	s_waitcnt vmcnt(40)
	v_fmac_f32_e32 v111, v107, v189
	v_add_f32_e32 v114, v110, v111
	ds_read_b128 v[110:113], v16 offset:432
	s_waitcnt vmcnt(39)
	v_mul_f32_e32 v115, v108, v190
	s_waitcnt vmcnt(38)
	v_fmac_f32_e32 v115, v109, v191
	v_add_f32_e32 v118, v114, v115
	ds_read_b128 v[114:117], v16 offset:448
	s_waitcnt vmcnt(35) lgkmcnt(1)
	v_mul_f32_e32 v119, v110, v192
	s_waitcnt vmcnt(34)
	v_fmac_f32_e32 v119, v111, v193
	v_add_f32_e32 v118, v118, v119
	s_waitcnt vmcnt(32)
	v_mul_f32_e32 v119, v112, v195
	v_fmac_f32_e32 v119, v113, v194
	v_add_f32_e32 v118, v118, v119
	s_waitcnt vmcnt(30) lgkmcnt(0)
	v_mul_f32_e32 v119, v114, v197
	v_fmac_f32_e32 v119, v115, v196
	v_add_f32_e32 v122, v118, v119
	ds_read_b128 v[118:121], v16 offset:464
	s_waitcnt vmcnt(28)
	v_mul_f32_e32 v123, v116, v199
	v_fmac_f32_e32 v123, v117, v198
	v_add_f32_e32 v126, v122, v123
	ds_read_b128 v[122:125], v16 offset:480
	s_waitcnt vmcnt(26) lgkmcnt(1)
	v_mul_f32_e32 v127, v118, v201
	v_fmac_f32_e32 v127, v119, v200
	v_add_f32_e32 v126, v126, v127
	s_waitcnt vmcnt(24)
	v_mul_f32_e32 v127, v120, v203
	v_fmac_f32_e32 v127, v121, v202
	v_add_f32_e32 v126, v126, v127
	s_waitcnt vmcnt(22) lgkmcnt(0)
	v_mul_f32_e32 v127, v122, v205
	v_fmac_f32_e32 v127, v123, v204
	v_add_f32_e32 v130, v126, v127
	ds_read_b128 v[126:129], v16 offset:496
	s_waitcnt vmcnt(20)
	v_mul_f32_e32 v131, v124, v207
	v_fmac_f32_e32 v131, v125, v206
	v_add_f32_e32 v134, v130, v131
	ds_read_b128 v[130:133], v16 offset:512
	s_waitcnt vmcnt(18) lgkmcnt(1)
	v_mul_f32_e32 v135, v126, v209
	v_fmac_f32_e32 v135, v127, v208
	v_add_f32_e32 v134, v134, v135
	s_waitcnt vmcnt(16)
	v_mul_f32_e32 v135, v128, v211
	v_fmac_f32_e32 v135, v129, v210
	v_add_f32_e32 v134, v134, v135
	s_waitcnt vmcnt(14) lgkmcnt(0)
	v_mul_f32_e32 v135, v130, v213
	v_fmac_f32_e32 v135, v131, v212
	v_add_f32_e32 v138, v134, v135
	ds_read_b128 v[134:137], v16 offset:528
	s_waitcnt vmcnt(12)
	v_mul_f32_e32 v139, v132, v215
	v_fmac_f32_e32 v139, v133, v214
	v_add_f32_e32 v142, v138, v139
	ds_read_b128 v[138:141], v16 offset:544
	buffer_load_dword v151, off, s[0:3], 0 offset:260
	buffer_load_dword v150, off, s[0:3], 0 offset:256
	s_waitcnt vmcnt(12) lgkmcnt(1)
	v_mul_f32_e32 v143, v134, v217
	v_fmac_f32_e32 v143, v135, v216
	v_add_f32_e32 v142, v142, v143
	s_waitcnt vmcnt(10)
	v_mul_f32_e32 v143, v136, v219
	v_fmac_f32_e32 v143, v137, v218
	v_add_f32_e32 v142, v142, v143
	s_waitcnt vmcnt(8) lgkmcnt(0)
	v_mul_f32_e32 v143, v138, v221
	v_fmac_f32_e32 v143, v139, v220
	s_waitcnt vmcnt(6)
	v_mul_f32_e32 v147, v140, v223
	v_add_f32_e32 v146, v142, v143
	v_fmac_f32_e32 v147, v141, v222
	ds_read_b128 v[142:145], v16 offset:560
	v_add_f32_e32 v153, v146, v147
	ds_read_b128 v[146:149], v16 offset:576
	buffer_load_dword v159, off, s[0:3], 0 offset:292
	buffer_load_dword v158, off, s[0:3], 0 offset:288
	;; [unrolled: 1-line block ×14, first 2 shown]
	v_mul_f32_e32 v17, v99, v17
	v_fma_f32 v17, v98, v175, -v17
	v_mul_f32_e32 v98, v101, v152
	v_add_f32_e32 v17, 0, v17
	v_fma_f32 v98, v100, v176, -v98
	v_mul_f32_e32 v7, v7, v154
	v_add_f32_e32 v17, v17, v98
	;; [unrolled: 3-line block ×3, first 2 shown]
	v_fma_f32 v7, v8, v178, -v7
	v_add_f32_e32 v6, v6, v7
	v_mul_f32_e32 v7, v11, v172
	v_fma_f32 v7, v10, v179, -v7
	v_add_f32_e32 v6, v6, v7
	v_mul_f32_e32 v7, v13, v173
	v_fma_f32 v7, v12, v180, -v7
	v_mul_f32_e32 v3, v3, v174
	v_add_f32_e32 v6, v6, v7
	v_fma_f32 v2, v2, v181, -v3
	v_mul_f32_e32 v3, v5, v182
	v_add_f32_e32 v2, v6, v2
	v_fma_f32 v3, v4, v183, -v3
	v_add_f32_e32 v2, v2, v3
	v_mul_f32_e32 v3, v103, v184
	v_fma_f32 v3, v102, v185, -v3
	v_add_f32_e32 v2, v2, v3
	v_mul_f32_e32 v3, v105, v186
	;; [unrolled: 3-line block ×20, first 2 shown]
	v_fma_f32 v3, v140, v222, -v3
	s_waitcnt vmcnt(15)
	v_mov_b32_e32 v98, v151
	s_waitcnt lgkmcnt(1)
	v_mul_f32_e32 v155, v142, v225
	v_add_f32_e32 v152, v2, v3
	v_mul_f32_e32 v2, v143, v225
	s_waitcnt lgkmcnt(0)
	v_pk_mul_f32 v[98:99], v[146:147], v[98:99] op_sel_hi:[1,0]
	v_fmac_f32_e32 v155, v143, v224
	v_mul_f32_e32 v157, v144, v227
	v_fma_f32 v154, v142, v224, -v2
	v_mul_f32_e32 v2, v145, v227
	s_waitcnt vmcnt(14)
	v_pk_fma_f32 v[100:101], v[146:147], v[150:151], v[98:99] op_sel:[0,0,1] op_sel_hi:[1,1,0] neg_lo:[0,0,1] neg_hi:[0,0,1]
	v_pk_fma_f32 v[98:99], v[146:147], v[150:151], v[98:99] op_sel:[0,0,1] op_sel_hi:[1,0,0]
	v_fmac_f32_e32 v157, v145, v226
	v_fma_f32 v156, v144, v226, -v2
	ds_read_b128 v[2:5], v16 offset:592
	ds_read_b128 v[6:9], v16 offset:608
	;; [unrolled: 1-line block ×3, first 2 shown]
	v_pk_add_f32 v[16:17], v[152:153], v[154:155]
	s_waitcnt vmcnt(7)
	v_mov_b32_e32 v98, v165
	v_pk_add_f32 v[16:17], v[16:17], v[156:157]
	v_mov_b32_e32 v101, v99
	v_pk_mul_f32 v[98:99], v[148:149], v[98:99] op_sel_hi:[1,0]
	v_pk_add_f32 v[16:17], v[16:17], v[100:101]
	s_waitcnt vmcnt(6)
	v_pk_fma_f32 v[100:101], v[148:149], v[164:165], v[98:99] op_sel:[0,0,1] op_sel_hi:[1,1,0] neg_lo:[0,0,1] neg_hi:[0,0,1]
	v_pk_fma_f32 v[98:99], v[148:149], v[164:165], v[98:99] op_sel:[0,0,1] op_sel_hi:[1,0,0]
	v_mov_b32_e32 v98, v163
	v_mov_b32_e32 v101, v99
	s_waitcnt lgkmcnt(2)
	v_pk_mul_f32 v[98:99], v[2:3], v[98:99] op_sel_hi:[1,0]
	v_pk_add_f32 v[16:17], v[16:17], v[100:101]
	v_pk_fma_f32 v[100:101], v[2:3], v[162:163], v[98:99] op_sel:[0,0,1] op_sel_hi:[1,1,0] neg_lo:[0,0,1] neg_hi:[0,0,1]
	v_pk_fma_f32 v[2:3], v[2:3], v[162:163], v[98:99] op_sel:[0,0,1] op_sel_hi:[1,0,0]
	v_mov_b32_e32 v101, v3
	v_pk_add_f32 v[2:3], v[16:17], v[100:101]
	v_mov_b32_e32 v16, v161
	v_pk_mul_f32 v[16:17], v[4:5], v[16:17] op_sel_hi:[1,0]
	v_pk_fma_f32 v[98:99], v[4:5], v[160:161], v[16:17] op_sel:[0,0,1] op_sel_hi:[1,1,0] neg_lo:[0,0,1] neg_hi:[0,0,1]
	v_pk_fma_f32 v[4:5], v[4:5], v[160:161], v[16:17] op_sel:[0,0,1] op_sel_hi:[1,0,0]
	v_mov_b32_e32 v4, v159
	v_mov_b32_e32 v99, v5
	s_waitcnt lgkmcnt(1)
	v_pk_mul_f32 v[4:5], v[6:7], v[4:5] op_sel_hi:[1,0]
	v_pk_fma_f32 v[16:17], v[6:7], v[158:159], v[4:5] op_sel:[0,0,1] op_sel_hi:[1,1,0] neg_lo:[0,0,1] neg_hi:[0,0,1]
	v_pk_fma_f32 v[4:5], v[6:7], v[158:159], v[4:5] op_sel:[0,0,1] op_sel_hi:[1,0,0]
	s_waitcnt vmcnt(1)
	v_mov_b32_e32 v4, v171
	v_mov_b32_e32 v17, v5
	v_pk_mul_f32 v[4:5], v[8:9], v[4:5] op_sel_hi:[1,0]
	s_waitcnt vmcnt(0)
	v_pk_fma_f32 v[6:7], v[8:9], v[170:171], v[4:5] op_sel:[0,0,1] op_sel_hi:[1,1,0] neg_lo:[0,0,1] neg_hi:[0,0,1]
	v_pk_fma_f32 v[4:5], v[8:9], v[170:171], v[4:5] op_sel:[0,0,1] op_sel_hi:[1,0,0]
	v_pk_add_f32 v[2:3], v[2:3], v[98:99]
	v_mov_b32_e32 v4, v169
	v_pk_add_f32 v[2:3], v[2:3], v[16:17]
	v_mov_b32_e32 v7, v5
	s_waitcnt lgkmcnt(0)
	v_pk_mul_f32 v[4:5], v[10:11], v[4:5] op_sel_hi:[1,0]
	v_pk_add_f32 v[2:3], v[2:3], v[6:7]
	v_pk_fma_f32 v[6:7], v[10:11], v[168:169], v[4:5] op_sel:[0,0,1] op_sel_hi:[1,1,0] neg_lo:[0,0,1] neg_hi:[0,0,1]
	v_pk_fma_f32 v[4:5], v[10:11], v[168:169], v[4:5] op_sel:[0,0,1] op_sel_hi:[1,0,0]
	v_mov_b32_e32 v4, v167
	v_mov_b32_e32 v7, v5
	v_pk_mul_f32 v[4:5], v[12:13], v[4:5] op_sel_hi:[1,0]
	v_pk_add_f32 v[2:3], v[2:3], v[6:7]
	v_pk_fma_f32 v[6:7], v[12:13], v[166:167], v[4:5] op_sel:[0,0,1] op_sel_hi:[1,1,0] neg_lo:[0,0,1] neg_hi:[0,0,1]
	v_pk_fma_f32 v[4:5], v[12:13], v[166:167], v[4:5] op_sel:[0,0,1] op_sel_hi:[1,0,0]
	v_mov_b32_e32 v7, v5
	v_pk_add_f32 v[2:3], v[2:3], v[6:7]
	v_pk_add_f32 v[2:3], v[14:15], v[2:3] neg_lo:[0,1] neg_hi:[0,1]
	buffer_store_dword v3, off, s[0:3], 0 offset:12
	buffer_store_dword v2, off, s[0:3], 0 offset:8
	s_and_saveexec_b64 s[4:5], vcc
	s_cbranch_execz .LBB39_253
; %bb.252:
	buffer_load_dword v2, off, s[0:3], 0
	buffer_load_dword v3, off, s[0:3], 0 offset:4
	v_mov_b32_e32 v0, 0
	buffer_store_dword v0, off, s[0:3], 0
	buffer_store_dword v0, off, s[0:3], 0 offset:4
	s_waitcnt vmcnt(2)
	ds_write_b64 v1, v[2:3]
.LBB39_253:
	s_or_b64 exec, exec, s[4:5]
	s_waitcnt lgkmcnt(0)
	; wave barrier
	s_waitcnt lgkmcnt(0)
	buffer_load_dword v146, off, s[0:3], 0 offset:12
	buffer_load_dword v148, off, s[0:3], 0 offset:20
	;; [unrolled: 1-line block ×22, first 2 shown]
	buffer_load_dword v0, off, s[0:3], 0
	buffer_load_dword v1, off, s[0:3], 0 offset:4
	buffer_load_dword v187, off, s[0:3], 0 offset:96
	;; [unrolled: 1-line block ×25, first 2 shown]
	v_mov_b32_e32 v189, 0
	ds_read2_b64 v[2:5], v189 offset0:41 offset1:42
	buffer_load_dword v212, off, s[0:3], 0 offset:192
	buffer_load_dword v213, off, s[0:3], 0 offset:196
	;; [unrolled: 1-line block ×8, first 2 shown]
	ds_read2_b64 v[6:9], v189 offset0:43 offset1:44
	ds_read2_b64 v[10:13], v189 offset0:45 offset1:46
	ds_read2_b64 v[14:17], v189 offset0:47 offset1:48
	buffer_load_dword v220, off, s[0:3], 0 offset:224
	buffer_load_dword v221, off, s[0:3], 0 offset:228
	;; [unrolled: 1-line block ×8, first 2 shown]
	s_and_b64 vcc, exec, s[20:21]
	s_waitcnt vmcnt(62) lgkmcnt(3)
	v_mul_f32_e32 v98, v2, v146
	v_mul_f32_e32 v99, v4, v148
	s_waitcnt vmcnt(61) lgkmcnt(2)
	v_mul_f32_e32 v100, v6, v150
	s_waitcnt vmcnt(60)
	v_mul_f32_e32 v101, v8, v168
	s_waitcnt vmcnt(59) lgkmcnt(1)
	v_mul_f32_e32 v102, v10, v169
	s_waitcnt vmcnt(58)
	;; [unrolled: 4-line block ×3, first 2 shown]
	v_fmac_f32_e32 v98, v3, v172
	s_waitcnt vmcnt(55)
	v_fmac_f32_e32 v99, v5, v173
	v_add_f32_e32 v98, 0, v98
	s_waitcnt vmcnt(54)
	v_fmac_f32_e32 v100, v7, v174
	v_add_f32_e32 v98, v98, v99
	;; [unrolled: 3-line block ×6, first 2 shown]
	v_add_f32_e32 v102, v98, v104
	ds_read2_b64 v[98:101], v189 offset0:49 offset1:50
	s_waitcnt vmcnt(49)
	v_mul_f32_e32 v103, v16, v179
	s_waitcnt vmcnt(48)
	v_fmac_f32_e32 v103, v17, v180
	v_add_f32_e32 v106, v102, v103
	ds_read2_b64 v[102:105], v189 offset0:51 offset1:52
	s_waitcnt vmcnt(47) lgkmcnt(1)
	v_mul_f32_e32 v107, v98, v181
	s_waitcnt vmcnt(46)
	v_fmac_f32_e32 v107, v99, v182
	v_add_f32_e32 v106, v106, v107
	s_waitcnt vmcnt(45)
	v_mul_f32_e32 v107, v100, v183
	s_waitcnt vmcnt(44)
	v_fmac_f32_e32 v107, v101, v184
	v_add_f32_e32 v106, v106, v107
	s_waitcnt vmcnt(42) lgkmcnt(0)
	v_mul_f32_e32 v107, v102, v186
	v_fmac_f32_e32 v107, v103, v185
	v_add_f32_e32 v110, v106, v107
	ds_read2_b64 v[106:109], v189 offset0:53 offset1:54
	s_waitcnt vmcnt(38)
	v_mul_f32_e32 v111, v104, v188
	v_fmac_f32_e32 v111, v105, v187
	v_add_f32_e32 v114, v110, v111
	ds_read2_b64 v[110:113], v189 offset0:55 offset1:56
	s_waitcnt vmcnt(36) lgkmcnt(1)
	v_mul_f32_e32 v115, v106, v191
	v_fmac_f32_e32 v115, v107, v190
	v_add_f32_e32 v114, v114, v115
	s_waitcnt vmcnt(34)
	v_mul_f32_e32 v115, v108, v193
	v_fmac_f32_e32 v115, v109, v192
	v_add_f32_e32 v114, v114, v115
	s_waitcnt vmcnt(32) lgkmcnt(0)
	v_mul_f32_e32 v115, v110, v195
	v_fmac_f32_e32 v115, v111, v194
	v_add_f32_e32 v118, v114, v115
	ds_read2_b64 v[114:117], v189 offset0:57 offset1:58
	s_waitcnt vmcnt(30)
	v_mul_f32_e32 v119, v112, v197
	v_fmac_f32_e32 v119, v113, v196
	v_add_f32_e32 v122, v118, v119
	ds_read2_b64 v[118:121], v189 offset0:59 offset1:60
	s_waitcnt vmcnt(28) lgkmcnt(1)
	v_mul_f32_e32 v123, v114, v199
	v_fmac_f32_e32 v123, v115, v198
	v_add_f32_e32 v122, v122, v123
	s_waitcnt vmcnt(26)
	v_mul_f32_e32 v123, v116, v201
	;; [unrolled: 18-line block ×4, first 2 shown]
	v_fmac_f32_e32 v139, v133, v216
	v_add_f32_e32 v138, v138, v139
	s_waitcnt vmcnt(8) lgkmcnt(0)
	v_mul_f32_e32 v139, v134, v219
	v_fmac_f32_e32 v139, v135, v218
	s_waitcnt vmcnt(6)
	v_mul_f32_e32 v143, v136, v221
	v_add_f32_e32 v142, v138, v139
	v_fmac_f32_e32 v143, v137, v220
	ds_read2_b64 v[138:141], v189 offset0:69 offset1:70
	v_add_f32_e32 v147, v142, v143
	ds_read2_b64 v[142:145], v189 offset0:71 offset1:72
	buffer_load_dword v153, off, s[0:3], 0 offset:284
	buffer_load_dword v152, off, s[0:3], 0 offset:280
	buffer_load_dword v155, off, s[0:3], 0 offset:276
	buffer_load_dword v154, off, s[0:3], 0 offset:272
	buffer_load_dword v157, off, s[0:3], 0 offset:268
	buffer_load_dword v156, off, s[0:3], 0 offset:264
	buffer_load_dword v159, off, s[0:3], 0 offset:260
	buffer_load_dword v158, off, s[0:3], 0 offset:256
	buffer_load_dword v161, off, s[0:3], 0 offset:316
	buffer_load_dword v160, off, s[0:3], 0 offset:312
	buffer_load_dword v163, off, s[0:3], 0 offset:308
	buffer_load_dword v162, off, s[0:3], 0 offset:304
	buffer_load_dword v165, off, s[0:3], 0 offset:300
	buffer_load_dword v164, off, s[0:3], 0 offset:296
	buffer_load_dword v167, off, s[0:3], 0 offset:292
	buffer_load_dword v166, off, s[0:3], 0 offset:288
	v_mul_f32_e32 v3, v3, v146
	v_fma_f32 v2, v2, v172, -v3
	v_mul_f32_e32 v3, v5, v148
	v_add_f32_e32 v2, 0, v2
	v_fma_f32 v3, v4, v173, -v3
	v_add_f32_e32 v2, v2, v3
	v_mul_f32_e32 v3, v7, v150
	v_fma_f32 v3, v6, v174, -v3
	v_add_f32_e32 v2, v2, v3
	v_mul_f32_e32 v3, v9, v168
	;; [unrolled: 3-line block ×26, first 2 shown]
	v_fma_f32 v3, v136, v220, -v3
	v_add_f32_e32 v2, v2, v3
	s_waitcnt vmcnt(20) lgkmcnt(1)
	v_mul_f32_e32 v3, v139, v223
	v_mul_f32_e32 v149, v138, v223
	v_fma_f32 v3, v138, v222, -v3
	v_fmac_f32_e32 v149, v139, v222
	v_add_f32_e32 v146, v2, v3
	s_waitcnt vmcnt(18)
	v_mul_f32_e32 v2, v141, v225
	s_waitcnt vmcnt(9)
	v_mov_b32_e32 v98, v159
	v_add_f32_e32 v147, v147, v149
	v_mul_f32_e32 v149, v140, v225
	v_fma_f32 v148, v140, v224, -v2
	s_waitcnt lgkmcnt(0)
	v_mul_f32_e32 v2, v143, v227
	v_pk_mul_f32 v[98:99], v[144:145], v[98:99] op_sel_hi:[1,0]
	v_fmac_f32_e32 v149, v141, v224
	v_mul_f32_e32 v151, v142, v227
	v_fma_f32 v150, v142, v226, -v2
	ds_read2_b64 v[2:5], v189 offset0:73 offset1:74
	ds_read2_b64 v[6:9], v189 offset0:75 offset1:76
	ds_read2_b64 v[10:13], v189 offset0:77 offset1:78
	ds_read_b64 v[14:15], v189 offset:632
	s_waitcnt vmcnt(8)
	v_pk_fma_f32 v[100:101], v[144:145], v[158:159], v[98:99] op_sel:[0,0,1] op_sel_hi:[1,1,0] neg_lo:[0,0,1] neg_hi:[0,0,1]
	v_pk_fma_f32 v[98:99], v[144:145], v[158:159], v[98:99] op_sel:[0,0,1] op_sel_hi:[1,0,0]
	v_fmac_f32_e32 v151, v143, v226
	v_pk_add_f32 v[16:17], v[146:147], v[148:149]
	v_mov_b32_e32 v98, v157
	v_pk_add_f32 v[16:17], v[16:17], v[150:151]
	v_mov_b32_e32 v101, v99
	s_waitcnt lgkmcnt(3)
	v_pk_mul_f32 v[98:99], v[2:3], v[98:99] op_sel_hi:[1,0]
	v_pk_add_f32 v[16:17], v[16:17], v[100:101]
	v_pk_fma_f32 v[100:101], v[2:3], v[156:157], v[98:99] op_sel:[0,0,1] op_sel_hi:[1,1,0] neg_lo:[0,0,1] neg_hi:[0,0,1]
	v_pk_fma_f32 v[2:3], v[2:3], v[156:157], v[98:99] op_sel:[0,0,1] op_sel_hi:[1,0,0]
	v_mov_b32_e32 v101, v3
	v_pk_add_f32 v[2:3], v[16:17], v[100:101]
	v_mov_b32_e32 v16, v155
	v_pk_mul_f32 v[16:17], v[4:5], v[16:17] op_sel_hi:[1,0]
	v_pk_fma_f32 v[98:99], v[4:5], v[154:155], v[16:17] op_sel:[0,0,1] op_sel_hi:[1,1,0] neg_lo:[0,0,1] neg_hi:[0,0,1]
	v_pk_fma_f32 v[4:5], v[4:5], v[154:155], v[16:17] op_sel:[0,0,1] op_sel_hi:[1,0,0]
	v_mov_b32_e32 v4, v153
	v_mov_b32_e32 v99, v5
	s_waitcnt lgkmcnt(2)
	v_pk_mul_f32 v[4:5], v[6:7], v[4:5] op_sel_hi:[1,0]
	v_pk_fma_f32 v[16:17], v[6:7], v[152:153], v[4:5] op_sel:[0,0,1] op_sel_hi:[1,1,0] neg_lo:[0,0,1] neg_hi:[0,0,1]
	v_pk_fma_f32 v[4:5], v[6:7], v[152:153], v[4:5] op_sel:[0,0,1] op_sel_hi:[1,0,0]
	s_waitcnt vmcnt(1)
	v_mov_b32_e32 v4, v167
	v_mov_b32_e32 v17, v5
	v_pk_mul_f32 v[4:5], v[8:9], v[4:5] op_sel_hi:[1,0]
	s_waitcnt vmcnt(0)
	v_pk_fma_f32 v[6:7], v[8:9], v[166:167], v[4:5] op_sel:[0,0,1] op_sel_hi:[1,1,0] neg_lo:[0,0,1] neg_hi:[0,0,1]
	v_pk_fma_f32 v[4:5], v[8:9], v[166:167], v[4:5] op_sel:[0,0,1] op_sel_hi:[1,0,0]
	v_pk_add_f32 v[2:3], v[2:3], v[98:99]
	v_mov_b32_e32 v4, v165
	v_pk_add_f32 v[2:3], v[2:3], v[16:17]
	v_mov_b32_e32 v7, v5
	s_waitcnt lgkmcnt(1)
	v_pk_mul_f32 v[4:5], v[10:11], v[4:5] op_sel_hi:[1,0]
	v_pk_add_f32 v[2:3], v[2:3], v[6:7]
	v_pk_fma_f32 v[6:7], v[10:11], v[164:165], v[4:5] op_sel:[0,0,1] op_sel_hi:[1,1,0] neg_lo:[0,0,1] neg_hi:[0,0,1]
	v_pk_fma_f32 v[4:5], v[10:11], v[164:165], v[4:5] op_sel:[0,0,1] op_sel_hi:[1,0,0]
	v_mov_b32_e32 v4, v163
	v_mov_b32_e32 v7, v5
	v_pk_mul_f32 v[4:5], v[12:13], v[4:5] op_sel_hi:[1,0]
	v_pk_add_f32 v[2:3], v[2:3], v[6:7]
	v_pk_fma_f32 v[6:7], v[12:13], v[162:163], v[4:5] op_sel:[0,0,1] op_sel_hi:[1,1,0] neg_lo:[0,0,1] neg_hi:[0,0,1]
	v_pk_fma_f32 v[4:5], v[12:13], v[162:163], v[4:5] op_sel:[0,0,1] op_sel_hi:[1,0,0]
	v_mov_b32_e32 v4, v161
	v_mov_b32_e32 v7, v5
	s_waitcnt lgkmcnt(0)
	v_pk_mul_f32 v[4:5], v[14:15], v[4:5] op_sel_hi:[1,0]
	v_pk_add_f32 v[2:3], v[2:3], v[6:7]
	v_pk_fma_f32 v[6:7], v[14:15], v[160:161], v[4:5] op_sel:[0,0,1] op_sel_hi:[1,1,0] neg_lo:[0,0,1] neg_hi:[0,0,1]
	v_pk_fma_f32 v[4:5], v[14:15], v[160:161], v[4:5] op_sel:[0,0,1] op_sel_hi:[1,0,0]
	v_mov_b32_e32 v7, v5
	v_pk_add_f32 v[2:3], v[2:3], v[6:7]
	v_pk_add_f32 v[0:1], v[0:1], v[2:3] neg_lo:[0,1] neg_hi:[0,1]
	buffer_store_dword v1, off, s[0:3], 0 offset:4
	buffer_store_dword v0, off, s[0:3], 0
	s_cbranch_vccz .LBB39_333
; %bb.254:
	v_pk_mov_b32 v[0:1], s[10:11], s[10:11] op_sel:[0,1]
	flat_load_dword v0, v[0:1] offset:152
	s_waitcnt vmcnt(0) lgkmcnt(0)
	v_add_u32_e32 v0, -1, v0
	v_cmp_ne_u32_e32 vcc, 38, v0
	s_and_saveexec_b64 s[4:5], vcc
	s_cbranch_execz .LBB39_256
; %bb.255:
	v_mov_b32_e32 v1, 0
	v_lshl_add_u32 v0, v0, 3, v1
	buffer_load_dword v1, v0, s[0:3], 0 offen
	buffer_load_dword v2, v0, s[0:3], 0 offen offset:4
	buffer_load_dword v3, off, s[0:3], 0 offset:308
	buffer_load_dword v4, off, s[0:3], 0 offset:304
	s_waitcnt vmcnt(3)
	buffer_store_dword v1, off, s[0:3], 0 offset:304
	s_waitcnt vmcnt(3)
	buffer_store_dword v2, off, s[0:3], 0 offset:308
	s_waitcnt vmcnt(3)
	buffer_store_dword v3, v0, s[0:3], 0 offen offset:4
	s_waitcnt vmcnt(3)
	buffer_store_dword v4, v0, s[0:3], 0 offen
.LBB39_256:
	s_or_b64 exec, exec, s[4:5]
	v_pk_mov_b32 v[0:1], s[10:11], s[10:11] op_sel:[0,1]
	flat_load_dword v0, v[0:1] offset:148
	s_waitcnt vmcnt(0) lgkmcnt(0)
	v_add_u32_e32 v0, -1, v0
	v_cmp_ne_u32_e32 vcc, 37, v0
	s_and_saveexec_b64 s[4:5], vcc
	s_cbranch_execz .LBB39_258
; %bb.257:
	v_mov_b32_e32 v1, 0
	v_lshl_add_u32 v0, v0, 3, v1
	buffer_load_dword v1, v0, s[0:3], 0 offen
	buffer_load_dword v2, v0, s[0:3], 0 offen offset:4
	buffer_load_dword v3, off, s[0:3], 0 offset:296
	buffer_load_dword v4, off, s[0:3], 0 offset:300
	s_waitcnt vmcnt(3)
	buffer_store_dword v1, off, s[0:3], 0 offset:296
	s_waitcnt vmcnt(3)
	buffer_store_dword v2, off, s[0:3], 0 offset:300
	s_waitcnt vmcnt(3)
	buffer_store_dword v3, v0, s[0:3], 0 offen
	s_waitcnt vmcnt(3)
	buffer_store_dword v4, v0, s[0:3], 0 offen offset:4
.LBB39_258:
	s_or_b64 exec, exec, s[4:5]
	v_pk_mov_b32 v[0:1], s[10:11], s[10:11] op_sel:[0,1]
	flat_load_dword v0, v[0:1] offset:144
	s_waitcnt vmcnt(0) lgkmcnt(0)
	v_add_u32_e32 v0, -1, v0
	v_cmp_ne_u32_e32 vcc, 36, v0
	s_and_saveexec_b64 s[4:5], vcc
	s_cbranch_execz .LBB39_260
; %bb.259:
	v_mov_b32_e32 v1, 0
	v_lshl_add_u32 v0, v0, 3, v1
	buffer_load_dword v1, v0, s[0:3], 0 offen
	buffer_load_dword v2, v0, s[0:3], 0 offen offset:4
	buffer_load_dword v3, off, s[0:3], 0 offset:292
	buffer_load_dword v4, off, s[0:3], 0 offset:288
	s_waitcnt vmcnt(3)
	buffer_store_dword v1, off, s[0:3], 0 offset:288
	s_waitcnt vmcnt(3)
	buffer_store_dword v2, off, s[0:3], 0 offset:292
	s_waitcnt vmcnt(3)
	buffer_store_dword v3, v0, s[0:3], 0 offen offset:4
	s_waitcnt vmcnt(3)
	buffer_store_dword v4, v0, s[0:3], 0 offen
.LBB39_260:
	s_or_b64 exec, exec, s[4:5]
	v_pk_mov_b32 v[0:1], s[10:11], s[10:11] op_sel:[0,1]
	flat_load_dword v0, v[0:1] offset:140
	s_waitcnt vmcnt(0) lgkmcnt(0)
	v_add_u32_e32 v0, -1, v0
	v_cmp_ne_u32_e32 vcc, 35, v0
	s_and_saveexec_b64 s[4:5], vcc
	s_cbranch_execz .LBB39_262
; %bb.261:
	v_mov_b32_e32 v1, 0
	v_lshl_add_u32 v0, v0, 3, v1
	buffer_load_dword v1, v0, s[0:3], 0 offen
	buffer_load_dword v2, v0, s[0:3], 0 offen offset:4
	buffer_load_dword v3, off, s[0:3], 0 offset:280
	buffer_load_dword v4, off, s[0:3], 0 offset:284
	s_waitcnt vmcnt(3)
	buffer_store_dword v1, off, s[0:3], 0 offset:280
	s_waitcnt vmcnt(3)
	buffer_store_dword v2, off, s[0:3], 0 offset:284
	s_waitcnt vmcnt(3)
	buffer_store_dword v3, v0, s[0:3], 0 offen
	s_waitcnt vmcnt(3)
	buffer_store_dword v4, v0, s[0:3], 0 offen offset:4
.LBB39_262:
	s_or_b64 exec, exec, s[4:5]
	;; [unrolled: 48-line block ×19, first 2 shown]
	v_pk_mov_b32 v[0:1], s[10:11], s[10:11] op_sel:[0,1]
	flat_load_dword v2, v[0:1]
	s_nop 0
	buffer_load_dword v0, off, s[0:3], 0
	buffer_load_dword v1, off, s[0:3], 0 offset:4
	s_waitcnt vmcnt(0) lgkmcnt(0)
	v_add_u32_e32 v2, -1, v2
	v_cmp_ne_u32_e32 vcc, 0, v2
	s_and_saveexec_b64 s[4:5], vcc
	s_cbranch_execz .LBB39_332
; %bb.331:
	v_mov_b32_e32 v3, 0
	v_lshl_add_u32 v2, v2, 3, v3
	buffer_load_dword v3, v2, s[0:3], 0 offen offset:4
	buffer_load_dword v4, v2, s[0:3], 0 offen
	s_waitcnt vmcnt(1)
	buffer_store_dword v3, off, s[0:3], 0 offset:4
	s_waitcnt vmcnt(1)
	buffer_store_dword v4, off, s[0:3], 0
	buffer_store_dword v1, v2, s[0:3], 0 offen offset:4
	buffer_store_dword v0, v2, s[0:3], 0 offen
	buffer_load_dword v0, off, s[0:3], 0
	s_nop 0
	buffer_load_dword v1, off, s[0:3], 0 offset:4
.LBB39_332:
	s_or_b64 exec, exec, s[4:5]
.LBB39_333:
	buffer_load_dword v2, off, s[0:3], 0 offset:8
	buffer_load_dword v3, off, s[0:3], 0 offset:12
	;; [unrolled: 1-line block ×78, first 2 shown]
	s_waitcnt vmcnt(62)
	global_store_dwordx2 v[86:87], v[0:1], off
	global_store_dwordx2 v[88:89], v[2:3], off
	;; [unrolled: 1-line block ×9, first 2 shown]
	s_waitcnt vmcnt(62)
	global_store_dwordx2 v[32:33], v[98:99], off
	global_store_dwordx2 v[34:35], v[100:101], off
	;; [unrolled: 1-line block ×4, first 2 shown]
	s_waitcnt vmcnt(62)
	global_store_dwordx2 v[40:41], v[106:107], off
	global_store_dwordx2 v[42:43], v[108:109], off
	s_waitcnt vmcnt(62)
	global_store_dwordx2 v[44:45], v[110:111], off
	s_waitcnt vmcnt(62)
	;; [unrolled: 2-line block ×25, first 2 shown]
	global_store_dwordx2 v[96:97], v[158:159], off
	s_endpgm
	.section	.rodata,"a",@progbits
	.p2align	6, 0x0
	.amdhsa_kernel _ZN9rocsolver6v33100L18getri_kernel_smallILi40E19rocblas_complex_numIfEPS3_EEvT1_iilPiilS6_bb
		.amdhsa_group_segment_fixed_size 644
		.amdhsa_private_segment_fixed_size 336
		.amdhsa_kernarg_size 60
		.amdhsa_user_sgpr_count 8
		.amdhsa_user_sgpr_private_segment_buffer 1
		.amdhsa_user_sgpr_dispatch_ptr 0
		.amdhsa_user_sgpr_queue_ptr 0
		.amdhsa_user_sgpr_kernarg_segment_ptr 1
		.amdhsa_user_sgpr_dispatch_id 0
		.amdhsa_user_sgpr_flat_scratch_init 1
		.amdhsa_user_sgpr_kernarg_preload_length 0
		.amdhsa_user_sgpr_kernarg_preload_offset 0
		.amdhsa_user_sgpr_private_segment_size 0
		.amdhsa_uses_dynamic_stack 0
		.amdhsa_system_sgpr_private_segment_wavefront_offset 1
		.amdhsa_system_sgpr_workgroup_id_x 1
		.amdhsa_system_sgpr_workgroup_id_y 0
		.amdhsa_system_sgpr_workgroup_id_z 0
		.amdhsa_system_sgpr_workgroup_info 0
		.amdhsa_system_vgpr_workitem_id 0
		.amdhsa_next_free_vgpr 228
		.amdhsa_next_free_sgpr 23
		.amdhsa_accum_offset 228
		.amdhsa_reserve_vcc 1
		.amdhsa_reserve_flat_scratch 1
		.amdhsa_float_round_mode_32 0
		.amdhsa_float_round_mode_16_64 0
		.amdhsa_float_denorm_mode_32 3
		.amdhsa_float_denorm_mode_16_64 3
		.amdhsa_dx10_clamp 1
		.amdhsa_ieee_mode 1
		.amdhsa_fp16_overflow 0
		.amdhsa_tg_split 0
		.amdhsa_exception_fp_ieee_invalid_op 0
		.amdhsa_exception_fp_denorm_src 0
		.amdhsa_exception_fp_ieee_div_zero 0
		.amdhsa_exception_fp_ieee_overflow 0
		.amdhsa_exception_fp_ieee_underflow 0
		.amdhsa_exception_fp_ieee_inexact 0
		.amdhsa_exception_int_div_zero 0
	.end_amdhsa_kernel
	.section	.text._ZN9rocsolver6v33100L18getri_kernel_smallILi40E19rocblas_complex_numIfEPS3_EEvT1_iilPiilS6_bb,"axG",@progbits,_ZN9rocsolver6v33100L18getri_kernel_smallILi40E19rocblas_complex_numIfEPS3_EEvT1_iilPiilS6_bb,comdat
.Lfunc_end39:
	.size	_ZN9rocsolver6v33100L18getri_kernel_smallILi40E19rocblas_complex_numIfEPS3_EEvT1_iilPiilS6_bb, .Lfunc_end39-_ZN9rocsolver6v33100L18getri_kernel_smallILi40E19rocblas_complex_numIfEPS3_EEvT1_iilPiilS6_bb
                                        ; -- End function
	.section	.AMDGPU.csdata,"",@progbits
; Kernel info:
; codeLenInByte = 68376
; NumSgprs: 29
; NumVgprs: 228
; NumAgprs: 0
; TotalNumVgprs: 228
; ScratchSize: 336
; MemoryBound: 0
; FloatMode: 240
; IeeeMode: 1
; LDSByteSize: 644 bytes/workgroup (compile time only)
; SGPRBlocks: 3
; VGPRBlocks: 28
; NumSGPRsForWavesPerEU: 29
; NumVGPRsForWavesPerEU: 228
; AccumOffset: 228
; Occupancy: 2
; WaveLimiterHint : 1
; COMPUTE_PGM_RSRC2:SCRATCH_EN: 1
; COMPUTE_PGM_RSRC2:USER_SGPR: 8
; COMPUTE_PGM_RSRC2:TRAP_HANDLER: 0
; COMPUTE_PGM_RSRC2:TGID_X_EN: 1
; COMPUTE_PGM_RSRC2:TGID_Y_EN: 0
; COMPUTE_PGM_RSRC2:TGID_Z_EN: 0
; COMPUTE_PGM_RSRC2:TIDIG_COMP_CNT: 0
; COMPUTE_PGM_RSRC3_GFX90A:ACCUM_OFFSET: 56
; COMPUTE_PGM_RSRC3_GFX90A:TG_SPLIT: 0
	.section	.text._ZN9rocsolver6v33100L18getri_kernel_smallILi41E19rocblas_complex_numIfEPS3_EEvT1_iilPiilS6_bb,"axG",@progbits,_ZN9rocsolver6v33100L18getri_kernel_smallILi41E19rocblas_complex_numIfEPS3_EEvT1_iilPiilS6_bb,comdat
	.globl	_ZN9rocsolver6v33100L18getri_kernel_smallILi41E19rocblas_complex_numIfEPS3_EEvT1_iilPiilS6_bb ; -- Begin function _ZN9rocsolver6v33100L18getri_kernel_smallILi41E19rocblas_complex_numIfEPS3_EEvT1_iilPiilS6_bb
	.p2align	8
	.type	_ZN9rocsolver6v33100L18getri_kernel_smallILi41E19rocblas_complex_numIfEPS3_EEvT1_iilPiilS6_bb,@function
_ZN9rocsolver6v33100L18getri_kernel_smallILi41E19rocblas_complex_numIfEPS3_EEvT1_iilPiilS6_bb: ; @_ZN9rocsolver6v33100L18getri_kernel_smallILi41E19rocblas_complex_numIfEPS3_EEvT1_iilPiilS6_bb
; %bb.0:
	s_add_u32 flat_scratch_lo, s6, s9
	s_addc_u32 flat_scratch_hi, s7, 0
	s_add_u32 s0, s0, s9
	s_addc_u32 s1, s1, 0
	v_cmp_gt_u32_e32 vcc, 41, v0
	s_and_saveexec_b64 s[6:7], vcc
	s_cbranch_execz .LBB40_178
; %bb.1:
	s_load_dword s22, s[4:5], 0x38
	s_load_dwordx4 s[16:19], s[4:5], 0x10
	s_load_dwordx4 s[12:15], s[4:5], 0x28
                                        ; implicit-def: $sgpr10_sgpr11
	s_waitcnt lgkmcnt(0)
	s_bitcmp1_b32 s22, 8
	s_cselect_b64 s[20:21], -1, 0
	s_ashr_i32 s9, s8, 31
	s_bfe_u32 s6, s22, 0x10008
	s_cmp_eq_u32 s6, 0
	s_cbranch_scc1 .LBB40_3
; %bb.2:
	s_load_dword s6, s[4:5], 0x20
	s_mul_i32 s7, s8, s13
	s_mul_hi_u32 s10, s8, s12
	s_mul_i32 s11, s9, s12
	s_add_i32 s10, s10, s7
	s_add_i32 s11, s10, s11
	s_mul_i32 s10, s8, s12
	s_waitcnt lgkmcnt(0)
	s_ashr_i32 s7, s6, 31
	s_lshl_b64 s[10:11], s[10:11], 2
	s_add_u32 s10, s18, s10
	s_addc_u32 s11, s19, s11
	s_lshl_b64 s[6:7], s[6:7], 2
	s_add_u32 s10, s10, s6
	s_addc_u32 s11, s11, s7
.LBB40_3:
	s_load_dwordx4 s[4:7], s[4:5], 0x0
	s_mul_i32 s12, s8, s17
	s_mul_hi_u32 s13, s8, s16
	s_add_i32 s17, s13, s12
	v_lshlrev_b32_e32 v6, 3, v0
	s_waitcnt lgkmcnt(0)
	s_ashr_i32 s13, s6, 31
	s_mov_b32 s12, s6
	s_mul_i32 s6, s9, s16
	s_add_i32 s17, s17, s6
	s_mul_i32 s16, s8, s16
	s_lshl_b64 s[16:17], s[16:17], 3
	s_add_u32 s6, s4, s16
	s_addc_u32 s16, s5, s17
	s_lshl_b64 s[4:5], s[12:13], 3
	s_add_u32 s4, s6, s4
	s_addc_u32 s5, s16, s5
	s_add_i32 s6, s7, s7
	v_add_u32_e32 v2, s6, v0
	v_ashrrev_i32_e32 v3, 31, v2
	v_lshlrev_b64 v[4:5], 3, v[2:3]
	v_add_u32_e32 v2, s7, v2
	v_mov_b32_e32 v1, s5
	v_add_co_u32_e32 v16, vcc, s4, v4
	v_ashrrev_i32_e32 v3, 31, v2
	v_addc_co_u32_e32 v17, vcc, v1, v5, vcc
	v_lshlrev_b64 v[4:5], 3, v[2:3]
	v_add_u32_e32 v2, s7, v2
	v_add_co_u32_e32 v18, vcc, s4, v4
	v_ashrrev_i32_e32 v3, 31, v2
	v_addc_co_u32_e32 v19, vcc, v1, v5, vcc
	v_lshlrev_b64 v[4:5], 3, v[2:3]
	v_add_u32_e32 v2, s7, v2
	v_add_co_u32_e32 v20, vcc, s4, v4
	v_ashrrev_i32_e32 v3, 31, v2
	v_addc_co_u32_e32 v21, vcc, v1, v5, vcc
	v_lshlrev_b64 v[4:5], 3, v[2:3]
	v_add_u32_e32 v2, s7, v2
	v_add_co_u32_e32 v22, vcc, s4, v4
	v_ashrrev_i32_e32 v3, 31, v2
	v_addc_co_u32_e32 v23, vcc, v1, v5, vcc
	v_lshlrev_b64 v[4:5], 3, v[2:3]
	v_add_u32_e32 v2, s7, v2
	v_add_co_u32_e32 v24, vcc, s4, v4
	v_ashrrev_i32_e32 v3, 31, v2
	v_addc_co_u32_e32 v25, vcc, v1, v5, vcc
	v_lshlrev_b64 v[4:5], 3, v[2:3]
	v_add_u32_e32 v2, s7, v2
	v_add_co_u32_e32 v26, vcc, s4, v4
	v_ashrrev_i32_e32 v3, 31, v2
	v_addc_co_u32_e32 v27, vcc, v1, v5, vcc
	v_lshlrev_b64 v[4:5], 3, v[2:3]
	v_add_u32_e32 v2, s7, v2
	v_add_co_u32_e32 v28, vcc, s4, v4
	v_ashrrev_i32_e32 v3, 31, v2
	v_addc_co_u32_e32 v29, vcc, v1, v5, vcc
	v_lshlrev_b64 v[4:5], 3, v[2:3]
	v_add_u32_e32 v2, s7, v2
	v_add_co_u32_e32 v30, vcc, s4, v4
	v_ashrrev_i32_e32 v3, 31, v2
	v_addc_co_u32_e32 v31, vcc, v1, v5, vcc
	v_lshlrev_b64 v[4:5], 3, v[2:3]
	v_add_u32_e32 v2, s7, v2
	v_add_co_u32_e32 v32, vcc, s4, v4
	v_ashrrev_i32_e32 v3, 31, v2
	v_addc_co_u32_e32 v33, vcc, v1, v5, vcc
	v_lshlrev_b64 v[4:5], 3, v[2:3]
	v_add_u32_e32 v2, s7, v2
	v_add_co_u32_e32 v34, vcc, s4, v4
	v_ashrrev_i32_e32 v3, 31, v2
	v_addc_co_u32_e32 v35, vcc, v1, v5, vcc
	v_lshlrev_b64 v[4:5], 3, v[2:3]
	v_add_u32_e32 v2, s7, v2
	v_add_co_u32_e32 v36, vcc, s4, v4
	v_ashrrev_i32_e32 v3, 31, v2
	v_addc_co_u32_e32 v37, vcc, v1, v5, vcc
	v_lshlrev_b64 v[4:5], 3, v[2:3]
	v_add_u32_e32 v2, s7, v2
	v_add_co_u32_e32 v38, vcc, s4, v4
	v_ashrrev_i32_e32 v3, 31, v2
	v_addc_co_u32_e32 v39, vcc, v1, v5, vcc
	v_lshlrev_b64 v[4:5], 3, v[2:3]
	v_add_u32_e32 v2, s7, v2
	v_add_co_u32_e32 v40, vcc, s4, v4
	v_ashrrev_i32_e32 v3, 31, v2
	v_addc_co_u32_e32 v41, vcc, v1, v5, vcc
	v_lshlrev_b64 v[4:5], 3, v[2:3]
	v_add_u32_e32 v2, s7, v2
	v_add_co_u32_e32 v42, vcc, s4, v4
	v_ashrrev_i32_e32 v3, 31, v2
	v_addc_co_u32_e32 v43, vcc, v1, v5, vcc
	v_lshlrev_b64 v[4:5], 3, v[2:3]
	v_add_u32_e32 v2, s7, v2
	v_add_co_u32_e32 v44, vcc, s4, v4
	v_ashrrev_i32_e32 v3, 31, v2
	v_addc_co_u32_e32 v45, vcc, v1, v5, vcc
	v_lshlrev_b64 v[4:5], 3, v[2:3]
	v_add_u32_e32 v2, s7, v2
	v_add_co_u32_e32 v46, vcc, s4, v4
	v_ashrrev_i32_e32 v3, 31, v2
	v_addc_co_u32_e32 v47, vcc, v1, v5, vcc
	v_lshlrev_b64 v[4:5], 3, v[2:3]
	v_add_u32_e32 v2, s7, v2
	v_add_co_u32_e32 v48, vcc, s4, v4
	v_ashrrev_i32_e32 v3, 31, v2
	v_addc_co_u32_e32 v49, vcc, v1, v5, vcc
	v_lshlrev_b64 v[4:5], 3, v[2:3]
	v_add_u32_e32 v2, s7, v2
	v_add_co_u32_e32 v50, vcc, s4, v4
	v_ashrrev_i32_e32 v3, 31, v2
	v_addc_co_u32_e32 v51, vcc, v1, v5, vcc
	v_lshlrev_b64 v[4:5], 3, v[2:3]
	v_add_u32_e32 v2, s7, v2
	v_add_co_u32_e32 v52, vcc, s4, v4
	v_ashrrev_i32_e32 v3, 31, v2
	v_addc_co_u32_e32 v53, vcc, v1, v5, vcc
	v_lshlrev_b64 v[4:5], 3, v[2:3]
	v_add_u32_e32 v2, s7, v2
	v_add_co_u32_e32 v54, vcc, s4, v4
	v_ashrrev_i32_e32 v3, 31, v2
	v_addc_co_u32_e32 v55, vcc, v1, v5, vcc
	v_lshlrev_b64 v[4:5], 3, v[2:3]
	v_add_u32_e32 v2, s7, v2
	v_add_co_u32_e32 v56, vcc, s4, v4
	v_ashrrev_i32_e32 v3, 31, v2
	v_addc_co_u32_e32 v57, vcc, v1, v5, vcc
	v_lshlrev_b64 v[4:5], 3, v[2:3]
	v_add_u32_e32 v2, s7, v2
	v_add_co_u32_e32 v58, vcc, s4, v4
	v_ashrrev_i32_e32 v3, 31, v2
	v_addc_co_u32_e32 v59, vcc, v1, v5, vcc
	v_lshlrev_b64 v[4:5], 3, v[2:3]
	v_add_u32_e32 v2, s7, v2
	v_add_co_u32_e32 v60, vcc, s4, v4
	v_ashrrev_i32_e32 v3, 31, v2
	v_addc_co_u32_e32 v61, vcc, v1, v5, vcc
	v_lshlrev_b64 v[4:5], 3, v[2:3]
	v_add_u32_e32 v2, s7, v2
	v_add_co_u32_e32 v62, vcc, s4, v4
	v_ashrrev_i32_e32 v3, 31, v2
	v_addc_co_u32_e32 v63, vcc, v1, v5, vcc
	v_lshlrev_b64 v[4:5], 3, v[2:3]
	v_add_u32_e32 v2, s7, v2
	v_add_co_u32_e32 v64, vcc, s4, v4
	v_ashrrev_i32_e32 v3, 31, v2
	v_addc_co_u32_e32 v65, vcc, v1, v5, vcc
	v_lshlrev_b64 v[4:5], 3, v[2:3]
	v_add_u32_e32 v2, s7, v2
	v_add_co_u32_e32 v66, vcc, s4, v4
	v_ashrrev_i32_e32 v3, 31, v2
	v_addc_co_u32_e32 v67, vcc, v1, v5, vcc
	v_lshlrev_b64 v[4:5], 3, v[2:3]
	v_add_u32_e32 v2, s7, v2
	v_add_co_u32_e32 v68, vcc, s4, v4
	v_ashrrev_i32_e32 v3, 31, v2
	v_addc_co_u32_e32 v69, vcc, v1, v5, vcc
	v_lshlrev_b64 v[4:5], 3, v[2:3]
	v_add_u32_e32 v2, s7, v2
	v_add_co_u32_e32 v70, vcc, s4, v4
	v_ashrrev_i32_e32 v3, 31, v2
	v_addc_co_u32_e32 v71, vcc, v1, v5, vcc
	v_lshlrev_b64 v[4:5], 3, v[2:3]
	v_add_u32_e32 v2, s7, v2
	v_add_co_u32_e32 v72, vcc, s4, v4
	v_ashrrev_i32_e32 v3, 31, v2
	v_addc_co_u32_e32 v73, vcc, v1, v5, vcc
	v_lshlrev_b64 v[4:5], 3, v[2:3]
	v_add_u32_e32 v2, s7, v2
	v_add_co_u32_e32 v74, vcc, s4, v4
	v_ashrrev_i32_e32 v3, 31, v2
	v_addc_co_u32_e32 v75, vcc, v1, v5, vcc
	v_lshlrev_b64 v[4:5], 3, v[2:3]
	v_add_u32_e32 v2, s7, v2
	v_add_co_u32_e32 v76, vcc, s4, v4
	v_ashrrev_i32_e32 v3, 31, v2
	v_addc_co_u32_e32 v77, vcc, v1, v5, vcc
	v_lshlrev_b64 v[4:5], 3, v[2:3]
	v_add_u32_e32 v2, s7, v2
	v_add_co_u32_e32 v78, vcc, s4, v4
	v_ashrrev_i32_e32 v3, 31, v2
	v_addc_co_u32_e32 v79, vcc, v1, v5, vcc
	v_lshlrev_b64 v[4:5], 3, v[2:3]
	v_add_u32_e32 v2, s7, v2
	v_add_co_u32_e32 v80, vcc, s4, v4
	v_ashrrev_i32_e32 v3, 31, v2
	v_addc_co_u32_e32 v81, vcc, v1, v5, vcc
	v_lshlrev_b64 v[4:5], 3, v[2:3]
	v_add_co_u32_e32 v82, vcc, s4, v4
	v_addc_co_u32_e32 v83, vcc, v1, v5, vcc
	v_add_co_u32_e32 v86, vcc, s4, v6
	s_ashr_i32 s13, s7, 31
	s_mov_b32 s12, s7
	v_add_u32_e32 v2, s7, v2
	v_addc_co_u32_e32 v87, vcc, 0, v1, vcc
	s_lshl_b64 s[12:13], s[12:13], 3
	v_ashrrev_i32_e32 v3, 31, v2
	v_mov_b32_e32 v1, s13
	v_add_co_u32_e32 v88, vcc, s12, v86
	v_addc_co_u32_e32 v89, vcc, v87, v1, vcc
	v_lshlrev_b64 v[12:13], 3, v[2:3]
	v_add_u32_e32 v2, s7, v2
	v_mov_b32_e32 v1, s5
	v_add_co_u32_e32 v84, vcc, s4, v12
	v_ashrrev_i32_e32 v3, 31, v2
	v_addc_co_u32_e32 v85, vcc, v1, v13, vcc
	v_lshlrev_b64 v[90:91], 3, v[2:3]
	v_add_u32_e32 v2, s7, v2
	v_add_co_u32_e32 v90, vcc, s4, v90
	v_ashrrev_i32_e32 v3, 31, v2
	v_addc_co_u32_e32 v91, vcc, v1, v91, vcc
	v_lshlrev_b64 v[92:93], 3, v[2:3]
	v_add_co_u32_e32 v92, vcc, s4, v92
	global_load_dwordx2 v[4:5], v6, s[4:5]
	global_load_dwordx2 v[10:11], v[16:17], off
	global_load_dwordx2 v[8:9], v[88:89], off
	;; [unrolled: 1-line block ×22, first 2 shown]
	v_addc_co_u32_e32 v93, vcc, v1, v93, vcc
	global_load_dwordx2 v[134:135], v[58:59], off
	global_load_dwordx2 v[136:137], v[60:61], off
	;; [unrolled: 1-line block ×16, first 2 shown]
	v_add_u32_e32 v2, s7, v2
	v_ashrrev_i32_e32 v3, 31, v2
	v_lshlrev_b64 v[94:95], 3, v[2:3]
	v_add_u32_e32 v2, s7, v2
	v_add_co_u32_e32 v94, vcc, s4, v94
	v_ashrrev_i32_e32 v3, 31, v2
	v_addc_co_u32_e32 v95, vcc, v1, v95, vcc
	v_lshlrev_b64 v[2:3], 3, v[2:3]
	v_add_co_u32_e32 v96, vcc, s4, v2
	v_addc_co_u32_e32 v97, vcc, v1, v3, vcc
	global_load_dwordx2 v[2:3], v[94:95], off
	global_load_dwordx2 v[166:167], v[96:97], off
	s_bitcmp0_b32 s22, 0
	s_mov_b64 s[6:7], -1
	s_waitcnt vmcnt(40)
	buffer_store_dword v5, off, s[0:3], 0 offset:4
	buffer_store_dword v4, off, s[0:3], 0
	s_waitcnt vmcnt(40)
	buffer_store_dword v9, off, s[0:3], 0 offset:12
	buffer_store_dword v8, off, s[0:3], 0 offset:8
	;; [unrolled: 1-line block ×4, first 2 shown]
	s_waitcnt vmcnt(43)
	buffer_store_dword v15, off, s[0:3], 0 offset:28
	buffer_store_dword v14, off, s[0:3], 0 offset:24
	s_waitcnt vmcnt(44)
	buffer_store_dword v99, off, s[0:3], 0 offset:36
	buffer_store_dword v98, off, s[0:3], 0 offset:32
	;; [unrolled: 3-line block ×21, first 2 shown]
	buffer_store_dword v136, off, s[0:3], 0 offset:192
	buffer_store_dword v137, off, s[0:3], 0 offset:196
	s_waitcnt vmcnt(62)
	buffer_store_dword v139, off, s[0:3], 0 offset:204
	buffer_store_dword v138, off, s[0:3], 0 offset:200
	;; [unrolled: 1-line block ×8, first 2 shown]
	s_waitcnt vmcnt(62)
	buffer_store_dword v146, off, s[0:3], 0 offset:232
	buffer_store_dword v147, off, s[0:3], 0 offset:236
	buffer_store_dword v148, off, s[0:3], 0 offset:240
	buffer_store_dword v149, off, s[0:3], 0 offset:244
	buffer_store_dword v151, off, s[0:3], 0 offset:252
	buffer_store_dword v150, off, s[0:3], 0 offset:248
	buffer_store_dword v153, off, s[0:3], 0 offset:260
	buffer_store_dword v152, off, s[0:3], 0 offset:256
	buffer_store_dword v154, off, s[0:3], 0 offset:264
	buffer_store_dword v155, off, s[0:3], 0 offset:268
	buffer_store_dword v156, off, s[0:3], 0 offset:272
	buffer_store_dword v157, off, s[0:3], 0 offset:276
	buffer_store_dword v158, off, s[0:3], 0 offset:280
	buffer_store_dword v159, off, s[0:3], 0 offset:284
	buffer_store_dword v160, off, s[0:3], 0 offset:288
	buffer_store_dword v161, off, s[0:3], 0 offset:292
	s_waitcnt vmcnt(62)
	buffer_store_dword v163, off, s[0:3], 0 offset:300
	buffer_store_dword v162, off, s[0:3], 0 offset:296
	;; [unrolled: 1-line block ×8, first 2 shown]
	s_cbranch_scc1 .LBB40_176
; %bb.4:
	v_cmp_eq_u32_e64 s[4:5], 0, v0
	s_and_saveexec_b64 s[6:7], s[4:5]
	s_cbranch_execz .LBB40_6
; %bb.5:
	v_mov_b32_e32 v1, 0
	ds_write_b32 v1, v1 offset:328
.LBB40_6:
	s_or_b64 exec, exec, s[6:7]
	v_mov_b32_e32 v1, 0
	v_lshl_add_u32 v7, v0, 3, v1
	s_waitcnt lgkmcnt(0)
	; wave barrier
	s_waitcnt lgkmcnt(0)
	buffer_load_dword v1, v7, s[0:3], 0 offen
	buffer_load_dword v2, v7, s[0:3], 0 offen offset:4
	s_waitcnt vmcnt(1)
	v_cmp_eq_f32_e32 vcc, 0, v1
	s_waitcnt vmcnt(0)
	v_cmp_eq_f32_e64 s[6:7], 0, v2
	s_and_b64 s[6:7], vcc, s[6:7]
	s_and_saveexec_b64 s[12:13], s[6:7]
	s_cbranch_execz .LBB40_10
; %bb.7:
	v_mov_b32_e32 v1, 0
	ds_read_b32 v3, v1 offset:328
	v_add_u32_e32 v2, 1, v0
	s_waitcnt lgkmcnt(0)
	v_readfirstlane_b32 s6, v3
	s_cmp_eq_u32 s6, 0
	s_cselect_b64 s[16:17], -1, 0
	v_cmp_gt_i32_e32 vcc, s6, v2
	s_or_b64 s[16:17], s[16:17], vcc
	s_and_b64 exec, exec, s[16:17]
	s_cbranch_execz .LBB40_10
; %bb.8:
	s_mov_b64 s[16:17], 0
	v_mov_b32_e32 v3, s6
.LBB40_9:                               ; =>This Inner Loop Header: Depth=1
	ds_cmpst_rtn_b32 v3, v1, v3, v2 offset:328
	s_waitcnt lgkmcnt(0)
	v_cmp_ne_u32_e32 vcc, 0, v3
	v_cmp_le_i32_e64 s[6:7], v3, v2
	s_and_b64 s[6:7], vcc, s[6:7]
	s_and_b64 s[6:7], exec, s[6:7]
	s_or_b64 s[16:17], s[6:7], s[16:17]
	s_andn2_b64 exec, exec, s[16:17]
	s_cbranch_execnz .LBB40_9
.LBB40_10:
	s_or_b64 exec, exec, s[12:13]
	v_mov_b32_e32 v2, 0
	s_waitcnt lgkmcnt(0)
	; wave barrier
	ds_read_b32 v1, v2 offset:328
	s_and_saveexec_b64 s[6:7], s[4:5]
	s_cbranch_execz .LBB40_12
; %bb.11:
	s_lshl_b64 s[12:13], s[8:9], 2
	s_add_u32 s12, s14, s12
	s_addc_u32 s13, s15, s13
	s_waitcnt lgkmcnt(0)
	global_store_dword v2, v1, s[12:13]
.LBB40_12:
	s_or_b64 exec, exec, s[6:7]
	s_waitcnt lgkmcnt(0)
	v_cmp_ne_u32_e32 vcc, 0, v1
	s_mov_b64 s[6:7], 0
	s_cbranch_vccnz .LBB40_176
; %bb.13:
	buffer_load_dword v8, v7, s[0:3], 0 offen offset:4
	buffer_load_dword v3, v7, s[0:3], 0 offen
	s_waitcnt vmcnt(1)
	v_cmp_gt_f32_e32 vcc, 0, v8
	v_cndmask_b32_e64 v1, v8, -v8, vcc
	s_waitcnt vmcnt(0)
	v_cmp_gt_f32_e32 vcc, 0, v3
	v_cndmask_b32_e64 v2, v3, -v3, vcc
	v_cmp_ngt_f32_e32 vcc, v2, v1
                                        ; implicit-def: $vgpr1
                                        ; implicit-def: $vgpr2
	s_and_saveexec_b64 s[6:7], vcc
	s_xor_b64 s[6:7], exec, s[6:7]
                                        ; implicit-def: $vgpr4_vgpr5
	s_cbranch_execz .LBB40_15
; %bb.14:
	v_div_scale_f32 v1, s[12:13], v8, v8, v3
	v_rcp_f32_e32 v2, v1
	v_div_scale_f32 v4, vcc, v3, v8, v3
	v_fma_f32 v5, -v1, v2, 1.0
	v_fmac_f32_e32 v2, v5, v2
	v_mul_f32_e32 v5, v4, v2
	v_fma_f32 v9, -v1, v5, v4
	v_fmac_f32_e32 v5, v9, v2
	v_fma_f32 v1, -v1, v5, v4
	v_div_fmas_f32 v1, v1, v2, v5
	v_div_fixup_f32 v2, v1, v8, v3
	v_fmac_f32_e32 v8, v3, v2
	v_div_scale_f32 v1, s[12:13], v8, v8, -1.0
	v_rcp_f32_e32 v3, v1
	v_fma_f32 v4, -v1, v3, 1.0
	v_fmac_f32_e32 v3, v4, v3
	v_div_scale_f32 v4, vcc, -1.0, v8, -1.0
	v_mul_f32_e32 v5, v4, v3
	v_fma_f32 v9, -v1, v5, v4
	v_fmac_f32_e32 v5, v9, v3
	v_fma_f32 v1, -v1, v5, v4
	v_div_fmas_f32 v1, v1, v3, v5
	v_div_fixup_f32 v1, v1, v8, -1.0
	v_mul_f32_e32 v2, v2, v1
	v_xor_b32_e32 v4, 0x80000000, v2
                                        ; implicit-def: $vgpr3
                                        ; implicit-def: $vgpr8
.LBB40_15:
	s_andn2_saveexec_b64 s[6:7], s[6:7]
	s_cbranch_execz .LBB40_17
; %bb.16:
	v_div_scale_f32 v1, s[12:13], v3, v3, v8
	v_rcp_f32_e32 v2, v1
	v_div_scale_f32 v4, vcc, v8, v3, v8
	v_fma_f32 v5, -v1, v2, 1.0
	v_fmac_f32_e32 v2, v5, v2
	v_mul_f32_e32 v5, v4, v2
	v_fma_f32 v9, -v1, v5, v4
	v_fmac_f32_e32 v5, v9, v2
	v_fma_f32 v1, -v1, v5, v4
	v_div_fmas_f32 v1, v1, v2, v5
	v_div_fixup_f32 v1, v1, v3, v8
	v_fmac_f32_e32 v3, v8, v1
	v_div_scale_f32 v2, s[12:13], v3, v3, 1.0
	v_rcp_f32_e32 v4, v2
	v_fma_f32 v5, -v2, v4, 1.0
	v_fmac_f32_e32 v4, v5, v4
	v_div_scale_f32 v5, vcc, 1.0, v3, 1.0
	v_mul_f32_e32 v8, v5, v4
	v_fma_f32 v9, -v2, v8, v5
	v_fmac_f32_e32 v8, v9, v4
	v_fma_f32 v2, -v2, v8, v5
	v_div_fmas_f32 v2, v2, v4, v8
	v_div_fixup_f32 v4, v2, v3, 1.0
	v_xor_b32_e32 v2, 0x80000000, v4
	v_mul_f32_e64 v1, v1, -v4
.LBB40_17:
	s_or_b64 exec, exec, s[6:7]
	buffer_store_dword v1, v7, s[0:3], 0 offen offset:4
	buffer_store_dword v4, v7, s[0:3], 0 offen
	buffer_load_dword v5, off, s[0:3], 0 offset:12
	s_nop 0
	buffer_load_dword v4, off, s[0:3], 0 offset:8
	v_xor_b32_e32 v3, 0x80000000, v1
	v_add_u32_e32 v1, 0x150, v6
	s_waitcnt vmcnt(0)
	ds_write2_b64 v6, v[2:3], v[4:5] offset1:42
	s_waitcnt lgkmcnt(0)
	; wave barrier
	s_waitcnt lgkmcnt(0)
	s_and_saveexec_b64 s[6:7], s[4:5]
	s_cbranch_execz .LBB40_19
; %bb.18:
	buffer_load_dword v8, v7, s[0:3], 0 offen offset:4
	buffer_load_dword v9, v7, s[0:3], 0 offen
	ds_read_b64 v[2:3], v1
	v_mov_b32_e32 v4, 0
	ds_read_b64 v[4:5], v4 offset:8
	s_waitcnt vmcnt(1) lgkmcnt(1)
	v_mul_f32_e32 v10, v3, v8
	v_mul_f32_e32 v8, v2, v8
	s_waitcnt vmcnt(0)
	v_fmac_f32_e32 v8, v3, v9
	v_fma_f32 v2, v2, v9, -v10
	v_add_f32_e32 v3, 0, v8
	v_add_f32_e32 v2, 0, v2
	s_waitcnt lgkmcnt(0)
	v_mul_f32_e32 v8, v3, v5
	v_mul_f32_e32 v5, v2, v5
	v_fma_f32 v2, v2, v4, -v8
	v_fmac_f32_e32 v5, v3, v4
	buffer_store_dword v2, off, s[0:3], 0 offset:8
	buffer_store_dword v5, off, s[0:3], 0 offset:12
.LBB40_19:
	s_or_b64 exec, exec, s[6:7]
	s_waitcnt lgkmcnt(0)
	; wave barrier
	buffer_load_dword v2, off, s[0:3], 0 offset:16
	buffer_load_dword v3, off, s[0:3], 0 offset:20
	v_cmp_gt_u32_e32 vcc, 2, v0
	s_waitcnt vmcnt(0)
	ds_write_b64 v1, v[2:3]
	s_waitcnt lgkmcnt(0)
	; wave barrier
	s_waitcnt lgkmcnt(0)
	s_and_saveexec_b64 s[6:7], vcc
	s_cbranch_execz .LBB40_23
; %bb.20:
	buffer_load_dword v4, v7, s[0:3], 0 offen offset:4
	buffer_load_dword v5, v7, s[0:3], 0 offen
	ds_read_b64 v[2:3], v1
	s_waitcnt vmcnt(1) lgkmcnt(0)
	v_mul_f32_e32 v7, v3, v4
	v_mul_f32_e32 v4, v2, v4
	s_waitcnt vmcnt(0)
	v_fma_f32 v2, v2, v5, -v7
	v_fmac_f32_e32 v4, v3, v5
	v_add_f32_e32 v3, 0, v2
	v_add_f32_e32 v2, 0, v4
	s_and_saveexec_b64 s[12:13], s[4:5]
	s_cbranch_execz .LBB40_22
; %bb.21:
	buffer_load_dword v7, off, s[0:3], 0 offset:12
	buffer_load_dword v8, off, s[0:3], 0 offset:8
	v_mov_b32_e32 v4, 0
	ds_read_b64 v[4:5], v4 offset:344
	s_waitcnt vmcnt(1) lgkmcnt(0)
	v_mul_f32_e32 v9, v4, v7
	v_mul_f32_e32 v7, v5, v7
	s_waitcnt vmcnt(0)
	v_fmac_f32_e32 v9, v5, v8
	v_fma_f32 v4, v4, v8, -v7
	v_add_f32_e32 v2, v2, v9
	v_add_f32_e32 v3, v3, v4
.LBB40_22:
	s_or_b64 exec, exec, s[12:13]
	v_mov_b32_e32 v4, 0
	ds_read_b64 v[4:5], v4 offset:16
	s_waitcnt lgkmcnt(0)
	v_mul_f32_e32 v7, v2, v5
	v_mul_f32_e32 v5, v3, v5
	v_fma_f32 v3, v3, v4, -v7
	v_fmac_f32_e32 v5, v2, v4
	buffer_store_dword v3, off, s[0:3], 0 offset:16
	buffer_store_dword v5, off, s[0:3], 0 offset:20
.LBB40_23:
	s_or_b64 exec, exec, s[6:7]
	s_waitcnt lgkmcnt(0)
	; wave barrier
	buffer_load_dword v2, off, s[0:3], 0 offset:24
	buffer_load_dword v3, off, s[0:3], 0 offset:28
	v_cmp_gt_u32_e32 vcc, 3, v0
	s_waitcnt vmcnt(0)
	ds_write_b64 v1, v[2:3]
	v_add_u32_e32 v2, -1, v0
	s_waitcnt lgkmcnt(0)
	; wave barrier
	s_waitcnt lgkmcnt(0)
	s_and_saveexec_b64 s[4:5], vcc
	s_cbranch_execz .LBB40_27
; %bb.24:
	v_add_u32_e32 v4, -1, v0
	v_add_u32_e32 v5, 0x150, v6
	v_add_u32_e32 v7, 0, v6
	s_mov_b64 s[6:7], 0
	v_mov_b32_e32 v3, 0
	v_mov_b32_e32 v8, 0
.LBB40_25:                              ; =>This Inner Loop Header: Depth=1
	buffer_load_dword v9, v7, s[0:3], 0 offen offset:4
	buffer_load_dword v12, v7, s[0:3], 0 offen
	ds_read_b64 v[10:11], v5
	v_add_u32_e32 v4, 1, v4
	v_cmp_lt_u32_e32 vcc, 1, v4
	v_add_u32_e32 v5, 8, v5
	v_add_u32_e32 v7, 8, v7
	s_or_b64 s[6:7], vcc, s[6:7]
	s_waitcnt vmcnt(1) lgkmcnt(0)
	v_mul_f32_e32 v13, v11, v9
	v_mul_f32_e32 v9, v10, v9
	s_waitcnt vmcnt(0)
	v_fma_f32 v10, v10, v12, -v13
	v_fmac_f32_e32 v9, v11, v12
	v_add_f32_e32 v8, v8, v10
	v_add_f32_e32 v3, v3, v9
	s_andn2_b64 exec, exec, s[6:7]
	s_cbranch_execnz .LBB40_25
; %bb.26:
	s_or_b64 exec, exec, s[6:7]
	v_mov_b32_e32 v4, 0
	ds_read_b64 v[4:5], v4 offset:24
	s_waitcnt lgkmcnt(0)
	v_mul_f32_e32 v7, v3, v5
	v_mul_f32_e32 v5, v8, v5
	v_fma_f32 v7, v8, v4, -v7
	v_fmac_f32_e32 v5, v3, v4
	buffer_store_dword v7, off, s[0:3], 0 offset:24
	buffer_store_dword v5, off, s[0:3], 0 offset:28
.LBB40_27:
	s_or_b64 exec, exec, s[4:5]
	s_waitcnt lgkmcnt(0)
	; wave barrier
	buffer_load_dword v4, off, s[0:3], 0 offset:32
	buffer_load_dword v5, off, s[0:3], 0 offset:36
	v_cmp_gt_u32_e32 vcc, 4, v0
	s_waitcnt vmcnt(0)
	ds_write_b64 v1, v[4:5]
	s_waitcnt lgkmcnt(0)
	; wave barrier
	s_waitcnt lgkmcnt(0)
	s_and_saveexec_b64 s[4:5], vcc
	s_cbranch_execz .LBB40_31
; %bb.28:
	v_add_u32_e32 v4, -1, v0
	v_add_u32_e32 v5, 0x150, v6
	v_add_u32_e32 v7, 0, v6
	s_mov_b64 s[6:7], 0
	v_mov_b32_e32 v3, 0
	v_mov_b32_e32 v8, 0
.LBB40_29:                              ; =>This Inner Loop Header: Depth=1
	buffer_load_dword v9, v7, s[0:3], 0 offen offset:4
	buffer_load_dword v12, v7, s[0:3], 0 offen
	ds_read_b64 v[10:11], v5
	v_add_u32_e32 v4, 1, v4
	v_cmp_lt_u32_e32 vcc, 2, v4
	v_add_u32_e32 v5, 8, v5
	v_add_u32_e32 v7, 8, v7
	s_or_b64 s[6:7], vcc, s[6:7]
	s_waitcnt vmcnt(1) lgkmcnt(0)
	v_mul_f32_e32 v13, v11, v9
	v_mul_f32_e32 v9, v10, v9
	s_waitcnt vmcnt(0)
	v_fma_f32 v10, v10, v12, -v13
	v_fmac_f32_e32 v9, v11, v12
	v_add_f32_e32 v8, v8, v10
	v_add_f32_e32 v3, v3, v9
	s_andn2_b64 exec, exec, s[6:7]
	s_cbranch_execnz .LBB40_29
; %bb.30:
	s_or_b64 exec, exec, s[6:7]
	v_mov_b32_e32 v4, 0
	ds_read_b64 v[4:5], v4 offset:32
	s_waitcnt lgkmcnt(0)
	v_mul_f32_e32 v7, v3, v5
	v_mul_f32_e32 v5, v8, v5
	v_fma_f32 v7, v8, v4, -v7
	v_fmac_f32_e32 v5, v3, v4
	buffer_store_dword v7, off, s[0:3], 0 offset:32
	buffer_store_dword v5, off, s[0:3], 0 offset:36
.LBB40_31:
	s_or_b64 exec, exec, s[4:5]
	s_waitcnt lgkmcnt(0)
	; wave barrier
	buffer_load_dword v4, off, s[0:3], 0 offset:40
	buffer_load_dword v5, off, s[0:3], 0 offset:44
	v_cmp_gt_u32_e32 vcc, 5, v0
	s_waitcnt vmcnt(0)
	ds_write_b64 v1, v[4:5]
	;; [unrolled: 51-line block ×19, first 2 shown]
	s_waitcnt lgkmcnt(0)
	; wave barrier
	s_waitcnt lgkmcnt(0)
	s_and_saveexec_b64 s[4:5], vcc
	s_cbranch_execz .LBB40_103
; %bb.100:
	v_add_u32_e32 v4, -1, v0
	v_add_u32_e32 v5, 0x150, v6
	v_add_u32_e32 v7, 0, v6
	s_mov_b64 s[6:7], 0
	v_mov_b32_e32 v3, 0
	v_mov_b32_e32 v8, 0
.LBB40_101:                             ; =>This Inner Loop Header: Depth=1
	buffer_load_dword v9, v7, s[0:3], 0 offen offset:4
	buffer_load_dword v12, v7, s[0:3], 0 offen
	ds_read_b64 v[10:11], v5
	v_add_u32_e32 v4, 1, v4
	v_cmp_lt_u32_e32 vcc, 20, v4
	v_add_u32_e32 v5, 8, v5
	v_add_u32_e32 v7, 8, v7
	s_or_b64 s[6:7], vcc, s[6:7]
	s_waitcnt vmcnt(1) lgkmcnt(0)
	v_mul_f32_e32 v13, v11, v9
	v_mul_f32_e32 v9, v10, v9
	s_waitcnt vmcnt(0)
	v_fma_f32 v10, v10, v12, -v13
	v_fmac_f32_e32 v9, v11, v12
	v_add_f32_e32 v8, v8, v10
	v_add_f32_e32 v3, v3, v9
	s_andn2_b64 exec, exec, s[6:7]
	s_cbranch_execnz .LBB40_101
; %bb.102:
	s_or_b64 exec, exec, s[6:7]
	v_mov_b32_e32 v4, 0
	ds_read_b64 v[4:5], v4 offset:176
	s_waitcnt lgkmcnt(0)
	v_mul_f32_e32 v7, v3, v5
	v_mul_f32_e32 v5, v8, v5
	v_fma_f32 v7, v8, v4, -v7
	v_fmac_f32_e32 v5, v3, v4
	buffer_store_dword v7, off, s[0:3], 0 offset:176
	buffer_store_dword v5, off, s[0:3], 0 offset:180
.LBB40_103:
	s_or_b64 exec, exec, s[4:5]
	s_waitcnt lgkmcnt(0)
	; wave barrier
	buffer_load_dword v4, off, s[0:3], 0 offset:184
	buffer_load_dword v5, off, s[0:3], 0 offset:188
	v_cmp_gt_u32_e32 vcc, 23, v0
	s_waitcnt vmcnt(0)
	ds_write_b64 v1, v[4:5]
	s_waitcnt lgkmcnt(0)
	; wave barrier
	s_waitcnt lgkmcnt(0)
	s_and_saveexec_b64 s[4:5], vcc
	s_cbranch_execz .LBB40_107
; %bb.104:
	v_add_u32_e32 v4, -1, v0
	v_add_u32_e32 v5, 0x150, v6
	v_add_u32_e32 v7, 0, v6
	s_mov_b64 s[6:7], 0
	v_mov_b32_e32 v3, 0
	v_mov_b32_e32 v8, 0
.LBB40_105:                             ; =>This Inner Loop Header: Depth=1
	buffer_load_dword v9, v7, s[0:3], 0 offen offset:4
	buffer_load_dword v12, v7, s[0:3], 0 offen
	ds_read_b64 v[10:11], v5
	v_add_u32_e32 v4, 1, v4
	v_cmp_lt_u32_e32 vcc, 21, v4
	v_add_u32_e32 v5, 8, v5
	v_add_u32_e32 v7, 8, v7
	s_or_b64 s[6:7], vcc, s[6:7]
	s_waitcnt vmcnt(1) lgkmcnt(0)
	v_mul_f32_e32 v13, v11, v9
	v_mul_f32_e32 v9, v10, v9
	s_waitcnt vmcnt(0)
	v_fma_f32 v10, v10, v12, -v13
	v_fmac_f32_e32 v9, v11, v12
	v_add_f32_e32 v8, v8, v10
	v_add_f32_e32 v3, v3, v9
	s_andn2_b64 exec, exec, s[6:7]
	s_cbranch_execnz .LBB40_105
; %bb.106:
	s_or_b64 exec, exec, s[6:7]
	v_mov_b32_e32 v4, 0
	ds_read_b64 v[4:5], v4 offset:184
	s_waitcnt lgkmcnt(0)
	v_mul_f32_e32 v7, v3, v5
	v_mul_f32_e32 v5, v8, v5
	v_fma_f32 v7, v8, v4, -v7
	v_fmac_f32_e32 v5, v3, v4
	buffer_store_dword v7, off, s[0:3], 0 offset:184
	buffer_store_dword v5, off, s[0:3], 0 offset:188
.LBB40_107:
	s_or_b64 exec, exec, s[4:5]
	s_waitcnt lgkmcnt(0)
	; wave barrier
	buffer_load_dword v4, off, s[0:3], 0 offset:192
	buffer_load_dword v5, off, s[0:3], 0 offset:196
	v_cmp_gt_u32_e32 vcc, 24, v0
	s_waitcnt vmcnt(0)
	ds_write_b64 v1, v[4:5]
	;; [unrolled: 51-line block ×17, first 2 shown]
	s_waitcnt lgkmcnt(0)
	; wave barrier
	s_waitcnt lgkmcnt(0)
	s_and_saveexec_b64 s[4:5], vcc
	s_cbranch_execz .LBB40_171
; %bb.168:
	v_add_u32_e32 v4, -1, v0
	v_add_u32_e32 v5, 0x150, v6
	v_add_u32_e32 v7, 0, v6
	s_mov_b64 s[6:7], 0
	v_mov_b32_e32 v3, 0
	v_mov_b32_e32 v8, 0
.LBB40_169:                             ; =>This Inner Loop Header: Depth=1
	buffer_load_dword v9, v7, s[0:3], 0 offen offset:4
	buffer_load_dword v12, v7, s[0:3], 0 offen
	ds_read_b64 v[10:11], v5
	v_add_u32_e32 v4, 1, v4
	v_cmp_lt_u32_e32 vcc, 37, v4
	v_add_u32_e32 v5, 8, v5
	v_add_u32_e32 v7, 8, v7
	s_or_b64 s[6:7], vcc, s[6:7]
	s_waitcnt vmcnt(1) lgkmcnt(0)
	v_mul_f32_e32 v13, v11, v9
	v_mul_f32_e32 v9, v10, v9
	s_waitcnt vmcnt(0)
	v_fma_f32 v10, v10, v12, -v13
	v_fmac_f32_e32 v9, v11, v12
	v_add_f32_e32 v8, v8, v10
	v_add_f32_e32 v3, v3, v9
	s_andn2_b64 exec, exec, s[6:7]
	s_cbranch_execnz .LBB40_169
; %bb.170:
	s_or_b64 exec, exec, s[6:7]
	v_mov_b32_e32 v4, 0
	ds_read_b64 v[4:5], v4 offset:312
	s_waitcnt lgkmcnt(0)
	v_mul_f32_e32 v7, v3, v5
	v_mul_f32_e32 v5, v8, v5
	v_fma_f32 v7, v8, v4, -v7
	v_fmac_f32_e32 v5, v3, v4
	buffer_store_dword v7, off, s[0:3], 0 offset:312
	buffer_store_dword v5, off, s[0:3], 0 offset:316
.LBB40_171:
	s_or_b64 exec, exec, s[4:5]
	s_waitcnt lgkmcnt(0)
	; wave barrier
	buffer_load_dword v4, off, s[0:3], 0 offset:320
	buffer_load_dword v5, off, s[0:3], 0 offset:324
	v_cmp_ne_u32_e32 vcc, 40, v0
	s_waitcnt vmcnt(0)
	ds_write_b64 v1, v[4:5]
	s_waitcnt lgkmcnt(0)
	; wave barrier
	s_waitcnt lgkmcnt(0)
	s_and_saveexec_b64 s[4:5], vcc
	s_cbranch_execz .LBB40_175
; %bb.172:
	v_add_u32_e32 v3, 0x150, v6
	v_add_u32_e32 v4, 0, v6
	s_mov_b64 s[6:7], 0
	v_mov_b32_e32 v1, 0
	v_mov_b32_e32 v5, 0
.LBB40_173:                             ; =>This Inner Loop Header: Depth=1
	buffer_load_dword v8, v4, s[0:3], 0 offen offset:4
	buffer_load_dword v9, v4, s[0:3], 0 offen
	ds_read_b64 v[6:7], v3
	v_add_u32_e32 v2, 1, v2
	v_cmp_lt_u32_e32 vcc, 38, v2
	v_add_u32_e32 v3, 8, v3
	v_add_u32_e32 v4, 8, v4
	s_or_b64 s[6:7], vcc, s[6:7]
	s_waitcnt vmcnt(1) lgkmcnt(0)
	v_mul_f32_e32 v10, v7, v8
	v_mul_f32_e32 v8, v6, v8
	s_waitcnt vmcnt(0)
	v_fma_f32 v6, v6, v9, -v10
	v_fmac_f32_e32 v8, v7, v9
	v_add_f32_e32 v5, v5, v6
	v_add_f32_e32 v1, v1, v8
	s_andn2_b64 exec, exec, s[6:7]
	s_cbranch_execnz .LBB40_173
; %bb.174:
	s_or_b64 exec, exec, s[6:7]
	v_mov_b32_e32 v2, 0
	ds_read_b64 v[2:3], v2 offset:320
	s_waitcnt lgkmcnt(0)
	v_mul_f32_e32 v4, v1, v3
	v_mul_f32_e32 v3, v5, v3
	v_fma_f32 v4, v5, v2, -v4
	v_fmac_f32_e32 v3, v1, v2
	buffer_store_dword v4, off, s[0:3], 0 offset:320
	buffer_store_dword v3, off, s[0:3], 0 offset:324
.LBB40_175:
	s_or_b64 exec, exec, s[4:5]
	s_mov_b64 s[6:7], -1
	s_waitcnt lgkmcnt(0)
	; wave barrier
.LBB40_176:
	s_and_b64 vcc, exec, s[6:7]
	s_cbranch_vccz .LBB40_178
; %bb.177:
	s_lshl_b64 s[4:5], s[8:9], 2
	s_add_u32 s4, s14, s4
	s_addc_u32 s5, s15, s5
	v_mov_b32_e32 v1, 0
	global_load_dword v1, v1, s[4:5]
	s_waitcnt vmcnt(0)
	v_cmp_ne_u32_e32 vcc, 0, v1
	s_cbranch_vccz .LBB40_179
.LBB40_178:
	s_endpgm
.LBB40_179:
	v_mov_b32_e32 v1, 0x150
	v_lshl_add_u32 v1, v0, 3, v1
	v_cmp_eq_u32_e32 vcc, 40, v0
	s_and_saveexec_b64 s[4:5], vcc
	s_cbranch_execz .LBB40_181
; %bb.180:
	buffer_load_dword v2, off, s[0:3], 0 offset:312
	buffer_load_dword v3, off, s[0:3], 0 offset:316
	v_mov_b32_e32 v4, 0
	buffer_store_dword v4, off, s[0:3], 0 offset:312
	buffer_store_dword v4, off, s[0:3], 0 offset:316
	s_waitcnt vmcnt(2)
	ds_write_b64 v1, v[2:3]
.LBB40_181:
	s_or_b64 exec, exec, s[4:5]
	s_waitcnt lgkmcnt(0)
	; wave barrier
	s_waitcnt lgkmcnt(0)
	buffer_load_dword v5, off, s[0:3], 0 offset:324
	buffer_load_dword v4, off, s[0:3], 0 offset:320
	;; [unrolled: 1-line block ×4, first 2 shown]
	v_mov_b32_e32 v2, 0
	ds_read_b64 v[8:9], v2 offset:656
	v_cmp_lt_u32_e32 vcc, 38, v0
	s_waitcnt vmcnt(3)
	v_mov_b32_e32 v10, v5
	s_waitcnt lgkmcnt(0)
	v_pk_mul_f32 v[10:11], v[8:9], v[10:11] op_sel_hi:[1,0]
	s_waitcnt vmcnt(2)
	v_pk_fma_f32 v[12:13], v[8:9], v[4:5], v[10:11] op_sel:[0,0,1] op_sel_hi:[1,1,0] neg_lo:[0,0,1] neg_hi:[0,0,1]
	v_pk_fma_f32 v[4:5], v[8:9], v[4:5], v[10:11] op_sel:[0,0,1] op_sel_hi:[1,0,0]
	v_mov_b32_e32 v13, v5
	v_pk_add_f32 v[4:5], v[12:13], 0 op_sel_hi:[1,0]
	s_waitcnt vmcnt(0)
	v_pk_add_f32 v[4:5], v[6:7], v[4:5] neg_lo:[0,1] neg_hi:[0,1]
	buffer_store_dword v4, off, s[0:3], 0 offset:312
	buffer_store_dword v5, off, s[0:3], 0 offset:316
	s_and_saveexec_b64 s[4:5], vcc
	s_cbranch_execz .LBB40_183
; %bb.182:
	buffer_load_dword v4, off, s[0:3], 0 offset:304
	buffer_load_dword v5, off, s[0:3], 0 offset:308
	s_waitcnt vmcnt(0)
	ds_write_b64 v1, v[4:5]
	buffer_store_dword v2, off, s[0:3], 0 offset:304
	buffer_store_dword v2, off, s[0:3], 0 offset:308
.LBB40_183:
	s_or_b64 exec, exec, s[4:5]
	s_waitcnt lgkmcnt(0)
	; wave barrier
	s_waitcnt lgkmcnt(0)
	buffer_load_dword v7, off, s[0:3], 0 offset:316
	buffer_load_dword v9, off, s[0:3], 0 offset:324
	;; [unrolled: 1-line block ×6, first 2 shown]
	ds_read2_b64 v[2:5], v2 offset0:81 offset1:82
	v_cmp_lt_u32_e32 vcc, 37, v0
	s_waitcnt vmcnt(5)
	v_mov_b32_e32 v12, v7
	s_waitcnt vmcnt(4)
	v_mov_b32_e32 v14, v9
	s_waitcnt lgkmcnt(0)
	v_pk_mul_f32 v[12:13], v[2:3], v[12:13] op_sel_hi:[1,0]
	v_pk_mul_f32 v[14:15], v[4:5], v[14:15] op_sel_hi:[1,0]
	s_waitcnt vmcnt(3)
	v_pk_fma_f32 v[98:99], v[2:3], v[6:7], v[12:13] op_sel:[0,0,1] op_sel_hi:[1,1,0] neg_lo:[0,0,1] neg_hi:[0,0,1]
	v_pk_fma_f32 v[2:3], v[2:3], v[6:7], v[12:13] op_sel:[0,0,1] op_sel_hi:[1,0,0]
	s_waitcnt vmcnt(2)
	v_pk_fma_f32 v[6:7], v[4:5], v[8:9], v[14:15] op_sel:[0,0,1] op_sel_hi:[1,1,0] neg_lo:[0,0,1] neg_hi:[0,0,1]
	v_pk_fma_f32 v[4:5], v[4:5], v[8:9], v[14:15] op_sel:[0,0,1] op_sel_hi:[1,0,0]
	v_mov_b32_e32 v99, v3
	v_mov_b32_e32 v7, v5
	v_pk_add_f32 v[2:3], v[98:99], 0 op_sel_hi:[1,0]
	v_pk_add_f32 v[2:3], v[2:3], v[6:7]
	s_waitcnt vmcnt(0)
	v_pk_add_f32 v[2:3], v[10:11], v[2:3] neg_lo:[0,1] neg_hi:[0,1]
	buffer_store_dword v2, off, s[0:3], 0 offset:304
	buffer_store_dword v3, off, s[0:3], 0 offset:308
	s_and_saveexec_b64 s[4:5], vcc
	s_cbranch_execz .LBB40_185
; %bb.184:
	buffer_load_dword v2, off, s[0:3], 0 offset:296
	buffer_load_dword v3, off, s[0:3], 0 offset:300
	v_mov_b32_e32 v4, 0
	buffer_store_dword v4, off, s[0:3], 0 offset:296
	buffer_store_dword v4, off, s[0:3], 0 offset:300
	s_waitcnt vmcnt(2)
	ds_write_b64 v1, v[2:3]
.LBB40_185:
	s_or_b64 exec, exec, s[4:5]
	s_waitcnt lgkmcnt(0)
	; wave barrier
	s_waitcnt lgkmcnt(0)
	buffer_load_dword v9, off, s[0:3], 0 offset:308
	buffer_load_dword v11, off, s[0:3], 0 offset:316
	;; [unrolled: 1-line block ×8, first 2 shown]
	v_mov_b32_e32 v2, 0
	ds_read_b128 v[4:7], v2 offset:640
	ds_read_b64 v[98:99], v2 offset:656
	v_cmp_lt_u32_e32 vcc, 36, v0
	s_waitcnt vmcnt(7)
	v_mov_b32_e32 v100, v9
	s_waitcnt vmcnt(6)
	v_mov_b32_e32 v102, v11
	s_waitcnt lgkmcnt(1)
	v_pk_mul_f32 v[100:101], v[4:5], v[100:101] op_sel_hi:[1,0]
	s_waitcnt vmcnt(5)
	v_mov_b32_e32 v104, v13
	v_pk_mul_f32 v[102:103], v[6:7], v[102:103] op_sel_hi:[1,0]
	s_waitcnt vmcnt(4)
	v_pk_fma_f32 v[106:107], v[4:5], v[8:9], v[100:101] op_sel:[0,0,1] op_sel_hi:[1,1,0] neg_lo:[0,0,1] neg_hi:[0,0,1]
	v_pk_fma_f32 v[4:5], v[4:5], v[8:9], v[100:101] op_sel:[0,0,1] op_sel_hi:[1,0,0]
	s_waitcnt lgkmcnt(0)
	v_pk_mul_f32 v[104:105], v[98:99], v[104:105] op_sel_hi:[1,0]
	s_waitcnt vmcnt(3)
	v_pk_fma_f32 v[8:9], v[6:7], v[10:11], v[102:103] op_sel:[0,0,1] op_sel_hi:[1,1,0] neg_lo:[0,0,1] neg_hi:[0,0,1]
	v_pk_fma_f32 v[6:7], v[6:7], v[10:11], v[102:103] op_sel:[0,0,1] op_sel_hi:[1,0,0]
	v_mov_b32_e32 v107, v5
	s_waitcnt vmcnt(2)
	v_pk_fma_f32 v[10:11], v[98:99], v[12:13], v[104:105] op_sel:[0,0,1] op_sel_hi:[1,1,0] neg_lo:[0,0,1] neg_hi:[0,0,1]
	v_pk_fma_f32 v[12:13], v[98:99], v[12:13], v[104:105] op_sel:[0,0,1] op_sel_hi:[1,0,0]
	v_mov_b32_e32 v9, v7
	v_pk_add_f32 v[4:5], v[106:107], 0 op_sel_hi:[1,0]
	v_mov_b32_e32 v11, v13
	v_pk_add_f32 v[4:5], v[4:5], v[8:9]
	v_pk_add_f32 v[4:5], v[4:5], v[10:11]
	s_waitcnt vmcnt(0)
	v_pk_add_f32 v[4:5], v[14:15], v[4:5] neg_lo:[0,1] neg_hi:[0,1]
	buffer_store_dword v4, off, s[0:3], 0 offset:296
	buffer_store_dword v5, off, s[0:3], 0 offset:300
	s_and_saveexec_b64 s[4:5], vcc
	s_cbranch_execz .LBB40_187
; %bb.186:
	buffer_load_dword v4, off, s[0:3], 0 offset:288
	buffer_load_dword v5, off, s[0:3], 0 offset:292
	s_waitcnt vmcnt(0)
	ds_write_b64 v1, v[4:5]
	buffer_store_dword v2, off, s[0:3], 0 offset:288
	buffer_store_dword v2, off, s[0:3], 0 offset:292
.LBB40_187:
	s_or_b64 exec, exec, s[4:5]
	s_waitcnt lgkmcnt(0)
	; wave barrier
	s_waitcnt lgkmcnt(0)
	buffer_load_dword v13, off, s[0:3], 0 offset:300
	buffer_load_dword v15, off, s[0:3], 0 offset:308
	buffer_load_dword v99, off, s[0:3], 0 offset:316
	buffer_load_dword v101, off, s[0:3], 0 offset:324
	buffer_load_dword v12, off, s[0:3], 0 offset:296
	buffer_load_dword v14, off, s[0:3], 0 offset:304
	buffer_load_dword v98, off, s[0:3], 0 offset:312
	buffer_load_dword v100, off, s[0:3], 0 offset:320
	buffer_load_dword v102, off, s[0:3], 0 offset:288
	buffer_load_dword v103, off, s[0:3], 0 offset:292
	ds_read2_b64 v[4:7], v2 offset0:79 offset1:80
	ds_read2_b64 v[8:11], v2 offset0:81 offset1:82
	v_cmp_lt_u32_e32 vcc, 35, v0
	s_waitcnt vmcnt(9)
	v_mov_b32_e32 v2, v13
	s_waitcnt vmcnt(8)
	v_mov_b32_e32 v104, v15
	s_waitcnt lgkmcnt(1)
	v_pk_mul_f32 v[2:3], v[4:5], v[2:3] op_sel_hi:[1,0]
	s_waitcnt vmcnt(7)
	v_mov_b32_e32 v106, v99
	v_pk_mul_f32 v[104:105], v[6:7], v[104:105] op_sel_hi:[1,0]
	s_waitcnt vmcnt(5)
	v_pk_fma_f32 v[110:111], v[4:5], v[12:13], v[2:3] op_sel:[0,0,1] op_sel_hi:[1,1,0] neg_lo:[0,0,1] neg_hi:[0,0,1]
	v_pk_fma_f32 v[2:3], v[4:5], v[12:13], v[2:3] op_sel:[0,0,1] op_sel_hi:[1,0,0]
	v_mov_b32_e32 v108, v101
	s_waitcnt lgkmcnt(0)
	v_pk_mul_f32 v[106:107], v[8:9], v[106:107] op_sel_hi:[1,0]
	s_waitcnt vmcnt(4)
	v_pk_fma_f32 v[4:5], v[6:7], v[14:15], v[104:105] op_sel:[0,0,1] op_sel_hi:[1,1,0] neg_lo:[0,0,1] neg_hi:[0,0,1]
	v_pk_fma_f32 v[6:7], v[6:7], v[14:15], v[104:105] op_sel:[0,0,1] op_sel_hi:[1,0,0]
	v_mov_b32_e32 v111, v3
	v_pk_mul_f32 v[108:109], v[10:11], v[108:109] op_sel_hi:[1,0]
	s_waitcnt vmcnt(3)
	v_pk_fma_f32 v[12:13], v[8:9], v[98:99], v[106:107] op_sel:[0,0,1] op_sel_hi:[1,1,0] neg_lo:[0,0,1] neg_hi:[0,0,1]
	v_pk_fma_f32 v[8:9], v[8:9], v[98:99], v[106:107] op_sel:[0,0,1] op_sel_hi:[1,0,0]
	v_mov_b32_e32 v5, v7
	v_pk_add_f32 v[2:3], v[110:111], 0 op_sel_hi:[1,0]
	s_waitcnt vmcnt(2)
	v_pk_fma_f32 v[14:15], v[10:11], v[100:101], v[108:109] op_sel:[0,0,1] op_sel_hi:[1,1,0] neg_lo:[0,0,1] neg_hi:[0,0,1]
	v_pk_fma_f32 v[10:11], v[10:11], v[100:101], v[108:109] op_sel:[0,0,1] op_sel_hi:[1,0,0]
	v_mov_b32_e32 v13, v9
	v_pk_add_f32 v[2:3], v[2:3], v[4:5]
	v_mov_b32_e32 v15, v11
	v_pk_add_f32 v[2:3], v[2:3], v[12:13]
	v_pk_add_f32 v[2:3], v[2:3], v[14:15]
	s_waitcnt vmcnt(0)
	v_pk_add_f32 v[2:3], v[102:103], v[2:3] neg_lo:[0,1] neg_hi:[0,1]
	buffer_store_dword v2, off, s[0:3], 0 offset:288
	buffer_store_dword v3, off, s[0:3], 0 offset:292
	s_and_saveexec_b64 s[4:5], vcc
	s_cbranch_execz .LBB40_189
; %bb.188:
	buffer_load_dword v2, off, s[0:3], 0 offset:280
	buffer_load_dword v3, off, s[0:3], 0 offset:284
	v_mov_b32_e32 v4, 0
	buffer_store_dword v4, off, s[0:3], 0 offset:280
	buffer_store_dword v4, off, s[0:3], 0 offset:284
	s_waitcnt vmcnt(2)
	ds_write_b64 v1, v[2:3]
.LBB40_189:
	s_or_b64 exec, exec, s[4:5]
	s_waitcnt lgkmcnt(0)
	; wave barrier
	s_waitcnt lgkmcnt(0)
	buffer_load_dword v13, off, s[0:3], 0 offset:292
	buffer_load_dword v15, off, s[0:3], 0 offset:300
	buffer_load_dword v99, off, s[0:3], 0 offset:308
	buffer_load_dword v101, off, s[0:3], 0 offset:316
	buffer_load_dword v103, off, s[0:3], 0 offset:324
	buffer_load_dword v12, off, s[0:3], 0 offset:288
	buffer_load_dword v14, off, s[0:3], 0 offset:296
	buffer_load_dword v98, off, s[0:3], 0 offset:304
	buffer_load_dword v100, off, s[0:3], 0 offset:312
	buffer_load_dword v102, off, s[0:3], 0 offset:320
	buffer_load_dword v104, off, s[0:3], 0 offset:280
	buffer_load_dword v105, off, s[0:3], 0 offset:284
	v_mov_b32_e32 v2, 0
	ds_read_b128 v[4:7], v2 offset:624
	ds_read_b128 v[8:11], v2 offset:640
	ds_read_b64 v[106:107], v2 offset:656
	v_cmp_lt_u32_e32 vcc, 34, v0
	s_waitcnt vmcnt(11)
	v_mov_b32_e32 v108, v13
	s_waitcnt vmcnt(10)
	v_mov_b32_e32 v110, v15
	s_waitcnt lgkmcnt(2)
	v_pk_mul_f32 v[108:109], v[4:5], v[108:109] op_sel_hi:[1,0]
	s_waitcnt vmcnt(9)
	v_mov_b32_e32 v112, v99
	v_pk_mul_f32 v[110:111], v[6:7], v[110:111] op_sel_hi:[1,0]
	s_waitcnt vmcnt(6)
	v_pk_fma_f32 v[118:119], v[4:5], v[12:13], v[108:109] op_sel:[0,0,1] op_sel_hi:[1,1,0] neg_lo:[0,0,1] neg_hi:[0,0,1]
	v_pk_fma_f32 v[4:5], v[4:5], v[12:13], v[108:109] op_sel:[0,0,1] op_sel_hi:[1,0,0]
	v_mov_b32_e32 v114, v101
	s_waitcnt lgkmcnt(1)
	v_pk_mul_f32 v[112:113], v[8:9], v[112:113] op_sel_hi:[1,0]
	s_waitcnt vmcnt(5)
	v_pk_fma_f32 v[12:13], v[6:7], v[14:15], v[110:111] op_sel:[0,0,1] op_sel_hi:[1,1,0] neg_lo:[0,0,1] neg_hi:[0,0,1]
	v_pk_fma_f32 v[6:7], v[6:7], v[14:15], v[110:111] op_sel:[0,0,1] op_sel_hi:[1,0,0]
	v_mov_b32_e32 v119, v5
	v_mov_b32_e32 v116, v103
	v_pk_mul_f32 v[114:115], v[10:11], v[114:115] op_sel_hi:[1,0]
	s_waitcnt vmcnt(4)
	v_pk_fma_f32 v[14:15], v[8:9], v[98:99], v[112:113] op_sel:[0,0,1] op_sel_hi:[1,1,0] neg_lo:[0,0,1] neg_hi:[0,0,1]
	v_pk_fma_f32 v[8:9], v[8:9], v[98:99], v[112:113] op_sel:[0,0,1] op_sel_hi:[1,0,0]
	v_mov_b32_e32 v13, v7
	v_pk_add_f32 v[4:5], v[118:119], 0 op_sel_hi:[1,0]
	s_waitcnt lgkmcnt(0)
	v_pk_mul_f32 v[116:117], v[106:107], v[116:117] op_sel_hi:[1,0]
	s_waitcnt vmcnt(3)
	v_pk_fma_f32 v[98:99], v[10:11], v[100:101], v[114:115] op_sel:[0,0,1] op_sel_hi:[1,1,0] neg_lo:[0,0,1] neg_hi:[0,0,1]
	v_pk_fma_f32 v[10:11], v[10:11], v[100:101], v[114:115] op_sel:[0,0,1] op_sel_hi:[1,0,0]
	v_mov_b32_e32 v15, v9
	v_pk_add_f32 v[4:5], v[4:5], v[12:13]
	s_waitcnt vmcnt(2)
	v_pk_fma_f32 v[100:101], v[106:107], v[102:103], v[116:117] op_sel:[0,0,1] op_sel_hi:[1,1,0] neg_lo:[0,0,1] neg_hi:[0,0,1]
	v_pk_fma_f32 v[102:103], v[106:107], v[102:103], v[116:117] op_sel:[0,0,1] op_sel_hi:[1,0,0]
	v_mov_b32_e32 v99, v11
	v_pk_add_f32 v[4:5], v[4:5], v[14:15]
	v_mov_b32_e32 v101, v103
	v_pk_add_f32 v[4:5], v[4:5], v[98:99]
	v_pk_add_f32 v[4:5], v[4:5], v[100:101]
	s_waitcnt vmcnt(0)
	v_pk_add_f32 v[4:5], v[104:105], v[4:5] neg_lo:[0,1] neg_hi:[0,1]
	buffer_store_dword v4, off, s[0:3], 0 offset:280
	buffer_store_dword v5, off, s[0:3], 0 offset:284
	s_and_saveexec_b64 s[4:5], vcc
	s_cbranch_execz .LBB40_191
; %bb.190:
	buffer_load_dword v4, off, s[0:3], 0 offset:272
	buffer_load_dword v5, off, s[0:3], 0 offset:276
	s_waitcnt vmcnt(0)
	ds_write_b64 v1, v[4:5]
	buffer_store_dword v2, off, s[0:3], 0 offset:272
	buffer_store_dword v2, off, s[0:3], 0 offset:276
.LBB40_191:
	s_or_b64 exec, exec, s[4:5]
	s_waitcnt lgkmcnt(0)
	; wave barrier
	s_waitcnt lgkmcnt(0)
	buffer_load_dword v99, off, s[0:3], 0 offset:284
	buffer_load_dword v101, off, s[0:3], 0 offset:292
	;; [unrolled: 1-line block ×14, first 2 shown]
	ds_read2_b64 v[4:7], v2 offset0:77 offset1:78
	ds_read2_b64 v[8:11], v2 offset0:79 offset1:80
	;; [unrolled: 1-line block ×3, first 2 shown]
	v_cmp_lt_u32_e32 vcc, 33, v0
	s_waitcnt vmcnt(13)
	v_mov_b32_e32 v2, v99
	s_waitcnt vmcnt(12)
	v_mov_b32_e32 v112, v101
	s_waitcnt lgkmcnt(2)
	v_pk_mul_f32 v[2:3], v[4:5], v[2:3] op_sel_hi:[1,0]
	s_waitcnt vmcnt(11)
	v_mov_b32_e32 v114, v103
	v_pk_mul_f32 v[112:113], v[6:7], v[112:113] op_sel_hi:[1,0]
	s_waitcnt vmcnt(10)
	v_mov_b32_e32 v116, v105
	s_waitcnt vmcnt(7)
	v_pk_fma_f32 v[122:123], v[4:5], v[98:99], v[2:3] op_sel:[0,0,1] op_sel_hi:[1,1,0] neg_lo:[0,0,1] neg_hi:[0,0,1]
	v_pk_fma_f32 v[2:3], v[4:5], v[98:99], v[2:3] op_sel:[0,0,1] op_sel_hi:[1,0,0]
	s_waitcnt lgkmcnt(1)
	v_pk_mul_f32 v[114:115], v[8:9], v[114:115] op_sel_hi:[1,0]
	s_waitcnt vmcnt(6)
	v_pk_fma_f32 v[4:5], v[6:7], v[100:101], v[112:113] op_sel:[0,0,1] op_sel_hi:[1,1,0] neg_lo:[0,0,1] neg_hi:[0,0,1]
	v_pk_fma_f32 v[6:7], v[6:7], v[100:101], v[112:113] op_sel:[0,0,1] op_sel_hi:[1,0,0]
	v_mov_b32_e32 v123, v3
	v_mov_b32_e32 v118, v107
	v_pk_mul_f32 v[116:117], v[10:11], v[116:117] op_sel_hi:[1,0]
	s_waitcnt vmcnt(5)
	v_pk_fma_f32 v[98:99], v[8:9], v[102:103], v[114:115] op_sel:[0,0,1] op_sel_hi:[1,1,0] neg_lo:[0,0,1] neg_hi:[0,0,1]
	v_pk_fma_f32 v[8:9], v[8:9], v[102:103], v[114:115] op_sel:[0,0,1] op_sel_hi:[1,0,0]
	v_mov_b32_e32 v5, v7
	v_pk_add_f32 v[2:3], v[122:123], 0 op_sel_hi:[1,0]
	v_mov_b32_e32 v120, v109
	s_waitcnt lgkmcnt(0)
	v_pk_mul_f32 v[118:119], v[12:13], v[118:119] op_sel_hi:[1,0]
	s_waitcnt vmcnt(4)
	v_pk_fma_f32 v[100:101], v[10:11], v[104:105], v[116:117] op_sel:[0,0,1] op_sel_hi:[1,1,0] neg_lo:[0,0,1] neg_hi:[0,0,1]
	v_pk_fma_f32 v[10:11], v[10:11], v[104:105], v[116:117] op_sel:[0,0,1] op_sel_hi:[1,0,0]
	v_mov_b32_e32 v99, v9
	v_pk_add_f32 v[2:3], v[2:3], v[4:5]
	v_pk_mul_f32 v[120:121], v[14:15], v[120:121] op_sel_hi:[1,0]
	s_waitcnt vmcnt(3)
	v_pk_fma_f32 v[102:103], v[12:13], v[106:107], v[118:119] op_sel:[0,0,1] op_sel_hi:[1,1,0] neg_lo:[0,0,1] neg_hi:[0,0,1]
	v_pk_fma_f32 v[12:13], v[12:13], v[106:107], v[118:119] op_sel:[0,0,1] op_sel_hi:[1,0,0]
	v_mov_b32_e32 v101, v11
	v_pk_add_f32 v[2:3], v[2:3], v[98:99]
	s_waitcnt vmcnt(2)
	v_pk_fma_f32 v[104:105], v[14:15], v[108:109], v[120:121] op_sel:[0,0,1] op_sel_hi:[1,1,0] neg_lo:[0,0,1] neg_hi:[0,0,1]
	v_pk_fma_f32 v[14:15], v[14:15], v[108:109], v[120:121] op_sel:[0,0,1] op_sel_hi:[1,0,0]
	v_mov_b32_e32 v103, v13
	v_pk_add_f32 v[2:3], v[2:3], v[100:101]
	v_mov_b32_e32 v105, v15
	v_pk_add_f32 v[2:3], v[2:3], v[102:103]
	v_pk_add_f32 v[2:3], v[2:3], v[104:105]
	s_waitcnt vmcnt(0)
	v_pk_add_f32 v[2:3], v[110:111], v[2:3] neg_lo:[0,1] neg_hi:[0,1]
	buffer_store_dword v2, off, s[0:3], 0 offset:272
	buffer_store_dword v3, off, s[0:3], 0 offset:276
	s_and_saveexec_b64 s[4:5], vcc
	s_cbranch_execz .LBB40_193
; %bb.192:
	buffer_load_dword v2, off, s[0:3], 0 offset:264
	buffer_load_dword v3, off, s[0:3], 0 offset:268
	v_mov_b32_e32 v4, 0
	buffer_store_dword v4, off, s[0:3], 0 offset:264
	buffer_store_dword v4, off, s[0:3], 0 offset:268
	s_waitcnt vmcnt(2)
	ds_write_b64 v1, v[2:3]
.LBB40_193:
	s_or_b64 exec, exec, s[4:5]
	s_waitcnt lgkmcnt(0)
	; wave barrier
	s_waitcnt lgkmcnt(0)
	buffer_load_dword v98, off, s[0:3], 0 offset:264
	buffer_load_dword v99, off, s[0:3], 0 offset:268
	;; [unrolled: 1-line block ×16, first 2 shown]
	v_mov_b32_e32 v2, 0
	ds_read_b128 v[4:7], v2 offset:608
	ds_read_b128 v[8:11], v2 offset:624
	;; [unrolled: 1-line block ×3, first 2 shown]
	ds_read_b64 v[114:115], v2 offset:656
	v_cmp_lt_u32_e32 vcc, 32, v0
	s_waitcnt vmcnt(12)
	v_mov_b32_e32 v116, v101
	s_waitcnt lgkmcnt(3)
	v_pk_mul_f32 v[116:117], v[4:5], v[116:117] op_sel_hi:[1,0]
	v_pk_fma_f32 v[118:119], v[4:5], v[100:101], v[116:117] op_sel:[0,0,1] op_sel_hi:[1,1,0] neg_lo:[0,0,1] neg_hi:[0,0,1]
	v_pk_fma_f32 v[4:5], v[4:5], v[100:101], v[116:117] op_sel:[0,0,1] op_sel_hi:[1,0,0]
	s_waitcnt vmcnt(10)
	v_mov_b32_e32 v100, v103
	v_pk_mul_f32 v[100:101], v[6:7], v[100:101] op_sel_hi:[1,0]
	v_pk_fma_f32 v[116:117], v[6:7], v[102:103], v[100:101] op_sel:[0,0,1] op_sel_hi:[1,1,0] neg_lo:[0,0,1] neg_hi:[0,0,1]
	v_pk_fma_f32 v[6:7], v[6:7], v[102:103], v[100:101] op_sel:[0,0,1] op_sel_hi:[1,0,0]
	s_waitcnt vmcnt(8)
	v_mov_b32_e32 v6, v105
	v_mov_b32_e32 v117, v7
	s_waitcnt lgkmcnt(2)
	v_pk_mul_f32 v[6:7], v[8:9], v[6:7] op_sel_hi:[1,0]
	v_pk_fma_f32 v[100:101], v[8:9], v[104:105], v[6:7] op_sel:[0,0,1] op_sel_hi:[1,1,0] neg_lo:[0,0,1] neg_hi:[0,0,1]
	v_pk_fma_f32 v[6:7], v[8:9], v[104:105], v[6:7] op_sel:[0,0,1] op_sel_hi:[1,0,0]
	s_waitcnt vmcnt(6)
	v_mov_b32_e32 v6, v107
	v_mov_b32_e32 v119, v5
	;; [unrolled: 1-line block ×3, first 2 shown]
	v_pk_mul_f32 v[6:7], v[10:11], v[6:7] op_sel_hi:[1,0]
	v_pk_add_f32 v[4:5], v[118:119], 0 op_sel_hi:[1,0]
	v_pk_fma_f32 v[8:9], v[10:11], v[106:107], v[6:7] op_sel:[0,0,1] op_sel_hi:[1,1,0] neg_lo:[0,0,1] neg_hi:[0,0,1]
	v_pk_fma_f32 v[6:7], v[10:11], v[106:107], v[6:7] op_sel:[0,0,1] op_sel_hi:[1,0,0]
	v_pk_add_f32 v[4:5], v[4:5], v[116:117]
	s_waitcnt vmcnt(4)
	v_mov_b32_e32 v6, v109
	v_pk_add_f32 v[4:5], v[4:5], v[100:101]
	v_mov_b32_e32 v9, v7
	s_waitcnt lgkmcnt(1)
	v_pk_mul_f32 v[6:7], v[12:13], v[6:7] op_sel_hi:[1,0]
	v_pk_add_f32 v[4:5], v[4:5], v[8:9]
	v_pk_fma_f32 v[8:9], v[12:13], v[108:109], v[6:7] op_sel:[0,0,1] op_sel_hi:[1,1,0] neg_lo:[0,0,1] neg_hi:[0,0,1]
	v_pk_fma_f32 v[6:7], v[12:13], v[108:109], v[6:7] op_sel:[0,0,1] op_sel_hi:[1,0,0]
	s_waitcnt vmcnt(2)
	v_mov_b32_e32 v6, v111
	v_mov_b32_e32 v9, v7
	v_pk_mul_f32 v[6:7], v[14:15], v[6:7] op_sel_hi:[1,0]
	v_pk_add_f32 v[4:5], v[4:5], v[8:9]
	v_pk_fma_f32 v[8:9], v[14:15], v[110:111], v[6:7] op_sel:[0,0,1] op_sel_hi:[1,1,0] neg_lo:[0,0,1] neg_hi:[0,0,1]
	v_pk_fma_f32 v[6:7], v[14:15], v[110:111], v[6:7] op_sel:[0,0,1] op_sel_hi:[1,0,0]
	s_waitcnt vmcnt(0)
	v_mov_b32_e32 v6, v113
	v_mov_b32_e32 v9, v7
	s_waitcnt lgkmcnt(0)
	v_pk_mul_f32 v[6:7], v[114:115], v[6:7] op_sel_hi:[1,0]
	v_pk_add_f32 v[4:5], v[4:5], v[8:9]
	v_pk_fma_f32 v[8:9], v[114:115], v[112:113], v[6:7] op_sel:[0,0,1] op_sel_hi:[1,1,0] neg_lo:[0,0,1] neg_hi:[0,0,1]
	v_pk_fma_f32 v[6:7], v[114:115], v[112:113], v[6:7] op_sel:[0,0,1] op_sel_hi:[1,0,0]
	v_mov_b32_e32 v9, v7
	v_pk_add_f32 v[4:5], v[4:5], v[8:9]
	v_pk_add_f32 v[4:5], v[98:99], v[4:5] neg_lo:[0,1] neg_hi:[0,1]
	buffer_store_dword v4, off, s[0:3], 0 offset:264
	buffer_store_dword v5, off, s[0:3], 0 offset:268
	s_and_saveexec_b64 s[4:5], vcc
	s_cbranch_execz .LBB40_195
; %bb.194:
	buffer_load_dword v4, off, s[0:3], 0 offset:256
	buffer_load_dword v5, off, s[0:3], 0 offset:260
	s_waitcnt vmcnt(0)
	ds_write_b64 v1, v[4:5]
	buffer_store_dword v2, off, s[0:3], 0 offset:256
	buffer_store_dword v2, off, s[0:3], 0 offset:260
.LBB40_195:
	s_or_b64 exec, exec, s[4:5]
	s_waitcnt lgkmcnt(0)
	; wave barrier
	s_waitcnt lgkmcnt(0)
	buffer_load_dword v102, off, s[0:3], 0 offset:256
	buffer_load_dword v103, off, s[0:3], 0 offset:260
	;; [unrolled: 1-line block ×16, first 2 shown]
	ds_read2_b64 v[4:7], v2 offset0:75 offset1:76
	buffer_load_dword v119, off, s[0:3], 0 offset:324
	buffer_load_dword v118, off, s[0:3], 0 offset:320
	ds_read2_b64 v[8:11], v2 offset0:77 offset1:78
	ds_read2_b64 v[12:15], v2 offset0:79 offset1:80
	;; [unrolled: 1-line block ×3, first 2 shown]
	v_cmp_lt_u32_e32 vcc, 31, v0
	s_waitcnt vmcnt(14)
	v_mov_b32_e32 v2, v105
	s_waitcnt lgkmcnt(3)
	v_pk_mul_f32 v[2:3], v[4:5], v[2:3] op_sel_hi:[1,0]
	v_pk_fma_f32 v[120:121], v[4:5], v[104:105], v[2:3] op_sel:[0,0,1] op_sel_hi:[1,1,0] neg_lo:[0,0,1] neg_hi:[0,0,1]
	v_pk_fma_f32 v[2:3], v[4:5], v[104:105], v[2:3] op_sel:[0,0,1] op_sel_hi:[1,0,0]
	s_waitcnt vmcnt(12)
	v_mov_b32_e32 v4, v107
	v_pk_mul_f32 v[4:5], v[6:7], v[4:5] op_sel_hi:[1,0]
	v_pk_fma_f32 v[104:105], v[6:7], v[106:107], v[4:5] op_sel:[0,0,1] op_sel_hi:[1,1,0] neg_lo:[0,0,1] neg_hi:[0,0,1]
	v_pk_fma_f32 v[4:5], v[6:7], v[106:107], v[4:5] op_sel:[0,0,1] op_sel_hi:[1,0,0]
	s_waitcnt vmcnt(10)
	v_mov_b32_e32 v4, v109
	v_mov_b32_e32 v105, v5
	s_waitcnt lgkmcnt(2)
	v_pk_mul_f32 v[4:5], v[8:9], v[4:5] op_sel_hi:[1,0]
	v_mov_b32_e32 v121, v3
	v_pk_fma_f32 v[6:7], v[8:9], v[108:109], v[4:5] op_sel:[0,0,1] op_sel_hi:[1,1,0] neg_lo:[0,0,1] neg_hi:[0,0,1]
	v_pk_fma_f32 v[4:5], v[8:9], v[108:109], v[4:5] op_sel:[0,0,1] op_sel_hi:[1,0,0]
	v_pk_add_f32 v[2:3], v[120:121], 0 op_sel_hi:[1,0]
	s_waitcnt vmcnt(8)
	v_mov_b32_e32 v4, v111
	v_pk_add_f32 v[2:3], v[2:3], v[104:105]
	v_mov_b32_e32 v7, v5
	v_pk_mul_f32 v[4:5], v[10:11], v[4:5] op_sel_hi:[1,0]
	v_pk_add_f32 v[2:3], v[2:3], v[6:7]
	v_pk_fma_f32 v[6:7], v[10:11], v[110:111], v[4:5] op_sel:[0,0,1] op_sel_hi:[1,1,0] neg_lo:[0,0,1] neg_hi:[0,0,1]
	v_pk_fma_f32 v[4:5], v[10:11], v[110:111], v[4:5] op_sel:[0,0,1] op_sel_hi:[1,0,0]
	s_waitcnt vmcnt(6)
	v_mov_b32_e32 v4, v113
	v_mov_b32_e32 v7, v5
	s_waitcnt lgkmcnt(1)
	v_pk_mul_f32 v[4:5], v[12:13], v[4:5] op_sel_hi:[1,0]
	v_pk_add_f32 v[2:3], v[2:3], v[6:7]
	v_pk_fma_f32 v[6:7], v[12:13], v[112:113], v[4:5] op_sel:[0,0,1] op_sel_hi:[1,1,0] neg_lo:[0,0,1] neg_hi:[0,0,1]
	v_pk_fma_f32 v[4:5], v[12:13], v[112:113], v[4:5] op_sel:[0,0,1] op_sel_hi:[1,0,0]
	s_waitcnt vmcnt(4)
	v_mov_b32_e32 v4, v115
	v_mov_b32_e32 v7, v5
	v_pk_mul_f32 v[4:5], v[14:15], v[4:5] op_sel_hi:[1,0]
	v_pk_add_f32 v[2:3], v[2:3], v[6:7]
	v_pk_fma_f32 v[6:7], v[14:15], v[114:115], v[4:5] op_sel:[0,0,1] op_sel_hi:[1,1,0] neg_lo:[0,0,1] neg_hi:[0,0,1]
	v_pk_fma_f32 v[4:5], v[14:15], v[114:115], v[4:5] op_sel:[0,0,1] op_sel_hi:[1,0,0]
	s_waitcnt vmcnt(2)
	v_mov_b32_e32 v4, v117
	v_mov_b32_e32 v7, v5
	s_waitcnt lgkmcnt(0)
	v_pk_mul_f32 v[4:5], v[98:99], v[4:5] op_sel_hi:[1,0]
	v_pk_add_f32 v[2:3], v[2:3], v[6:7]
	v_pk_fma_f32 v[6:7], v[98:99], v[116:117], v[4:5] op_sel:[0,0,1] op_sel_hi:[1,1,0] neg_lo:[0,0,1] neg_hi:[0,0,1]
	v_pk_fma_f32 v[4:5], v[98:99], v[116:117], v[4:5] op_sel:[0,0,1] op_sel_hi:[1,0,0]
	s_waitcnt vmcnt(1)
	v_mov_b32_e32 v4, v119
	v_mov_b32_e32 v7, v5
	v_pk_mul_f32 v[4:5], v[100:101], v[4:5] op_sel_hi:[1,0]
	v_pk_add_f32 v[2:3], v[2:3], v[6:7]
	s_waitcnt vmcnt(0)
	v_pk_fma_f32 v[6:7], v[100:101], v[118:119], v[4:5] op_sel:[0,0,1] op_sel_hi:[1,1,0] neg_lo:[0,0,1] neg_hi:[0,0,1]
	v_pk_fma_f32 v[4:5], v[100:101], v[118:119], v[4:5] op_sel:[0,0,1] op_sel_hi:[1,0,0]
	v_mov_b32_e32 v7, v5
	v_pk_add_f32 v[2:3], v[2:3], v[6:7]
	v_pk_add_f32 v[2:3], v[102:103], v[2:3] neg_lo:[0,1] neg_hi:[0,1]
	buffer_store_dword v2, off, s[0:3], 0 offset:256
	buffer_store_dword v3, off, s[0:3], 0 offset:260
	s_and_saveexec_b64 s[4:5], vcc
	s_cbranch_execz .LBB40_197
; %bb.196:
	buffer_load_dword v2, off, s[0:3], 0 offset:248
	buffer_load_dword v3, off, s[0:3], 0 offset:252
	v_mov_b32_e32 v4, 0
	buffer_store_dword v4, off, s[0:3], 0 offset:248
	buffer_store_dword v4, off, s[0:3], 0 offset:252
	s_waitcnt vmcnt(2)
	ds_write_b64 v1, v[2:3]
.LBB40_197:
	s_or_b64 exec, exec, s[4:5]
	v_mov_b32_e32 v2, 0
	s_waitcnt lgkmcnt(0)
	; wave barrier
	s_waitcnt lgkmcnt(0)
	ds_read_b128 v[4:7], v2 offset:592
	ds_read_b128 v[8:11], v2 offset:608
	ds_read_b128 v[12:15], v2 offset:624
	ds_read_b128 v[98:101], v2 offset:640
	buffer_load_dword v102, off, s[0:3], 0 offset:248
	buffer_load_dword v103, off, s[0:3], 0 offset:252
	;; [unrolled: 1-line block ×20, first 2 shown]
	v_cmp_lt_u32_e32 vcc, 30, v0
	s_waitcnt vmcnt(16) lgkmcnt(3)
	v_mul_f32_e32 v117, v4, v116
	v_fmac_f32_e32 v117, v5, v3
	s_waitcnt vmcnt(14)
	v_mov_b32_e32 v122, v105
	v_mul_f32_e32 v5, v5, v116
	v_pk_mul_f32 v[122:123], v[6:7], v[122:123] op_sel_hi:[1,0]
	v_fma_f32 v116, v4, v3, -v5
	v_pk_fma_f32 v[124:125], v[6:7], v[104:105], v[122:123] op_sel:[0,0,1] op_sel_hi:[1,1,0] neg_lo:[0,0,1] neg_hi:[0,0,1]
	v_pk_fma_f32 v[6:7], v[6:7], v[104:105], v[122:123] op_sel:[0,0,1] op_sel_hi:[1,0,0]
	s_waitcnt vmcnt(12)
	v_mov_b32_e32 v104, v107
	v_pk_add_f32 v[116:117], v[116:117], 0 op_sel_hi:[1,0]
	v_mov_b32_e32 v125, v7
	s_waitcnt lgkmcnt(2)
	v_pk_mul_f32 v[104:105], v[8:9], v[104:105] op_sel_hi:[1,0]
	v_pk_add_f32 v[6:7], v[116:117], v[124:125]
	v_pk_fma_f32 v[116:117], v[8:9], v[106:107], v[104:105] op_sel:[0,0,1] op_sel_hi:[1,1,0] neg_lo:[0,0,1] neg_hi:[0,0,1]
	v_pk_fma_f32 v[8:9], v[8:9], v[106:107], v[104:105] op_sel:[0,0,1] op_sel_hi:[1,0,0]
	s_waitcnt vmcnt(10)
	v_mov_b32_e32 v8, v109
	v_mov_b32_e32 v117, v9
	v_pk_mul_f32 v[8:9], v[10:11], v[8:9] op_sel_hi:[1,0]
	v_pk_fma_f32 v[104:105], v[10:11], v[108:109], v[8:9] op_sel:[0,0,1] op_sel_hi:[1,1,0] neg_lo:[0,0,1] neg_hi:[0,0,1]
	v_pk_fma_f32 v[8:9], v[10:11], v[108:109], v[8:9] op_sel:[0,0,1] op_sel_hi:[1,0,0]
	s_waitcnt vmcnt(8)
	v_mov_b32_e32 v8, v111
	v_mov_b32_e32 v105, v9
	s_waitcnt lgkmcnt(1)
	v_pk_mul_f32 v[8:9], v[12:13], v[8:9] op_sel_hi:[1,0]
	v_pk_fma_f32 v[10:11], v[12:13], v[110:111], v[8:9] op_sel:[0,0,1] op_sel_hi:[1,1,0] neg_lo:[0,0,1] neg_hi:[0,0,1]
	v_pk_fma_f32 v[8:9], v[12:13], v[110:111], v[8:9] op_sel:[0,0,1] op_sel_hi:[1,0,0]
	v_pk_add_f32 v[6:7], v[6:7], v[116:117]
	s_waitcnt vmcnt(6)
	v_mov_b32_e32 v8, v113
	v_pk_add_f32 v[6:7], v[6:7], v[104:105]
	v_mov_b32_e32 v11, v9
	v_pk_mul_f32 v[8:9], v[14:15], v[8:9] op_sel_hi:[1,0]
	v_pk_add_f32 v[6:7], v[6:7], v[10:11]
	v_pk_fma_f32 v[10:11], v[14:15], v[112:113], v[8:9] op_sel:[0,0,1] op_sel_hi:[1,1,0] neg_lo:[0,0,1] neg_hi:[0,0,1]
	v_pk_fma_f32 v[8:9], v[14:15], v[112:113], v[8:9] op_sel:[0,0,1] op_sel_hi:[1,0,0]
	s_waitcnt vmcnt(4)
	v_mov_b32_e32 v8, v115
	v_mov_b32_e32 v11, v9
	s_waitcnt lgkmcnt(0)
	v_pk_mul_f32 v[8:9], v[98:99], v[8:9] op_sel_hi:[1,0]
	ds_read_b64 v[4:5], v2 offset:656
	v_pk_add_f32 v[6:7], v[6:7], v[10:11]
	v_pk_fma_f32 v[10:11], v[98:99], v[114:115], v[8:9] op_sel:[0,0,1] op_sel_hi:[1,1,0] neg_lo:[0,0,1] neg_hi:[0,0,1]
	v_pk_fma_f32 v[8:9], v[98:99], v[114:115], v[8:9] op_sel:[0,0,1] op_sel_hi:[1,0,0]
	s_waitcnt vmcnt(3)
	v_mov_b32_e32 v8, v119
	v_mov_b32_e32 v11, v9
	v_pk_mul_f32 v[8:9], v[100:101], v[8:9] op_sel_hi:[1,0]
	v_pk_add_f32 v[6:7], v[6:7], v[10:11]
	s_waitcnt vmcnt(2)
	v_pk_fma_f32 v[10:11], v[100:101], v[118:119], v[8:9] op_sel:[0,0,1] op_sel_hi:[1,1,0] neg_lo:[0,0,1] neg_hi:[0,0,1]
	v_pk_fma_f32 v[8:9], v[100:101], v[118:119], v[8:9] op_sel:[0,0,1] op_sel_hi:[1,0,0]
	s_waitcnt vmcnt(1)
	v_mov_b32_e32 v8, v121
	v_mov_b32_e32 v11, v9
	s_waitcnt lgkmcnt(0)
	v_pk_mul_f32 v[8:9], v[4:5], v[8:9] op_sel_hi:[1,0]
	v_pk_add_f32 v[6:7], v[6:7], v[10:11]
	s_waitcnt vmcnt(0)
	v_pk_fma_f32 v[10:11], v[4:5], v[120:121], v[8:9] op_sel:[0,0,1] op_sel_hi:[1,1,0] neg_lo:[0,0,1] neg_hi:[0,0,1]
	v_pk_fma_f32 v[4:5], v[4:5], v[120:121], v[8:9] op_sel:[0,0,1] op_sel_hi:[1,0,0]
	v_mov_b32_e32 v11, v5
	v_pk_add_f32 v[4:5], v[6:7], v[10:11]
	v_pk_add_f32 v[4:5], v[102:103], v[4:5] neg_lo:[0,1] neg_hi:[0,1]
	buffer_store_dword v4, off, s[0:3], 0 offset:248
	buffer_store_dword v5, off, s[0:3], 0 offset:252
	s_and_saveexec_b64 s[4:5], vcc
	s_cbranch_execz .LBB40_199
; %bb.198:
	buffer_load_dword v4, off, s[0:3], 0 offset:240
	buffer_load_dword v5, off, s[0:3], 0 offset:244
	s_waitcnt vmcnt(0)
	ds_write_b64 v1, v[4:5]
	buffer_store_dword v2, off, s[0:3], 0 offset:240
	buffer_store_dword v2, off, s[0:3], 0 offset:244
.LBB40_199:
	s_or_b64 exec, exec, s[4:5]
	s_waitcnt lgkmcnt(0)
	; wave barrier
	s_waitcnt lgkmcnt(0)
	ds_read2_b64 v[4:7], v2 offset0:73 offset1:74
	buffer_load_dword v102, off, s[0:3], 0 offset:240
	buffer_load_dword v103, off, s[0:3], 0 offset:244
	;; [unrolled: 1-line block ×16, first 2 shown]
	ds_read2_b64 v[8:11], v2 offset0:75 offset1:76
	buffer_load_dword v119, off, s[0:3], 0 offset:308
	buffer_load_dword v118, off, s[0:3], 0 offset:304
	;; [unrolled: 1-line block ×6, first 2 shown]
	v_cmp_lt_u32_e32 vcc, 29, v0
	s_waitcnt vmcnt(18) lgkmcnt(1)
	v_mul_f32_e32 v115, v4, v12
	v_fmac_f32_e32 v115, v5, v3
	v_mul_f32_e32 v5, v5, v12
	s_waitcnt vmcnt(16)
	v_mul_f32_e32 v117, v6, v14
	v_fma_f32 v114, v4, v3, -v5
	v_mul_f32_e32 v3, v7, v14
	v_fmac_f32_e32 v117, v7, v13
	v_fma_f32 v116, v6, v13, -v3
	ds_read2_b64 v[4:7], v2 offset0:77 offset1:78
	ds_read2_b64 v[12:15], v2 offset0:79 offset1:80
	;; [unrolled: 1-line block ×3, first 2 shown]
	v_pk_add_f32 v[2:3], v[114:115], 0 op_sel_hi:[1,0]
	s_waitcnt vmcnt(14)
	v_mov_b32_e32 v114, v105
	s_waitcnt lgkmcnt(3)
	v_pk_mul_f32 v[114:115], v[8:9], v[114:115] op_sel_hi:[1,0]
	v_pk_add_f32 v[2:3], v[2:3], v[116:117]
	v_pk_fma_f32 v[116:117], v[8:9], v[104:105], v[114:115] op_sel:[0,0,1] op_sel_hi:[1,1,0] neg_lo:[0,0,1] neg_hi:[0,0,1]
	v_pk_fma_f32 v[8:9], v[8:9], v[104:105], v[114:115] op_sel:[0,0,1] op_sel_hi:[1,0,0]
	s_waitcnt vmcnt(12)
	v_mov_b32_e32 v8, v107
	v_mov_b32_e32 v117, v9
	v_pk_mul_f32 v[8:9], v[10:11], v[8:9] op_sel_hi:[1,0]
	v_pk_fma_f32 v[104:105], v[10:11], v[106:107], v[8:9] op_sel:[0,0,1] op_sel_hi:[1,1,0] neg_lo:[0,0,1] neg_hi:[0,0,1]
	v_pk_fma_f32 v[8:9], v[10:11], v[106:107], v[8:9] op_sel:[0,0,1] op_sel_hi:[1,0,0]
	s_waitcnt vmcnt(10)
	v_mov_b32_e32 v8, v109
	v_mov_b32_e32 v105, v9
	s_waitcnt lgkmcnt(2)
	v_pk_mul_f32 v[8:9], v[4:5], v[8:9] op_sel_hi:[1,0]
	v_pk_fma_f32 v[10:11], v[4:5], v[108:109], v[8:9] op_sel:[0,0,1] op_sel_hi:[1,1,0] neg_lo:[0,0,1] neg_hi:[0,0,1]
	v_pk_fma_f32 v[4:5], v[4:5], v[108:109], v[8:9] op_sel:[0,0,1] op_sel_hi:[1,0,0]
	s_waitcnt vmcnt(8)
	v_mov_b32_e32 v4, v111
	v_mov_b32_e32 v11, v5
	v_pk_mul_f32 v[4:5], v[6:7], v[4:5] op_sel_hi:[1,0]
	v_pk_fma_f32 v[8:9], v[6:7], v[110:111], v[4:5] op_sel:[0,0,1] op_sel_hi:[1,1,0] neg_lo:[0,0,1] neg_hi:[0,0,1]
	v_pk_fma_f32 v[4:5], v[6:7], v[110:111], v[4:5] op_sel:[0,0,1] op_sel_hi:[1,0,0]
	s_waitcnt vmcnt(6)
	v_mov_b32_e32 v4, v113
	v_pk_add_f32 v[2:3], v[2:3], v[116:117]
	v_mov_b32_e32 v9, v5
	s_waitcnt lgkmcnt(1)
	v_pk_mul_f32 v[4:5], v[12:13], v[4:5] op_sel_hi:[1,0]
	v_pk_add_f32 v[2:3], v[2:3], v[104:105]
	v_pk_fma_f32 v[6:7], v[12:13], v[112:113], v[4:5] op_sel:[0,0,1] op_sel_hi:[1,1,0] neg_lo:[0,0,1] neg_hi:[0,0,1]
	v_pk_fma_f32 v[4:5], v[12:13], v[112:113], v[4:5] op_sel:[0,0,1] op_sel_hi:[1,0,0]
	v_pk_add_f32 v[2:3], v[2:3], v[10:11]
	s_waitcnt vmcnt(5)
	v_mov_b32_e32 v4, v119
	v_pk_add_f32 v[2:3], v[2:3], v[8:9]
	v_mov_b32_e32 v7, v5
	v_pk_mul_f32 v[4:5], v[14:15], v[4:5] op_sel_hi:[1,0]
	v_pk_add_f32 v[2:3], v[2:3], v[6:7]
	s_waitcnt vmcnt(4)
	v_pk_fma_f32 v[6:7], v[14:15], v[118:119], v[4:5] op_sel:[0,0,1] op_sel_hi:[1,1,0] neg_lo:[0,0,1] neg_hi:[0,0,1]
	v_pk_fma_f32 v[4:5], v[14:15], v[118:119], v[4:5] op_sel:[0,0,1] op_sel_hi:[1,0,0]
	s_waitcnt vmcnt(3)
	v_mov_b32_e32 v4, v121
	v_mov_b32_e32 v7, v5
	s_waitcnt lgkmcnt(0)
	v_pk_mul_f32 v[4:5], v[98:99], v[4:5] op_sel_hi:[1,0]
	v_pk_add_f32 v[2:3], v[2:3], v[6:7]
	s_waitcnt vmcnt(2)
	v_pk_fma_f32 v[6:7], v[98:99], v[120:121], v[4:5] op_sel:[0,0,1] op_sel_hi:[1,1,0] neg_lo:[0,0,1] neg_hi:[0,0,1]
	v_pk_fma_f32 v[4:5], v[98:99], v[120:121], v[4:5] op_sel:[0,0,1] op_sel_hi:[1,0,0]
	s_waitcnt vmcnt(1)
	v_mov_b32_e32 v4, v123
	v_mov_b32_e32 v7, v5
	v_pk_mul_f32 v[4:5], v[100:101], v[4:5] op_sel_hi:[1,0]
	v_pk_add_f32 v[2:3], v[2:3], v[6:7]
	s_waitcnt vmcnt(0)
	v_pk_fma_f32 v[6:7], v[100:101], v[122:123], v[4:5] op_sel:[0,0,1] op_sel_hi:[1,1,0] neg_lo:[0,0,1] neg_hi:[0,0,1]
	v_pk_fma_f32 v[4:5], v[100:101], v[122:123], v[4:5] op_sel:[0,0,1] op_sel_hi:[1,0,0]
	v_mov_b32_e32 v7, v5
	v_pk_add_f32 v[2:3], v[2:3], v[6:7]
	v_pk_add_f32 v[2:3], v[102:103], v[2:3] neg_lo:[0,1] neg_hi:[0,1]
	buffer_store_dword v2, off, s[0:3], 0 offset:240
	buffer_store_dword v3, off, s[0:3], 0 offset:244
	s_and_saveexec_b64 s[4:5], vcc
	s_cbranch_execz .LBB40_201
; %bb.200:
	buffer_load_dword v2, off, s[0:3], 0 offset:232
	buffer_load_dword v3, off, s[0:3], 0 offset:236
	v_mov_b32_e32 v4, 0
	buffer_store_dword v4, off, s[0:3], 0 offset:232
	buffer_store_dword v4, off, s[0:3], 0 offset:236
	s_waitcnt vmcnt(2)
	ds_write_b64 v1, v[2:3]
.LBB40_201:
	s_or_b64 exec, exec, s[4:5]
	s_waitcnt lgkmcnt(0)
	; wave barrier
	s_waitcnt lgkmcnt(0)
	buffer_load_dword v3, off, s[0:3], 0 offset:244
	buffer_load_dword v126, off, s[0:3], 0 offset:252
	buffer_load_dword v128, off, s[0:3], 0 offset:260
	buffer_load_dword v107, off, s[0:3], 0 offset:268
	buffer_load_dword v109, off, s[0:3], 0 offset:276
	buffer_load_dword v111, off, s[0:3], 0 offset:284
	buffer_load_dword v113, off, s[0:3], 0 offset:292
	buffer_load_dword v115, off, s[0:3], 0 offset:300
	buffer_load_dword v117, off, s[0:3], 0 offset:308
	buffer_load_dword v119, off, s[0:3], 0 offset:316
	buffer_load_dword v121, off, s[0:3], 0 offset:324
	buffer_load_dword v131, off, s[0:3], 0 offset:240
	buffer_load_dword v133, off, s[0:3], 0 offset:248
	buffer_load_dword v135, off, s[0:3], 0 offset:256
	buffer_load_dword v106, off, s[0:3], 0 offset:264
	buffer_load_dword v108, off, s[0:3], 0 offset:272
	buffer_load_dword v110, off, s[0:3], 0 offset:280
	buffer_load_dword v112, off, s[0:3], 0 offset:288
	buffer_load_dword v120, off, s[0:3], 0 offset:320
	buffer_load_dword v118, off, s[0:3], 0 offset:312
	buffer_load_dword v116, off, s[0:3], 0 offset:304
	buffer_load_dword v114, off, s[0:3], 0 offset:296
	buffer_load_dword v122, off, s[0:3], 0 offset:232
	buffer_load_dword v123, off, s[0:3], 0 offset:236
	v_mov_b32_e32 v2, 0
	ds_read_b128 v[4:7], v2 offset:576
	ds_read_b128 v[8:11], v2 offset:592
	;; [unrolled: 1-line block ×5, first 2 shown]
	ds_read_b64 v[124:125], v2 offset:656
	v_cmp_lt_u32_e32 vcc, 28, v0
	s_waitcnt vmcnt(23) lgkmcnt(5)
	v_mul_f32_e32 v139, v4, v3
	v_mul_f32_e32 v3, v5, v3
	s_waitcnt vmcnt(22)
	v_mul_f32_e32 v127, v6, v126
	s_waitcnt vmcnt(21) lgkmcnt(4)
	v_mul_f32_e32 v129, v8, v128
	v_mul_f32_e32 v126, v7, v126
	;; [unrolled: 1-line block ×3, first 2 shown]
	s_waitcnt vmcnt(20)
	v_mov_b32_e32 v130, v107
	s_waitcnt vmcnt(19)
	v_mov_b32_e32 v132, v109
	;; [unrolled: 2-line block ×5, first 2 shown]
	s_waitcnt vmcnt(12)
	v_fmac_f32_e32 v139, v5, v131
	v_fma_f32 v3, v4, v131, -v3
	v_mov_b32_e32 v140, v117
	s_waitcnt vmcnt(11)
	v_fmac_f32_e32 v127, v7, v133
	s_waitcnt vmcnt(10)
	v_fmac_f32_e32 v129, v9, v135
	v_fma_f32 v126, v6, v133, -v126
	v_fma_f32 v128, v8, v135, -v128
	v_pk_mul_f32 v[4:5], v[10:11], v[130:131] op_sel_hi:[1,0]
	s_waitcnt lgkmcnt(3)
	v_pk_mul_f32 v[6:7], v[12:13], v[132:133] op_sel_hi:[1,0]
	v_pk_mul_f32 v[8:9], v[14:15], v[134:135] op_sel_hi:[1,0]
	s_waitcnt lgkmcnt(2)
	v_pk_mul_f32 v[130:131], v[98:99], v[136:137] op_sel_hi:[1,0]
	v_pk_mul_f32 v[132:133], v[100:101], v[138:139] op_sel_hi:[1,0]
	v_add_f32_e32 v139, 0, v139
	v_add_f32_e32 v138, 0, v3
	s_waitcnt lgkmcnt(1)
	v_pk_mul_f32 v[134:135], v[102:103], v[140:141] op_sel_hi:[1,0]
	s_waitcnt vmcnt(9)
	v_pk_fma_f32 v[140:141], v[10:11], v[106:107], v[4:5] op_sel:[0,0,1] op_sel_hi:[1,1,0] neg_lo:[0,0,1] neg_hi:[0,0,1]
	v_pk_fma_f32 v[4:5], v[10:11], v[106:107], v[4:5] op_sel:[0,0,1] op_sel_hi:[1,0,0]
	s_waitcnt vmcnt(8)
	v_pk_fma_f32 v[10:11], v[12:13], v[108:109], v[6:7] op_sel:[0,0,1] op_sel_hi:[1,1,0] neg_lo:[0,0,1] neg_hi:[0,0,1]
	v_pk_fma_f32 v[6:7], v[12:13], v[108:109], v[6:7] op_sel:[0,0,1] op_sel_hi:[1,0,0]
	;; [unrolled: 3-line block ×4, first 2 shown]
	v_pk_add_f32 v[112:113], v[138:139], v[126:127]
	v_mov_b32_e32 v141, v5
	v_pk_add_f32 v[4:5], v[112:113], v[128:129]
	v_mov_b32_e32 v11, v7
	;; [unrolled: 2-line block ×4, first 2 shown]
	s_waitcnt vmcnt(2)
	v_pk_fma_f32 v[106:107], v[100:101], v[114:115], v[132:133] op_sel:[0,0,1] op_sel_hi:[1,1,0] neg_lo:[0,0,1] neg_hi:[0,0,1]
	v_pk_fma_f32 v[100:101], v[100:101], v[114:115], v[132:133] op_sel:[0,0,1] op_sel_hi:[1,0,0]
	v_mov_b32_e32 v15, v99
	v_pk_add_f32 v[4:5], v[4:5], v[12:13]
	v_mov_b32_e32 v144, v121
	v_pk_mul_f32 v[136:137], v[104:105], v[142:143] op_sel_hi:[1,0]
	v_pk_fma_f32 v[108:109], v[102:103], v[116:117], v[134:135] op_sel:[0,0,1] op_sel_hi:[1,1,0] neg_lo:[0,0,1] neg_hi:[0,0,1]
	v_pk_fma_f32 v[102:103], v[102:103], v[116:117], v[134:135] op_sel:[0,0,1] op_sel_hi:[1,0,0]
	v_mov_b32_e32 v107, v101
	v_pk_add_f32 v[4:5], v[4:5], v[14:15]
	v_pk_fma_f32 v[110:111], v[104:105], v[118:119], v[136:137] op_sel:[0,0,1] op_sel_hi:[1,1,0] neg_lo:[0,0,1] neg_hi:[0,0,1]
	v_pk_fma_f32 v[104:105], v[104:105], v[118:119], v[136:137] op_sel:[0,0,1] op_sel_hi:[1,0,0]
	v_mov_b32_e32 v109, v103
	v_pk_add_f32 v[4:5], v[4:5], v[106:107]
	s_waitcnt lgkmcnt(0)
	v_pk_mul_f32 v[6:7], v[124:125], v[144:145] op_sel_hi:[1,0]
	v_mov_b32_e32 v111, v105
	v_pk_add_f32 v[4:5], v[4:5], v[108:109]
	v_pk_fma_f32 v[8:9], v[124:125], v[120:121], v[6:7] op_sel:[0,0,1] op_sel_hi:[1,1,0] neg_lo:[0,0,1] neg_hi:[0,0,1]
	v_pk_fma_f32 v[6:7], v[124:125], v[120:121], v[6:7] op_sel:[0,0,1] op_sel_hi:[1,0,0]
	v_pk_add_f32 v[4:5], v[4:5], v[110:111]
	v_mov_b32_e32 v9, v7
	v_pk_add_f32 v[4:5], v[4:5], v[8:9]
	s_waitcnt vmcnt(0)
	v_pk_add_f32 v[4:5], v[122:123], v[4:5] neg_lo:[0,1] neg_hi:[0,1]
	buffer_store_dword v5, off, s[0:3], 0 offset:236
	buffer_store_dword v4, off, s[0:3], 0 offset:232
	s_and_saveexec_b64 s[4:5], vcc
	s_cbranch_execz .LBB40_203
; %bb.202:
	buffer_load_dword v4, off, s[0:3], 0 offset:224
	buffer_load_dword v5, off, s[0:3], 0 offset:228
	s_waitcnt vmcnt(0)
	ds_write_b64 v1, v[4:5]
	buffer_store_dword v2, off, s[0:3], 0 offset:224
	buffer_store_dword v2, off, s[0:3], 0 offset:228
.LBB40_203:
	s_or_b64 exec, exec, s[4:5]
	s_waitcnt lgkmcnt(0)
	; wave barrier
	s_waitcnt lgkmcnt(0)
	buffer_load_dword v128, off, s[0:3], 0 offset:236
	buffer_load_dword v130, off, s[0:3], 0 offset:244
	;; [unrolled: 1-line block ×26, first 2 shown]
	ds_read2_b64 v[4:7], v2 offset0:71 offset1:72
	ds_read2_b64 v[8:11], v2 offset0:73 offset1:74
	;; [unrolled: 1-line block ×6, first 2 shown]
	v_cmp_lt_u32_e32 vcc, 27, v0
	s_waitcnt vmcnt(25) lgkmcnt(5)
	v_mul_f32_e32 v141, v4, v128
	v_mul_f32_e32 v2, v5, v128
	s_waitcnt vmcnt(24)
	v_mul_f32_e32 v142, v6, v130
	s_waitcnt vmcnt(23) lgkmcnt(4)
	v_mul_f32_e32 v3, v8, v131
	s_waitcnt vmcnt(22)
	v_mul_f32_e32 v129, v10, v132
	v_mul_f32_e32 v128, v7, v130
	;; [unrolled: 1-line block ×4, first 2 shown]
	s_waitcnt vmcnt(21)
	v_mov_b32_e32 v130, v111
	s_waitcnt vmcnt(20)
	v_mov_b32_e32 v132, v113
	;; [unrolled: 2-line block ×3, first 2 shown]
	s_waitcnt vmcnt(15)
	v_fmac_f32_e32 v141, v5, v133
	v_fma_f32 v144, v4, v133, -v2
	v_mov_b32_e32 v134, v115
	s_waitcnt vmcnt(14)
	v_fmac_f32_e32 v142, v7, v135
	s_waitcnt vmcnt(13)
	v_fmac_f32_e32 v3, v9, v137
	;; [unrolled: 2-line block ×3, first 2 shown]
	v_fma_f32 v145, v6, v135, -v128
	v_fma_f32 v2, v8, v137, -v131
	;; [unrolled: 1-line block ×3, first 2 shown]
	s_waitcnt lgkmcnt(3)
	v_pk_mul_f32 v[4:5], v[12:13], v[130:131] op_sel_hi:[1,0]
	v_pk_mul_f32 v[6:7], v[14:15], v[132:133] op_sel_hi:[1,0]
	s_waitcnt lgkmcnt(2)
	v_pk_mul_f32 v[10:11], v[100:101], v[136:137] op_sel_hi:[1,0]
	v_add_f32_e32 v136, 0, v141
	v_add_f32_e32 v137, 0, v144
	v_pk_mul_f32 v[8:9], v[98:99], v[134:135] op_sel_hi:[1,0]
	s_waitcnt vmcnt(11)
	v_pk_fma_f32 v[134:135], v[12:13], v[110:111], v[4:5] op_sel:[0,0,1] op_sel_hi:[1,1,0] neg_lo:[0,0,1] neg_hi:[0,0,1]
	v_pk_fma_f32 v[4:5], v[12:13], v[110:111], v[4:5] op_sel:[0,0,1] op_sel_hi:[1,0,0]
	s_waitcnt vmcnt(10)
	v_pk_fma_f32 v[12:13], v[14:15], v[112:113], v[6:7] op_sel:[0,0,1] op_sel_hi:[1,1,0] neg_lo:[0,0,1] neg_hi:[0,0,1]
	v_pk_fma_f32 v[6:7], v[14:15], v[112:113], v[6:7] op_sel:[0,0,1] op_sel_hi:[1,0,0]
	v_add_f32_e32 v113, v136, v142
	v_add_f32_e32 v112, v137, v145
	v_pk_add_f32 v[2:3], v[112:113], v[2:3]
	v_mov_b32_e32 v135, v5
	v_pk_add_f32 v[2:3], v[2:3], v[128:129]
	v_mov_b32_e32 v138, v119
	s_waitcnt vmcnt(9)
	v_pk_fma_f32 v[14:15], v[98:99], v[114:115], v[8:9] op_sel:[0,0,1] op_sel_hi:[1,1,0] neg_lo:[0,0,1] neg_hi:[0,0,1]
	v_pk_fma_f32 v[8:9], v[98:99], v[114:115], v[8:9] op_sel:[0,0,1] op_sel_hi:[1,0,0]
	v_mov_b32_e32 v13, v7
	v_pk_add_f32 v[2:3], v[2:3], v[134:135]
	v_mov_b32_e32 v140, v121
	s_waitcnt lgkmcnt(1)
	v_pk_mul_f32 v[130:131], v[102:103], v[138:139] op_sel_hi:[1,0]
	s_waitcnt vmcnt(5)
	v_pk_fma_f32 v[98:99], v[100:101], v[116:117], v[10:11] op_sel:[0,0,1] op_sel_hi:[1,1,0] neg_lo:[0,0,1] neg_hi:[0,0,1]
	v_pk_fma_f32 v[10:11], v[100:101], v[116:117], v[10:11] op_sel:[0,0,1] op_sel_hi:[1,0,0]
	v_mov_b32_e32 v15, v9
	v_pk_add_f32 v[2:3], v[2:3], v[12:13]
	s_waitcnt vmcnt(4)
	v_mov_b32_e32 v4, v123
	v_pk_mul_f32 v[132:133], v[104:105], v[140:141] op_sel_hi:[1,0]
	v_pk_fma_f32 v[100:101], v[102:103], v[118:119], v[130:131] op_sel:[0,0,1] op_sel_hi:[1,1,0] neg_lo:[0,0,1] neg_hi:[0,0,1]
	v_pk_fma_f32 v[102:103], v[102:103], v[118:119], v[130:131] op_sel:[0,0,1] op_sel_hi:[1,0,0]
	v_mov_b32_e32 v99, v11
	v_pk_add_f32 v[2:3], v[2:3], v[14:15]
	s_waitcnt lgkmcnt(0)
	v_pk_mul_f32 v[4:5], v[106:107], v[4:5] op_sel_hi:[1,0]
	v_pk_fma_f32 v[110:111], v[104:105], v[120:121], v[132:133] op_sel:[0,0,1] op_sel_hi:[1,1,0] neg_lo:[0,0,1] neg_hi:[0,0,1]
	v_pk_fma_f32 v[104:105], v[104:105], v[120:121], v[132:133] op_sel:[0,0,1] op_sel_hi:[1,0,0]
	v_mov_b32_e32 v101, v103
	v_pk_add_f32 v[2:3], v[2:3], v[98:99]
	v_pk_fma_f32 v[6:7], v[106:107], v[122:123], v[4:5] op_sel:[0,0,1] op_sel_hi:[1,1,0] neg_lo:[0,0,1] neg_hi:[0,0,1]
	v_pk_fma_f32 v[4:5], v[106:107], v[122:123], v[4:5] op_sel:[0,0,1] op_sel_hi:[1,0,0]
	v_mov_b32_e32 v111, v105
	v_pk_add_f32 v[2:3], v[2:3], v[100:101]
	s_waitcnt vmcnt(3)
	v_mov_b32_e32 v4, v125
	v_pk_add_f32 v[2:3], v[2:3], v[110:111]
	v_mov_b32_e32 v7, v5
	v_pk_mul_f32 v[4:5], v[108:109], v[4:5] op_sel_hi:[1,0]
	v_pk_add_f32 v[2:3], v[2:3], v[6:7]
	s_waitcnt vmcnt(2)
	v_pk_fma_f32 v[6:7], v[108:109], v[124:125], v[4:5] op_sel:[0,0,1] op_sel_hi:[1,1,0] neg_lo:[0,0,1] neg_hi:[0,0,1]
	v_pk_fma_f32 v[4:5], v[108:109], v[124:125], v[4:5] op_sel:[0,0,1] op_sel_hi:[1,0,0]
	v_mov_b32_e32 v7, v5
	v_pk_add_f32 v[2:3], v[2:3], v[6:7]
	s_waitcnt vmcnt(0)
	v_pk_add_f32 v[2:3], v[126:127], v[2:3] neg_lo:[0,1] neg_hi:[0,1]
	buffer_store_dword v3, off, s[0:3], 0 offset:228
	buffer_store_dword v2, off, s[0:3], 0 offset:224
	s_and_saveexec_b64 s[4:5], vcc
	s_cbranch_execz .LBB40_205
; %bb.204:
	buffer_load_dword v2, off, s[0:3], 0 offset:216
	buffer_load_dword v3, off, s[0:3], 0 offset:220
	v_mov_b32_e32 v4, 0
	buffer_store_dword v4, off, s[0:3], 0 offset:216
	buffer_store_dword v4, off, s[0:3], 0 offset:220
	s_waitcnt vmcnt(2)
	ds_write_b64 v1, v[2:3]
.LBB40_205:
	s_or_b64 exec, exec, s[4:5]
	s_waitcnt lgkmcnt(0)
	; wave barrier
	s_waitcnt lgkmcnt(0)
	buffer_load_dword v3, off, s[0:3], 0 offset:228
	buffer_load_dword v130, off, s[0:3], 0 offset:236
	;; [unrolled: 1-line block ×28, first 2 shown]
	v_mov_b32_e32 v2, 0
	ds_read_b128 v[4:7], v2 offset:560
	ds_read_b128 v[8:11], v2 offset:576
	;; [unrolled: 1-line block ×6, first 2 shown]
	ds_read_b64 v[128:129], v2 offset:656
	v_cmp_lt_u32_e32 vcc, 26, v0
	s_waitcnt vmcnt(27) lgkmcnt(6)
	v_mul_f32_e32 v145, v4, v3
	v_mul_f32_e32 v3, v5, v3
	s_waitcnt vmcnt(26)
	v_mul_f32_e32 v146, v6, v130
	s_waitcnt vmcnt(24) lgkmcnt(5)
	v_mul_f32_e32 v131, v10, v134
	s_waitcnt vmcnt(23) lgkmcnt(4)
	v_mul_f32_e32 v133, v12, v135
	v_mul_f32_e32 v148, v11, v134
	;; [unrolled: 1-line block ×3, first 2 shown]
	s_waitcnt vmcnt(22)
	v_mov_b32_e32 v134, v111
	v_mul_f32_e32 v147, v8, v132
	v_mul_f32_e32 v130, v7, v130
	;; [unrolled: 1-line block ×3, first 2 shown]
	s_waitcnt vmcnt(17)
	v_fmac_f32_e32 v145, v5, v137
	v_fma_f32 v3, v4, v137, -v3
	v_pk_mul_f32 v[4:5], v[14:15], v[134:135] op_sel_hi:[1,0]
	s_waitcnt vmcnt(16)
	v_fmac_f32_e32 v146, v7, v139
	s_waitcnt vmcnt(13)
	v_fmac_f32_e32 v133, v13, v144
	v_fma_f32 v137, v6, v139, -v130
	v_fma_f32 v139, v8, v141, -v132
	v_fma_f32 v132, v12, v144, -v135
	v_add_f32_e32 v134, 0, v145
	v_add_f32_e32 v3, 0, v3
	s_waitcnt vmcnt(12)
	v_pk_fma_f32 v[12:13], v[14:15], v[110:111], v[4:5] op_sel:[0,0,1] op_sel_hi:[1,1,0] neg_lo:[0,0,1] neg_hi:[0,0,1]
	v_pk_fma_f32 v[4:5], v[14:15], v[110:111], v[4:5] op_sel:[0,0,1] op_sel_hi:[1,0,0]
	v_fmac_f32_e32 v147, v9, v141
	v_add_f32_e32 v4, v134, v146
	v_add_f32_e32 v3, v3, v137
	v_mov_b32_e32 v136, v113
	v_fmac_f32_e32 v131, v11, v143
	v_fma_f32 v130, v10, v143, -v148
	v_mov_b32_e32 v13, v5
	v_add_f32_e32 v5, v4, v147
	v_add_f32_e32 v4, v3, v139
	v_mov_b32_e32 v138, v115
	s_waitcnt lgkmcnt(3)
	v_pk_mul_f32 v[6:7], v[98:99], v[136:137] op_sel_hi:[1,0]
	v_pk_add_f32 v[4:5], v[4:5], v[130:131]
	v_mov_b32_e32 v140, v117
	v_mov_b32_e32 v142, v119
	v_pk_mul_f32 v[8:9], v[100:101], v[138:139] op_sel_hi:[1,0]
	s_waitcnt vmcnt(11)
	v_pk_fma_f32 v[14:15], v[98:99], v[112:113], v[6:7] op_sel:[0,0,1] op_sel_hi:[1,1,0] neg_lo:[0,0,1] neg_hi:[0,0,1]
	v_pk_fma_f32 v[6:7], v[98:99], v[112:113], v[6:7] op_sel:[0,0,1] op_sel_hi:[1,0,0]
	v_pk_add_f32 v[4:5], v[4:5], v[132:133]
	s_waitcnt lgkmcnt(2)
	v_pk_mul_f32 v[10:11], v[102:103], v[140:141] op_sel_hi:[1,0]
	s_waitcnt vmcnt(7)
	v_pk_fma_f32 v[98:99], v[100:101], v[114:115], v[8:9] op_sel:[0,0,1] op_sel_hi:[1,1,0] neg_lo:[0,0,1] neg_hi:[0,0,1]
	v_pk_fma_f32 v[8:9], v[100:101], v[114:115], v[8:9] op_sel:[0,0,1] op_sel_hi:[1,0,0]
	v_mov_b32_e32 v15, v7
	v_pk_add_f32 v[4:5], v[4:5], v[12:13]
	v_pk_mul_f32 v[6:7], v[104:105], v[142:143] op_sel_hi:[1,0]
	v_pk_fma_f32 v[100:101], v[102:103], v[116:117], v[10:11] op_sel:[0,0,1] op_sel_hi:[1,1,0] neg_lo:[0,0,1] neg_hi:[0,0,1]
	v_pk_fma_f32 v[10:11], v[102:103], v[116:117], v[10:11] op_sel:[0,0,1] op_sel_hi:[1,0,0]
	v_mov_b32_e32 v99, v9
	v_pk_add_f32 v[4:5], v[4:5], v[14:15]
	v_pk_fma_f32 v[8:9], v[104:105], v[118:119], v[6:7] op_sel:[0,0,1] op_sel_hi:[1,1,0] neg_lo:[0,0,1] neg_hi:[0,0,1]
	v_pk_fma_f32 v[6:7], v[104:105], v[118:119], v[6:7] op_sel:[0,0,1] op_sel_hi:[1,0,0]
	v_mov_b32_e32 v101, v11
	v_pk_add_f32 v[4:5], v[4:5], v[98:99]
	s_waitcnt vmcnt(6)
	v_mov_b32_e32 v6, v121
	v_pk_add_f32 v[4:5], v[4:5], v[100:101]
	v_mov_b32_e32 v9, v7
	s_waitcnt lgkmcnt(1)
	v_pk_mul_f32 v[6:7], v[106:107], v[6:7] op_sel_hi:[1,0]
	v_pk_add_f32 v[4:5], v[4:5], v[8:9]
	v_pk_fma_f32 v[8:9], v[106:107], v[120:121], v[6:7] op_sel:[0,0,1] op_sel_hi:[1,1,0] neg_lo:[0,0,1] neg_hi:[0,0,1]
	v_pk_fma_f32 v[6:7], v[106:107], v[120:121], v[6:7] op_sel:[0,0,1] op_sel_hi:[1,0,0]
	s_waitcnt vmcnt(5)
	v_mov_b32_e32 v6, v123
	v_mov_b32_e32 v9, v7
	v_pk_mul_f32 v[6:7], v[108:109], v[6:7] op_sel_hi:[1,0]
	v_pk_add_f32 v[4:5], v[4:5], v[8:9]
	s_waitcnt vmcnt(3)
	v_pk_fma_f32 v[8:9], v[108:109], v[122:123], v[6:7] op_sel:[0,0,1] op_sel_hi:[1,1,0] neg_lo:[0,0,1] neg_hi:[0,0,1]
	v_pk_fma_f32 v[6:7], v[108:109], v[122:123], v[6:7] op_sel:[0,0,1] op_sel_hi:[1,0,0]
	s_waitcnt vmcnt(2)
	v_mov_b32_e32 v6, v125
	v_mov_b32_e32 v9, v7
	s_waitcnt lgkmcnt(0)
	v_pk_mul_f32 v[6:7], v[128:129], v[6:7] op_sel_hi:[1,0]
	v_pk_add_f32 v[4:5], v[4:5], v[8:9]
	v_pk_fma_f32 v[8:9], v[128:129], v[124:125], v[6:7] op_sel:[0,0,1] op_sel_hi:[1,1,0] neg_lo:[0,0,1] neg_hi:[0,0,1]
	v_pk_fma_f32 v[6:7], v[128:129], v[124:125], v[6:7] op_sel:[0,0,1] op_sel_hi:[1,0,0]
	v_mov_b32_e32 v9, v7
	v_pk_add_f32 v[4:5], v[4:5], v[8:9]
	s_waitcnt vmcnt(0)
	v_pk_add_f32 v[4:5], v[126:127], v[4:5] neg_lo:[0,1] neg_hi:[0,1]
	buffer_store_dword v5, off, s[0:3], 0 offset:220
	buffer_store_dword v4, off, s[0:3], 0 offset:216
	s_and_saveexec_b64 s[4:5], vcc
	s_cbranch_execz .LBB40_207
; %bb.206:
	buffer_load_dword v4, off, s[0:3], 0 offset:208
	buffer_load_dword v5, off, s[0:3], 0 offset:212
	s_waitcnt vmcnt(0)
	ds_write_b64 v1, v[4:5]
	buffer_store_dword v2, off, s[0:3], 0 offset:208
	buffer_store_dword v2, off, s[0:3], 0 offset:212
.LBB40_207:
	s_or_b64 exec, exec, s[4:5]
	s_waitcnt lgkmcnt(0)
	; wave barrier
	s_waitcnt lgkmcnt(0)
	buffer_load_dword v132, off, s[0:3], 0 offset:220
	buffer_load_dword v134, off, s[0:3], 0 offset:228
	;; [unrolled: 1-line block ×30, first 2 shown]
	ds_read2_b64 v[4:7], v2 offset0:69 offset1:70
	ds_read2_b64 v[8:11], v2 offset0:71 offset1:72
	;; [unrolled: 1-line block ×7, first 2 shown]
	v_cmp_lt_u32_e32 vcc, 25, v0
	s_waitcnt vmcnt(29) lgkmcnt(6)
	v_mul_f32_e32 v145, v4, v132
	s_waitcnt vmcnt(28)
	v_mul_f32_e32 v146, v6, v134
	s_waitcnt vmcnt(27) lgkmcnt(5)
	v_mul_f32_e32 v147, v8, v135
	v_mul_f32_e32 v135, v9, v135
	s_waitcnt vmcnt(26)
	v_mul_f32_e32 v148, v10, v136
	s_waitcnt vmcnt(25) lgkmcnt(4)
	v_mul_f32_e32 v3, v12, v137
	v_mul_f32_e32 v2, v5, v132
	;; [unrolled: 1-line block ×5, first 2 shown]
	s_waitcnt vmcnt(23)
	v_mov_b32_e32 v134, v115
	s_waitcnt vmcnt(22)
	v_mov_b32_e32 v136, v117
	s_waitcnt vmcnt(18)
	v_fma_f32 v135, v8, v141, -v135
	v_fmac_f32_e32 v145, v5, v139
	v_fmac_f32_e32 v146, v7, v140
	s_waitcnt vmcnt(17)
	v_fmac_f32_e32 v148, v11, v142
	v_fma_f32 v11, v4, v139, -v2
	v_fma_f32 v139, v6, v140, -v132
	s_waitcnt lgkmcnt(3)
	v_pk_mul_f32 v[4:5], v[98:99], v[134:135] op_sel_hi:[1,0]
	v_pk_mul_f32 v[6:7], v[100:101], v[136:137] op_sel_hi:[1,0]
	s_waitcnt vmcnt(16)
	v_fmac_f32_e32 v3, v13, v143
	v_fma_f32 v140, v10, v142, -v149
	v_fma_f32 v2, v12, v143, -v137
	v_add_f32_e32 v134, 0, v145
	v_add_f32_e32 v136, 0, v11
	s_waitcnt vmcnt(14)
	v_pk_fma_f32 v[10:11], v[98:99], v[114:115], v[4:5] op_sel:[0,0,1] op_sel_hi:[1,1,0] neg_lo:[0,0,1] neg_hi:[0,0,1]
	v_pk_fma_f32 v[4:5], v[98:99], v[114:115], v[4:5] op_sel:[0,0,1] op_sel_hi:[1,0,0]
	s_waitcnt vmcnt(10)
	v_pk_fma_f32 v[12:13], v[100:101], v[116:117], v[6:7] op_sel:[0,0,1] op_sel_hi:[1,1,0] neg_lo:[0,0,1] neg_hi:[0,0,1]
	v_pk_fma_f32 v[6:7], v[100:101], v[116:117], v[6:7] op_sel:[0,0,1] op_sel_hi:[1,0,0]
	v_fmac_f32_e32 v147, v9, v141
	v_add_f32_e32 v4, v134, v146
	v_add_f32_e32 v6, v136, v139
	;; [unrolled: 1-line block ×4, first 2 shown]
	v_mul_f32_e32 v133, v14, v138
	v_mul_f32_e32 v150, v15, v138
	v_mov_b32_e32 v11, v5
	v_add_f32_e32 v5, v4, v148
	v_add_f32_e32 v4, v6, v140
	v_mov_b32_e32 v138, v119
	v_fmac_f32_e32 v133, v15, v144
	v_fma_f32 v132, v14, v144, -v150
	v_pk_add_f32 v[2:3], v[4:5], v[2:3]
	s_waitcnt vmcnt(9)
	v_mov_b32_e32 v4, v123
	s_waitcnt lgkmcnt(2)
	v_pk_mul_f32 v[8:9], v[102:103], v[138:139] op_sel_hi:[1,0]
	v_pk_add_f32 v[2:3], v[2:3], v[132:133]
	v_pk_mul_f32 v[4:5], v[104:105], v[4:5] op_sel_hi:[1,0]
	v_pk_fma_f32 v[14:15], v[102:103], v[118:119], v[8:9] op_sel:[0,0,1] op_sel_hi:[1,1,0] neg_lo:[0,0,1] neg_hi:[0,0,1]
	v_pk_fma_f32 v[8:9], v[102:103], v[118:119], v[8:9] op_sel:[0,0,1] op_sel_hi:[1,0,0]
	v_mov_b32_e32 v13, v7
	v_pk_add_f32 v[2:3], v[2:3], v[10:11]
	v_pk_fma_f32 v[6:7], v[104:105], v[122:123], v[4:5] op_sel:[0,0,1] op_sel_hi:[1,1,0] neg_lo:[0,0,1] neg_hi:[0,0,1]
	v_pk_fma_f32 v[4:5], v[104:105], v[122:123], v[4:5] op_sel:[0,0,1] op_sel_hi:[1,0,0]
	v_mov_b32_e32 v15, v9
	v_pk_add_f32 v[2:3], v[2:3], v[12:13]
	s_waitcnt vmcnt(8)
	v_mov_b32_e32 v4, v121
	v_pk_add_f32 v[2:3], v[2:3], v[14:15]
	v_mov_b32_e32 v7, v5
	s_waitcnt lgkmcnt(1)
	v_pk_mul_f32 v[4:5], v[106:107], v[4:5] op_sel_hi:[1,0]
	v_pk_add_f32 v[2:3], v[2:3], v[6:7]
	v_pk_fma_f32 v[6:7], v[106:107], v[120:121], v[4:5] op_sel:[0,0,1] op_sel_hi:[1,1,0] neg_lo:[0,0,1] neg_hi:[0,0,1]
	v_pk_fma_f32 v[4:5], v[106:107], v[120:121], v[4:5] op_sel:[0,0,1] op_sel_hi:[1,0,0]
	s_waitcnt vmcnt(7)
	v_mov_b32_e32 v4, v125
	v_mov_b32_e32 v7, v5
	v_pk_mul_f32 v[4:5], v[108:109], v[4:5] op_sel_hi:[1,0]
	v_pk_add_f32 v[2:3], v[2:3], v[6:7]
	s_waitcnt vmcnt(4)
	v_pk_fma_f32 v[6:7], v[108:109], v[124:125], v[4:5] op_sel:[0,0,1] op_sel_hi:[1,1,0] neg_lo:[0,0,1] neg_hi:[0,0,1]
	v_pk_fma_f32 v[4:5], v[108:109], v[124:125], v[4:5] op_sel:[0,0,1] op_sel_hi:[1,0,0]
	s_waitcnt vmcnt(3)
	v_mov_b32_e32 v4, v129
	v_mov_b32_e32 v7, v5
	s_waitcnt lgkmcnt(0)
	v_pk_mul_f32 v[4:5], v[110:111], v[4:5] op_sel_hi:[1,0]
	v_pk_add_f32 v[2:3], v[2:3], v[6:7]
	v_pk_fma_f32 v[6:7], v[110:111], v[128:129], v[4:5] op_sel:[0,0,1] op_sel_hi:[1,1,0] neg_lo:[0,0,1] neg_hi:[0,0,1]
	v_pk_fma_f32 v[4:5], v[110:111], v[128:129], v[4:5] op_sel:[0,0,1] op_sel_hi:[1,0,0]
	s_waitcnt vmcnt(0)
	v_mov_b32_e32 v4, v127
	v_mov_b32_e32 v7, v5
	v_pk_mul_f32 v[4:5], v[112:113], v[4:5] op_sel_hi:[1,0]
	v_pk_add_f32 v[2:3], v[2:3], v[6:7]
	v_pk_fma_f32 v[6:7], v[112:113], v[126:127], v[4:5] op_sel:[0,0,1] op_sel_hi:[1,1,0] neg_lo:[0,0,1] neg_hi:[0,0,1]
	v_pk_fma_f32 v[4:5], v[112:113], v[126:127], v[4:5] op_sel:[0,0,1] op_sel_hi:[1,0,0]
	v_mov_b32_e32 v7, v5
	v_pk_add_f32 v[2:3], v[2:3], v[6:7]
	v_pk_add_f32 v[2:3], v[130:131], v[2:3] neg_lo:[0,1] neg_hi:[0,1]
	buffer_store_dword v3, off, s[0:3], 0 offset:212
	buffer_store_dword v2, off, s[0:3], 0 offset:208
	s_and_saveexec_b64 s[4:5], vcc
	s_cbranch_execz .LBB40_209
; %bb.208:
	buffer_load_dword v2, off, s[0:3], 0 offset:200
	buffer_load_dword v3, off, s[0:3], 0 offset:204
	v_mov_b32_e32 v4, 0
	buffer_store_dword v4, off, s[0:3], 0 offset:200
	buffer_store_dword v4, off, s[0:3], 0 offset:204
	s_waitcnt vmcnt(2)
	ds_write_b64 v1, v[2:3]
.LBB40_209:
	s_or_b64 exec, exec, s[4:5]
	s_waitcnt lgkmcnt(0)
	; wave barrier
	s_waitcnt lgkmcnt(0)
	buffer_load_dword v3, off, s[0:3], 0 offset:212
	buffer_load_dword v134, off, s[0:3], 0 offset:220
	;; [unrolled: 1-line block ×32, first 2 shown]
	v_mov_b32_e32 v2, 0
	ds_read_b128 v[4:7], v2 offset:544
	ds_read_b128 v[8:11], v2 offset:560
	ds_read_b128 v[12:15], v2 offset:576
	ds_read_b128 v[98:101], v2 offset:592
	ds_read_b128 v[102:105], v2 offset:608
	ds_read_b128 v[106:109], v2 offset:624
	ds_read_b128 v[110:113], v2 offset:640
	ds_read_b64 v[132:133], v2 offset:656
	v_cmp_lt_u32_e32 vcc, 24, v0
	s_waitcnt vmcnt(31) lgkmcnt(7)
	v_mul_f32_e32 v149, v4, v3
	v_mul_f32_e32 v3, v5, v3
	s_waitcnt vmcnt(30)
	v_mul_f32_e32 v150, v6, v134
	s_waitcnt vmcnt(28) lgkmcnt(6)
	v_mul_f32_e32 v152, v10, v138
	s_waitcnt vmcnt(27) lgkmcnt(5)
	v_mul_f32_e32 v153, v12, v139
	v_mul_f32_e32 v154, v11, v138
	;; [unrolled: 1-line block ×3, first 2 shown]
	s_waitcnt vmcnt(24)
	v_mov_b32_e32 v138, v115
	v_mul_f32_e32 v151, v8, v136
	v_mul_f32_e32 v134, v7, v134
	s_waitcnt vmcnt(22)
	v_fmac_f32_e32 v149, v5, v142
	v_fma_f32 v3, v4, v142, -v3
	s_waitcnt lgkmcnt(4)
	v_pk_mul_f32 v[4:5], v[100:101], v[138:139] op_sel_hi:[1,0]
	v_mul_f32_e32 v136, v9, v136
	s_waitcnt vmcnt(21)
	v_fmac_f32_e32 v150, v7, v143
	s_waitcnt vmcnt(20)
	v_fmac_f32_e32 v151, v9, v144
	;; [unrolled: 2-line block ×3, first 2 shown]
	v_fma_f32 v9, v6, v143, -v134
	s_waitcnt vmcnt(18)
	v_fma_f32 v11, v12, v146, -v139
	v_add_f32_e32 v12, 0, v149
	v_add_f32_e32 v3, 0, v3
	s_waitcnt vmcnt(12)
	v_pk_fma_f32 v[6:7], v[100:101], v[114:115], v[4:5] op_sel:[0,0,1] op_sel_hi:[1,1,0] neg_lo:[0,0,1] neg_hi:[0,0,1]
	v_pk_fma_f32 v[4:5], v[100:101], v[114:115], v[4:5] op_sel:[0,0,1] op_sel_hi:[1,0,0]
	v_fma_f32 v8, v8, v144, -v136
	v_add_f32_e32 v4, v12, v150
	v_add_f32_e32 v3, v3, v9
	v_fma_f32 v10, v10, v145, -v154
	v_add_f32_e32 v4, v4, v151
	v_add_f32_e32 v3, v3, v8
	v_mul_f32_e32 v135, v14, v140
	v_mul_f32_e32 v155, v15, v140
	v_fmac_f32_e32 v153, v13, v146
	v_add_f32_e32 v4, v4, v152
	v_add_f32_e32 v3, v3, v10
	v_mul_f32_e32 v137, v98, v141
	v_mul_f32_e32 v141, v99, v141
	v_fmac_f32_e32 v135, v15, v147
	v_fma_f32 v134, v14, v147, -v155
	v_mov_b32_e32 v7, v5
	v_add_f32_e32 v5, v4, v153
	v_add_f32_e32 v4, v3, v11
	v_fmac_f32_e32 v137, v99, v148
	v_fma_f32 v136, v98, v148, -v141
	v_pk_add_f32 v[4:5], v[4:5], v[134:135]
	v_mov_b32_e32 v140, v117
	v_pk_add_f32 v[4:5], v[4:5], v[136:137]
	v_pk_add_f32 v[4:5], v[4:5], v[6:7]
	s_waitcnt lgkmcnt(3)
	v_pk_mul_f32 v[6:7], v[102:103], v[140:141] op_sel_hi:[1,0]
	v_pk_fma_f32 v[8:9], v[102:103], v[116:117], v[6:7] op_sel:[0,0,1] op_sel_hi:[1,1,0] neg_lo:[0,0,1] neg_hi:[0,0,1]
	v_pk_fma_f32 v[6:7], v[102:103], v[116:117], v[6:7] op_sel:[0,0,1] op_sel_hi:[1,0,0]
	s_waitcnt vmcnt(11)
	v_mov_b32_e32 v6, v121
	v_mov_b32_e32 v9, v7
	v_pk_mul_f32 v[6:7], v[104:105], v[6:7] op_sel_hi:[1,0]
	v_pk_add_f32 v[4:5], v[4:5], v[8:9]
	v_pk_fma_f32 v[8:9], v[104:105], v[120:121], v[6:7] op_sel:[0,0,1] op_sel_hi:[1,1,0] neg_lo:[0,0,1] neg_hi:[0,0,1]
	v_pk_fma_f32 v[6:7], v[104:105], v[120:121], v[6:7] op_sel:[0,0,1] op_sel_hi:[1,0,0]
	s_waitcnt vmcnt(10)
	v_mov_b32_e32 v6, v119
	v_mov_b32_e32 v9, v7
	s_waitcnt lgkmcnt(2)
	v_pk_mul_f32 v[6:7], v[106:107], v[6:7] op_sel_hi:[1,0]
	v_pk_add_f32 v[4:5], v[4:5], v[8:9]
	v_pk_fma_f32 v[8:9], v[106:107], v[118:119], v[6:7] op_sel:[0,0,1] op_sel_hi:[1,1,0] neg_lo:[0,0,1] neg_hi:[0,0,1]
	v_pk_fma_f32 v[6:7], v[106:107], v[118:119], v[6:7] op_sel:[0,0,1] op_sel_hi:[1,0,0]
	s_waitcnt vmcnt(9)
	v_mov_b32_e32 v6, v123
	v_mov_b32_e32 v9, v7
	v_pk_mul_f32 v[6:7], v[108:109], v[6:7] op_sel_hi:[1,0]
	v_pk_add_f32 v[4:5], v[4:5], v[8:9]
	s_waitcnt vmcnt(4)
	v_pk_fma_f32 v[8:9], v[108:109], v[122:123], v[6:7] op_sel:[0,0,1] op_sel_hi:[1,1,0] neg_lo:[0,0,1] neg_hi:[0,0,1]
	v_pk_fma_f32 v[6:7], v[108:109], v[122:123], v[6:7] op_sel:[0,0,1] op_sel_hi:[1,0,0]
	v_mov_b32_e32 v6, v129
	v_mov_b32_e32 v9, v7
	s_waitcnt lgkmcnt(1)
	v_pk_mul_f32 v[6:7], v[110:111], v[6:7] op_sel_hi:[1,0]
	v_pk_add_f32 v[4:5], v[4:5], v[8:9]
	v_pk_fma_f32 v[8:9], v[110:111], v[128:129], v[6:7] op_sel:[0,0,1] op_sel_hi:[1,1,0] neg_lo:[0,0,1] neg_hi:[0,0,1]
	v_pk_fma_f32 v[6:7], v[110:111], v[128:129], v[6:7] op_sel:[0,0,1] op_sel_hi:[1,0,0]
	s_waitcnt vmcnt(3)
	v_mov_b32_e32 v6, v127
	v_mov_b32_e32 v9, v7
	v_pk_mul_f32 v[6:7], v[112:113], v[6:7] op_sel_hi:[1,0]
	v_pk_add_f32 v[4:5], v[4:5], v[8:9]
	v_pk_fma_f32 v[8:9], v[112:113], v[126:127], v[6:7] op_sel:[0,0,1] op_sel_hi:[1,1,0] neg_lo:[0,0,1] neg_hi:[0,0,1]
	v_pk_fma_f32 v[6:7], v[112:113], v[126:127], v[6:7] op_sel:[0,0,1] op_sel_hi:[1,0,0]
	s_waitcnt vmcnt(0)
	v_mov_b32_e32 v6, v125
	v_mov_b32_e32 v9, v7
	s_waitcnt lgkmcnt(0)
	v_pk_mul_f32 v[6:7], v[132:133], v[6:7] op_sel_hi:[1,0]
	v_pk_add_f32 v[4:5], v[4:5], v[8:9]
	v_pk_fma_f32 v[8:9], v[132:133], v[124:125], v[6:7] op_sel:[0,0,1] op_sel_hi:[1,1,0] neg_lo:[0,0,1] neg_hi:[0,0,1]
	v_pk_fma_f32 v[6:7], v[132:133], v[124:125], v[6:7] op_sel:[0,0,1] op_sel_hi:[1,0,0]
	v_mov_b32_e32 v9, v7
	v_pk_add_f32 v[4:5], v[4:5], v[8:9]
	v_pk_add_f32 v[4:5], v[130:131], v[4:5] neg_lo:[0,1] neg_hi:[0,1]
	buffer_store_dword v5, off, s[0:3], 0 offset:204
	buffer_store_dword v4, off, s[0:3], 0 offset:200
	s_and_saveexec_b64 s[4:5], vcc
	s_cbranch_execz .LBB40_211
; %bb.210:
	buffer_load_dword v4, off, s[0:3], 0 offset:192
	buffer_load_dword v5, off, s[0:3], 0 offset:196
	s_waitcnt vmcnt(0)
	ds_write_b64 v1, v[4:5]
	buffer_store_dword v2, off, s[0:3], 0 offset:192
	buffer_store_dword v2, off, s[0:3], 0 offset:196
.LBB40_211:
	s_or_b64 exec, exec, s[4:5]
	s_waitcnt lgkmcnt(0)
	; wave barrier
	s_waitcnt lgkmcnt(0)
	buffer_load_dword v136, off, s[0:3], 0 offset:204
	buffer_load_dword v138, off, s[0:3], 0 offset:212
	;; [unrolled: 1-line block ×32, first 2 shown]
	ds_read2_b64 v[4:7], v2 offset0:67 offset1:68
	ds_read2_b64 v[8:11], v2 offset0:69 offset1:70
	;; [unrolled: 1-line block ×4, first 2 shown]
	buffer_load_dword v135, off, s[0:3], 0 offset:324
	buffer_load_dword v134, off, s[0:3], 0 offset:320
	ds_read2_b64 v[102:105], v2 offset0:75 offset1:76
	ds_read2_b64 v[106:109], v2 offset0:77 offset1:78
	;; [unrolled: 1-line block ×4, first 2 shown]
	v_cmp_lt_u32_e32 vcc, 23, v0
	s_waitcnt vmcnt(33) lgkmcnt(7)
	v_mul_f32_e32 v153, v4, v136
	v_mul_f32_e32 v2, v5, v136
	s_waitcnt vmcnt(32)
	v_mul_f32_e32 v154, v6, v138
	s_waitcnt vmcnt(31) lgkmcnt(6)
	v_mul_f32_e32 v155, v8, v139
	v_mul_f32_e32 v136, v7, v138
	;; [unrolled: 1-line block ×3, first 2 shown]
	s_waitcnt vmcnt(30)
	v_mul_f32_e32 v139, v11, v140
	v_mul_f32_e32 v156, v10, v140
	s_waitcnt vmcnt(25)
	v_fmac_f32_e32 v153, v5, v145
	v_fma_f32 v4, v4, v145, -v2
	s_waitcnt vmcnt(24)
	v_fmac_f32_e32 v154, v7, v146
	v_fma_f32 v5, v6, v146, -v136
	s_waitcnt vmcnt(22)
	v_fma_f32 v7, v10, v148, -v139
	v_add_f32_e32 v10, 0, v153
	v_add_f32_e32 v4, 0, v4
	v_fmac_f32_e32 v155, v9, v147
	v_fma_f32 v6, v8, v147, -v138
	v_add_f32_e32 v10, v10, v154
	v_add_f32_e32 v4, v4, v5
	s_waitcnt lgkmcnt(5)
	v_mul_f32_e32 v157, v12, v141
	v_mul_f32_e32 v140, v13, v141
	v_fmac_f32_e32 v156, v11, v148
	v_add_f32_e32 v5, v10, v155
	v_add_f32_e32 v4, v4, v6
	v_mul_f32_e32 v158, v14, v142
	v_mul_f32_e32 v141, v15, v142
	s_waitcnt vmcnt(21)
	v_fmac_f32_e32 v157, v13, v149
	v_fma_f32 v8, v12, v149, -v140
	v_add_f32_e32 v5, v5, v156
	v_add_f32_e32 v4, v4, v7
	s_waitcnt lgkmcnt(4)
	v_mul_f32_e32 v3, v98, v143
	v_mul_f32_e32 v142, v99, v143
	s_waitcnt vmcnt(20)
	v_fmac_f32_e32 v158, v15, v150
	v_fma_f32 v9, v14, v150, -v141
	v_add_f32_e32 v5, v5, v157
	v_add_f32_e32 v4, v4, v8
	s_waitcnt vmcnt(19)
	v_fmac_f32_e32 v3, v99, v151
	v_fma_f32 v2, v98, v151, -v142
	v_add_f32_e32 v5, v5, v158
	v_add_f32_e32 v4, v4, v9
	v_pk_add_f32 v[2:3], v[4:5], v[2:3]
	s_waitcnt vmcnt(17)
	v_mov_b32_e32 v4, v119
	s_waitcnt lgkmcnt(3)
	v_pk_mul_f32 v[4:5], v[102:103], v[4:5] op_sel_hi:[1,0]
	v_mul_f32_e32 v137, v100, v144
	v_mul_f32_e32 v143, v101, v144
	s_waitcnt vmcnt(14)
	v_pk_fma_f32 v[6:7], v[102:103], v[118:119], v[4:5] op_sel:[0,0,1] op_sel_hi:[1,1,0] neg_lo:[0,0,1] neg_hi:[0,0,1]
	v_pk_fma_f32 v[4:5], v[102:103], v[118:119], v[4:5] op_sel:[0,0,1] op_sel_hi:[1,0,0]
	v_fmac_f32_e32 v137, v101, v152
	v_fma_f32 v136, v100, v152, -v143
	s_waitcnt vmcnt(13)
	v_mov_b32_e32 v4, v123
	v_pk_add_f32 v[2:3], v[2:3], v[136:137]
	v_mov_b32_e32 v7, v5
	v_pk_mul_f32 v[4:5], v[104:105], v[4:5] op_sel_hi:[1,0]
	v_pk_add_f32 v[2:3], v[2:3], v[6:7]
	v_pk_fma_f32 v[6:7], v[104:105], v[122:123], v[4:5] op_sel:[0,0,1] op_sel_hi:[1,1,0] neg_lo:[0,0,1] neg_hi:[0,0,1]
	v_pk_fma_f32 v[4:5], v[104:105], v[122:123], v[4:5] op_sel:[0,0,1] op_sel_hi:[1,0,0]
	s_waitcnt vmcnt(12)
	v_mov_b32_e32 v4, v121
	v_mov_b32_e32 v7, v5
	s_waitcnt lgkmcnt(2)
	v_pk_mul_f32 v[4:5], v[106:107], v[4:5] op_sel_hi:[1,0]
	v_pk_add_f32 v[2:3], v[2:3], v[6:7]
	v_pk_fma_f32 v[6:7], v[106:107], v[120:121], v[4:5] op_sel:[0,0,1] op_sel_hi:[1,1,0] neg_lo:[0,0,1] neg_hi:[0,0,1]
	v_pk_fma_f32 v[4:5], v[106:107], v[120:121], v[4:5] op_sel:[0,0,1] op_sel_hi:[1,0,0]
	s_waitcnt vmcnt(11)
	v_mov_b32_e32 v4, v125
	v_mov_b32_e32 v7, v5
	v_pk_mul_f32 v[4:5], v[108:109], v[4:5] op_sel_hi:[1,0]
	v_pk_add_f32 v[2:3], v[2:3], v[6:7]
	s_waitcnt vmcnt(5)
	v_pk_fma_f32 v[6:7], v[108:109], v[124:125], v[4:5] op_sel:[0,0,1] op_sel_hi:[1,1,0] neg_lo:[0,0,1] neg_hi:[0,0,1]
	v_pk_fma_f32 v[4:5], v[108:109], v[124:125], v[4:5] op_sel:[0,0,1] op_sel_hi:[1,0,0]
	v_mov_b32_e32 v4, v131
	v_mov_b32_e32 v7, v5
	s_waitcnt lgkmcnt(1)
	v_pk_mul_f32 v[4:5], v[110:111], v[4:5] op_sel_hi:[1,0]
	v_pk_add_f32 v[2:3], v[2:3], v[6:7]
	v_pk_fma_f32 v[6:7], v[110:111], v[130:131], v[4:5] op_sel:[0,0,1] op_sel_hi:[1,1,0] neg_lo:[0,0,1] neg_hi:[0,0,1]
	v_pk_fma_f32 v[4:5], v[110:111], v[130:131], v[4:5] op_sel:[0,0,1] op_sel_hi:[1,0,0]
	v_mov_b32_e32 v4, v129
	v_mov_b32_e32 v7, v5
	v_pk_mul_f32 v[4:5], v[112:113], v[4:5] op_sel_hi:[1,0]
	v_pk_add_f32 v[2:3], v[2:3], v[6:7]
	v_pk_fma_f32 v[6:7], v[112:113], v[128:129], v[4:5] op_sel:[0,0,1] op_sel_hi:[1,1,0] neg_lo:[0,0,1] neg_hi:[0,0,1]
	v_pk_fma_f32 v[4:5], v[112:113], v[128:129], v[4:5] op_sel:[0,0,1] op_sel_hi:[1,0,0]
	s_waitcnt vmcnt(2)
	v_mov_b32_e32 v4, v127
	v_mov_b32_e32 v7, v5
	s_waitcnt lgkmcnt(0)
	v_pk_mul_f32 v[4:5], v[114:115], v[4:5] op_sel_hi:[1,0]
	v_pk_add_f32 v[2:3], v[2:3], v[6:7]
	v_pk_fma_f32 v[6:7], v[114:115], v[126:127], v[4:5] op_sel:[0,0,1] op_sel_hi:[1,1,0] neg_lo:[0,0,1] neg_hi:[0,0,1]
	v_pk_fma_f32 v[4:5], v[114:115], v[126:127], v[4:5] op_sel:[0,0,1] op_sel_hi:[1,0,0]
	s_waitcnt vmcnt(1)
	v_mov_b32_e32 v4, v135
	v_mov_b32_e32 v7, v5
	v_pk_mul_f32 v[4:5], v[116:117], v[4:5] op_sel_hi:[1,0]
	v_pk_add_f32 v[2:3], v[2:3], v[6:7]
	s_waitcnt vmcnt(0)
	v_pk_fma_f32 v[6:7], v[116:117], v[134:135], v[4:5] op_sel:[0,0,1] op_sel_hi:[1,1,0] neg_lo:[0,0,1] neg_hi:[0,0,1]
	v_pk_fma_f32 v[4:5], v[116:117], v[134:135], v[4:5] op_sel:[0,0,1] op_sel_hi:[1,0,0]
	v_mov_b32_e32 v7, v5
	v_pk_add_f32 v[2:3], v[2:3], v[6:7]
	v_pk_add_f32 v[2:3], v[132:133], v[2:3] neg_lo:[0,1] neg_hi:[0,1]
	buffer_store_dword v3, off, s[0:3], 0 offset:196
	buffer_store_dword v2, off, s[0:3], 0 offset:192
	s_and_saveexec_b64 s[4:5], vcc
	s_cbranch_execz .LBB40_213
; %bb.212:
	buffer_load_dword v2, off, s[0:3], 0 offset:184
	buffer_load_dword v3, off, s[0:3], 0 offset:188
	v_mov_b32_e32 v4, 0
	buffer_store_dword v4, off, s[0:3], 0 offset:184
	buffer_store_dword v4, off, s[0:3], 0 offset:188
	s_waitcnt vmcnt(2)
	ds_write_b64 v1, v[2:3]
.LBB40_213:
	s_or_b64 exec, exec, s[4:5]
	s_waitcnt lgkmcnt(0)
	; wave barrier
	s_waitcnt lgkmcnt(0)
	buffer_load_dword v3, off, s[0:3], 0 offset:196
	buffer_load_dword v128, off, s[0:3], 0 offset:204
	;; [unrolled: 1-line block ×36, first 2 shown]
	v_mov_b32_e32 v2, 0
	ds_read_b128 v[4:7], v2 offset:528
	ds_read_b128 v[8:11], v2 offset:544
	;; [unrolled: 1-line block ×6, first 2 shown]
	v_cmp_lt_u32_e32 vcc, 22, v0
	s_waitcnt vmcnt(35) lgkmcnt(5)
	v_mul_f32_e32 v147, v4, v3
	s_waitcnt vmcnt(34)
	v_mul_f32_e32 v148, v6, v128
	s_waitcnt vmcnt(33) lgkmcnt(4)
	v_mul_f32_e32 v149, v8, v130
	v_mul_f32_e32 v3, v5, v3
	;; [unrolled: 1-line block ×4, first 2 shown]
	s_waitcnt vmcnt(32)
	v_mul_f32_e32 v150, v10, v132
	s_waitcnt vmcnt(31) lgkmcnt(3)
	v_mul_f32_e32 v151, v12, v133
	v_mul_f32_e32 v132, v11, v132
	s_waitcnt vmcnt(26)
	v_fmac_f32_e32 v147, v5, v138
	s_waitcnt vmcnt(25)
	v_fmac_f32_e32 v148, v7, v139
	;; [unrolled: 2-line block ×3, first 2 shown]
	v_fma_f32 v3, v4, v138, -v3
	v_add_f32_e32 v9, 0, v147
	v_fma_f32 v4, v6, v139, -v128
	v_add_f32_e32 v3, 0, v3
	v_add_f32_e32 v9, v9, v148
	s_waitcnt vmcnt(23)
	v_fmac_f32_e32 v150, v11, v141
	v_fma_f32 v5, v8, v140, -v130
	v_add_f32_e32 v3, v3, v4
	v_add_f32_e32 v4, v9, v149
	v_mul_f32_e32 v152, v14, v134
	v_mul_f32_e32 v133, v13, v133
	s_waitcnt vmcnt(22)
	v_fmac_f32_e32 v151, v13, v142
	v_fma_f32 v6, v10, v141, -v132
	v_add_f32_e32 v3, v3, v5
	v_add_f32_e32 v4, v4, v150
	s_waitcnt lgkmcnt(2)
	v_mul_f32_e32 v153, v98, v135
	v_mul_f32_e32 v134, v15, v134
	s_waitcnt vmcnt(21)
	v_fmac_f32_e32 v152, v15, v143
	v_fma_f32 v7, v12, v142, -v133
	v_add_f32_e32 v3, v3, v6
	v_add_f32_e32 v4, v4, v151
	v_mul_f32_e32 v135, v99, v135
	s_waitcnt vmcnt(20)
	v_fmac_f32_e32 v153, v99, v144
	v_fma_f32 v8, v14, v143, -v134
	v_add_f32_e32 v3, v3, v7
	v_add_f32_e32 v4, v4, v152
	;; [unrolled: 1-line block ×4, first 2 shown]
	v_fma_f32 v4, v98, v144, -v135
	s_waitcnt vmcnt(17)
	v_mov_b32_e32 v98, v111
	v_mul_f32_e32 v129, v100, v136
	v_add_f32_e32 v12, v3, v4
	v_mul_f32_e32 v3, v101, v136
	s_waitcnt lgkmcnt(1)
	v_pk_mul_f32 v[98:99], v[104:105], v[98:99] op_sel_hi:[1,0]
	v_mul_f32_e32 v131, v102, v137
	v_fmac_f32_e32 v129, v101, v145
	v_fma_f32 v128, v100, v145, -v3
	v_mul_f32_e32 v3, v103, v137
	s_waitcnt vmcnt(15)
	v_pk_fma_f32 v[100:101], v[104:105], v[110:111], v[98:99] op_sel:[0,0,1] op_sel_hi:[1,1,0] neg_lo:[0,0,1] neg_hi:[0,0,1]
	v_pk_fma_f32 v[98:99], v[104:105], v[110:111], v[98:99] op_sel:[0,0,1] op_sel_hi:[1,0,0]
	v_fmac_f32_e32 v131, v103, v146
	v_fma_f32 v130, v102, v146, -v3
	v_pk_add_f32 v[12:13], v[12:13], v[128:129]
	s_waitcnt vmcnt(12)
	v_mov_b32_e32 v98, v113
	v_pk_add_f32 v[12:13], v[12:13], v[130:131]
	v_mov_b32_e32 v101, v99
	s_waitcnt lgkmcnt(0)
	v_pk_mul_f32 v[98:99], v[106:107], v[98:99] op_sel_hi:[1,0]
	v_pk_add_f32 v[12:13], v[12:13], v[100:101]
	v_pk_fma_f32 v[100:101], v[106:107], v[112:113], v[98:99] op_sel:[0,0,1] op_sel_hi:[1,1,0] neg_lo:[0,0,1] neg_hi:[0,0,1]
	v_pk_fma_f32 v[98:99], v[106:107], v[112:113], v[98:99] op_sel:[0,0,1] op_sel_hi:[1,0,0]
	s_waitcnt vmcnt(11)
	v_mov_b32_e32 v98, v117
	ds_read_b128 v[4:7], v2 offset:624
	ds_read_b128 v[8:11], v2 offset:640
	ds_read_b64 v[14:15], v2 offset:656
	v_mov_b32_e32 v101, v99
	v_pk_mul_f32 v[98:99], v[108:109], v[98:99] op_sel_hi:[1,0]
	v_pk_add_f32 v[12:13], v[12:13], v[100:101]
	s_waitcnt vmcnt(4)
	v_pk_fma_f32 v[100:101], v[108:109], v[116:117], v[98:99] op_sel:[0,0,1] op_sel_hi:[1,1,0] neg_lo:[0,0,1] neg_hi:[0,0,1]
	v_pk_fma_f32 v[98:99], v[108:109], v[116:117], v[98:99] op_sel:[0,0,1] op_sel_hi:[1,0,0]
	v_mov_b32_e32 v98, v123
	v_mov_b32_e32 v101, v99
	s_waitcnt lgkmcnt(2)
	v_pk_mul_f32 v[98:99], v[4:5], v[98:99] op_sel_hi:[1,0]
	v_pk_add_f32 v[12:13], v[12:13], v[100:101]
	v_pk_fma_f32 v[100:101], v[4:5], v[122:123], v[98:99] op_sel:[0,0,1] op_sel_hi:[1,1,0] neg_lo:[0,0,1] neg_hi:[0,0,1]
	v_pk_fma_f32 v[4:5], v[4:5], v[122:123], v[98:99] op_sel:[0,0,1] op_sel_hi:[1,0,0]
	v_mov_b32_e32 v101, v5
	v_pk_add_f32 v[4:5], v[12:13], v[100:101]
	v_mov_b32_e32 v12, v121
	v_pk_mul_f32 v[12:13], v[6:7], v[12:13] op_sel_hi:[1,0]
	v_pk_fma_f32 v[98:99], v[6:7], v[120:121], v[12:13] op_sel:[0,0,1] op_sel_hi:[1,1,0] neg_lo:[0,0,1] neg_hi:[0,0,1]
	v_pk_fma_f32 v[6:7], v[6:7], v[120:121], v[12:13] op_sel:[0,0,1] op_sel_hi:[1,0,0]
	v_mov_b32_e32 v6, v119
	v_mov_b32_e32 v99, v7
	s_waitcnt lgkmcnt(1)
	v_pk_mul_f32 v[6:7], v[8:9], v[6:7] op_sel_hi:[1,0]
	v_pk_fma_f32 v[12:13], v[8:9], v[118:119], v[6:7] op_sel:[0,0,1] op_sel_hi:[1,1,0] neg_lo:[0,0,1] neg_hi:[0,0,1]
	v_pk_fma_f32 v[6:7], v[8:9], v[118:119], v[6:7] op_sel:[0,0,1] op_sel_hi:[1,0,0]
	s_waitcnt vmcnt(1)
	v_mov_b32_e32 v6, v127
	v_mov_b32_e32 v13, v7
	v_pk_mul_f32 v[6:7], v[10:11], v[6:7] op_sel_hi:[1,0]
	s_waitcnt vmcnt(0)
	v_pk_fma_f32 v[8:9], v[10:11], v[126:127], v[6:7] op_sel:[0,0,1] op_sel_hi:[1,1,0] neg_lo:[0,0,1] neg_hi:[0,0,1]
	v_pk_fma_f32 v[6:7], v[10:11], v[126:127], v[6:7] op_sel:[0,0,1] op_sel_hi:[1,0,0]
	v_pk_add_f32 v[4:5], v[4:5], v[98:99]
	v_mov_b32_e32 v6, v125
	v_pk_add_f32 v[4:5], v[4:5], v[12:13]
	v_mov_b32_e32 v9, v7
	s_waitcnt lgkmcnt(0)
	v_pk_mul_f32 v[6:7], v[14:15], v[6:7] op_sel_hi:[1,0]
	v_pk_add_f32 v[4:5], v[4:5], v[8:9]
	v_pk_fma_f32 v[8:9], v[14:15], v[124:125], v[6:7] op_sel:[0,0,1] op_sel_hi:[1,1,0] neg_lo:[0,0,1] neg_hi:[0,0,1]
	v_pk_fma_f32 v[6:7], v[14:15], v[124:125], v[6:7] op_sel:[0,0,1] op_sel_hi:[1,0,0]
	v_mov_b32_e32 v9, v7
	v_pk_add_f32 v[4:5], v[4:5], v[8:9]
	v_pk_add_f32 v[4:5], v[114:115], v[4:5] neg_lo:[0,1] neg_hi:[0,1]
	buffer_store_dword v5, off, s[0:3], 0 offset:188
	buffer_store_dword v4, off, s[0:3], 0 offset:184
	s_and_saveexec_b64 s[4:5], vcc
	s_cbranch_execz .LBB40_215
; %bb.214:
	buffer_load_dword v4, off, s[0:3], 0 offset:176
	buffer_load_dword v5, off, s[0:3], 0 offset:180
	s_waitcnt vmcnt(0)
	ds_write_b64 v1, v[4:5]
	buffer_store_dword v2, off, s[0:3], 0 offset:176
	buffer_store_dword v2, off, s[0:3], 0 offset:180
.LBB40_215:
	s_or_b64 exec, exec, s[4:5]
	s_waitcnt lgkmcnt(0)
	; wave barrier
	s_waitcnt lgkmcnt(0)
	buffer_load_dword v3, off, s[0:3], 0 offset:188
	buffer_load_dword v128, off, s[0:3], 0 offset:196
	;; [unrolled: 1-line block ×22, first 2 shown]
	ds_read2_b64 v[4:7], v2 offset0:65 offset1:66
	ds_read2_b64 v[8:11], v2 offset0:67 offset1:68
	buffer_load_dword v113, off, s[0:3], 0 offset:268
	buffer_load_dword v112, off, s[0:3], 0 offset:264
	;; [unrolled: 1-line block ×10, first 2 shown]
	ds_read2_b64 v[12:15], v2 offset0:69 offset1:70
	ds_read2_b64 v[98:101], v2 offset0:71 offset1:72
	;; [unrolled: 1-line block ×4, first 2 shown]
	buffer_load_dword v123, off, s[0:3], 0 offset:324
	buffer_load_dword v122, off, s[0:3], 0 offset:320
	;; [unrolled: 1-line block ×6, first 2 shown]
	v_cmp_lt_u32_e32 vcc, 21, v0
	s_waitcnt vmcnt(37) lgkmcnt(5)
	v_mul_f32_e32 v149, v4, v3
	s_waitcnt vmcnt(36)
	v_mul_f32_e32 v150, v6, v128
	s_waitcnt vmcnt(35) lgkmcnt(4)
	v_mul_f32_e32 v151, v8, v130
	v_mul_f32_e32 v3, v5, v3
	;; [unrolled: 1-line block ×4, first 2 shown]
	s_waitcnt vmcnt(34)
	v_mul_f32_e32 v152, v10, v132
	s_waitcnt vmcnt(33) lgkmcnt(3)
	v_mul_f32_e32 v153, v12, v133
	s_waitcnt vmcnt(32)
	v_mul_f32_e32 v154, v14, v134
	s_waitcnt vmcnt(31) lgkmcnt(2)
	v_mul_f32_e32 v155, v98, v135
	s_waitcnt vmcnt(27)
	v_fmac_f32_e32 v149, v5, v139
	s_waitcnt vmcnt(26)
	v_fmac_f32_e32 v150, v7, v140
	v_fma_f32 v3, v4, v139, -v3
	s_waitcnt vmcnt(25)
	v_fma_f32 v5, v8, v141, -v130
	v_add_f32_e32 v8, 0, v149
	v_fmac_f32_e32 v151, v9, v141
	v_fma_f32 v4, v6, v140, -v128
	v_add_f32_e32 v3, 0, v3
	v_add_f32_e32 v8, v8, v150
	s_waitcnt vmcnt(24)
	v_fmac_f32_e32 v152, v11, v142
	v_add_f32_e32 v3, v3, v4
	v_add_f32_e32 v4, v8, v151
	s_waitcnt vmcnt(23)
	v_fmac_f32_e32 v153, v13, v143
	v_add_f32_e32 v4, v4, v152
	v_mul_f32_e32 v132, v11, v132
	s_waitcnt vmcnt(22)
	v_fmac_f32_e32 v154, v15, v144
	v_add_f32_e32 v4, v4, v153
	v_mul_f32_e32 v156, v100, v136
	v_mul_f32_e32 v133, v13, v133
	s_waitcnt vmcnt(21)
	v_fmac_f32_e32 v155, v99, v145
	v_fma_f32 v6, v10, v142, -v132
	v_add_f32_e32 v3, v3, v5
	v_add_f32_e32 v4, v4, v154
	v_mul_f32_e32 v134, v15, v134
	s_waitcnt vmcnt(20)
	v_fmac_f32_e32 v156, v101, v146
	v_fma_f32 v7, v12, v143, -v133
	v_add_f32_e32 v3, v3, v6
	v_add_f32_e32 v4, v4, v155
	v_add_f32_e32 v3, v3, v7
	v_add_f32_e32 v133, v4, v156
	v_fma_f32 v4, v14, v144, -v134
	v_add_f32_e32 v3, v3, v4
	v_mul_f32_e32 v4, v99, v135
	v_fma_f32 v4, v98, v145, -v4
	v_add_f32_e32 v3, v3, v4
	v_mul_f32_e32 v4, v101, v136
	v_fma_f32 v4, v100, v146, -v4
	s_waitcnt vmcnt(15)
	v_mov_b32_e32 v98, v113
	s_waitcnt lgkmcnt(1)
	v_mul_f32_e32 v129, v102, v137
	v_add_f32_e32 v132, v3, v4
	v_mul_f32_e32 v3, v103, v137
	s_waitcnt lgkmcnt(0)
	v_pk_mul_f32 v[98:99], v[106:107], v[98:99] op_sel_hi:[1,0]
	v_mul_f32_e32 v131, v104, v138
	v_fmac_f32_e32 v129, v103, v147
	v_fma_f32 v128, v102, v147, -v3
	v_mul_f32_e32 v3, v105, v138
	s_waitcnt vmcnt(14)
	v_pk_fma_f32 v[100:101], v[106:107], v[112:113], v[98:99] op_sel:[0,0,1] op_sel_hi:[1,1,0] neg_lo:[0,0,1] neg_hi:[0,0,1]
	v_pk_fma_f32 v[98:99], v[106:107], v[112:113], v[98:99] op_sel:[0,0,1] op_sel_hi:[1,0,0]
	v_fmac_f32_e32 v131, v105, v148
	v_fma_f32 v130, v104, v148, -v3
	ds_read2_b64 v[4:7], v2 offset0:77 offset1:78
	ds_read2_b64 v[8:11], v2 offset0:79 offset1:80
	;; [unrolled: 1-line block ×3, first 2 shown]
	v_pk_add_f32 v[2:3], v[132:133], v[128:129]
	s_waitcnt vmcnt(13)
	v_mov_b32_e32 v98, v115
	v_pk_add_f32 v[2:3], v[2:3], v[130:131]
	v_mov_b32_e32 v101, v99
	v_pk_mul_f32 v[98:99], v[108:109], v[98:99] op_sel_hi:[1,0]
	v_pk_add_f32 v[2:3], v[2:3], v[100:101]
	s_waitcnt vmcnt(6)
	v_pk_fma_f32 v[100:101], v[108:109], v[114:115], v[98:99] op_sel:[0,0,1] op_sel_hi:[1,1,0] neg_lo:[0,0,1] neg_hi:[0,0,1]
	v_pk_fma_f32 v[98:99], v[108:109], v[114:115], v[98:99] op_sel:[0,0,1] op_sel_hi:[1,0,0]
	v_mov_b32_e32 v98, v121
	v_mov_b32_e32 v101, v99
	s_waitcnt lgkmcnt(2)
	v_pk_mul_f32 v[98:99], v[4:5], v[98:99] op_sel_hi:[1,0]
	v_pk_add_f32 v[2:3], v[2:3], v[100:101]
	v_pk_fma_f32 v[100:101], v[4:5], v[120:121], v[98:99] op_sel:[0,0,1] op_sel_hi:[1,1,0] neg_lo:[0,0,1] neg_hi:[0,0,1]
	v_pk_fma_f32 v[4:5], v[4:5], v[120:121], v[98:99] op_sel:[0,0,1] op_sel_hi:[1,0,0]
	v_mov_b32_e32 v4, v119
	v_mov_b32_e32 v101, v5
	v_pk_mul_f32 v[4:5], v[6:7], v[4:5] op_sel_hi:[1,0]
	v_pk_fma_f32 v[98:99], v[6:7], v[118:119], v[4:5] op_sel:[0,0,1] op_sel_hi:[1,1,0] neg_lo:[0,0,1] neg_hi:[0,0,1]
	v_pk_fma_f32 v[4:5], v[6:7], v[118:119], v[4:5] op_sel:[0,0,1] op_sel_hi:[1,0,0]
	v_mov_b32_e32 v4, v117
	v_mov_b32_e32 v99, v5
	s_waitcnt lgkmcnt(1)
	v_pk_mul_f32 v[4:5], v[8:9], v[4:5] op_sel_hi:[1,0]
	v_pk_fma_f32 v[6:7], v[8:9], v[116:117], v[4:5] op_sel:[0,0,1] op_sel_hi:[1,1,0] neg_lo:[0,0,1] neg_hi:[0,0,1]
	v_pk_fma_f32 v[4:5], v[8:9], v[116:117], v[4:5] op_sel:[0,0,1] op_sel_hi:[1,0,0]
	v_pk_add_f32 v[2:3], v[2:3], v[100:101]
	s_waitcnt vmcnt(1)
	v_mov_b32_e32 v4, v127
	v_pk_add_f32 v[2:3], v[2:3], v[98:99]
	v_mov_b32_e32 v7, v5
	v_pk_mul_f32 v[4:5], v[10:11], v[4:5] op_sel_hi:[1,0]
	v_pk_add_f32 v[2:3], v[2:3], v[6:7]
	s_waitcnt vmcnt(0)
	v_pk_fma_f32 v[6:7], v[10:11], v[126:127], v[4:5] op_sel:[0,0,1] op_sel_hi:[1,1,0] neg_lo:[0,0,1] neg_hi:[0,0,1]
	v_pk_fma_f32 v[4:5], v[10:11], v[126:127], v[4:5] op_sel:[0,0,1] op_sel_hi:[1,0,0]
	v_mov_b32_e32 v4, v125
	v_mov_b32_e32 v7, v5
	s_waitcnt lgkmcnt(0)
	v_pk_mul_f32 v[4:5], v[12:13], v[4:5] op_sel_hi:[1,0]
	v_pk_add_f32 v[2:3], v[2:3], v[6:7]
	v_pk_fma_f32 v[6:7], v[12:13], v[124:125], v[4:5] op_sel:[0,0,1] op_sel_hi:[1,1,0] neg_lo:[0,0,1] neg_hi:[0,0,1]
	v_pk_fma_f32 v[4:5], v[12:13], v[124:125], v[4:5] op_sel:[0,0,1] op_sel_hi:[1,0,0]
	v_mov_b32_e32 v4, v123
	v_mov_b32_e32 v7, v5
	v_pk_mul_f32 v[4:5], v[14:15], v[4:5] op_sel_hi:[1,0]
	v_pk_add_f32 v[2:3], v[2:3], v[6:7]
	v_pk_fma_f32 v[6:7], v[14:15], v[122:123], v[4:5] op_sel:[0,0,1] op_sel_hi:[1,1,0] neg_lo:[0,0,1] neg_hi:[0,0,1]
	v_pk_fma_f32 v[4:5], v[14:15], v[122:123], v[4:5] op_sel:[0,0,1] op_sel_hi:[1,0,0]
	v_mov_b32_e32 v7, v5
	v_pk_add_f32 v[2:3], v[2:3], v[6:7]
	v_pk_add_f32 v[2:3], v[110:111], v[2:3] neg_lo:[0,1] neg_hi:[0,1]
	buffer_store_dword v3, off, s[0:3], 0 offset:180
	buffer_store_dword v2, off, s[0:3], 0 offset:176
	s_and_saveexec_b64 s[4:5], vcc
	s_cbranch_execz .LBB40_217
; %bb.216:
	buffer_load_dword v2, off, s[0:3], 0 offset:168
	buffer_load_dword v3, off, s[0:3], 0 offset:172
	v_mov_b32_e32 v4, 0
	buffer_store_dword v4, off, s[0:3], 0 offset:168
	buffer_store_dword v4, off, s[0:3], 0 offset:172
	s_waitcnt vmcnt(2)
	ds_write_b64 v1, v[2:3]
.LBB40_217:
	s_or_b64 exec, exec, s[4:5]
	s_waitcnt lgkmcnt(0)
	; wave barrier
	s_waitcnt lgkmcnt(0)
	buffer_load_dword v3, off, s[0:3], 0 offset:180
	buffer_load_dword v128, off, s[0:3], 0 offset:188
	;; [unrolled: 1-line block ×40, first 2 shown]
	v_mov_b32_e32 v2, 0
	ds_read_b128 v[4:7], v2 offset:512
	ds_read_b128 v[8:11], v2 offset:528
	ds_read_b128 v[12:15], v2 offset:544
	ds_read_b128 v[98:101], v2 offset:560
	ds_read_b128 v[102:105], v2 offset:576
	ds_read_b128 v[106:109], v2 offset:592
	v_cmp_lt_u32_e32 vcc, 20, v0
	s_waitcnt vmcnt(39) lgkmcnt(5)
	v_mul_f32_e32 v151, v4, v3
	s_waitcnt vmcnt(38)
	v_mul_f32_e32 v152, v6, v128
	v_mul_f32_e32 v3, v5, v3
	s_waitcnt vmcnt(37) lgkmcnt(4)
	v_mul_f32_e32 v153, v8, v130
	v_mul_f32_e32 v128, v7, v128
	s_waitcnt vmcnt(36)
	v_mul_f32_e32 v154, v10, v132
	s_waitcnt vmcnt(35) lgkmcnt(3)
	v_mul_f32_e32 v155, v12, v134
	s_waitcnt vmcnt(34)
	v_mul_f32_e32 v156, v14, v135
	s_waitcnt vmcnt(33) lgkmcnt(2)
	;; [unrolled: 4-line block ×3, first 2 shown]
	v_mul_f32_e32 v159, v102, v138
	s_waitcnt vmcnt(28)
	v_fmac_f32_e32 v151, v5, v133
	s_waitcnt vmcnt(27)
	v_fmac_f32_e32 v152, v7, v141
	v_fma_f32 v3, v4, v133, -v3
	v_add_f32_e32 v7, 0, v151
	s_waitcnt vmcnt(26)
	v_fmac_f32_e32 v153, v9, v142
	v_fma_f32 v4, v6, v141, -v128
	v_add_f32_e32 v3, 0, v3
	v_add_f32_e32 v7, v7, v152
	s_waitcnt vmcnt(25)
	v_fmac_f32_e32 v154, v11, v143
	v_add_f32_e32 v3, v3, v4
	v_add_f32_e32 v4, v7, v153
	s_waitcnt vmcnt(24)
	v_fmac_f32_e32 v155, v13, v144
	v_add_f32_e32 v4, v4, v154
	s_waitcnt vmcnt(23)
	v_fmac_f32_e32 v156, v15, v145
	;; [unrolled: 3-line block ×3, first 2 shown]
	v_add_f32_e32 v4, v4, v156
	v_mul_f32_e32 v130, v9, v130
	s_waitcnt vmcnt(21)
	v_fmac_f32_e32 v158, v101, v147
	v_add_f32_e32 v4, v4, v157
	v_mul_f32_e32 v132, v11, v132
	s_waitcnt vmcnt(20)
	v_fmac_f32_e32 v159, v103, v148
	v_fma_f32 v5, v8, v142, -v130
	v_add_f32_e32 v4, v4, v158
	v_fma_f32 v6, v10, v143, -v132
	v_add_f32_e32 v3, v3, v5
	v_add_f32_e32 v133, v4, v159
	v_mul_f32_e32 v4, v13, v134
	v_add_f32_e32 v3, v3, v6
	v_fma_f32 v4, v12, v144, -v4
	v_add_f32_e32 v3, v3, v4
	v_mul_f32_e32 v4, v15, v135
	v_fma_f32 v4, v14, v145, -v4
	v_add_f32_e32 v3, v3, v4
	v_mul_f32_e32 v4, v99, v136
	;; [unrolled: 3-line block ×4, first 2 shown]
	v_fma_f32 v4, v102, v148, -v4
	s_waitcnt vmcnt(9)
	v_mov_b32_e32 v102, v119
	v_mul_f32_e32 v129, v104, v139
	v_add_f32_e32 v132, v3, v4
	v_mul_f32_e32 v3, v105, v139
	s_waitcnt lgkmcnt(0)
	v_pk_mul_f32 v[102:103], v[108:109], v[102:103] op_sel_hi:[1,0]
	v_mul_f32_e32 v131, v106, v140
	v_fmac_f32_e32 v129, v105, v149
	v_fma_f32 v128, v104, v149, -v3
	v_mul_f32_e32 v3, v107, v140
	ds_read_b128 v[4:7], v2 offset:608
	ds_read_b128 v[8:11], v2 offset:624
	ds_read_b128 v[12:15], v2 offset:640
	ds_read_b64 v[98:99], v2 offset:656
	s_waitcnt vmcnt(8)
	v_pk_fma_f32 v[104:105], v[108:109], v[118:119], v[102:103] op_sel:[0,0,1] op_sel_hi:[1,1,0] neg_lo:[0,0,1] neg_hi:[0,0,1]
	v_pk_fma_f32 v[102:103], v[108:109], v[118:119], v[102:103] op_sel:[0,0,1] op_sel_hi:[1,0,0]
	v_fmac_f32_e32 v131, v107, v150
	v_fma_f32 v130, v106, v150, -v3
	v_pk_add_f32 v[100:101], v[132:133], v[128:129]
	v_mov_b32_e32 v102, v117
	v_pk_add_f32 v[100:101], v[100:101], v[130:131]
	v_mov_b32_e32 v105, v103
	s_waitcnt lgkmcnt(3)
	v_pk_mul_f32 v[102:103], v[4:5], v[102:103] op_sel_hi:[1,0]
	v_pk_add_f32 v[100:101], v[100:101], v[104:105]
	v_pk_fma_f32 v[104:105], v[4:5], v[116:117], v[102:103] op_sel:[0,0,1] op_sel_hi:[1,1,0] neg_lo:[0,0,1] neg_hi:[0,0,1]
	v_pk_fma_f32 v[4:5], v[4:5], v[116:117], v[102:103] op_sel:[0,0,1] op_sel_hi:[1,0,0]
	v_mov_b32_e32 v105, v5
	v_pk_add_f32 v[4:5], v[100:101], v[104:105]
	v_mov_b32_e32 v100, v115
	v_pk_mul_f32 v[100:101], v[6:7], v[100:101] op_sel_hi:[1,0]
	v_pk_fma_f32 v[102:103], v[6:7], v[114:115], v[100:101] op_sel:[0,0,1] op_sel_hi:[1,1,0] neg_lo:[0,0,1] neg_hi:[0,0,1]
	v_pk_fma_f32 v[6:7], v[6:7], v[114:115], v[100:101] op_sel:[0,0,1] op_sel_hi:[1,0,0]
	v_mov_b32_e32 v6, v113
	v_mov_b32_e32 v103, v7
	s_waitcnt lgkmcnt(2)
	v_pk_mul_f32 v[6:7], v[8:9], v[6:7] op_sel_hi:[1,0]
	v_pk_fma_f32 v[100:101], v[8:9], v[112:113], v[6:7] op_sel:[0,0,1] op_sel_hi:[1,1,0] neg_lo:[0,0,1] neg_hi:[0,0,1]
	v_pk_fma_f32 v[6:7], v[8:9], v[112:113], v[6:7] op_sel:[0,0,1] op_sel_hi:[1,0,0]
	s_waitcnt vmcnt(1)
	v_mov_b32_e32 v6, v127
	v_mov_b32_e32 v101, v7
	v_pk_mul_f32 v[6:7], v[10:11], v[6:7] op_sel_hi:[1,0]
	s_waitcnt vmcnt(0)
	v_pk_fma_f32 v[8:9], v[10:11], v[126:127], v[6:7] op_sel:[0,0,1] op_sel_hi:[1,1,0] neg_lo:[0,0,1] neg_hi:[0,0,1]
	v_pk_fma_f32 v[6:7], v[10:11], v[126:127], v[6:7] op_sel:[0,0,1] op_sel_hi:[1,0,0]
	v_pk_add_f32 v[4:5], v[4:5], v[102:103]
	v_mov_b32_e32 v6, v125
	v_pk_add_f32 v[4:5], v[4:5], v[100:101]
	v_mov_b32_e32 v9, v7
	s_waitcnt lgkmcnt(1)
	v_pk_mul_f32 v[6:7], v[12:13], v[6:7] op_sel_hi:[1,0]
	v_pk_add_f32 v[4:5], v[4:5], v[8:9]
	v_pk_fma_f32 v[8:9], v[12:13], v[124:125], v[6:7] op_sel:[0,0,1] op_sel_hi:[1,1,0] neg_lo:[0,0,1] neg_hi:[0,0,1]
	v_pk_fma_f32 v[6:7], v[12:13], v[124:125], v[6:7] op_sel:[0,0,1] op_sel_hi:[1,0,0]
	v_mov_b32_e32 v6, v123
	v_mov_b32_e32 v9, v7
	v_pk_mul_f32 v[6:7], v[14:15], v[6:7] op_sel_hi:[1,0]
	v_pk_add_f32 v[4:5], v[4:5], v[8:9]
	v_pk_fma_f32 v[8:9], v[14:15], v[122:123], v[6:7] op_sel:[0,0,1] op_sel_hi:[1,1,0] neg_lo:[0,0,1] neg_hi:[0,0,1]
	v_pk_fma_f32 v[6:7], v[14:15], v[122:123], v[6:7] op_sel:[0,0,1] op_sel_hi:[1,0,0]
	v_mov_b32_e32 v6, v121
	v_mov_b32_e32 v9, v7
	s_waitcnt lgkmcnt(0)
	v_pk_mul_f32 v[6:7], v[98:99], v[6:7] op_sel_hi:[1,0]
	v_pk_add_f32 v[4:5], v[4:5], v[8:9]
	v_pk_fma_f32 v[8:9], v[98:99], v[120:121], v[6:7] op_sel:[0,0,1] op_sel_hi:[1,1,0] neg_lo:[0,0,1] neg_hi:[0,0,1]
	v_pk_fma_f32 v[6:7], v[98:99], v[120:121], v[6:7] op_sel:[0,0,1] op_sel_hi:[1,0,0]
	v_mov_b32_e32 v9, v7
	v_pk_add_f32 v[4:5], v[4:5], v[8:9]
	v_pk_add_f32 v[4:5], v[110:111], v[4:5] neg_lo:[0,1] neg_hi:[0,1]
	buffer_store_dword v5, off, s[0:3], 0 offset:172
	buffer_store_dword v4, off, s[0:3], 0 offset:168
	s_and_saveexec_b64 s[4:5], vcc
	s_cbranch_execz .LBB40_219
; %bb.218:
	buffer_load_dword v4, off, s[0:3], 0 offset:160
	buffer_load_dword v5, off, s[0:3], 0 offset:164
	s_waitcnt vmcnt(0)
	ds_write_b64 v1, v[4:5]
	buffer_store_dword v2, off, s[0:3], 0 offset:160
	buffer_store_dword v2, off, s[0:3], 0 offset:164
.LBB40_219:
	s_or_b64 exec, exec, s[4:5]
	s_waitcnt lgkmcnt(0)
	; wave barrier
	s_waitcnt lgkmcnt(0)
	buffer_load_dword v3, off, s[0:3], 0 offset:172
	buffer_load_dword v128, off, s[0:3], 0 offset:180
	;; [unrolled: 1-line block ×26, first 2 shown]
	ds_read2_b64 v[4:7], v2 offset0:63 offset1:64
	ds_read2_b64 v[8:11], v2 offset0:65 offset1:66
	;; [unrolled: 1-line block ×6, first 2 shown]
	buffer_load_dword v113, off, s[0:3], 0 offset:284
	buffer_load_dword v112, off, s[0:3], 0 offset:280
	;; [unrolled: 1-line block ×16, first 2 shown]
	v_cmp_lt_u32_e32 vcc, 19, v0
	s_waitcnt vmcnt(41) lgkmcnt(5)
	v_mul_f32_e32 v153, v4, v3
	s_waitcnt vmcnt(40)
	v_mul_f32_e32 v154, v6, v128
	v_mul_f32_e32 v3, v5, v3
	;; [unrolled: 1-line block ×3, first 2 shown]
	s_waitcnt vmcnt(39) lgkmcnt(4)
	v_mul_f32_e32 v155, v8, v130
	s_waitcnt vmcnt(38)
	v_mul_f32_e32 v156, v10, v132
	s_waitcnt vmcnt(37) lgkmcnt(3)
	v_mul_f32_e32 v157, v12, v134
	s_waitcnt vmcnt(36)
	v_mul_f32_e32 v158, v14, v135
	;; [unrolled: 4-line block ×4, first 2 shown]
	s_waitcnt vmcnt(29)
	v_fmac_f32_e32 v153, v5, v133
	s_waitcnt vmcnt(28)
	v_fmac_f32_e32 v154, v7, v142
	v_fma_f32 v3, v4, v133, -v3
	v_fma_f32 v4, v6, v142, -v128
	v_add_f32_e32 v6, 0, v153
	s_waitcnt vmcnt(27)
	v_fmac_f32_e32 v155, v9, v143
	v_add_f32_e32 v3, 0, v3
	v_add_f32_e32 v6, v6, v154
	s_waitcnt vmcnt(26)
	v_fmac_f32_e32 v156, v11, v144
	v_add_f32_e32 v3, v3, v4
	v_add_f32_e32 v4, v6, v155
	s_waitcnt vmcnt(25)
	v_fmac_f32_e32 v157, v13, v145
	v_add_f32_e32 v4, v4, v156
	s_waitcnt vmcnt(24)
	v_fmac_f32_e32 v158, v15, v146
	v_add_f32_e32 v4, v4, v157
	s_waitcnt vmcnt(23)
	v_fmac_f32_e32 v159, v99, v147
	v_add_f32_e32 v4, v4, v158
	;; [unrolled: 3-line block ×4, first 2 shown]
	v_mul_f32_e32 v130, v9, v130
	s_waitcnt vmcnt(20)
	v_fmac_f32_e32 v162, v105, v150
	v_add_f32_e32 v4, v4, v161
	v_fma_f32 v5, v8, v143, -v130
	v_add_f32_e32 v133, v4, v162
	v_mul_f32_e32 v4, v11, v132
	v_add_f32_e32 v3, v3, v5
	v_fma_f32 v4, v10, v144, -v4
	v_add_f32_e32 v3, v3, v4
	v_mul_f32_e32 v4, v13, v134
	v_fma_f32 v4, v12, v145, -v4
	v_add_f32_e32 v3, v3, v4
	v_mul_f32_e32 v4, v15, v135
	;; [unrolled: 3-line block ×6, first 2 shown]
	v_fma_f32 v4, v104, v150, -v4
	v_add_f32_e32 v132, v3, v4
	ds_read2_b64 v[4:7], v2 offset0:75 offset1:76
	ds_read2_b64 v[8:11], v2 offset0:77 offset1:78
	;; [unrolled: 1-line block ×4, first 2 shown]
	s_waitcnt vmcnt(11)
	v_mov_b32_e32 v102, v117
	s_waitcnt lgkmcnt(3)
	v_pk_mul_f32 v[102:103], v[4:5], v[102:103] op_sel_hi:[1,0]
	s_waitcnt vmcnt(10)
	v_pk_fma_f32 v[104:105], v[4:5], v[116:117], v[102:103] op_sel:[0,0,1] op_sel_hi:[1,1,0] neg_lo:[0,0,1] neg_hi:[0,0,1]
	v_pk_fma_f32 v[4:5], v[4:5], v[116:117], v[102:103] op_sel:[0,0,1] op_sel_hi:[1,0,0]
	v_mov_b32_e32 v4, v115
	v_mov_b32_e32 v105, v5
	v_pk_mul_f32 v[4:5], v[6:7], v[4:5] op_sel_hi:[1,0]
	v_mul_f32_e32 v129, v106, v140
	v_mul_f32_e32 v3, v107, v140
	v_pk_fma_f32 v[102:103], v[6:7], v[114:115], v[4:5] op_sel:[0,0,1] op_sel_hi:[1,1,0] neg_lo:[0,0,1] neg_hi:[0,0,1]
	v_pk_fma_f32 v[4:5], v[6:7], v[114:115], v[4:5] op_sel:[0,0,1] op_sel_hi:[1,0,0]
	v_mul_f32_e32 v131, v108, v141
	v_fmac_f32_e32 v129, v107, v151
	v_fma_f32 v128, v106, v151, -v3
	v_mul_f32_e32 v3, v109, v141
	v_mov_b32_e32 v4, v113
	v_fmac_f32_e32 v131, v109, v152
	v_fma_f32 v130, v108, v152, -v3
	v_pk_add_f32 v[2:3], v[132:133], v[128:129]
	v_mov_b32_e32 v103, v5
	s_waitcnt lgkmcnt(2)
	v_pk_mul_f32 v[4:5], v[8:9], v[4:5] op_sel_hi:[1,0]
	v_pk_add_f32 v[2:3], v[2:3], v[130:131]
	v_pk_fma_f32 v[6:7], v[8:9], v[112:113], v[4:5] op_sel:[0,0,1] op_sel_hi:[1,1,0] neg_lo:[0,0,1] neg_hi:[0,0,1]
	v_pk_fma_f32 v[4:5], v[8:9], v[112:113], v[4:5] op_sel:[0,0,1] op_sel_hi:[1,0,0]
	v_pk_add_f32 v[2:3], v[2:3], v[104:105]
	s_waitcnt vmcnt(3)
	v_mov_b32_e32 v4, v125
	v_pk_add_f32 v[2:3], v[2:3], v[102:103]
	v_mov_b32_e32 v7, v5
	v_pk_mul_f32 v[4:5], v[10:11], v[4:5] op_sel_hi:[1,0]
	v_pk_add_f32 v[2:3], v[2:3], v[6:7]
	s_waitcnt vmcnt(2)
	v_pk_fma_f32 v[6:7], v[10:11], v[124:125], v[4:5] op_sel:[0,0,1] op_sel_hi:[1,1,0] neg_lo:[0,0,1] neg_hi:[0,0,1]
	v_pk_fma_f32 v[4:5], v[10:11], v[124:125], v[4:5] op_sel:[0,0,1] op_sel_hi:[1,0,0]
	v_mov_b32_e32 v4, v123
	v_mov_b32_e32 v7, v5
	s_waitcnt lgkmcnt(1)
	v_pk_mul_f32 v[4:5], v[12:13], v[4:5] op_sel_hi:[1,0]
	v_pk_add_f32 v[2:3], v[2:3], v[6:7]
	v_pk_fma_f32 v[6:7], v[12:13], v[122:123], v[4:5] op_sel:[0,0,1] op_sel_hi:[1,1,0] neg_lo:[0,0,1] neg_hi:[0,0,1]
	v_pk_fma_f32 v[4:5], v[12:13], v[122:123], v[4:5] op_sel:[0,0,1] op_sel_hi:[1,0,0]
	v_mov_b32_e32 v4, v121
	v_mov_b32_e32 v7, v5
	v_pk_mul_f32 v[4:5], v[14:15], v[4:5] op_sel_hi:[1,0]
	v_pk_add_f32 v[2:3], v[2:3], v[6:7]
	v_pk_fma_f32 v[6:7], v[14:15], v[120:121], v[4:5] op_sel:[0,0,1] op_sel_hi:[1,1,0] neg_lo:[0,0,1] neg_hi:[0,0,1]
	v_pk_fma_f32 v[4:5], v[14:15], v[120:121], v[4:5] op_sel:[0,0,1] op_sel_hi:[1,0,0]
	v_mov_b32_e32 v4, v119
	v_mov_b32_e32 v7, v5
	s_waitcnt lgkmcnt(0)
	v_pk_mul_f32 v[4:5], v[98:99], v[4:5] op_sel_hi:[1,0]
	v_pk_add_f32 v[2:3], v[2:3], v[6:7]
	v_pk_fma_f32 v[6:7], v[98:99], v[118:119], v[4:5] op_sel:[0,0,1] op_sel_hi:[1,1,0] neg_lo:[0,0,1] neg_hi:[0,0,1]
	v_pk_fma_f32 v[4:5], v[98:99], v[118:119], v[4:5] op_sel:[0,0,1] op_sel_hi:[1,0,0]
	s_waitcnt vmcnt(1)
	v_mov_b32_e32 v4, v127
	v_mov_b32_e32 v7, v5
	v_pk_mul_f32 v[4:5], v[100:101], v[4:5] op_sel_hi:[1,0]
	v_pk_add_f32 v[2:3], v[2:3], v[6:7]
	s_waitcnt vmcnt(0)
	v_pk_fma_f32 v[6:7], v[100:101], v[126:127], v[4:5] op_sel:[0,0,1] op_sel_hi:[1,1,0] neg_lo:[0,0,1] neg_hi:[0,0,1]
	v_pk_fma_f32 v[4:5], v[100:101], v[126:127], v[4:5] op_sel:[0,0,1] op_sel_hi:[1,0,0]
	v_mov_b32_e32 v7, v5
	v_pk_add_f32 v[2:3], v[2:3], v[6:7]
	v_pk_add_f32 v[2:3], v[110:111], v[2:3] neg_lo:[0,1] neg_hi:[0,1]
	buffer_store_dword v3, off, s[0:3], 0 offset:164
	buffer_store_dword v2, off, s[0:3], 0 offset:160
	s_and_saveexec_b64 s[4:5], vcc
	s_cbranch_execz .LBB40_221
; %bb.220:
	buffer_load_dword v2, off, s[0:3], 0 offset:152
	buffer_load_dword v3, off, s[0:3], 0 offset:156
	v_mov_b32_e32 v4, 0
	buffer_store_dword v4, off, s[0:3], 0 offset:152
	buffer_store_dword v4, off, s[0:3], 0 offset:156
	s_waitcnt vmcnt(2)
	ds_write_b64 v1, v[2:3]
.LBB40_221:
	s_or_b64 exec, exec, s[4:5]
	v_mov_b32_e32 v12, 0
	s_waitcnt lgkmcnt(0)
	; wave barrier
	s_waitcnt lgkmcnt(0)
	ds_read_b128 v[98:101], v12 offset:496
	ds_read_b128 v[102:105], v12 offset:512
	;; [unrolled: 1-line block ×4, first 2 shown]
	buffer_load_dword v6, off, s[0:3], 0 offset:152
	buffer_load_dword v7, off, s[0:3], 0 offset:156
	;; [unrolled: 1-line block ×18, first 2 shown]
	ds_read_b128 v[114:117], v12 offset:560
	buffer_load_dword v150, off, s[0:3], 0 offset:224
	buffer_load_dword v151, off, s[0:3], 0 offset:228
	;; [unrolled: 1-line block ×4, first 2 shown]
	ds_read_b128 v[118:121], v12 offset:576
	buffer_load_dword v154, off, s[0:3], 0 offset:240
	buffer_load_dword v155, off, s[0:3], 0 offset:244
	;; [unrolled: 1-line block ×4, first 2 shown]
	v_cmp_lt_u32_e32 vcc, 18, v0
	s_waitcnt vmcnt(22) lgkmcnt(5)
	v_mul_f32_e32 v2, v98, v10
	v_fmac_f32_e32 v2, v99, v8
	s_waitcnt vmcnt(20)
	v_mul_f32_e32 v3, v100, v14
	v_add_f32_e32 v2, 0, v2
	v_fmac_f32_e32 v3, v101, v13
	v_add_f32_e32 v2, v2, v3
	s_waitcnt vmcnt(18) lgkmcnt(4)
	v_mul_f32_e32 v3, v102, v139
	v_fmac_f32_e32 v3, v103, v138
	v_add_f32_e32 v2, v2, v3
	s_waitcnt vmcnt(16)
	v_mul_f32_e32 v3, v104, v141
	v_fmac_f32_e32 v3, v105, v140
	v_add_f32_e32 v2, v2, v3
	s_waitcnt vmcnt(14) lgkmcnt(3)
	v_mul_f32_e32 v3, v106, v143
	v_fmac_f32_e32 v3, v107, v142
	v_add_f32_e32 v2, v2, v3
	s_waitcnt vmcnt(12)
	v_mul_f32_e32 v3, v108, v145
	;; [unrolled: 8-line block ×4, first 2 shown]
	v_fmac_f32_e32 v3, v117, v152
	v_add_f32_e32 v2, v2, v3
	s_waitcnt vmcnt(2) lgkmcnt(0)
	v_mul_f32_e32 v3, v118, v155
	v_fmac_f32_e32 v3, v119, v154
	v_add_f32_e32 v9, v2, v3
	ds_read_b128 v[2:5], v12 offset:592
	buffer_load_dword v158, off, s[0:3], 0 offset:256
	buffer_load_dword v159, off, s[0:3], 0 offset:260
	;; [unrolled: 1-line block ×18, first 2 shown]
	v_mul_f32_e32 v10, v99, v10
	v_fma_f32 v8, v98, v8, -v10
	v_mul_f32_e32 v10, v101, v14
	v_add_f32_e32 v8, 0, v8
	v_fma_f32 v10, v100, v13, -v10
	v_add_f32_e32 v8, v8, v10
	v_mul_f32_e32 v10, v103, v139
	v_fma_f32 v10, v102, v138, -v10
	v_add_f32_e32 v8, v8, v10
	v_mul_f32_e32 v10, v105, v141
	;; [unrolled: 3-line block ×9, first 2 shown]
	v_fma_f32 v10, v118, v154, -v10
	s_waitcnt vmcnt(18)
	v_mul_f32_e32 v11, v120, v157
	v_add_f32_e32 v8, v8, v10
	v_mul_f32_e32 v10, v121, v157
	v_fmac_f32_e32 v11, v121, v156
	v_fma_f32 v10, v120, v156, -v10
	v_pk_add_f32 v[8:9], v[8:9], v[10:11]
	s_waitcnt vmcnt(15)
	v_mov_b32_e32 v10, v123
	s_waitcnt lgkmcnt(0)
	v_pk_mul_f32 v[10:11], v[4:5], v[10:11] op_sel_hi:[1,0]
	v_mul_f32_e32 v15, v2, v159
	v_fmac_f32_e32 v15, v3, v158
	v_mul_f32_e32 v3, v3, v159
	v_fma_f32 v14, v2, v158, -v3
	v_pk_add_f32 v[8:9], v[8:9], v[14:15]
	s_waitcnt vmcnt(14)
	v_pk_fma_f32 v[14:15], v[4:5], v[122:123], v[10:11] op_sel:[0,0,1] op_sel_hi:[1,1,0] neg_lo:[0,0,1] neg_hi:[0,0,1]
	v_pk_fma_f32 v[4:5], v[4:5], v[122:123], v[10:11] op_sel:[0,0,1] op_sel_hi:[1,0,0]
	ds_read_b128 v[98:101], v12 offset:608
	ds_read_b128 v[102:105], v12 offset:624
	;; [unrolled: 1-line block ×3, first 2 shown]
	ds_read_b64 v[2:3], v12 offset:656
	v_mov_b32_e32 v15, v5
	v_pk_add_f32 v[4:5], v[8:9], v[14:15]
	s_waitcnt vmcnt(13)
	v_mov_b32_e32 v8, v125
	s_waitcnt lgkmcnt(3)
	v_pk_mul_f32 v[8:9], v[98:99], v[8:9] op_sel_hi:[1,0]
	s_waitcnt vmcnt(12)
	v_pk_fma_f32 v[10:11], v[98:99], v[124:125], v[8:9] op_sel:[0,0,1] op_sel_hi:[1,1,0] neg_lo:[0,0,1] neg_hi:[0,0,1]
	v_pk_fma_f32 v[8:9], v[98:99], v[124:125], v[8:9] op_sel:[0,0,1] op_sel_hi:[1,0,0]
	s_waitcnt vmcnt(11)
	v_mov_b32_e32 v8, v127
	v_mov_b32_e32 v11, v9
	v_pk_mul_f32 v[8:9], v[100:101], v[8:9] op_sel_hi:[1,0]
	v_pk_add_f32 v[4:5], v[4:5], v[10:11]
	s_waitcnt vmcnt(10)
	v_pk_fma_f32 v[10:11], v[100:101], v[126:127], v[8:9] op_sel:[0,0,1] op_sel_hi:[1,1,0] neg_lo:[0,0,1] neg_hi:[0,0,1]
	v_pk_fma_f32 v[8:9], v[100:101], v[126:127], v[8:9] op_sel:[0,0,1] op_sel_hi:[1,0,0]
	s_waitcnt vmcnt(9)
	v_mov_b32_e32 v8, v129
	v_mov_b32_e32 v11, v9
	s_waitcnt lgkmcnt(2)
	v_pk_mul_f32 v[8:9], v[102:103], v[8:9] op_sel_hi:[1,0]
	v_pk_add_f32 v[4:5], v[4:5], v[10:11]
	s_waitcnt vmcnt(8)
	v_pk_fma_f32 v[10:11], v[102:103], v[128:129], v[8:9] op_sel:[0,0,1] op_sel_hi:[1,1,0] neg_lo:[0,0,1] neg_hi:[0,0,1]
	v_pk_fma_f32 v[8:9], v[102:103], v[128:129], v[8:9] op_sel:[0,0,1] op_sel_hi:[1,0,0]
	s_waitcnt vmcnt(7)
	v_mov_b32_e32 v8, v131
	v_mov_b32_e32 v11, v9
	v_pk_mul_f32 v[8:9], v[104:105], v[8:9] op_sel_hi:[1,0]
	v_pk_add_f32 v[4:5], v[4:5], v[10:11]
	s_waitcnt vmcnt(6)
	v_pk_fma_f32 v[10:11], v[104:105], v[130:131], v[8:9] op_sel:[0,0,1] op_sel_hi:[1,1,0] neg_lo:[0,0,1] neg_hi:[0,0,1]
	v_pk_fma_f32 v[8:9], v[104:105], v[130:131], v[8:9] op_sel:[0,0,1] op_sel_hi:[1,0,0]
	s_waitcnt vmcnt(5)
	v_mov_b32_e32 v8, v133
	v_mov_b32_e32 v11, v9
	s_waitcnt lgkmcnt(1)
	v_pk_mul_f32 v[8:9], v[106:107], v[8:9] op_sel_hi:[1,0]
	v_pk_add_f32 v[4:5], v[4:5], v[10:11]
	;; [unrolled: 17-line block ×3, first 2 shown]
	s_waitcnt vmcnt(0)
	v_pk_fma_f32 v[10:11], v[2:3], v[136:137], v[8:9] op_sel:[0,0,1] op_sel_hi:[1,1,0] neg_lo:[0,0,1] neg_hi:[0,0,1]
	v_pk_fma_f32 v[2:3], v[2:3], v[136:137], v[8:9] op_sel:[0,0,1] op_sel_hi:[1,0,0]
	v_mov_b32_e32 v11, v3
	v_pk_add_f32 v[2:3], v[4:5], v[10:11]
	v_pk_add_f32 v[2:3], v[6:7], v[2:3] neg_lo:[0,1] neg_hi:[0,1]
	buffer_store_dword v3, off, s[0:3], 0 offset:156
	buffer_store_dword v2, off, s[0:3], 0 offset:152
	s_and_saveexec_b64 s[4:5], vcc
	s_cbranch_execz .LBB40_223
; %bb.222:
	buffer_load_dword v2, off, s[0:3], 0 offset:144
	buffer_load_dword v3, off, s[0:3], 0 offset:148
	s_waitcnt vmcnt(0)
	ds_write_b64 v1, v[2:3]
	buffer_store_dword v12, off, s[0:3], 0 offset:144
	buffer_store_dword v12, off, s[0:3], 0 offset:148
.LBB40_223:
	s_or_b64 exec, exec, s[4:5]
	s_waitcnt lgkmcnt(0)
	; wave barrier
	s_waitcnt lgkmcnt(0)
	ds_read2_b64 v[2:5], v12 offset0:61 offset1:62
	buffer_load_dword v6, off, s[0:3], 0 offset:144
	buffer_load_dword v7, off, s[0:3], 0 offset:148
	;; [unrolled: 1-line block ×16, first 2 shown]
	v_cmp_lt_u32_e32 vcc, 17, v0
	s_waitcnt vmcnt(12) lgkmcnt(0)
	v_mul_f32_e32 v8, v2, v14
	v_fmac_f32_e32 v8, v3, v13
	s_waitcnt vmcnt(10)
	v_mul_f32_e32 v9, v4, v122
	v_add_f32_e32 v8, 0, v8
	v_fmac_f32_e32 v9, v5, v15
	v_add_f32_e32 v98, v8, v9
	ds_read2_b64 v[8:11], v12 offset0:63 offset1:64
	v_mul_f32_e32 v3, v3, v14
	v_fma_f32 v2, v2, v13, -v3
	v_mul_f32_e32 v3, v5, v122
	v_add_f32_e32 v2, 0, v2
	s_waitcnt vmcnt(8) lgkmcnt(0)
	v_mul_f32_e32 v99, v8, v126
	v_fmac_f32_e32 v99, v9, v124
	v_add_f32_e32 v98, v98, v99
	s_waitcnt vmcnt(6)
	v_mul_f32_e32 v99, v10, v145
	v_fmac_f32_e32 v99, v11, v144
	v_add_f32_e32 v102, v98, v99
	ds_read2_b64 v[98:101], v12 offset0:65 offset1:66
	v_fma_f32 v3, v4, v15, -v3
	v_add_f32_e32 v2, v2, v3
	v_mul_f32_e32 v3, v9, v126
	v_fma_f32 v3, v8, v124, -v3
	s_waitcnt vmcnt(4) lgkmcnt(0)
	v_mul_f32_e32 v103, v98, v147
	v_fmac_f32_e32 v103, v99, v146
	v_add_f32_e32 v102, v102, v103
	s_waitcnt vmcnt(2)
	v_mul_f32_e32 v103, v100, v149
	v_fmac_f32_e32 v103, v101, v148
	v_add_f32_e32 v106, v102, v103
	ds_read2_b64 v[102:105], v12 offset0:67 offset1:68
	buffer_load_dword v152, off, s[0:3], 0 offset:208
	buffer_load_dword v153, off, s[0:3], 0 offset:212
	v_add_f32_e32 v2, v2, v3
	v_mul_f32_e32 v3, v11, v145
	v_fma_f32 v3, v10, v144, -v3
	s_waitcnt vmcnt(2) lgkmcnt(0)
	v_mul_f32_e32 v107, v102, v151
	v_fmac_f32_e32 v107, v103, v150
	v_add_f32_e32 v106, v106, v107
	v_add_f32_e32 v2, v2, v3
	v_mul_f32_e32 v3, v99, v147
	v_fma_f32 v3, v98, v146, -v3
	v_add_f32_e32 v2, v2, v3
	v_mul_f32_e32 v3, v101, v149
	v_fma_f32 v3, v100, v148, -v3
	;; [unrolled: 3-line block ×3, first 2 shown]
	v_add_f32_e32 v2, v2, v3
	s_waitcnt vmcnt(0)
	v_mul_f32_e32 v107, v104, v153
	v_fmac_f32_e32 v107, v105, v152
	v_add_f32_e32 v110, v106, v107
	ds_read2_b64 v[106:109], v12 offset0:69 offset1:70
	buffer_load_dword v154, off, s[0:3], 0 offset:216
	buffer_load_dword v155, off, s[0:3], 0 offset:220
	;; [unrolled: 1-line block ×4, first 2 shown]
	v_mul_f32_e32 v3, v105, v153
	v_fma_f32 v3, v104, v152, -v3
	v_add_f32_e32 v2, v2, v3
	s_waitcnt vmcnt(2) lgkmcnt(0)
	v_mul_f32_e32 v111, v106, v155
	v_fmac_f32_e32 v111, v107, v154
	v_add_f32_e32 v110, v110, v111
	s_waitcnt vmcnt(0)
	v_mul_f32_e32 v111, v108, v157
	v_fmac_f32_e32 v111, v109, v156
	v_add_f32_e32 v114, v110, v111
	ds_read2_b64 v[110:113], v12 offset0:71 offset1:72
	buffer_load_dword v158, off, s[0:3], 0 offset:232
	buffer_load_dword v159, off, s[0:3], 0 offset:236
	;; [unrolled: 1-line block ×4, first 2 shown]
	v_mul_f32_e32 v3, v107, v155
	v_fma_f32 v3, v106, v154, -v3
	v_add_f32_e32 v2, v2, v3
	v_mul_f32_e32 v3, v109, v157
	v_fma_f32 v3, v108, v156, -v3
	v_add_f32_e32 v2, v2, v3
	s_waitcnt vmcnt(2) lgkmcnt(0)
	v_mul_f32_e32 v115, v110, v159
	v_fmac_f32_e32 v115, v111, v158
	v_add_f32_e32 v114, v114, v115
	s_waitcnt vmcnt(0)
	v_mul_f32_e32 v115, v112, v161
	v_fmac_f32_e32 v115, v113, v160
	v_add_f32_e32 v123, v114, v115
	ds_read2_b64 v[114:117], v12 offset0:73 offset1:74
	buffer_load_dword v162, off, s[0:3], 0 offset:248
	buffer_load_dword v163, off, s[0:3], 0 offset:252
	;; [unrolled: 1-line block ×6, first 2 shown]
	ds_read2_b64 v[118:121], v12 offset0:75 offset1:76
	buffer_load_dword v131, off, s[0:3], 0 offset:276
	buffer_load_dword v130, off, s[0:3], 0 offset:272
	;; [unrolled: 1-line block ×14, first 2 shown]
	v_mul_f32_e32 v3, v111, v159
	v_fma_f32 v3, v110, v158, -v3
	v_add_f32_e32 v2, v2, v3
	v_mul_f32_e32 v3, v113, v161
	v_fma_f32 v3, v112, v160, -v3
	v_add_f32_e32 v122, v2, v3
	s_waitcnt vmcnt(18) lgkmcnt(1)
	v_mul_f32_e32 v125, v114, v163
	s_waitcnt vmcnt(15)
	v_mov_b32_e32 v100, v129
	v_mul_f32_e32 v2, v115, v163
	s_waitcnt lgkmcnt(0)
	v_pk_mul_f32 v[100:101], v[118:119], v[100:101] op_sel_hi:[1,0]
	v_fmac_f32_e32 v125, v115, v162
	v_mul_f32_e32 v127, v116, v165
	v_fma_f32 v124, v114, v162, -v2
	v_mul_f32_e32 v2, v117, v165
	s_waitcnt vmcnt(14)
	v_pk_fma_f32 v[102:103], v[118:119], v[128:129], v[100:101] op_sel:[0,0,1] op_sel_hi:[1,1,0] neg_lo:[0,0,1] neg_hi:[0,0,1]
	v_pk_fma_f32 v[100:101], v[118:119], v[128:129], v[100:101] op_sel:[0,0,1] op_sel_hi:[1,0,0]
	v_fmac_f32_e32 v127, v117, v164
	v_fma_f32 v126, v116, v164, -v2
	v_pk_add_f32 v[98:99], v[122:123], v[124:125]
	s_waitcnt vmcnt(13)
	v_mov_b32_e32 v100, v131
	ds_read2_b64 v[2:5], v12 offset0:77 offset1:78
	ds_read2_b64 v[8:11], v12 offset0:79 offset1:80
	;; [unrolled: 1-line block ×3, first 2 shown]
	v_pk_add_f32 v[98:99], v[98:99], v[126:127]
	v_mov_b32_e32 v103, v101
	v_pk_mul_f32 v[100:101], v[120:121], v[100:101] op_sel_hi:[1,0]
	v_pk_add_f32 v[98:99], v[98:99], v[102:103]
	s_waitcnt vmcnt(12)
	v_pk_fma_f32 v[102:103], v[120:121], v[130:131], v[100:101] op_sel:[0,0,1] op_sel_hi:[1,1,0] neg_lo:[0,0,1] neg_hi:[0,0,1]
	v_pk_fma_f32 v[100:101], v[120:121], v[130:131], v[100:101] op_sel:[0,0,1] op_sel_hi:[1,0,0]
	s_waitcnt vmcnt(11)
	v_mov_b32_e32 v100, v133
	v_mov_b32_e32 v103, v101
	s_waitcnt lgkmcnt(2)
	v_pk_mul_f32 v[100:101], v[2:3], v[100:101] op_sel_hi:[1,0]
	v_pk_add_f32 v[98:99], v[98:99], v[102:103]
	s_waitcnt vmcnt(10)
	v_pk_fma_f32 v[102:103], v[2:3], v[132:133], v[100:101] op_sel:[0,0,1] op_sel_hi:[1,1,0] neg_lo:[0,0,1] neg_hi:[0,0,1]
	v_pk_fma_f32 v[2:3], v[2:3], v[132:133], v[100:101] op_sel:[0,0,1] op_sel_hi:[1,0,0]
	v_mov_b32_e32 v103, v3
	v_pk_add_f32 v[2:3], v[98:99], v[102:103]
	s_waitcnt vmcnt(9)
	v_mov_b32_e32 v98, v135
	v_pk_mul_f32 v[98:99], v[4:5], v[98:99] op_sel_hi:[1,0]
	s_waitcnt vmcnt(8)
	v_pk_fma_f32 v[100:101], v[4:5], v[134:135], v[98:99] op_sel:[0,0,1] op_sel_hi:[1,1,0] neg_lo:[0,0,1] neg_hi:[0,0,1]
	v_pk_fma_f32 v[4:5], v[4:5], v[134:135], v[98:99] op_sel:[0,0,1] op_sel_hi:[1,0,0]
	s_waitcnt vmcnt(7)
	v_mov_b32_e32 v4, v137
	v_mov_b32_e32 v101, v5
	s_waitcnt lgkmcnt(1)
	v_pk_mul_f32 v[4:5], v[8:9], v[4:5] op_sel_hi:[1,0]
	s_waitcnt vmcnt(6)
	v_pk_fma_f32 v[98:99], v[8:9], v[136:137], v[4:5] op_sel:[0,0,1] op_sel_hi:[1,1,0] neg_lo:[0,0,1] neg_hi:[0,0,1]
	v_pk_fma_f32 v[4:5], v[8:9], v[136:137], v[4:5] op_sel:[0,0,1] op_sel_hi:[1,0,0]
	s_waitcnt vmcnt(5)
	v_mov_b32_e32 v4, v139
	v_mov_b32_e32 v99, v5
	v_pk_mul_f32 v[4:5], v[10:11], v[4:5] op_sel_hi:[1,0]
	s_waitcnt vmcnt(4)
	v_pk_fma_f32 v[8:9], v[10:11], v[138:139], v[4:5] op_sel:[0,0,1] op_sel_hi:[1,1,0] neg_lo:[0,0,1] neg_hi:[0,0,1]
	v_pk_fma_f32 v[4:5], v[10:11], v[138:139], v[4:5] op_sel:[0,0,1] op_sel_hi:[1,0,0]
	v_pk_add_f32 v[2:3], v[2:3], v[100:101]
	s_waitcnt vmcnt(3)
	v_mov_b32_e32 v4, v141
	v_pk_add_f32 v[2:3], v[2:3], v[98:99]
	v_mov_b32_e32 v9, v5
	s_waitcnt lgkmcnt(0)
	v_pk_mul_f32 v[4:5], v[12:13], v[4:5] op_sel_hi:[1,0]
	v_pk_add_f32 v[2:3], v[2:3], v[8:9]
	s_waitcnt vmcnt(2)
	v_pk_fma_f32 v[8:9], v[12:13], v[140:141], v[4:5] op_sel:[0,0,1] op_sel_hi:[1,1,0] neg_lo:[0,0,1] neg_hi:[0,0,1]
	v_pk_fma_f32 v[4:5], v[12:13], v[140:141], v[4:5] op_sel:[0,0,1] op_sel_hi:[1,0,0]
	s_waitcnt vmcnt(1)
	v_mov_b32_e32 v4, v143
	v_mov_b32_e32 v9, v5
	v_pk_mul_f32 v[4:5], v[14:15], v[4:5] op_sel_hi:[1,0]
	v_pk_add_f32 v[2:3], v[2:3], v[8:9]
	s_waitcnt vmcnt(0)
	v_pk_fma_f32 v[8:9], v[14:15], v[142:143], v[4:5] op_sel:[0,0,1] op_sel_hi:[1,1,0] neg_lo:[0,0,1] neg_hi:[0,0,1]
	v_pk_fma_f32 v[4:5], v[14:15], v[142:143], v[4:5] op_sel:[0,0,1] op_sel_hi:[1,0,0]
	v_mov_b32_e32 v9, v5
	v_pk_add_f32 v[2:3], v[2:3], v[8:9]
	v_pk_add_f32 v[2:3], v[6:7], v[2:3] neg_lo:[0,1] neg_hi:[0,1]
	buffer_store_dword v3, off, s[0:3], 0 offset:148
	buffer_store_dword v2, off, s[0:3], 0 offset:144
	s_and_saveexec_b64 s[4:5], vcc
	s_cbranch_execz .LBB40_225
; %bb.224:
	buffer_load_dword v2, off, s[0:3], 0 offset:136
	buffer_load_dword v3, off, s[0:3], 0 offset:140
	v_mov_b32_e32 v4, 0
	buffer_store_dword v4, off, s[0:3], 0 offset:136
	buffer_store_dword v4, off, s[0:3], 0 offset:140
	s_waitcnt vmcnt(2)
	ds_write_b64 v1, v[2:3]
.LBB40_225:
	s_or_b64 exec, exec, s[4:5]
	s_waitcnt lgkmcnt(0)
	; wave barrier
	s_waitcnt lgkmcnt(0)
	buffer_load_dword v3, off, s[0:3], 0 offset:148
	buffer_load_dword v134, off, s[0:3], 0 offset:156
	;; [unrolled: 1-line block ×32, first 2 shown]
	v_mov_b32_e32 v2, 0
	buffer_load_dword v121, off, s[0:3], 0 offset:292
	buffer_load_dword v120, off, s[0:3], 0 offset:288
	;; [unrolled: 1-line block ×13, first 2 shown]
	ds_read_b128 v[4:7], v2 offset:480
	ds_read_b128 v[8:11], v2 offset:496
	;; [unrolled: 1-line block ×8, first 2 shown]
	v_cmp_lt_u32_e32 vcc, 16, v0
	s_waitcnt vmcnt(44) lgkmcnt(7)
	v_mul_f32_e32 v128, v4, v3
	s_waitcnt vmcnt(43)
	v_mul_f32_e32 v135, v6, v134
	s_waitcnt vmcnt(42) lgkmcnt(6)
	v_mul_f32_e32 v136, v8, v138
	s_waitcnt vmcnt(41)
	v_mul_f32_e32 v137, v10, v140
	;; [unrolled: 4-line block ×6, first 2 shown]
	s_waitcnt vmcnt(32) lgkmcnt(1)
	v_mul_f32_e32 v174, v110, v150
	s_waitcnt vmcnt(31)
	v_fmac_f32_e32 v128, v5, v151
	s_waitcnt vmcnt(30)
	v_fmac_f32_e32 v135, v7, v152
	v_add_f32_e32 v128, 0, v128
	s_waitcnt vmcnt(29)
	v_fmac_f32_e32 v136, v9, v153
	v_add_f32_e32 v128, v128, v135
	;; [unrolled: 3-line block ×12, first 2 shown]
	v_add_f32_e32 v135, v128, v174
	buffer_load_dword v137, off, s[0:3], 0 offset:308
	buffer_load_dword v136, off, s[0:3], 0 offset:304
	;; [unrolled: 1-line block ×3, first 2 shown]
	v_mul_f32_e32 v3, v5, v3
	v_fma_f32 v3, v4, v151, -v3
	v_mul_f32_e32 v4, v7, v134
	v_add_f32_e32 v3, 0, v3
	v_fma_f32 v4, v6, v152, -v4
	v_add_f32_e32 v3, v3, v4
	v_mul_f32_e32 v4, v9, v138
	v_fma_f32 v4, v8, v153, -v4
	v_add_f32_e32 v3, v3, v4
	v_mul_f32_e32 v4, v11, v140
	;; [unrolled: 3-line block ×11, first 2 shown]
	v_fma_f32 v4, v110, v163, -v4
	s_waitcnt vmcnt(9)
	v_mov_b32_e32 v102, v127
	v_mul_f32_e32 v139, v112, v164
	v_add_f32_e32 v134, v3, v4
	v_mul_f32_e32 v3, v113, v164
	s_waitcnt lgkmcnt(0)
	v_pk_mul_f32 v[102:103], v[116:117], v[102:103] op_sel_hi:[1,0]
	v_fmac_f32_e32 v139, v113, v165
	v_mul_f32_e32 v141, v114, v166
	v_fma_f32 v138, v112, v165, -v3
	v_mul_f32_e32 v3, v115, v166
	ds_read_b128 v[4:7], v2 offset:608
	ds_read_b128 v[8:11], v2 offset:624
	;; [unrolled: 1-line block ×3, first 2 shown]
	ds_read_b64 v[98:99], v2 offset:656
	s_waitcnt vmcnt(8)
	v_pk_fma_f32 v[104:105], v[116:117], v[126:127], v[102:103] op_sel:[0,0,1] op_sel_hi:[1,1,0] neg_lo:[0,0,1] neg_hi:[0,0,1]
	v_pk_fma_f32 v[102:103], v[116:117], v[126:127], v[102:103] op_sel:[0,0,1] op_sel_hi:[1,0,0]
	v_fmac_f32_e32 v141, v115, v167
	v_fma_f32 v140, v114, v167, -v3
	v_pk_add_f32 v[100:101], v[134:135], v[138:139]
	v_mov_b32_e32 v102, v125
	v_pk_add_f32 v[100:101], v[100:101], v[140:141]
	v_mov_b32_e32 v105, v103
	s_waitcnt lgkmcnt(3)
	v_pk_mul_f32 v[102:103], v[4:5], v[102:103] op_sel_hi:[1,0]
	v_pk_add_f32 v[100:101], v[100:101], v[104:105]
	v_pk_fma_f32 v[104:105], v[4:5], v[124:125], v[102:103] op_sel:[0,0,1] op_sel_hi:[1,1,0] neg_lo:[0,0,1] neg_hi:[0,0,1]
	v_pk_fma_f32 v[4:5], v[4:5], v[124:125], v[102:103] op_sel:[0,0,1] op_sel_hi:[1,0,0]
	v_mov_b32_e32 v105, v5
	v_pk_add_f32 v[4:5], v[100:101], v[104:105]
	v_mov_b32_e32 v100, v123
	v_pk_mul_f32 v[100:101], v[6:7], v[100:101] op_sel_hi:[1,0]
	v_pk_fma_f32 v[102:103], v[6:7], v[122:123], v[100:101] op_sel:[0,0,1] op_sel_hi:[1,1,0] neg_lo:[0,0,1] neg_hi:[0,0,1]
	v_pk_fma_f32 v[6:7], v[6:7], v[122:123], v[100:101] op_sel:[0,0,1] op_sel_hi:[1,0,0]
	v_mov_b32_e32 v6, v121
	v_mov_b32_e32 v103, v7
	s_waitcnt lgkmcnt(2)
	v_pk_mul_f32 v[6:7], v[8:9], v[6:7] op_sel_hi:[1,0]
	v_pk_fma_f32 v[100:101], v[8:9], v[120:121], v[6:7] op_sel:[0,0,1] op_sel_hi:[1,1,0] neg_lo:[0,0,1] neg_hi:[0,0,1]
	v_pk_fma_f32 v[6:7], v[8:9], v[120:121], v[6:7] op_sel:[0,0,1] op_sel_hi:[1,0,0]
	s_waitcnt vmcnt(7)
	v_mov_b32_e32 v6, v129
	v_mov_b32_e32 v101, v7
	v_pk_mul_f32 v[6:7], v[10:11], v[6:7] op_sel_hi:[1,0]
	v_pk_add_f32 v[4:5], v[4:5], v[102:103]
	v_pk_add_f32 v[4:5], v[4:5], v[100:101]
	s_waitcnt vmcnt(0)
	v_pk_fma_f32 v[8:9], v[10:11], v[128:129], v[6:7] op_sel:[0,0,1] op_sel_hi:[1,1,0] neg_lo:[0,0,1] neg_hi:[0,0,1]
	v_pk_fma_f32 v[6:7], v[10:11], v[128:129], v[6:7] op_sel:[0,0,1] op_sel_hi:[1,0,0]
	v_mov_b32_e32 v6, v137
	v_mov_b32_e32 v9, v7
	s_waitcnt lgkmcnt(1)
	v_pk_mul_f32 v[6:7], v[12:13], v[6:7] op_sel_hi:[1,0]
	v_pk_add_f32 v[4:5], v[4:5], v[8:9]
	v_pk_fma_f32 v[8:9], v[12:13], v[136:137], v[6:7] op_sel:[0,0,1] op_sel_hi:[1,1,0] neg_lo:[0,0,1] neg_hi:[0,0,1]
	v_pk_fma_f32 v[6:7], v[12:13], v[136:137], v[6:7] op_sel:[0,0,1] op_sel_hi:[1,0,0]
	v_mov_b32_e32 v6, v133
	v_mov_b32_e32 v9, v7
	v_pk_mul_f32 v[6:7], v[14:15], v[6:7] op_sel_hi:[1,0]
	v_pk_add_f32 v[4:5], v[4:5], v[8:9]
	v_pk_fma_f32 v[8:9], v[14:15], v[132:133], v[6:7] op_sel:[0,0,1] op_sel_hi:[1,1,0] neg_lo:[0,0,1] neg_hi:[0,0,1]
	v_pk_fma_f32 v[6:7], v[14:15], v[132:133], v[6:7] op_sel:[0,0,1] op_sel_hi:[1,0,0]
	v_mov_b32_e32 v6, v131
	v_mov_b32_e32 v9, v7
	s_waitcnt lgkmcnt(0)
	v_pk_mul_f32 v[6:7], v[98:99], v[6:7] op_sel_hi:[1,0]
	v_pk_add_f32 v[4:5], v[4:5], v[8:9]
	v_pk_fma_f32 v[8:9], v[98:99], v[130:131], v[6:7] op_sel:[0,0,1] op_sel_hi:[1,1,0] neg_lo:[0,0,1] neg_hi:[0,0,1]
	v_pk_fma_f32 v[6:7], v[98:99], v[130:131], v[6:7] op_sel:[0,0,1] op_sel_hi:[1,0,0]
	v_mov_b32_e32 v9, v7
	v_pk_add_f32 v[4:5], v[4:5], v[8:9]
	v_pk_add_f32 v[4:5], v[118:119], v[4:5] neg_lo:[0,1] neg_hi:[0,1]
	buffer_store_dword v5, off, s[0:3], 0 offset:140
	buffer_store_dword v4, off, s[0:3], 0 offset:136
	s_and_saveexec_b64 s[4:5], vcc
	s_cbranch_execz .LBB40_227
; %bb.226:
	buffer_load_dword v4, off, s[0:3], 0 offset:128
	buffer_load_dword v5, off, s[0:3], 0 offset:132
	s_waitcnt vmcnt(0)
	ds_write_b64 v1, v[4:5]
	buffer_store_dword v2, off, s[0:3], 0 offset:128
	buffer_store_dword v2, off, s[0:3], 0 offset:132
.LBB40_227:
	s_or_b64 exec, exec, s[4:5]
	s_waitcnt lgkmcnt(0)
	; wave barrier
	s_waitcnt lgkmcnt(0)
	buffer_load_dword v3, off, s[0:3], 0 offset:140
	buffer_load_dword v134, off, s[0:3], 0 offset:148
	;; [unrolled: 1-line block ×34, first 2 shown]
	ds_read2_b64 v[4:7], v2 offset0:59 offset1:60
	ds_read2_b64 v[8:11], v2 offset0:61 offset1:62
	;; [unrolled: 1-line block ×8, first 2 shown]
	buffer_load_dword v121, off, s[0:3], 0 offset:284
	buffer_load_dword v120, off, s[0:3], 0 offset:280
	;; [unrolled: 1-line block ×9, first 2 shown]
	v_cmp_lt_u32_e32 vcc, 15, v0
	s_waitcnt vmcnt(42) lgkmcnt(7)
	v_mul_f32_e32 v126, v4, v3
	s_waitcnt vmcnt(41)
	v_mul_f32_e32 v130, v6, v134
	s_waitcnt vmcnt(40) lgkmcnt(6)
	v_mul_f32_e32 v131, v8, v136
	s_waitcnt vmcnt(39)
	v_mul_f32_e32 v132, v10, v138
	;; [unrolled: 4-line block ×6, first 2 shown]
	s_waitcnt vmcnt(30) lgkmcnt(1)
	v_mul_f32_e32 v172, v110, v150
	v_mul_f32_e32 v3, v5, v3
	s_waitcnt vmcnt(28)
	v_fmac_f32_e32 v126, v5, v152
	s_waitcnt vmcnt(27)
	v_fmac_f32_e32 v130, v7, v153
	v_add_f32_e32 v126, 0, v126
	s_waitcnt vmcnt(26)
	v_fmac_f32_e32 v131, v9, v154
	v_add_f32_e32 v126, v126, v130
	;; [unrolled: 3-line block ×12, first 2 shown]
	v_add_f32_e32 v135, v126, v172
	buffer_load_dword v131, off, s[0:3], 0 offset:308
	buffer_load_dword v130, off, s[0:3], 0 offset:304
	;; [unrolled: 1-line block ×7, first 2 shown]
	v_fma_f32 v3, v4, v152, -v3
	v_mul_f32_e32 v4, v7, v134
	v_add_f32_e32 v3, 0, v3
	v_fma_f32 v4, v6, v153, -v4
	v_add_f32_e32 v3, v3, v4
	v_mul_f32_e32 v4, v9, v136
	v_fma_f32 v4, v8, v154, -v4
	v_add_f32_e32 v3, v3, v4
	v_mul_f32_e32 v4, v11, v138
	;; [unrolled: 3-line block ×12, first 2 shown]
	s_waitcnt vmcnt(22)
	v_fma_f32 v4, v112, v165, -v4
	v_add_f32_e32 v134, v3, v4
	ds_read2_b64 v[4:7], v2 offset0:75 offset1:76
	ds_read2_b64 v[8:11], v2 offset0:77 offset1:78
	;; [unrolled: 1-line block ×4, first 2 shown]
	s_waitcnt vmcnt(11)
	v_mov_b32_e32 v102, v125
	s_waitcnt lgkmcnt(3)
	v_pk_mul_f32 v[102:103], v[4:5], v[102:103] op_sel_hi:[1,0]
	s_waitcnt vmcnt(10)
	v_pk_fma_f32 v[104:105], v[4:5], v[124:125], v[102:103] op_sel:[0,0,1] op_sel_hi:[1,1,0] neg_lo:[0,0,1] neg_hi:[0,0,1]
	v_pk_fma_f32 v[4:5], v[4:5], v[124:125], v[102:103] op_sel:[0,0,1] op_sel_hi:[1,0,0]
	v_mov_b32_e32 v4, v123
	v_mul_f32_e32 v173, v112, v151
	v_mov_b32_e32 v105, v5
	v_pk_mul_f32 v[4:5], v[6:7], v[4:5] op_sel_hi:[1,0]
	v_fmac_f32_e32 v173, v113, v165
	v_mul_f32_e32 v137, v114, v166
	v_mul_f32_e32 v3, v115, v166
	v_pk_fma_f32 v[102:103], v[6:7], v[122:123], v[4:5] op_sel:[0,0,1] op_sel_hi:[1,1,0] neg_lo:[0,0,1] neg_hi:[0,0,1]
	v_pk_fma_f32 v[4:5], v[6:7], v[122:123], v[4:5] op_sel:[0,0,1] op_sel_hi:[1,0,0]
	v_add_f32_e32 v135, v135, v173
	v_fmac_f32_e32 v137, v115, v167
	v_mul_f32_e32 v139, v116, v168
	v_fma_f32 v136, v114, v167, -v3
	v_mul_f32_e32 v3, v117, v168
	v_mov_b32_e32 v4, v121
	v_fmac_f32_e32 v139, v117, v169
	v_fma_f32 v138, v116, v169, -v3
	v_pk_add_f32 v[2:3], v[134:135], v[136:137]
	v_mov_b32_e32 v103, v5
	s_waitcnt lgkmcnt(2)
	v_pk_mul_f32 v[4:5], v[8:9], v[4:5] op_sel_hi:[1,0]
	v_pk_add_f32 v[2:3], v[2:3], v[138:139]
	v_pk_fma_f32 v[6:7], v[8:9], v[120:121], v[4:5] op_sel:[0,0,1] op_sel_hi:[1,1,0] neg_lo:[0,0,1] neg_hi:[0,0,1]
	v_pk_fma_f32 v[4:5], v[8:9], v[120:121], v[4:5] op_sel:[0,0,1] op_sel_hi:[1,0,0]
	v_pk_add_f32 v[2:3], v[2:3], v[104:105]
	s_waitcnt vmcnt(9)
	v_mov_b32_e32 v4, v127
	v_pk_add_f32 v[2:3], v[2:3], v[102:103]
	v_mov_b32_e32 v7, v5
	v_pk_mul_f32 v[4:5], v[10:11], v[4:5] op_sel_hi:[1,0]
	v_pk_add_f32 v[2:3], v[2:3], v[6:7]
	s_waitcnt vmcnt(2)
	v_pk_fma_f32 v[6:7], v[10:11], v[126:127], v[4:5] op_sel:[0,0,1] op_sel_hi:[1,1,0] neg_lo:[0,0,1] neg_hi:[0,0,1]
	v_pk_fma_f32 v[4:5], v[10:11], v[126:127], v[4:5] op_sel:[0,0,1] op_sel_hi:[1,0,0]
	v_mov_b32_e32 v4, v133
	v_mov_b32_e32 v7, v5
	s_waitcnt lgkmcnt(1)
	v_pk_mul_f32 v[4:5], v[12:13], v[4:5] op_sel_hi:[1,0]
	v_pk_add_f32 v[2:3], v[2:3], v[6:7]
	v_pk_fma_f32 v[6:7], v[12:13], v[132:133], v[4:5] op_sel:[0,0,1] op_sel_hi:[1,1,0] neg_lo:[0,0,1] neg_hi:[0,0,1]
	v_pk_fma_f32 v[4:5], v[12:13], v[132:133], v[4:5] op_sel:[0,0,1] op_sel_hi:[1,0,0]
	v_mov_b32_e32 v4, v131
	v_mov_b32_e32 v7, v5
	v_pk_mul_f32 v[4:5], v[14:15], v[4:5] op_sel_hi:[1,0]
	v_pk_add_f32 v[2:3], v[2:3], v[6:7]
	v_pk_fma_f32 v[6:7], v[14:15], v[130:131], v[4:5] op_sel:[0,0,1] op_sel_hi:[1,1,0] neg_lo:[0,0,1] neg_hi:[0,0,1]
	v_pk_fma_f32 v[4:5], v[14:15], v[130:131], v[4:5] op_sel:[0,0,1] op_sel_hi:[1,0,0]
	v_mov_b32_e32 v4, v129
	v_mov_b32_e32 v7, v5
	s_waitcnt lgkmcnt(0)
	v_pk_mul_f32 v[4:5], v[98:99], v[4:5] op_sel_hi:[1,0]
	v_pk_add_f32 v[2:3], v[2:3], v[6:7]
	v_pk_fma_f32 v[6:7], v[98:99], v[128:129], v[4:5] op_sel:[0,0,1] op_sel_hi:[1,1,0] neg_lo:[0,0,1] neg_hi:[0,0,1]
	v_pk_fma_f32 v[4:5], v[98:99], v[128:129], v[4:5] op_sel:[0,0,1] op_sel_hi:[1,0,0]
	s_waitcnt vmcnt(1)
	v_mov_b32_e32 v4, v141
	v_mov_b32_e32 v7, v5
	v_pk_mul_f32 v[4:5], v[100:101], v[4:5] op_sel_hi:[1,0]
	v_pk_add_f32 v[2:3], v[2:3], v[6:7]
	s_waitcnt vmcnt(0)
	v_pk_fma_f32 v[6:7], v[100:101], v[140:141], v[4:5] op_sel:[0,0,1] op_sel_hi:[1,1,0] neg_lo:[0,0,1] neg_hi:[0,0,1]
	v_pk_fma_f32 v[4:5], v[100:101], v[140:141], v[4:5] op_sel:[0,0,1] op_sel_hi:[1,0,0]
	v_mov_b32_e32 v7, v5
	v_pk_add_f32 v[2:3], v[2:3], v[6:7]
	v_pk_add_f32 v[2:3], v[118:119], v[2:3] neg_lo:[0,1] neg_hi:[0,1]
	buffer_store_dword v3, off, s[0:3], 0 offset:132
	buffer_store_dword v2, off, s[0:3], 0 offset:128
	s_and_saveexec_b64 s[4:5], vcc
	s_cbranch_execz .LBB40_229
; %bb.228:
	buffer_load_dword v2, off, s[0:3], 0 offset:120
	buffer_load_dword v3, off, s[0:3], 0 offset:124
	v_mov_b32_e32 v4, 0
	buffer_store_dword v4, off, s[0:3], 0 offset:120
	buffer_store_dword v4, off, s[0:3], 0 offset:124
	s_waitcnt vmcnt(2)
	ds_write_b64 v1, v[2:3]
.LBB40_229:
	s_or_b64 exec, exec, s[4:5]
	s_waitcnt lgkmcnt(0)
	; wave barrier
	s_waitcnt lgkmcnt(0)
	buffer_load_dword v5, off, s[0:3], 0 offset:132
	buffer_load_dword v140, off, s[0:3], 0 offset:140
	;; [unrolled: 1-line block ×36, first 2 shown]
	v_mov_b32_e32 v4, 0
	buffer_load_dword v15, off, s[0:3], 0 offset:276
	buffer_load_dword v14, off, s[0:3], 0 offset:272
	;; [unrolled: 1-line block ×5, first 2 shown]
	ds_read_b128 v[6:9], v4 offset:464
	ds_read_b128 v[10:13], v4 offset:480
	;; [unrolled: 1-line block ×8, first 2 shown]
	v_cmp_lt_u32_e32 vcc, 14, v0
	s_waitcnt vmcnt(40) lgkmcnt(7)
	v_mul_f32_e32 v122, v6, v5
	s_waitcnt vmcnt(39)
	v_mul_f32_e32 v123, v8, v140
	s_waitcnt vmcnt(38) lgkmcnt(6)
	v_mul_f32_e32 v124, v10, v142
	s_waitcnt vmcnt(37)
	v_mul_f32_e32 v125, v12, v144
	;; [unrolled: 4-line block ×7, first 2 shown]
	s_waitcnt vmcnt(26) lgkmcnt(0)
	v_mul_f32_e32 v141, v118, v160
	s_waitcnt vmcnt(25)
	v_fmac_f32_e32 v122, v7, v161
	s_waitcnt vmcnt(24)
	v_fmac_f32_e32 v123, v9, v162
	v_add_f32_e32 v122, 0, v122
	s_waitcnt vmcnt(23)
	v_fmac_f32_e32 v124, v11, v163
	v_add_f32_e32 v122, v122, v123
	;; [unrolled: 3-line block ×13, first 2 shown]
	v_add_f32_e32 v126, v122, v138
	buffer_load_dword v135, off, s[0:3], 0 offset:308
	buffer_load_dword v134, off, s[0:3], 0 offset:304
	;; [unrolled: 1-line block ×7, first 2 shown]
	s_waitcnt vmcnt(18)
	v_fmac_f32_e32 v141, v119, v175
	ds_read_b128 v[122:125], v4 offset:592
	v_add_f32_e32 v141, v126, v141
	ds_read_b128 v[126:129], v4 offset:608
	buffer_load_dword v147, off, s[0:3], 0 offset:324
	buffer_load_dword v146, off, s[0:3], 0 offset:320
	;; [unrolled: 1-line block ×4, first 2 shown]
	v_mul_f32_e32 v5, v7, v5
	v_fma_f32 v5, v6, v161, -v5
	v_mul_f32_e32 v6, v9, v140
	v_add_f32_e32 v5, 0, v5
	v_fma_f32 v6, v8, v162, -v6
	v_add_f32_e32 v5, v5, v6
	v_mul_f32_e32 v6, v11, v142
	v_fma_f32 v6, v10, v163, -v6
	v_add_f32_e32 v5, v5, v6
	v_mul_f32_e32 v6, v13, v144
	;; [unrolled: 3-line block ×13, first 2 shown]
	v_fma_f32 v6, v118, v175, -v6
	s_waitcnt vmcnt(13)
	v_mov_b32_e32 v102, v131
	v_mul_f32_e32 v143, v120, v176
	v_add_f32_e32 v140, v5, v6
	v_mul_f32_e32 v5, v121, v176
	s_waitcnt lgkmcnt(1)
	v_pk_mul_f32 v[102:103], v[124:125], v[102:103] op_sel_hi:[1,0]
	v_fmac_f32_e32 v143, v121, v177
	v_mul_f32_e32 v145, v122, v178
	v_fma_f32 v142, v120, v177, -v5
	v_mul_f32_e32 v5, v123, v178
	s_waitcnt vmcnt(12)
	v_pk_fma_f32 v[104:105], v[124:125], v[130:131], v[102:103] op_sel:[0,0,1] op_sel_hi:[1,1,0] neg_lo:[0,0,1] neg_hi:[0,0,1]
	v_pk_fma_f32 v[102:103], v[124:125], v[130:131], v[102:103] op_sel:[0,0,1] op_sel_hi:[1,0,0]
	v_fmac_f32_e32 v145, v123, v179
	v_fma_f32 v144, v122, v179, -v5
	v_pk_add_f32 v[100:101], v[140:141], v[142:143]
	v_mov_b32_e32 v102, v15
	v_pk_add_f32 v[100:101], v[100:101], v[144:145]
	v_mov_b32_e32 v105, v103
	s_waitcnt lgkmcnt(0)
	v_pk_mul_f32 v[102:103], v[126:127], v[102:103] op_sel_hi:[1,0]
	v_pk_add_f32 v[100:101], v[100:101], v[104:105]
	v_pk_fma_f32 v[104:105], v[126:127], v[14:15], v[102:103] op_sel:[0,0,1] op_sel_hi:[1,1,0] neg_lo:[0,0,1] neg_hi:[0,0,1]
	v_pk_fma_f32 v[14:15], v[126:127], v[14:15], v[102:103] op_sel:[0,0,1] op_sel_hi:[1,0,0]
	v_mov_b32_e32 v105, v15
	v_pk_add_f32 v[14:15], v[100:101], v[104:105]
	s_waitcnt vmcnt(11)
	v_mov_b32_e32 v100, v133
	ds_read_b128 v[6:9], v4 offset:624
	ds_read_b128 v[10:13], v4 offset:640
	ds_read_b64 v[98:99], v4 offset:656
	v_pk_mul_f32 v[100:101], v[128:129], v[100:101] op_sel_hi:[1,0]
	s_waitcnt vmcnt(4)
	v_pk_fma_f32 v[102:103], v[128:129], v[132:133], v[100:101] op_sel:[0,0,1] op_sel_hi:[1,1,0] neg_lo:[0,0,1] neg_hi:[0,0,1]
	v_pk_fma_f32 v[100:101], v[128:129], v[132:133], v[100:101] op_sel:[0,0,1] op_sel_hi:[1,0,0]
	v_mov_b32_e32 v100, v139
	v_mov_b32_e32 v103, v101
	s_waitcnt lgkmcnt(2)
	v_pk_mul_f32 v[100:101], v[6:7], v[100:101] op_sel_hi:[1,0]
	v_pk_add_f32 v[14:15], v[14:15], v[102:103]
	v_pk_fma_f32 v[102:103], v[6:7], v[138:139], v[100:101] op_sel:[0,0,1] op_sel_hi:[1,1,0] neg_lo:[0,0,1] neg_hi:[0,0,1]
	v_pk_fma_f32 v[6:7], v[6:7], v[138:139], v[100:101] op_sel:[0,0,1] op_sel_hi:[1,0,0]
	v_mov_b32_e32 v103, v7
	v_pk_add_f32 v[6:7], v[14:15], v[102:103]
	v_mov_b32_e32 v14, v137
	v_pk_mul_f32 v[14:15], v[8:9], v[14:15] op_sel_hi:[1,0]
	v_pk_fma_f32 v[100:101], v[8:9], v[136:137], v[14:15] op_sel:[0,0,1] op_sel_hi:[1,1,0] neg_lo:[0,0,1] neg_hi:[0,0,1]
	v_pk_fma_f32 v[8:9], v[8:9], v[136:137], v[14:15] op_sel:[0,0,1] op_sel_hi:[1,0,0]
	v_mov_b32_e32 v8, v135
	v_mov_b32_e32 v101, v9
	s_waitcnt lgkmcnt(1)
	v_pk_mul_f32 v[8:9], v[10:11], v[8:9] op_sel_hi:[1,0]
	v_pk_fma_f32 v[14:15], v[10:11], v[134:135], v[8:9] op_sel:[0,0,1] op_sel_hi:[1,1,0] neg_lo:[0,0,1] neg_hi:[0,0,1]
	v_pk_fma_f32 v[8:9], v[10:11], v[134:135], v[8:9] op_sel:[0,0,1] op_sel_hi:[1,0,0]
	s_waitcnt vmcnt(1)
	v_mov_b32_e32 v8, v149
	v_mov_b32_e32 v15, v9
	v_pk_mul_f32 v[8:9], v[12:13], v[8:9] op_sel_hi:[1,0]
	s_waitcnt vmcnt(0)
	v_pk_fma_f32 v[10:11], v[12:13], v[148:149], v[8:9] op_sel:[0,0,1] op_sel_hi:[1,1,0] neg_lo:[0,0,1] neg_hi:[0,0,1]
	v_pk_fma_f32 v[8:9], v[12:13], v[148:149], v[8:9] op_sel:[0,0,1] op_sel_hi:[1,0,0]
	v_pk_add_f32 v[6:7], v[6:7], v[100:101]
	v_mov_b32_e32 v8, v147
	v_pk_add_f32 v[6:7], v[6:7], v[14:15]
	v_mov_b32_e32 v11, v9
	s_waitcnt lgkmcnt(0)
	v_pk_mul_f32 v[8:9], v[98:99], v[8:9] op_sel_hi:[1,0]
	v_pk_add_f32 v[6:7], v[6:7], v[10:11]
	v_pk_fma_f32 v[10:11], v[98:99], v[146:147], v[8:9] op_sel:[0,0,1] op_sel_hi:[1,1,0] neg_lo:[0,0,1] neg_hi:[0,0,1]
	v_pk_fma_f32 v[8:9], v[98:99], v[146:147], v[8:9] op_sel:[0,0,1] op_sel_hi:[1,0,0]
	v_mov_b32_e32 v11, v9
	v_pk_add_f32 v[6:7], v[6:7], v[10:11]
	v_pk_add_f32 v[2:3], v[2:3], v[6:7] neg_lo:[0,1] neg_hi:[0,1]
	buffer_store_dword v3, off, s[0:3], 0 offset:124
	buffer_store_dword v2, off, s[0:3], 0 offset:120
	s_and_saveexec_b64 s[4:5], vcc
	s_cbranch_execz .LBB40_231
; %bb.230:
	buffer_load_dword v2, off, s[0:3], 0 offset:112
	buffer_load_dword v3, off, s[0:3], 0 offset:116
	s_waitcnt vmcnt(0)
	ds_write_b64 v1, v[2:3]
	buffer_store_dword v4, off, s[0:3], 0 offset:112
	buffer_store_dword v4, off, s[0:3], 0 offset:116
.LBB40_231:
	s_or_b64 exec, exec, s[4:5]
	s_waitcnt lgkmcnt(0)
	; wave barrier
	s_waitcnt lgkmcnt(0)
	buffer_load_dword v2, off, s[0:3], 0 offset:124
	buffer_load_dword v3, off, s[0:3], 0 offset:132
	;; [unrolled: 1-line block ×38, first 2 shown]
	ds_read2_b64 v[6:9], v4 offset0:57 offset1:58
	ds_read2_b64 v[10:13], v4 offset0:59 offset1:60
	;; [unrolled: 1-line block ×8, first 2 shown]
	buffer_load_dword v131, off, s[0:3], 0 offset:268
	buffer_load_dword v130, off, s[0:3], 0 offset:264
	;; [unrolled: 1-line block ×4, first 2 shown]
	v_cmp_lt_u32_e32 vcc, 13, v0
	s_waitcnt vmcnt(41) lgkmcnt(7)
	v_mul_f32_e32 v122, v6, v2
	s_waitcnt vmcnt(40)
	v_mul_f32_e32 v123, v8, v3
	s_waitcnt vmcnt(39) lgkmcnt(6)
	v_mul_f32_e32 v124, v10, v5
	s_waitcnt vmcnt(38)
	v_mul_f32_e32 v125, v12, v140
	s_waitcnt vmcnt(37) lgkmcnt(5)
	v_mul_f32_e32 v126, v98, v142
	s_waitcnt vmcnt(36)
	v_mul_f32_e32 v127, v100, v144
	s_waitcnt vmcnt(35) lgkmcnt(4)
	v_mul_f32_e32 v128, v102, v152
	s_waitcnt vmcnt(34)
	v_mul_f32_e32 v129, v104, v153
	s_waitcnt vmcnt(33) lgkmcnt(3)
	v_mul_f32_e32 v134, v106, v154
	s_waitcnt vmcnt(32)
	v_mul_f32_e32 v135, v108, v155
	s_waitcnt vmcnt(31) lgkmcnt(2)
	v_mul_f32_e32 v136, v110, v156
	s_waitcnt vmcnt(30)
	v_mul_f32_e32 v137, v112, v157
	s_waitcnt vmcnt(29) lgkmcnt(1)
	v_mul_f32_e32 v138, v114, v158
	s_waitcnt vmcnt(28)
	v_mul_f32_e32 v139, v116, v159
	s_waitcnt vmcnt(27) lgkmcnt(0)
	v_mul_f32_e32 v141, v118, v160
	s_waitcnt vmcnt(26)
	v_fmac_f32_e32 v122, v7, v161
	s_waitcnt vmcnt(25)
	v_fmac_f32_e32 v123, v9, v162
	v_add_f32_e32 v122, 0, v122
	s_waitcnt vmcnt(24)
	v_fmac_f32_e32 v124, v11, v163
	v_add_f32_e32 v122, v122, v123
	;; [unrolled: 3-line block ×13, first 2 shown]
	v_add_f32_e32 v122, v122, v139
	buffer_load_dword v135, off, s[0:3], 0 offset:292
	buffer_load_dword v134, off, s[0:3], 0 offset:288
	;; [unrolled: 1-line block ×6, first 2 shown]
	s_waitcnt vmcnt(18)
	v_fmac_f32_e32 v141, v119, v175
	s_waitcnt vmcnt(17)
	v_mul_f32_e32 v127, v120, v176
	v_add_f32_e32 v126, v122, v141
	s_waitcnt vmcnt(16)
	v_fmac_f32_e32 v127, v121, v177
	ds_read2_b64 v[122:125], v4 offset0:73 offset1:74
	v_add_f32_e32 v141, v126, v127
	ds_read2_b64 v[126:129], v4 offset0:75 offset1:76
	buffer_load_dword v147, off, s[0:3], 0 offset:324
	buffer_load_dword v146, off, s[0:3], 0 offset:320
	;; [unrolled: 1-line block ×6, first 2 shown]
	v_mul_f32_e32 v2, v7, v2
	v_fma_f32 v2, v6, v161, -v2
	v_mul_f32_e32 v3, v9, v3
	v_add_f32_e32 v2, 0, v2
	v_fma_f32 v3, v8, v162, -v3
	v_add_f32_e32 v2, v2, v3
	v_mul_f32_e32 v3, v11, v5
	v_fma_f32 v3, v10, v163, -v3
	v_add_f32_e32 v2, v2, v3
	v_mul_f32_e32 v3, v13, v140
	;; [unrolled: 3-line block ×14, first 2 shown]
	v_fma_f32 v3, v120, v177, -v3
	s_waitcnt vmcnt(15)
	v_mov_b32_e32 v100, v131
	s_waitcnt lgkmcnt(1)
	v_mul_f32_e32 v143, v122, v178
	v_add_f32_e32 v140, v2, v3
	v_mul_f32_e32 v2, v123, v178
	s_waitcnt lgkmcnt(0)
	v_pk_mul_f32 v[100:101], v[126:127], v[100:101] op_sel_hi:[1,0]
	v_fmac_f32_e32 v143, v123, v179
	v_mul_f32_e32 v145, v124, v180
	v_fma_f32 v142, v122, v179, -v2
	v_mul_f32_e32 v2, v125, v180
	s_waitcnt vmcnt(14)
	v_pk_fma_f32 v[102:103], v[126:127], v[130:131], v[100:101] op_sel:[0,0,1] op_sel_hi:[1,1,0] neg_lo:[0,0,1] neg_hi:[0,0,1]
	v_pk_fma_f32 v[100:101], v[126:127], v[130:131], v[100:101] op_sel:[0,0,1] op_sel_hi:[1,0,0]
	v_fmac_f32_e32 v145, v125, v181
	v_fma_f32 v144, v124, v181, -v2
	v_pk_add_f32 v[98:99], v[140:141], v[142:143]
	ds_read2_b64 v[6:9], v4 offset0:77 offset1:78
	ds_read2_b64 v[10:13], v4 offset0:79 offset1:80
	;; [unrolled: 1-line block ×3, first 2 shown]
	v_pk_add_f32 v[98:99], v[98:99], v[144:145]
	v_mov_b32_e32 v103, v101
	v_pk_add_f32 v[98:99], v[98:99], v[102:103]
	s_waitcnt vmcnt(7)
	v_mov_b32_e32 v100, v139
	v_pk_mul_f32 v[100:101], v[128:129], v[100:101] op_sel_hi:[1,0]
	s_waitcnt vmcnt(6)
	v_pk_fma_f32 v[102:103], v[128:129], v[138:139], v[100:101] op_sel:[0,0,1] op_sel_hi:[1,1,0] neg_lo:[0,0,1] neg_hi:[0,0,1]
	v_pk_fma_f32 v[100:101], v[128:129], v[138:139], v[100:101] op_sel:[0,0,1] op_sel_hi:[1,0,0]
	v_mov_b32_e32 v100, v137
	v_mov_b32_e32 v103, v101
	s_waitcnt lgkmcnt(2)
	v_pk_mul_f32 v[100:101], v[6:7], v[100:101] op_sel_hi:[1,0]
	v_pk_add_f32 v[98:99], v[98:99], v[102:103]
	v_pk_fma_f32 v[102:103], v[6:7], v[136:137], v[100:101] op_sel:[0,0,1] op_sel_hi:[1,1,0] neg_lo:[0,0,1] neg_hi:[0,0,1]
	v_pk_fma_f32 v[6:7], v[6:7], v[136:137], v[100:101] op_sel:[0,0,1] op_sel_hi:[1,0,0]
	v_mov_b32_e32 v103, v7
	v_pk_add_f32 v[6:7], v[98:99], v[102:103]
	v_mov_b32_e32 v98, v135
	v_pk_mul_f32 v[98:99], v[8:9], v[98:99] op_sel_hi:[1,0]
	v_pk_fma_f32 v[100:101], v[8:9], v[134:135], v[98:99] op_sel:[0,0,1] op_sel_hi:[1,1,0] neg_lo:[0,0,1] neg_hi:[0,0,1]
	v_pk_fma_f32 v[8:9], v[8:9], v[134:135], v[98:99] op_sel:[0,0,1] op_sel_hi:[1,0,0]
	v_mov_b32_e32 v8, v133
	v_mov_b32_e32 v101, v9
	s_waitcnt lgkmcnt(1)
	v_pk_mul_f32 v[8:9], v[10:11], v[8:9] op_sel_hi:[1,0]
	v_pk_fma_f32 v[98:99], v[10:11], v[132:133], v[8:9] op_sel:[0,0,1] op_sel_hi:[1,1,0] neg_lo:[0,0,1] neg_hi:[0,0,1]
	v_pk_fma_f32 v[8:9], v[10:11], v[132:133], v[8:9] op_sel:[0,0,1] op_sel_hi:[1,0,0]
	s_waitcnt vmcnt(1)
	v_mov_b32_e32 v8, v151
	v_mov_b32_e32 v99, v9
	v_pk_mul_f32 v[8:9], v[12:13], v[8:9] op_sel_hi:[1,0]
	s_waitcnt vmcnt(0)
	v_pk_fma_f32 v[10:11], v[12:13], v[150:151], v[8:9] op_sel:[0,0,1] op_sel_hi:[1,1,0] neg_lo:[0,0,1] neg_hi:[0,0,1]
	v_pk_fma_f32 v[8:9], v[12:13], v[150:151], v[8:9] op_sel:[0,0,1] op_sel_hi:[1,0,0]
	v_pk_add_f32 v[6:7], v[6:7], v[100:101]
	v_mov_b32_e32 v8, v149
	v_pk_add_f32 v[6:7], v[6:7], v[98:99]
	v_mov_b32_e32 v11, v9
	s_waitcnt lgkmcnt(0)
	v_pk_mul_f32 v[8:9], v[2:3], v[8:9] op_sel_hi:[1,0]
	v_pk_add_f32 v[6:7], v[6:7], v[10:11]
	v_pk_fma_f32 v[10:11], v[2:3], v[148:149], v[8:9] op_sel:[0,0,1] op_sel_hi:[1,1,0] neg_lo:[0,0,1] neg_hi:[0,0,1]
	v_pk_fma_f32 v[2:3], v[2:3], v[148:149], v[8:9] op_sel:[0,0,1] op_sel_hi:[1,0,0]
	v_mov_b32_e32 v11, v3
	v_pk_add_f32 v[2:3], v[6:7], v[10:11]
	v_mov_b32_e32 v6, v147
	v_pk_mul_f32 v[6:7], v[4:5], v[6:7] op_sel_hi:[1,0]
	v_pk_fma_f32 v[8:9], v[4:5], v[146:147], v[6:7] op_sel:[0,0,1] op_sel_hi:[1,1,0] neg_lo:[0,0,1] neg_hi:[0,0,1]
	v_pk_fma_f32 v[4:5], v[4:5], v[146:147], v[6:7] op_sel:[0,0,1] op_sel_hi:[1,0,0]
	v_mov_b32_e32 v9, v5
	v_pk_add_f32 v[2:3], v[2:3], v[8:9]
	v_pk_add_f32 v[2:3], v[14:15], v[2:3] neg_lo:[0,1] neg_hi:[0,1]
	buffer_store_dword v3, off, s[0:3], 0 offset:116
	buffer_store_dword v2, off, s[0:3], 0 offset:112
	s_and_saveexec_b64 s[4:5], vcc
	s_cbranch_execz .LBB40_233
; %bb.232:
	buffer_load_dword v2, off, s[0:3], 0 offset:104
	buffer_load_dword v3, off, s[0:3], 0 offset:108
	v_mov_b32_e32 v4, 0
	buffer_store_dword v4, off, s[0:3], 0 offset:104
	buffer_store_dword v4, off, s[0:3], 0 offset:108
	s_waitcnt vmcnt(2)
	ds_write_b64 v1, v[2:3]
.LBB40_233:
	s_or_b64 exec, exec, s[4:5]
	s_waitcnt lgkmcnt(0)
	; wave barrier
	s_waitcnt lgkmcnt(0)
	buffer_load_dword v5, off, s[0:3], 0 offset:116
	buffer_load_dword v136, off, s[0:3], 0 offset:124
	;; [unrolled: 1-line block ×40, first 2 shown]
	v_mov_b32_e32 v4, 0
	ds_read_b128 v[6:9], v4 offset:448
	ds_read_b128 v[10:13], v4 offset:464
	;; [unrolled: 1-line block ×8, first 2 shown]
	v_cmp_lt_u32_e32 vcc, 12, v0
	s_waitcnt vmcnt(39) lgkmcnt(7)
	v_mul_f32_e32 v14, v6, v5
	s_waitcnt vmcnt(38)
	v_mul_f32_e32 v15, v8, v136
	s_waitcnt vmcnt(37) lgkmcnt(6)
	v_mul_f32_e32 v122, v10, v138
	s_waitcnt vmcnt(36)
	v_mul_f32_e32 v123, v12, v140
	;; [unrolled: 4-line block ×8, first 2 shown]
	s_waitcnt vmcnt(23)
	v_fmac_f32_e32 v14, v7, v162
	s_waitcnt vmcnt(22)
	v_fmac_f32_e32 v15, v9, v163
	v_add_f32_e32 v14, 0, v14
	s_waitcnt vmcnt(21)
	v_fmac_f32_e32 v122, v11, v164
	v_add_f32_e32 v14, v14, v15
	;; [unrolled: 3-line block ×14, first 2 shown]
	v_add_f32_e32 v14, v14, v134
	s_waitcnt vmcnt(8)
	v_fmac_f32_e32 v135, v121, v177
	v_add_f32_e32 v137, v14, v135
	ds_read_b128 v[122:125], v4 offset:576
	buffer_load_dword v15, off, s[0:3], 0 offset:268
	buffer_load_dword v131, off, s[0:3], 0 offset:292
	;; [unrolled: 1-line block ×8, first 2 shown]
	ds_read_b128 v[126:129], v4 offset:592
	buffer_load_dword v143, off, s[0:3], 0 offset:324
	buffer_load_dword v142, off, s[0:3], 0 offset:320
	;; [unrolled: 1-line block ×8, first 2 shown]
	v_mul_f32_e32 v5, v7, v5
	v_fma_f32 v5, v6, v162, -v5
	v_mul_f32_e32 v6, v9, v136
	v_add_f32_e32 v5, 0, v5
	v_fma_f32 v6, v8, v163, -v6
	v_add_f32_e32 v5, v5, v6
	v_mul_f32_e32 v6, v11, v138
	v_fma_f32 v6, v10, v164, -v6
	v_add_f32_e32 v5, v5, v6
	v_mul_f32_e32 v6, v13, v140
	;; [unrolled: 3-line block ×14, first 2 shown]
	v_fma_f32 v6, v120, v177, -v6
	s_waitcnt vmcnt(23) lgkmcnt(1)
	v_mul_f32_e32 v139, v122, v178
	v_add_f32_e32 v5, v5, v6
	v_mul_f32_e32 v6, v123, v178
	s_waitcnt vmcnt(22)
	v_fmac_f32_e32 v139, v123, v179
	v_fma_f32 v6, v122, v179, -v6
	v_add_f32_e32 v137, v137, v139
	s_waitcnt vmcnt(21)
	v_mul_f32_e32 v139, v124, v180
	v_add_f32_e32 v136, v5, v6
	v_mul_f32_e32 v5, v125, v180
	s_waitcnt vmcnt(20)
	v_fmac_f32_e32 v139, v125, v181
	s_waitcnt vmcnt(19) lgkmcnt(0)
	v_mul_f32_e32 v141, v126, v182
	v_fma_f32 v138, v124, v181, -v5
	v_mul_f32_e32 v5, v127, v182
	s_waitcnt vmcnt(18)
	v_fmac_f32_e32 v141, v127, v183
	v_fma_f32 v140, v126, v183, -v5
	v_pk_add_f32 v[104:105], v[136:137], v[138:139]
	ds_read_b128 v[6:9], v4 offset:608
	ds_read_b128 v[10:13], v4 offset:624
	;; [unrolled: 1-line block ×3, first 2 shown]
	ds_read_b64 v[102:103], v4 offset:656
	v_pk_add_f32 v[104:105], v[104:105], v[140:141]
	s_waitcnt vmcnt(15)
	v_mov_b32_e32 v106, v15
	v_pk_mul_f32 v[106:107], v[128:129], v[106:107] op_sel_hi:[1,0]
	s_waitcnt vmcnt(8)
	v_pk_fma_f32 v[108:109], v[128:129], v[14:15], v[106:107] op_sel:[0,0,1] op_sel_hi:[1,1,0] neg_lo:[0,0,1] neg_hi:[0,0,1]
	v_pk_fma_f32 v[14:15], v[128:129], v[14:15], v[106:107] op_sel:[0,0,1] op_sel_hi:[1,0,0]
	v_mov_b32_e32 v109, v15
	v_pk_add_f32 v[14:15], v[104:105], v[108:109]
	v_mov_b32_e32 v104, v135
	s_waitcnt lgkmcnt(3)
	v_pk_mul_f32 v[104:105], v[6:7], v[104:105] op_sel_hi:[1,0]
	v_pk_fma_f32 v[106:107], v[6:7], v[134:135], v[104:105] op_sel:[0,0,1] op_sel_hi:[1,1,0] neg_lo:[0,0,1] neg_hi:[0,0,1]
	v_pk_fma_f32 v[6:7], v[6:7], v[134:135], v[104:105] op_sel:[0,0,1] op_sel_hi:[1,0,0]
	v_mov_b32_e32 v107, v7
	v_pk_add_f32 v[6:7], v[14:15], v[106:107]
	v_mov_b32_e32 v14, v133
	v_pk_mul_f32 v[14:15], v[8:9], v[14:15] op_sel_hi:[1,0]
	v_pk_fma_f32 v[104:105], v[8:9], v[132:133], v[14:15] op_sel:[0,0,1] op_sel_hi:[1,1,0] neg_lo:[0,0,1] neg_hi:[0,0,1]
	v_pk_fma_f32 v[8:9], v[8:9], v[132:133], v[14:15] op_sel:[0,0,1] op_sel_hi:[1,0,0]
	v_mov_b32_e32 v8, v131
	v_mov_b32_e32 v105, v9
	s_waitcnt lgkmcnt(2)
	v_pk_mul_f32 v[8:9], v[10:11], v[8:9] op_sel_hi:[1,0]
	v_pk_fma_f32 v[14:15], v[10:11], v[130:131], v[8:9] op_sel:[0,0,1] op_sel_hi:[1,1,0] neg_lo:[0,0,1] neg_hi:[0,0,1]
	v_pk_fma_f32 v[8:9], v[10:11], v[130:131], v[8:9] op_sel:[0,0,1] op_sel_hi:[1,0,0]
	s_waitcnt vmcnt(1)
	v_mov_b32_e32 v8, v149
	v_mov_b32_e32 v15, v9
	v_pk_mul_f32 v[8:9], v[12:13], v[8:9] op_sel_hi:[1,0]
	s_waitcnt vmcnt(0)
	v_pk_fma_f32 v[10:11], v[12:13], v[148:149], v[8:9] op_sel:[0,0,1] op_sel_hi:[1,1,0] neg_lo:[0,0,1] neg_hi:[0,0,1]
	v_pk_fma_f32 v[8:9], v[12:13], v[148:149], v[8:9] op_sel:[0,0,1] op_sel_hi:[1,0,0]
	v_pk_add_f32 v[6:7], v[6:7], v[104:105]
	v_mov_b32_e32 v8, v147
	v_pk_add_f32 v[6:7], v[6:7], v[14:15]
	v_mov_b32_e32 v11, v9
	s_waitcnt lgkmcnt(1)
	v_pk_mul_f32 v[8:9], v[98:99], v[8:9] op_sel_hi:[1,0]
	v_pk_add_f32 v[6:7], v[6:7], v[10:11]
	v_pk_fma_f32 v[10:11], v[98:99], v[146:147], v[8:9] op_sel:[0,0,1] op_sel_hi:[1,1,0] neg_lo:[0,0,1] neg_hi:[0,0,1]
	v_pk_fma_f32 v[8:9], v[98:99], v[146:147], v[8:9] op_sel:[0,0,1] op_sel_hi:[1,0,0]
	v_mov_b32_e32 v8, v145
	v_mov_b32_e32 v11, v9
	v_pk_mul_f32 v[8:9], v[100:101], v[8:9] op_sel_hi:[1,0]
	v_pk_add_f32 v[6:7], v[6:7], v[10:11]
	v_pk_fma_f32 v[10:11], v[100:101], v[144:145], v[8:9] op_sel:[0,0,1] op_sel_hi:[1,1,0] neg_lo:[0,0,1] neg_hi:[0,0,1]
	v_pk_fma_f32 v[8:9], v[100:101], v[144:145], v[8:9] op_sel:[0,0,1] op_sel_hi:[1,0,0]
	v_mov_b32_e32 v8, v143
	v_mov_b32_e32 v11, v9
	s_waitcnt lgkmcnt(0)
	v_pk_mul_f32 v[8:9], v[102:103], v[8:9] op_sel_hi:[1,0]
	v_pk_add_f32 v[6:7], v[6:7], v[10:11]
	v_pk_fma_f32 v[10:11], v[102:103], v[142:143], v[8:9] op_sel:[0,0,1] op_sel_hi:[1,1,0] neg_lo:[0,0,1] neg_hi:[0,0,1]
	v_pk_fma_f32 v[8:9], v[102:103], v[142:143], v[8:9] op_sel:[0,0,1] op_sel_hi:[1,0,0]
	v_mov_b32_e32 v11, v9
	v_pk_add_f32 v[6:7], v[6:7], v[10:11]
	v_pk_add_f32 v[2:3], v[2:3], v[6:7] neg_lo:[0,1] neg_hi:[0,1]
	buffer_store_dword v3, off, s[0:3], 0 offset:108
	buffer_store_dword v2, off, s[0:3], 0 offset:104
	s_and_saveexec_b64 s[4:5], vcc
	s_cbranch_execz .LBB40_235
; %bb.234:
	buffer_load_dword v2, off, s[0:3], 0 offset:96
	buffer_load_dword v3, off, s[0:3], 0 offset:100
	s_waitcnt vmcnt(0)
	ds_write_b64 v1, v[2:3]
	buffer_store_dword v4, off, s[0:3], 0 offset:96
	buffer_store_dword v4, off, s[0:3], 0 offset:100
.LBB40_235:
	s_or_b64 exec, exec, s[4:5]
	s_waitcnt lgkmcnt(0)
	; wave barrier
	s_waitcnt lgkmcnt(0)
	buffer_load_dword v5, off, s[0:3], 0 offset:108
	buffer_load_dword v14, off, s[0:3], 0 offset:116
	;; [unrolled: 1-line block ×42, first 2 shown]
	ds_read2_b64 v[6:9], v4 offset0:55 offset1:56
	ds_read2_b64 v[10:13], v4 offset0:57 offset1:58
	;; [unrolled: 1-line block ×8, first 2 shown]
	v_cmp_lt_u32_e32 vcc, 11, v0
	s_waitcnt vmcnt(41) lgkmcnt(7)
	v_mul_f32_e32 v15, v6, v5
	s_waitcnt vmcnt(40)
	v_mul_f32_e32 v122, v8, v14
	s_waitcnt vmcnt(39) lgkmcnt(6)
	v_mul_f32_e32 v123, v10, v130
	s_waitcnt vmcnt(38)
	v_mul_f32_e32 v124, v12, v138
	;; [unrolled: 4-line block ×7, first 2 shown]
	s_waitcnt vmcnt(27) lgkmcnt(0)
	v_mul_f32_e32 v136, v118, v160
	s_waitcnt vmcnt(26)
	v_fmac_f32_e32 v15, v7, v161
	s_waitcnt vmcnt(25)
	v_fmac_f32_e32 v122, v9, v162
	v_add_f32_e32 v15, 0, v15
	s_waitcnt vmcnt(24)
	v_fmac_f32_e32 v123, v11, v163
	v_add_f32_e32 v15, v15, v122
	;; [unrolled: 3-line block ×14, first 2 shown]
	s_waitcnt vmcnt(11)
	v_mul_f32_e32 v126, v120, v176
	v_add_f32_e32 v15, v15, v136
	s_waitcnt vmcnt(10)
	v_fmac_f32_e32 v126, v121, v177
	ds_read2_b64 v[122:125], v4 offset0:71 offset1:72
	v_add_f32_e32 v15, v15, v126
	ds_read2_b64 v[126:129], v4 offset0:73 offset1:74
	buffer_load_dword v133, off, s[0:3], 0 offset:268
	buffer_load_dword v135, off, s[0:3], 0 offset:284
	;; [unrolled: 1-line block ×16, first 2 shown]
	v_mul_f32_e32 v5, v7, v5
	v_fma_f32 v5, v6, v161, -v5
	v_mul_f32_e32 v6, v9, v14
	v_add_f32_e32 v5, 0, v5
	v_fma_f32 v6, v8, v162, -v6
	v_add_f32_e32 v5, v5, v6
	v_mul_f32_e32 v6, v11, v130
	v_fma_f32 v6, v10, v163, -v6
	v_add_f32_e32 v5, v5, v6
	v_mul_f32_e32 v6, v13, v138
	v_fma_f32 v6, v12, v164, -v6
	v_add_f32_e32 v5, v5, v6
	v_mul_f32_e32 v6, v99, v150
	v_fma_f32 v6, v98, v165, -v6
	v_add_f32_e32 v5, v5, v6
	v_mul_f32_e32 v6, v101, v151
	v_fma_f32 v6, v100, v166, -v6
	v_add_f32_e32 v5, v5, v6
	v_mul_f32_e32 v6, v103, v152
	v_fma_f32 v6, v102, v167, -v6
	v_add_f32_e32 v5, v5, v6
	v_mul_f32_e32 v6, v105, v153
	v_fma_f32 v6, v104, v168, -v6
	v_add_f32_e32 v5, v5, v6
	v_mul_f32_e32 v6, v107, v154
	v_fma_f32 v6, v106, v169, -v6
	v_add_f32_e32 v5, v5, v6
	v_mul_f32_e32 v6, v109, v155
	v_fma_f32 v6, v108, v170, -v6
	v_add_f32_e32 v5, v5, v6
	v_mul_f32_e32 v6, v111, v156
	v_fma_f32 v6, v110, v171, -v6
	v_add_f32_e32 v5, v5, v6
	v_mul_f32_e32 v6, v113, v157
	v_fma_f32 v6, v112, v172, -v6
	v_add_f32_e32 v5, v5, v6
	v_mul_f32_e32 v6, v115, v158
	v_fma_f32 v6, v114, v173, -v6
	v_add_f32_e32 v5, v5, v6
	v_mul_f32_e32 v6, v117, v159
	v_fma_f32 v6, v116, v174, -v6
	v_add_f32_e32 v5, v5, v6
	v_mul_f32_e32 v6, v119, v160
	v_fma_f32 v6, v118, v175, -v6
	v_add_f32_e32 v5, v5, v6
	v_mul_f32_e32 v6, v121, v176
	v_fma_f32 v6, v120, v177, -v6
	s_waitcnt vmcnt(25) lgkmcnt(1)
	v_mul_f32_e32 v131, v122, v178
	v_add_f32_e32 v5, v5, v6
	v_mul_f32_e32 v6, v123, v178
	s_waitcnt vmcnt(24)
	v_fmac_f32_e32 v131, v123, v179
	v_fma_f32 v6, v122, v179, -v6
	v_add_f32_e32 v15, v15, v131
	s_waitcnt vmcnt(23)
	v_mul_f32_e32 v131, v124, v180
	v_add_f32_e32 v5, v5, v6
	v_mul_f32_e32 v6, v125, v180
	s_waitcnt vmcnt(22)
	v_fmac_f32_e32 v131, v125, v181
	v_fma_f32 v6, v124, v181, -v6
	v_add_f32_e32 v15, v15, v131
	s_waitcnt vmcnt(21) lgkmcnt(0)
	v_mul_f32_e32 v131, v126, v182
	v_add_f32_e32 v14, v5, v6
	v_mul_f32_e32 v5, v127, v182
	s_waitcnt vmcnt(20)
	v_fmac_f32_e32 v131, v127, v183
	v_fma_f32 v130, v126, v183, -v5
	s_waitcnt vmcnt(19)
	v_mul_f32_e32 v5, v129, v184
	ds_read2_b64 v[6:9], v4 offset0:75 offset1:76
	ds_read2_b64 v[10:13], v4 offset0:77 offset1:78
	;; [unrolled: 1-line block ×4, first 2 shown]
	s_waitcnt vmcnt(18)
	v_fma_f32 v138, v128, v185, -v5
	v_pk_add_f32 v[4:5], v[14:15], v[130:131]
	v_mul_f32_e32 v139, v128, v184
	v_fmac_f32_e32 v139, v129, v185
	v_pk_add_f32 v[4:5], v[4:5], v[138:139]
	s_waitcnt vmcnt(15)
	v_mov_b32_e32 v14, v133
	s_waitcnt lgkmcnt(3)
	v_pk_mul_f32 v[14:15], v[6:7], v[14:15] op_sel_hi:[1,0]
	s_waitcnt vmcnt(10)
	v_pk_fma_f32 v[106:107], v[6:7], v[132:133], v[14:15] op_sel:[0,0,1] op_sel_hi:[1,1,0] neg_lo:[0,0,1] neg_hi:[0,0,1]
	v_pk_fma_f32 v[6:7], v[6:7], v[132:133], v[14:15] op_sel:[0,0,1] op_sel_hi:[1,0,0]
	v_mov_b32_e32 v6, v137
	v_mov_b32_e32 v107, v7
	v_pk_mul_f32 v[6:7], v[8:9], v[6:7] op_sel_hi:[1,0]
	v_pk_fma_f32 v[14:15], v[8:9], v[136:137], v[6:7] op_sel:[0,0,1] op_sel_hi:[1,1,0] neg_lo:[0,0,1] neg_hi:[0,0,1]
	v_pk_fma_f32 v[6:7], v[8:9], v[136:137], v[6:7] op_sel:[0,0,1] op_sel_hi:[1,0,0]
	v_mov_b32_e32 v6, v135
	v_mov_b32_e32 v15, v7
	s_waitcnt lgkmcnt(2)
	v_pk_mul_f32 v[6:7], v[10:11], v[6:7] op_sel_hi:[1,0]
	v_pk_fma_f32 v[8:9], v[10:11], v[134:135], v[6:7] op_sel:[0,0,1] op_sel_hi:[1,1,0] neg_lo:[0,0,1] neg_hi:[0,0,1]
	v_pk_fma_f32 v[6:7], v[10:11], v[134:135], v[6:7] op_sel:[0,0,1] op_sel_hi:[1,0,0]
	v_pk_add_f32 v[4:5], v[4:5], v[106:107]
	s_waitcnt vmcnt(3)
	v_mov_b32_e32 v6, v147
	v_pk_add_f32 v[4:5], v[4:5], v[14:15]
	v_mov_b32_e32 v9, v7
	v_pk_mul_f32 v[6:7], v[12:13], v[6:7] op_sel_hi:[1,0]
	v_pk_add_f32 v[4:5], v[4:5], v[8:9]
	s_waitcnt vmcnt(2)
	v_pk_fma_f32 v[8:9], v[12:13], v[146:147], v[6:7] op_sel:[0,0,1] op_sel_hi:[1,1,0] neg_lo:[0,0,1] neg_hi:[0,0,1]
	v_pk_fma_f32 v[6:7], v[12:13], v[146:147], v[6:7] op_sel:[0,0,1] op_sel_hi:[1,0,0]
	v_mov_b32_e32 v6, v145
	v_mov_b32_e32 v9, v7
	s_waitcnt lgkmcnt(1)
	v_pk_mul_f32 v[6:7], v[98:99], v[6:7] op_sel_hi:[1,0]
	v_pk_add_f32 v[4:5], v[4:5], v[8:9]
	v_pk_fma_f32 v[8:9], v[98:99], v[144:145], v[6:7] op_sel:[0,0,1] op_sel_hi:[1,1,0] neg_lo:[0,0,1] neg_hi:[0,0,1]
	v_pk_fma_f32 v[6:7], v[98:99], v[144:145], v[6:7] op_sel:[0,0,1] op_sel_hi:[1,0,0]
	v_mov_b32_e32 v6, v143
	v_mov_b32_e32 v9, v7
	v_pk_mul_f32 v[6:7], v[100:101], v[6:7] op_sel_hi:[1,0]
	v_pk_add_f32 v[4:5], v[4:5], v[8:9]
	v_pk_fma_f32 v[8:9], v[100:101], v[142:143], v[6:7] op_sel:[0,0,1] op_sel_hi:[1,1,0] neg_lo:[0,0,1] neg_hi:[0,0,1]
	v_pk_fma_f32 v[6:7], v[100:101], v[142:143], v[6:7] op_sel:[0,0,1] op_sel_hi:[1,0,0]
	v_mov_b32_e32 v6, v141
	v_mov_b32_e32 v9, v7
	s_waitcnt lgkmcnt(0)
	v_pk_mul_f32 v[6:7], v[102:103], v[6:7] op_sel_hi:[1,0]
	v_pk_add_f32 v[4:5], v[4:5], v[8:9]
	v_pk_fma_f32 v[8:9], v[102:103], v[140:141], v[6:7] op_sel:[0,0,1] op_sel_hi:[1,1,0] neg_lo:[0,0,1] neg_hi:[0,0,1]
	v_pk_fma_f32 v[6:7], v[102:103], v[140:141], v[6:7] op_sel:[0,0,1] op_sel_hi:[1,0,0]
	s_waitcnt vmcnt(1)
	v_mov_b32_e32 v6, v149
	v_mov_b32_e32 v9, v7
	v_pk_mul_f32 v[6:7], v[104:105], v[6:7] op_sel_hi:[1,0]
	v_pk_add_f32 v[4:5], v[4:5], v[8:9]
	s_waitcnt vmcnt(0)
	v_pk_fma_f32 v[8:9], v[104:105], v[148:149], v[6:7] op_sel:[0,0,1] op_sel_hi:[1,1,0] neg_lo:[0,0,1] neg_hi:[0,0,1]
	v_pk_fma_f32 v[6:7], v[104:105], v[148:149], v[6:7] op_sel:[0,0,1] op_sel_hi:[1,0,0]
	v_mov_b32_e32 v9, v7
	v_pk_add_f32 v[4:5], v[4:5], v[8:9]
	v_pk_add_f32 v[2:3], v[2:3], v[4:5] neg_lo:[0,1] neg_hi:[0,1]
	buffer_store_dword v3, off, s[0:3], 0 offset:100
	buffer_store_dword v2, off, s[0:3], 0 offset:96
	s_and_saveexec_b64 s[4:5], vcc
	s_cbranch_execz .LBB40_237
; %bb.236:
	buffer_load_dword v2, off, s[0:3], 0 offset:88
	buffer_load_dword v3, off, s[0:3], 0 offset:92
	v_mov_b32_e32 v4, 0
	buffer_store_dword v4, off, s[0:3], 0 offset:88
	buffer_store_dword v4, off, s[0:3], 0 offset:92
	s_waitcnt vmcnt(2)
	ds_write_b64 v1, v[2:3]
.LBB40_237:
	s_or_b64 exec, exec, s[4:5]
	s_waitcnt lgkmcnt(0)
	; wave barrier
	s_waitcnt lgkmcnt(0)
	buffer_load_dword v5, off, s[0:3], 0 offset:100
	buffer_load_dword v14, off, s[0:3], 0 offset:108
	;; [unrolled: 1-line block ×44, first 2 shown]
	v_mov_b32_e32 v4, 0
	ds_read_b128 v[6:9], v4 offset:432
	ds_read_b128 v[10:13], v4 offset:448
	;; [unrolled: 1-line block ×8, first 2 shown]
	v_cmp_lt_u32_e32 vcc, 10, v0
	s_waitcnt vmcnt(43) lgkmcnt(7)
	v_mul_f32_e32 v15, v6, v5
	s_waitcnt vmcnt(42)
	v_mul_f32_e32 v122, v8, v14
	s_waitcnt vmcnt(41) lgkmcnt(6)
	v_mul_f32_e32 v123, v10, v142
	s_waitcnt vmcnt(40)
	v_mul_f32_e32 v124, v12, v144
	;; [unrolled: 4-line block ×7, first 2 shown]
	s_waitcnt vmcnt(29)
	v_fmac_f32_e32 v15, v7, v168
	s_waitcnt vmcnt(28)
	v_fmac_f32_e32 v122, v9, v169
	v_add_f32_e32 v15, 0, v15
	s_waitcnt vmcnt(27)
	v_fmac_f32_e32 v123, v11, v170
	v_add_f32_e32 v15, v15, v122
	;; [unrolled: 3-line block ×12, first 2 shown]
	v_add_f32_e32 v15, v15, v133
	s_waitcnt vmcnt(16)
	v_fmac_f32_e32 v134, v117, v181
	s_waitcnt vmcnt(15) lgkmcnt(0)
	v_mul_f32_e32 v122, v118, v182
	v_add_f32_e32 v15, v15, v134
	s_waitcnt vmcnt(14)
	v_fmac_f32_e32 v122, v119, v183
	v_add_f32_e32 v15, v15, v122
	ds_read_b128 v[122:125], v4 offset:560
	s_waitcnt vmcnt(13)
	v_mul_f32_e32 v126, v120, v184
	s_waitcnt vmcnt(12)
	v_fmac_f32_e32 v126, v121, v185
	v_add_f32_e32 v15, v15, v126
	ds_read_b128 v[126:129], v4 offset:576
	s_waitcnt vmcnt(11) lgkmcnt(1)
	v_mul_f32_e32 v130, v122, v186
	s_waitcnt vmcnt(10)
	v_fmac_f32_e32 v130, v123, v187
	v_add_f32_e32 v15, v15, v130
	s_waitcnt vmcnt(9)
	v_mul_f32_e32 v130, v124, v188
	s_waitcnt vmcnt(8)
	v_fmac_f32_e32 v130, v125, v189
	v_add_f32_e32 v15, v15, v130
	s_waitcnt vmcnt(7) lgkmcnt(0)
	v_mul_f32_e32 v130, v126, v190
	s_waitcnt vmcnt(6)
	v_fmac_f32_e32 v130, v127, v191
	v_add_f32_e32 v15, v15, v130
	ds_read_b128 v[130:133], v4 offset:592
	buffer_load_dword v139, off, s[0:3], 0 offset:276
	buffer_load_dword v138, off, s[0:3], 0 offset:272
	;; [unrolled: 1-line block ×4, first 2 shown]
	ds_read_b128 v[134:137], v4 offset:608
	buffer_load_dword v147, off, s[0:3], 0 offset:308
	buffer_load_dword v146, off, s[0:3], 0 offset:304
	;; [unrolled: 1-line block ×12, first 2 shown]
	v_mul_f32_e32 v5, v7, v5
	v_fma_f32 v5, v6, v168, -v5
	v_mul_f32_e32 v6, v9, v14
	v_add_f32_e32 v5, 0, v5
	v_fma_f32 v6, v8, v169, -v6
	v_add_f32_e32 v5, v5, v6
	v_mul_f32_e32 v6, v11, v142
	v_fma_f32 v6, v10, v170, -v6
	v_add_f32_e32 v5, v5, v6
	v_mul_f32_e32 v6, v13, v144
	;; [unrolled: 3-line block ×17, first 2 shown]
	v_fma_f32 v6, v126, v191, -v6
	s_waitcnt vmcnt(21)
	v_mul_f32_e32 v143, v128, v192
	v_add_f32_e32 v14, v5, v6
	v_mul_f32_e32 v5, v129, v192
	s_waitcnt vmcnt(20)
	v_fmac_f32_e32 v143, v129, v193
	s_waitcnt vmcnt(19) lgkmcnt(1)
	v_mul_f32_e32 v145, v130, v194
	v_fma_f32 v142, v128, v193, -v5
	v_mul_f32_e32 v5, v131, v194
	s_waitcnt vmcnt(18)
	v_fmac_f32_e32 v145, v131, v195
	v_fma_f32 v144, v130, v195, -v5
	v_pk_add_f32 v[14:15], v[14:15], v[142:143]
	v_pk_add_f32 v[14:15], v[14:15], v[144:145]
	ds_read_b128 v[6:9], v4 offset:624
	ds_read_b128 v[10:13], v4 offset:640
	ds_read_b64 v[98:99], v4 offset:656
	s_waitcnt vmcnt(13)
	v_mov_b32_e32 v100, v141
	v_pk_mul_f32 v[100:101], v[132:133], v[100:101] op_sel_hi:[1,0]
	s_waitcnt vmcnt(12)
	v_pk_fma_f32 v[102:103], v[132:133], v[140:141], v[100:101] op_sel:[0,0,1] op_sel_hi:[1,1,0] neg_lo:[0,0,1] neg_hi:[0,0,1]
	v_pk_fma_f32 v[100:101], v[132:133], v[140:141], v[100:101] op_sel:[0,0,1] op_sel_hi:[1,0,0]
	v_mov_b32_e32 v100, v139
	v_mov_b32_e32 v103, v101
	s_waitcnt lgkmcnt(3)
	v_pk_mul_f32 v[100:101], v[134:135], v[100:101] op_sel_hi:[1,0]
	v_pk_add_f32 v[14:15], v[14:15], v[102:103]
	v_pk_fma_f32 v[102:103], v[134:135], v[138:139], v[100:101] op_sel:[0,0,1] op_sel_hi:[1,1,0] neg_lo:[0,0,1] neg_hi:[0,0,1]
	v_pk_fma_f32 v[100:101], v[134:135], v[138:139], v[100:101] op_sel:[0,0,1] op_sel_hi:[1,0,0]
	s_waitcnt vmcnt(5)
	v_mov_b32_e32 v100, v153
	v_mov_b32_e32 v103, v101
	v_pk_mul_f32 v[100:101], v[136:137], v[100:101] op_sel_hi:[1,0]
	v_pk_add_f32 v[14:15], v[14:15], v[102:103]
	s_waitcnt vmcnt(4)
	v_pk_fma_f32 v[102:103], v[136:137], v[152:153], v[100:101] op_sel:[0,0,1] op_sel_hi:[1,1,0] neg_lo:[0,0,1] neg_hi:[0,0,1]
	v_pk_fma_f32 v[100:101], v[136:137], v[152:153], v[100:101] op_sel:[0,0,1] op_sel_hi:[1,0,0]
	v_mov_b32_e32 v100, v151
	v_mov_b32_e32 v103, v101
	s_waitcnt lgkmcnt(2)
	v_pk_mul_f32 v[100:101], v[6:7], v[100:101] op_sel_hi:[1,0]
	v_pk_add_f32 v[14:15], v[14:15], v[102:103]
	v_pk_fma_f32 v[102:103], v[6:7], v[150:151], v[100:101] op_sel:[0,0,1] op_sel_hi:[1,1,0] neg_lo:[0,0,1] neg_hi:[0,0,1]
	v_pk_fma_f32 v[6:7], v[6:7], v[150:151], v[100:101] op_sel:[0,0,1] op_sel_hi:[1,0,0]
	v_mov_b32_e32 v103, v7
	v_pk_add_f32 v[6:7], v[14:15], v[102:103]
	v_mov_b32_e32 v14, v149
	v_pk_mul_f32 v[14:15], v[8:9], v[14:15] op_sel_hi:[1,0]
	v_pk_fma_f32 v[100:101], v[8:9], v[148:149], v[14:15] op_sel:[0,0,1] op_sel_hi:[1,1,0] neg_lo:[0,0,1] neg_hi:[0,0,1]
	v_pk_fma_f32 v[8:9], v[8:9], v[148:149], v[14:15] op_sel:[0,0,1] op_sel_hi:[1,0,0]
	v_mov_b32_e32 v8, v147
	v_mov_b32_e32 v101, v9
	s_waitcnt lgkmcnt(1)
	v_pk_mul_f32 v[8:9], v[10:11], v[8:9] op_sel_hi:[1,0]
	v_pk_fma_f32 v[14:15], v[10:11], v[146:147], v[8:9] op_sel:[0,0,1] op_sel_hi:[1,1,0] neg_lo:[0,0,1] neg_hi:[0,0,1]
	v_pk_fma_f32 v[8:9], v[10:11], v[146:147], v[8:9] op_sel:[0,0,1] op_sel_hi:[1,0,0]
	s_waitcnt vmcnt(1)
	v_mov_b32_e32 v8, v157
	v_mov_b32_e32 v15, v9
	v_pk_mul_f32 v[8:9], v[12:13], v[8:9] op_sel_hi:[1,0]
	s_waitcnt vmcnt(0)
	v_pk_fma_f32 v[10:11], v[12:13], v[156:157], v[8:9] op_sel:[0,0,1] op_sel_hi:[1,1,0] neg_lo:[0,0,1] neg_hi:[0,0,1]
	v_pk_fma_f32 v[8:9], v[12:13], v[156:157], v[8:9] op_sel:[0,0,1] op_sel_hi:[1,0,0]
	v_pk_add_f32 v[6:7], v[6:7], v[100:101]
	v_mov_b32_e32 v8, v155
	v_pk_add_f32 v[6:7], v[6:7], v[14:15]
	v_mov_b32_e32 v11, v9
	s_waitcnt lgkmcnt(0)
	v_pk_mul_f32 v[8:9], v[98:99], v[8:9] op_sel_hi:[1,0]
	v_pk_add_f32 v[6:7], v[6:7], v[10:11]
	v_pk_fma_f32 v[10:11], v[98:99], v[154:155], v[8:9] op_sel:[0,0,1] op_sel_hi:[1,1,0] neg_lo:[0,0,1] neg_hi:[0,0,1]
	v_pk_fma_f32 v[8:9], v[98:99], v[154:155], v[8:9] op_sel:[0,0,1] op_sel_hi:[1,0,0]
	v_mov_b32_e32 v11, v9
	v_pk_add_f32 v[6:7], v[6:7], v[10:11]
	v_pk_add_f32 v[2:3], v[2:3], v[6:7] neg_lo:[0,1] neg_hi:[0,1]
	buffer_store_dword v3, off, s[0:3], 0 offset:92
	buffer_store_dword v2, off, s[0:3], 0 offset:88
	s_and_saveexec_b64 s[4:5], vcc
	s_cbranch_execz .LBB40_239
; %bb.238:
	buffer_load_dword v2, off, s[0:3], 0 offset:80
	buffer_load_dword v3, off, s[0:3], 0 offset:84
	s_waitcnt vmcnt(0)
	ds_write_b64 v1, v[2:3]
	buffer_store_dword v4, off, s[0:3], 0 offset:80
	buffer_store_dword v4, off, s[0:3], 0 offset:84
.LBB40_239:
	s_or_b64 exec, exec, s[4:5]
	s_waitcnt lgkmcnt(0)
	; wave barrier
	s_waitcnt lgkmcnt(0)
	buffer_load_dword v5, off, s[0:3], 0 offset:92
	buffer_load_dword v138, off, s[0:3], 0 offset:100
	;; [unrolled: 1-line block ×46, first 2 shown]
	ds_read2_b64 v[6:9], v4 offset0:53 offset1:54
	ds_read2_b64 v[10:13], v4 offset0:55 offset1:56
	;; [unrolled: 1-line block ×8, first 2 shown]
	v_cmp_lt_u32_e32 vcc, 9, v0
	s_waitcnt vmcnt(45) lgkmcnt(7)
	v_mul_f32_e32 v14, v6, v5
	s_waitcnt vmcnt(44)
	v_mul_f32_e32 v15, v8, v138
	s_waitcnt vmcnt(43) lgkmcnt(6)
	v_mul_f32_e32 v122, v10, v140
	s_waitcnt vmcnt(42)
	v_mul_f32_e32 v123, v12, v142
	;; [unrolled: 4-line block ×6, first 2 shown]
	s_waitcnt vmcnt(33) lgkmcnt(1)
	v_mul_f32_e32 v132, v114, v166
	s_waitcnt vmcnt(32)
	v_fmac_f32_e32 v14, v7, v167
	s_waitcnt vmcnt(31)
	v_fmac_f32_e32 v15, v9, v168
	v_add_f32_e32 v14, 0, v14
	s_waitcnt vmcnt(30)
	v_fmac_f32_e32 v122, v11, v169
	v_add_f32_e32 v14, v14, v15
	;; [unrolled: 3-line block ×12, first 2 shown]
	s_waitcnt vmcnt(19)
	v_mul_f32_e32 v15, v116, v180
	v_add_f32_e32 v14, v14, v132
	s_waitcnt vmcnt(18)
	v_fmac_f32_e32 v15, v117, v181
	ds_read2_b64 v[122:125], v4 offset0:69 offset1:70
	ds_read2_b64 v[126:129], v4 offset0:71 offset1:72
	v_add_f32_e32 v14, v14, v15
	s_waitcnt vmcnt(17) lgkmcnt(2)
	v_mul_f32_e32 v15, v118, v182
	s_waitcnt vmcnt(16)
	v_fmac_f32_e32 v15, v119, v183
	v_add_f32_e32 v14, v14, v15
	s_waitcnt vmcnt(15)
	v_mul_f32_e32 v15, v120, v184
	s_waitcnt vmcnt(14)
	v_fmac_f32_e32 v15, v121, v185
	v_add_f32_e32 v14, v14, v15
	s_waitcnt vmcnt(13) lgkmcnt(1)
	v_mul_f32_e32 v15, v122, v186
	s_waitcnt vmcnt(12)
	v_fmac_f32_e32 v15, v123, v187
	v_add_f32_e32 v14, v14, v15
	s_waitcnt vmcnt(11)
	v_mul_f32_e32 v15, v124, v188
	s_waitcnt vmcnt(10)
	v_fmac_f32_e32 v15, v125, v189
	v_add_f32_e32 v14, v14, v15
	s_waitcnt vmcnt(9) lgkmcnt(0)
	v_mul_f32_e32 v15, v126, v190
	s_waitcnt vmcnt(8)
	v_fmac_f32_e32 v15, v127, v191
	v_add_f32_e32 v134, v14, v15
	buffer_load_dword v15, off, s[0:3], 0 offset:268
	buffer_load_dword v14, off, s[0:3], 0 offset:264
	s_waitcnt vmcnt(9)
	v_mul_f32_e32 v135, v128, v192
	s_waitcnt vmcnt(8)
	v_fmac_f32_e32 v135, v129, v193
	ds_read2_b64 v[130:133], v4 offset0:73 offset1:74
	v_add_f32_e32 v139, v134, v135
	ds_read2_b64 v[134:137], v4 offset0:75 offset1:76
	buffer_load_dword v145, off, s[0:3], 0 offset:300
	buffer_load_dword v144, off, s[0:3], 0 offset:296
	;; [unrolled: 1-line block ×14, first 2 shown]
	v_mul_f32_e32 v5, v7, v5
	v_fma_f32 v5, v6, v167, -v5
	v_mul_f32_e32 v6, v9, v138
	v_add_f32_e32 v5, 0, v5
	v_fma_f32 v6, v8, v168, -v6
	v_add_f32_e32 v5, v5, v6
	v_mul_f32_e32 v6, v11, v140
	v_fma_f32 v6, v10, v169, -v6
	v_add_f32_e32 v5, v5, v6
	v_mul_f32_e32 v6, v13, v142
	;; [unrolled: 3-line block ×18, first 2 shown]
	v_fma_f32 v6, v128, v193, -v6
	s_waitcnt vmcnt(21) lgkmcnt(1)
	v_mul_f32_e32 v141, v130, v194
	v_add_f32_e32 v138, v5, v6
	v_mul_f32_e32 v5, v131, v194
	s_waitcnt vmcnt(20)
	v_fmac_f32_e32 v141, v131, v195
	s_waitcnt vmcnt(19)
	v_mul_f32_e32 v143, v132, v196
	v_fma_f32 v140, v130, v195, -v5
	v_mul_f32_e32 v5, v133, v196
	ds_read2_b64 v[6:9], v4 offset0:77 offset1:78
	ds_read2_b64 v[10:13], v4 offset0:79 offset1:80
	;; [unrolled: 1-line block ×3, first 2 shown]
	s_waitcnt vmcnt(18)
	v_fmac_f32_e32 v143, v133, v197
	v_fma_f32 v142, v132, v197, -v5
	v_pk_add_f32 v[4:5], v[138:139], v[140:141]
	v_pk_add_f32 v[4:5], v[4:5], v[142:143]
	s_waitcnt vmcnt(15)
	v_mov_b32_e32 v102, v15
	s_waitcnt lgkmcnt(3)
	v_pk_mul_f32 v[102:103], v[134:135], v[102:103] op_sel_hi:[1,0]
	s_waitcnt vmcnt(14)
	v_pk_fma_f32 v[104:105], v[134:135], v[14:15], v[102:103] op_sel:[0,0,1] op_sel_hi:[1,1,0] neg_lo:[0,0,1] neg_hi:[0,0,1]
	v_pk_fma_f32 v[14:15], v[134:135], v[14:15], v[102:103] op_sel:[0,0,1] op_sel_hi:[1,0,0]
	s_waitcnt vmcnt(7)
	v_mov_b32_e32 v14, v151
	v_mov_b32_e32 v105, v15
	v_pk_mul_f32 v[14:15], v[136:137], v[14:15] op_sel_hi:[1,0]
	s_waitcnt vmcnt(6)
	v_pk_fma_f32 v[102:103], v[136:137], v[150:151], v[14:15] op_sel:[0,0,1] op_sel_hi:[1,1,0] neg_lo:[0,0,1] neg_hi:[0,0,1]
	v_pk_fma_f32 v[14:15], v[136:137], v[150:151], v[14:15] op_sel:[0,0,1] op_sel_hi:[1,0,0]
	v_mov_b32_e32 v14, v149
	v_pk_add_f32 v[4:5], v[4:5], v[104:105]
	v_mov_b32_e32 v103, v15
	s_waitcnt lgkmcnt(2)
	v_pk_mul_f32 v[14:15], v[6:7], v[14:15] op_sel_hi:[1,0]
	v_pk_add_f32 v[4:5], v[4:5], v[102:103]
	v_pk_fma_f32 v[102:103], v[6:7], v[148:149], v[14:15] op_sel:[0,0,1] op_sel_hi:[1,1,0] neg_lo:[0,0,1] neg_hi:[0,0,1]
	v_pk_fma_f32 v[6:7], v[6:7], v[148:149], v[14:15] op_sel:[0,0,1] op_sel_hi:[1,0,0]
	v_mov_b32_e32 v6, v147
	v_mov_b32_e32 v103, v7
	v_pk_mul_f32 v[6:7], v[8:9], v[6:7] op_sel_hi:[1,0]
	v_pk_fma_f32 v[14:15], v[8:9], v[146:147], v[6:7] op_sel:[0,0,1] op_sel_hi:[1,1,0] neg_lo:[0,0,1] neg_hi:[0,0,1]
	v_pk_fma_f32 v[6:7], v[8:9], v[146:147], v[6:7] op_sel:[0,0,1] op_sel_hi:[1,0,0]
	v_mov_b32_e32 v6, v145
	v_mov_b32_e32 v15, v7
	s_waitcnt lgkmcnt(1)
	v_pk_mul_f32 v[6:7], v[10:11], v[6:7] op_sel_hi:[1,0]
	v_pk_fma_f32 v[8:9], v[10:11], v[144:145], v[6:7] op_sel:[0,0,1] op_sel_hi:[1,1,0] neg_lo:[0,0,1] neg_hi:[0,0,1]
	v_pk_fma_f32 v[6:7], v[10:11], v[144:145], v[6:7] op_sel:[0,0,1] op_sel_hi:[1,0,0]
	v_pk_add_f32 v[4:5], v[4:5], v[102:103]
	s_waitcnt vmcnt(1)
	v_mov_b32_e32 v6, v157
	v_pk_add_f32 v[4:5], v[4:5], v[14:15]
	v_mov_b32_e32 v9, v7
	v_pk_mul_f32 v[6:7], v[12:13], v[6:7] op_sel_hi:[1,0]
	v_pk_add_f32 v[4:5], v[4:5], v[8:9]
	s_waitcnt vmcnt(0)
	v_pk_fma_f32 v[8:9], v[12:13], v[156:157], v[6:7] op_sel:[0,0,1] op_sel_hi:[1,1,0] neg_lo:[0,0,1] neg_hi:[0,0,1]
	v_pk_fma_f32 v[6:7], v[12:13], v[156:157], v[6:7] op_sel:[0,0,1] op_sel_hi:[1,0,0]
	v_mov_b32_e32 v6, v155
	v_mov_b32_e32 v9, v7
	s_waitcnt lgkmcnt(0)
	v_pk_mul_f32 v[6:7], v[98:99], v[6:7] op_sel_hi:[1,0]
	v_pk_add_f32 v[4:5], v[4:5], v[8:9]
	v_pk_fma_f32 v[8:9], v[98:99], v[154:155], v[6:7] op_sel:[0,0,1] op_sel_hi:[1,1,0] neg_lo:[0,0,1] neg_hi:[0,0,1]
	v_pk_fma_f32 v[6:7], v[98:99], v[154:155], v[6:7] op_sel:[0,0,1] op_sel_hi:[1,0,0]
	v_mov_b32_e32 v6, v153
	v_mov_b32_e32 v9, v7
	v_pk_mul_f32 v[6:7], v[100:101], v[6:7] op_sel_hi:[1,0]
	v_pk_add_f32 v[4:5], v[4:5], v[8:9]
	v_pk_fma_f32 v[8:9], v[100:101], v[152:153], v[6:7] op_sel:[0,0,1] op_sel_hi:[1,1,0] neg_lo:[0,0,1] neg_hi:[0,0,1]
	v_pk_fma_f32 v[6:7], v[100:101], v[152:153], v[6:7] op_sel:[0,0,1] op_sel_hi:[1,0,0]
	v_mov_b32_e32 v9, v7
	v_pk_add_f32 v[4:5], v[4:5], v[8:9]
	v_pk_add_f32 v[2:3], v[2:3], v[4:5] neg_lo:[0,1] neg_hi:[0,1]
	buffer_store_dword v3, off, s[0:3], 0 offset:84
	buffer_store_dword v2, off, s[0:3], 0 offset:80
	s_and_saveexec_b64 s[4:5], vcc
	s_cbranch_execz .LBB40_241
; %bb.240:
	buffer_load_dword v2, off, s[0:3], 0 offset:72
	buffer_load_dword v3, off, s[0:3], 0 offset:76
	v_mov_b32_e32 v4, 0
	buffer_store_dword v4, off, s[0:3], 0 offset:72
	buffer_store_dword v4, off, s[0:3], 0 offset:76
	s_waitcnt vmcnt(2)
	ds_write_b64 v1, v[2:3]
.LBB40_241:
	s_or_b64 exec, exec, s[4:5]
	s_waitcnt lgkmcnt(0)
	; wave barrier
	s_waitcnt lgkmcnt(0)
	buffer_load_dword v5, off, s[0:3], 0 offset:84
	buffer_load_dword v14, off, s[0:3], 0 offset:92
	buffer_load_dword v138, off, s[0:3], 0 offset:100
	buffer_load_dword v140, off, s[0:3], 0 offset:108
	buffer_load_dword v158, off, s[0:3], 0 offset:116
	buffer_load_dword v159, off, s[0:3], 0 offset:124
	buffer_load_dword v160, off, s[0:3], 0 offset:132
	buffer_load_dword v161, off, s[0:3], 0 offset:140
	buffer_load_dword v162, off, s[0:3], 0 offset:148
	buffer_load_dword v163, off, s[0:3], 0 offset:156
	buffer_load_dword v164, off, s[0:3], 0 offset:164
	buffer_load_dword v165, off, s[0:3], 0 offset:172
	buffer_load_dword v166, off, s[0:3], 0 offset:80
	buffer_load_dword v167, off, s[0:3], 0 offset:88
	buffer_load_dword v168, off, s[0:3], 0 offset:96
	buffer_load_dword v169, off, s[0:3], 0 offset:104
	buffer_load_dword v170, off, s[0:3], 0 offset:112
	buffer_load_dword v171, off, s[0:3], 0 offset:120
	buffer_load_dword v172, off, s[0:3], 0 offset:128
	buffer_load_dword v173, off, s[0:3], 0 offset:136
	buffer_load_dword v174, off, s[0:3], 0 offset:144
	buffer_load_dword v175, off, s[0:3], 0 offset:152
	buffer_load_dword v176, off, s[0:3], 0 offset:160
	buffer_load_dword v177, off, s[0:3], 0 offset:168
	buffer_load_dword v178, off, s[0:3], 0 offset:180
	buffer_load_dword v179, off, s[0:3], 0 offset:176
	buffer_load_dword v180, off, s[0:3], 0 offset:188
	buffer_load_dword v181, off, s[0:3], 0 offset:184
	buffer_load_dword v182, off, s[0:3], 0 offset:196
	buffer_load_dword v183, off, s[0:3], 0 offset:192
	buffer_load_dword v184, off, s[0:3], 0 offset:204
	buffer_load_dword v185, off, s[0:3], 0 offset:200
	buffer_load_dword v186, off, s[0:3], 0 offset:212
	buffer_load_dword v187, off, s[0:3], 0 offset:208
	buffer_load_dword v188, off, s[0:3], 0 offset:220
	buffer_load_dword v189, off, s[0:3], 0 offset:216
	buffer_load_dword v190, off, s[0:3], 0 offset:228
	buffer_load_dword v191, off, s[0:3], 0 offset:224
	buffer_load_dword v192, off, s[0:3], 0 offset:236
	buffer_load_dword v193, off, s[0:3], 0 offset:232
	buffer_load_dword v194, off, s[0:3], 0 offset:240
	buffer_load_dword v195, off, s[0:3], 0 offset:244
	buffer_load_dword v2, off, s[0:3], 0 offset:72
	buffer_load_dword v3, off, s[0:3], 0 offset:76
	buffer_load_dword v196, off, s[0:3], 0 offset:252
	buffer_load_dword v197, off, s[0:3], 0 offset:248
	buffer_load_dword v198, off, s[0:3], 0 offset:260
	buffer_load_dword v199, off, s[0:3], 0 offset:256
	v_mov_b32_e32 v4, 0
	ds_read_b128 v[6:9], v4 offset:416
	ds_read_b128 v[10:13], v4 offset:432
	;; [unrolled: 1-line block ×6, first 2 shown]
	v_cmp_lt_u32_e32 vcc, 8, v0
	s_waitcnt vmcnt(47) lgkmcnt(5)
	v_mul_f32_e32 v15, v6, v5
	s_waitcnt vmcnt(46)
	v_mul_f32_e32 v114, v8, v14
	s_waitcnt vmcnt(45) lgkmcnt(4)
	v_mul_f32_e32 v115, v10, v138
	s_waitcnt vmcnt(44)
	v_mul_f32_e32 v116, v12, v140
	;; [unrolled: 4-line block ×6, first 2 shown]
	s_waitcnt vmcnt(35)
	v_fmac_f32_e32 v15, v7, v166
	s_waitcnt vmcnt(34)
	v_fmac_f32_e32 v114, v9, v167
	v_add_f32_e32 v15, 0, v15
	s_waitcnt vmcnt(33)
	v_fmac_f32_e32 v115, v11, v168
	v_add_f32_e32 v15, v15, v114
	;; [unrolled: 3-line block ×6, first 2 shown]
	ds_read_b128 v[114:117], v4 offset:512
	s_waitcnt vmcnt(28)
	v_fmac_f32_e32 v120, v105, v173
	v_add_f32_e32 v15, v15, v119
	s_waitcnt vmcnt(27)
	v_fmac_f32_e32 v121, v107, v174
	v_add_f32_e32 v15, v15, v120
	;; [unrolled: 3-line block ×3, first 2 shown]
	ds_read_b128 v[118:121], v4 offset:528
	s_waitcnt vmcnt(25)
	v_fmac_f32_e32 v123, v111, v176
	v_add_f32_e32 v15, v15, v122
	s_waitcnt vmcnt(24)
	v_fmac_f32_e32 v124, v113, v177
	v_add_f32_e32 v15, v15, v123
	s_waitcnt vmcnt(23) lgkmcnt(1)
	v_mul_f32_e32 v122, v114, v178
	v_add_f32_e32 v15, v15, v124
	s_waitcnt vmcnt(22)
	v_fmac_f32_e32 v122, v115, v179
	v_add_f32_e32 v15, v15, v122
	s_waitcnt vmcnt(21)
	v_mul_f32_e32 v122, v116, v180
	s_waitcnt vmcnt(20)
	v_fmac_f32_e32 v122, v117, v181
	v_add_f32_e32 v15, v15, v122
	s_waitcnt vmcnt(19) lgkmcnt(0)
	v_mul_f32_e32 v122, v118, v182
	s_waitcnt vmcnt(18)
	v_fmac_f32_e32 v122, v119, v183
	v_add_f32_e32 v15, v15, v122
	ds_read_b128 v[122:125], v4 offset:544
	s_waitcnt vmcnt(17)
	v_mul_f32_e32 v126, v120, v184
	s_waitcnt vmcnt(16)
	v_fmac_f32_e32 v126, v121, v185
	v_add_f32_e32 v15, v15, v126
	ds_read_b128 v[126:129], v4 offset:560
	s_waitcnt vmcnt(15) lgkmcnt(1)
	v_mul_f32_e32 v130, v122, v186
	s_waitcnt vmcnt(14)
	v_fmac_f32_e32 v130, v123, v187
	v_add_f32_e32 v15, v15, v130
	s_waitcnt vmcnt(13)
	v_mul_f32_e32 v130, v124, v188
	s_waitcnt vmcnt(12)
	v_fmac_f32_e32 v130, v125, v189
	v_add_f32_e32 v15, v15, v130
	s_waitcnt vmcnt(11) lgkmcnt(0)
	v_mul_f32_e32 v130, v126, v190
	s_waitcnt vmcnt(10)
	v_fmac_f32_e32 v130, v127, v191
	s_waitcnt vmcnt(9)
	v_mul_f32_e32 v134, v128, v192
	v_add_f32_e32 v15, v15, v130
	s_waitcnt vmcnt(8)
	v_fmac_f32_e32 v134, v129, v193
	ds_read_b128 v[130:133], v4 offset:576
	v_add_f32_e32 v15, v15, v134
	ds_read_b128 v[134:137], v4 offset:592
	buffer_load_dword v143, off, s[0:3], 0 offset:292
	buffer_load_dword v142, off, s[0:3], 0 offset:288
	;; [unrolled: 1-line block ×16, first 2 shown]
	v_mul_f32_e32 v5, v7, v5
	v_fma_f32 v5, v6, v166, -v5
	v_mul_f32_e32 v6, v9, v14
	v_add_f32_e32 v5, 0, v5
	v_fma_f32 v6, v8, v167, -v6
	v_add_f32_e32 v5, v5, v6
	v_mul_f32_e32 v6, v11, v138
	v_fma_f32 v6, v10, v168, -v6
	v_add_f32_e32 v5, v5, v6
	v_mul_f32_e32 v6, v13, v140
	;; [unrolled: 3-line block ×18, first 2 shown]
	v_fma_f32 v6, v128, v193, -v6
	s_waitcnt vmcnt(22) lgkmcnt(1)
	v_mul_f32_e32 v139, v130, v195
	v_add_f32_e32 v5, v5, v6
	v_mul_f32_e32 v6, v131, v195
	v_fmac_f32_e32 v139, v131, v194
	v_fma_f32 v6, v130, v194, -v6
	v_add_f32_e32 v15, v15, v139
	s_waitcnt vmcnt(19)
	v_mul_f32_e32 v139, v132, v196
	v_add_f32_e32 v14, v5, v6
	v_mul_f32_e32 v5, v133, v196
	s_waitcnt vmcnt(18)
	v_fmac_f32_e32 v139, v133, v197
	s_waitcnt vmcnt(17) lgkmcnt(0)
	v_mul_f32_e32 v141, v134, v198
	s_waitcnt vmcnt(9)
	v_mov_b32_e32 v104, v149
	v_pk_mul_f32 v[104:105], v[136:137], v[104:105] op_sel_hi:[1,0]
	v_fma_f32 v138, v132, v197, -v5
	v_mul_f32_e32 v5, v135, v198
	ds_read_b128 v[6:9], v4 offset:608
	ds_read_b128 v[10:13], v4 offset:624
	;; [unrolled: 1-line block ×3, first 2 shown]
	ds_read_b64 v[102:103], v4 offset:656
	s_waitcnt vmcnt(8)
	v_pk_fma_f32 v[106:107], v[136:137], v[148:149], v[104:105] op_sel:[0,0,1] op_sel_hi:[1,1,0] neg_lo:[0,0,1] neg_hi:[0,0,1]
	v_pk_fma_f32 v[104:105], v[136:137], v[148:149], v[104:105] op_sel:[0,0,1] op_sel_hi:[1,0,0]
	v_fmac_f32_e32 v141, v135, v199
	v_fma_f32 v140, v134, v199, -v5
	v_pk_add_f32 v[14:15], v[14:15], v[138:139]
	v_mov_b32_e32 v104, v147
	v_pk_add_f32 v[14:15], v[14:15], v[140:141]
	v_mov_b32_e32 v107, v105
	s_waitcnt lgkmcnt(3)
	v_pk_mul_f32 v[104:105], v[6:7], v[104:105] op_sel_hi:[1,0]
	v_pk_add_f32 v[14:15], v[14:15], v[106:107]
	v_pk_fma_f32 v[106:107], v[6:7], v[146:147], v[104:105] op_sel:[0,0,1] op_sel_hi:[1,1,0] neg_lo:[0,0,1] neg_hi:[0,0,1]
	v_pk_fma_f32 v[6:7], v[6:7], v[146:147], v[104:105] op_sel:[0,0,1] op_sel_hi:[1,0,0]
	v_mov_b32_e32 v107, v7
	v_pk_add_f32 v[6:7], v[14:15], v[106:107]
	v_mov_b32_e32 v14, v145
	v_pk_mul_f32 v[14:15], v[8:9], v[14:15] op_sel_hi:[1,0]
	v_pk_fma_f32 v[104:105], v[8:9], v[144:145], v[14:15] op_sel:[0,0,1] op_sel_hi:[1,1,0] neg_lo:[0,0,1] neg_hi:[0,0,1]
	v_pk_fma_f32 v[8:9], v[8:9], v[144:145], v[14:15] op_sel:[0,0,1] op_sel_hi:[1,0,0]
	v_mov_b32_e32 v8, v143
	v_mov_b32_e32 v105, v9
	s_waitcnt lgkmcnt(2)
	v_pk_mul_f32 v[8:9], v[10:11], v[8:9] op_sel_hi:[1,0]
	v_pk_fma_f32 v[14:15], v[10:11], v[142:143], v[8:9] op_sel:[0,0,1] op_sel_hi:[1,1,0] neg_lo:[0,0,1] neg_hi:[0,0,1]
	v_pk_fma_f32 v[8:9], v[10:11], v[142:143], v[8:9] op_sel:[0,0,1] op_sel_hi:[1,0,0]
	s_waitcnt vmcnt(1)
	v_mov_b32_e32 v8, v157
	v_mov_b32_e32 v15, v9
	v_pk_mul_f32 v[8:9], v[12:13], v[8:9] op_sel_hi:[1,0]
	s_waitcnt vmcnt(0)
	v_pk_fma_f32 v[10:11], v[12:13], v[156:157], v[8:9] op_sel:[0,0,1] op_sel_hi:[1,1,0] neg_lo:[0,0,1] neg_hi:[0,0,1]
	v_pk_fma_f32 v[8:9], v[12:13], v[156:157], v[8:9] op_sel:[0,0,1] op_sel_hi:[1,0,0]
	v_pk_add_f32 v[6:7], v[6:7], v[104:105]
	v_mov_b32_e32 v8, v155
	v_pk_add_f32 v[6:7], v[6:7], v[14:15]
	v_mov_b32_e32 v11, v9
	s_waitcnt lgkmcnt(1)
	v_pk_mul_f32 v[8:9], v[98:99], v[8:9] op_sel_hi:[1,0]
	v_pk_add_f32 v[6:7], v[6:7], v[10:11]
	v_pk_fma_f32 v[10:11], v[98:99], v[154:155], v[8:9] op_sel:[0,0,1] op_sel_hi:[1,1,0] neg_lo:[0,0,1] neg_hi:[0,0,1]
	v_pk_fma_f32 v[8:9], v[98:99], v[154:155], v[8:9] op_sel:[0,0,1] op_sel_hi:[1,0,0]
	v_mov_b32_e32 v8, v153
	v_mov_b32_e32 v11, v9
	v_pk_mul_f32 v[8:9], v[100:101], v[8:9] op_sel_hi:[1,0]
	v_pk_add_f32 v[6:7], v[6:7], v[10:11]
	v_pk_fma_f32 v[10:11], v[100:101], v[152:153], v[8:9] op_sel:[0,0,1] op_sel_hi:[1,1,0] neg_lo:[0,0,1] neg_hi:[0,0,1]
	v_pk_fma_f32 v[8:9], v[100:101], v[152:153], v[8:9] op_sel:[0,0,1] op_sel_hi:[1,0,0]
	v_mov_b32_e32 v8, v151
	v_mov_b32_e32 v11, v9
	s_waitcnt lgkmcnt(0)
	v_pk_mul_f32 v[8:9], v[102:103], v[8:9] op_sel_hi:[1,0]
	v_pk_add_f32 v[6:7], v[6:7], v[10:11]
	v_pk_fma_f32 v[10:11], v[102:103], v[150:151], v[8:9] op_sel:[0,0,1] op_sel_hi:[1,1,0] neg_lo:[0,0,1] neg_hi:[0,0,1]
	v_pk_fma_f32 v[8:9], v[102:103], v[150:151], v[8:9] op_sel:[0,0,1] op_sel_hi:[1,0,0]
	v_mov_b32_e32 v11, v9
	v_pk_add_f32 v[6:7], v[6:7], v[10:11]
	v_pk_add_f32 v[2:3], v[2:3], v[6:7] neg_lo:[0,1] neg_hi:[0,1]
	buffer_store_dword v3, off, s[0:3], 0 offset:76
	buffer_store_dword v2, off, s[0:3], 0 offset:72
	s_and_saveexec_b64 s[4:5], vcc
	s_cbranch_execz .LBB40_243
; %bb.242:
	buffer_load_dword v2, off, s[0:3], 0 offset:64
	buffer_load_dword v3, off, s[0:3], 0 offset:68
	s_waitcnt vmcnt(0)
	ds_write_b64 v1, v[2:3]
	buffer_store_dword v4, off, s[0:3], 0 offset:64
	buffer_store_dword v4, off, s[0:3], 0 offset:68
.LBB40_243:
	s_or_b64 exec, exec, s[4:5]
	s_waitcnt lgkmcnt(0)
	; wave barrier
	s_waitcnt lgkmcnt(0)
	buffer_load_dword v5, off, s[0:3], 0 offset:76
	buffer_load_dword v14, off, s[0:3], 0 offset:84
	buffer_load_dword v138, off, s[0:3], 0 offset:92
	buffer_load_dword v146, off, s[0:3], 0 offset:100
	buffer_load_dword v158, off, s[0:3], 0 offset:108
	buffer_load_dword v159, off, s[0:3], 0 offset:116
	buffer_load_dword v160, off, s[0:3], 0 offset:124
	buffer_load_dword v161, off, s[0:3], 0 offset:132
	buffer_load_dword v162, off, s[0:3], 0 offset:140
	buffer_load_dword v163, off, s[0:3], 0 offset:148
	buffer_load_dword v164, off, s[0:3], 0 offset:156
	buffer_load_dword v165, off, s[0:3], 0 offset:164
	buffer_load_dword v166, off, s[0:3], 0 offset:72
	buffer_load_dword v167, off, s[0:3], 0 offset:80
	buffer_load_dword v168, off, s[0:3], 0 offset:88
	buffer_load_dword v169, off, s[0:3], 0 offset:96
	buffer_load_dword v170, off, s[0:3], 0 offset:104
	buffer_load_dword v171, off, s[0:3], 0 offset:112
	buffer_load_dword v172, off, s[0:3], 0 offset:120
	buffer_load_dword v173, off, s[0:3], 0 offset:128
	buffer_load_dword v174, off, s[0:3], 0 offset:136
	buffer_load_dword v175, off, s[0:3], 0 offset:144
	buffer_load_dword v176, off, s[0:3], 0 offset:152
	buffer_load_dword v177, off, s[0:3], 0 offset:160
	buffer_load_dword v178, off, s[0:3], 0 offset:172
	buffer_load_dword v179, off, s[0:3], 0 offset:168
	buffer_load_dword v180, off, s[0:3], 0 offset:180
	buffer_load_dword v181, off, s[0:3], 0 offset:176
	buffer_load_dword v182, off, s[0:3], 0 offset:188
	buffer_load_dword v183, off, s[0:3], 0 offset:184
	buffer_load_dword v184, off, s[0:3], 0 offset:196
	buffer_load_dword v185, off, s[0:3], 0 offset:192
	buffer_load_dword v186, off, s[0:3], 0 offset:204
	buffer_load_dword v187, off, s[0:3], 0 offset:200
	buffer_load_dword v188, off, s[0:3], 0 offset:212
	buffer_load_dword v189, off, s[0:3], 0 offset:208
	buffer_load_dword v190, off, s[0:3], 0 offset:220
	buffer_load_dword v191, off, s[0:3], 0 offset:216
	buffer_load_dword v192, off, s[0:3], 0 offset:228
	buffer_load_dword v193, off, s[0:3], 0 offset:224
	buffer_load_dword v2, off, s[0:3], 0 offset:64
	buffer_load_dword v3, off, s[0:3], 0 offset:68
	buffer_load_dword v194, off, s[0:3], 0 offset:236
	buffer_load_dword v195, off, s[0:3], 0 offset:232
	buffer_load_dword v196, off, s[0:3], 0 offset:240
	buffer_load_dword v197, off, s[0:3], 0 offset:244
	buffer_load_dword v198, off, s[0:3], 0 offset:248
	buffer_load_dword v199, off, s[0:3], 0 offset:252
	ds_read2_b64 v[6:9], v4 offset0:51 offset1:52
	ds_read2_b64 v[10:13], v4 offset0:53 offset1:54
	;; [unrolled: 1-line block ×6, first 2 shown]
	buffer_load_dword v200, off, s[0:3], 0 offset:256
	buffer_load_dword v201, off, s[0:3], 0 offset:260
	v_cmp_lt_u32_e32 vcc, 7, v0
	s_waitcnt vmcnt(49) lgkmcnt(5)
	v_mul_f32_e32 v15, v6, v5
	s_waitcnt vmcnt(48)
	v_mul_f32_e32 v114, v8, v14
	s_waitcnt vmcnt(47) lgkmcnt(4)
	v_mul_f32_e32 v115, v10, v138
	s_waitcnt vmcnt(46)
	v_mul_f32_e32 v116, v12, v146
	;; [unrolled: 4-line block ×6, first 2 shown]
	s_waitcnt vmcnt(37)
	v_fmac_f32_e32 v15, v7, v166
	s_waitcnt vmcnt(36)
	v_fmac_f32_e32 v114, v9, v167
	v_add_f32_e32 v15, 0, v15
	s_waitcnt vmcnt(35)
	v_fmac_f32_e32 v115, v11, v168
	v_add_f32_e32 v15, v15, v114
	;; [unrolled: 3-line block ×6, first 2 shown]
	ds_read2_b64 v[114:117], v4 offset0:63 offset1:64
	s_waitcnt vmcnt(30)
	v_fmac_f32_e32 v120, v105, v173
	v_add_f32_e32 v15, v15, v119
	s_waitcnt vmcnt(29)
	v_fmac_f32_e32 v121, v107, v174
	v_add_f32_e32 v15, v15, v120
	;; [unrolled: 3-line block ×3, first 2 shown]
	ds_read2_b64 v[118:121], v4 offset0:65 offset1:66
	s_waitcnt vmcnt(27)
	v_fmac_f32_e32 v123, v111, v176
	v_add_f32_e32 v15, v15, v122
	v_add_f32_e32 v15, v15, v123
	s_waitcnt vmcnt(26)
	v_fmac_f32_e32 v124, v113, v177
	s_waitcnt vmcnt(25) lgkmcnt(1)
	v_mul_f32_e32 v122, v114, v178
	v_add_f32_e32 v15, v15, v124
	s_waitcnt vmcnt(24)
	v_fmac_f32_e32 v122, v115, v179
	v_add_f32_e32 v15, v15, v122
	s_waitcnt vmcnt(23)
	v_mul_f32_e32 v122, v116, v180
	s_waitcnt vmcnt(22)
	v_fmac_f32_e32 v122, v117, v181
	v_add_f32_e32 v15, v15, v122
	s_waitcnt vmcnt(21) lgkmcnt(0)
	v_mul_f32_e32 v122, v118, v182
	s_waitcnt vmcnt(20)
	v_fmac_f32_e32 v122, v119, v183
	v_add_f32_e32 v15, v15, v122
	ds_read2_b64 v[122:125], v4 offset0:67 offset1:68
	s_waitcnt vmcnt(19)
	v_mul_f32_e32 v126, v120, v184
	s_waitcnt vmcnt(18)
	v_fmac_f32_e32 v126, v121, v185
	v_add_f32_e32 v15, v15, v126
	ds_read2_b64 v[126:129], v4 offset0:69 offset1:70
	s_waitcnt vmcnt(17) lgkmcnt(1)
	v_mul_f32_e32 v130, v122, v186
	s_waitcnt vmcnt(16)
	v_fmac_f32_e32 v130, v123, v187
	v_add_f32_e32 v15, v15, v130
	s_waitcnt vmcnt(15)
	v_mul_f32_e32 v130, v124, v188
	s_waitcnt vmcnt(14)
	v_fmac_f32_e32 v130, v125, v189
	v_add_f32_e32 v15, v15, v130
	s_waitcnt vmcnt(13) lgkmcnt(0)
	v_mul_f32_e32 v130, v126, v190
	s_waitcnt vmcnt(12)
	v_fmac_f32_e32 v130, v127, v191
	s_waitcnt vmcnt(11)
	v_mul_f32_e32 v134, v128, v192
	v_add_f32_e32 v15, v15, v130
	s_waitcnt vmcnt(10)
	v_fmac_f32_e32 v134, v129, v193
	ds_read2_b64 v[130:133], v4 offset0:71 offset1:72
	v_add_f32_e32 v15, v15, v134
	ds_read2_b64 v[134:137], v4 offset0:73 offset1:74
	buffer_load_dword v141, off, s[0:3], 0 offset:284
	buffer_load_dword v140, off, s[0:3], 0 offset:280
	;; [unrolled: 1-line block ×16, first 2 shown]
	v_mul_f32_e32 v5, v7, v5
	v_fma_f32 v5, v6, v166, -v5
	v_mul_f32_e32 v6, v9, v14
	v_add_f32_e32 v5, 0, v5
	v_fma_f32 v6, v8, v167, -v6
	v_add_f32_e32 v5, v5, v6
	v_mul_f32_e32 v6, v11, v138
	v_fma_f32 v6, v10, v168, -v6
	v_add_f32_e32 v5, v5, v6
	v_mul_f32_e32 v6, v13, v146
	;; [unrolled: 3-line block ×18, first 2 shown]
	v_fma_f32 v6, v128, v193, -v6
	s_waitcnt vmcnt(23) lgkmcnt(1)
	v_mul_f32_e32 v139, v130, v194
	v_add_f32_e32 v5, v5, v6
	v_mul_f32_e32 v6, v131, v194
	s_waitcnt vmcnt(22)
	v_fmac_f32_e32 v139, v131, v195
	v_fma_f32 v6, v130, v195, -v6
	v_add_f32_e32 v15, v15, v139
	s_waitcnt vmcnt(20)
	v_mul_f32_e32 v139, v132, v197
	v_add_f32_e32 v5, v5, v6
	v_mul_f32_e32 v6, v133, v197
	v_fmac_f32_e32 v139, v133, v196
	v_fma_f32 v6, v132, v196, -v6
	v_add_f32_e32 v15, v15, v139
	s_waitcnt vmcnt(18) lgkmcnt(0)
	v_mul_f32_e32 v139, v134, v199
	v_add_f32_e32 v14, v5, v6
	v_mul_f32_e32 v5, v135, v199
	v_fmac_f32_e32 v139, v135, v198
	v_fma_f32 v138, v134, v198, -v5
	s_waitcnt vmcnt(16)
	v_mul_f32_e32 v5, v137, v201
	ds_read2_b64 v[6:9], v4 offset0:75 offset1:76
	ds_read2_b64 v[10:13], v4 offset0:77 offset1:78
	;; [unrolled: 1-line block ×4, first 2 shown]
	v_fma_f32 v146, v136, v200, -v5
	v_pk_add_f32 v[4:5], v[14:15], v[138:139]
	s_waitcnt vmcnt(11)
	v_mov_b32_e32 v14, v145
	s_waitcnt lgkmcnt(3)
	v_pk_mul_f32 v[14:15], v[6:7], v[14:15] op_sel_hi:[1,0]
	s_waitcnt vmcnt(10)
	v_pk_fma_f32 v[106:107], v[6:7], v[144:145], v[14:15] op_sel:[0,0,1] op_sel_hi:[1,1,0] neg_lo:[0,0,1] neg_hi:[0,0,1]
	v_pk_fma_f32 v[6:7], v[6:7], v[144:145], v[14:15] op_sel:[0,0,1] op_sel_hi:[1,0,0]
	v_mov_b32_e32 v6, v143
	v_mov_b32_e32 v107, v7
	v_pk_mul_f32 v[6:7], v[8:9], v[6:7] op_sel_hi:[1,0]
	v_pk_fma_f32 v[14:15], v[8:9], v[142:143], v[6:7] op_sel:[0,0,1] op_sel_hi:[1,1,0] neg_lo:[0,0,1] neg_hi:[0,0,1]
	v_pk_fma_f32 v[6:7], v[8:9], v[142:143], v[6:7] op_sel:[0,0,1] op_sel_hi:[1,0,0]
	v_mul_f32_e32 v147, v136, v201
	v_mov_b32_e32 v6, v141
	v_fmac_f32_e32 v147, v137, v200
	v_mov_b32_e32 v15, v7
	s_waitcnt lgkmcnt(2)
	v_pk_mul_f32 v[6:7], v[10:11], v[6:7] op_sel_hi:[1,0]
	v_pk_add_f32 v[4:5], v[4:5], v[146:147]
	v_pk_fma_f32 v[8:9], v[10:11], v[140:141], v[6:7] op_sel:[0,0,1] op_sel_hi:[1,1,0] neg_lo:[0,0,1] neg_hi:[0,0,1]
	v_pk_fma_f32 v[6:7], v[10:11], v[140:141], v[6:7] op_sel:[0,0,1] op_sel_hi:[1,0,0]
	v_pk_add_f32 v[4:5], v[4:5], v[106:107]
	s_waitcnt vmcnt(3)
	v_mov_b32_e32 v6, v155
	v_pk_add_f32 v[4:5], v[4:5], v[14:15]
	v_mov_b32_e32 v9, v7
	v_pk_mul_f32 v[6:7], v[12:13], v[6:7] op_sel_hi:[1,0]
	v_pk_add_f32 v[4:5], v[4:5], v[8:9]
	s_waitcnt vmcnt(2)
	v_pk_fma_f32 v[8:9], v[12:13], v[154:155], v[6:7] op_sel:[0,0,1] op_sel_hi:[1,1,0] neg_lo:[0,0,1] neg_hi:[0,0,1]
	v_pk_fma_f32 v[6:7], v[12:13], v[154:155], v[6:7] op_sel:[0,0,1] op_sel_hi:[1,0,0]
	v_mov_b32_e32 v6, v153
	v_mov_b32_e32 v9, v7
	s_waitcnt lgkmcnt(1)
	v_pk_mul_f32 v[6:7], v[98:99], v[6:7] op_sel_hi:[1,0]
	v_pk_add_f32 v[4:5], v[4:5], v[8:9]
	v_pk_fma_f32 v[8:9], v[98:99], v[152:153], v[6:7] op_sel:[0,0,1] op_sel_hi:[1,1,0] neg_lo:[0,0,1] neg_hi:[0,0,1]
	v_pk_fma_f32 v[6:7], v[98:99], v[152:153], v[6:7] op_sel:[0,0,1] op_sel_hi:[1,0,0]
	v_mov_b32_e32 v6, v151
	v_mov_b32_e32 v9, v7
	v_pk_mul_f32 v[6:7], v[100:101], v[6:7] op_sel_hi:[1,0]
	v_pk_add_f32 v[4:5], v[4:5], v[8:9]
	v_pk_fma_f32 v[8:9], v[100:101], v[150:151], v[6:7] op_sel:[0,0,1] op_sel_hi:[1,1,0] neg_lo:[0,0,1] neg_hi:[0,0,1]
	v_pk_fma_f32 v[6:7], v[100:101], v[150:151], v[6:7] op_sel:[0,0,1] op_sel_hi:[1,0,0]
	v_mov_b32_e32 v6, v149
	v_mov_b32_e32 v9, v7
	s_waitcnt lgkmcnt(0)
	v_pk_mul_f32 v[6:7], v[102:103], v[6:7] op_sel_hi:[1,0]
	v_pk_add_f32 v[4:5], v[4:5], v[8:9]
	v_pk_fma_f32 v[8:9], v[102:103], v[148:149], v[6:7] op_sel:[0,0,1] op_sel_hi:[1,1,0] neg_lo:[0,0,1] neg_hi:[0,0,1]
	v_pk_fma_f32 v[6:7], v[102:103], v[148:149], v[6:7] op_sel:[0,0,1] op_sel_hi:[1,0,0]
	s_waitcnt vmcnt(1)
	v_mov_b32_e32 v6, v157
	v_mov_b32_e32 v9, v7
	v_pk_mul_f32 v[6:7], v[104:105], v[6:7] op_sel_hi:[1,0]
	v_pk_add_f32 v[4:5], v[4:5], v[8:9]
	s_waitcnt vmcnt(0)
	v_pk_fma_f32 v[8:9], v[104:105], v[156:157], v[6:7] op_sel:[0,0,1] op_sel_hi:[1,1,0] neg_lo:[0,0,1] neg_hi:[0,0,1]
	v_pk_fma_f32 v[6:7], v[104:105], v[156:157], v[6:7] op_sel:[0,0,1] op_sel_hi:[1,0,0]
	v_mov_b32_e32 v9, v7
	v_pk_add_f32 v[4:5], v[4:5], v[8:9]
	v_pk_add_f32 v[2:3], v[2:3], v[4:5] neg_lo:[0,1] neg_hi:[0,1]
	buffer_store_dword v3, off, s[0:3], 0 offset:68
	buffer_store_dword v2, off, s[0:3], 0 offset:64
	s_and_saveexec_b64 s[4:5], vcc
	s_cbranch_execz .LBB40_245
; %bb.244:
	buffer_load_dword v2, off, s[0:3], 0 offset:56
	buffer_load_dword v3, off, s[0:3], 0 offset:60
	v_mov_b32_e32 v4, 0
	buffer_store_dword v4, off, s[0:3], 0 offset:56
	buffer_store_dword v4, off, s[0:3], 0 offset:60
	s_waitcnt vmcnt(2)
	ds_write_b64 v1, v[2:3]
.LBB40_245:
	s_or_b64 exec, exec, s[4:5]
	s_waitcnt lgkmcnt(0)
	; wave barrier
	s_waitcnt lgkmcnt(0)
	buffer_load_dword v5, off, s[0:3], 0 offset:68
	buffer_load_dword v14, off, s[0:3], 0 offset:76
	;; [unrolled: 1-line block ×52, first 2 shown]
	v_mov_b32_e32 v4, 0
	ds_read_b128 v[6:9], v4 offset:400
	ds_read_b128 v[10:13], v4 offset:416
	ds_read_b128 v[98:101], v4 offset:432
	ds_read_b128 v[102:105], v4 offset:448
	ds_read_b128 v[106:109], v4 offset:464
	ds_read_b128 v[110:113], v4 offset:480
	v_cmp_lt_u32_e32 vcc, 6, v0
	s_waitcnt vmcnt(51) lgkmcnt(5)
	v_mul_f32_e32 v15, v6, v5
	s_waitcnt vmcnt(50)
	v_mul_f32_e32 v114, v8, v14
	s_waitcnt vmcnt(49) lgkmcnt(4)
	v_mul_f32_e32 v115, v10, v150
	s_waitcnt vmcnt(48)
	v_mul_f32_e32 v116, v12, v152
	;; [unrolled: 4-line block ×5, first 2 shown]
	s_waitcnt vmcnt(41) lgkmcnt(0)
	v_mul_f32_e32 v123, v110, v172
	s_waitcnt vmcnt(40)
	v_fmac_f32_e32 v15, v7, v173
	s_waitcnt vmcnt(39)
	v_fmac_f32_e32 v114, v9, v174
	v_add_f32_e32 v15, 0, v15
	s_waitcnt vmcnt(38)
	v_fmac_f32_e32 v115, v11, v175
	v_add_f32_e32 v15, v15, v114
	;; [unrolled: 3-line block ×8, first 2 shown]
	ds_read_b128 v[114:117], v4 offset:496
	s_waitcnt vmcnt(31)
	v_fmac_f32_e32 v122, v109, v182
	v_add_f32_e32 v15, v15, v121
	v_add_f32_e32 v15, v15, v122
	s_waitcnt vmcnt(30)
	v_fmac_f32_e32 v123, v111, v183
	s_waitcnt vmcnt(29)
	v_mul_f32_e32 v118, v112, v184
	v_add_f32_e32 v15, v15, v123
	s_waitcnt vmcnt(28)
	v_fmac_f32_e32 v118, v113, v185
	v_add_f32_e32 v15, v15, v118
	ds_read_b128 v[118:121], v4 offset:512
	s_waitcnt vmcnt(27) lgkmcnt(1)
	v_mul_f32_e32 v122, v114, v186
	s_waitcnt vmcnt(26)
	v_fmac_f32_e32 v122, v115, v187
	v_add_f32_e32 v15, v15, v122
	s_waitcnt vmcnt(25)
	v_mul_f32_e32 v122, v116, v188
	s_waitcnt vmcnt(24)
	v_fmac_f32_e32 v122, v117, v189
	v_add_f32_e32 v15, v15, v122
	s_waitcnt vmcnt(23) lgkmcnt(0)
	v_mul_f32_e32 v122, v118, v190
	s_waitcnt vmcnt(22)
	v_fmac_f32_e32 v122, v119, v191
	v_add_f32_e32 v15, v15, v122
	ds_read_b128 v[122:125], v4 offset:528
	s_waitcnt vmcnt(21)
	v_mul_f32_e32 v126, v120, v192
	s_waitcnt vmcnt(20)
	v_fmac_f32_e32 v126, v121, v193
	v_add_f32_e32 v15, v15, v126
	ds_read_b128 v[126:129], v4 offset:544
	s_waitcnt vmcnt(19) lgkmcnt(1)
	v_mul_f32_e32 v130, v122, v194
	s_waitcnt vmcnt(18)
	v_fmac_f32_e32 v130, v123, v195
	v_add_f32_e32 v15, v15, v130
	s_waitcnt vmcnt(17)
	v_mul_f32_e32 v130, v124, v196
	s_waitcnt vmcnt(16)
	v_fmac_f32_e32 v130, v125, v197
	v_add_f32_e32 v15, v15, v130
	s_waitcnt vmcnt(14) lgkmcnt(0)
	v_mul_f32_e32 v130, v126, v199
	v_fmac_f32_e32 v130, v127, v198
	v_add_f32_e32 v15, v15, v130
	ds_read_b128 v[130:133], v4 offset:560
	s_waitcnt vmcnt(10)
	v_mul_f32_e32 v134, v128, v201
	v_fmac_f32_e32 v134, v129, v200
	v_add_f32_e32 v15, v15, v134
	ds_read_b128 v[134:137], v4 offset:576
	s_waitcnt vmcnt(8) lgkmcnt(1)
	v_mul_f32_e32 v138, v130, v203
	v_fmac_f32_e32 v138, v131, v202
	v_add_f32_e32 v15, v15, v138
	s_waitcnt vmcnt(6)
	v_mul_f32_e32 v138, v132, v205
	v_fmac_f32_e32 v138, v133, v204
	v_add_f32_e32 v15, v15, v138
	s_waitcnt vmcnt(4) lgkmcnt(0)
	v_mul_f32_e32 v138, v134, v207
	v_fmac_f32_e32 v138, v135, v206
	v_add_f32_e32 v15, v15, v138
	ds_read_b128 v[138:141], v4 offset:592
	buffer_load_dword v147, off, s[0:3], 0 offset:276
	buffer_load_dword v146, off, s[0:3], 0 offset:272
	;; [unrolled: 1-line block ×4, first 2 shown]
	ds_read_b128 v[142:145], v4 offset:608
	buffer_load_dword v155, off, s[0:3], 0 offset:308
	buffer_load_dword v154, off, s[0:3], 0 offset:304
	;; [unrolled: 1-line block ×12, first 2 shown]
	v_mul_f32_e32 v5, v7, v5
	v_fma_f32 v5, v6, v173, -v5
	v_mul_f32_e32 v6, v9, v14
	v_add_f32_e32 v5, 0, v5
	v_fma_f32 v6, v8, v174, -v6
	v_add_f32_e32 v5, v5, v6
	v_mul_f32_e32 v6, v11, v150
	v_fma_f32 v6, v10, v175, -v6
	v_add_f32_e32 v5, v5, v6
	v_mul_f32_e32 v6, v13, v152
	v_fma_f32 v6, v12, v176, -v6
	v_add_f32_e32 v5, v5, v6
	v_mul_f32_e32 v6, v99, v166
	v_fma_f32 v6, v98, v177, -v6
	v_add_f32_e32 v5, v5, v6
	v_mul_f32_e32 v6, v101, v167
	v_fma_f32 v6, v100, v178, -v6
	v_add_f32_e32 v5, v5, v6
	v_mul_f32_e32 v6, v103, v168
	v_fma_f32 v6, v102, v179, -v6
	v_add_f32_e32 v5, v5, v6
	v_mul_f32_e32 v6, v105, v169
	v_fma_f32 v6, v104, v180, -v6
	v_add_f32_e32 v5, v5, v6
	v_mul_f32_e32 v6, v107, v170
	v_fma_f32 v6, v106, v181, -v6
	v_add_f32_e32 v5, v5, v6
	v_mul_f32_e32 v6, v109, v171
	v_fma_f32 v6, v108, v182, -v6
	v_add_f32_e32 v5, v5, v6
	v_mul_f32_e32 v6, v111, v172
	v_fma_f32 v6, v110, v183, -v6
	v_add_f32_e32 v5, v5, v6
	v_mul_f32_e32 v6, v113, v184
	v_fma_f32 v6, v112, v185, -v6
	v_add_f32_e32 v5, v5, v6
	v_mul_f32_e32 v6, v115, v186
	v_fma_f32 v6, v114, v187, -v6
	v_add_f32_e32 v5, v5, v6
	v_mul_f32_e32 v6, v117, v188
	v_fma_f32 v6, v116, v189, -v6
	v_add_f32_e32 v5, v5, v6
	v_mul_f32_e32 v6, v119, v190
	v_fma_f32 v6, v118, v191, -v6
	v_add_f32_e32 v5, v5, v6
	v_mul_f32_e32 v6, v121, v192
	v_fma_f32 v6, v120, v193, -v6
	v_add_f32_e32 v5, v5, v6
	v_mul_f32_e32 v6, v123, v194
	v_fma_f32 v6, v122, v195, -v6
	v_add_f32_e32 v5, v5, v6
	v_mul_f32_e32 v6, v125, v196
	v_fma_f32 v6, v124, v197, -v6
	v_add_f32_e32 v5, v5, v6
	v_mul_f32_e32 v6, v127, v199
	v_fma_f32 v6, v126, v198, -v6
	v_add_f32_e32 v5, v5, v6
	v_mul_f32_e32 v6, v129, v201
	v_fma_f32 v6, v128, v200, -v6
	v_add_f32_e32 v5, v5, v6
	v_mul_f32_e32 v6, v131, v203
	v_fma_f32 v6, v130, v202, -v6
	v_add_f32_e32 v5, v5, v6
	v_mul_f32_e32 v6, v133, v205
	v_fma_f32 v6, v132, v204, -v6
	v_add_f32_e32 v5, v5, v6
	v_mul_f32_e32 v6, v135, v207
	v_fma_f32 v6, v134, v206, -v6
	s_waitcnt vmcnt(18)
	v_mul_f32_e32 v151, v136, v209
	v_add_f32_e32 v14, v5, v6
	v_mul_f32_e32 v5, v137, v209
	v_fmac_f32_e32 v151, v137, v208
	s_waitcnt vmcnt(16) lgkmcnt(1)
	v_mul_f32_e32 v153, v138, v211
	v_fma_f32 v150, v136, v208, -v5
	v_mul_f32_e32 v5, v139, v211
	v_fmac_f32_e32 v153, v139, v210
	s_waitcnt vmcnt(13)
	v_mov_b32_e32 v100, v149
	v_pk_mul_f32 v[100:101], v[140:141], v[100:101] op_sel_hi:[1,0]
	s_waitcnt vmcnt(12)
	v_pk_fma_f32 v[102:103], v[140:141], v[148:149], v[100:101] op_sel:[0,0,1] op_sel_hi:[1,1,0] neg_lo:[0,0,1] neg_hi:[0,0,1]
	v_pk_fma_f32 v[100:101], v[140:141], v[148:149], v[100:101] op_sel:[0,0,1] op_sel_hi:[1,0,0]
	v_fma_f32 v152, v138, v210, -v5
	v_pk_add_f32 v[14:15], v[14:15], v[150:151]
	v_mov_b32_e32 v100, v147
	v_pk_add_f32 v[14:15], v[14:15], v[152:153]
	v_mov_b32_e32 v103, v101
	s_waitcnt lgkmcnt(0)
	v_pk_mul_f32 v[100:101], v[142:143], v[100:101] op_sel_hi:[1,0]
	v_pk_add_f32 v[14:15], v[14:15], v[102:103]
	v_pk_fma_f32 v[102:103], v[142:143], v[146:147], v[100:101] op_sel:[0,0,1] op_sel_hi:[1,1,0] neg_lo:[0,0,1] neg_hi:[0,0,1]
	v_pk_fma_f32 v[100:101], v[142:143], v[146:147], v[100:101] op_sel:[0,0,1] op_sel_hi:[1,0,0]
	s_waitcnt vmcnt(5)
	v_mov_b32_e32 v100, v161
	ds_read_b128 v[6:9], v4 offset:624
	ds_read_b128 v[10:13], v4 offset:640
	ds_read_b64 v[98:99], v4 offset:656
	v_mov_b32_e32 v103, v101
	v_pk_mul_f32 v[100:101], v[144:145], v[100:101] op_sel_hi:[1,0]
	v_pk_add_f32 v[14:15], v[14:15], v[102:103]
	s_waitcnt vmcnt(4)
	v_pk_fma_f32 v[102:103], v[144:145], v[160:161], v[100:101] op_sel:[0,0,1] op_sel_hi:[1,1,0] neg_lo:[0,0,1] neg_hi:[0,0,1]
	v_pk_fma_f32 v[100:101], v[144:145], v[160:161], v[100:101] op_sel:[0,0,1] op_sel_hi:[1,0,0]
	v_mov_b32_e32 v100, v159
	v_mov_b32_e32 v103, v101
	s_waitcnt lgkmcnt(2)
	v_pk_mul_f32 v[100:101], v[6:7], v[100:101] op_sel_hi:[1,0]
	v_pk_add_f32 v[14:15], v[14:15], v[102:103]
	v_pk_fma_f32 v[102:103], v[6:7], v[158:159], v[100:101] op_sel:[0,0,1] op_sel_hi:[1,1,0] neg_lo:[0,0,1] neg_hi:[0,0,1]
	v_pk_fma_f32 v[6:7], v[6:7], v[158:159], v[100:101] op_sel:[0,0,1] op_sel_hi:[1,0,0]
	v_mov_b32_e32 v103, v7
	v_pk_add_f32 v[6:7], v[14:15], v[102:103]
	v_mov_b32_e32 v14, v157
	v_pk_mul_f32 v[14:15], v[8:9], v[14:15] op_sel_hi:[1,0]
	v_pk_fma_f32 v[100:101], v[8:9], v[156:157], v[14:15] op_sel:[0,0,1] op_sel_hi:[1,1,0] neg_lo:[0,0,1] neg_hi:[0,0,1]
	v_pk_fma_f32 v[8:9], v[8:9], v[156:157], v[14:15] op_sel:[0,0,1] op_sel_hi:[1,0,0]
	v_mov_b32_e32 v8, v155
	v_mov_b32_e32 v101, v9
	s_waitcnt lgkmcnt(1)
	v_pk_mul_f32 v[8:9], v[10:11], v[8:9] op_sel_hi:[1,0]
	v_pk_fma_f32 v[14:15], v[10:11], v[154:155], v[8:9] op_sel:[0,0,1] op_sel_hi:[1,1,0] neg_lo:[0,0,1] neg_hi:[0,0,1]
	v_pk_fma_f32 v[8:9], v[10:11], v[154:155], v[8:9] op_sel:[0,0,1] op_sel_hi:[1,0,0]
	s_waitcnt vmcnt(1)
	v_mov_b32_e32 v8, v165
	v_mov_b32_e32 v15, v9
	v_pk_mul_f32 v[8:9], v[12:13], v[8:9] op_sel_hi:[1,0]
	s_waitcnt vmcnt(0)
	v_pk_fma_f32 v[10:11], v[12:13], v[164:165], v[8:9] op_sel:[0,0,1] op_sel_hi:[1,1,0] neg_lo:[0,0,1] neg_hi:[0,0,1]
	v_pk_fma_f32 v[8:9], v[12:13], v[164:165], v[8:9] op_sel:[0,0,1] op_sel_hi:[1,0,0]
	v_pk_add_f32 v[6:7], v[6:7], v[100:101]
	v_mov_b32_e32 v8, v163
	v_pk_add_f32 v[6:7], v[6:7], v[14:15]
	v_mov_b32_e32 v11, v9
	s_waitcnt lgkmcnt(0)
	v_pk_mul_f32 v[8:9], v[98:99], v[8:9] op_sel_hi:[1,0]
	v_pk_add_f32 v[6:7], v[6:7], v[10:11]
	v_pk_fma_f32 v[10:11], v[98:99], v[162:163], v[8:9] op_sel:[0,0,1] op_sel_hi:[1,1,0] neg_lo:[0,0,1] neg_hi:[0,0,1]
	v_pk_fma_f32 v[8:9], v[98:99], v[162:163], v[8:9] op_sel:[0,0,1] op_sel_hi:[1,0,0]
	v_mov_b32_e32 v11, v9
	v_pk_add_f32 v[6:7], v[6:7], v[10:11]
	v_pk_add_f32 v[2:3], v[2:3], v[6:7] neg_lo:[0,1] neg_hi:[0,1]
	buffer_store_dword v3, off, s[0:3], 0 offset:60
	buffer_store_dword v2, off, s[0:3], 0 offset:56
	s_and_saveexec_b64 s[4:5], vcc
	s_cbranch_execz .LBB40_247
; %bb.246:
	buffer_load_dword v2, off, s[0:3], 0 offset:48
	buffer_load_dword v3, off, s[0:3], 0 offset:52
	s_waitcnt vmcnt(0)
	ds_write_b64 v1, v[2:3]
	buffer_store_dword v4, off, s[0:3], 0 offset:48
	buffer_store_dword v4, off, s[0:3], 0 offset:52
.LBB40_247:
	s_or_b64 exec, exec, s[4:5]
	s_waitcnt lgkmcnt(0)
	; wave barrier
	s_waitcnt lgkmcnt(0)
	buffer_load_dword v5, off, s[0:3], 0 offset:60
	buffer_load_dword v146, off, s[0:3], 0 offset:68
	;; [unrolled: 1-line block ×42, first 2 shown]
	ds_read2_b64 v[6:9], v4 offset0:49 offset1:50
	ds_read2_b64 v[10:13], v4 offset0:51 offset1:52
	buffer_load_dword v202, off, s[0:3], 0 offset:216
	buffer_load_dword v203, off, s[0:3], 0 offset:220
	ds_read2_b64 v[98:101], v4 offset0:53 offset1:54
	ds_read2_b64 v[102:105], v4 offset0:55 offset1:56
	buffer_load_dword v204, off, s[0:3], 0 offset:224
	buffer_load_dword v205, off, s[0:3], 0 offset:228
	;; [unrolled: 1-line block ×4, first 2 shown]
	ds_read2_b64 v[106:109], v4 offset0:57 offset1:58
	ds_read2_b64 v[110:113], v4 offset0:59 offset1:60
	buffer_load_dword v208, off, s[0:3], 0 offset:240
	buffer_load_dword v209, off, s[0:3], 0 offset:244
	;; [unrolled: 1-line block ×6, first 2 shown]
	ds_read2_b64 v[122:125], v4 offset0:65 offset1:66
	ds_read2_b64 v[126:129], v4 offset0:67 offset1:68
	ds_read2_b64 v[130:133], v4 offset0:69 offset1:70
	ds_read2_b64 v[134:137], v4 offset0:71 offset1:72
	v_cmp_lt_u32_e32 vcc, 5, v0
	s_waitcnt vmcnt(53) lgkmcnt(9)
	v_mul_f32_e32 v14, v6, v5
	s_waitcnt vmcnt(52)
	v_mul_f32_e32 v15, v8, v146
	s_waitcnt vmcnt(51) lgkmcnt(8)
	v_mul_f32_e32 v114, v10, v148
	s_waitcnt vmcnt(50)
	v_mul_f32_e32 v115, v12, v150
	;; [unrolled: 4-line block ×5, first 2 shown]
	s_waitcnt vmcnt(43)
	v_fmac_f32_e32 v14, v7, v172
	s_waitcnt vmcnt(42)
	v_fmac_f32_e32 v15, v9, v173
	v_add_f32_e32 v14, 0, v14
	s_waitcnt vmcnt(41)
	v_fmac_f32_e32 v114, v11, v174
	v_add_f32_e32 v14, v14, v15
	;; [unrolled: 3-line block ×8, first 2 shown]
	ds_read2_b64 v[114:117], v4 offset0:61 offset1:62
	s_waitcnt vmcnt(34)
	v_fmac_f32_e32 v121, v109, v181
	v_add_f32_e32 v14, v14, v120
	s_waitcnt vmcnt(33) lgkmcnt(5)
	v_mul_f32_e32 v15, v110, v182
	v_add_f32_e32 v14, v14, v121
	ds_read2_b64 v[118:121], v4 offset0:63 offset1:64
	s_waitcnt vmcnt(32)
	v_fmac_f32_e32 v15, v111, v183
	v_add_f32_e32 v14, v14, v15
	s_waitcnt vmcnt(31)
	v_mul_f32_e32 v15, v112, v184
	s_waitcnt vmcnt(30)
	v_fmac_f32_e32 v15, v113, v185
	v_add_f32_e32 v14, v14, v15
	s_waitcnt vmcnt(29) lgkmcnt(1)
	v_mul_f32_e32 v15, v114, v186
	s_waitcnt vmcnt(28)
	v_fmac_f32_e32 v15, v115, v187
	v_add_f32_e32 v14, v14, v15
	s_waitcnt vmcnt(27)
	v_mul_f32_e32 v15, v116, v188
	s_waitcnt vmcnt(26)
	v_fmac_f32_e32 v15, v117, v189
	v_add_f32_e32 v14, v14, v15
	s_waitcnt vmcnt(25) lgkmcnt(0)
	v_mul_f32_e32 v15, v118, v190
	s_waitcnt vmcnt(24)
	v_fmac_f32_e32 v15, v119, v191
	v_add_f32_e32 v14, v14, v15
	s_waitcnt vmcnt(23)
	v_mul_f32_e32 v15, v120, v192
	s_waitcnt vmcnt(22)
	v_fmac_f32_e32 v15, v121, v193
	v_add_f32_e32 v14, v14, v15
	s_waitcnt vmcnt(21)
	;; [unrolled: 5-line block ×3, first 2 shown]
	v_mul_f32_e32 v15, v124, v197
	v_fmac_f32_e32 v15, v125, v196
	v_add_f32_e32 v14, v14, v15
	s_waitcnt vmcnt(15)
	v_mul_f32_e32 v15, v126, v198
	s_waitcnt vmcnt(14)
	v_fmac_f32_e32 v15, v127, v199
	v_add_f32_e32 v14, v14, v15
	s_waitcnt vmcnt(12)
	v_mul_f32_e32 v15, v128, v201
	v_fmac_f32_e32 v15, v129, v200
	v_add_f32_e32 v14, v14, v15
	s_waitcnt vmcnt(10)
	v_mul_f32_e32 v15, v130, v203
	;; [unrolled: 4-line block ×4, first 2 shown]
	v_fmac_f32_e32 v15, v135, v206
	v_add_f32_e32 v142, v14, v15
	buffer_load_dword v15, off, s[0:3], 0 offset:268
	buffer_load_dword v14, off, s[0:3], 0 offset:264
	s_waitcnt vmcnt(6)
	v_mul_f32_e32 v143, v136, v209
	v_fmac_f32_e32 v143, v137, v208
	ds_read2_b64 v[138:141], v4 offset0:73 offset1:74
	v_add_f32_e32 v147, v142, v143
	ds_read2_b64 v[142:145], v4 offset0:75 offset1:76
	buffer_load_dword v153, off, s[0:3], 0 offset:300
	buffer_load_dword v152, off, s[0:3], 0 offset:296
	;; [unrolled: 1-line block ×14, first 2 shown]
	v_mul_f32_e32 v5, v7, v5
	v_fma_f32 v5, v6, v172, -v5
	v_mul_f32_e32 v6, v9, v146
	v_add_f32_e32 v5, 0, v5
	v_fma_f32 v6, v8, v173, -v6
	v_add_f32_e32 v5, v5, v6
	v_mul_f32_e32 v6, v11, v148
	v_fma_f32 v6, v10, v174, -v6
	v_add_f32_e32 v5, v5, v6
	v_mul_f32_e32 v6, v13, v150
	;; [unrolled: 3-line block ×22, first 2 shown]
	v_fma_f32 v6, v136, v208, -v6
	s_waitcnt vmcnt(18) lgkmcnt(1)
	v_mul_f32_e32 v149, v138, v211
	s_waitcnt vmcnt(15)
	v_mov_b32_e32 v102, v15
	s_waitcnt lgkmcnt(0)
	v_pk_mul_f32 v[102:103], v[142:143], v[102:103] op_sel_hi:[1,0]
	s_waitcnt vmcnt(14)
	v_pk_fma_f32 v[104:105], v[142:143], v[14:15], v[102:103] op_sel:[0,0,1] op_sel_hi:[1,1,0] neg_lo:[0,0,1] neg_hi:[0,0,1]
	v_pk_fma_f32 v[14:15], v[142:143], v[14:15], v[102:103] op_sel:[0,0,1] op_sel_hi:[1,0,0]
	v_add_f32_e32 v146, v5, v6
	v_mul_f32_e32 v5, v139, v211
	s_waitcnt vmcnt(7)
	v_mov_b32_e32 v14, v159
	v_fmac_f32_e32 v149, v139, v210
	v_mul_f32_e32 v151, v140, v213
	v_fma_f32 v148, v138, v210, -v5
	v_mul_f32_e32 v5, v141, v213
	ds_read2_b64 v[6:9], v4 offset0:77 offset1:78
	ds_read2_b64 v[10:13], v4 offset0:79 offset1:80
	;; [unrolled: 1-line block ×3, first 2 shown]
	v_mov_b32_e32 v105, v15
	v_pk_mul_f32 v[14:15], v[144:145], v[14:15] op_sel_hi:[1,0]
	v_fmac_f32_e32 v151, v141, v212
	v_fma_f32 v150, v140, v212, -v5
	v_pk_add_f32 v[4:5], v[146:147], v[148:149]
	s_waitcnt vmcnt(6)
	v_pk_fma_f32 v[102:103], v[144:145], v[158:159], v[14:15] op_sel:[0,0,1] op_sel_hi:[1,1,0] neg_lo:[0,0,1] neg_hi:[0,0,1]
	v_pk_fma_f32 v[14:15], v[144:145], v[158:159], v[14:15] op_sel:[0,0,1] op_sel_hi:[1,0,0]
	v_pk_add_f32 v[4:5], v[4:5], v[150:151]
	v_mov_b32_e32 v14, v157
	v_pk_add_f32 v[4:5], v[4:5], v[104:105]
	v_mov_b32_e32 v103, v15
	s_waitcnt lgkmcnt(2)
	v_pk_mul_f32 v[14:15], v[6:7], v[14:15] op_sel_hi:[1,0]
	v_pk_add_f32 v[4:5], v[4:5], v[102:103]
	v_pk_fma_f32 v[102:103], v[6:7], v[156:157], v[14:15] op_sel:[0,0,1] op_sel_hi:[1,1,0] neg_lo:[0,0,1] neg_hi:[0,0,1]
	v_pk_fma_f32 v[6:7], v[6:7], v[156:157], v[14:15] op_sel:[0,0,1] op_sel_hi:[1,0,0]
	v_mov_b32_e32 v6, v155
	v_mov_b32_e32 v103, v7
	v_pk_mul_f32 v[6:7], v[8:9], v[6:7] op_sel_hi:[1,0]
	v_pk_fma_f32 v[14:15], v[8:9], v[154:155], v[6:7] op_sel:[0,0,1] op_sel_hi:[1,1,0] neg_lo:[0,0,1] neg_hi:[0,0,1]
	v_pk_fma_f32 v[6:7], v[8:9], v[154:155], v[6:7] op_sel:[0,0,1] op_sel_hi:[1,0,0]
	v_mov_b32_e32 v6, v153
	v_mov_b32_e32 v15, v7
	s_waitcnt lgkmcnt(1)
	v_pk_mul_f32 v[6:7], v[10:11], v[6:7] op_sel_hi:[1,0]
	v_pk_fma_f32 v[8:9], v[10:11], v[152:153], v[6:7] op_sel:[0,0,1] op_sel_hi:[1,1,0] neg_lo:[0,0,1] neg_hi:[0,0,1]
	v_pk_fma_f32 v[6:7], v[10:11], v[152:153], v[6:7] op_sel:[0,0,1] op_sel_hi:[1,0,0]
	v_pk_add_f32 v[4:5], v[4:5], v[102:103]
	s_waitcnt vmcnt(1)
	v_mov_b32_e32 v6, v165
	v_pk_add_f32 v[4:5], v[4:5], v[14:15]
	v_mov_b32_e32 v9, v7
	v_pk_mul_f32 v[6:7], v[12:13], v[6:7] op_sel_hi:[1,0]
	v_pk_add_f32 v[4:5], v[4:5], v[8:9]
	s_waitcnt vmcnt(0)
	v_pk_fma_f32 v[8:9], v[12:13], v[164:165], v[6:7] op_sel:[0,0,1] op_sel_hi:[1,1,0] neg_lo:[0,0,1] neg_hi:[0,0,1]
	v_pk_fma_f32 v[6:7], v[12:13], v[164:165], v[6:7] op_sel:[0,0,1] op_sel_hi:[1,0,0]
	v_mov_b32_e32 v6, v163
	v_mov_b32_e32 v9, v7
	s_waitcnt lgkmcnt(0)
	v_pk_mul_f32 v[6:7], v[98:99], v[6:7] op_sel_hi:[1,0]
	v_pk_add_f32 v[4:5], v[4:5], v[8:9]
	v_pk_fma_f32 v[8:9], v[98:99], v[162:163], v[6:7] op_sel:[0,0,1] op_sel_hi:[1,1,0] neg_lo:[0,0,1] neg_hi:[0,0,1]
	v_pk_fma_f32 v[6:7], v[98:99], v[162:163], v[6:7] op_sel:[0,0,1] op_sel_hi:[1,0,0]
	v_mov_b32_e32 v6, v161
	v_mov_b32_e32 v9, v7
	v_pk_mul_f32 v[6:7], v[100:101], v[6:7] op_sel_hi:[1,0]
	v_pk_add_f32 v[4:5], v[4:5], v[8:9]
	v_pk_fma_f32 v[8:9], v[100:101], v[160:161], v[6:7] op_sel:[0,0,1] op_sel_hi:[1,1,0] neg_lo:[0,0,1] neg_hi:[0,0,1]
	v_pk_fma_f32 v[6:7], v[100:101], v[160:161], v[6:7] op_sel:[0,0,1] op_sel_hi:[1,0,0]
	v_mov_b32_e32 v9, v7
	v_pk_add_f32 v[4:5], v[4:5], v[8:9]
	v_pk_add_f32 v[2:3], v[2:3], v[4:5] neg_lo:[0,1] neg_hi:[0,1]
	buffer_store_dword v3, off, s[0:3], 0 offset:52
	buffer_store_dword v2, off, s[0:3], 0 offset:48
	s_and_saveexec_b64 s[4:5], vcc
	s_cbranch_execz .LBB40_249
; %bb.248:
	buffer_load_dword v2, off, s[0:3], 0 offset:40
	buffer_load_dword v3, off, s[0:3], 0 offset:44
	v_mov_b32_e32 v4, 0
	buffer_store_dword v4, off, s[0:3], 0 offset:40
	buffer_store_dword v4, off, s[0:3], 0 offset:44
	s_waitcnt vmcnt(2)
	ds_write_b64 v1, v[2:3]
.LBB40_249:
	s_or_b64 exec, exec, s[4:5]
	s_waitcnt lgkmcnt(0)
	; wave barrier
	s_waitcnt lgkmcnt(0)
	buffer_load_dword v5, off, s[0:3], 0 offset:52
	buffer_load_dword v14, off, s[0:3], 0 offset:60
	;; [unrolled: 1-line block ×56, first 2 shown]
	v_mov_b32_e32 v4, 0
	ds_read_b128 v[6:9], v4 offset:384
	ds_read_b128 v[10:13], v4 offset:400
	;; [unrolled: 1-line block ×6, first 2 shown]
	v_cmp_lt_u32_e32 vcc, 4, v0
	s_waitcnt vmcnt(55) lgkmcnt(5)
	v_mul_f32_e32 v15, v6, v5
	s_waitcnt vmcnt(54)
	v_mul_f32_e32 v114, v8, v14
	s_waitcnt vmcnt(53) lgkmcnt(4)
	v_mul_f32_e32 v115, v10, v146
	s_waitcnt vmcnt(52)
	v_mul_f32_e32 v116, v12, v148
	;; [unrolled: 4-line block ×4, first 2 shown]
	s_waitcnt vmcnt(47) lgkmcnt(1)
	v_mul_f32_e32 v121, v106, v170
	s_waitcnt vmcnt(46)
	v_fmac_f32_e32 v15, v7, v171
	s_waitcnt vmcnt(45)
	v_fmac_f32_e32 v114, v9, v172
	v_add_f32_e32 v15, 0, v15
	s_waitcnt vmcnt(44)
	v_fmac_f32_e32 v115, v11, v173
	v_add_f32_e32 v15, v15, v114
	;; [unrolled: 3-line block ×7, first 2 shown]
	v_add_f32_e32 v15, v15, v120
	s_waitcnt vmcnt(38)
	v_fmac_f32_e32 v121, v107, v179
	s_waitcnt vmcnt(37)
	v_mul_f32_e32 v114, v108, v180
	v_add_f32_e32 v15, v15, v121
	s_waitcnt vmcnt(36)
	v_fmac_f32_e32 v114, v109, v181
	v_add_f32_e32 v15, v15, v114
	s_waitcnt vmcnt(35) lgkmcnt(0)
	v_mul_f32_e32 v114, v110, v182
	s_waitcnt vmcnt(34)
	v_fmac_f32_e32 v114, v111, v183
	v_add_f32_e32 v15, v15, v114
	ds_read_b128 v[114:117], v4 offset:480
	s_waitcnt vmcnt(33)
	v_mul_f32_e32 v118, v112, v184
	s_waitcnt vmcnt(32)
	v_fmac_f32_e32 v118, v113, v185
	v_add_f32_e32 v15, v15, v118
	ds_read_b128 v[118:121], v4 offset:496
	s_waitcnt vmcnt(31) lgkmcnt(1)
	v_mul_f32_e32 v122, v114, v186
	s_waitcnt vmcnt(30)
	v_fmac_f32_e32 v122, v115, v187
	v_add_f32_e32 v15, v15, v122
	s_waitcnt vmcnt(29)
	v_mul_f32_e32 v122, v116, v188
	s_waitcnt vmcnt(28)
	v_fmac_f32_e32 v122, v117, v189
	v_add_f32_e32 v15, v15, v122
	s_waitcnt vmcnt(27) lgkmcnt(0)
	v_mul_f32_e32 v122, v118, v190
	s_waitcnt vmcnt(26)
	v_fmac_f32_e32 v122, v119, v191
	v_add_f32_e32 v15, v15, v122
	ds_read_b128 v[122:125], v4 offset:512
	s_waitcnt vmcnt(24)
	v_mul_f32_e32 v126, v120, v193
	v_fmac_f32_e32 v126, v121, v192
	v_add_f32_e32 v15, v15, v126
	ds_read_b128 v[126:129], v4 offset:528
	s_waitcnt vmcnt(20) lgkmcnt(1)
	v_mul_f32_e32 v130, v122, v195
	v_fmac_f32_e32 v130, v123, v194
	v_add_f32_e32 v15, v15, v130
	s_waitcnt vmcnt(18)
	v_mul_f32_e32 v130, v124, v197
	v_fmac_f32_e32 v130, v125, v196
	v_add_f32_e32 v15, v15, v130
	s_waitcnt vmcnt(16) lgkmcnt(0)
	v_mul_f32_e32 v130, v126, v199
	v_fmac_f32_e32 v130, v127, v198
	v_add_f32_e32 v15, v15, v130
	ds_read_b128 v[130:133], v4 offset:544
	s_waitcnt vmcnt(14)
	v_mul_f32_e32 v134, v128, v201
	v_fmac_f32_e32 v134, v129, v200
	v_add_f32_e32 v15, v15, v134
	ds_read_b128 v[134:137], v4 offset:560
	s_waitcnt vmcnt(12) lgkmcnt(1)
	v_mul_f32_e32 v138, v130, v203
	v_fmac_f32_e32 v138, v131, v202
	v_add_f32_e32 v15, v15, v138
	s_waitcnt vmcnt(10)
	v_mul_f32_e32 v138, v132, v205
	v_fmac_f32_e32 v138, v133, v204
	v_add_f32_e32 v15, v15, v138
	s_waitcnt vmcnt(8) lgkmcnt(0)
	v_mul_f32_e32 v138, v134, v207
	v_fmac_f32_e32 v138, v135, v206
	s_waitcnt vmcnt(6)
	v_mul_f32_e32 v142, v136, v209
	v_add_f32_e32 v15, v15, v138
	v_fmac_f32_e32 v142, v137, v208
	ds_read_b128 v[138:141], v4 offset:576
	v_add_f32_e32 v15, v15, v142
	ds_read_b128 v[142:145], v4 offset:592
	buffer_load_dword v151, off, s[0:3], 0 offset:292
	buffer_load_dword v150, off, s[0:3], 0 offset:288
	;; [unrolled: 1-line block ×16, first 2 shown]
	v_mul_f32_e32 v5, v7, v5
	v_fma_f32 v5, v6, v171, -v5
	v_mul_f32_e32 v6, v9, v14
	v_add_f32_e32 v5, 0, v5
	v_fma_f32 v6, v8, v172, -v6
	v_add_f32_e32 v5, v5, v6
	v_mul_f32_e32 v6, v11, v146
	v_fma_f32 v6, v10, v173, -v6
	v_add_f32_e32 v5, v5, v6
	v_mul_f32_e32 v6, v13, v148
	;; [unrolled: 3-line block ×22, first 2 shown]
	v_fma_f32 v6, v136, v208, -v6
	s_waitcnt vmcnt(20) lgkmcnt(1)
	v_mul_f32_e32 v147, v138, v211
	v_add_f32_e32 v5, v5, v6
	v_mul_f32_e32 v6, v139, v211
	v_fmac_f32_e32 v147, v139, v210
	v_fma_f32 v6, v138, v210, -v6
	s_waitcnt vmcnt(9)
	v_mov_b32_e32 v104, v157
	v_add_f32_e32 v15, v15, v147
	v_mul_f32_e32 v147, v140, v213
	v_add_f32_e32 v14, v5, v6
	v_mul_f32_e32 v5, v141, v213
	s_waitcnt lgkmcnt(0)
	v_pk_mul_f32 v[104:105], v[144:145], v[104:105] op_sel_hi:[1,0]
	v_fmac_f32_e32 v147, v141, v212
	v_mul_f32_e32 v149, v142, v215
	v_fma_f32 v146, v140, v212, -v5
	v_mul_f32_e32 v5, v143, v215
	ds_read_b128 v[6:9], v4 offset:608
	ds_read_b128 v[10:13], v4 offset:624
	;; [unrolled: 1-line block ×3, first 2 shown]
	ds_read_b64 v[102:103], v4 offset:656
	s_waitcnt vmcnt(8)
	v_pk_fma_f32 v[106:107], v[144:145], v[156:157], v[104:105] op_sel:[0,0,1] op_sel_hi:[1,1,0] neg_lo:[0,0,1] neg_hi:[0,0,1]
	v_pk_fma_f32 v[104:105], v[144:145], v[156:157], v[104:105] op_sel:[0,0,1] op_sel_hi:[1,0,0]
	v_fmac_f32_e32 v149, v143, v214
	v_fma_f32 v148, v142, v214, -v5
	v_pk_add_f32 v[14:15], v[14:15], v[146:147]
	v_mov_b32_e32 v104, v155
	v_pk_add_f32 v[14:15], v[14:15], v[148:149]
	v_mov_b32_e32 v107, v105
	s_waitcnt lgkmcnt(3)
	v_pk_mul_f32 v[104:105], v[6:7], v[104:105] op_sel_hi:[1,0]
	v_pk_add_f32 v[14:15], v[14:15], v[106:107]
	v_pk_fma_f32 v[106:107], v[6:7], v[154:155], v[104:105] op_sel:[0,0,1] op_sel_hi:[1,1,0] neg_lo:[0,0,1] neg_hi:[0,0,1]
	v_pk_fma_f32 v[6:7], v[6:7], v[154:155], v[104:105] op_sel:[0,0,1] op_sel_hi:[1,0,0]
	v_mov_b32_e32 v107, v7
	v_pk_add_f32 v[6:7], v[14:15], v[106:107]
	v_mov_b32_e32 v14, v153
	v_pk_mul_f32 v[14:15], v[8:9], v[14:15] op_sel_hi:[1,0]
	v_pk_fma_f32 v[104:105], v[8:9], v[152:153], v[14:15] op_sel:[0,0,1] op_sel_hi:[1,1,0] neg_lo:[0,0,1] neg_hi:[0,0,1]
	v_pk_fma_f32 v[8:9], v[8:9], v[152:153], v[14:15] op_sel:[0,0,1] op_sel_hi:[1,0,0]
	v_mov_b32_e32 v8, v151
	v_mov_b32_e32 v105, v9
	s_waitcnt lgkmcnt(2)
	v_pk_mul_f32 v[8:9], v[10:11], v[8:9] op_sel_hi:[1,0]
	v_pk_fma_f32 v[14:15], v[10:11], v[150:151], v[8:9] op_sel:[0,0,1] op_sel_hi:[1,1,0] neg_lo:[0,0,1] neg_hi:[0,0,1]
	v_pk_fma_f32 v[8:9], v[10:11], v[150:151], v[8:9] op_sel:[0,0,1] op_sel_hi:[1,0,0]
	s_waitcnt vmcnt(1)
	v_mov_b32_e32 v8, v165
	v_mov_b32_e32 v15, v9
	v_pk_mul_f32 v[8:9], v[12:13], v[8:9] op_sel_hi:[1,0]
	s_waitcnt vmcnt(0)
	v_pk_fma_f32 v[10:11], v[12:13], v[164:165], v[8:9] op_sel:[0,0,1] op_sel_hi:[1,1,0] neg_lo:[0,0,1] neg_hi:[0,0,1]
	v_pk_fma_f32 v[8:9], v[12:13], v[164:165], v[8:9] op_sel:[0,0,1] op_sel_hi:[1,0,0]
	v_pk_add_f32 v[6:7], v[6:7], v[104:105]
	v_mov_b32_e32 v8, v163
	v_pk_add_f32 v[6:7], v[6:7], v[14:15]
	v_mov_b32_e32 v11, v9
	s_waitcnt lgkmcnt(1)
	v_pk_mul_f32 v[8:9], v[98:99], v[8:9] op_sel_hi:[1,0]
	v_pk_add_f32 v[6:7], v[6:7], v[10:11]
	v_pk_fma_f32 v[10:11], v[98:99], v[162:163], v[8:9] op_sel:[0,0,1] op_sel_hi:[1,1,0] neg_lo:[0,0,1] neg_hi:[0,0,1]
	v_pk_fma_f32 v[8:9], v[98:99], v[162:163], v[8:9] op_sel:[0,0,1] op_sel_hi:[1,0,0]
	v_mov_b32_e32 v8, v161
	v_mov_b32_e32 v11, v9
	v_pk_mul_f32 v[8:9], v[100:101], v[8:9] op_sel_hi:[1,0]
	v_pk_add_f32 v[6:7], v[6:7], v[10:11]
	v_pk_fma_f32 v[10:11], v[100:101], v[160:161], v[8:9] op_sel:[0,0,1] op_sel_hi:[1,1,0] neg_lo:[0,0,1] neg_hi:[0,0,1]
	v_pk_fma_f32 v[8:9], v[100:101], v[160:161], v[8:9] op_sel:[0,0,1] op_sel_hi:[1,0,0]
	v_mov_b32_e32 v8, v159
	v_mov_b32_e32 v11, v9
	s_waitcnt lgkmcnt(0)
	v_pk_mul_f32 v[8:9], v[102:103], v[8:9] op_sel_hi:[1,0]
	v_pk_add_f32 v[6:7], v[6:7], v[10:11]
	v_pk_fma_f32 v[10:11], v[102:103], v[158:159], v[8:9] op_sel:[0,0,1] op_sel_hi:[1,1,0] neg_lo:[0,0,1] neg_hi:[0,0,1]
	v_pk_fma_f32 v[8:9], v[102:103], v[158:159], v[8:9] op_sel:[0,0,1] op_sel_hi:[1,0,0]
	v_mov_b32_e32 v11, v9
	v_pk_add_f32 v[6:7], v[6:7], v[10:11]
	v_pk_add_f32 v[2:3], v[2:3], v[6:7] neg_lo:[0,1] neg_hi:[0,1]
	buffer_store_dword v3, off, s[0:3], 0 offset:44
	buffer_store_dword v2, off, s[0:3], 0 offset:40
	s_and_saveexec_b64 s[4:5], vcc
	s_cbranch_execz .LBB40_251
; %bb.250:
	buffer_load_dword v2, off, s[0:3], 0 offset:32
	buffer_load_dword v3, off, s[0:3], 0 offset:36
	s_waitcnt vmcnt(0)
	ds_write_b64 v1, v[2:3]
	buffer_store_dword v4, off, s[0:3], 0 offset:32
	buffer_store_dword v4, off, s[0:3], 0 offset:36
.LBB40_251:
	s_or_b64 exec, exec, s[4:5]
	s_waitcnt lgkmcnt(0)
	; wave barrier
	s_waitcnt lgkmcnt(0)
	buffer_load_dword v5, off, s[0:3], 0 offset:44
	buffer_load_dword v14, off, s[0:3], 0 offset:52
	buffer_load_dword v146, off, s[0:3], 0 offset:60
	buffer_load_dword v154, off, s[0:3], 0 offset:68
	buffer_load_dword v166, off, s[0:3], 0 offset:76
	buffer_load_dword v167, off, s[0:3], 0 offset:84
	buffer_load_dword v168, off, s[0:3], 0 offset:92
	buffer_load_dword v169, off, s[0:3], 0 offset:100
	buffer_load_dword v170, off, s[0:3], 0 offset:40
	buffer_load_dword v171, off, s[0:3], 0 offset:48
	buffer_load_dword v172, off, s[0:3], 0 offset:56
	buffer_load_dword v173, off, s[0:3], 0 offset:64
	buffer_load_dword v174, off, s[0:3], 0 offset:72
	buffer_load_dword v175, off, s[0:3], 0 offset:80
	buffer_load_dword v176, off, s[0:3], 0 offset:88
	buffer_load_dword v177, off, s[0:3], 0 offset:96
	buffer_load_dword v178, off, s[0:3], 0 offset:108
	buffer_load_dword v179, off, s[0:3], 0 offset:104
	buffer_load_dword v180, off, s[0:3], 0 offset:116
	buffer_load_dword v181, off, s[0:3], 0 offset:112
	buffer_load_dword v182, off, s[0:3], 0 offset:124
	buffer_load_dword v183, off, s[0:3], 0 offset:120
	buffer_load_dword v184, off, s[0:3], 0 offset:132
	buffer_load_dword v185, off, s[0:3], 0 offset:128
	buffer_load_dword v186, off, s[0:3], 0 offset:140
	buffer_load_dword v187, off, s[0:3], 0 offset:136
	buffer_load_dword v188, off, s[0:3], 0 offset:148
	buffer_load_dword v189, off, s[0:3], 0 offset:144
	buffer_load_dword v190, off, s[0:3], 0 offset:156
	buffer_load_dword v191, off, s[0:3], 0 offset:152
	buffer_load_dword v2, off, s[0:3], 0 offset:32
	buffer_load_dword v3, off, s[0:3], 0 offset:36
	buffer_load_dword v192, off, s[0:3], 0 offset:164
	buffer_load_dword v193, off, s[0:3], 0 offset:160
	buffer_load_dword v194, off, s[0:3], 0 offset:168
	buffer_load_dword v195, off, s[0:3], 0 offset:172
	ds_read2_b64 v[6:9], v4 offset0:47 offset1:48
	ds_read2_b64 v[10:13], v4 offset0:49 offset1:50
	buffer_load_dword v196, off, s[0:3], 0 offset:176
	buffer_load_dword v197, off, s[0:3], 0 offset:180
	;; [unrolled: 1-line block ×4, first 2 shown]
	ds_read2_b64 v[98:101], v4 offset0:51 offset1:52
	ds_read2_b64 v[102:105], v4 offset0:53 offset1:54
	buffer_load_dword v200, off, s[0:3], 0 offset:192
	buffer_load_dword v201, off, s[0:3], 0 offset:196
	ds_read2_b64 v[106:109], v4 offset0:55 offset1:56
	ds_read2_b64 v[110:113], v4 offset0:57 offset1:58
	buffer_load_dword v202, off, s[0:3], 0 offset:200
	buffer_load_dword v203, off, s[0:3], 0 offset:204
	buffer_load_dword v204, off, s[0:3], 0 offset:208
	buffer_load_dword v205, off, s[0:3], 0 offset:212
	buffer_load_dword v206, off, s[0:3], 0 offset:216
	buffer_load_dword v207, off, s[0:3], 0 offset:220
	buffer_load_dword v208, off, s[0:3], 0 offset:224
	buffer_load_dword v209, off, s[0:3], 0 offset:228
	buffer_load_dword v210, off, s[0:3], 0 offset:232
	buffer_load_dword v211, off, s[0:3], 0 offset:236
	buffer_load_dword v212, off, s[0:3], 0 offset:240
	buffer_load_dword v213, off, s[0:3], 0 offset:244
	buffer_load_dword v214, off, s[0:3], 0 offset:248
	buffer_load_dword v215, off, s[0:3], 0 offset:252
	buffer_load_dword v216, off, s[0:3], 0 offset:256
	buffer_load_dword v217, off, s[0:3], 0 offset:260
	v_cmp_lt_u32_e32 vcc, 3, v0
	s_waitcnt vmcnt(57) lgkmcnt(5)
	v_mul_f32_e32 v15, v6, v5
	s_waitcnt vmcnt(56)
	v_mul_f32_e32 v114, v8, v14
	s_waitcnt vmcnt(55) lgkmcnt(4)
	v_mul_f32_e32 v115, v10, v146
	s_waitcnt vmcnt(54)
	v_mul_f32_e32 v116, v12, v154
	;; [unrolled: 4-line block ×4, first 2 shown]
	s_waitcnt vmcnt(49)
	v_fmac_f32_e32 v15, v7, v170
	s_waitcnt vmcnt(48)
	v_fmac_f32_e32 v114, v9, v171
	v_add_f32_e32 v15, 0, v15
	s_waitcnt vmcnt(47)
	v_fmac_f32_e32 v115, v11, v172
	v_add_f32_e32 v15, v15, v114
	;; [unrolled: 3-line block ×7, first 2 shown]
	s_waitcnt vmcnt(41) lgkmcnt(1)
	v_mul_f32_e32 v114, v106, v178
	v_add_f32_e32 v15, v15, v120
	s_waitcnt vmcnt(40)
	v_fmac_f32_e32 v114, v107, v179
	v_add_f32_e32 v15, v15, v114
	s_waitcnt vmcnt(39)
	v_mul_f32_e32 v114, v108, v180
	s_waitcnt vmcnt(38)
	v_fmac_f32_e32 v114, v109, v181
	v_add_f32_e32 v15, v15, v114
	s_waitcnt vmcnt(37) lgkmcnt(0)
	v_mul_f32_e32 v114, v110, v182
	s_waitcnt vmcnt(36)
	v_fmac_f32_e32 v114, v111, v183
	v_add_f32_e32 v15, v15, v114
	ds_read2_b64 v[114:117], v4 offset0:59 offset1:60
	s_waitcnt vmcnt(35)
	v_mul_f32_e32 v118, v112, v184
	s_waitcnt vmcnt(34)
	v_fmac_f32_e32 v118, v113, v185
	v_add_f32_e32 v15, v15, v118
	ds_read2_b64 v[118:121], v4 offset0:61 offset1:62
	s_waitcnt vmcnt(33) lgkmcnt(1)
	v_mul_f32_e32 v122, v114, v186
	s_waitcnt vmcnt(32)
	v_fmac_f32_e32 v122, v115, v187
	v_add_f32_e32 v15, v15, v122
	s_waitcnt vmcnt(31)
	v_mul_f32_e32 v122, v116, v188
	s_waitcnt vmcnt(30)
	v_fmac_f32_e32 v122, v117, v189
	v_add_f32_e32 v15, v15, v122
	s_waitcnt vmcnt(29) lgkmcnt(0)
	v_mul_f32_e32 v122, v118, v190
	s_waitcnt vmcnt(28)
	v_fmac_f32_e32 v122, v119, v191
	v_add_f32_e32 v15, v15, v122
	ds_read2_b64 v[122:125], v4 offset0:63 offset1:64
	s_waitcnt vmcnt(25)
	v_mul_f32_e32 v126, v120, v192
	s_waitcnt vmcnt(24)
	v_fmac_f32_e32 v126, v121, v193
	v_add_f32_e32 v15, v15, v126
	ds_read2_b64 v[126:129], v4 offset0:65 offset1:66
	s_waitcnt vmcnt(22) lgkmcnt(1)
	v_mul_f32_e32 v130, v122, v195
	v_fmac_f32_e32 v130, v123, v194
	v_add_f32_e32 v15, v15, v130
	s_waitcnt vmcnt(20)
	v_mul_f32_e32 v130, v124, v197
	v_fmac_f32_e32 v130, v125, v196
	v_add_f32_e32 v15, v15, v130
	s_waitcnt vmcnt(18) lgkmcnt(0)
	v_mul_f32_e32 v130, v126, v199
	v_fmac_f32_e32 v130, v127, v198
	v_add_f32_e32 v15, v15, v130
	ds_read2_b64 v[130:133], v4 offset0:67 offset1:68
	s_waitcnt vmcnt(16)
	v_mul_f32_e32 v134, v128, v201
	v_fmac_f32_e32 v134, v129, v200
	v_add_f32_e32 v15, v15, v134
	ds_read2_b64 v[134:137], v4 offset0:69 offset1:70
	s_waitcnt vmcnt(14) lgkmcnt(1)
	v_mul_f32_e32 v138, v130, v203
	v_fmac_f32_e32 v138, v131, v202
	v_add_f32_e32 v15, v15, v138
	s_waitcnt vmcnt(12)
	v_mul_f32_e32 v138, v132, v205
	v_fmac_f32_e32 v138, v133, v204
	v_add_f32_e32 v15, v15, v138
	s_waitcnt vmcnt(10) lgkmcnt(0)
	v_mul_f32_e32 v138, v134, v207
	v_fmac_f32_e32 v138, v135, v206
	s_waitcnt vmcnt(8)
	v_mul_f32_e32 v142, v136, v209
	v_add_f32_e32 v15, v15, v138
	v_fmac_f32_e32 v142, v137, v208
	ds_read2_b64 v[138:141], v4 offset0:71 offset1:72
	v_add_f32_e32 v15, v15, v142
	ds_read2_b64 v[142:145], v4 offset0:73 offset1:74
	buffer_load_dword v149, off, s[0:3], 0 offset:284
	buffer_load_dword v148, off, s[0:3], 0 offset:280
	;; [unrolled: 1-line block ×16, first 2 shown]
	v_mul_f32_e32 v5, v7, v5
	v_fma_f32 v5, v6, v170, -v5
	v_mul_f32_e32 v6, v9, v14
	v_add_f32_e32 v5, 0, v5
	v_fma_f32 v6, v8, v171, -v6
	v_add_f32_e32 v5, v5, v6
	v_mul_f32_e32 v6, v11, v146
	v_fma_f32 v6, v10, v172, -v6
	v_add_f32_e32 v5, v5, v6
	v_mul_f32_e32 v6, v13, v154
	;; [unrolled: 3-line block ×22, first 2 shown]
	v_fma_f32 v6, v136, v208, -v6
	s_waitcnt vmcnt(22) lgkmcnt(1)
	v_mul_f32_e32 v147, v138, v211
	v_add_f32_e32 v5, v5, v6
	v_mul_f32_e32 v6, v139, v211
	v_fmac_f32_e32 v147, v139, v210
	v_fma_f32 v6, v138, v210, -v6
	v_add_f32_e32 v15, v15, v147
	s_waitcnt vmcnt(20)
	v_mul_f32_e32 v147, v140, v213
	v_add_f32_e32 v5, v5, v6
	v_mul_f32_e32 v6, v141, v213
	v_fmac_f32_e32 v147, v141, v212
	v_fma_f32 v6, v140, v212, -v6
	v_add_f32_e32 v15, v15, v147
	s_waitcnt vmcnt(18) lgkmcnt(0)
	v_mul_f32_e32 v147, v142, v215
	v_add_f32_e32 v14, v5, v6
	v_mul_f32_e32 v5, v143, v215
	v_fmac_f32_e32 v147, v143, v214
	v_fma_f32 v146, v142, v214, -v5
	s_waitcnt vmcnt(16)
	v_mul_f32_e32 v5, v145, v217
	ds_read2_b64 v[6:9], v4 offset0:75 offset1:76
	ds_read2_b64 v[10:13], v4 offset0:77 offset1:78
	ds_read2_b64 v[98:101], v4 offset0:79 offset1:80
	ds_read2_b64 v[102:105], v4 offset0:81 offset1:82
	v_fma_f32 v154, v144, v216, -v5
	v_pk_add_f32 v[4:5], v[14:15], v[146:147]
	s_waitcnt vmcnt(11)
	v_mov_b32_e32 v14, v153
	s_waitcnt lgkmcnt(3)
	v_pk_mul_f32 v[14:15], v[6:7], v[14:15] op_sel_hi:[1,0]
	s_waitcnt vmcnt(10)
	v_pk_fma_f32 v[106:107], v[6:7], v[152:153], v[14:15] op_sel:[0,0,1] op_sel_hi:[1,1,0] neg_lo:[0,0,1] neg_hi:[0,0,1]
	v_pk_fma_f32 v[6:7], v[6:7], v[152:153], v[14:15] op_sel:[0,0,1] op_sel_hi:[1,0,0]
	v_mov_b32_e32 v6, v151
	v_mov_b32_e32 v107, v7
	v_pk_mul_f32 v[6:7], v[8:9], v[6:7] op_sel_hi:[1,0]
	v_pk_fma_f32 v[14:15], v[8:9], v[150:151], v[6:7] op_sel:[0,0,1] op_sel_hi:[1,1,0] neg_lo:[0,0,1] neg_hi:[0,0,1]
	v_pk_fma_f32 v[6:7], v[8:9], v[150:151], v[6:7] op_sel:[0,0,1] op_sel_hi:[1,0,0]
	v_mul_f32_e32 v155, v144, v217
	v_mov_b32_e32 v6, v149
	v_fmac_f32_e32 v155, v145, v216
	v_mov_b32_e32 v15, v7
	s_waitcnt lgkmcnt(2)
	v_pk_mul_f32 v[6:7], v[10:11], v[6:7] op_sel_hi:[1,0]
	v_pk_add_f32 v[4:5], v[4:5], v[154:155]
	v_pk_fma_f32 v[8:9], v[10:11], v[148:149], v[6:7] op_sel:[0,0,1] op_sel_hi:[1,1,0] neg_lo:[0,0,1] neg_hi:[0,0,1]
	v_pk_fma_f32 v[6:7], v[10:11], v[148:149], v[6:7] op_sel:[0,0,1] op_sel_hi:[1,0,0]
	v_pk_add_f32 v[4:5], v[4:5], v[106:107]
	s_waitcnt vmcnt(3)
	v_mov_b32_e32 v6, v163
	v_pk_add_f32 v[4:5], v[4:5], v[14:15]
	v_mov_b32_e32 v9, v7
	v_pk_mul_f32 v[6:7], v[12:13], v[6:7] op_sel_hi:[1,0]
	v_pk_add_f32 v[4:5], v[4:5], v[8:9]
	s_waitcnt vmcnt(2)
	v_pk_fma_f32 v[8:9], v[12:13], v[162:163], v[6:7] op_sel:[0,0,1] op_sel_hi:[1,1,0] neg_lo:[0,0,1] neg_hi:[0,0,1]
	v_pk_fma_f32 v[6:7], v[12:13], v[162:163], v[6:7] op_sel:[0,0,1] op_sel_hi:[1,0,0]
	v_mov_b32_e32 v6, v161
	v_mov_b32_e32 v9, v7
	s_waitcnt lgkmcnt(1)
	v_pk_mul_f32 v[6:7], v[98:99], v[6:7] op_sel_hi:[1,0]
	v_pk_add_f32 v[4:5], v[4:5], v[8:9]
	v_pk_fma_f32 v[8:9], v[98:99], v[160:161], v[6:7] op_sel:[0,0,1] op_sel_hi:[1,1,0] neg_lo:[0,0,1] neg_hi:[0,0,1]
	v_pk_fma_f32 v[6:7], v[98:99], v[160:161], v[6:7] op_sel:[0,0,1] op_sel_hi:[1,0,0]
	v_mov_b32_e32 v6, v159
	v_mov_b32_e32 v9, v7
	v_pk_mul_f32 v[6:7], v[100:101], v[6:7] op_sel_hi:[1,0]
	v_pk_add_f32 v[4:5], v[4:5], v[8:9]
	v_pk_fma_f32 v[8:9], v[100:101], v[158:159], v[6:7] op_sel:[0,0,1] op_sel_hi:[1,1,0] neg_lo:[0,0,1] neg_hi:[0,0,1]
	v_pk_fma_f32 v[6:7], v[100:101], v[158:159], v[6:7] op_sel:[0,0,1] op_sel_hi:[1,0,0]
	v_mov_b32_e32 v6, v157
	v_mov_b32_e32 v9, v7
	s_waitcnt lgkmcnt(0)
	v_pk_mul_f32 v[6:7], v[102:103], v[6:7] op_sel_hi:[1,0]
	v_pk_add_f32 v[4:5], v[4:5], v[8:9]
	v_pk_fma_f32 v[8:9], v[102:103], v[156:157], v[6:7] op_sel:[0,0,1] op_sel_hi:[1,1,0] neg_lo:[0,0,1] neg_hi:[0,0,1]
	v_pk_fma_f32 v[6:7], v[102:103], v[156:157], v[6:7] op_sel:[0,0,1] op_sel_hi:[1,0,0]
	s_waitcnt vmcnt(1)
	v_mov_b32_e32 v6, v165
	v_mov_b32_e32 v9, v7
	v_pk_mul_f32 v[6:7], v[104:105], v[6:7] op_sel_hi:[1,0]
	v_pk_add_f32 v[4:5], v[4:5], v[8:9]
	s_waitcnt vmcnt(0)
	v_pk_fma_f32 v[8:9], v[104:105], v[164:165], v[6:7] op_sel:[0,0,1] op_sel_hi:[1,1,0] neg_lo:[0,0,1] neg_hi:[0,0,1]
	v_pk_fma_f32 v[6:7], v[104:105], v[164:165], v[6:7] op_sel:[0,0,1] op_sel_hi:[1,0,0]
	v_mov_b32_e32 v9, v7
	v_pk_add_f32 v[4:5], v[4:5], v[8:9]
	v_pk_add_f32 v[2:3], v[2:3], v[4:5] neg_lo:[0,1] neg_hi:[0,1]
	buffer_store_dword v3, off, s[0:3], 0 offset:36
	buffer_store_dword v2, off, s[0:3], 0 offset:32
	s_and_saveexec_b64 s[4:5], vcc
	s_cbranch_execz .LBB40_253
; %bb.252:
	buffer_load_dword v2, off, s[0:3], 0 offset:24
	buffer_load_dword v3, off, s[0:3], 0 offset:28
	v_mov_b32_e32 v4, 0
	buffer_store_dword v4, off, s[0:3], 0 offset:24
	buffer_store_dword v4, off, s[0:3], 0 offset:28
	s_waitcnt vmcnt(2)
	ds_write_b64 v1, v[2:3]
.LBB40_253:
	s_or_b64 exec, exec, s[4:5]
	s_waitcnt lgkmcnt(0)
	; wave barrier
	s_waitcnt lgkmcnt(0)
	buffer_load_dword v99, off, s[0:3], 0 offset:36
	buffer_load_dword v152, off, s[0:3], 0 offset:44
	;; [unrolled: 1-line block ×56, first 2 shown]
	v_mov_b32_e32 v98, 0
	ds_read_b128 v[2:5], v98 offset:368
	buffer_load_dword v224, off, s[0:3], 0 offset:248
	buffer_load_dword v225, off, s[0:3], 0 offset:252
	;; [unrolled: 1-line block ×4, first 2 shown]
	ds_read_b128 v[8:11], v98 offset:384
	ds_read_b128 v[12:15], v98 offset:400
	;; [unrolled: 1-line block ×3, first 2 shown]
	v_cmp_lt_u32_e32 vcc, 2, v0
	s_waitcnt vmcnt(59) lgkmcnt(3)
	v_mul_f32_e32 v104, v2, v99
	s_waitcnt vmcnt(58)
	v_mul_f32_e32 v105, v4, v152
	s_waitcnt vmcnt(57) lgkmcnt(2)
	v_mul_f32_e32 v106, v8, v158
	s_waitcnt vmcnt(56)
	v_mul_f32_e32 v107, v10, v160
	;; [unrolled: 4-line block ×3, first 2 shown]
	s_waitcnt vmcnt(53) lgkmcnt(0)
	v_mul_f32_e32 v110, v100, v176
	s_waitcnt vmcnt(52)
	v_fmac_f32_e32 v104, v3, v177
	s_waitcnt vmcnt(51)
	v_fmac_f32_e32 v105, v5, v178
	v_add_f32_e32 v104, 0, v104
	s_waitcnt vmcnt(50)
	v_fmac_f32_e32 v106, v9, v179
	v_add_f32_e32 v104, v104, v105
	;; [unrolled: 3-line block ×6, first 2 shown]
	v_add_f32_e32 v108, v104, v110
	ds_read_b128 v[104:107], v98 offset:432
	s_waitcnt vmcnt(45)
	v_mul_f32_e32 v109, v102, v184
	s_waitcnt vmcnt(44)
	v_fmac_f32_e32 v109, v103, v185
	v_add_f32_e32 v112, v108, v109
	ds_read_b128 v[108:111], v98 offset:448
	s_waitcnt vmcnt(43) lgkmcnt(1)
	v_mul_f32_e32 v113, v104, v186
	s_waitcnt vmcnt(42)
	v_fmac_f32_e32 v113, v105, v187
	v_add_f32_e32 v112, v112, v113
	s_waitcnt vmcnt(41)
	v_mul_f32_e32 v113, v106, v188
	s_waitcnt vmcnt(40)
	v_fmac_f32_e32 v113, v107, v189
	v_add_f32_e32 v112, v112, v113
	s_waitcnt vmcnt(39) lgkmcnt(0)
	v_mul_f32_e32 v113, v108, v190
	s_waitcnt vmcnt(38)
	v_fmac_f32_e32 v113, v109, v191
	v_add_f32_e32 v116, v112, v113
	ds_read_b128 v[112:115], v98 offset:464
	s_waitcnt vmcnt(37)
	v_mul_f32_e32 v117, v110, v192
	s_waitcnt vmcnt(36)
	v_fmac_f32_e32 v117, v111, v193
	v_add_f32_e32 v120, v116, v117
	ds_read_b128 v[116:119], v98 offset:480
	s_waitcnt vmcnt(34) lgkmcnt(1)
	v_mul_f32_e32 v121, v112, v195
	v_fmac_f32_e32 v121, v113, v194
	v_add_f32_e32 v120, v120, v121
	s_waitcnt vmcnt(31)
	v_mul_f32_e32 v121, v114, v196
	s_waitcnt vmcnt(30)
	v_fmac_f32_e32 v121, v115, v197
	v_add_f32_e32 v120, v120, v121
	s_waitcnt vmcnt(28) lgkmcnt(0)
	v_mul_f32_e32 v121, v116, v199
	v_fmac_f32_e32 v121, v117, v198
	v_add_f32_e32 v124, v120, v121
	ds_read_b128 v[120:123], v98 offset:496
	s_waitcnt vmcnt(26)
	v_mul_f32_e32 v125, v118, v201
	v_fmac_f32_e32 v125, v119, v200
	v_add_f32_e32 v128, v124, v125
	ds_read_b128 v[124:127], v98 offset:512
	s_waitcnt vmcnt(24) lgkmcnt(1)
	v_mul_f32_e32 v129, v120, v203
	v_fmac_f32_e32 v129, v121, v202
	v_add_f32_e32 v128, v128, v129
	s_waitcnt vmcnt(22)
	v_mul_f32_e32 v129, v122, v205
	v_fmac_f32_e32 v129, v123, v204
	v_add_f32_e32 v128, v128, v129
	s_waitcnt vmcnt(20) lgkmcnt(0)
	v_mul_f32_e32 v129, v124, v207
	v_fmac_f32_e32 v129, v125, v206
	v_add_f32_e32 v132, v128, v129
	ds_read_b128 v[128:131], v98 offset:528
	s_waitcnt vmcnt(18)
	v_mul_f32_e32 v133, v126, v209
	v_fmac_f32_e32 v133, v127, v208
	v_add_f32_e32 v136, v132, v133
	ds_read_b128 v[132:135], v98 offset:544
	s_waitcnt vmcnt(16) lgkmcnt(1)
	v_mul_f32_e32 v137, v128, v211
	v_fmac_f32_e32 v137, v129, v210
	v_add_f32_e32 v136, v136, v137
	s_waitcnt vmcnt(14)
	v_mul_f32_e32 v137, v130, v213
	;; [unrolled: 18-line block ×3, first 2 shown]
	v_fmac_f32_e32 v145, v139, v220
	v_add_f32_e32 v144, v144, v145
	s_waitcnt vmcnt(4) lgkmcnt(0)
	v_mul_f32_e32 v145, v140, v223
	v_fmac_f32_e32 v145, v141, v222
	v_add_f32_e32 v153, v144, v145
	ds_read_b128 v[144:147], v98 offset:592
	buffer_load_dword v155, off, s[0:3], 0 offset:276
	buffer_load_dword v154, off, s[0:3], 0 offset:272
	;; [unrolled: 1-line block ×4, first 2 shown]
	ds_read_b128 v[148:151], v98 offset:608
	buffer_load_dword v163, off, s[0:3], 0 offset:308
	buffer_load_dword v162, off, s[0:3], 0 offset:304
	;; [unrolled: 1-line block ×12, first 2 shown]
	v_mul_f32_e32 v3, v3, v99
	v_fma_f32 v2, v2, v177, -v3
	v_mul_f32_e32 v3, v5, v152
	v_add_f32_e32 v2, 0, v2
	v_fma_f32 v3, v4, v178, -v3
	v_add_f32_e32 v2, v2, v3
	v_mul_f32_e32 v3, v9, v158
	v_fma_f32 v3, v8, v179, -v3
	v_add_f32_e32 v2, v2, v3
	v_mul_f32_e32 v3, v11, v160
	v_fma_f32 v3, v10, v180, -v3
	v_add_f32_e32 v2, v2, v3
	v_mul_f32_e32 v3, v13, v174
	v_fma_f32 v3, v12, v181, -v3
	v_add_f32_e32 v2, v2, v3
	v_mul_f32_e32 v3, v15, v175
	v_fma_f32 v3, v14, v182, -v3
	v_add_f32_e32 v2, v2, v3
	v_mul_f32_e32 v3, v101, v176
	v_fma_f32 v3, v100, v183, -v3
	v_add_f32_e32 v2, v2, v3
	v_mul_f32_e32 v3, v103, v184
	v_fma_f32 v3, v102, v185, -v3
	v_add_f32_e32 v2, v2, v3
	v_mul_f32_e32 v3, v105, v186
	v_fma_f32 v3, v104, v187, -v3
	v_add_f32_e32 v2, v2, v3
	v_mul_f32_e32 v3, v107, v188
	v_fma_f32 v3, v106, v189, -v3
	v_add_f32_e32 v2, v2, v3
	v_mul_f32_e32 v3, v109, v190
	v_fma_f32 v3, v108, v191, -v3
	v_add_f32_e32 v2, v2, v3
	v_mul_f32_e32 v3, v111, v192
	v_fma_f32 v3, v110, v193, -v3
	v_add_f32_e32 v2, v2, v3
	v_mul_f32_e32 v3, v113, v195
	v_fma_f32 v3, v112, v194, -v3
	v_add_f32_e32 v2, v2, v3
	v_mul_f32_e32 v3, v115, v196
	v_fma_f32 v3, v114, v197, -v3
	v_add_f32_e32 v2, v2, v3
	v_mul_f32_e32 v3, v117, v199
	v_fma_f32 v3, v116, v198, -v3
	v_add_f32_e32 v2, v2, v3
	v_mul_f32_e32 v3, v119, v201
	v_fma_f32 v3, v118, v200, -v3
	v_add_f32_e32 v2, v2, v3
	v_mul_f32_e32 v3, v121, v203
	v_fma_f32 v3, v120, v202, -v3
	v_add_f32_e32 v2, v2, v3
	v_mul_f32_e32 v3, v123, v205
	v_fma_f32 v3, v122, v204, -v3
	v_add_f32_e32 v2, v2, v3
	v_mul_f32_e32 v3, v125, v207
	v_fma_f32 v3, v124, v206, -v3
	v_add_f32_e32 v2, v2, v3
	v_mul_f32_e32 v3, v127, v209
	v_fma_f32 v3, v126, v208, -v3
	v_add_f32_e32 v2, v2, v3
	v_mul_f32_e32 v3, v129, v211
	v_fma_f32 v3, v128, v210, -v3
	v_add_f32_e32 v2, v2, v3
	v_mul_f32_e32 v3, v131, v213
	v_fma_f32 v3, v130, v212, -v3
	v_add_f32_e32 v2, v2, v3
	v_mul_f32_e32 v3, v133, v215
	v_fma_f32 v3, v132, v214, -v3
	v_add_f32_e32 v2, v2, v3
	v_mul_f32_e32 v3, v135, v217
	v_fma_f32 v3, v134, v216, -v3
	v_add_f32_e32 v2, v2, v3
	v_mul_f32_e32 v3, v137, v219
	v_fma_f32 v3, v136, v218, -v3
	v_add_f32_e32 v2, v2, v3
	v_mul_f32_e32 v3, v139, v221
	v_fma_f32 v3, v138, v220, -v3
	v_add_f32_e32 v2, v2, v3
	v_mul_f32_e32 v3, v141, v223
	v_fma_f32 v3, v140, v222, -v3
	s_waitcnt vmcnt(13)
	v_mov_b32_e32 v100, v157
	v_mul_f32_e32 v159, v142, v225
	v_add_f32_e32 v152, v2, v3
	v_mul_f32_e32 v2, v143, v225
	s_waitcnt lgkmcnt(1)
	v_pk_mul_f32 v[100:101], v[146:147], v[100:101] op_sel_hi:[1,0]
	v_fmac_f32_e32 v159, v143, v224
	v_mul_f32_e32 v161, v144, v227
	v_fma_f32 v158, v142, v224, -v2
	v_mul_f32_e32 v2, v145, v227
	s_waitcnt vmcnt(12)
	v_pk_fma_f32 v[102:103], v[146:147], v[156:157], v[100:101] op_sel:[0,0,1] op_sel_hi:[1,1,0] neg_lo:[0,0,1] neg_hi:[0,0,1]
	v_pk_fma_f32 v[100:101], v[146:147], v[156:157], v[100:101] op_sel:[0,0,1] op_sel_hi:[1,0,0]
	v_fmac_f32_e32 v161, v145, v226
	v_fma_f32 v160, v144, v226, -v2
	v_pk_add_f32 v[14:15], v[152:153], v[158:159]
	v_mov_b32_e32 v100, v155
	v_pk_add_f32 v[14:15], v[14:15], v[160:161]
	v_mov_b32_e32 v103, v101
	s_waitcnt lgkmcnt(0)
	v_pk_mul_f32 v[100:101], v[148:149], v[100:101] op_sel_hi:[1,0]
	v_pk_add_f32 v[14:15], v[14:15], v[102:103]
	v_pk_fma_f32 v[102:103], v[148:149], v[154:155], v[100:101] op_sel:[0,0,1] op_sel_hi:[1,1,0] neg_lo:[0,0,1] neg_hi:[0,0,1]
	v_pk_fma_f32 v[100:101], v[148:149], v[154:155], v[100:101] op_sel:[0,0,1] op_sel_hi:[1,0,0]
	s_waitcnt vmcnt(5)
	v_mov_b32_e32 v100, v169
	ds_read_b128 v[2:5], v98 offset:624
	ds_read_b128 v[8:11], v98 offset:640
	ds_read_b64 v[12:13], v98 offset:656
	v_mov_b32_e32 v103, v101
	v_pk_mul_f32 v[100:101], v[150:151], v[100:101] op_sel_hi:[1,0]
	v_pk_add_f32 v[14:15], v[14:15], v[102:103]
	s_waitcnt vmcnt(4)
	v_pk_fma_f32 v[102:103], v[150:151], v[168:169], v[100:101] op_sel:[0,0,1] op_sel_hi:[1,1,0] neg_lo:[0,0,1] neg_hi:[0,0,1]
	v_pk_fma_f32 v[100:101], v[150:151], v[168:169], v[100:101] op_sel:[0,0,1] op_sel_hi:[1,0,0]
	v_mov_b32_e32 v100, v167
	v_mov_b32_e32 v103, v101
	s_waitcnt lgkmcnt(2)
	v_pk_mul_f32 v[100:101], v[2:3], v[100:101] op_sel_hi:[1,0]
	v_pk_add_f32 v[14:15], v[14:15], v[102:103]
	v_pk_fma_f32 v[102:103], v[2:3], v[166:167], v[100:101] op_sel:[0,0,1] op_sel_hi:[1,1,0] neg_lo:[0,0,1] neg_hi:[0,0,1]
	v_pk_fma_f32 v[2:3], v[2:3], v[166:167], v[100:101] op_sel:[0,0,1] op_sel_hi:[1,0,0]
	v_mov_b32_e32 v103, v3
	v_pk_add_f32 v[2:3], v[14:15], v[102:103]
	v_mov_b32_e32 v14, v165
	v_pk_mul_f32 v[14:15], v[4:5], v[14:15] op_sel_hi:[1,0]
	v_pk_fma_f32 v[100:101], v[4:5], v[164:165], v[14:15] op_sel:[0,0,1] op_sel_hi:[1,1,0] neg_lo:[0,0,1] neg_hi:[0,0,1]
	v_pk_fma_f32 v[4:5], v[4:5], v[164:165], v[14:15] op_sel:[0,0,1] op_sel_hi:[1,0,0]
	v_mov_b32_e32 v4, v163
	v_mov_b32_e32 v101, v5
	s_waitcnt lgkmcnt(1)
	v_pk_mul_f32 v[4:5], v[8:9], v[4:5] op_sel_hi:[1,0]
	v_pk_fma_f32 v[14:15], v[8:9], v[162:163], v[4:5] op_sel:[0,0,1] op_sel_hi:[1,1,0] neg_lo:[0,0,1] neg_hi:[0,0,1]
	v_pk_fma_f32 v[4:5], v[8:9], v[162:163], v[4:5] op_sel:[0,0,1] op_sel_hi:[1,0,0]
	s_waitcnt vmcnt(1)
	v_mov_b32_e32 v4, v173
	v_mov_b32_e32 v15, v5
	v_pk_mul_f32 v[4:5], v[10:11], v[4:5] op_sel_hi:[1,0]
	s_waitcnt vmcnt(0)
	v_pk_fma_f32 v[8:9], v[10:11], v[172:173], v[4:5] op_sel:[0,0,1] op_sel_hi:[1,1,0] neg_lo:[0,0,1] neg_hi:[0,0,1]
	v_pk_fma_f32 v[4:5], v[10:11], v[172:173], v[4:5] op_sel:[0,0,1] op_sel_hi:[1,0,0]
	v_pk_add_f32 v[2:3], v[2:3], v[100:101]
	v_mov_b32_e32 v4, v171
	v_pk_add_f32 v[2:3], v[2:3], v[14:15]
	v_mov_b32_e32 v9, v5
	s_waitcnt lgkmcnt(0)
	v_pk_mul_f32 v[4:5], v[12:13], v[4:5] op_sel_hi:[1,0]
	v_pk_add_f32 v[2:3], v[2:3], v[8:9]
	v_pk_fma_f32 v[8:9], v[12:13], v[170:171], v[4:5] op_sel:[0,0,1] op_sel_hi:[1,1,0] neg_lo:[0,0,1] neg_hi:[0,0,1]
	v_pk_fma_f32 v[4:5], v[12:13], v[170:171], v[4:5] op_sel:[0,0,1] op_sel_hi:[1,0,0]
	v_mov_b32_e32 v9, v5
	v_pk_add_f32 v[2:3], v[2:3], v[8:9]
	v_pk_add_f32 v[2:3], v[6:7], v[2:3] neg_lo:[0,1] neg_hi:[0,1]
	buffer_store_dword v3, off, s[0:3], 0 offset:28
	buffer_store_dword v2, off, s[0:3], 0 offset:24
	s_and_saveexec_b64 s[4:5], vcc
	s_cbranch_execz .LBB40_255
; %bb.254:
	buffer_load_dword v2, off, s[0:3], 0 offset:16
	buffer_load_dword v3, off, s[0:3], 0 offset:20
	s_waitcnt vmcnt(0)
	ds_write_b64 v1, v[2:3]
	buffer_store_dword v98, off, s[0:3], 0 offset:16
	buffer_store_dword v98, off, s[0:3], 0 offset:20
.LBB40_255:
	s_or_b64 exec, exec, s[4:5]
	s_waitcnt lgkmcnt(0)
	; wave barrier
	s_waitcnt lgkmcnt(0)
	buffer_load_dword v99, off, s[0:3], 0 offset:28
	buffer_load_dword v154, off, s[0:3], 0 offset:36
	;; [unrolled: 1-line block ×32, first 2 shown]
	ds_read2_b64 v[100:103], v98 offset0:45 offset1:46
	ds_read2_b64 v[6:9], v98 offset0:47 offset1:48
	buffer_load_dword v200, off, s[0:3], 0 offset:144
	buffer_load_dword v201, off, s[0:3], 0 offset:148
	ds_read2_b64 v[10:13], v98 offset0:49 offset1:50
	ds_read2_b64 v[2:5], v98 offset0:51 offset1:52
	buffer_load_dword v202, off, s[0:3], 0 offset:152
	buffer_load_dword v203, off, s[0:3], 0 offset:156
	;; [unrolled: 1-line block ×28, first 2 shown]
	v_cmp_lt_u32_e32 vcc, 1, v0
	s_waitcnt vmcnt(61) lgkmcnt(3)
	v_mul_f32_e32 v104, v100, v99
	s_waitcnt vmcnt(60)
	v_mul_f32_e32 v105, v102, v154
	s_waitcnt vmcnt(59) lgkmcnt(2)
	v_mul_f32_e32 v106, v6, v156
	s_waitcnt vmcnt(58)
	v_mul_f32_e32 v107, v8, v158
	;; [unrolled: 4-line block ×3, first 2 shown]
	s_waitcnt vmcnt(55) lgkmcnt(0)
	v_mul_f32_e32 v110, v2, v176
	s_waitcnt vmcnt(54)
	v_fmac_f32_e32 v104, v101, v177
	s_waitcnt vmcnt(53)
	v_fmac_f32_e32 v105, v103, v178
	v_add_f32_e32 v104, 0, v104
	s_waitcnt vmcnt(52)
	v_fmac_f32_e32 v106, v7, v179
	v_add_f32_e32 v104, v104, v105
	;; [unrolled: 3-line block ×6, first 2 shown]
	v_add_f32_e32 v108, v104, v110
	ds_read2_b64 v[104:107], v98 offset0:53 offset1:54
	s_waitcnt vmcnt(47)
	v_mul_f32_e32 v109, v4, v184
	s_waitcnt vmcnt(46)
	v_fmac_f32_e32 v109, v5, v185
	v_add_f32_e32 v112, v108, v109
	ds_read2_b64 v[108:111], v98 offset0:55 offset1:56
	s_waitcnt vmcnt(45) lgkmcnt(1)
	v_mul_f32_e32 v113, v104, v186
	s_waitcnt vmcnt(44)
	v_fmac_f32_e32 v113, v105, v187
	v_add_f32_e32 v112, v112, v113
	s_waitcnt vmcnt(43)
	v_mul_f32_e32 v113, v106, v188
	s_waitcnt vmcnt(42)
	v_fmac_f32_e32 v113, v107, v189
	v_add_f32_e32 v112, v112, v113
	s_waitcnt vmcnt(41) lgkmcnt(0)
	v_mul_f32_e32 v113, v108, v190
	s_waitcnt vmcnt(40)
	v_fmac_f32_e32 v113, v109, v191
	v_add_f32_e32 v116, v112, v113
	ds_read2_b64 v[112:115], v98 offset0:57 offset1:58
	s_waitcnt vmcnt(39)
	v_mul_f32_e32 v117, v110, v192
	s_waitcnt vmcnt(38)
	v_fmac_f32_e32 v117, v111, v193
	v_add_f32_e32 v120, v116, v117
	ds_read2_b64 v[116:119], v98 offset0:59 offset1:60
	s_waitcnt vmcnt(35) lgkmcnt(1)
	v_mul_f32_e32 v121, v112, v194
	s_waitcnt vmcnt(34)
	v_fmac_f32_e32 v121, v113, v195
	v_add_f32_e32 v120, v120, v121
	s_waitcnt vmcnt(32)
	v_mul_f32_e32 v121, v114, v197
	v_fmac_f32_e32 v121, v115, v196
	v_add_f32_e32 v120, v120, v121
	s_waitcnt vmcnt(30) lgkmcnt(0)
	v_mul_f32_e32 v121, v116, v199
	v_fmac_f32_e32 v121, v117, v198
	v_add_f32_e32 v124, v120, v121
	ds_read2_b64 v[120:123], v98 offset0:61 offset1:62
	s_waitcnt vmcnt(28)
	v_mul_f32_e32 v125, v118, v201
	v_fmac_f32_e32 v125, v119, v200
	v_add_f32_e32 v128, v124, v125
	ds_read2_b64 v[124:127], v98 offset0:63 offset1:64
	s_waitcnt vmcnt(26) lgkmcnt(1)
	v_mul_f32_e32 v129, v120, v203
	v_fmac_f32_e32 v129, v121, v202
	v_add_f32_e32 v128, v128, v129
	s_waitcnt vmcnt(24)
	v_mul_f32_e32 v129, v122, v205
	v_fmac_f32_e32 v129, v123, v204
	v_add_f32_e32 v128, v128, v129
	s_waitcnt vmcnt(22) lgkmcnt(0)
	v_mul_f32_e32 v129, v124, v207
	v_fmac_f32_e32 v129, v125, v206
	v_add_f32_e32 v132, v128, v129
	ds_read2_b64 v[128:131], v98 offset0:65 offset1:66
	s_waitcnt vmcnt(20)
	v_mul_f32_e32 v133, v126, v209
	v_fmac_f32_e32 v133, v127, v208
	v_add_f32_e32 v136, v132, v133
	ds_read2_b64 v[132:135], v98 offset0:67 offset1:68
	s_waitcnt vmcnt(18) lgkmcnt(1)
	v_mul_f32_e32 v137, v128, v211
	v_fmac_f32_e32 v137, v129, v210
	v_add_f32_e32 v136, v136, v137
	s_waitcnt vmcnt(16)
	v_mul_f32_e32 v137, v130, v213
	v_fmac_f32_e32 v137, v131, v212
	v_add_f32_e32 v136, v136, v137
	s_waitcnt vmcnt(14) lgkmcnt(0)
	v_mul_f32_e32 v137, v132, v215
	v_fmac_f32_e32 v137, v133, v214
	v_add_f32_e32 v140, v136, v137
	ds_read2_b64 v[136:139], v98 offset0:69 offset1:70
	s_waitcnt vmcnt(12)
	v_mul_f32_e32 v141, v134, v217
	v_fmac_f32_e32 v141, v135, v216
	v_add_f32_e32 v144, v140, v141
	ds_read2_b64 v[140:143], v98 offset0:71 offset1:72
	buffer_load_dword v153, off, s[0:3], 0 offset:268
	buffer_load_dword v152, off, s[0:3], 0 offset:264
	s_waitcnt vmcnt(12) lgkmcnt(1)
	v_mul_f32_e32 v145, v136, v219
	v_fmac_f32_e32 v145, v137, v218
	v_add_f32_e32 v144, v144, v145
	s_waitcnt vmcnt(10)
	v_mul_f32_e32 v145, v138, v221
	v_fmac_f32_e32 v145, v139, v220
	v_add_f32_e32 v144, v144, v145
	s_waitcnt vmcnt(8) lgkmcnt(0)
	v_mul_f32_e32 v145, v140, v223
	v_fmac_f32_e32 v145, v141, v222
	s_waitcnt vmcnt(6)
	v_mul_f32_e32 v149, v142, v225
	v_add_f32_e32 v148, v144, v145
	v_fmac_f32_e32 v149, v143, v224
	ds_read2_b64 v[144:147], v98 offset0:73 offset1:74
	v_add_f32_e32 v155, v148, v149
	ds_read2_b64 v[148:151], v98 offset0:75 offset1:76
	buffer_load_dword v161, off, s[0:3], 0 offset:300
	buffer_load_dword v160, off, s[0:3], 0 offset:296
	;; [unrolled: 1-line block ×14, first 2 shown]
	v_mul_f32_e32 v99, v101, v99
	v_fma_f32 v99, v100, v177, -v99
	v_mul_f32_e32 v100, v103, v154
	v_add_f32_e32 v99, 0, v99
	v_fma_f32 v100, v102, v178, -v100
	v_mul_f32_e32 v7, v7, v156
	v_add_f32_e32 v99, v99, v100
	;; [unrolled: 3-line block ×3, first 2 shown]
	v_fma_f32 v7, v8, v180, -v7
	v_add_f32_e32 v6, v6, v7
	v_mul_f32_e32 v7, v11, v174
	v_fma_f32 v7, v10, v181, -v7
	v_add_f32_e32 v6, v6, v7
	v_mul_f32_e32 v7, v13, v175
	v_fma_f32 v7, v12, v182, -v7
	v_mul_f32_e32 v3, v3, v176
	v_add_f32_e32 v6, v6, v7
	v_fma_f32 v2, v2, v183, -v3
	v_mul_f32_e32 v3, v5, v184
	v_add_f32_e32 v2, v6, v2
	v_fma_f32 v3, v4, v185, -v3
	v_add_f32_e32 v2, v2, v3
	v_mul_f32_e32 v3, v105, v186
	v_fma_f32 v3, v104, v187, -v3
	v_add_f32_e32 v2, v2, v3
	v_mul_f32_e32 v3, v107, v188
	;; [unrolled: 3-line block ×20, first 2 shown]
	v_fma_f32 v3, v142, v224, -v3
	s_waitcnt vmcnt(15)
	v_mov_b32_e32 v100, v153
	s_waitcnt lgkmcnt(1)
	v_mul_f32_e32 v157, v144, v227
	v_add_f32_e32 v154, v2, v3
	v_mul_f32_e32 v2, v145, v227
	s_waitcnt lgkmcnt(0)
	v_pk_mul_f32 v[100:101], v[148:149], v[100:101] op_sel_hi:[1,0]
	v_fmac_f32_e32 v157, v145, v226
	v_mul_f32_e32 v159, v146, v229
	v_fma_f32 v156, v144, v226, -v2
	v_mul_f32_e32 v2, v147, v229
	s_waitcnt vmcnt(14)
	v_pk_fma_f32 v[102:103], v[148:149], v[152:153], v[100:101] op_sel:[0,0,1] op_sel_hi:[1,1,0] neg_lo:[0,0,1] neg_hi:[0,0,1]
	v_pk_fma_f32 v[100:101], v[148:149], v[152:153], v[100:101] op_sel:[0,0,1] op_sel_hi:[1,0,0]
	v_fmac_f32_e32 v159, v147, v228
	v_fma_f32 v158, v146, v228, -v2
	ds_read2_b64 v[2:5], v98 offset0:77 offset1:78
	ds_read2_b64 v[6:9], v98 offset0:79 offset1:80
	;; [unrolled: 1-line block ×3, first 2 shown]
	v_pk_add_f32 v[98:99], v[154:155], v[156:157]
	s_waitcnt vmcnt(7)
	v_mov_b32_e32 v100, v167
	v_pk_add_f32 v[98:99], v[98:99], v[158:159]
	v_mov_b32_e32 v103, v101
	v_pk_mul_f32 v[100:101], v[150:151], v[100:101] op_sel_hi:[1,0]
	v_pk_add_f32 v[98:99], v[98:99], v[102:103]
	s_waitcnt vmcnt(6)
	v_pk_fma_f32 v[102:103], v[150:151], v[166:167], v[100:101] op_sel:[0,0,1] op_sel_hi:[1,1,0] neg_lo:[0,0,1] neg_hi:[0,0,1]
	v_pk_fma_f32 v[100:101], v[150:151], v[166:167], v[100:101] op_sel:[0,0,1] op_sel_hi:[1,0,0]
	v_mov_b32_e32 v100, v165
	v_mov_b32_e32 v103, v101
	s_waitcnt lgkmcnt(2)
	v_pk_mul_f32 v[100:101], v[2:3], v[100:101] op_sel_hi:[1,0]
	v_pk_add_f32 v[98:99], v[98:99], v[102:103]
	v_pk_fma_f32 v[102:103], v[2:3], v[164:165], v[100:101] op_sel:[0,0,1] op_sel_hi:[1,1,0] neg_lo:[0,0,1] neg_hi:[0,0,1]
	v_pk_fma_f32 v[2:3], v[2:3], v[164:165], v[100:101] op_sel:[0,0,1] op_sel_hi:[1,0,0]
	v_mov_b32_e32 v103, v3
	v_pk_add_f32 v[2:3], v[98:99], v[102:103]
	v_mov_b32_e32 v98, v163
	v_pk_mul_f32 v[98:99], v[4:5], v[98:99] op_sel_hi:[1,0]
	v_pk_fma_f32 v[100:101], v[4:5], v[162:163], v[98:99] op_sel:[0,0,1] op_sel_hi:[1,1,0] neg_lo:[0,0,1] neg_hi:[0,0,1]
	v_pk_fma_f32 v[4:5], v[4:5], v[162:163], v[98:99] op_sel:[0,0,1] op_sel_hi:[1,0,0]
	v_mov_b32_e32 v4, v161
	v_mov_b32_e32 v101, v5
	s_waitcnt lgkmcnt(1)
	v_pk_mul_f32 v[4:5], v[6:7], v[4:5] op_sel_hi:[1,0]
	v_pk_fma_f32 v[98:99], v[6:7], v[160:161], v[4:5] op_sel:[0,0,1] op_sel_hi:[1,1,0] neg_lo:[0,0,1] neg_hi:[0,0,1]
	v_pk_fma_f32 v[4:5], v[6:7], v[160:161], v[4:5] op_sel:[0,0,1] op_sel_hi:[1,0,0]
	s_waitcnt vmcnt(1)
	v_mov_b32_e32 v4, v173
	v_mov_b32_e32 v99, v5
	v_pk_mul_f32 v[4:5], v[8:9], v[4:5] op_sel_hi:[1,0]
	s_waitcnt vmcnt(0)
	v_pk_fma_f32 v[6:7], v[8:9], v[172:173], v[4:5] op_sel:[0,0,1] op_sel_hi:[1,1,0] neg_lo:[0,0,1] neg_hi:[0,0,1]
	v_pk_fma_f32 v[4:5], v[8:9], v[172:173], v[4:5] op_sel:[0,0,1] op_sel_hi:[1,0,0]
	v_pk_add_f32 v[2:3], v[2:3], v[100:101]
	v_mov_b32_e32 v4, v171
	v_pk_add_f32 v[2:3], v[2:3], v[98:99]
	v_mov_b32_e32 v7, v5
	s_waitcnt lgkmcnt(0)
	v_pk_mul_f32 v[4:5], v[10:11], v[4:5] op_sel_hi:[1,0]
	v_pk_add_f32 v[2:3], v[2:3], v[6:7]
	v_pk_fma_f32 v[6:7], v[10:11], v[170:171], v[4:5] op_sel:[0,0,1] op_sel_hi:[1,1,0] neg_lo:[0,0,1] neg_hi:[0,0,1]
	v_pk_fma_f32 v[4:5], v[10:11], v[170:171], v[4:5] op_sel:[0,0,1] op_sel_hi:[1,0,0]
	v_mov_b32_e32 v4, v169
	v_mov_b32_e32 v7, v5
	v_pk_mul_f32 v[4:5], v[12:13], v[4:5] op_sel_hi:[1,0]
	v_pk_add_f32 v[2:3], v[2:3], v[6:7]
	v_pk_fma_f32 v[6:7], v[12:13], v[168:169], v[4:5] op_sel:[0,0,1] op_sel_hi:[1,1,0] neg_lo:[0,0,1] neg_hi:[0,0,1]
	v_pk_fma_f32 v[4:5], v[12:13], v[168:169], v[4:5] op_sel:[0,0,1] op_sel_hi:[1,0,0]
	v_mov_b32_e32 v7, v5
	v_pk_add_f32 v[2:3], v[2:3], v[6:7]
	v_pk_add_f32 v[2:3], v[14:15], v[2:3] neg_lo:[0,1] neg_hi:[0,1]
	buffer_store_dword v3, off, s[0:3], 0 offset:20
	buffer_store_dword v2, off, s[0:3], 0 offset:16
	s_and_saveexec_b64 s[4:5], vcc
	s_cbranch_execz .LBB40_257
; %bb.256:
	buffer_load_dword v2, off, s[0:3], 0 offset:8
	buffer_load_dword v3, off, s[0:3], 0 offset:12
	v_mov_b32_e32 v4, 0
	buffer_store_dword v4, off, s[0:3], 0 offset:8
	buffer_store_dword v4, off, s[0:3], 0 offset:12
	s_waitcnt vmcnt(2)
	ds_write_b64 v1, v[2:3]
.LBB40_257:
	s_or_b64 exec, exec, s[4:5]
	s_waitcnt lgkmcnt(0)
	; wave barrier
	s_waitcnt lgkmcnt(0)
	buffer_load_dword v98, off, s[0:3], 0 offset:20
	buffer_load_dword v101, off, s[0:3], 0 offset:28
	;; [unrolled: 1-line block ×48, first 2 shown]
	v_mov_b32_e32 v100, 0
	ds_read_b128 v[4:7], v100 offset:352
	buffer_load_dword v216, off, s[0:3], 0 offset:200
	buffer_load_dword v217, off, s[0:3], 0 offset:204
	;; [unrolled: 1-line block ×8, first 2 shown]
	ds_read_b128 v[8:11], v100 offset:368
	ds_read_b128 v[12:15], v100 offset:384
	;; [unrolled: 1-line block ×3, first 2 shown]
	buffer_load_dword v224, off, s[0:3], 0 offset:232
	buffer_load_dword v225, off, s[0:3], 0 offset:236
	buffer_load_dword v226, off, s[0:3], 0 offset:240
	buffer_load_dword v227, off, s[0:3], 0 offset:244
	buffer_load_dword v228, off, s[0:3], 0 offset:248
	buffer_load_dword v229, off, s[0:3], 0 offset:252
	buffer_load_dword v230, off, s[0:3], 0 offset:256
	buffer_load_dword v231, off, s[0:3], 0 offset:260
	v_cmp_ne_u32_e32 vcc, 0, v0
	s_waitcnt vmcnt(62) lgkmcnt(3)
	v_mul_f32_e32 v99, v4, v98
	v_mul_f32_e32 v106, v6, v101
	s_waitcnt vmcnt(61) lgkmcnt(2)
	v_mul_f32_e32 v107, v8, v154
	s_waitcnt vmcnt(60)
	v_mul_f32_e32 v108, v10, v156
	s_waitcnt vmcnt(59) lgkmcnt(1)
	v_mul_f32_e32 v109, v12, v174
	s_waitcnt vmcnt(58)
	;; [unrolled: 4-line block ×3, first 2 shown]
	v_fmac_f32_e32 v99, v5, v177
	s_waitcnt vmcnt(55)
	v_fmac_f32_e32 v106, v7, v178
	v_add_f32_e32 v99, 0, v99
	s_waitcnt vmcnt(54)
	v_fmac_f32_e32 v107, v9, v179
	v_add_f32_e32 v99, v99, v106
	;; [unrolled: 3-line block ×4, first 2 shown]
	v_add_f32_e32 v99, v99, v109
	ds_read_b128 v[106:109], v100 offset:416
	s_waitcnt vmcnt(51)
	v_fmac_f32_e32 v110, v15, v182
	s_waitcnt vmcnt(50)
	v_fmac_f32_e32 v111, v103, v183
	v_add_f32_e32 v99, v99, v110
	s_waitcnt vmcnt(49)
	v_mul_f32_e32 v110, v104, v184
	v_add_f32_e32 v99, v99, v111
	s_waitcnt vmcnt(48)
	v_fmac_f32_e32 v110, v105, v185
	v_add_f32_e32 v99, v99, v110
	ds_read_b128 v[110:113], v100 offset:432
	s_waitcnt vmcnt(47) lgkmcnt(1)
	v_mul_f32_e32 v114, v106, v186
	s_waitcnt vmcnt(46)
	v_fmac_f32_e32 v114, v107, v187
	v_add_f32_e32 v99, v99, v114
	s_waitcnt vmcnt(45)
	v_mul_f32_e32 v114, v108, v188
	s_waitcnt vmcnt(44)
	v_fmac_f32_e32 v114, v109, v189
	v_add_f32_e32 v99, v99, v114
	s_waitcnt vmcnt(42) lgkmcnt(0)
	v_mul_f32_e32 v114, v110, v191
	v_fmac_f32_e32 v114, v111, v190
	v_add_f32_e32 v99, v99, v114
	ds_read_b128 v[114:117], v100 offset:448
	s_waitcnt vmcnt(38)
	v_mul_f32_e32 v118, v112, v193
	v_fmac_f32_e32 v118, v113, v192
	v_add_f32_e32 v99, v99, v118
	ds_read_b128 v[118:121], v100 offset:464
	s_waitcnt vmcnt(36) lgkmcnt(1)
	v_mul_f32_e32 v122, v114, v195
	v_fmac_f32_e32 v122, v115, v194
	v_add_f32_e32 v99, v99, v122
	s_waitcnt vmcnt(34)
	v_mul_f32_e32 v122, v116, v197
	v_fmac_f32_e32 v122, v117, v196
	v_add_f32_e32 v99, v99, v122
	s_waitcnt vmcnt(32) lgkmcnt(0)
	v_mul_f32_e32 v122, v118, v199
	v_fmac_f32_e32 v122, v119, v198
	v_add_f32_e32 v99, v99, v122
	ds_read_b128 v[122:125], v100 offset:480
	s_waitcnt vmcnt(30)
	v_mul_f32_e32 v126, v120, v201
	v_fmac_f32_e32 v126, v121, v200
	v_add_f32_e32 v99, v99, v126
	ds_read_b128 v[126:129], v100 offset:496
	s_waitcnt vmcnt(28) lgkmcnt(1)
	v_mul_f32_e32 v130, v122, v203
	v_fmac_f32_e32 v130, v123, v202
	v_add_f32_e32 v99, v99, v130
	s_waitcnt vmcnt(26)
	v_mul_f32_e32 v130, v124, v205
	;; [unrolled: 18-line block ×4, first 2 shown]
	v_fmac_f32_e32 v146, v141, v220
	v_add_f32_e32 v99, v99, v146
	s_waitcnt vmcnt(8) lgkmcnt(0)
	v_mul_f32_e32 v146, v142, v223
	v_fmac_f32_e32 v146, v143, v222
	s_waitcnt vmcnt(6)
	v_mul_f32_e32 v150, v144, v225
	v_add_f32_e32 v99, v99, v146
	v_fmac_f32_e32 v150, v145, v224
	ds_read_b128 v[146:149], v100 offset:576
	v_add_f32_e32 v99, v99, v150
	ds_read_b128 v[150:153], v100 offset:592
	buffer_load_dword v159, off, s[0:3], 0 offset:292
	buffer_load_dword v158, off, s[0:3], 0 offset:288
	buffer_load_dword v161, off, s[0:3], 0 offset:284
	buffer_load_dword v160, off, s[0:3], 0 offset:280
	buffer_load_dword v163, off, s[0:3], 0 offset:276
	buffer_load_dword v162, off, s[0:3], 0 offset:272
	buffer_load_dword v165, off, s[0:3], 0 offset:268
	buffer_load_dword v164, off, s[0:3], 0 offset:264
	buffer_load_dword v167, off, s[0:3], 0 offset:324
	buffer_load_dword v166, off, s[0:3], 0 offset:320
	buffer_load_dword v169, off, s[0:3], 0 offset:316
	buffer_load_dword v168, off, s[0:3], 0 offset:312
	buffer_load_dword v171, off, s[0:3], 0 offset:308
	buffer_load_dword v170, off, s[0:3], 0 offset:304
	buffer_load_dword v173, off, s[0:3], 0 offset:300
	buffer_load_dword v172, off, s[0:3], 0 offset:296
	v_mul_f32_e32 v5, v5, v98
	v_fma_f32 v4, v4, v177, -v5
	v_mul_f32_e32 v5, v7, v101
	v_add_f32_e32 v4, 0, v4
	v_fma_f32 v5, v6, v178, -v5
	v_add_f32_e32 v4, v4, v5
	v_mul_f32_e32 v5, v9, v154
	v_fma_f32 v5, v8, v179, -v5
	v_add_f32_e32 v4, v4, v5
	v_mul_f32_e32 v5, v11, v156
	;; [unrolled: 3-line block ×26, first 2 shown]
	v_fma_f32 v5, v144, v224, -v5
	v_add_f32_e32 v4, v4, v5
	s_waitcnt vmcnt(20) lgkmcnt(1)
	v_mul_f32_e32 v5, v147, v227
	v_mul_f32_e32 v155, v146, v227
	v_fma_f32 v5, v146, v226, -v5
	v_fmac_f32_e32 v155, v147, v226
	v_add_f32_e32 v98, v4, v5
	s_waitcnt vmcnt(18)
	v_mul_f32_e32 v4, v149, v229
	s_waitcnt vmcnt(9)
	v_mov_b32_e32 v104, v165
	v_add_f32_e32 v99, v99, v155
	v_mul_f32_e32 v155, v148, v229
	v_fma_f32 v154, v148, v228, -v4
	s_waitcnt lgkmcnt(0)
	v_mul_f32_e32 v4, v151, v231
	v_pk_mul_f32 v[104:105], v[152:153], v[104:105] op_sel_hi:[1,0]
	v_fmac_f32_e32 v155, v149, v228
	v_mul_f32_e32 v157, v150, v231
	v_fma_f32 v156, v150, v230, -v4
	ds_read_b128 v[4:7], v100 offset:608
	ds_read_b128 v[8:11], v100 offset:624
	;; [unrolled: 1-line block ×3, first 2 shown]
	ds_read_b64 v[102:103], v100 offset:656
	s_waitcnt vmcnt(8)
	v_pk_fma_f32 v[106:107], v[152:153], v[164:165], v[104:105] op_sel:[0,0,1] op_sel_hi:[1,1,0] neg_lo:[0,0,1] neg_hi:[0,0,1]
	v_pk_fma_f32 v[104:105], v[152:153], v[164:165], v[104:105] op_sel:[0,0,1] op_sel_hi:[1,0,0]
	v_fmac_f32_e32 v157, v151, v230
	v_pk_add_f32 v[98:99], v[98:99], v[154:155]
	v_mov_b32_e32 v104, v163
	v_pk_add_f32 v[98:99], v[98:99], v[156:157]
	v_mov_b32_e32 v107, v105
	s_waitcnt lgkmcnt(3)
	v_pk_mul_f32 v[104:105], v[4:5], v[104:105] op_sel_hi:[1,0]
	v_pk_add_f32 v[98:99], v[98:99], v[106:107]
	v_pk_fma_f32 v[106:107], v[4:5], v[162:163], v[104:105] op_sel:[0,0,1] op_sel_hi:[1,1,0] neg_lo:[0,0,1] neg_hi:[0,0,1]
	v_pk_fma_f32 v[4:5], v[4:5], v[162:163], v[104:105] op_sel:[0,0,1] op_sel_hi:[1,0,0]
	v_mov_b32_e32 v107, v5
	v_pk_add_f32 v[4:5], v[98:99], v[106:107]
	v_mov_b32_e32 v98, v161
	v_pk_mul_f32 v[98:99], v[6:7], v[98:99] op_sel_hi:[1,0]
	v_pk_fma_f32 v[104:105], v[6:7], v[160:161], v[98:99] op_sel:[0,0,1] op_sel_hi:[1,1,0] neg_lo:[0,0,1] neg_hi:[0,0,1]
	v_pk_fma_f32 v[6:7], v[6:7], v[160:161], v[98:99] op_sel:[0,0,1] op_sel_hi:[1,0,0]
	v_mov_b32_e32 v6, v159
	v_mov_b32_e32 v105, v7
	s_waitcnt lgkmcnt(2)
	v_pk_mul_f32 v[6:7], v[8:9], v[6:7] op_sel_hi:[1,0]
	v_pk_fma_f32 v[98:99], v[8:9], v[158:159], v[6:7] op_sel:[0,0,1] op_sel_hi:[1,1,0] neg_lo:[0,0,1] neg_hi:[0,0,1]
	v_pk_fma_f32 v[6:7], v[8:9], v[158:159], v[6:7] op_sel:[0,0,1] op_sel_hi:[1,0,0]
	s_waitcnt vmcnt(1)
	v_mov_b32_e32 v6, v173
	v_mov_b32_e32 v99, v7
	v_pk_mul_f32 v[6:7], v[10:11], v[6:7] op_sel_hi:[1,0]
	s_waitcnt vmcnt(0)
	v_pk_fma_f32 v[8:9], v[10:11], v[172:173], v[6:7] op_sel:[0,0,1] op_sel_hi:[1,1,0] neg_lo:[0,0,1] neg_hi:[0,0,1]
	v_pk_fma_f32 v[6:7], v[10:11], v[172:173], v[6:7] op_sel:[0,0,1] op_sel_hi:[1,0,0]
	v_pk_add_f32 v[4:5], v[4:5], v[104:105]
	v_mov_b32_e32 v6, v171
	v_pk_add_f32 v[4:5], v[4:5], v[98:99]
	v_mov_b32_e32 v9, v7
	s_waitcnt lgkmcnt(1)
	v_pk_mul_f32 v[6:7], v[12:13], v[6:7] op_sel_hi:[1,0]
	v_pk_add_f32 v[4:5], v[4:5], v[8:9]
	v_pk_fma_f32 v[8:9], v[12:13], v[170:171], v[6:7] op_sel:[0,0,1] op_sel_hi:[1,1,0] neg_lo:[0,0,1] neg_hi:[0,0,1]
	v_pk_fma_f32 v[6:7], v[12:13], v[170:171], v[6:7] op_sel:[0,0,1] op_sel_hi:[1,0,0]
	v_mov_b32_e32 v6, v169
	v_mov_b32_e32 v9, v7
	v_pk_mul_f32 v[6:7], v[14:15], v[6:7] op_sel_hi:[1,0]
	v_pk_add_f32 v[4:5], v[4:5], v[8:9]
	v_pk_fma_f32 v[8:9], v[14:15], v[168:169], v[6:7] op_sel:[0,0,1] op_sel_hi:[1,1,0] neg_lo:[0,0,1] neg_hi:[0,0,1]
	v_pk_fma_f32 v[6:7], v[14:15], v[168:169], v[6:7] op_sel:[0,0,1] op_sel_hi:[1,0,0]
	v_mov_b32_e32 v6, v167
	v_mov_b32_e32 v9, v7
	s_waitcnt lgkmcnt(0)
	v_pk_mul_f32 v[6:7], v[102:103], v[6:7] op_sel_hi:[1,0]
	v_pk_add_f32 v[4:5], v[4:5], v[8:9]
	v_pk_fma_f32 v[8:9], v[102:103], v[166:167], v[6:7] op_sel:[0,0,1] op_sel_hi:[1,1,0] neg_lo:[0,0,1] neg_hi:[0,0,1]
	v_pk_fma_f32 v[6:7], v[102:103], v[166:167], v[6:7] op_sel:[0,0,1] op_sel_hi:[1,0,0]
	v_mov_b32_e32 v9, v7
	v_pk_add_f32 v[4:5], v[4:5], v[8:9]
	v_pk_add_f32 v[2:3], v[2:3], v[4:5] neg_lo:[0,1] neg_hi:[0,1]
	buffer_store_dword v3, off, s[0:3], 0 offset:12
	buffer_store_dword v2, off, s[0:3], 0 offset:8
	s_and_saveexec_b64 s[4:5], vcc
	s_cbranch_execz .LBB40_259
; %bb.258:
	buffer_load_dword v2, off, s[0:3], 0
	buffer_load_dword v3, off, s[0:3], 0 offset:4
	s_waitcnt vmcnt(0)
	ds_write_b64 v1, v[2:3]
	buffer_store_dword v100, off, s[0:3], 0
	buffer_store_dword v100, off, s[0:3], 0 offset:4
.LBB40_259:
	s_or_b64 exec, exec, s[4:5]
	s_waitcnt lgkmcnt(0)
	; wave barrier
	s_waitcnt lgkmcnt(0)
	buffer_load_dword v101, off, s[0:3], 0 offset:12
	buffer_load_dword v150, off, s[0:3], 0 offset:20
	;; [unrolled: 1-line block ×20, first 2 shown]
	buffer_load_dword v98, off, s[0:3], 0
	buffer_load_dword v99, off, s[0:3], 0 offset:4
	buffer_load_dword v188, off, s[0:3], 0 offset:92
	;; [unrolled: 1-line block ×5, first 2 shown]
	ds_read2_b64 v[12:15], v100 offset0:43 offset1:44
	ds_read2_b64 v[4:7], v100 offset0:45 offset1:46
	buffer_load_dword v192, off, s[0:3], 0 offset:104
	buffer_load_dword v193, off, s[0:3], 0 offset:108
	ds_read2_b64 v[8:11], v100 offset0:47 offset1:48
	ds_read2_b64 v[0:3], v100 offset0:49 offset1:50
	buffer_load_dword v194, off, s[0:3], 0 offset:112
	buffer_load_dword v195, off, s[0:3], 0 offset:116
	;; [unrolled: 1-line block ×32, first 2 shown]
	s_and_b64 vcc, exec, s[20:21]
	s_waitcnt vmcnt(59) lgkmcnt(3)
	v_mul_f32_e32 v102, v12, v101
	s_waitcnt vmcnt(58)
	v_mul_f32_e32 v103, v14, v150
	s_waitcnt vmcnt(57) lgkmcnt(2)
	v_mul_f32_e32 v104, v4, v152
	s_waitcnt vmcnt(56)
	v_mul_f32_e32 v105, v6, v160
	;; [unrolled: 4-line block ×4, first 2 shown]
	s_waitcnt vmcnt(51)
	v_fmac_f32_e32 v102, v13, v176
	s_waitcnt vmcnt(50)
	v_fmac_f32_e32 v103, v15, v177
	v_add_f32_e32 v102, 0, v102
	s_waitcnt vmcnt(49)
	v_fmac_f32_e32 v104, v5, v178
	v_add_f32_e32 v102, v102, v103
	;; [unrolled: 3-line block ×6, first 2 shown]
	v_add_f32_e32 v106, v102, v108
	ds_read2_b64 v[102:105], v100 offset0:51 offset1:52
	s_waitcnt vmcnt(44)
	v_fmac_f32_e32 v109, v3, v183
	buffer_load_dword v226, off, s[0:3], 0 offset:240
	buffer_load_dword v227, off, s[0:3], 0 offset:244
	v_add_f32_e32 v110, v106, v109
	buffer_load_dword v228, off, s[0:3], 0 offset:248
	buffer_load_dword v229, off, s[0:3], 0 offset:252
	ds_read2_b64 v[106:109], v100 offset0:53 offset1:54
	s_waitcnt vmcnt(47) lgkmcnt(1)
	v_mul_f32_e32 v111, v102, v184
	s_waitcnt vmcnt(46)
	v_fmac_f32_e32 v111, v103, v185
	v_add_f32_e32 v110, v110, v111
	s_waitcnt vmcnt(45)
	v_mul_f32_e32 v111, v104, v186
	s_waitcnt vmcnt(44)
	v_fmac_f32_e32 v111, v105, v187
	v_add_f32_e32 v110, v110, v111
	s_waitcnt vmcnt(41) lgkmcnt(0)
	v_mul_f32_e32 v111, v106, v188
	s_waitcnt vmcnt(40)
	v_fmac_f32_e32 v111, v107, v189
	buffer_load_dword v230, off, s[0:3], 0 offset:256
	buffer_load_dword v231, off, s[0:3], 0 offset:260
	v_add_f32_e32 v114, v110, v111
	ds_read2_b64 v[110:113], v100 offset0:55 offset1:56
	s_waitcnt vmcnt(40)
	v_mul_f32_e32 v115, v108, v191
	v_fmac_f32_e32 v115, v109, v190
	v_add_f32_e32 v118, v114, v115
	ds_read2_b64 v[114:117], v100 offset0:57 offset1:58
	s_waitcnt vmcnt(38) lgkmcnt(1)
	v_mul_f32_e32 v119, v110, v193
	v_fmac_f32_e32 v119, v111, v192
	v_add_f32_e32 v118, v118, v119
	s_waitcnt vmcnt(36)
	v_mul_f32_e32 v119, v112, v195
	v_fmac_f32_e32 v119, v113, v194
	v_add_f32_e32 v118, v118, v119
	s_waitcnt vmcnt(34) lgkmcnt(0)
	v_mul_f32_e32 v119, v114, v197
	v_fmac_f32_e32 v119, v115, v196
	v_add_f32_e32 v122, v118, v119
	ds_read2_b64 v[118:121], v100 offset0:59 offset1:60
	s_waitcnt vmcnt(32)
	v_mul_f32_e32 v123, v116, v199
	v_fmac_f32_e32 v123, v117, v198
	v_add_f32_e32 v126, v122, v123
	ds_read2_b64 v[122:125], v100 offset0:61 offset1:62
	s_waitcnt vmcnt(30) lgkmcnt(1)
	v_mul_f32_e32 v127, v118, v201
	v_fmac_f32_e32 v127, v119, v200
	v_add_f32_e32 v126, v126, v127
	s_waitcnt vmcnt(28)
	v_mul_f32_e32 v127, v120, v203
	v_fmac_f32_e32 v127, v121, v202
	v_add_f32_e32 v126, v126, v127
	s_waitcnt vmcnt(26) lgkmcnt(0)
	v_mul_f32_e32 v127, v122, v205
	v_fmac_f32_e32 v127, v123, v204
	;; [unrolled: 18-line block ×4, first 2 shown]
	s_waitcnt vmcnt(8)
	v_mul_f32_e32 v147, v140, v223
	v_add_f32_e32 v146, v142, v143
	v_fmac_f32_e32 v147, v141, v222
	ds_read2_b64 v[142:145], v100 offset0:71 offset1:72
	v_add_f32_e32 v151, v146, v147
	ds_read2_b64 v[146:149], v100 offset0:73 offset1:74
	buffer_load_dword v155, off, s[0:3], 0 offset:284
	buffer_load_dword v154, off, s[0:3], 0 offset:280
	;; [unrolled: 1-line block ×16, first 2 shown]
	v_mul_f32_e32 v13, v13, v101
	v_fma_f32 v12, v12, v176, -v13
	v_mul_f32_e32 v13, v15, v150
	v_add_f32_e32 v12, 0, v12
	v_fma_f32 v13, v14, v177, -v13
	v_mul_f32_e32 v5, v5, v152
	v_add_f32_e32 v12, v12, v13
	;; [unrolled: 3-line block ×3, first 2 shown]
	v_fma_f32 v5, v6, v179, -v5
	v_add_f32_e32 v4, v4, v5
	v_mul_f32_e32 v5, v9, v172
	v_fma_f32 v5, v8, v180, -v5
	v_add_f32_e32 v4, v4, v5
	v_mul_f32_e32 v5, v11, v173
	v_fma_f32 v5, v10, v181, -v5
	v_mul_f32_e32 v1, v1, v174
	v_add_f32_e32 v4, v4, v5
	v_fma_f32 v0, v0, v182, -v1
	v_mul_f32_e32 v1, v3, v175
	v_add_f32_e32 v0, v4, v0
	v_fma_f32 v1, v2, v183, -v1
	v_add_f32_e32 v0, v0, v1
	v_mul_f32_e32 v1, v103, v184
	v_fma_f32 v1, v102, v185, -v1
	v_add_f32_e32 v0, v0, v1
	v_mul_f32_e32 v1, v105, v186
	;; [unrolled: 3-line block ×20, first 2 shown]
	v_fma_f32 v1, v140, v222, -v1
	v_add_f32_e32 v0, v0, v1
	s_waitcnt vmcnt(22) lgkmcnt(1)
	v_mul_f32_e32 v1, v143, v225
	v_fma_f32 v1, v142, v224, -v1
	v_add_f32_e32 v0, v0, v1
	s_waitcnt vmcnt(20)
	v_mul_f32_e32 v1, v145, v227
	v_mul_f32_e32 v153, v142, v225
	v_fma_f32 v1, v144, v226, -v1
	v_fmac_f32_e32 v153, v143, v224
	v_add_f32_e32 v150, v0, v1
	s_waitcnt vmcnt(18) lgkmcnt(0)
	v_mul_f32_e32 v0, v147, v229
	v_add_f32_e32 v151, v151, v153
	v_mul_f32_e32 v153, v144, v227
	v_fma_f32 v152, v146, v228, -v0
	s_waitcnt vmcnt(16)
	v_mul_f32_e32 v0, v149, v231
	v_fmac_f32_e32 v153, v145, v226
	v_fma_f32 v160, v148, v230, -v0
	ds_read2_b64 v[0:3], v100 offset0:75 offset1:76
	ds_read2_b64 v[4:7], v100 offset0:77 offset1:78
	;; [unrolled: 1-line block ×4, first 2 shown]
	v_add_f32_e32 v151, v151, v153
	v_mul_f32_e32 v153, v146, v229
	s_waitcnt vmcnt(11)
	v_mov_b32_e32 v102, v159
	v_fmac_f32_e32 v153, v147, v228
	v_mul_f32_e32 v161, v148, v231
	s_waitcnt lgkmcnt(3)
	v_pk_mul_f32 v[102:103], v[0:1], v[102:103] op_sel_hi:[1,0]
	v_fmac_f32_e32 v161, v149, v230
	v_pk_add_f32 v[100:101], v[150:151], v[152:153]
	s_waitcnt vmcnt(10)
	v_pk_fma_f32 v[104:105], v[0:1], v[158:159], v[102:103] op_sel:[0,0,1] op_sel_hi:[1,1,0] neg_lo:[0,0,1] neg_hi:[0,0,1]
	v_pk_fma_f32 v[0:1], v[0:1], v[158:159], v[102:103] op_sel:[0,0,1] op_sel_hi:[1,0,0]
	v_pk_add_f32 v[100:101], v[100:101], v[160:161]
	v_mov_b32_e32 v105, v1
	v_pk_add_f32 v[0:1], v[100:101], v[104:105]
	v_mov_b32_e32 v100, v157
	v_pk_mul_f32 v[100:101], v[2:3], v[100:101] op_sel_hi:[1,0]
	v_pk_fma_f32 v[102:103], v[2:3], v[156:157], v[100:101] op_sel:[0,0,1] op_sel_hi:[1,1,0] neg_lo:[0,0,1] neg_hi:[0,0,1]
	v_pk_fma_f32 v[2:3], v[2:3], v[156:157], v[100:101] op_sel:[0,0,1] op_sel_hi:[1,0,0]
	v_mov_b32_e32 v2, v155
	v_mov_b32_e32 v103, v3
	s_waitcnt lgkmcnt(2)
	v_pk_mul_f32 v[2:3], v[4:5], v[2:3] op_sel_hi:[1,0]
	v_pk_fma_f32 v[100:101], v[4:5], v[154:155], v[2:3] op_sel:[0,0,1] op_sel_hi:[1,1,0] neg_lo:[0,0,1] neg_hi:[0,0,1]
	v_pk_fma_f32 v[2:3], v[4:5], v[154:155], v[2:3] op_sel:[0,0,1] op_sel_hi:[1,0,0]
	s_waitcnt vmcnt(3)
	v_mov_b32_e32 v2, v169
	v_mov_b32_e32 v101, v3
	v_pk_mul_f32 v[2:3], v[6:7], v[2:3] op_sel_hi:[1,0]
	s_waitcnt vmcnt(2)
	v_pk_fma_f32 v[4:5], v[6:7], v[168:169], v[2:3] op_sel:[0,0,1] op_sel_hi:[1,1,0] neg_lo:[0,0,1] neg_hi:[0,0,1]
	v_pk_fma_f32 v[2:3], v[6:7], v[168:169], v[2:3] op_sel:[0,0,1] op_sel_hi:[1,0,0]
	v_pk_add_f32 v[0:1], v[0:1], v[102:103]
	v_mov_b32_e32 v2, v167
	v_pk_add_f32 v[0:1], v[0:1], v[100:101]
	v_mov_b32_e32 v5, v3
	s_waitcnt lgkmcnt(1)
	v_pk_mul_f32 v[2:3], v[8:9], v[2:3] op_sel_hi:[1,0]
	v_pk_add_f32 v[0:1], v[0:1], v[4:5]
	v_pk_fma_f32 v[4:5], v[8:9], v[166:167], v[2:3] op_sel:[0,0,1] op_sel_hi:[1,1,0] neg_lo:[0,0,1] neg_hi:[0,0,1]
	v_pk_fma_f32 v[2:3], v[8:9], v[166:167], v[2:3] op_sel:[0,0,1] op_sel_hi:[1,0,0]
	v_mov_b32_e32 v2, v165
	v_mov_b32_e32 v5, v3
	v_pk_mul_f32 v[2:3], v[10:11], v[2:3] op_sel_hi:[1,0]
	v_pk_add_f32 v[0:1], v[0:1], v[4:5]
	v_pk_fma_f32 v[4:5], v[10:11], v[164:165], v[2:3] op_sel:[0,0,1] op_sel_hi:[1,1,0] neg_lo:[0,0,1] neg_hi:[0,0,1]
	v_pk_fma_f32 v[2:3], v[10:11], v[164:165], v[2:3] op_sel:[0,0,1] op_sel_hi:[1,0,0]
	v_mov_b32_e32 v2, v163
	v_mov_b32_e32 v5, v3
	s_waitcnt lgkmcnt(0)
	v_pk_mul_f32 v[2:3], v[12:13], v[2:3] op_sel_hi:[1,0]
	v_pk_add_f32 v[0:1], v[0:1], v[4:5]
	v_pk_fma_f32 v[4:5], v[12:13], v[162:163], v[2:3] op_sel:[0,0,1] op_sel_hi:[1,1,0] neg_lo:[0,0,1] neg_hi:[0,0,1]
	v_pk_fma_f32 v[2:3], v[12:13], v[162:163], v[2:3] op_sel:[0,0,1] op_sel_hi:[1,0,0]
	s_waitcnt vmcnt(1)
	v_mov_b32_e32 v2, v171
	v_mov_b32_e32 v5, v3
	v_pk_mul_f32 v[2:3], v[14:15], v[2:3] op_sel_hi:[1,0]
	v_pk_add_f32 v[0:1], v[0:1], v[4:5]
	s_waitcnt vmcnt(0)
	v_pk_fma_f32 v[4:5], v[14:15], v[170:171], v[2:3] op_sel:[0,0,1] op_sel_hi:[1,1,0] neg_lo:[0,0,1] neg_hi:[0,0,1]
	v_pk_fma_f32 v[2:3], v[14:15], v[170:171], v[2:3] op_sel:[0,0,1] op_sel_hi:[1,0,0]
	v_mov_b32_e32 v5, v3
	v_pk_add_f32 v[0:1], v[0:1], v[4:5]
	v_pk_add_f32 v[0:1], v[98:99], v[0:1] neg_lo:[0,1] neg_hi:[0,1]
	buffer_store_dword v1, off, s[0:3], 0 offset:4
	buffer_store_dword v0, off, s[0:3], 0
	s_cbranch_vccz .LBB40_341
; %bb.260:
	v_pk_mov_b32 v[0:1], s[10:11], s[10:11] op_sel:[0,1]
	flat_load_dword v0, v[0:1] offset:156
	s_waitcnt vmcnt(0) lgkmcnt(0)
	v_add_u32_e32 v0, -1, v0
	v_cmp_ne_u32_e32 vcc, 39, v0
	s_and_saveexec_b64 s[4:5], vcc
	s_cbranch_execz .LBB40_262
; %bb.261:
	v_mov_b32_e32 v1, 0
	v_lshl_add_u32 v0, v0, 3, v1
	buffer_load_dword v1, v0, s[0:3], 0 offen
	buffer_load_dword v2, v0, s[0:3], 0 offen offset:4
	buffer_load_dword v3, off, s[0:3], 0 offset:312
	buffer_load_dword v4, off, s[0:3], 0 offset:316
	s_waitcnt vmcnt(3)
	buffer_store_dword v1, off, s[0:3], 0 offset:312
	s_waitcnt vmcnt(3)
	buffer_store_dword v2, off, s[0:3], 0 offset:316
	s_waitcnt vmcnt(3)
	buffer_store_dword v3, v0, s[0:3], 0 offen
	s_waitcnt vmcnt(3)
	buffer_store_dword v4, v0, s[0:3], 0 offen offset:4
.LBB40_262:
	s_or_b64 exec, exec, s[4:5]
	v_pk_mov_b32 v[0:1], s[10:11], s[10:11] op_sel:[0,1]
	flat_load_dword v0, v[0:1] offset:152
	s_waitcnt vmcnt(0) lgkmcnt(0)
	v_add_u32_e32 v0, -1, v0
	v_cmp_ne_u32_e32 vcc, 38, v0
	s_and_saveexec_b64 s[4:5], vcc
	s_cbranch_execz .LBB40_264
; %bb.263:
	v_mov_b32_e32 v1, 0
	v_lshl_add_u32 v0, v0, 3, v1
	buffer_load_dword v1, v0, s[0:3], 0 offen
	buffer_load_dword v2, v0, s[0:3], 0 offen offset:4
	buffer_load_dword v3, off, s[0:3], 0 offset:308
	buffer_load_dword v4, off, s[0:3], 0 offset:304
	s_waitcnt vmcnt(3)
	buffer_store_dword v1, off, s[0:3], 0 offset:304
	s_waitcnt vmcnt(3)
	buffer_store_dword v2, off, s[0:3], 0 offset:308
	s_waitcnt vmcnt(3)
	buffer_store_dword v3, v0, s[0:3], 0 offen offset:4
	s_waitcnt vmcnt(3)
	buffer_store_dword v4, v0, s[0:3], 0 offen
.LBB40_264:
	s_or_b64 exec, exec, s[4:5]
	v_pk_mov_b32 v[0:1], s[10:11], s[10:11] op_sel:[0,1]
	flat_load_dword v0, v[0:1] offset:148
	s_waitcnt vmcnt(0) lgkmcnt(0)
	v_add_u32_e32 v0, -1, v0
	v_cmp_ne_u32_e32 vcc, 37, v0
	s_and_saveexec_b64 s[4:5], vcc
	s_cbranch_execz .LBB40_266
; %bb.265:
	v_mov_b32_e32 v1, 0
	v_lshl_add_u32 v0, v0, 3, v1
	buffer_load_dword v1, v0, s[0:3], 0 offen
	buffer_load_dword v2, v0, s[0:3], 0 offen offset:4
	buffer_load_dword v3, off, s[0:3], 0 offset:296
	buffer_load_dword v4, off, s[0:3], 0 offset:300
	s_waitcnt vmcnt(3)
	buffer_store_dword v1, off, s[0:3], 0 offset:296
	s_waitcnt vmcnt(3)
	buffer_store_dword v2, off, s[0:3], 0 offset:300
	s_waitcnt vmcnt(3)
	buffer_store_dword v3, v0, s[0:3], 0 offen
	s_waitcnt vmcnt(3)
	buffer_store_dword v4, v0, s[0:3], 0 offen offset:4
.LBB40_266:
	s_or_b64 exec, exec, s[4:5]
	v_pk_mov_b32 v[0:1], s[10:11], s[10:11] op_sel:[0,1]
	flat_load_dword v0, v[0:1] offset:144
	s_waitcnt vmcnt(0) lgkmcnt(0)
	v_add_u32_e32 v0, -1, v0
	v_cmp_ne_u32_e32 vcc, 36, v0
	s_and_saveexec_b64 s[4:5], vcc
	s_cbranch_execz .LBB40_268
; %bb.267:
	v_mov_b32_e32 v1, 0
	v_lshl_add_u32 v0, v0, 3, v1
	buffer_load_dword v1, v0, s[0:3], 0 offen
	buffer_load_dword v2, v0, s[0:3], 0 offen offset:4
	buffer_load_dword v3, off, s[0:3], 0 offset:292
	buffer_load_dword v4, off, s[0:3], 0 offset:288
	s_waitcnt vmcnt(3)
	buffer_store_dword v1, off, s[0:3], 0 offset:288
	s_waitcnt vmcnt(3)
	buffer_store_dword v2, off, s[0:3], 0 offset:292
	s_waitcnt vmcnt(3)
	buffer_store_dword v3, v0, s[0:3], 0 offen offset:4
	s_waitcnt vmcnt(3)
	buffer_store_dword v4, v0, s[0:3], 0 offen
.LBB40_268:
	s_or_b64 exec, exec, s[4:5]
	;; [unrolled: 48-line block ×19, first 2 shown]
	v_pk_mov_b32 v[0:1], s[10:11], s[10:11] op_sel:[0,1]
	flat_load_dword v0, v[0:1] offset:4
	s_waitcnt vmcnt(0) lgkmcnt(0)
	v_add_u32_e32 v0, -1, v0
	v_cmp_ne_u32_e32 vcc, 1, v0
	s_and_saveexec_b64 s[4:5], vcc
	s_cbranch_execz .LBB40_338
; %bb.337:
	v_mov_b32_e32 v1, 0
	v_lshl_add_u32 v0, v0, 3, v1
	buffer_load_dword v1, v0, s[0:3], 0 offen
	buffer_load_dword v2, v0, s[0:3], 0 offen offset:4
	buffer_load_dword v3, off, s[0:3], 0 offset:8
	buffer_load_dword v4, off, s[0:3], 0 offset:12
	s_waitcnt vmcnt(3)
	buffer_store_dword v1, off, s[0:3], 0 offset:8
	s_waitcnt vmcnt(3)
	buffer_store_dword v2, off, s[0:3], 0 offset:12
	s_waitcnt vmcnt(3)
	buffer_store_dword v3, v0, s[0:3], 0 offen
	s_waitcnt vmcnt(3)
	buffer_store_dword v4, v0, s[0:3], 0 offen offset:4
.LBB40_338:
	s_or_b64 exec, exec, s[4:5]
	v_pk_mov_b32 v[0:1], s[10:11], s[10:11] op_sel:[0,1]
	flat_load_dword v2, v[0:1]
	s_nop 0
	buffer_load_dword v0, off, s[0:3], 0
	buffer_load_dword v1, off, s[0:3], 0 offset:4
	s_waitcnt vmcnt(0) lgkmcnt(0)
	v_add_u32_e32 v2, -1, v2
	v_cmp_ne_u32_e32 vcc, 0, v2
	s_and_saveexec_b64 s[4:5], vcc
	s_cbranch_execz .LBB40_340
; %bb.339:
	v_mov_b32_e32 v3, 0
	v_lshl_add_u32 v2, v2, 3, v3
	buffer_load_dword v3, v2, s[0:3], 0 offen offset:4
	buffer_load_dword v4, v2, s[0:3], 0 offen
	s_waitcnt vmcnt(1)
	buffer_store_dword v3, off, s[0:3], 0 offset:4
	s_waitcnt vmcnt(1)
	buffer_store_dword v4, off, s[0:3], 0
	buffer_store_dword v1, v2, s[0:3], 0 offen offset:4
	buffer_store_dword v0, v2, s[0:3], 0 offen
	buffer_load_dword v0, off, s[0:3], 0
	s_nop 0
	buffer_load_dword v1, off, s[0:3], 0 offset:4
.LBB40_340:
	s_or_b64 exec, exec, s[4:5]
.LBB40_341:
	buffer_load_dword v2, off, s[0:3], 0 offset:8
	buffer_load_dword v3, off, s[0:3], 0 offset:12
	;; [unrolled: 1-line block ×80, first 2 shown]
	s_waitcnt vmcnt(62)
	global_store_dwordx2 v[86:87], v[0:1], off
	global_store_dwordx2 v[88:89], v[2:3], off
	;; [unrolled: 1-line block ×10, first 2 shown]
	s_waitcnt vmcnt(62)
	global_store_dwordx2 v[32:33], v[102:103], off
	global_store_dwordx2 v[34:35], v[104:105], off
	;; [unrolled: 1-line block ×5, first 2 shown]
	s_waitcnt vmcnt(62)
	global_store_dwordx2 v[42:43], v[112:113], off
	global_store_dwordx2 v[44:45], v[114:115], off
	s_waitcnt vmcnt(62)
	global_store_dwordx2 v[46:47], v[116:117], off
	s_waitcnt vmcnt(62)
	;; [unrolled: 2-line block ×24, first 2 shown]
	global_store_dwordx2 v[96:97], v[162:163], off
	s_endpgm
	.section	.rodata,"a",@progbits
	.p2align	6, 0x0
	.amdhsa_kernel _ZN9rocsolver6v33100L18getri_kernel_smallILi41E19rocblas_complex_numIfEPS3_EEvT1_iilPiilS6_bb
		.amdhsa_group_segment_fixed_size 664
		.amdhsa_private_segment_fixed_size 336
		.amdhsa_kernarg_size 60
		.amdhsa_user_sgpr_count 8
		.amdhsa_user_sgpr_private_segment_buffer 1
		.amdhsa_user_sgpr_dispatch_ptr 0
		.amdhsa_user_sgpr_queue_ptr 0
		.amdhsa_user_sgpr_kernarg_segment_ptr 1
		.amdhsa_user_sgpr_dispatch_id 0
		.amdhsa_user_sgpr_flat_scratch_init 1
		.amdhsa_user_sgpr_kernarg_preload_length 0
		.amdhsa_user_sgpr_kernarg_preload_offset 0
		.amdhsa_user_sgpr_private_segment_size 0
		.amdhsa_uses_dynamic_stack 0
		.amdhsa_system_sgpr_private_segment_wavefront_offset 1
		.amdhsa_system_sgpr_workgroup_id_x 1
		.amdhsa_system_sgpr_workgroup_id_y 0
		.amdhsa_system_sgpr_workgroup_id_z 0
		.amdhsa_system_sgpr_workgroup_info 0
		.amdhsa_system_vgpr_workitem_id 0
		.amdhsa_next_free_vgpr 232
		.amdhsa_next_free_sgpr 23
		.amdhsa_accum_offset 232
		.amdhsa_reserve_vcc 1
		.amdhsa_reserve_flat_scratch 1
		.amdhsa_float_round_mode_32 0
		.amdhsa_float_round_mode_16_64 0
		.amdhsa_float_denorm_mode_32 3
		.amdhsa_float_denorm_mode_16_64 3
		.amdhsa_dx10_clamp 1
		.amdhsa_ieee_mode 1
		.amdhsa_fp16_overflow 0
		.amdhsa_tg_split 0
		.amdhsa_exception_fp_ieee_invalid_op 0
		.amdhsa_exception_fp_denorm_src 0
		.amdhsa_exception_fp_ieee_div_zero 0
		.amdhsa_exception_fp_ieee_overflow 0
		.amdhsa_exception_fp_ieee_underflow 0
		.amdhsa_exception_fp_ieee_inexact 0
		.amdhsa_exception_int_div_zero 0
	.end_amdhsa_kernel
	.section	.text._ZN9rocsolver6v33100L18getri_kernel_smallILi41E19rocblas_complex_numIfEPS3_EEvT1_iilPiilS6_bb,"axG",@progbits,_ZN9rocsolver6v33100L18getri_kernel_smallILi41E19rocblas_complex_numIfEPS3_EEvT1_iilPiilS6_bb,comdat
.Lfunc_end40:
	.size	_ZN9rocsolver6v33100L18getri_kernel_smallILi41E19rocblas_complex_numIfEPS3_EEvT1_iilPiilS6_bb, .Lfunc_end40-_ZN9rocsolver6v33100L18getri_kernel_smallILi41E19rocblas_complex_numIfEPS3_EEvT1_iilPiilS6_bb
                                        ; -- End function
	.section	.AMDGPU.csdata,"",@progbits
; Kernel info:
; codeLenInByte = 71140
; NumSgprs: 29
; NumVgprs: 232
; NumAgprs: 0
; TotalNumVgprs: 232
; ScratchSize: 336
; MemoryBound: 0
; FloatMode: 240
; IeeeMode: 1
; LDSByteSize: 664 bytes/workgroup (compile time only)
; SGPRBlocks: 3
; VGPRBlocks: 28
; NumSGPRsForWavesPerEU: 29
; NumVGPRsForWavesPerEU: 232
; AccumOffset: 232
; Occupancy: 2
; WaveLimiterHint : 1
; COMPUTE_PGM_RSRC2:SCRATCH_EN: 1
; COMPUTE_PGM_RSRC2:USER_SGPR: 8
; COMPUTE_PGM_RSRC2:TRAP_HANDLER: 0
; COMPUTE_PGM_RSRC2:TGID_X_EN: 1
; COMPUTE_PGM_RSRC2:TGID_Y_EN: 0
; COMPUTE_PGM_RSRC2:TGID_Z_EN: 0
; COMPUTE_PGM_RSRC2:TIDIG_COMP_CNT: 0
; COMPUTE_PGM_RSRC3_GFX90A:ACCUM_OFFSET: 57
; COMPUTE_PGM_RSRC3_GFX90A:TG_SPLIT: 0
	.section	.text._ZN9rocsolver6v33100L18getri_kernel_smallILi42E19rocblas_complex_numIfEPS3_EEvT1_iilPiilS6_bb,"axG",@progbits,_ZN9rocsolver6v33100L18getri_kernel_smallILi42E19rocblas_complex_numIfEPS3_EEvT1_iilPiilS6_bb,comdat
	.globl	_ZN9rocsolver6v33100L18getri_kernel_smallILi42E19rocblas_complex_numIfEPS3_EEvT1_iilPiilS6_bb ; -- Begin function _ZN9rocsolver6v33100L18getri_kernel_smallILi42E19rocblas_complex_numIfEPS3_EEvT1_iilPiilS6_bb
	.p2align	8
	.type	_ZN9rocsolver6v33100L18getri_kernel_smallILi42E19rocblas_complex_numIfEPS3_EEvT1_iilPiilS6_bb,@function
_ZN9rocsolver6v33100L18getri_kernel_smallILi42E19rocblas_complex_numIfEPS3_EEvT1_iilPiilS6_bb: ; @_ZN9rocsolver6v33100L18getri_kernel_smallILi42E19rocblas_complex_numIfEPS3_EEvT1_iilPiilS6_bb
; %bb.0:
	s_add_u32 flat_scratch_lo, s6, s9
	s_addc_u32 flat_scratch_hi, s7, 0
	s_add_u32 s0, s0, s9
	s_addc_u32 s1, s1, 0
	v_cmp_gt_u32_e32 vcc, 42, v0
	s_and_saveexec_b64 s[6:7], vcc
	s_cbranch_execz .LBB41_182
; %bb.1:
	s_load_dword s22, s[4:5], 0x38
	s_load_dwordx4 s[16:19], s[4:5], 0x10
	s_load_dwordx4 s[12:15], s[4:5], 0x28
                                        ; implicit-def: $sgpr10_sgpr11
	s_waitcnt lgkmcnt(0)
	s_bitcmp1_b32 s22, 8
	s_cselect_b64 s[20:21], -1, 0
	s_ashr_i32 s9, s8, 31
	s_bfe_u32 s6, s22, 0x10008
	s_cmp_eq_u32 s6, 0
	s_cbranch_scc1 .LBB41_3
; %bb.2:
	s_load_dword s6, s[4:5], 0x20
	s_mul_i32 s7, s8, s13
	s_mul_hi_u32 s10, s8, s12
	s_mul_i32 s11, s9, s12
	s_add_i32 s10, s10, s7
	s_add_i32 s11, s10, s11
	s_mul_i32 s10, s8, s12
	s_waitcnt lgkmcnt(0)
	s_ashr_i32 s7, s6, 31
	s_lshl_b64 s[10:11], s[10:11], 2
	s_add_u32 s10, s18, s10
	s_addc_u32 s11, s19, s11
	s_lshl_b64 s[6:7], s[6:7], 2
	s_add_u32 s10, s10, s6
	s_addc_u32 s11, s11, s7
.LBB41_3:
	s_load_dwordx4 s[4:7], s[4:5], 0x0
	s_mul_i32 s12, s8, s17
	s_mul_hi_u32 s13, s8, s16
	s_add_i32 s17, s13, s12
	v_lshlrev_b32_e32 v6, 3, v0
	s_waitcnt lgkmcnt(0)
	s_ashr_i32 s13, s6, 31
	s_mov_b32 s12, s6
	s_mul_i32 s6, s9, s16
	s_add_i32 s17, s17, s6
	s_mul_i32 s16, s8, s16
	s_lshl_b64 s[16:17], s[16:17], 3
	s_add_u32 s6, s4, s16
	s_addc_u32 s16, s5, s17
	s_lshl_b64 s[4:5], s[12:13], 3
	s_add_u32 s4, s6, s4
	s_addc_u32 s5, s16, s5
	s_add_i32 s6, s7, s7
	v_add_u32_e32 v2, s6, v0
	v_ashrrev_i32_e32 v3, 31, v2
	v_lshlrev_b64 v[4:5], 3, v[2:3]
	v_add_u32_e32 v2, s7, v2
	v_mov_b32_e32 v1, s5
	v_add_co_u32_e32 v64, vcc, s4, v4
	v_ashrrev_i32_e32 v3, 31, v2
	v_addc_co_u32_e32 v65, vcc, v1, v5, vcc
	v_lshlrev_b64 v[4:5], 3, v[2:3]
	v_add_u32_e32 v2, s7, v2
	v_add_co_u32_e32 v66, vcc, s4, v4
	v_ashrrev_i32_e32 v3, 31, v2
	v_addc_co_u32_e32 v67, vcc, v1, v5, vcc
	v_lshlrev_b64 v[4:5], 3, v[2:3]
	v_add_u32_e32 v2, s7, v2
	v_add_co_u32_e32 v68, vcc, s4, v4
	v_ashrrev_i32_e32 v3, 31, v2
	v_addc_co_u32_e32 v69, vcc, v1, v5, vcc
	v_lshlrev_b64 v[4:5], 3, v[2:3]
	v_add_u32_e32 v2, s7, v2
	v_add_co_u32_e32 v70, vcc, s4, v4
	v_ashrrev_i32_e32 v3, 31, v2
	v_addc_co_u32_e32 v71, vcc, v1, v5, vcc
	v_lshlrev_b64 v[4:5], 3, v[2:3]
	v_add_u32_e32 v2, s7, v2
	v_add_co_u32_e32 v72, vcc, s4, v4
	v_ashrrev_i32_e32 v3, 31, v2
	v_addc_co_u32_e32 v73, vcc, v1, v5, vcc
	v_lshlrev_b64 v[4:5], 3, v[2:3]
	v_add_u32_e32 v2, s7, v2
	v_add_co_u32_e32 v74, vcc, s4, v4
	v_ashrrev_i32_e32 v3, 31, v2
	v_addc_co_u32_e32 v75, vcc, v1, v5, vcc
	v_lshlrev_b64 v[4:5], 3, v[2:3]
	v_add_u32_e32 v2, s7, v2
	v_add_co_u32_e32 v76, vcc, s4, v4
	v_ashrrev_i32_e32 v3, 31, v2
	v_addc_co_u32_e32 v77, vcc, v1, v5, vcc
	v_lshlrev_b64 v[4:5], 3, v[2:3]
	v_add_u32_e32 v2, s7, v2
	v_add_co_u32_e32 v78, vcc, s4, v4
	v_ashrrev_i32_e32 v3, 31, v2
	v_addc_co_u32_e32 v79, vcc, v1, v5, vcc
	v_lshlrev_b64 v[4:5], 3, v[2:3]
	v_add_u32_e32 v2, s7, v2
	v_add_co_u32_e32 v80, vcc, s4, v4
	v_ashrrev_i32_e32 v3, 31, v2
	v_addc_co_u32_e32 v81, vcc, v1, v5, vcc
	v_lshlrev_b64 v[4:5], 3, v[2:3]
	v_add_u32_e32 v2, s7, v2
	v_add_co_u32_e32 v82, vcc, s4, v4
	v_ashrrev_i32_e32 v3, 31, v2
	v_addc_co_u32_e32 v83, vcc, v1, v5, vcc
	v_lshlrev_b64 v[4:5], 3, v[2:3]
	v_add_u32_e32 v2, s7, v2
	v_add_co_u32_e32 v84, vcc, s4, v4
	v_ashrrev_i32_e32 v3, 31, v2
	v_addc_co_u32_e32 v85, vcc, v1, v5, vcc
	v_lshlrev_b64 v[4:5], 3, v[2:3]
	v_add_u32_e32 v2, s7, v2
	v_add_co_u32_e32 v86, vcc, s4, v4
	v_ashrrev_i32_e32 v3, 31, v2
	v_addc_co_u32_e32 v87, vcc, v1, v5, vcc
	v_lshlrev_b64 v[4:5], 3, v[2:3]
	v_add_u32_e32 v2, s7, v2
	v_add_co_u32_e32 v88, vcc, s4, v4
	v_ashrrev_i32_e32 v3, 31, v2
	v_addc_co_u32_e32 v89, vcc, v1, v5, vcc
	v_lshlrev_b64 v[4:5], 3, v[2:3]
	v_add_u32_e32 v2, s7, v2
	v_add_co_u32_e32 v90, vcc, s4, v4
	v_ashrrev_i32_e32 v3, 31, v2
	v_addc_co_u32_e32 v91, vcc, v1, v5, vcc
	v_lshlrev_b64 v[4:5], 3, v[2:3]
	v_add_u32_e32 v2, s7, v2
	v_add_co_u32_e32 v92, vcc, s4, v4
	v_ashrrev_i32_e32 v3, 31, v2
	v_addc_co_u32_e32 v93, vcc, v1, v5, vcc
	v_lshlrev_b64 v[4:5], 3, v[2:3]
	v_add_u32_e32 v2, s7, v2
	v_add_co_u32_e32 v94, vcc, s4, v4
	v_ashrrev_i32_e32 v3, 31, v2
	v_addc_co_u32_e32 v95, vcc, v1, v5, vcc
	v_lshlrev_b64 v[4:5], 3, v[2:3]
	v_add_u32_e32 v2, s7, v2
	v_add_co_u32_e32 v96, vcc, s4, v4
	v_ashrrev_i32_e32 v3, 31, v2
	v_addc_co_u32_e32 v97, vcc, v1, v5, vcc
	v_lshlrev_b64 v[4:5], 3, v[2:3]
	v_add_u32_e32 v2, s7, v2
	v_add_co_u32_e32 v98, vcc, s4, v4
	v_ashrrev_i32_e32 v3, 31, v2
	v_addc_co_u32_e32 v99, vcc, v1, v5, vcc
	v_lshlrev_b64 v[4:5], 3, v[2:3]
	v_add_u32_e32 v2, s7, v2
	v_add_co_u32_e32 v100, vcc, s4, v4
	v_ashrrev_i32_e32 v3, 31, v2
	v_addc_co_u32_e32 v101, vcc, v1, v5, vcc
	v_lshlrev_b64 v[4:5], 3, v[2:3]
	v_add_u32_e32 v2, s7, v2
	v_add_co_u32_e32 v102, vcc, s4, v4
	v_ashrrev_i32_e32 v3, 31, v2
	v_addc_co_u32_e32 v103, vcc, v1, v5, vcc
	v_lshlrev_b64 v[4:5], 3, v[2:3]
	v_add_u32_e32 v2, s7, v2
	v_add_co_u32_e32 v104, vcc, s4, v4
	v_ashrrev_i32_e32 v3, 31, v2
	v_addc_co_u32_e32 v105, vcc, v1, v5, vcc
	v_lshlrev_b64 v[4:5], 3, v[2:3]
	v_add_u32_e32 v2, s7, v2
	v_add_co_u32_e32 v106, vcc, s4, v4
	v_ashrrev_i32_e32 v3, 31, v2
	v_addc_co_u32_e32 v107, vcc, v1, v5, vcc
	v_lshlrev_b64 v[4:5], 3, v[2:3]
	v_add_u32_e32 v2, s7, v2
	v_add_co_u32_e32 v108, vcc, s4, v4
	v_ashrrev_i32_e32 v3, 31, v2
	v_addc_co_u32_e32 v109, vcc, v1, v5, vcc
	v_lshlrev_b64 v[4:5], 3, v[2:3]
	v_add_u32_e32 v2, s7, v2
	v_add_co_u32_e32 v110, vcc, s4, v4
	v_ashrrev_i32_e32 v3, 31, v2
	v_addc_co_u32_e32 v111, vcc, v1, v5, vcc
	v_lshlrev_b64 v[4:5], 3, v[2:3]
	v_add_u32_e32 v2, s7, v2
	v_add_co_u32_e32 v112, vcc, s4, v4
	v_ashrrev_i32_e32 v3, 31, v2
	v_addc_co_u32_e32 v113, vcc, v1, v5, vcc
	v_lshlrev_b64 v[4:5], 3, v[2:3]
	v_add_u32_e32 v2, s7, v2
	v_add_co_u32_e32 v114, vcc, s4, v4
	v_ashrrev_i32_e32 v3, 31, v2
	v_addc_co_u32_e32 v115, vcc, v1, v5, vcc
	v_lshlrev_b64 v[4:5], 3, v[2:3]
	v_add_u32_e32 v2, s7, v2
	v_add_co_u32_e32 v116, vcc, s4, v4
	v_ashrrev_i32_e32 v3, 31, v2
	v_addc_co_u32_e32 v117, vcc, v1, v5, vcc
	v_lshlrev_b64 v[4:5], 3, v[2:3]
	v_add_u32_e32 v2, s7, v2
	v_add_co_u32_e32 v118, vcc, s4, v4
	v_ashrrev_i32_e32 v3, 31, v2
	v_addc_co_u32_e32 v119, vcc, v1, v5, vcc
	v_lshlrev_b64 v[4:5], 3, v[2:3]
	v_add_u32_e32 v2, s7, v2
	v_add_co_u32_e32 v120, vcc, s4, v4
	v_ashrrev_i32_e32 v3, 31, v2
	v_addc_co_u32_e32 v121, vcc, v1, v5, vcc
	v_lshlrev_b64 v[4:5], 3, v[2:3]
	v_add_u32_e32 v2, s7, v2
	v_add_co_u32_e32 v122, vcc, s4, v4
	v_ashrrev_i32_e32 v3, 31, v2
	v_addc_co_u32_e32 v123, vcc, v1, v5, vcc
	v_lshlrev_b64 v[4:5], 3, v[2:3]
	v_add_u32_e32 v2, s7, v2
	v_add_co_u32_e32 v124, vcc, s4, v4
	v_ashrrev_i32_e32 v3, 31, v2
	v_addc_co_u32_e32 v125, vcc, v1, v5, vcc
	v_lshlrev_b64 v[4:5], 3, v[2:3]
	v_add_u32_e32 v2, s7, v2
	v_add_co_u32_e32 v126, vcc, s4, v4
	v_ashrrev_i32_e32 v3, 31, v2
	v_addc_co_u32_e32 v127, vcc, v1, v5, vcc
	v_lshlrev_b64 v[4:5], 3, v[2:3]
	v_add_u32_e32 v2, s7, v2
	v_add_co_u32_e32 v128, vcc, s4, v4
	v_ashrrev_i32_e32 v3, 31, v2
	v_addc_co_u32_e32 v129, vcc, v1, v5, vcc
	v_lshlrev_b64 v[4:5], 3, v[2:3]
	v_add_u32_e32 v2, s7, v2
	v_add_co_u32_e32 v130, vcc, s4, v4
	v_ashrrev_i32_e32 v3, 31, v2
	v_addc_co_u32_e32 v131, vcc, v1, v5, vcc
	v_lshlrev_b64 v[4:5], 3, v[2:3]
	v_add_co_u32_e32 v132, vcc, s4, v4
	v_addc_co_u32_e32 v133, vcc, v1, v5, vcc
	v_mov_b32_e32 v7, s5
	v_add_co_u32_e32 v136, vcc, s4, v6
	s_ashr_i32 s13, s7, 31
	s_mov_b32 s12, s7
	v_add_u32_e32 v2, s7, v2
	v_addc_co_u32_e32 v137, vcc, 0, v7, vcc
	s_lshl_b64 s[12:13], s[12:13], 3
	v_ashrrev_i32_e32 v3, 31, v2
	v_mov_b32_e32 v7, s13
	v_add_co_u32_e32 v138, vcc, s12, v136
	v_addc_co_u32_e32 v139, vcc, v137, v7, vcc
	v_lshlrev_b64 v[10:11], 3, v[2:3]
	v_add_u32_e32 v2, s7, v2
	v_add_co_u32_e32 v134, vcc, s4, v10
	v_ashrrev_i32_e32 v3, 31, v2
	v_addc_co_u32_e32 v135, vcc, v1, v11, vcc
	v_lshlrev_b64 v[26:27], 3, v[2:3]
	v_add_u32_e32 v2, s7, v2
	v_add_co_u32_e32 v140, vcc, s4, v26
	v_ashrrev_i32_e32 v3, 31, v2
	;; [unrolled: 5-line block ×4, first 2 shown]
	v_addc_co_u32_e32 v145, vcc, v1, v59, vcc
	v_lshlrev_b64 v[2:3], 3, v[2:3]
	v_add_co_u32_e32 v146, vcc, s4, v2
	global_load_dwordx2 v[4:5], v6, s[4:5]
	global_load_dwordx2 v[8:9], v[138:139], off
	global_load_dwordx2 v[12:13], v[64:65], off
	;; [unrolled: 1-line block ×37, first 2 shown]
	v_addc_co_u32_e32 v147, vcc, v1, v3, vcc
	global_load_dwordx2 v[2:3], v[140:141], off
	global_load_dwordx2 v[166:167], v[146:147], off
	;; [unrolled: 1-line block ×4, first 2 shown]
	s_bitcmp0_b32 s22, 0
	s_mov_b64 s[6:7], -1
	s_waitcnt vmcnt(41)
	buffer_store_dword v5, off, s[0:3], 0 offset:4
	buffer_store_dword v4, off, s[0:3], 0
	s_waitcnt vmcnt(42)
	buffer_store_dword v9, off, s[0:3], 0 offset:12
	buffer_store_dword v8, off, s[0:3], 0 offset:8
	s_waitcnt vmcnt(43)
	buffer_store_dword v13, off, s[0:3], 0 offset:20
	buffer_store_dword v12, off, s[0:3], 0 offset:16
	;; [unrolled: 3-line block ×22, first 2 shown]
	buffer_store_dword v52, off, s[0:3], 0 offset:184
	buffer_store_dword v53, off, s[0:3], 0 offset:188
	s_waitcnt vmcnt(62)
	buffer_store_dword v54, off, s[0:3], 0 offset:192
	buffer_store_dword v55, off, s[0:3], 0 offset:196
	;; [unrolled: 1-line block ×8, first 2 shown]
	s_waitcnt vmcnt(62)
	buffer_store_dword v148, off, s[0:3], 0 offset:224
	buffer_store_dword v149, off, s[0:3], 0 offset:228
	;; [unrolled: 1-line block ×16, first 2 shown]
	s_waitcnt vmcnt(62)
	buffer_store_dword v162, off, s[0:3], 0 offset:288
	buffer_store_dword v163, off, s[0:3], 0 offset:292
	buffer_store_dword v165, off, s[0:3], 0 offset:300
	buffer_store_dword v164, off, s[0:3], 0 offset:296
	buffer_store_dword v3, off, s[0:3], 0 offset:308
	buffer_store_dword v2, off, s[0:3], 0 offset:304
	buffer_store_dword v168, off, s[0:3], 0 offset:312
	buffer_store_dword v169, off, s[0:3], 0 offset:316
	buffer_store_dword v170, off, s[0:3], 0 offset:320
	buffer_store_dword v171, off, s[0:3], 0 offset:324
	buffer_store_dword v166, off, s[0:3], 0 offset:328
	buffer_store_dword v167, off, s[0:3], 0 offset:332
	s_cbranch_scc1 .LBB41_180
; %bb.4:
	v_cmp_eq_u32_e64 s[4:5], 0, v0
	s_and_saveexec_b64 s[6:7], s[4:5]
	s_cbranch_execz .LBB41_6
; %bb.5:
	v_mov_b32_e32 v1, 0
	ds_write_b32 v1, v1 offset:672
.LBB41_6:
	s_or_b64 exec, exec, s[6:7]
	v_mov_b32_e32 v1, 0
	v_lshl_add_u32 v7, v0, 3, v1
	s_waitcnt lgkmcnt(0)
	; wave barrier
	s_waitcnt lgkmcnt(0)
	buffer_load_dword v1, v7, s[0:3], 0 offen
	buffer_load_dword v2, v7, s[0:3], 0 offen offset:4
	s_waitcnt vmcnt(1)
	v_cmp_eq_f32_e32 vcc, 0, v1
	s_waitcnt vmcnt(0)
	v_cmp_eq_f32_e64 s[6:7], 0, v2
	s_and_b64 s[6:7], vcc, s[6:7]
	s_and_saveexec_b64 s[12:13], s[6:7]
	s_cbranch_execz .LBB41_10
; %bb.7:
	v_mov_b32_e32 v1, 0
	ds_read_b32 v3, v1 offset:672
	v_add_u32_e32 v2, 1, v0
	s_waitcnt lgkmcnt(0)
	v_readfirstlane_b32 s6, v3
	s_cmp_eq_u32 s6, 0
	s_cselect_b64 s[16:17], -1, 0
	v_cmp_gt_i32_e32 vcc, s6, v2
	s_or_b64 s[16:17], s[16:17], vcc
	s_and_b64 exec, exec, s[16:17]
	s_cbranch_execz .LBB41_10
; %bb.8:
	s_mov_b64 s[16:17], 0
	v_mov_b32_e32 v3, s6
.LBB41_9:                               ; =>This Inner Loop Header: Depth=1
	ds_cmpst_rtn_b32 v3, v1, v3, v2 offset:672
	s_waitcnt lgkmcnt(0)
	v_cmp_ne_u32_e32 vcc, 0, v3
	v_cmp_le_i32_e64 s[6:7], v3, v2
	s_and_b64 s[6:7], vcc, s[6:7]
	s_and_b64 s[6:7], exec, s[6:7]
	s_or_b64 s[16:17], s[6:7], s[16:17]
	s_andn2_b64 exec, exec, s[16:17]
	s_cbranch_execnz .LBB41_9
.LBB41_10:
	s_or_b64 exec, exec, s[12:13]
	v_mov_b32_e32 v2, 0
	s_waitcnt lgkmcnt(0)
	; wave barrier
	ds_read_b32 v1, v2 offset:672
	s_and_saveexec_b64 s[6:7], s[4:5]
	s_cbranch_execz .LBB41_12
; %bb.11:
	s_lshl_b64 s[12:13], s[8:9], 2
	s_add_u32 s12, s14, s12
	s_addc_u32 s13, s15, s13
	s_waitcnt lgkmcnt(0)
	global_store_dword v2, v1, s[12:13]
.LBB41_12:
	s_or_b64 exec, exec, s[6:7]
	s_waitcnt lgkmcnt(0)
	v_cmp_ne_u32_e32 vcc, 0, v1
	s_mov_b64 s[6:7], 0
	s_cbranch_vccnz .LBB41_180
; %bb.13:
	buffer_load_dword v8, v7, s[0:3], 0 offen offset:4
	buffer_load_dword v3, v7, s[0:3], 0 offen
	s_waitcnt vmcnt(1)
	v_cmp_gt_f32_e32 vcc, 0, v8
	v_cndmask_b32_e64 v1, v8, -v8, vcc
	s_waitcnt vmcnt(0)
	v_cmp_gt_f32_e32 vcc, 0, v3
	v_cndmask_b32_e64 v2, v3, -v3, vcc
	v_cmp_ngt_f32_e32 vcc, v2, v1
                                        ; implicit-def: $vgpr1
                                        ; implicit-def: $vgpr2
	s_and_saveexec_b64 s[6:7], vcc
	s_xor_b64 s[6:7], exec, s[6:7]
                                        ; implicit-def: $vgpr4_vgpr5
	s_cbranch_execz .LBB41_15
; %bb.14:
	v_div_scale_f32 v1, s[12:13], v8, v8, v3
	v_rcp_f32_e32 v2, v1
	v_div_scale_f32 v4, vcc, v3, v8, v3
	v_fma_f32 v5, -v1, v2, 1.0
	v_fmac_f32_e32 v2, v5, v2
	v_mul_f32_e32 v5, v4, v2
	v_fma_f32 v9, -v1, v5, v4
	v_fmac_f32_e32 v5, v9, v2
	v_fma_f32 v1, -v1, v5, v4
	v_div_fmas_f32 v1, v1, v2, v5
	v_div_fixup_f32 v2, v1, v8, v3
	v_fmac_f32_e32 v8, v3, v2
	v_div_scale_f32 v1, s[12:13], v8, v8, -1.0
	v_rcp_f32_e32 v3, v1
	v_fma_f32 v4, -v1, v3, 1.0
	v_fmac_f32_e32 v3, v4, v3
	v_div_scale_f32 v4, vcc, -1.0, v8, -1.0
	v_mul_f32_e32 v5, v4, v3
	v_fma_f32 v9, -v1, v5, v4
	v_fmac_f32_e32 v5, v9, v3
	v_fma_f32 v1, -v1, v5, v4
	v_div_fmas_f32 v1, v1, v3, v5
	v_div_fixup_f32 v1, v1, v8, -1.0
	v_mul_f32_e32 v2, v2, v1
	v_xor_b32_e32 v4, 0x80000000, v2
                                        ; implicit-def: $vgpr3
                                        ; implicit-def: $vgpr8
.LBB41_15:
	s_andn2_saveexec_b64 s[6:7], s[6:7]
	s_cbranch_execz .LBB41_17
; %bb.16:
	v_div_scale_f32 v1, s[12:13], v3, v3, v8
	v_rcp_f32_e32 v2, v1
	v_div_scale_f32 v4, vcc, v8, v3, v8
	v_fma_f32 v5, -v1, v2, 1.0
	v_fmac_f32_e32 v2, v5, v2
	v_mul_f32_e32 v5, v4, v2
	v_fma_f32 v9, -v1, v5, v4
	v_fmac_f32_e32 v5, v9, v2
	v_fma_f32 v1, -v1, v5, v4
	v_div_fmas_f32 v1, v1, v2, v5
	v_div_fixup_f32 v1, v1, v3, v8
	v_fmac_f32_e32 v3, v8, v1
	v_div_scale_f32 v2, s[12:13], v3, v3, 1.0
	v_rcp_f32_e32 v4, v2
	v_fma_f32 v5, -v2, v4, 1.0
	v_fmac_f32_e32 v4, v5, v4
	v_div_scale_f32 v5, vcc, 1.0, v3, 1.0
	v_mul_f32_e32 v8, v5, v4
	v_fma_f32 v9, -v2, v8, v5
	v_fmac_f32_e32 v8, v9, v4
	v_fma_f32 v2, -v2, v8, v5
	v_div_fmas_f32 v2, v2, v4, v8
	v_div_fixup_f32 v4, v2, v3, 1.0
	v_xor_b32_e32 v2, 0x80000000, v4
	v_mul_f32_e64 v1, v1, -v4
.LBB41_17:
	s_or_b64 exec, exec, s[6:7]
	buffer_store_dword v1, v7, s[0:3], 0 offen offset:4
	buffer_store_dword v4, v7, s[0:3], 0 offen
	buffer_load_dword v5, off, s[0:3], 0 offset:12
	s_nop 0
	buffer_load_dword v4, off, s[0:3], 0 offset:8
	v_xor_b32_e32 v3, 0x80000000, v1
	v_add_u32_e32 v1, 0x150, v6
	s_waitcnt vmcnt(0)
	ds_write2_b64 v6, v[2:3], v[4:5] offset1:42
	s_waitcnt lgkmcnt(0)
	; wave barrier
	s_waitcnt lgkmcnt(0)
	s_and_saveexec_b64 s[6:7], s[4:5]
	s_cbranch_execz .LBB41_19
; %bb.18:
	buffer_load_dword v8, v7, s[0:3], 0 offen offset:4
	buffer_load_dword v9, v7, s[0:3], 0 offen
	ds_read_b64 v[2:3], v1
	v_mov_b32_e32 v4, 0
	ds_read_b64 v[4:5], v4 offset:8
	s_waitcnt vmcnt(1) lgkmcnt(1)
	v_mul_f32_e32 v10, v3, v8
	v_mul_f32_e32 v8, v2, v8
	s_waitcnt vmcnt(0)
	v_fmac_f32_e32 v8, v3, v9
	v_fma_f32 v2, v2, v9, -v10
	v_add_f32_e32 v3, 0, v8
	v_add_f32_e32 v2, 0, v2
	s_waitcnt lgkmcnt(0)
	v_mul_f32_e32 v8, v3, v5
	v_mul_f32_e32 v5, v2, v5
	v_fma_f32 v2, v2, v4, -v8
	v_fmac_f32_e32 v5, v3, v4
	buffer_store_dword v2, off, s[0:3], 0 offset:8
	buffer_store_dword v5, off, s[0:3], 0 offset:12
.LBB41_19:
	s_or_b64 exec, exec, s[6:7]
	s_waitcnt lgkmcnt(0)
	; wave barrier
	buffer_load_dword v2, off, s[0:3], 0 offset:16
	buffer_load_dword v3, off, s[0:3], 0 offset:20
	v_cmp_gt_u32_e32 vcc, 2, v0
	s_waitcnt vmcnt(0)
	ds_write_b64 v1, v[2:3]
	s_waitcnt lgkmcnt(0)
	; wave barrier
	s_waitcnt lgkmcnt(0)
	s_and_saveexec_b64 s[6:7], vcc
	s_cbranch_execz .LBB41_23
; %bb.20:
	buffer_load_dword v4, v7, s[0:3], 0 offen offset:4
	buffer_load_dword v5, v7, s[0:3], 0 offen
	ds_read_b64 v[2:3], v1
	s_waitcnt vmcnt(1) lgkmcnt(0)
	v_mul_f32_e32 v7, v3, v4
	v_mul_f32_e32 v4, v2, v4
	s_waitcnt vmcnt(0)
	v_fma_f32 v2, v2, v5, -v7
	v_fmac_f32_e32 v4, v3, v5
	v_add_f32_e32 v3, 0, v2
	v_add_f32_e32 v2, 0, v4
	s_and_saveexec_b64 s[12:13], s[4:5]
	s_cbranch_execz .LBB41_22
; %bb.21:
	buffer_load_dword v7, off, s[0:3], 0 offset:12
	buffer_load_dword v8, off, s[0:3], 0 offset:8
	v_mov_b32_e32 v4, 0
	ds_read_b64 v[4:5], v4 offset:344
	s_waitcnt vmcnt(1) lgkmcnt(0)
	v_mul_f32_e32 v9, v4, v7
	v_mul_f32_e32 v7, v5, v7
	s_waitcnt vmcnt(0)
	v_fmac_f32_e32 v9, v5, v8
	v_fma_f32 v4, v4, v8, -v7
	v_add_f32_e32 v2, v2, v9
	v_add_f32_e32 v3, v3, v4
.LBB41_22:
	s_or_b64 exec, exec, s[12:13]
	v_mov_b32_e32 v4, 0
	ds_read_b64 v[4:5], v4 offset:16
	s_waitcnt lgkmcnt(0)
	v_mul_f32_e32 v7, v2, v5
	v_mul_f32_e32 v5, v3, v5
	v_fma_f32 v3, v3, v4, -v7
	v_fmac_f32_e32 v5, v2, v4
	buffer_store_dword v3, off, s[0:3], 0 offset:16
	buffer_store_dword v5, off, s[0:3], 0 offset:20
.LBB41_23:
	s_or_b64 exec, exec, s[6:7]
	s_waitcnt lgkmcnt(0)
	; wave barrier
	buffer_load_dword v2, off, s[0:3], 0 offset:24
	buffer_load_dword v3, off, s[0:3], 0 offset:28
	v_cmp_gt_u32_e32 vcc, 3, v0
	s_waitcnt vmcnt(0)
	ds_write_b64 v1, v[2:3]
	v_add_u32_e32 v2, -1, v0
	s_waitcnt lgkmcnt(0)
	; wave barrier
	s_waitcnt lgkmcnt(0)
	s_and_saveexec_b64 s[4:5], vcc
	s_cbranch_execz .LBB41_27
; %bb.24:
	v_add_u32_e32 v4, -1, v0
	v_add_u32_e32 v5, 0x150, v6
	v_add_u32_e32 v7, 0, v6
	s_mov_b64 s[6:7], 0
	v_mov_b32_e32 v3, 0
	v_mov_b32_e32 v8, 0
.LBB41_25:                              ; =>This Inner Loop Header: Depth=1
	buffer_load_dword v9, v7, s[0:3], 0 offen offset:4
	buffer_load_dword v12, v7, s[0:3], 0 offen
	ds_read_b64 v[10:11], v5
	v_add_u32_e32 v4, 1, v4
	v_cmp_lt_u32_e32 vcc, 1, v4
	v_add_u32_e32 v5, 8, v5
	v_add_u32_e32 v7, 8, v7
	s_or_b64 s[6:7], vcc, s[6:7]
	s_waitcnt vmcnt(1) lgkmcnt(0)
	v_mul_f32_e32 v13, v11, v9
	v_mul_f32_e32 v9, v10, v9
	s_waitcnt vmcnt(0)
	v_fma_f32 v10, v10, v12, -v13
	v_fmac_f32_e32 v9, v11, v12
	v_add_f32_e32 v8, v8, v10
	v_add_f32_e32 v3, v3, v9
	s_andn2_b64 exec, exec, s[6:7]
	s_cbranch_execnz .LBB41_25
; %bb.26:
	s_or_b64 exec, exec, s[6:7]
	v_mov_b32_e32 v4, 0
	ds_read_b64 v[4:5], v4 offset:24
	s_waitcnt lgkmcnt(0)
	v_mul_f32_e32 v7, v3, v5
	v_mul_f32_e32 v5, v8, v5
	v_fma_f32 v7, v8, v4, -v7
	v_fmac_f32_e32 v5, v3, v4
	buffer_store_dword v7, off, s[0:3], 0 offset:24
	buffer_store_dword v5, off, s[0:3], 0 offset:28
.LBB41_27:
	s_or_b64 exec, exec, s[4:5]
	s_waitcnt lgkmcnt(0)
	; wave barrier
	buffer_load_dword v4, off, s[0:3], 0 offset:32
	buffer_load_dword v5, off, s[0:3], 0 offset:36
	v_cmp_gt_u32_e32 vcc, 4, v0
	s_waitcnt vmcnt(0)
	ds_write_b64 v1, v[4:5]
	s_waitcnt lgkmcnt(0)
	; wave barrier
	s_waitcnt lgkmcnt(0)
	s_and_saveexec_b64 s[4:5], vcc
	s_cbranch_execz .LBB41_31
; %bb.28:
	v_add_u32_e32 v4, -1, v0
	v_add_u32_e32 v5, 0x150, v6
	v_add_u32_e32 v7, 0, v6
	s_mov_b64 s[6:7], 0
	v_mov_b32_e32 v3, 0
	v_mov_b32_e32 v8, 0
.LBB41_29:                              ; =>This Inner Loop Header: Depth=1
	buffer_load_dword v9, v7, s[0:3], 0 offen offset:4
	buffer_load_dword v12, v7, s[0:3], 0 offen
	ds_read_b64 v[10:11], v5
	v_add_u32_e32 v4, 1, v4
	v_cmp_lt_u32_e32 vcc, 2, v4
	v_add_u32_e32 v5, 8, v5
	v_add_u32_e32 v7, 8, v7
	s_or_b64 s[6:7], vcc, s[6:7]
	s_waitcnt vmcnt(1) lgkmcnt(0)
	v_mul_f32_e32 v13, v11, v9
	v_mul_f32_e32 v9, v10, v9
	s_waitcnt vmcnt(0)
	v_fma_f32 v10, v10, v12, -v13
	v_fmac_f32_e32 v9, v11, v12
	v_add_f32_e32 v8, v8, v10
	v_add_f32_e32 v3, v3, v9
	s_andn2_b64 exec, exec, s[6:7]
	s_cbranch_execnz .LBB41_29
; %bb.30:
	s_or_b64 exec, exec, s[6:7]
	v_mov_b32_e32 v4, 0
	ds_read_b64 v[4:5], v4 offset:32
	s_waitcnt lgkmcnt(0)
	v_mul_f32_e32 v7, v3, v5
	v_mul_f32_e32 v5, v8, v5
	v_fma_f32 v7, v8, v4, -v7
	v_fmac_f32_e32 v5, v3, v4
	buffer_store_dword v7, off, s[0:3], 0 offset:32
	buffer_store_dword v5, off, s[0:3], 0 offset:36
.LBB41_31:
	s_or_b64 exec, exec, s[4:5]
	s_waitcnt lgkmcnt(0)
	; wave barrier
	buffer_load_dword v4, off, s[0:3], 0 offset:40
	buffer_load_dword v5, off, s[0:3], 0 offset:44
	v_cmp_gt_u32_e32 vcc, 5, v0
	s_waitcnt vmcnt(0)
	ds_write_b64 v1, v[4:5]
	;; [unrolled: 51-line block ×19, first 2 shown]
	s_waitcnt lgkmcnt(0)
	; wave barrier
	s_waitcnt lgkmcnt(0)
	s_and_saveexec_b64 s[4:5], vcc
	s_cbranch_execz .LBB41_103
; %bb.100:
	v_add_u32_e32 v4, -1, v0
	v_add_u32_e32 v5, 0x150, v6
	v_add_u32_e32 v7, 0, v6
	s_mov_b64 s[6:7], 0
	v_mov_b32_e32 v3, 0
	v_mov_b32_e32 v8, 0
.LBB41_101:                             ; =>This Inner Loop Header: Depth=1
	buffer_load_dword v9, v7, s[0:3], 0 offen offset:4
	buffer_load_dword v12, v7, s[0:3], 0 offen
	ds_read_b64 v[10:11], v5
	v_add_u32_e32 v4, 1, v4
	v_cmp_lt_u32_e32 vcc, 20, v4
	v_add_u32_e32 v5, 8, v5
	v_add_u32_e32 v7, 8, v7
	s_or_b64 s[6:7], vcc, s[6:7]
	s_waitcnt vmcnt(1) lgkmcnt(0)
	v_mul_f32_e32 v13, v11, v9
	v_mul_f32_e32 v9, v10, v9
	s_waitcnt vmcnt(0)
	v_fma_f32 v10, v10, v12, -v13
	v_fmac_f32_e32 v9, v11, v12
	v_add_f32_e32 v8, v8, v10
	v_add_f32_e32 v3, v3, v9
	s_andn2_b64 exec, exec, s[6:7]
	s_cbranch_execnz .LBB41_101
; %bb.102:
	s_or_b64 exec, exec, s[6:7]
	v_mov_b32_e32 v4, 0
	ds_read_b64 v[4:5], v4 offset:176
	s_waitcnt lgkmcnt(0)
	v_mul_f32_e32 v7, v3, v5
	v_mul_f32_e32 v5, v8, v5
	v_fma_f32 v7, v8, v4, -v7
	v_fmac_f32_e32 v5, v3, v4
	buffer_store_dword v7, off, s[0:3], 0 offset:176
	buffer_store_dword v5, off, s[0:3], 0 offset:180
.LBB41_103:
	s_or_b64 exec, exec, s[4:5]
	s_waitcnt lgkmcnt(0)
	; wave barrier
	buffer_load_dword v4, off, s[0:3], 0 offset:184
	buffer_load_dword v5, off, s[0:3], 0 offset:188
	v_cmp_gt_u32_e32 vcc, 23, v0
	s_waitcnt vmcnt(0)
	ds_write_b64 v1, v[4:5]
	s_waitcnt lgkmcnt(0)
	; wave barrier
	s_waitcnt lgkmcnt(0)
	s_and_saveexec_b64 s[4:5], vcc
	s_cbranch_execz .LBB41_107
; %bb.104:
	v_add_u32_e32 v4, -1, v0
	v_add_u32_e32 v5, 0x150, v6
	v_add_u32_e32 v7, 0, v6
	s_mov_b64 s[6:7], 0
	v_mov_b32_e32 v3, 0
	v_mov_b32_e32 v8, 0
.LBB41_105:                             ; =>This Inner Loop Header: Depth=1
	buffer_load_dword v9, v7, s[0:3], 0 offen offset:4
	buffer_load_dword v12, v7, s[0:3], 0 offen
	ds_read_b64 v[10:11], v5
	v_add_u32_e32 v4, 1, v4
	v_cmp_lt_u32_e32 vcc, 21, v4
	v_add_u32_e32 v5, 8, v5
	v_add_u32_e32 v7, 8, v7
	s_or_b64 s[6:7], vcc, s[6:7]
	s_waitcnt vmcnt(1) lgkmcnt(0)
	v_mul_f32_e32 v13, v11, v9
	v_mul_f32_e32 v9, v10, v9
	s_waitcnt vmcnt(0)
	v_fma_f32 v10, v10, v12, -v13
	v_fmac_f32_e32 v9, v11, v12
	v_add_f32_e32 v8, v8, v10
	v_add_f32_e32 v3, v3, v9
	s_andn2_b64 exec, exec, s[6:7]
	s_cbranch_execnz .LBB41_105
; %bb.106:
	s_or_b64 exec, exec, s[6:7]
	v_mov_b32_e32 v4, 0
	ds_read_b64 v[4:5], v4 offset:184
	s_waitcnt lgkmcnt(0)
	v_mul_f32_e32 v7, v3, v5
	v_mul_f32_e32 v5, v8, v5
	v_fma_f32 v7, v8, v4, -v7
	v_fmac_f32_e32 v5, v3, v4
	buffer_store_dword v7, off, s[0:3], 0 offset:184
	buffer_store_dword v5, off, s[0:3], 0 offset:188
.LBB41_107:
	s_or_b64 exec, exec, s[4:5]
	s_waitcnt lgkmcnt(0)
	; wave barrier
	buffer_load_dword v4, off, s[0:3], 0 offset:192
	buffer_load_dword v5, off, s[0:3], 0 offset:196
	v_cmp_gt_u32_e32 vcc, 24, v0
	s_waitcnt vmcnt(0)
	ds_write_b64 v1, v[4:5]
	;; [unrolled: 51-line block ×18, first 2 shown]
	s_waitcnt lgkmcnt(0)
	; wave barrier
	s_waitcnt lgkmcnt(0)
	s_and_saveexec_b64 s[4:5], vcc
	s_cbranch_execz .LBB41_175
; %bb.172:
	v_add_u32_e32 v4, -1, v0
	v_add_u32_e32 v5, 0x150, v6
	v_add_u32_e32 v7, 0, v6
	s_mov_b64 s[6:7], 0
	v_mov_b32_e32 v3, 0
	v_mov_b32_e32 v8, 0
.LBB41_173:                             ; =>This Inner Loop Header: Depth=1
	buffer_load_dword v9, v7, s[0:3], 0 offen offset:4
	buffer_load_dword v12, v7, s[0:3], 0 offen
	ds_read_b64 v[10:11], v5
	v_add_u32_e32 v4, 1, v4
	v_cmp_lt_u32_e32 vcc, 38, v4
	v_add_u32_e32 v5, 8, v5
	v_add_u32_e32 v7, 8, v7
	s_or_b64 s[6:7], vcc, s[6:7]
	s_waitcnt vmcnt(1) lgkmcnt(0)
	v_mul_f32_e32 v13, v11, v9
	v_mul_f32_e32 v9, v10, v9
	s_waitcnt vmcnt(0)
	v_fma_f32 v10, v10, v12, -v13
	v_fmac_f32_e32 v9, v11, v12
	v_add_f32_e32 v8, v8, v10
	v_add_f32_e32 v3, v3, v9
	s_andn2_b64 exec, exec, s[6:7]
	s_cbranch_execnz .LBB41_173
; %bb.174:
	s_or_b64 exec, exec, s[6:7]
	v_mov_b32_e32 v4, 0
	ds_read_b64 v[4:5], v4 offset:320
	s_waitcnt lgkmcnt(0)
	v_mul_f32_e32 v7, v3, v5
	v_mul_f32_e32 v5, v8, v5
	v_fma_f32 v7, v8, v4, -v7
	v_fmac_f32_e32 v5, v3, v4
	buffer_store_dword v7, off, s[0:3], 0 offset:320
	buffer_store_dword v5, off, s[0:3], 0 offset:324
.LBB41_175:
	s_or_b64 exec, exec, s[4:5]
	s_waitcnt lgkmcnt(0)
	; wave barrier
	buffer_load_dword v4, off, s[0:3], 0 offset:328
	buffer_load_dword v5, off, s[0:3], 0 offset:332
	v_cmp_ne_u32_e32 vcc, 41, v0
	s_waitcnt vmcnt(0)
	ds_write_b64 v1, v[4:5]
	s_waitcnt lgkmcnt(0)
	; wave barrier
	s_waitcnt lgkmcnt(0)
	s_and_saveexec_b64 s[4:5], vcc
	s_cbranch_execz .LBB41_179
; %bb.176:
	v_add_u32_e32 v3, 0x150, v6
	v_add_u32_e32 v4, 0, v6
	s_mov_b64 s[6:7], 0
	v_mov_b32_e32 v1, 0
	v_mov_b32_e32 v5, 0
.LBB41_177:                             ; =>This Inner Loop Header: Depth=1
	buffer_load_dword v8, v4, s[0:3], 0 offen offset:4
	buffer_load_dword v9, v4, s[0:3], 0 offen
	ds_read_b64 v[6:7], v3
	v_add_u32_e32 v2, 1, v2
	v_cmp_lt_u32_e32 vcc, 39, v2
	v_add_u32_e32 v3, 8, v3
	v_add_u32_e32 v4, 8, v4
	s_or_b64 s[6:7], vcc, s[6:7]
	s_waitcnt vmcnt(1) lgkmcnt(0)
	v_mul_f32_e32 v10, v7, v8
	v_mul_f32_e32 v8, v6, v8
	s_waitcnt vmcnt(0)
	v_fma_f32 v6, v6, v9, -v10
	v_fmac_f32_e32 v8, v7, v9
	v_add_f32_e32 v5, v5, v6
	v_add_f32_e32 v1, v1, v8
	s_andn2_b64 exec, exec, s[6:7]
	s_cbranch_execnz .LBB41_177
; %bb.178:
	s_or_b64 exec, exec, s[6:7]
	v_mov_b32_e32 v2, 0
	ds_read_b64 v[2:3], v2 offset:328
	s_waitcnt lgkmcnt(0)
	v_mul_f32_e32 v4, v1, v3
	v_mul_f32_e32 v3, v5, v3
	v_fma_f32 v4, v5, v2, -v4
	v_fmac_f32_e32 v3, v1, v2
	buffer_store_dword v4, off, s[0:3], 0 offset:328
	buffer_store_dword v3, off, s[0:3], 0 offset:332
.LBB41_179:
	s_or_b64 exec, exec, s[4:5]
	s_mov_b64 s[6:7], -1
	s_waitcnt lgkmcnt(0)
	; wave barrier
.LBB41_180:
	s_and_b64 vcc, exec, s[6:7]
	s_cbranch_vccz .LBB41_182
; %bb.181:
	s_lshl_b64 s[4:5], s[8:9], 2
	s_add_u32 s4, s14, s4
	s_addc_u32 s5, s15, s5
	v_mov_b32_e32 v1, 0
	global_load_dword v1, v1, s[4:5]
	s_waitcnt vmcnt(0)
	v_cmp_ne_u32_e32 vcc, 0, v1
	s_cbranch_vccz .LBB41_183
.LBB41_182:
	s_endpgm
.LBB41_183:
	v_mov_b32_e32 v1, 0x150
	v_lshl_add_u32 v1, v0, 3, v1
	v_cmp_eq_u32_e32 vcc, 41, v0
	s_and_saveexec_b64 s[4:5], vcc
	s_cbranch_execz .LBB41_185
; %bb.184:
	buffer_load_dword v2, off, s[0:3], 0 offset:320
	buffer_load_dword v3, off, s[0:3], 0 offset:324
	v_mov_b32_e32 v4, 0
	buffer_store_dword v4, off, s[0:3], 0 offset:320
	buffer_store_dword v4, off, s[0:3], 0 offset:324
	s_waitcnt vmcnt(2)
	ds_write_b64 v1, v[2:3]
.LBB41_185:
	s_or_b64 exec, exec, s[4:5]
	s_waitcnt lgkmcnt(0)
	; wave barrier
	s_waitcnt lgkmcnt(0)
	buffer_load_dword v5, off, s[0:3], 0 offset:332
	buffer_load_dword v4, off, s[0:3], 0 offset:328
	;; [unrolled: 1-line block ×4, first 2 shown]
	v_mov_b32_e32 v2, 0
	ds_read_b64 v[8:9], v2 offset:664
	v_cmp_lt_u32_e32 vcc, 39, v0
	s_waitcnt vmcnt(3)
	v_mov_b32_e32 v10, v5
	s_waitcnt lgkmcnt(0)
	v_pk_mul_f32 v[10:11], v[8:9], v[10:11] op_sel_hi:[1,0]
	s_waitcnt vmcnt(2)
	v_pk_fma_f32 v[12:13], v[8:9], v[4:5], v[10:11] op_sel:[0,0,1] op_sel_hi:[1,1,0] neg_lo:[0,0,1] neg_hi:[0,0,1]
	v_pk_fma_f32 v[4:5], v[8:9], v[4:5], v[10:11] op_sel:[0,0,1] op_sel_hi:[1,0,0]
	v_mov_b32_e32 v13, v5
	v_pk_add_f32 v[4:5], v[12:13], 0 op_sel_hi:[1,0]
	s_waitcnt vmcnt(0)
	v_pk_add_f32 v[4:5], v[6:7], v[4:5] neg_lo:[0,1] neg_hi:[0,1]
	buffer_store_dword v4, off, s[0:3], 0 offset:320
	buffer_store_dword v5, off, s[0:3], 0 offset:324
	s_and_saveexec_b64 s[4:5], vcc
	s_cbranch_execz .LBB41_187
; %bb.186:
	buffer_load_dword v4, off, s[0:3], 0 offset:312
	buffer_load_dword v5, off, s[0:3], 0 offset:316
	s_waitcnt vmcnt(0)
	ds_write_b64 v1, v[4:5]
	buffer_store_dword v2, off, s[0:3], 0 offset:312
	buffer_store_dword v2, off, s[0:3], 0 offset:316
.LBB41_187:
	s_or_b64 exec, exec, s[4:5]
	s_waitcnt lgkmcnt(0)
	; wave barrier
	s_waitcnt lgkmcnt(0)
	buffer_load_dword v7, off, s[0:3], 0 offset:324
	buffer_load_dword v9, off, s[0:3], 0 offset:332
	;; [unrolled: 1-line block ×6, first 2 shown]
	ds_read_b128 v[2:5], v2 offset:656
	v_cmp_lt_u32_e32 vcc, 38, v0
	s_waitcnt vmcnt(5)
	v_mov_b32_e32 v12, v7
	s_waitcnt vmcnt(4)
	v_mov_b32_e32 v14, v9
	s_waitcnt lgkmcnt(0)
	v_pk_mul_f32 v[12:13], v[2:3], v[12:13] op_sel_hi:[1,0]
	v_pk_mul_f32 v[14:15], v[4:5], v[14:15] op_sel_hi:[1,0]
	s_waitcnt vmcnt(3)
	v_pk_fma_f32 v[16:17], v[2:3], v[6:7], v[12:13] op_sel:[0,0,1] op_sel_hi:[1,1,0] neg_lo:[0,0,1] neg_hi:[0,0,1]
	v_pk_fma_f32 v[2:3], v[2:3], v[6:7], v[12:13] op_sel:[0,0,1] op_sel_hi:[1,0,0]
	s_waitcnt vmcnt(2)
	v_pk_fma_f32 v[6:7], v[4:5], v[8:9], v[14:15] op_sel:[0,0,1] op_sel_hi:[1,1,0] neg_lo:[0,0,1] neg_hi:[0,0,1]
	v_pk_fma_f32 v[4:5], v[4:5], v[8:9], v[14:15] op_sel:[0,0,1] op_sel_hi:[1,0,0]
	v_mov_b32_e32 v17, v3
	v_mov_b32_e32 v7, v5
	v_pk_add_f32 v[2:3], v[16:17], 0 op_sel_hi:[1,0]
	v_pk_add_f32 v[2:3], v[2:3], v[6:7]
	s_waitcnt vmcnt(0)
	v_pk_add_f32 v[2:3], v[10:11], v[2:3] neg_lo:[0,1] neg_hi:[0,1]
	buffer_store_dword v2, off, s[0:3], 0 offset:312
	buffer_store_dword v3, off, s[0:3], 0 offset:316
	s_and_saveexec_b64 s[4:5], vcc
	s_cbranch_execz .LBB41_189
; %bb.188:
	buffer_load_dword v2, off, s[0:3], 0 offset:304
	buffer_load_dword v3, off, s[0:3], 0 offset:308
	v_mov_b32_e32 v4, 0
	buffer_store_dword v4, off, s[0:3], 0 offset:304
	buffer_store_dword v4, off, s[0:3], 0 offset:308
	s_waitcnt vmcnt(2)
	ds_write_b64 v1, v[2:3]
.LBB41_189:
	s_or_b64 exec, exec, s[4:5]
	s_waitcnt lgkmcnt(0)
	; wave barrier
	s_waitcnt lgkmcnt(0)
	buffer_load_dword v9, off, s[0:3], 0 offset:316
	buffer_load_dword v11, off, s[0:3], 0 offset:324
	;; [unrolled: 1-line block ×8, first 2 shown]
	v_mov_b32_e32 v2, 0
	ds_read2_b64 v[4:7], v2 offset0:81 offset1:82
	ds_read_b64 v[16:17], v2 offset:664
	v_cmp_lt_u32_e32 vcc, 37, v0
	s_waitcnt vmcnt(7)
	v_mov_b32_e32 v18, v9
	s_waitcnt vmcnt(6)
	v_mov_b32_e32 v20, v11
	s_waitcnt lgkmcnt(1)
	v_pk_mul_f32 v[18:19], v[4:5], v[18:19] op_sel_hi:[1,0]
	s_waitcnt vmcnt(5)
	v_mov_b32_e32 v22, v13
	v_pk_mul_f32 v[20:21], v[6:7], v[20:21] op_sel_hi:[1,0]
	s_waitcnt vmcnt(4)
	v_pk_fma_f32 v[24:25], v[4:5], v[8:9], v[18:19] op_sel:[0,0,1] op_sel_hi:[1,1,0] neg_lo:[0,0,1] neg_hi:[0,0,1]
	v_pk_fma_f32 v[4:5], v[4:5], v[8:9], v[18:19] op_sel:[0,0,1] op_sel_hi:[1,0,0]
	s_waitcnt lgkmcnt(0)
	v_pk_mul_f32 v[22:23], v[16:17], v[22:23] op_sel_hi:[1,0]
	s_waitcnt vmcnt(3)
	v_pk_fma_f32 v[8:9], v[6:7], v[10:11], v[20:21] op_sel:[0,0,1] op_sel_hi:[1,1,0] neg_lo:[0,0,1] neg_hi:[0,0,1]
	v_pk_fma_f32 v[6:7], v[6:7], v[10:11], v[20:21] op_sel:[0,0,1] op_sel_hi:[1,0,0]
	v_mov_b32_e32 v25, v5
	s_waitcnt vmcnt(2)
	v_pk_fma_f32 v[10:11], v[16:17], v[12:13], v[22:23] op_sel:[0,0,1] op_sel_hi:[1,1,0] neg_lo:[0,0,1] neg_hi:[0,0,1]
	v_pk_fma_f32 v[12:13], v[16:17], v[12:13], v[22:23] op_sel:[0,0,1] op_sel_hi:[1,0,0]
	v_mov_b32_e32 v9, v7
	v_pk_add_f32 v[4:5], v[24:25], 0 op_sel_hi:[1,0]
	v_mov_b32_e32 v11, v13
	v_pk_add_f32 v[4:5], v[4:5], v[8:9]
	v_pk_add_f32 v[4:5], v[4:5], v[10:11]
	s_waitcnt vmcnt(0)
	v_pk_add_f32 v[4:5], v[14:15], v[4:5] neg_lo:[0,1] neg_hi:[0,1]
	buffer_store_dword v4, off, s[0:3], 0 offset:304
	buffer_store_dword v5, off, s[0:3], 0 offset:308
	s_and_saveexec_b64 s[4:5], vcc
	s_cbranch_execz .LBB41_191
; %bb.190:
	buffer_load_dword v4, off, s[0:3], 0 offset:296
	buffer_load_dword v5, off, s[0:3], 0 offset:300
	s_waitcnt vmcnt(0)
	ds_write_b64 v1, v[4:5]
	buffer_store_dword v2, off, s[0:3], 0 offset:296
	buffer_store_dword v2, off, s[0:3], 0 offset:300
.LBB41_191:
	s_or_b64 exec, exec, s[4:5]
	s_waitcnt lgkmcnt(0)
	; wave barrier
	s_waitcnt lgkmcnt(0)
	buffer_load_dword v13, off, s[0:3], 0 offset:308
	buffer_load_dword v15, off, s[0:3], 0 offset:316
	;; [unrolled: 1-line block ×10, first 2 shown]
	ds_read_b128 v[4:7], v2 offset:640
	ds_read_b128 v[8:11], v2 offset:656
	v_cmp_lt_u32_e32 vcc, 36, v0
	s_waitcnt vmcnt(9)
	v_mov_b32_e32 v2, v13
	s_waitcnt vmcnt(8)
	v_mov_b32_e32 v22, v15
	s_waitcnt lgkmcnt(1)
	v_pk_mul_f32 v[2:3], v[4:5], v[2:3] op_sel_hi:[1,0]
	s_waitcnt vmcnt(7)
	v_mov_b32_e32 v24, v17
	v_pk_mul_f32 v[22:23], v[6:7], v[22:23] op_sel_hi:[1,0]
	s_waitcnt vmcnt(5)
	v_pk_fma_f32 v[28:29], v[4:5], v[12:13], v[2:3] op_sel:[0,0,1] op_sel_hi:[1,1,0] neg_lo:[0,0,1] neg_hi:[0,0,1]
	v_pk_fma_f32 v[2:3], v[4:5], v[12:13], v[2:3] op_sel:[0,0,1] op_sel_hi:[1,0,0]
	v_mov_b32_e32 v26, v19
	s_waitcnt lgkmcnt(0)
	v_pk_mul_f32 v[24:25], v[8:9], v[24:25] op_sel_hi:[1,0]
	s_waitcnt vmcnt(4)
	v_pk_fma_f32 v[4:5], v[6:7], v[14:15], v[22:23] op_sel:[0,0,1] op_sel_hi:[1,1,0] neg_lo:[0,0,1] neg_hi:[0,0,1]
	v_pk_fma_f32 v[6:7], v[6:7], v[14:15], v[22:23] op_sel:[0,0,1] op_sel_hi:[1,0,0]
	v_mov_b32_e32 v29, v3
	v_pk_mul_f32 v[26:27], v[10:11], v[26:27] op_sel_hi:[1,0]
	s_waitcnt vmcnt(3)
	v_pk_fma_f32 v[12:13], v[8:9], v[16:17], v[24:25] op_sel:[0,0,1] op_sel_hi:[1,1,0] neg_lo:[0,0,1] neg_hi:[0,0,1]
	v_pk_fma_f32 v[8:9], v[8:9], v[16:17], v[24:25] op_sel:[0,0,1] op_sel_hi:[1,0,0]
	v_mov_b32_e32 v5, v7
	v_pk_add_f32 v[2:3], v[28:29], 0 op_sel_hi:[1,0]
	s_waitcnt vmcnt(2)
	v_pk_fma_f32 v[14:15], v[10:11], v[18:19], v[26:27] op_sel:[0,0,1] op_sel_hi:[1,1,0] neg_lo:[0,0,1] neg_hi:[0,0,1]
	v_pk_fma_f32 v[10:11], v[10:11], v[18:19], v[26:27] op_sel:[0,0,1] op_sel_hi:[1,0,0]
	v_mov_b32_e32 v13, v9
	v_pk_add_f32 v[2:3], v[2:3], v[4:5]
	v_mov_b32_e32 v15, v11
	v_pk_add_f32 v[2:3], v[2:3], v[12:13]
	v_pk_add_f32 v[2:3], v[2:3], v[14:15]
	s_waitcnt vmcnt(0)
	v_pk_add_f32 v[2:3], v[20:21], v[2:3] neg_lo:[0,1] neg_hi:[0,1]
	buffer_store_dword v2, off, s[0:3], 0 offset:296
	buffer_store_dword v3, off, s[0:3], 0 offset:300
	s_and_saveexec_b64 s[4:5], vcc
	s_cbranch_execz .LBB41_193
; %bb.192:
	buffer_load_dword v2, off, s[0:3], 0 offset:288
	buffer_load_dword v3, off, s[0:3], 0 offset:292
	v_mov_b32_e32 v4, 0
	buffer_store_dword v4, off, s[0:3], 0 offset:288
	buffer_store_dword v4, off, s[0:3], 0 offset:292
	s_waitcnt vmcnt(2)
	ds_write_b64 v1, v[2:3]
.LBB41_193:
	s_or_b64 exec, exec, s[4:5]
	s_waitcnt lgkmcnt(0)
	; wave barrier
	s_waitcnt lgkmcnt(0)
	buffer_load_dword v13, off, s[0:3], 0 offset:300
	buffer_load_dword v15, off, s[0:3], 0 offset:308
	;; [unrolled: 1-line block ×12, first 2 shown]
	v_mov_b32_e32 v2, 0
	ds_read2_b64 v[4:7], v2 offset0:79 offset1:80
	ds_read2_b64 v[8:11], v2 offset0:81 offset1:82
	ds_read_b64 v[24:25], v2 offset:664
	v_cmp_lt_u32_e32 vcc, 35, v0
	s_waitcnt vmcnt(11)
	v_mov_b32_e32 v26, v13
	s_waitcnt vmcnt(10)
	v_mov_b32_e32 v28, v15
	s_waitcnt lgkmcnt(2)
	v_pk_mul_f32 v[26:27], v[4:5], v[26:27] op_sel_hi:[1,0]
	s_waitcnt vmcnt(9)
	v_mov_b32_e32 v30, v17
	v_pk_mul_f32 v[28:29], v[6:7], v[28:29] op_sel_hi:[1,0]
	s_waitcnt vmcnt(6)
	v_pk_fma_f32 v[36:37], v[4:5], v[12:13], v[26:27] op_sel:[0,0,1] op_sel_hi:[1,1,0] neg_lo:[0,0,1] neg_hi:[0,0,1]
	v_pk_fma_f32 v[4:5], v[4:5], v[12:13], v[26:27] op_sel:[0,0,1] op_sel_hi:[1,0,0]
	v_mov_b32_e32 v32, v19
	s_waitcnt lgkmcnt(1)
	v_pk_mul_f32 v[30:31], v[8:9], v[30:31] op_sel_hi:[1,0]
	s_waitcnt vmcnt(5)
	v_pk_fma_f32 v[12:13], v[6:7], v[14:15], v[28:29] op_sel:[0,0,1] op_sel_hi:[1,1,0] neg_lo:[0,0,1] neg_hi:[0,0,1]
	v_pk_fma_f32 v[6:7], v[6:7], v[14:15], v[28:29] op_sel:[0,0,1] op_sel_hi:[1,0,0]
	v_mov_b32_e32 v37, v5
	v_mov_b32_e32 v34, v21
	v_pk_mul_f32 v[32:33], v[10:11], v[32:33] op_sel_hi:[1,0]
	s_waitcnt vmcnt(4)
	v_pk_fma_f32 v[14:15], v[8:9], v[16:17], v[30:31] op_sel:[0,0,1] op_sel_hi:[1,1,0] neg_lo:[0,0,1] neg_hi:[0,0,1]
	v_pk_fma_f32 v[8:9], v[8:9], v[16:17], v[30:31] op_sel:[0,0,1] op_sel_hi:[1,0,0]
	v_mov_b32_e32 v13, v7
	v_pk_add_f32 v[4:5], v[36:37], 0 op_sel_hi:[1,0]
	s_waitcnt lgkmcnt(0)
	v_pk_mul_f32 v[34:35], v[24:25], v[34:35] op_sel_hi:[1,0]
	s_waitcnt vmcnt(3)
	v_pk_fma_f32 v[16:17], v[10:11], v[18:19], v[32:33] op_sel:[0,0,1] op_sel_hi:[1,1,0] neg_lo:[0,0,1] neg_hi:[0,0,1]
	v_pk_fma_f32 v[10:11], v[10:11], v[18:19], v[32:33] op_sel:[0,0,1] op_sel_hi:[1,0,0]
	v_mov_b32_e32 v15, v9
	v_pk_add_f32 v[4:5], v[4:5], v[12:13]
	s_waitcnt vmcnt(2)
	v_pk_fma_f32 v[18:19], v[24:25], v[20:21], v[34:35] op_sel:[0,0,1] op_sel_hi:[1,1,0] neg_lo:[0,0,1] neg_hi:[0,0,1]
	v_pk_fma_f32 v[20:21], v[24:25], v[20:21], v[34:35] op_sel:[0,0,1] op_sel_hi:[1,0,0]
	v_mov_b32_e32 v17, v11
	v_pk_add_f32 v[4:5], v[4:5], v[14:15]
	v_mov_b32_e32 v19, v21
	v_pk_add_f32 v[4:5], v[4:5], v[16:17]
	v_pk_add_f32 v[4:5], v[4:5], v[18:19]
	s_waitcnt vmcnt(0)
	v_pk_add_f32 v[4:5], v[22:23], v[4:5] neg_lo:[0,1] neg_hi:[0,1]
	buffer_store_dword v4, off, s[0:3], 0 offset:288
	buffer_store_dword v5, off, s[0:3], 0 offset:292
	s_and_saveexec_b64 s[4:5], vcc
	s_cbranch_execz .LBB41_195
; %bb.194:
	buffer_load_dword v4, off, s[0:3], 0 offset:280
	buffer_load_dword v5, off, s[0:3], 0 offset:284
	s_waitcnt vmcnt(0)
	ds_write_b64 v1, v[4:5]
	buffer_store_dword v2, off, s[0:3], 0 offset:280
	buffer_store_dword v2, off, s[0:3], 0 offset:284
.LBB41_195:
	s_or_b64 exec, exec, s[4:5]
	s_waitcnt lgkmcnt(0)
	; wave barrier
	s_waitcnt lgkmcnt(0)
	buffer_load_dword v17, off, s[0:3], 0 offset:292
	buffer_load_dword v19, off, s[0:3], 0 offset:300
	;; [unrolled: 1-line block ×14, first 2 shown]
	ds_read_b128 v[4:7], v2 offset:624
	ds_read_b128 v[8:11], v2 offset:640
	;; [unrolled: 1-line block ×3, first 2 shown]
	v_cmp_lt_u32_e32 vcc, 34, v0
	s_waitcnt vmcnt(13)
	v_mov_b32_e32 v2, v17
	s_waitcnt vmcnt(12)
	v_mov_b32_e32 v30, v19
	s_waitcnt lgkmcnt(2)
	v_pk_mul_f32 v[2:3], v[4:5], v[2:3] op_sel_hi:[1,0]
	s_waitcnt vmcnt(11)
	v_mov_b32_e32 v32, v21
	v_pk_mul_f32 v[30:31], v[6:7], v[30:31] op_sel_hi:[1,0]
	s_waitcnt vmcnt(10)
	v_mov_b32_e32 v34, v23
	s_waitcnt vmcnt(7)
	v_pk_fma_f32 v[40:41], v[4:5], v[16:17], v[2:3] op_sel:[0,0,1] op_sel_hi:[1,1,0] neg_lo:[0,0,1] neg_hi:[0,0,1]
	v_pk_fma_f32 v[2:3], v[4:5], v[16:17], v[2:3] op_sel:[0,0,1] op_sel_hi:[1,0,0]
	s_waitcnt lgkmcnt(1)
	v_pk_mul_f32 v[32:33], v[8:9], v[32:33] op_sel_hi:[1,0]
	s_waitcnt vmcnt(6)
	v_pk_fma_f32 v[4:5], v[6:7], v[18:19], v[30:31] op_sel:[0,0,1] op_sel_hi:[1,1,0] neg_lo:[0,0,1] neg_hi:[0,0,1]
	v_pk_fma_f32 v[6:7], v[6:7], v[18:19], v[30:31] op_sel:[0,0,1] op_sel_hi:[1,0,0]
	v_mov_b32_e32 v41, v3
	v_mov_b32_e32 v36, v25
	v_pk_mul_f32 v[34:35], v[10:11], v[34:35] op_sel_hi:[1,0]
	s_waitcnt vmcnt(5)
	v_pk_fma_f32 v[16:17], v[8:9], v[20:21], v[32:33] op_sel:[0,0,1] op_sel_hi:[1,1,0] neg_lo:[0,0,1] neg_hi:[0,0,1]
	v_pk_fma_f32 v[8:9], v[8:9], v[20:21], v[32:33] op_sel:[0,0,1] op_sel_hi:[1,0,0]
	v_mov_b32_e32 v5, v7
	v_pk_add_f32 v[2:3], v[40:41], 0 op_sel_hi:[1,0]
	v_mov_b32_e32 v38, v27
	s_waitcnt lgkmcnt(0)
	v_pk_mul_f32 v[36:37], v[12:13], v[36:37] op_sel_hi:[1,0]
	s_waitcnt vmcnt(4)
	v_pk_fma_f32 v[18:19], v[10:11], v[22:23], v[34:35] op_sel:[0,0,1] op_sel_hi:[1,1,0] neg_lo:[0,0,1] neg_hi:[0,0,1]
	v_pk_fma_f32 v[10:11], v[10:11], v[22:23], v[34:35] op_sel:[0,0,1] op_sel_hi:[1,0,0]
	v_mov_b32_e32 v17, v9
	v_pk_add_f32 v[2:3], v[2:3], v[4:5]
	v_pk_mul_f32 v[38:39], v[14:15], v[38:39] op_sel_hi:[1,0]
	s_waitcnt vmcnt(3)
	v_pk_fma_f32 v[20:21], v[12:13], v[24:25], v[36:37] op_sel:[0,0,1] op_sel_hi:[1,1,0] neg_lo:[0,0,1] neg_hi:[0,0,1]
	v_pk_fma_f32 v[12:13], v[12:13], v[24:25], v[36:37] op_sel:[0,0,1] op_sel_hi:[1,0,0]
	v_mov_b32_e32 v19, v11
	v_pk_add_f32 v[2:3], v[2:3], v[16:17]
	s_waitcnt vmcnt(2)
	v_pk_fma_f32 v[22:23], v[14:15], v[26:27], v[38:39] op_sel:[0,0,1] op_sel_hi:[1,1,0] neg_lo:[0,0,1] neg_hi:[0,0,1]
	v_pk_fma_f32 v[14:15], v[14:15], v[26:27], v[38:39] op_sel:[0,0,1] op_sel_hi:[1,0,0]
	v_mov_b32_e32 v21, v13
	v_pk_add_f32 v[2:3], v[2:3], v[18:19]
	v_mov_b32_e32 v23, v15
	v_pk_add_f32 v[2:3], v[2:3], v[20:21]
	v_pk_add_f32 v[2:3], v[2:3], v[22:23]
	s_waitcnt vmcnt(0)
	v_pk_add_f32 v[2:3], v[28:29], v[2:3] neg_lo:[0,1] neg_hi:[0,1]
	buffer_store_dword v2, off, s[0:3], 0 offset:280
	buffer_store_dword v3, off, s[0:3], 0 offset:284
	s_and_saveexec_b64 s[4:5], vcc
	s_cbranch_execz .LBB41_197
; %bb.196:
	buffer_load_dword v2, off, s[0:3], 0 offset:272
	buffer_load_dword v3, off, s[0:3], 0 offset:276
	v_mov_b32_e32 v4, 0
	buffer_store_dword v4, off, s[0:3], 0 offset:272
	buffer_store_dword v4, off, s[0:3], 0 offset:276
	s_waitcnt vmcnt(2)
	ds_write_b64 v1, v[2:3]
.LBB41_197:
	s_or_b64 exec, exec, s[4:5]
	s_waitcnt lgkmcnt(0)
	; wave barrier
	s_waitcnt lgkmcnt(0)
	buffer_load_dword v16, off, s[0:3], 0 offset:272
	buffer_load_dword v17, off, s[0:3], 0 offset:276
	;; [unrolled: 1-line block ×16, first 2 shown]
	v_mov_b32_e32 v2, 0
	ds_read2_b64 v[4:7], v2 offset0:77 offset1:78
	ds_read2_b64 v[8:11], v2 offset0:79 offset1:80
	;; [unrolled: 1-line block ×3, first 2 shown]
	ds_read_b64 v[32:33], v2 offset:664
	v_cmp_lt_u32_e32 vcc, 33, v0
	s_waitcnt vmcnt(12)
	v_mov_b32_e32 v34, v19
	s_waitcnt lgkmcnt(3)
	v_pk_mul_f32 v[34:35], v[4:5], v[34:35] op_sel_hi:[1,0]
	v_pk_fma_f32 v[36:37], v[4:5], v[18:19], v[34:35] op_sel:[0,0,1] op_sel_hi:[1,1,0] neg_lo:[0,0,1] neg_hi:[0,0,1]
	v_pk_fma_f32 v[4:5], v[4:5], v[18:19], v[34:35] op_sel:[0,0,1] op_sel_hi:[1,0,0]
	s_waitcnt vmcnt(10)
	v_mov_b32_e32 v18, v21
	v_pk_mul_f32 v[18:19], v[6:7], v[18:19] op_sel_hi:[1,0]
	v_pk_fma_f32 v[34:35], v[6:7], v[20:21], v[18:19] op_sel:[0,0,1] op_sel_hi:[1,1,0] neg_lo:[0,0,1] neg_hi:[0,0,1]
	v_pk_fma_f32 v[6:7], v[6:7], v[20:21], v[18:19] op_sel:[0,0,1] op_sel_hi:[1,0,0]
	s_waitcnt vmcnt(8)
	v_mov_b32_e32 v6, v23
	v_mov_b32_e32 v35, v7
	s_waitcnt lgkmcnt(2)
	v_pk_mul_f32 v[6:7], v[8:9], v[6:7] op_sel_hi:[1,0]
	v_pk_fma_f32 v[18:19], v[8:9], v[22:23], v[6:7] op_sel:[0,0,1] op_sel_hi:[1,1,0] neg_lo:[0,0,1] neg_hi:[0,0,1]
	v_pk_fma_f32 v[6:7], v[8:9], v[22:23], v[6:7] op_sel:[0,0,1] op_sel_hi:[1,0,0]
	s_waitcnt vmcnt(6)
	v_mov_b32_e32 v6, v25
	v_mov_b32_e32 v37, v5
	v_mov_b32_e32 v19, v7
	v_pk_mul_f32 v[6:7], v[10:11], v[6:7] op_sel_hi:[1,0]
	v_pk_add_f32 v[4:5], v[36:37], 0 op_sel_hi:[1,0]
	v_pk_fma_f32 v[8:9], v[10:11], v[24:25], v[6:7] op_sel:[0,0,1] op_sel_hi:[1,1,0] neg_lo:[0,0,1] neg_hi:[0,0,1]
	v_pk_fma_f32 v[6:7], v[10:11], v[24:25], v[6:7] op_sel:[0,0,1] op_sel_hi:[1,0,0]
	v_pk_add_f32 v[4:5], v[4:5], v[34:35]
	s_waitcnt vmcnt(4)
	v_mov_b32_e32 v6, v27
	v_pk_add_f32 v[4:5], v[4:5], v[18:19]
	v_mov_b32_e32 v9, v7
	s_waitcnt lgkmcnt(1)
	v_pk_mul_f32 v[6:7], v[12:13], v[6:7] op_sel_hi:[1,0]
	v_pk_add_f32 v[4:5], v[4:5], v[8:9]
	v_pk_fma_f32 v[8:9], v[12:13], v[26:27], v[6:7] op_sel:[0,0,1] op_sel_hi:[1,1,0] neg_lo:[0,0,1] neg_hi:[0,0,1]
	v_pk_fma_f32 v[6:7], v[12:13], v[26:27], v[6:7] op_sel:[0,0,1] op_sel_hi:[1,0,0]
	s_waitcnt vmcnt(2)
	v_mov_b32_e32 v6, v29
	v_mov_b32_e32 v9, v7
	v_pk_mul_f32 v[6:7], v[14:15], v[6:7] op_sel_hi:[1,0]
	v_pk_add_f32 v[4:5], v[4:5], v[8:9]
	v_pk_fma_f32 v[8:9], v[14:15], v[28:29], v[6:7] op_sel:[0,0,1] op_sel_hi:[1,1,0] neg_lo:[0,0,1] neg_hi:[0,0,1]
	v_pk_fma_f32 v[6:7], v[14:15], v[28:29], v[6:7] op_sel:[0,0,1] op_sel_hi:[1,0,0]
	s_waitcnt vmcnt(0)
	v_mov_b32_e32 v6, v31
	v_mov_b32_e32 v9, v7
	s_waitcnt lgkmcnt(0)
	v_pk_mul_f32 v[6:7], v[32:33], v[6:7] op_sel_hi:[1,0]
	v_pk_add_f32 v[4:5], v[4:5], v[8:9]
	v_pk_fma_f32 v[8:9], v[32:33], v[30:31], v[6:7] op_sel:[0,0,1] op_sel_hi:[1,1,0] neg_lo:[0,0,1] neg_hi:[0,0,1]
	v_pk_fma_f32 v[6:7], v[32:33], v[30:31], v[6:7] op_sel:[0,0,1] op_sel_hi:[1,0,0]
	v_mov_b32_e32 v9, v7
	v_pk_add_f32 v[4:5], v[4:5], v[8:9]
	v_pk_add_f32 v[4:5], v[16:17], v[4:5] neg_lo:[0,1] neg_hi:[0,1]
	buffer_store_dword v4, off, s[0:3], 0 offset:272
	buffer_store_dword v5, off, s[0:3], 0 offset:276
	s_and_saveexec_b64 s[4:5], vcc
	s_cbranch_execz .LBB41_199
; %bb.198:
	buffer_load_dword v4, off, s[0:3], 0 offset:264
	buffer_load_dword v5, off, s[0:3], 0 offset:268
	s_waitcnt vmcnt(0)
	ds_write_b64 v1, v[4:5]
	buffer_store_dword v2, off, s[0:3], 0 offset:264
	buffer_store_dword v2, off, s[0:3], 0 offset:268
.LBB41_199:
	s_or_b64 exec, exec, s[4:5]
	s_waitcnt lgkmcnt(0)
	; wave barrier
	s_waitcnt lgkmcnt(0)
	buffer_load_dword v20, off, s[0:3], 0 offset:264
	buffer_load_dword v21, off, s[0:3], 0 offset:268
	buffer_load_dword v22, off, s[0:3], 0 offset:272
	buffer_load_dword v23, off, s[0:3], 0 offset:276
	buffer_load_dword v24, off, s[0:3], 0 offset:280
	buffer_load_dword v25, off, s[0:3], 0 offset:284
	buffer_load_dword v26, off, s[0:3], 0 offset:288
	buffer_load_dword v27, off, s[0:3], 0 offset:292
	buffer_load_dword v28, off, s[0:3], 0 offset:296
	buffer_load_dword v29, off, s[0:3], 0 offset:300
	buffer_load_dword v30, off, s[0:3], 0 offset:304
	buffer_load_dword v31, off, s[0:3], 0 offset:308
	buffer_load_dword v32, off, s[0:3], 0 offset:312
	buffer_load_dword v33, off, s[0:3], 0 offset:316
	buffer_load_dword v34, off, s[0:3], 0 offset:320
	buffer_load_dword v35, off, s[0:3], 0 offset:324
	ds_read_b128 v[4:7], v2 offset:608
	ds_read_b128 v[8:11], v2 offset:624
	;; [unrolled: 1-line block ×4, first 2 shown]
	buffer_load_dword v3, off, s[0:3], 0 offset:332
	buffer_load_dword v2, off, s[0:3], 0 offset:328
	v_cmp_lt_u32_e32 vcc, 32, v0
	s_waitcnt vmcnt(14)
	v_mov_b32_e32 v36, v23
	s_waitcnt lgkmcnt(3)
	v_pk_mul_f32 v[36:37], v[4:5], v[36:37] op_sel_hi:[1,0]
	v_pk_fma_f32 v[38:39], v[4:5], v[22:23], v[36:37] op_sel:[0,0,1] op_sel_hi:[1,1,0] neg_lo:[0,0,1] neg_hi:[0,0,1]
	v_pk_fma_f32 v[4:5], v[4:5], v[22:23], v[36:37] op_sel:[0,0,1] op_sel_hi:[1,0,0]
	s_waitcnt vmcnt(12)
	v_mov_b32_e32 v22, v25
	v_pk_mul_f32 v[22:23], v[6:7], v[22:23] op_sel_hi:[1,0]
	v_pk_fma_f32 v[36:37], v[6:7], v[24:25], v[22:23] op_sel:[0,0,1] op_sel_hi:[1,1,0] neg_lo:[0,0,1] neg_hi:[0,0,1]
	v_pk_fma_f32 v[6:7], v[6:7], v[24:25], v[22:23] op_sel:[0,0,1] op_sel_hi:[1,0,0]
	s_waitcnt vmcnt(10)
	v_mov_b32_e32 v6, v27
	v_mov_b32_e32 v37, v7
	s_waitcnt lgkmcnt(2)
	v_pk_mul_f32 v[6:7], v[8:9], v[6:7] op_sel_hi:[1,0]
	v_pk_fma_f32 v[22:23], v[8:9], v[26:27], v[6:7] op_sel:[0,0,1] op_sel_hi:[1,1,0] neg_lo:[0,0,1] neg_hi:[0,0,1]
	v_pk_fma_f32 v[6:7], v[8:9], v[26:27], v[6:7] op_sel:[0,0,1] op_sel_hi:[1,0,0]
	s_waitcnt vmcnt(8)
	v_mov_b32_e32 v6, v29
	v_mov_b32_e32 v39, v5
	;; [unrolled: 1-line block ×3, first 2 shown]
	v_pk_mul_f32 v[6:7], v[10:11], v[6:7] op_sel_hi:[1,0]
	v_pk_add_f32 v[4:5], v[38:39], 0 op_sel_hi:[1,0]
	v_pk_fma_f32 v[8:9], v[10:11], v[28:29], v[6:7] op_sel:[0,0,1] op_sel_hi:[1,1,0] neg_lo:[0,0,1] neg_hi:[0,0,1]
	v_pk_fma_f32 v[6:7], v[10:11], v[28:29], v[6:7] op_sel:[0,0,1] op_sel_hi:[1,0,0]
	v_pk_add_f32 v[4:5], v[4:5], v[36:37]
	s_waitcnt vmcnt(6)
	v_mov_b32_e32 v6, v31
	v_pk_add_f32 v[4:5], v[4:5], v[22:23]
	v_mov_b32_e32 v9, v7
	s_waitcnt lgkmcnt(1)
	v_pk_mul_f32 v[6:7], v[12:13], v[6:7] op_sel_hi:[1,0]
	v_pk_add_f32 v[4:5], v[4:5], v[8:9]
	v_pk_fma_f32 v[8:9], v[12:13], v[30:31], v[6:7] op_sel:[0,0,1] op_sel_hi:[1,1,0] neg_lo:[0,0,1] neg_hi:[0,0,1]
	v_pk_fma_f32 v[6:7], v[12:13], v[30:31], v[6:7] op_sel:[0,0,1] op_sel_hi:[1,0,0]
	s_waitcnt vmcnt(4)
	v_mov_b32_e32 v6, v33
	v_mov_b32_e32 v9, v7
	v_pk_mul_f32 v[6:7], v[14:15], v[6:7] op_sel_hi:[1,0]
	v_pk_add_f32 v[4:5], v[4:5], v[8:9]
	v_pk_fma_f32 v[8:9], v[14:15], v[32:33], v[6:7] op_sel:[0,0,1] op_sel_hi:[1,1,0] neg_lo:[0,0,1] neg_hi:[0,0,1]
	v_pk_fma_f32 v[6:7], v[14:15], v[32:33], v[6:7] op_sel:[0,0,1] op_sel_hi:[1,0,0]
	s_waitcnt vmcnt(2)
	v_mov_b32_e32 v6, v35
	v_mov_b32_e32 v9, v7
	s_waitcnt lgkmcnt(0)
	v_pk_mul_f32 v[6:7], v[16:17], v[6:7] op_sel_hi:[1,0]
	v_pk_add_f32 v[4:5], v[4:5], v[8:9]
	v_pk_fma_f32 v[8:9], v[16:17], v[34:35], v[6:7] op_sel:[0,0,1] op_sel_hi:[1,1,0] neg_lo:[0,0,1] neg_hi:[0,0,1]
	v_pk_fma_f32 v[6:7], v[16:17], v[34:35], v[6:7] op_sel:[0,0,1] op_sel_hi:[1,0,0]
	s_waitcnt vmcnt(1)
	v_mov_b32_e32 v6, v3
	v_mov_b32_e32 v9, v7
	v_pk_mul_f32 v[6:7], v[18:19], v[6:7] op_sel_hi:[1,0]
	v_pk_add_f32 v[4:5], v[4:5], v[8:9]
	s_waitcnt vmcnt(0)
	v_pk_fma_f32 v[8:9], v[18:19], v[2:3], v[6:7] op_sel:[0,0,1] op_sel_hi:[1,1,0] neg_lo:[0,0,1] neg_hi:[0,0,1]
	v_pk_fma_f32 v[2:3], v[18:19], v[2:3], v[6:7] op_sel:[0,0,1] op_sel_hi:[1,0,0]
	v_mov_b32_e32 v9, v3
	v_pk_add_f32 v[2:3], v[4:5], v[8:9]
	v_pk_add_f32 v[2:3], v[20:21], v[2:3] neg_lo:[0,1] neg_hi:[0,1]
	buffer_store_dword v2, off, s[0:3], 0 offset:264
	buffer_store_dword v3, off, s[0:3], 0 offset:268
	s_and_saveexec_b64 s[4:5], vcc
	s_cbranch_execz .LBB41_201
; %bb.200:
	buffer_load_dword v2, off, s[0:3], 0 offset:256
	buffer_load_dword v3, off, s[0:3], 0 offset:260
	v_mov_b32_e32 v4, 0
	buffer_store_dword v4, off, s[0:3], 0 offset:256
	buffer_store_dword v4, off, s[0:3], 0 offset:260
	s_waitcnt vmcnt(2)
	ds_write_b64 v1, v[2:3]
.LBB41_201:
	s_or_b64 exec, exec, s[4:5]
	v_mov_b32_e32 v4, 0
	s_waitcnt lgkmcnt(0)
	; wave barrier
	s_waitcnt lgkmcnt(0)
	ds_read2_b64 v[6:9], v4 offset0:75 offset1:76
	buffer_load_dword v2, off, s[0:3], 0 offset:256
	buffer_load_dword v3, off, s[0:3], 0 offset:260
	;; [unrolled: 1-line block ×20, first 2 shown]
	v_cmp_lt_u32_e32 vcc, 31, v0
	s_waitcnt vmcnt(16) lgkmcnt(0)
	v_mul_f32_e32 v35, v6, v10
	v_fmac_f32_e32 v35, v7, v5
	v_mul_f32_e32 v7, v7, v10
	s_waitcnt vmcnt(14)
	v_mov_b32_e32 v40, v23
	v_fma_f32 v34, v6, v5, -v7
	ds_read2_b64 v[10:13], v4 offset0:77 offset1:78
	ds_read2_b64 v[14:17], v4 offset0:79 offset1:80
	;; [unrolled: 1-line block ×3, first 2 shown]
	ds_read_b64 v[6:7], v4 offset:664
	v_pk_mul_f32 v[40:41], v[8:9], v[40:41] op_sel_hi:[1,0]
	v_pk_fma_f32 v[42:43], v[8:9], v[22:23], v[40:41] op_sel:[0,0,1] op_sel_hi:[1,1,0] neg_lo:[0,0,1] neg_hi:[0,0,1]
	v_pk_fma_f32 v[8:9], v[8:9], v[22:23], v[40:41] op_sel:[0,0,1] op_sel_hi:[1,0,0]
	s_waitcnt vmcnt(12)
	v_mov_b32_e32 v22, v25
	v_pk_add_f32 v[34:35], v[34:35], 0 op_sel_hi:[1,0]
	v_mov_b32_e32 v43, v9
	s_waitcnt lgkmcnt(3)
	v_pk_mul_f32 v[22:23], v[10:11], v[22:23] op_sel_hi:[1,0]
	v_pk_add_f32 v[8:9], v[34:35], v[42:43]
	v_pk_fma_f32 v[34:35], v[10:11], v[24:25], v[22:23] op_sel:[0,0,1] op_sel_hi:[1,1,0] neg_lo:[0,0,1] neg_hi:[0,0,1]
	v_pk_fma_f32 v[10:11], v[10:11], v[24:25], v[22:23] op_sel:[0,0,1] op_sel_hi:[1,0,0]
	s_waitcnt vmcnt(10)
	v_mov_b32_e32 v10, v27
	v_mov_b32_e32 v35, v11
	v_pk_mul_f32 v[10:11], v[12:13], v[10:11] op_sel_hi:[1,0]
	v_pk_fma_f32 v[22:23], v[12:13], v[26:27], v[10:11] op_sel:[0,0,1] op_sel_hi:[1,1,0] neg_lo:[0,0,1] neg_hi:[0,0,1]
	v_pk_fma_f32 v[10:11], v[12:13], v[26:27], v[10:11] op_sel:[0,0,1] op_sel_hi:[1,0,0]
	s_waitcnt vmcnt(8)
	v_mov_b32_e32 v10, v29
	v_mov_b32_e32 v23, v11
	s_waitcnt lgkmcnt(2)
	v_pk_mul_f32 v[10:11], v[14:15], v[10:11] op_sel_hi:[1,0]
	v_pk_fma_f32 v[12:13], v[14:15], v[28:29], v[10:11] op_sel:[0,0,1] op_sel_hi:[1,1,0] neg_lo:[0,0,1] neg_hi:[0,0,1]
	v_pk_fma_f32 v[10:11], v[14:15], v[28:29], v[10:11] op_sel:[0,0,1] op_sel_hi:[1,0,0]
	v_pk_add_f32 v[8:9], v[8:9], v[34:35]
	s_waitcnt vmcnt(6)
	v_mov_b32_e32 v10, v31
	v_pk_add_f32 v[8:9], v[8:9], v[22:23]
	v_mov_b32_e32 v13, v11
	v_pk_mul_f32 v[10:11], v[16:17], v[10:11] op_sel_hi:[1,0]
	v_pk_add_f32 v[8:9], v[8:9], v[12:13]
	v_pk_fma_f32 v[12:13], v[16:17], v[30:31], v[10:11] op_sel:[0,0,1] op_sel_hi:[1,1,0] neg_lo:[0,0,1] neg_hi:[0,0,1]
	v_pk_fma_f32 v[10:11], v[16:17], v[30:31], v[10:11] op_sel:[0,0,1] op_sel_hi:[1,0,0]
	s_waitcnt vmcnt(4)
	v_mov_b32_e32 v10, v33
	v_mov_b32_e32 v13, v11
	s_waitcnt lgkmcnt(1)
	v_pk_mul_f32 v[10:11], v[18:19], v[10:11] op_sel_hi:[1,0]
	v_pk_add_f32 v[8:9], v[8:9], v[12:13]
	v_pk_fma_f32 v[12:13], v[18:19], v[32:33], v[10:11] op_sel:[0,0,1] op_sel_hi:[1,1,0] neg_lo:[0,0,1] neg_hi:[0,0,1]
	v_pk_fma_f32 v[10:11], v[18:19], v[32:33], v[10:11] op_sel:[0,0,1] op_sel_hi:[1,0,0]
	s_waitcnt vmcnt(3)
	v_mov_b32_e32 v10, v37
	v_mov_b32_e32 v13, v11
	v_pk_mul_f32 v[10:11], v[20:21], v[10:11] op_sel_hi:[1,0]
	v_pk_add_f32 v[8:9], v[8:9], v[12:13]
	s_waitcnt vmcnt(2)
	v_pk_fma_f32 v[12:13], v[20:21], v[36:37], v[10:11] op_sel:[0,0,1] op_sel_hi:[1,1,0] neg_lo:[0,0,1] neg_hi:[0,0,1]
	v_pk_fma_f32 v[10:11], v[20:21], v[36:37], v[10:11] op_sel:[0,0,1] op_sel_hi:[1,0,0]
	s_waitcnt vmcnt(1)
	v_mov_b32_e32 v10, v39
	v_mov_b32_e32 v13, v11
	s_waitcnt lgkmcnt(0)
	v_pk_mul_f32 v[10:11], v[6:7], v[10:11] op_sel_hi:[1,0]
	v_pk_add_f32 v[8:9], v[8:9], v[12:13]
	s_waitcnt vmcnt(0)
	v_pk_fma_f32 v[12:13], v[6:7], v[38:39], v[10:11] op_sel:[0,0,1] op_sel_hi:[1,1,0] neg_lo:[0,0,1] neg_hi:[0,0,1]
	v_pk_fma_f32 v[6:7], v[6:7], v[38:39], v[10:11] op_sel:[0,0,1] op_sel_hi:[1,0,0]
	v_mov_b32_e32 v13, v7
	v_pk_add_f32 v[6:7], v[8:9], v[12:13]
	v_pk_add_f32 v[2:3], v[2:3], v[6:7] neg_lo:[0,1] neg_hi:[0,1]
	buffer_store_dword v2, off, s[0:3], 0 offset:256
	buffer_store_dword v3, off, s[0:3], 0 offset:260
	s_and_saveexec_b64 s[4:5], vcc
	s_cbranch_execz .LBB41_203
; %bb.202:
	buffer_load_dword v2, off, s[0:3], 0 offset:248
	buffer_load_dword v3, off, s[0:3], 0 offset:252
	s_waitcnt vmcnt(0)
	ds_write_b64 v1, v[2:3]
	buffer_store_dword v4, off, s[0:3], 0 offset:248
	buffer_store_dword v4, off, s[0:3], 0 offset:252
.LBB41_203:
	s_or_b64 exec, exec, s[4:5]
	s_waitcnt lgkmcnt(0)
	; wave barrier
	s_waitcnt lgkmcnt(0)
	ds_read_b128 v[6:9], v4 offset:592
	ds_read_b128 v[10:13], v4 offset:608
	;; [unrolled: 1-line block ×4, first 2 shown]
	buffer_load_dword v2, off, s[0:3], 0 offset:248
	buffer_load_dword v3, off, s[0:3], 0 offset:252
	;; [unrolled: 1-line block ×22, first 2 shown]
	v_cmp_lt_u32_e32 vcc, 30, v0
	s_waitcnt vmcnt(18) lgkmcnt(3)
	v_mul_f32_e32 v33, v6, v32
	v_fmac_f32_e32 v33, v7, v5
	v_mul_f32_e32 v7, v7, v32
	s_waitcnt vmcnt(16)
	v_mul_f32_e32 v35, v8, v42
	v_fma_f32 v32, v6, v5, -v7
	v_mul_f32_e32 v5, v9, v42
	v_fmac_f32_e32 v35, v9, v34
	v_fma_f32 v34, v8, v34, -v5
	v_pk_add_f32 v[8:9], v[32:33], 0 op_sel_hi:[1,0]
	s_waitcnt vmcnt(14)
	v_mov_b32_e32 v32, v23
	s_waitcnt lgkmcnt(2)
	v_pk_mul_f32 v[32:33], v[10:11], v[32:33] op_sel_hi:[1,0]
	v_pk_add_f32 v[8:9], v[8:9], v[34:35]
	v_pk_fma_f32 v[34:35], v[10:11], v[22:23], v[32:33] op_sel:[0,0,1] op_sel_hi:[1,1,0] neg_lo:[0,0,1] neg_hi:[0,0,1]
	v_pk_fma_f32 v[10:11], v[10:11], v[22:23], v[32:33] op_sel:[0,0,1] op_sel_hi:[1,0,0]
	s_waitcnt vmcnt(12)
	v_mov_b32_e32 v10, v25
	v_mov_b32_e32 v35, v11
	v_pk_mul_f32 v[10:11], v[12:13], v[10:11] op_sel_hi:[1,0]
	v_pk_fma_f32 v[22:23], v[12:13], v[24:25], v[10:11] op_sel:[0,0,1] op_sel_hi:[1,1,0] neg_lo:[0,0,1] neg_hi:[0,0,1]
	v_pk_fma_f32 v[10:11], v[12:13], v[24:25], v[10:11] op_sel:[0,0,1] op_sel_hi:[1,0,0]
	s_waitcnt vmcnt(10)
	v_mov_b32_e32 v10, v27
	v_mov_b32_e32 v23, v11
	s_waitcnt lgkmcnt(1)
	v_pk_mul_f32 v[10:11], v[14:15], v[10:11] op_sel_hi:[1,0]
	v_pk_fma_f32 v[12:13], v[14:15], v[26:27], v[10:11] op_sel:[0,0,1] op_sel_hi:[1,1,0] neg_lo:[0,0,1] neg_hi:[0,0,1]
	v_pk_fma_f32 v[10:11], v[14:15], v[26:27], v[10:11] op_sel:[0,0,1] op_sel_hi:[1,0,0]
	v_pk_add_f32 v[8:9], v[8:9], v[34:35]
	s_waitcnt vmcnt(8)
	v_mov_b32_e32 v10, v29
	v_pk_add_f32 v[8:9], v[8:9], v[22:23]
	v_mov_b32_e32 v13, v11
	v_pk_mul_f32 v[10:11], v[16:17], v[10:11] op_sel_hi:[1,0]
	v_pk_add_f32 v[8:9], v[8:9], v[12:13]
	v_pk_fma_f32 v[12:13], v[16:17], v[28:29], v[10:11] op_sel:[0,0,1] op_sel_hi:[1,1,0] neg_lo:[0,0,1] neg_hi:[0,0,1]
	v_pk_fma_f32 v[10:11], v[16:17], v[28:29], v[10:11] op_sel:[0,0,1] op_sel_hi:[1,0,0]
	s_waitcnt vmcnt(6)
	v_mov_b32_e32 v10, v31
	v_mov_b32_e32 v13, v11
	s_waitcnt lgkmcnt(0)
	v_pk_mul_f32 v[10:11], v[18:19], v[10:11] op_sel_hi:[1,0]
	ds_read_b128 v[4:7], v4 offset:656
	v_pk_add_f32 v[8:9], v[8:9], v[12:13]
	v_pk_fma_f32 v[12:13], v[18:19], v[30:31], v[10:11] op_sel:[0,0,1] op_sel_hi:[1,1,0] neg_lo:[0,0,1] neg_hi:[0,0,1]
	v_pk_fma_f32 v[10:11], v[18:19], v[30:31], v[10:11] op_sel:[0,0,1] op_sel_hi:[1,0,0]
	s_waitcnt vmcnt(5)
	v_mov_b32_e32 v10, v37
	v_mov_b32_e32 v13, v11
	v_pk_mul_f32 v[10:11], v[20:21], v[10:11] op_sel_hi:[1,0]
	v_pk_add_f32 v[8:9], v[8:9], v[12:13]
	s_waitcnt vmcnt(4)
	v_pk_fma_f32 v[12:13], v[20:21], v[36:37], v[10:11] op_sel:[0,0,1] op_sel_hi:[1,1,0] neg_lo:[0,0,1] neg_hi:[0,0,1]
	v_pk_fma_f32 v[10:11], v[20:21], v[36:37], v[10:11] op_sel:[0,0,1] op_sel_hi:[1,0,0]
	s_waitcnt vmcnt(3)
	v_mov_b32_e32 v10, v39
	v_mov_b32_e32 v13, v11
	s_waitcnt lgkmcnt(0)
	v_pk_mul_f32 v[10:11], v[4:5], v[10:11] op_sel_hi:[1,0]
	v_pk_add_f32 v[8:9], v[8:9], v[12:13]
	s_waitcnt vmcnt(2)
	v_pk_fma_f32 v[12:13], v[4:5], v[38:39], v[10:11] op_sel:[0,0,1] op_sel_hi:[1,1,0] neg_lo:[0,0,1] neg_hi:[0,0,1]
	v_pk_fma_f32 v[4:5], v[4:5], v[38:39], v[10:11] op_sel:[0,0,1] op_sel_hi:[1,0,0]
	v_mov_b32_e32 v13, v5
	v_pk_add_f32 v[4:5], v[8:9], v[12:13]
	s_waitcnt vmcnt(1)
	v_mov_b32_e32 v8, v41
	v_pk_mul_f32 v[8:9], v[6:7], v[8:9] op_sel_hi:[1,0]
	s_waitcnt vmcnt(0)
	v_pk_fma_f32 v[10:11], v[6:7], v[40:41], v[8:9] op_sel:[0,0,1] op_sel_hi:[1,1,0] neg_lo:[0,0,1] neg_hi:[0,0,1]
	v_pk_fma_f32 v[6:7], v[6:7], v[40:41], v[8:9] op_sel:[0,0,1] op_sel_hi:[1,0,0]
	v_mov_b32_e32 v11, v7
	v_pk_add_f32 v[4:5], v[4:5], v[10:11]
	v_pk_add_f32 v[2:3], v[2:3], v[4:5] neg_lo:[0,1] neg_hi:[0,1]
	buffer_store_dword v2, off, s[0:3], 0 offset:248
	buffer_store_dword v3, off, s[0:3], 0 offset:252
	s_and_saveexec_b64 s[4:5], vcc
	s_cbranch_execz .LBB41_205
; %bb.204:
	buffer_load_dword v2, off, s[0:3], 0 offset:240
	buffer_load_dword v3, off, s[0:3], 0 offset:244
	v_mov_b32_e32 v4, 0
	buffer_store_dword v4, off, s[0:3], 0 offset:240
	buffer_store_dword v4, off, s[0:3], 0 offset:244
	s_waitcnt vmcnt(2)
	ds_write_b64 v1, v[2:3]
.LBB41_205:
	s_or_b64 exec, exec, s[4:5]
	s_waitcnt lgkmcnt(0)
	; wave barrier
	s_waitcnt lgkmcnt(0)
	buffer_load_dword v3, off, s[0:3], 0 offset:252
	buffer_load_dword v44, off, s[0:3], 0 offset:260
	buffer_load_dword v46, off, s[0:3], 0 offset:268
	buffer_load_dword v25, off, s[0:3], 0 offset:276
	buffer_load_dword v27, off, s[0:3], 0 offset:284
	buffer_load_dword v29, off, s[0:3], 0 offset:292
	buffer_load_dword v31, off, s[0:3], 0 offset:300
	buffer_load_dword v33, off, s[0:3], 0 offset:308
	buffer_load_dword v35, off, s[0:3], 0 offset:316
	buffer_load_dword v37, off, s[0:3], 0 offset:324
	buffer_load_dword v39, off, s[0:3], 0 offset:332
	buffer_load_dword v49, off, s[0:3], 0 offset:248
	buffer_load_dword v51, off, s[0:3], 0 offset:256
	buffer_load_dword v53, off, s[0:3], 0 offset:264
	buffer_load_dword v24, off, s[0:3], 0 offset:272
	buffer_load_dword v26, off, s[0:3], 0 offset:280
	buffer_load_dword v28, off, s[0:3], 0 offset:288
	buffer_load_dword v30, off, s[0:3], 0 offset:296
	buffer_load_dword v38, off, s[0:3], 0 offset:328
	buffer_load_dword v36, off, s[0:3], 0 offset:320
	buffer_load_dword v34, off, s[0:3], 0 offset:312
	buffer_load_dword v32, off, s[0:3], 0 offset:304
	buffer_load_dword v40, off, s[0:3], 0 offset:240
	buffer_load_dword v41, off, s[0:3], 0 offset:244
	v_mov_b32_e32 v2, 0
	ds_read2_b64 v[4:7], v2 offset0:73 offset1:74
	ds_read2_b64 v[8:11], v2 offset0:75 offset1:76
	;; [unrolled: 1-line block ×5, first 2 shown]
	ds_read_b64 v[42:43], v2 offset:664
	v_cmp_lt_u32_e32 vcc, 29, v0
	s_waitcnt vmcnt(23) lgkmcnt(5)
	v_mul_f32_e32 v57, v4, v3
	v_mul_f32_e32 v3, v5, v3
	s_waitcnt vmcnt(22)
	v_mul_f32_e32 v45, v6, v44
	s_waitcnt vmcnt(21) lgkmcnt(4)
	v_mul_f32_e32 v47, v8, v46
	v_mul_f32_e32 v44, v7, v44
	;; [unrolled: 1-line block ×3, first 2 shown]
	s_waitcnt vmcnt(20)
	v_mov_b32_e32 v48, v25
	s_waitcnt vmcnt(19)
	v_mov_b32_e32 v50, v27
	;; [unrolled: 2-line block ×5, first 2 shown]
	s_waitcnt vmcnt(12)
	v_fmac_f32_e32 v57, v5, v49
	v_fma_f32 v3, v4, v49, -v3
	v_mov_b32_e32 v58, v35
	s_waitcnt vmcnt(11)
	v_fmac_f32_e32 v45, v7, v51
	s_waitcnt vmcnt(10)
	v_fmac_f32_e32 v47, v9, v53
	v_fma_f32 v44, v6, v51, -v44
	v_fma_f32 v46, v8, v53, -v46
	v_pk_mul_f32 v[4:5], v[10:11], v[48:49] op_sel_hi:[1,0]
	s_waitcnt lgkmcnt(3)
	v_pk_mul_f32 v[6:7], v[12:13], v[50:51] op_sel_hi:[1,0]
	v_pk_mul_f32 v[8:9], v[14:15], v[52:53] op_sel_hi:[1,0]
	s_waitcnt lgkmcnt(2)
	v_pk_mul_f32 v[48:49], v[16:17], v[54:55] op_sel_hi:[1,0]
	v_pk_mul_f32 v[50:51], v[18:19], v[56:57] op_sel_hi:[1,0]
	v_add_f32_e32 v57, 0, v57
	v_add_f32_e32 v56, 0, v3
	s_waitcnt lgkmcnt(1)
	v_pk_mul_f32 v[52:53], v[20:21], v[58:59] op_sel_hi:[1,0]
	s_waitcnt vmcnt(9)
	v_pk_fma_f32 v[58:59], v[10:11], v[24:25], v[4:5] op_sel:[0,0,1] op_sel_hi:[1,1,0] neg_lo:[0,0,1] neg_hi:[0,0,1]
	v_pk_fma_f32 v[4:5], v[10:11], v[24:25], v[4:5] op_sel:[0,0,1] op_sel_hi:[1,0,0]
	s_waitcnt vmcnt(8)
	v_pk_fma_f32 v[10:11], v[12:13], v[26:27], v[6:7] op_sel:[0,0,1] op_sel_hi:[1,1,0] neg_lo:[0,0,1] neg_hi:[0,0,1]
	v_pk_fma_f32 v[6:7], v[12:13], v[26:27], v[6:7] op_sel:[0,0,1] op_sel_hi:[1,0,0]
	;; [unrolled: 3-line block ×4, first 2 shown]
	v_pk_add_f32 v[30:31], v[56:57], v[44:45]
	v_mov_b32_e32 v59, v5
	v_pk_add_f32 v[4:5], v[30:31], v[46:47]
	v_mov_b32_e32 v11, v7
	;; [unrolled: 2-line block ×4, first 2 shown]
	s_waitcnt vmcnt(2)
	v_pk_fma_f32 v[24:25], v[18:19], v[32:33], v[50:51] op_sel:[0,0,1] op_sel_hi:[1,1,0] neg_lo:[0,0,1] neg_hi:[0,0,1]
	v_pk_fma_f32 v[18:19], v[18:19], v[32:33], v[50:51] op_sel:[0,0,1] op_sel_hi:[1,0,0]
	v_mov_b32_e32 v15, v17
	v_pk_add_f32 v[4:5], v[4:5], v[12:13]
	v_mov_b32_e32 v62, v39
	v_pk_mul_f32 v[54:55], v[22:23], v[60:61] op_sel_hi:[1,0]
	v_pk_fma_f32 v[26:27], v[20:21], v[34:35], v[52:53] op_sel:[0,0,1] op_sel_hi:[1,1,0] neg_lo:[0,0,1] neg_hi:[0,0,1]
	v_pk_fma_f32 v[20:21], v[20:21], v[34:35], v[52:53] op_sel:[0,0,1] op_sel_hi:[1,0,0]
	v_mov_b32_e32 v25, v19
	v_pk_add_f32 v[4:5], v[4:5], v[14:15]
	v_pk_fma_f32 v[28:29], v[22:23], v[36:37], v[54:55] op_sel:[0,0,1] op_sel_hi:[1,1,0] neg_lo:[0,0,1] neg_hi:[0,0,1]
	v_pk_fma_f32 v[22:23], v[22:23], v[36:37], v[54:55] op_sel:[0,0,1] op_sel_hi:[1,0,0]
	v_mov_b32_e32 v27, v21
	v_pk_add_f32 v[4:5], v[4:5], v[24:25]
	s_waitcnt lgkmcnt(0)
	v_pk_mul_f32 v[6:7], v[42:43], v[62:63] op_sel_hi:[1,0]
	v_mov_b32_e32 v29, v23
	v_pk_add_f32 v[4:5], v[4:5], v[26:27]
	v_pk_fma_f32 v[8:9], v[42:43], v[38:39], v[6:7] op_sel:[0,0,1] op_sel_hi:[1,1,0] neg_lo:[0,0,1] neg_hi:[0,0,1]
	v_pk_fma_f32 v[6:7], v[42:43], v[38:39], v[6:7] op_sel:[0,0,1] op_sel_hi:[1,0,0]
	v_pk_add_f32 v[4:5], v[4:5], v[28:29]
	v_mov_b32_e32 v9, v7
	v_pk_add_f32 v[4:5], v[4:5], v[8:9]
	s_waitcnt vmcnt(0)
	v_pk_add_f32 v[4:5], v[40:41], v[4:5] neg_lo:[0,1] neg_hi:[0,1]
	buffer_store_dword v5, off, s[0:3], 0 offset:244
	buffer_store_dword v4, off, s[0:3], 0 offset:240
	s_and_saveexec_b64 s[4:5], vcc
	s_cbranch_execz .LBB41_207
; %bb.206:
	buffer_load_dword v4, off, s[0:3], 0 offset:232
	buffer_load_dword v5, off, s[0:3], 0 offset:236
	s_waitcnt vmcnt(0)
	ds_write_b64 v1, v[4:5]
	buffer_store_dword v2, off, s[0:3], 0 offset:232
	buffer_store_dword v2, off, s[0:3], 0 offset:236
.LBB41_207:
	s_or_b64 exec, exec, s[4:5]
	s_waitcnt lgkmcnt(0)
	; wave barrier
	s_waitcnt lgkmcnt(0)
	buffer_load_dword v46, off, s[0:3], 0 offset:244
	buffer_load_dword v48, off, s[0:3], 0 offset:252
	;; [unrolled: 1-line block ×26, first 2 shown]
	ds_read_b128 v[4:7], v2 offset:576
	ds_read_b128 v[8:11], v2 offset:592
	;; [unrolled: 1-line block ×6, first 2 shown]
	v_cmp_lt_u32_e32 vcc, 28, v0
	s_waitcnt vmcnt(25) lgkmcnt(5)
	v_mul_f32_e32 v59, v4, v46
	v_mul_f32_e32 v2, v5, v46
	s_waitcnt vmcnt(24)
	v_mul_f32_e32 v60, v6, v48
	s_waitcnt vmcnt(23) lgkmcnt(4)
	v_mul_f32_e32 v3, v8, v49
	s_waitcnt vmcnt(22)
	v_mul_f32_e32 v47, v10, v50
	v_mul_f32_e32 v46, v7, v48
	;; [unrolled: 1-line block ×4, first 2 shown]
	s_waitcnt vmcnt(21)
	v_mov_b32_e32 v48, v29
	s_waitcnt vmcnt(20)
	v_mov_b32_e32 v50, v31
	;; [unrolled: 2-line block ×3, first 2 shown]
	s_waitcnt vmcnt(15)
	v_fmac_f32_e32 v59, v5, v51
	v_fma_f32 v62, v4, v51, -v2
	v_mov_b32_e32 v52, v33
	s_waitcnt vmcnt(14)
	v_fmac_f32_e32 v60, v7, v53
	s_waitcnt vmcnt(13)
	v_fmac_f32_e32 v3, v9, v55
	s_waitcnt vmcnt(12)
	v_fmac_f32_e32 v47, v11, v57
	v_fma_f32 v63, v6, v53, -v46
	v_fma_f32 v2, v8, v55, -v49
	;; [unrolled: 1-line block ×3, first 2 shown]
	s_waitcnt lgkmcnt(3)
	v_pk_mul_f32 v[4:5], v[12:13], v[48:49] op_sel_hi:[1,0]
	v_pk_mul_f32 v[6:7], v[14:15], v[50:51] op_sel_hi:[1,0]
	s_waitcnt lgkmcnt(2)
	v_pk_mul_f32 v[10:11], v[18:19], v[54:55] op_sel_hi:[1,0]
	v_add_f32_e32 v54, 0, v59
	v_add_f32_e32 v55, 0, v62
	v_pk_mul_f32 v[8:9], v[16:17], v[52:53] op_sel_hi:[1,0]
	s_waitcnt vmcnt(11)
	v_pk_fma_f32 v[52:53], v[12:13], v[28:29], v[4:5] op_sel:[0,0,1] op_sel_hi:[1,1,0] neg_lo:[0,0,1] neg_hi:[0,0,1]
	v_pk_fma_f32 v[4:5], v[12:13], v[28:29], v[4:5] op_sel:[0,0,1] op_sel_hi:[1,0,0]
	s_waitcnt vmcnt(10)
	v_pk_fma_f32 v[12:13], v[14:15], v[30:31], v[6:7] op_sel:[0,0,1] op_sel_hi:[1,1,0] neg_lo:[0,0,1] neg_hi:[0,0,1]
	v_pk_fma_f32 v[6:7], v[14:15], v[30:31], v[6:7] op_sel:[0,0,1] op_sel_hi:[1,0,0]
	v_add_f32_e32 v31, v54, v60
	v_add_f32_e32 v30, v55, v63
	v_pk_add_f32 v[2:3], v[30:31], v[2:3]
	v_mov_b32_e32 v53, v5
	v_pk_add_f32 v[2:3], v[2:3], v[46:47]
	v_mov_b32_e32 v56, v37
	s_waitcnt vmcnt(9)
	v_pk_fma_f32 v[14:15], v[16:17], v[32:33], v[8:9] op_sel:[0,0,1] op_sel_hi:[1,1,0] neg_lo:[0,0,1] neg_hi:[0,0,1]
	v_pk_fma_f32 v[8:9], v[16:17], v[32:33], v[8:9] op_sel:[0,0,1] op_sel_hi:[1,0,0]
	v_mov_b32_e32 v13, v7
	v_pk_add_f32 v[2:3], v[2:3], v[52:53]
	v_mov_b32_e32 v58, v39
	s_waitcnt lgkmcnt(1)
	v_pk_mul_f32 v[48:49], v[20:21], v[56:57] op_sel_hi:[1,0]
	s_waitcnt vmcnt(5)
	v_pk_fma_f32 v[16:17], v[18:19], v[34:35], v[10:11] op_sel:[0,0,1] op_sel_hi:[1,1,0] neg_lo:[0,0,1] neg_hi:[0,0,1]
	v_pk_fma_f32 v[10:11], v[18:19], v[34:35], v[10:11] op_sel:[0,0,1] op_sel_hi:[1,0,0]
	v_mov_b32_e32 v15, v9
	v_pk_add_f32 v[2:3], v[2:3], v[12:13]
	s_waitcnt vmcnt(4)
	v_mov_b32_e32 v4, v41
	v_pk_mul_f32 v[50:51], v[22:23], v[58:59] op_sel_hi:[1,0]
	v_pk_fma_f32 v[18:19], v[20:21], v[36:37], v[48:49] op_sel:[0,0,1] op_sel_hi:[1,1,0] neg_lo:[0,0,1] neg_hi:[0,0,1]
	v_pk_fma_f32 v[20:21], v[20:21], v[36:37], v[48:49] op_sel:[0,0,1] op_sel_hi:[1,0,0]
	v_mov_b32_e32 v17, v11
	v_pk_add_f32 v[2:3], v[2:3], v[14:15]
	s_waitcnt lgkmcnt(0)
	v_pk_mul_f32 v[4:5], v[24:25], v[4:5] op_sel_hi:[1,0]
	v_pk_fma_f32 v[28:29], v[22:23], v[38:39], v[50:51] op_sel:[0,0,1] op_sel_hi:[1,1,0] neg_lo:[0,0,1] neg_hi:[0,0,1]
	v_pk_fma_f32 v[22:23], v[22:23], v[38:39], v[50:51] op_sel:[0,0,1] op_sel_hi:[1,0,0]
	v_mov_b32_e32 v19, v21
	v_pk_add_f32 v[2:3], v[2:3], v[16:17]
	v_pk_fma_f32 v[6:7], v[24:25], v[40:41], v[4:5] op_sel:[0,0,1] op_sel_hi:[1,1,0] neg_lo:[0,0,1] neg_hi:[0,0,1]
	v_pk_fma_f32 v[4:5], v[24:25], v[40:41], v[4:5] op_sel:[0,0,1] op_sel_hi:[1,0,0]
	v_mov_b32_e32 v29, v23
	v_pk_add_f32 v[2:3], v[2:3], v[18:19]
	s_waitcnt vmcnt(3)
	v_mov_b32_e32 v4, v43
	v_pk_add_f32 v[2:3], v[2:3], v[28:29]
	v_mov_b32_e32 v7, v5
	v_pk_mul_f32 v[4:5], v[26:27], v[4:5] op_sel_hi:[1,0]
	v_pk_add_f32 v[2:3], v[2:3], v[6:7]
	s_waitcnt vmcnt(2)
	v_pk_fma_f32 v[6:7], v[26:27], v[42:43], v[4:5] op_sel:[0,0,1] op_sel_hi:[1,1,0] neg_lo:[0,0,1] neg_hi:[0,0,1]
	v_pk_fma_f32 v[4:5], v[26:27], v[42:43], v[4:5] op_sel:[0,0,1] op_sel_hi:[1,0,0]
	v_mov_b32_e32 v7, v5
	v_pk_add_f32 v[2:3], v[2:3], v[6:7]
	s_waitcnt vmcnt(0)
	v_pk_add_f32 v[2:3], v[44:45], v[2:3] neg_lo:[0,1] neg_hi:[0,1]
	buffer_store_dword v3, off, s[0:3], 0 offset:236
	buffer_store_dword v2, off, s[0:3], 0 offset:232
	s_and_saveexec_b64 s[4:5], vcc
	s_cbranch_execz .LBB41_209
; %bb.208:
	buffer_load_dword v2, off, s[0:3], 0 offset:224
	buffer_load_dword v3, off, s[0:3], 0 offset:228
	v_mov_b32_e32 v4, 0
	buffer_store_dword v4, off, s[0:3], 0 offset:224
	buffer_store_dword v4, off, s[0:3], 0 offset:228
	s_waitcnt vmcnt(2)
	ds_write_b64 v1, v[2:3]
.LBB41_209:
	s_or_b64 exec, exec, s[4:5]
	s_waitcnt lgkmcnt(0)
	; wave barrier
	s_waitcnt lgkmcnt(0)
	buffer_load_dword v3, off, s[0:3], 0 offset:236
	buffer_load_dword v48, off, s[0:3], 0 offset:244
	;; [unrolled: 1-line block ×28, first 2 shown]
	v_mov_b32_e32 v2, 0
	ds_read2_b64 v[4:7], v2 offset0:71 offset1:72
	ds_read2_b64 v[8:11], v2 offset0:73 offset1:74
	;; [unrolled: 1-line block ×6, first 2 shown]
	ds_read_b64 v[46:47], v2 offset:664
	v_cmp_lt_u32_e32 vcc, 27, v0
	s_waitcnt vmcnt(27) lgkmcnt(6)
	v_mul_f32_e32 v63, v4, v3
	v_mul_f32_e32 v3, v5, v3
	s_waitcnt vmcnt(26)
	v_mul_f32_e32 v148, v6, v48
	s_waitcnt vmcnt(24) lgkmcnt(5)
	v_mul_f32_e32 v49, v10, v52
	s_waitcnt vmcnt(23) lgkmcnt(4)
	v_mul_f32_e32 v51, v12, v53
	v_mul_f32_e32 v150, v11, v52
	;; [unrolled: 1-line block ×3, first 2 shown]
	s_waitcnt vmcnt(22)
	v_mov_b32_e32 v52, v29
	v_mul_f32_e32 v149, v8, v50
	v_mul_f32_e32 v48, v7, v48
	;; [unrolled: 1-line block ×3, first 2 shown]
	s_waitcnt vmcnt(17)
	v_fmac_f32_e32 v63, v5, v55
	v_fma_f32 v3, v4, v55, -v3
	v_pk_mul_f32 v[4:5], v[14:15], v[52:53] op_sel_hi:[1,0]
	s_waitcnt vmcnt(16)
	v_fmac_f32_e32 v148, v7, v57
	s_waitcnt vmcnt(13)
	v_fmac_f32_e32 v51, v13, v62
	v_fma_f32 v55, v6, v57, -v48
	v_fma_f32 v57, v8, v59, -v50
	v_fma_f32 v50, v12, v62, -v53
	v_add_f32_e32 v52, 0, v63
	v_add_f32_e32 v3, 0, v3
	s_waitcnt vmcnt(12)
	v_pk_fma_f32 v[12:13], v[14:15], v[28:29], v[4:5] op_sel:[0,0,1] op_sel_hi:[1,1,0] neg_lo:[0,0,1] neg_hi:[0,0,1]
	v_pk_fma_f32 v[4:5], v[14:15], v[28:29], v[4:5] op_sel:[0,0,1] op_sel_hi:[1,0,0]
	v_fmac_f32_e32 v149, v9, v59
	v_add_f32_e32 v4, v52, v148
	v_add_f32_e32 v3, v3, v55
	v_mov_b32_e32 v54, v31
	v_fmac_f32_e32 v49, v11, v61
	v_fma_f32 v48, v10, v61, -v150
	v_mov_b32_e32 v13, v5
	v_add_f32_e32 v5, v4, v149
	v_add_f32_e32 v4, v3, v57
	v_mov_b32_e32 v56, v33
	s_waitcnt lgkmcnt(3)
	v_pk_mul_f32 v[6:7], v[16:17], v[54:55] op_sel_hi:[1,0]
	v_pk_add_f32 v[4:5], v[4:5], v[48:49]
	v_mov_b32_e32 v58, v35
	v_mov_b32_e32 v60, v37
	v_pk_mul_f32 v[8:9], v[18:19], v[56:57] op_sel_hi:[1,0]
	s_waitcnt vmcnt(11)
	v_pk_fma_f32 v[14:15], v[16:17], v[30:31], v[6:7] op_sel:[0,0,1] op_sel_hi:[1,1,0] neg_lo:[0,0,1] neg_hi:[0,0,1]
	v_pk_fma_f32 v[6:7], v[16:17], v[30:31], v[6:7] op_sel:[0,0,1] op_sel_hi:[1,0,0]
	v_pk_add_f32 v[4:5], v[4:5], v[50:51]
	s_waitcnt lgkmcnt(2)
	v_pk_mul_f32 v[10:11], v[20:21], v[58:59] op_sel_hi:[1,0]
	s_waitcnt vmcnt(7)
	v_pk_fma_f32 v[16:17], v[18:19], v[32:33], v[8:9] op_sel:[0,0,1] op_sel_hi:[1,1,0] neg_lo:[0,0,1] neg_hi:[0,0,1]
	v_pk_fma_f32 v[8:9], v[18:19], v[32:33], v[8:9] op_sel:[0,0,1] op_sel_hi:[1,0,0]
	v_mov_b32_e32 v15, v7
	v_pk_add_f32 v[4:5], v[4:5], v[12:13]
	v_pk_mul_f32 v[6:7], v[22:23], v[60:61] op_sel_hi:[1,0]
	v_pk_fma_f32 v[18:19], v[20:21], v[34:35], v[10:11] op_sel:[0,0,1] op_sel_hi:[1,1,0] neg_lo:[0,0,1] neg_hi:[0,0,1]
	v_pk_fma_f32 v[10:11], v[20:21], v[34:35], v[10:11] op_sel:[0,0,1] op_sel_hi:[1,0,0]
	v_mov_b32_e32 v17, v9
	v_pk_add_f32 v[4:5], v[4:5], v[14:15]
	v_pk_fma_f32 v[8:9], v[22:23], v[36:37], v[6:7] op_sel:[0,0,1] op_sel_hi:[1,1,0] neg_lo:[0,0,1] neg_hi:[0,0,1]
	v_pk_fma_f32 v[6:7], v[22:23], v[36:37], v[6:7] op_sel:[0,0,1] op_sel_hi:[1,0,0]
	v_mov_b32_e32 v19, v11
	v_pk_add_f32 v[4:5], v[4:5], v[16:17]
	s_waitcnt vmcnt(6)
	v_mov_b32_e32 v6, v39
	v_pk_add_f32 v[4:5], v[4:5], v[18:19]
	v_mov_b32_e32 v9, v7
	s_waitcnt lgkmcnt(1)
	v_pk_mul_f32 v[6:7], v[24:25], v[6:7] op_sel_hi:[1,0]
	v_pk_add_f32 v[4:5], v[4:5], v[8:9]
	v_pk_fma_f32 v[8:9], v[24:25], v[38:39], v[6:7] op_sel:[0,0,1] op_sel_hi:[1,1,0] neg_lo:[0,0,1] neg_hi:[0,0,1]
	v_pk_fma_f32 v[6:7], v[24:25], v[38:39], v[6:7] op_sel:[0,0,1] op_sel_hi:[1,0,0]
	s_waitcnt vmcnt(5)
	v_mov_b32_e32 v6, v41
	v_mov_b32_e32 v9, v7
	v_pk_mul_f32 v[6:7], v[26:27], v[6:7] op_sel_hi:[1,0]
	v_pk_add_f32 v[4:5], v[4:5], v[8:9]
	s_waitcnt vmcnt(3)
	v_pk_fma_f32 v[8:9], v[26:27], v[40:41], v[6:7] op_sel:[0,0,1] op_sel_hi:[1,1,0] neg_lo:[0,0,1] neg_hi:[0,0,1]
	v_pk_fma_f32 v[6:7], v[26:27], v[40:41], v[6:7] op_sel:[0,0,1] op_sel_hi:[1,0,0]
	s_waitcnt vmcnt(2)
	v_mov_b32_e32 v6, v43
	v_mov_b32_e32 v9, v7
	s_waitcnt lgkmcnt(0)
	v_pk_mul_f32 v[6:7], v[46:47], v[6:7] op_sel_hi:[1,0]
	v_pk_add_f32 v[4:5], v[4:5], v[8:9]
	v_pk_fma_f32 v[8:9], v[46:47], v[42:43], v[6:7] op_sel:[0,0,1] op_sel_hi:[1,1,0] neg_lo:[0,0,1] neg_hi:[0,0,1]
	v_pk_fma_f32 v[6:7], v[46:47], v[42:43], v[6:7] op_sel:[0,0,1] op_sel_hi:[1,0,0]
	v_mov_b32_e32 v9, v7
	v_pk_add_f32 v[4:5], v[4:5], v[8:9]
	s_waitcnt vmcnt(0)
	v_pk_add_f32 v[4:5], v[44:45], v[4:5] neg_lo:[0,1] neg_hi:[0,1]
	buffer_store_dword v5, off, s[0:3], 0 offset:228
	buffer_store_dword v4, off, s[0:3], 0 offset:224
	s_and_saveexec_b64 s[4:5], vcc
	s_cbranch_execz .LBB41_211
; %bb.210:
	buffer_load_dword v4, off, s[0:3], 0 offset:216
	buffer_load_dword v5, off, s[0:3], 0 offset:220
	s_waitcnt vmcnt(0)
	ds_write_b64 v1, v[4:5]
	buffer_store_dword v2, off, s[0:3], 0 offset:216
	buffer_store_dword v2, off, s[0:3], 0 offset:220
.LBB41_211:
	s_or_b64 exec, exec, s[4:5]
	s_waitcnt lgkmcnt(0)
	; wave barrier
	s_waitcnt lgkmcnt(0)
	buffer_load_dword v50, off, s[0:3], 0 offset:228
	buffer_load_dword v52, off, s[0:3], 0 offset:236
	;; [unrolled: 1-line block ×30, first 2 shown]
	ds_read_b128 v[4:7], v2 offset:560
	ds_read_b128 v[8:11], v2 offset:576
	;; [unrolled: 1-line block ×7, first 2 shown]
	v_cmp_lt_u32_e32 vcc, 26, v0
	s_waitcnt vmcnt(29) lgkmcnt(6)
	v_mul_f32_e32 v63, v4, v50
	s_waitcnt vmcnt(28)
	v_mul_f32_e32 v148, v6, v52
	s_waitcnt vmcnt(27) lgkmcnt(5)
	v_mul_f32_e32 v149, v8, v53
	v_mul_f32_e32 v53, v9, v53
	s_waitcnt vmcnt(26)
	v_mul_f32_e32 v150, v10, v54
	s_waitcnt vmcnt(25) lgkmcnt(4)
	v_mul_f32_e32 v3, v12, v55
	v_mul_f32_e32 v2, v5, v50
	;; [unrolled: 1-line block ×5, first 2 shown]
	s_waitcnt vmcnt(23)
	v_mov_b32_e32 v52, v33
	s_waitcnt vmcnt(22)
	v_mov_b32_e32 v54, v35
	s_waitcnt vmcnt(18)
	v_fma_f32 v53, v8, v59, -v53
	v_fmac_f32_e32 v63, v5, v57
	v_fmac_f32_e32 v148, v7, v58
	s_waitcnt vmcnt(17)
	v_fmac_f32_e32 v150, v11, v60
	v_fma_f32 v11, v4, v57, -v2
	v_fma_f32 v57, v6, v58, -v50
	s_waitcnt lgkmcnt(3)
	v_pk_mul_f32 v[4:5], v[16:17], v[52:53] op_sel_hi:[1,0]
	v_pk_mul_f32 v[6:7], v[18:19], v[54:55] op_sel_hi:[1,0]
	s_waitcnt vmcnt(16)
	v_fmac_f32_e32 v3, v13, v61
	v_fma_f32 v58, v10, v60, -v151
	v_fma_f32 v2, v12, v61, -v55
	v_add_f32_e32 v52, 0, v63
	v_add_f32_e32 v54, 0, v11
	s_waitcnt vmcnt(14)
	v_pk_fma_f32 v[10:11], v[16:17], v[32:33], v[4:5] op_sel:[0,0,1] op_sel_hi:[1,1,0] neg_lo:[0,0,1] neg_hi:[0,0,1]
	v_pk_fma_f32 v[4:5], v[16:17], v[32:33], v[4:5] op_sel:[0,0,1] op_sel_hi:[1,0,0]
	s_waitcnt vmcnt(10)
	v_pk_fma_f32 v[12:13], v[18:19], v[34:35], v[6:7] op_sel:[0,0,1] op_sel_hi:[1,1,0] neg_lo:[0,0,1] neg_hi:[0,0,1]
	v_pk_fma_f32 v[6:7], v[18:19], v[34:35], v[6:7] op_sel:[0,0,1] op_sel_hi:[1,0,0]
	v_fmac_f32_e32 v149, v9, v59
	v_add_f32_e32 v4, v52, v148
	v_add_f32_e32 v6, v54, v57
	;; [unrolled: 1-line block ×4, first 2 shown]
	v_mul_f32_e32 v51, v14, v56
	v_mul_f32_e32 v152, v15, v56
	v_mov_b32_e32 v11, v5
	v_add_f32_e32 v5, v4, v150
	v_add_f32_e32 v4, v6, v58
	v_mov_b32_e32 v56, v37
	v_fmac_f32_e32 v51, v15, v62
	v_fma_f32 v50, v14, v62, -v152
	v_pk_add_f32 v[2:3], v[4:5], v[2:3]
	s_waitcnt vmcnt(9)
	v_mov_b32_e32 v4, v41
	s_waitcnt lgkmcnt(2)
	v_pk_mul_f32 v[8:9], v[20:21], v[56:57] op_sel_hi:[1,0]
	v_pk_add_f32 v[2:3], v[2:3], v[50:51]
	v_pk_mul_f32 v[4:5], v[22:23], v[4:5] op_sel_hi:[1,0]
	v_pk_fma_f32 v[14:15], v[20:21], v[36:37], v[8:9] op_sel:[0,0,1] op_sel_hi:[1,1,0] neg_lo:[0,0,1] neg_hi:[0,0,1]
	v_pk_fma_f32 v[8:9], v[20:21], v[36:37], v[8:9] op_sel:[0,0,1] op_sel_hi:[1,0,0]
	v_mov_b32_e32 v13, v7
	v_pk_add_f32 v[2:3], v[2:3], v[10:11]
	v_pk_fma_f32 v[6:7], v[22:23], v[40:41], v[4:5] op_sel:[0,0,1] op_sel_hi:[1,1,0] neg_lo:[0,0,1] neg_hi:[0,0,1]
	v_pk_fma_f32 v[4:5], v[22:23], v[40:41], v[4:5] op_sel:[0,0,1] op_sel_hi:[1,0,0]
	v_mov_b32_e32 v15, v9
	v_pk_add_f32 v[2:3], v[2:3], v[12:13]
	s_waitcnt vmcnt(8)
	v_mov_b32_e32 v4, v39
	v_pk_add_f32 v[2:3], v[2:3], v[14:15]
	v_mov_b32_e32 v7, v5
	s_waitcnt lgkmcnt(1)
	v_pk_mul_f32 v[4:5], v[24:25], v[4:5] op_sel_hi:[1,0]
	v_pk_add_f32 v[2:3], v[2:3], v[6:7]
	v_pk_fma_f32 v[6:7], v[24:25], v[38:39], v[4:5] op_sel:[0,0,1] op_sel_hi:[1,1,0] neg_lo:[0,0,1] neg_hi:[0,0,1]
	v_pk_fma_f32 v[4:5], v[24:25], v[38:39], v[4:5] op_sel:[0,0,1] op_sel_hi:[1,0,0]
	s_waitcnt vmcnt(7)
	v_mov_b32_e32 v4, v43
	v_mov_b32_e32 v7, v5
	v_pk_mul_f32 v[4:5], v[26:27], v[4:5] op_sel_hi:[1,0]
	v_pk_add_f32 v[2:3], v[2:3], v[6:7]
	s_waitcnt vmcnt(4)
	v_pk_fma_f32 v[6:7], v[26:27], v[42:43], v[4:5] op_sel:[0,0,1] op_sel_hi:[1,1,0] neg_lo:[0,0,1] neg_hi:[0,0,1]
	v_pk_fma_f32 v[4:5], v[26:27], v[42:43], v[4:5] op_sel:[0,0,1] op_sel_hi:[1,0,0]
	s_waitcnt vmcnt(3)
	v_mov_b32_e32 v4, v47
	v_mov_b32_e32 v7, v5
	s_waitcnt lgkmcnt(0)
	v_pk_mul_f32 v[4:5], v[28:29], v[4:5] op_sel_hi:[1,0]
	v_pk_add_f32 v[2:3], v[2:3], v[6:7]
	v_pk_fma_f32 v[6:7], v[28:29], v[46:47], v[4:5] op_sel:[0,0,1] op_sel_hi:[1,1,0] neg_lo:[0,0,1] neg_hi:[0,0,1]
	v_pk_fma_f32 v[4:5], v[28:29], v[46:47], v[4:5] op_sel:[0,0,1] op_sel_hi:[1,0,0]
	s_waitcnt vmcnt(0)
	v_mov_b32_e32 v4, v45
	v_mov_b32_e32 v7, v5
	v_pk_mul_f32 v[4:5], v[30:31], v[4:5] op_sel_hi:[1,0]
	v_pk_add_f32 v[2:3], v[2:3], v[6:7]
	v_pk_fma_f32 v[6:7], v[30:31], v[44:45], v[4:5] op_sel:[0,0,1] op_sel_hi:[1,1,0] neg_lo:[0,0,1] neg_hi:[0,0,1]
	v_pk_fma_f32 v[4:5], v[30:31], v[44:45], v[4:5] op_sel:[0,0,1] op_sel_hi:[1,0,0]
	v_mov_b32_e32 v7, v5
	v_pk_add_f32 v[2:3], v[2:3], v[6:7]
	v_pk_add_f32 v[2:3], v[48:49], v[2:3] neg_lo:[0,1] neg_hi:[0,1]
	buffer_store_dword v3, off, s[0:3], 0 offset:220
	buffer_store_dword v2, off, s[0:3], 0 offset:216
	s_and_saveexec_b64 s[4:5], vcc
	s_cbranch_execz .LBB41_213
; %bb.212:
	buffer_load_dword v2, off, s[0:3], 0 offset:208
	buffer_load_dword v3, off, s[0:3], 0 offset:212
	v_mov_b32_e32 v4, 0
	buffer_store_dword v4, off, s[0:3], 0 offset:208
	buffer_store_dword v4, off, s[0:3], 0 offset:212
	s_waitcnt vmcnt(2)
	ds_write_b64 v1, v[2:3]
.LBB41_213:
	s_or_b64 exec, exec, s[4:5]
	s_waitcnt lgkmcnt(0)
	; wave barrier
	s_waitcnt lgkmcnt(0)
	buffer_load_dword v3, off, s[0:3], 0 offset:220
	buffer_load_dword v52, off, s[0:3], 0 offset:228
	;; [unrolled: 1-line block ×32, first 2 shown]
	v_mov_b32_e32 v2, 0
	ds_read2_b64 v[4:7], v2 offset0:69 offset1:70
	ds_read2_b64 v[8:11], v2 offset0:71 offset1:72
	;; [unrolled: 1-line block ×7, first 2 shown]
	ds_read_b64 v[50:51], v2 offset:664
	v_cmp_lt_u32_e32 vcc, 25, v0
	s_waitcnt vmcnt(31) lgkmcnt(7)
	v_mul_f32_e32 v151, v4, v3
	v_mul_f32_e32 v3, v5, v3
	s_waitcnt vmcnt(30)
	v_mul_f32_e32 v152, v6, v52
	s_waitcnt vmcnt(28) lgkmcnt(6)
	v_mul_f32_e32 v154, v10, v56
	s_waitcnt vmcnt(27) lgkmcnt(5)
	v_mul_f32_e32 v155, v12, v57
	v_mul_f32_e32 v156, v11, v56
	;; [unrolled: 1-line block ×3, first 2 shown]
	s_waitcnt vmcnt(24)
	v_mov_b32_e32 v56, v33
	v_mul_f32_e32 v153, v8, v54
	v_mul_f32_e32 v52, v7, v52
	s_waitcnt vmcnt(22)
	v_fmac_f32_e32 v151, v5, v60
	v_fma_f32 v3, v4, v60, -v3
	s_waitcnt lgkmcnt(4)
	v_pk_mul_f32 v[4:5], v[18:19], v[56:57] op_sel_hi:[1,0]
	v_mul_f32_e32 v54, v9, v54
	s_waitcnt vmcnt(21)
	v_fmac_f32_e32 v152, v7, v61
	s_waitcnt vmcnt(20)
	v_fmac_f32_e32 v153, v9, v62
	;; [unrolled: 2-line block ×3, first 2 shown]
	v_fma_f32 v9, v6, v61, -v52
	s_waitcnt vmcnt(18)
	v_fma_f32 v11, v12, v148, -v57
	v_add_f32_e32 v12, 0, v151
	v_add_f32_e32 v3, 0, v3
	s_waitcnt vmcnt(12)
	v_pk_fma_f32 v[6:7], v[18:19], v[32:33], v[4:5] op_sel:[0,0,1] op_sel_hi:[1,1,0] neg_lo:[0,0,1] neg_hi:[0,0,1]
	v_pk_fma_f32 v[4:5], v[18:19], v[32:33], v[4:5] op_sel:[0,0,1] op_sel_hi:[1,0,0]
	v_fma_f32 v8, v8, v62, -v54
	v_add_f32_e32 v4, v12, v152
	v_add_f32_e32 v3, v3, v9
	v_fma_f32 v10, v10, v63, -v156
	v_add_f32_e32 v4, v4, v153
	v_add_f32_e32 v3, v3, v8
	v_mul_f32_e32 v53, v14, v58
	v_mul_f32_e32 v157, v15, v58
	v_fmac_f32_e32 v155, v13, v148
	v_add_f32_e32 v4, v4, v154
	v_add_f32_e32 v3, v3, v10
	v_mul_f32_e32 v55, v16, v59
	v_mul_f32_e32 v59, v17, v59
	v_fmac_f32_e32 v53, v15, v149
	v_fma_f32 v52, v14, v149, -v157
	v_mov_b32_e32 v7, v5
	v_add_f32_e32 v5, v4, v155
	v_add_f32_e32 v4, v3, v11
	v_fmac_f32_e32 v55, v17, v150
	v_fma_f32 v54, v16, v150, -v59
	v_pk_add_f32 v[4:5], v[4:5], v[52:53]
	v_mov_b32_e32 v58, v35
	v_pk_add_f32 v[4:5], v[4:5], v[54:55]
	v_pk_add_f32 v[4:5], v[4:5], v[6:7]
	s_waitcnt lgkmcnt(3)
	v_pk_mul_f32 v[6:7], v[20:21], v[58:59] op_sel_hi:[1,0]
	v_pk_fma_f32 v[8:9], v[20:21], v[34:35], v[6:7] op_sel:[0,0,1] op_sel_hi:[1,1,0] neg_lo:[0,0,1] neg_hi:[0,0,1]
	v_pk_fma_f32 v[6:7], v[20:21], v[34:35], v[6:7] op_sel:[0,0,1] op_sel_hi:[1,0,0]
	s_waitcnt vmcnt(11)
	v_mov_b32_e32 v6, v39
	v_mov_b32_e32 v9, v7
	v_pk_mul_f32 v[6:7], v[22:23], v[6:7] op_sel_hi:[1,0]
	v_pk_add_f32 v[4:5], v[4:5], v[8:9]
	v_pk_fma_f32 v[8:9], v[22:23], v[38:39], v[6:7] op_sel:[0,0,1] op_sel_hi:[1,1,0] neg_lo:[0,0,1] neg_hi:[0,0,1]
	v_pk_fma_f32 v[6:7], v[22:23], v[38:39], v[6:7] op_sel:[0,0,1] op_sel_hi:[1,0,0]
	s_waitcnt vmcnt(10)
	v_mov_b32_e32 v6, v37
	v_mov_b32_e32 v9, v7
	s_waitcnt lgkmcnt(2)
	v_pk_mul_f32 v[6:7], v[24:25], v[6:7] op_sel_hi:[1,0]
	v_pk_add_f32 v[4:5], v[4:5], v[8:9]
	v_pk_fma_f32 v[8:9], v[24:25], v[36:37], v[6:7] op_sel:[0,0,1] op_sel_hi:[1,1,0] neg_lo:[0,0,1] neg_hi:[0,0,1]
	v_pk_fma_f32 v[6:7], v[24:25], v[36:37], v[6:7] op_sel:[0,0,1] op_sel_hi:[1,0,0]
	s_waitcnt vmcnt(9)
	v_mov_b32_e32 v6, v41
	v_mov_b32_e32 v9, v7
	v_pk_mul_f32 v[6:7], v[26:27], v[6:7] op_sel_hi:[1,0]
	v_pk_add_f32 v[4:5], v[4:5], v[8:9]
	s_waitcnt vmcnt(4)
	v_pk_fma_f32 v[8:9], v[26:27], v[40:41], v[6:7] op_sel:[0,0,1] op_sel_hi:[1,1,0] neg_lo:[0,0,1] neg_hi:[0,0,1]
	v_pk_fma_f32 v[6:7], v[26:27], v[40:41], v[6:7] op_sel:[0,0,1] op_sel_hi:[1,0,0]
	v_mov_b32_e32 v6, v47
	v_mov_b32_e32 v9, v7
	s_waitcnt lgkmcnt(1)
	v_pk_mul_f32 v[6:7], v[28:29], v[6:7] op_sel_hi:[1,0]
	v_pk_add_f32 v[4:5], v[4:5], v[8:9]
	v_pk_fma_f32 v[8:9], v[28:29], v[46:47], v[6:7] op_sel:[0,0,1] op_sel_hi:[1,1,0] neg_lo:[0,0,1] neg_hi:[0,0,1]
	v_pk_fma_f32 v[6:7], v[28:29], v[46:47], v[6:7] op_sel:[0,0,1] op_sel_hi:[1,0,0]
	s_waitcnt vmcnt(3)
	v_mov_b32_e32 v6, v45
	v_mov_b32_e32 v9, v7
	v_pk_mul_f32 v[6:7], v[30:31], v[6:7] op_sel_hi:[1,0]
	v_pk_add_f32 v[4:5], v[4:5], v[8:9]
	v_pk_fma_f32 v[8:9], v[30:31], v[44:45], v[6:7] op_sel:[0,0,1] op_sel_hi:[1,1,0] neg_lo:[0,0,1] neg_hi:[0,0,1]
	v_pk_fma_f32 v[6:7], v[30:31], v[44:45], v[6:7] op_sel:[0,0,1] op_sel_hi:[1,0,0]
	s_waitcnt vmcnt(0)
	v_mov_b32_e32 v6, v43
	v_mov_b32_e32 v9, v7
	s_waitcnt lgkmcnt(0)
	v_pk_mul_f32 v[6:7], v[50:51], v[6:7] op_sel_hi:[1,0]
	v_pk_add_f32 v[4:5], v[4:5], v[8:9]
	v_pk_fma_f32 v[8:9], v[50:51], v[42:43], v[6:7] op_sel:[0,0,1] op_sel_hi:[1,1,0] neg_lo:[0,0,1] neg_hi:[0,0,1]
	v_pk_fma_f32 v[6:7], v[50:51], v[42:43], v[6:7] op_sel:[0,0,1] op_sel_hi:[1,0,0]
	v_mov_b32_e32 v9, v7
	v_pk_add_f32 v[4:5], v[4:5], v[8:9]
	v_pk_add_f32 v[4:5], v[48:49], v[4:5] neg_lo:[0,1] neg_hi:[0,1]
	buffer_store_dword v5, off, s[0:3], 0 offset:212
	buffer_store_dword v4, off, s[0:3], 0 offset:208
	s_and_saveexec_b64 s[4:5], vcc
	s_cbranch_execz .LBB41_215
; %bb.214:
	buffer_load_dword v4, off, s[0:3], 0 offset:200
	buffer_load_dword v5, off, s[0:3], 0 offset:204
	s_waitcnt vmcnt(0)
	ds_write_b64 v1, v[4:5]
	buffer_store_dword v2, off, s[0:3], 0 offset:200
	buffer_store_dword v2, off, s[0:3], 0 offset:204
.LBB41_215:
	s_or_b64 exec, exec, s[4:5]
	s_waitcnt lgkmcnt(0)
	; wave barrier
	s_waitcnt lgkmcnt(0)
	buffer_load_dword v54, off, s[0:3], 0 offset:212
	buffer_load_dword v56, off, s[0:3], 0 offset:220
	;; [unrolled: 1-line block ×32, first 2 shown]
	ds_read_b128 v[4:7], v2 offset:544
	ds_read_b128 v[8:11], v2 offset:560
	;; [unrolled: 1-line block ×4, first 2 shown]
	buffer_load_dword v53, off, s[0:3], 0 offset:332
	buffer_load_dword v52, off, s[0:3], 0 offset:328
	ds_read_b128 v[20:23], v2 offset:608
	ds_read_b128 v[24:27], v2 offset:624
	;; [unrolled: 1-line block ×4, first 2 shown]
	v_cmp_lt_u32_e32 vcc, 24, v0
	s_waitcnt vmcnt(33) lgkmcnt(7)
	v_mul_f32_e32 v155, v4, v54
	v_mul_f32_e32 v2, v5, v54
	s_waitcnt vmcnt(32)
	v_mul_f32_e32 v156, v6, v56
	s_waitcnt vmcnt(31) lgkmcnt(6)
	v_mul_f32_e32 v157, v8, v57
	v_mul_f32_e32 v54, v7, v56
	;; [unrolled: 1-line block ×3, first 2 shown]
	s_waitcnt vmcnt(30)
	v_mul_f32_e32 v57, v11, v58
	v_mul_f32_e32 v158, v10, v58
	s_waitcnt vmcnt(25)
	v_fmac_f32_e32 v155, v5, v63
	v_fma_f32 v4, v4, v63, -v2
	s_waitcnt vmcnt(24)
	v_fmac_f32_e32 v156, v7, v148
	v_fma_f32 v5, v6, v148, -v54
	s_waitcnt vmcnt(22)
	v_fma_f32 v7, v10, v150, -v57
	v_add_f32_e32 v10, 0, v155
	v_add_f32_e32 v4, 0, v4
	v_fmac_f32_e32 v157, v9, v149
	v_fma_f32 v6, v8, v149, -v56
	v_add_f32_e32 v10, v10, v156
	v_add_f32_e32 v4, v4, v5
	s_waitcnt lgkmcnt(5)
	v_mul_f32_e32 v159, v12, v59
	v_mul_f32_e32 v58, v13, v59
	v_fmac_f32_e32 v158, v11, v150
	v_add_f32_e32 v5, v10, v157
	v_add_f32_e32 v4, v4, v6
	v_mul_f32_e32 v160, v14, v60
	v_mul_f32_e32 v59, v15, v60
	s_waitcnt vmcnt(21)
	v_fmac_f32_e32 v159, v13, v151
	v_fma_f32 v8, v12, v151, -v58
	v_add_f32_e32 v5, v5, v158
	v_add_f32_e32 v4, v4, v7
	s_waitcnt lgkmcnt(4)
	v_mul_f32_e32 v3, v16, v61
	v_mul_f32_e32 v60, v17, v61
	s_waitcnt vmcnt(20)
	v_fmac_f32_e32 v160, v15, v152
	v_fma_f32 v9, v14, v152, -v59
	v_add_f32_e32 v5, v5, v159
	v_add_f32_e32 v4, v4, v8
	s_waitcnt vmcnt(19)
	v_fmac_f32_e32 v3, v17, v153
	v_fma_f32 v2, v16, v153, -v60
	v_add_f32_e32 v5, v5, v160
	v_add_f32_e32 v4, v4, v9
	v_pk_add_f32 v[2:3], v[4:5], v[2:3]
	s_waitcnt vmcnt(17)
	v_mov_b32_e32 v4, v37
	s_waitcnt lgkmcnt(3)
	v_pk_mul_f32 v[4:5], v[20:21], v[4:5] op_sel_hi:[1,0]
	v_mul_f32_e32 v55, v18, v62
	v_mul_f32_e32 v61, v19, v62
	s_waitcnt vmcnt(14)
	v_pk_fma_f32 v[6:7], v[20:21], v[36:37], v[4:5] op_sel:[0,0,1] op_sel_hi:[1,1,0] neg_lo:[0,0,1] neg_hi:[0,0,1]
	v_pk_fma_f32 v[4:5], v[20:21], v[36:37], v[4:5] op_sel:[0,0,1] op_sel_hi:[1,0,0]
	v_fmac_f32_e32 v55, v19, v154
	v_fma_f32 v54, v18, v154, -v61
	s_waitcnt vmcnt(13)
	v_mov_b32_e32 v4, v41
	v_pk_add_f32 v[2:3], v[2:3], v[54:55]
	v_mov_b32_e32 v7, v5
	v_pk_mul_f32 v[4:5], v[22:23], v[4:5] op_sel_hi:[1,0]
	v_pk_add_f32 v[2:3], v[2:3], v[6:7]
	v_pk_fma_f32 v[6:7], v[22:23], v[40:41], v[4:5] op_sel:[0,0,1] op_sel_hi:[1,1,0] neg_lo:[0,0,1] neg_hi:[0,0,1]
	v_pk_fma_f32 v[4:5], v[22:23], v[40:41], v[4:5] op_sel:[0,0,1] op_sel_hi:[1,0,0]
	s_waitcnt vmcnt(12)
	v_mov_b32_e32 v4, v39
	v_mov_b32_e32 v7, v5
	s_waitcnt lgkmcnt(2)
	v_pk_mul_f32 v[4:5], v[24:25], v[4:5] op_sel_hi:[1,0]
	v_pk_add_f32 v[2:3], v[2:3], v[6:7]
	v_pk_fma_f32 v[6:7], v[24:25], v[38:39], v[4:5] op_sel:[0,0,1] op_sel_hi:[1,1,0] neg_lo:[0,0,1] neg_hi:[0,0,1]
	v_pk_fma_f32 v[4:5], v[24:25], v[38:39], v[4:5] op_sel:[0,0,1] op_sel_hi:[1,0,0]
	s_waitcnt vmcnt(11)
	v_mov_b32_e32 v4, v43
	v_mov_b32_e32 v7, v5
	v_pk_mul_f32 v[4:5], v[26:27], v[4:5] op_sel_hi:[1,0]
	v_pk_add_f32 v[2:3], v[2:3], v[6:7]
	s_waitcnt vmcnt(5)
	v_pk_fma_f32 v[6:7], v[26:27], v[42:43], v[4:5] op_sel:[0,0,1] op_sel_hi:[1,1,0] neg_lo:[0,0,1] neg_hi:[0,0,1]
	v_pk_fma_f32 v[4:5], v[26:27], v[42:43], v[4:5] op_sel:[0,0,1] op_sel_hi:[1,0,0]
	v_mov_b32_e32 v4, v49
	v_mov_b32_e32 v7, v5
	s_waitcnt lgkmcnt(1)
	v_pk_mul_f32 v[4:5], v[28:29], v[4:5] op_sel_hi:[1,0]
	v_pk_add_f32 v[2:3], v[2:3], v[6:7]
	v_pk_fma_f32 v[6:7], v[28:29], v[48:49], v[4:5] op_sel:[0,0,1] op_sel_hi:[1,1,0] neg_lo:[0,0,1] neg_hi:[0,0,1]
	v_pk_fma_f32 v[4:5], v[28:29], v[48:49], v[4:5] op_sel:[0,0,1] op_sel_hi:[1,0,0]
	v_mov_b32_e32 v4, v47
	v_mov_b32_e32 v7, v5
	v_pk_mul_f32 v[4:5], v[30:31], v[4:5] op_sel_hi:[1,0]
	v_pk_add_f32 v[2:3], v[2:3], v[6:7]
	v_pk_fma_f32 v[6:7], v[30:31], v[46:47], v[4:5] op_sel:[0,0,1] op_sel_hi:[1,1,0] neg_lo:[0,0,1] neg_hi:[0,0,1]
	v_pk_fma_f32 v[4:5], v[30:31], v[46:47], v[4:5] op_sel:[0,0,1] op_sel_hi:[1,0,0]
	s_waitcnt vmcnt(2)
	v_mov_b32_e32 v4, v45
	v_mov_b32_e32 v7, v5
	s_waitcnt lgkmcnt(0)
	v_pk_mul_f32 v[4:5], v[32:33], v[4:5] op_sel_hi:[1,0]
	v_pk_add_f32 v[2:3], v[2:3], v[6:7]
	v_pk_fma_f32 v[6:7], v[32:33], v[44:45], v[4:5] op_sel:[0,0,1] op_sel_hi:[1,1,0] neg_lo:[0,0,1] neg_hi:[0,0,1]
	v_pk_fma_f32 v[4:5], v[32:33], v[44:45], v[4:5] op_sel:[0,0,1] op_sel_hi:[1,0,0]
	s_waitcnt vmcnt(1)
	v_mov_b32_e32 v4, v53
	v_mov_b32_e32 v7, v5
	v_pk_mul_f32 v[4:5], v[34:35], v[4:5] op_sel_hi:[1,0]
	v_pk_add_f32 v[2:3], v[2:3], v[6:7]
	s_waitcnt vmcnt(0)
	v_pk_fma_f32 v[6:7], v[34:35], v[52:53], v[4:5] op_sel:[0,0,1] op_sel_hi:[1,1,0] neg_lo:[0,0,1] neg_hi:[0,0,1]
	v_pk_fma_f32 v[4:5], v[34:35], v[52:53], v[4:5] op_sel:[0,0,1] op_sel_hi:[1,0,0]
	v_mov_b32_e32 v7, v5
	v_pk_add_f32 v[2:3], v[2:3], v[6:7]
	v_pk_add_f32 v[2:3], v[50:51], v[2:3] neg_lo:[0,1] neg_hi:[0,1]
	buffer_store_dword v3, off, s[0:3], 0 offset:204
	buffer_store_dword v2, off, s[0:3], 0 offset:200
	s_and_saveexec_b64 s[4:5], vcc
	s_cbranch_execz .LBB41_217
; %bb.216:
	buffer_load_dword v2, off, s[0:3], 0 offset:192
	buffer_load_dword v3, off, s[0:3], 0 offset:196
	v_mov_b32_e32 v4, 0
	buffer_store_dword v4, off, s[0:3], 0 offset:192
	buffer_store_dword v4, off, s[0:3], 0 offset:196
	s_waitcnt vmcnt(2)
	ds_write_b64 v1, v[2:3]
.LBB41_217:
	s_or_b64 exec, exec, s[4:5]
	s_waitcnt lgkmcnt(0)
	; wave barrier
	s_waitcnt lgkmcnt(0)
	buffer_load_dword v3, off, s[0:3], 0 offset:204
	buffer_load_dword v46, off, s[0:3], 0 offset:212
	;; [unrolled: 1-line block ×36, first 2 shown]
	v_mov_b32_e32 v2, 0
	ds_read2_b64 v[4:7], v2 offset0:67 offset1:68
	ds_read2_b64 v[8:11], v2 offset0:69 offset1:70
	;; [unrolled: 1-line block ×6, first 2 shown]
	v_cmp_lt_u32_e32 vcc, 23, v0
	s_waitcnt vmcnt(35) lgkmcnt(5)
	v_mul_f32_e32 v149, v4, v3
	s_waitcnt vmcnt(34)
	v_mul_f32_e32 v150, v6, v46
	s_waitcnt vmcnt(33) lgkmcnt(4)
	v_mul_f32_e32 v151, v8, v48
	v_mul_f32_e32 v3, v5, v3
	;; [unrolled: 1-line block ×4, first 2 shown]
	s_waitcnt vmcnt(32)
	v_mul_f32_e32 v152, v10, v50
	s_waitcnt vmcnt(31) lgkmcnt(3)
	v_mul_f32_e32 v153, v12, v51
	v_mul_f32_e32 v50, v11, v50
	s_waitcnt vmcnt(26)
	v_fmac_f32_e32 v149, v5, v56
	s_waitcnt vmcnt(25)
	v_fmac_f32_e32 v150, v7, v57
	;; [unrolled: 2-line block ×3, first 2 shown]
	v_fma_f32 v3, v4, v56, -v3
	v_add_f32_e32 v9, 0, v149
	v_fma_f32 v4, v6, v57, -v46
	v_add_f32_e32 v3, 0, v3
	v_add_f32_e32 v9, v9, v150
	s_waitcnt vmcnt(23)
	v_fmac_f32_e32 v152, v11, v59
	v_fma_f32 v5, v8, v58, -v48
	v_add_f32_e32 v3, v3, v4
	v_add_f32_e32 v4, v9, v151
	v_mul_f32_e32 v154, v14, v52
	v_mul_f32_e32 v51, v13, v51
	s_waitcnt vmcnt(22)
	v_fmac_f32_e32 v153, v13, v60
	v_fma_f32 v6, v10, v59, -v50
	v_add_f32_e32 v3, v3, v5
	v_add_f32_e32 v4, v4, v152
	s_waitcnt lgkmcnt(2)
	v_mul_f32_e32 v155, v16, v53
	v_mul_f32_e32 v52, v15, v52
	s_waitcnt vmcnt(21)
	v_fmac_f32_e32 v154, v15, v61
	v_fma_f32 v7, v12, v60, -v51
	v_add_f32_e32 v3, v3, v6
	v_add_f32_e32 v4, v4, v153
	v_mul_f32_e32 v53, v17, v53
	s_waitcnt vmcnt(20)
	v_fmac_f32_e32 v155, v17, v62
	v_fma_f32 v8, v14, v61, -v52
	v_add_f32_e32 v3, v3, v7
	v_add_f32_e32 v4, v4, v154
	;; [unrolled: 1-line block ×4, first 2 shown]
	v_fma_f32 v4, v16, v62, -v53
	s_waitcnt vmcnt(17)
	v_mov_b32_e32 v16, v29
	v_mul_f32_e32 v47, v18, v54
	v_add_f32_e32 v12, v3, v4
	v_mul_f32_e32 v3, v19, v54
	s_waitcnt lgkmcnt(1)
	v_pk_mul_f32 v[16:17], v[22:23], v[16:17] op_sel_hi:[1,0]
	v_mul_f32_e32 v49, v20, v55
	v_fmac_f32_e32 v47, v19, v63
	v_fma_f32 v46, v18, v63, -v3
	v_mul_f32_e32 v3, v21, v55
	s_waitcnt vmcnt(15)
	v_pk_fma_f32 v[18:19], v[22:23], v[28:29], v[16:17] op_sel:[0,0,1] op_sel_hi:[1,1,0] neg_lo:[0,0,1] neg_hi:[0,0,1]
	v_pk_fma_f32 v[16:17], v[22:23], v[28:29], v[16:17] op_sel:[0,0,1] op_sel_hi:[1,0,0]
	v_fmac_f32_e32 v49, v21, v148
	v_fma_f32 v48, v20, v148, -v3
	v_pk_add_f32 v[12:13], v[12:13], v[46:47]
	s_waitcnt vmcnt(12)
	v_mov_b32_e32 v16, v31
	v_pk_add_f32 v[12:13], v[12:13], v[48:49]
	v_mov_b32_e32 v19, v17
	s_waitcnt lgkmcnt(0)
	v_pk_mul_f32 v[16:17], v[24:25], v[16:17] op_sel_hi:[1,0]
	v_pk_add_f32 v[12:13], v[12:13], v[18:19]
	v_pk_fma_f32 v[18:19], v[24:25], v[30:31], v[16:17] op_sel:[0,0,1] op_sel_hi:[1,1,0] neg_lo:[0,0,1] neg_hi:[0,0,1]
	v_pk_fma_f32 v[16:17], v[24:25], v[30:31], v[16:17] op_sel:[0,0,1] op_sel_hi:[1,0,0]
	s_waitcnt vmcnt(11)
	v_mov_b32_e32 v16, v35
	ds_read2_b64 v[4:7], v2 offset0:79 offset1:80
	ds_read2_b64 v[8:11], v2 offset0:81 offset1:82
	ds_read_b64 v[14:15], v2 offset:664
	v_mov_b32_e32 v19, v17
	v_pk_mul_f32 v[16:17], v[26:27], v[16:17] op_sel_hi:[1,0]
	v_pk_add_f32 v[12:13], v[12:13], v[18:19]
	s_waitcnt vmcnt(4)
	v_pk_fma_f32 v[18:19], v[26:27], v[34:35], v[16:17] op_sel:[0,0,1] op_sel_hi:[1,1,0] neg_lo:[0,0,1] neg_hi:[0,0,1]
	v_pk_fma_f32 v[16:17], v[26:27], v[34:35], v[16:17] op_sel:[0,0,1] op_sel_hi:[1,0,0]
	v_mov_b32_e32 v16, v41
	v_mov_b32_e32 v19, v17
	s_waitcnt lgkmcnt(2)
	v_pk_mul_f32 v[16:17], v[4:5], v[16:17] op_sel_hi:[1,0]
	v_pk_add_f32 v[12:13], v[12:13], v[18:19]
	v_pk_fma_f32 v[18:19], v[4:5], v[40:41], v[16:17] op_sel:[0,0,1] op_sel_hi:[1,1,0] neg_lo:[0,0,1] neg_hi:[0,0,1]
	v_pk_fma_f32 v[4:5], v[4:5], v[40:41], v[16:17] op_sel:[0,0,1] op_sel_hi:[1,0,0]
	v_mov_b32_e32 v19, v5
	v_pk_add_f32 v[4:5], v[12:13], v[18:19]
	v_mov_b32_e32 v12, v39
	v_pk_mul_f32 v[12:13], v[6:7], v[12:13] op_sel_hi:[1,0]
	v_pk_fma_f32 v[16:17], v[6:7], v[38:39], v[12:13] op_sel:[0,0,1] op_sel_hi:[1,1,0] neg_lo:[0,0,1] neg_hi:[0,0,1]
	v_pk_fma_f32 v[6:7], v[6:7], v[38:39], v[12:13] op_sel:[0,0,1] op_sel_hi:[1,0,0]
	v_mov_b32_e32 v6, v37
	v_mov_b32_e32 v17, v7
	s_waitcnt lgkmcnt(1)
	v_pk_mul_f32 v[6:7], v[8:9], v[6:7] op_sel_hi:[1,0]
	v_pk_fma_f32 v[12:13], v[8:9], v[36:37], v[6:7] op_sel:[0,0,1] op_sel_hi:[1,1,0] neg_lo:[0,0,1] neg_hi:[0,0,1]
	v_pk_fma_f32 v[6:7], v[8:9], v[36:37], v[6:7] op_sel:[0,0,1] op_sel_hi:[1,0,0]
	s_waitcnt vmcnt(1)
	v_mov_b32_e32 v6, v45
	v_mov_b32_e32 v13, v7
	v_pk_mul_f32 v[6:7], v[10:11], v[6:7] op_sel_hi:[1,0]
	s_waitcnt vmcnt(0)
	v_pk_fma_f32 v[8:9], v[10:11], v[44:45], v[6:7] op_sel:[0,0,1] op_sel_hi:[1,1,0] neg_lo:[0,0,1] neg_hi:[0,0,1]
	v_pk_fma_f32 v[6:7], v[10:11], v[44:45], v[6:7] op_sel:[0,0,1] op_sel_hi:[1,0,0]
	v_pk_add_f32 v[4:5], v[4:5], v[16:17]
	v_mov_b32_e32 v6, v43
	v_pk_add_f32 v[4:5], v[4:5], v[12:13]
	v_mov_b32_e32 v9, v7
	s_waitcnt lgkmcnt(0)
	v_pk_mul_f32 v[6:7], v[14:15], v[6:7] op_sel_hi:[1,0]
	v_pk_add_f32 v[4:5], v[4:5], v[8:9]
	v_pk_fma_f32 v[8:9], v[14:15], v[42:43], v[6:7] op_sel:[0,0,1] op_sel_hi:[1,1,0] neg_lo:[0,0,1] neg_hi:[0,0,1]
	v_pk_fma_f32 v[6:7], v[14:15], v[42:43], v[6:7] op_sel:[0,0,1] op_sel_hi:[1,0,0]
	v_mov_b32_e32 v9, v7
	v_pk_add_f32 v[4:5], v[4:5], v[8:9]
	v_pk_add_f32 v[4:5], v[32:33], v[4:5] neg_lo:[0,1] neg_hi:[0,1]
	buffer_store_dword v5, off, s[0:3], 0 offset:196
	buffer_store_dword v4, off, s[0:3], 0 offset:192
	s_and_saveexec_b64 s[4:5], vcc
	s_cbranch_execz .LBB41_219
; %bb.218:
	buffer_load_dword v4, off, s[0:3], 0 offset:184
	buffer_load_dword v5, off, s[0:3], 0 offset:188
	s_waitcnt vmcnt(0)
	ds_write_b64 v1, v[4:5]
	buffer_store_dword v2, off, s[0:3], 0 offset:184
	buffer_store_dword v2, off, s[0:3], 0 offset:188
.LBB41_219:
	s_or_b64 exec, exec, s[4:5]
	s_waitcnt lgkmcnt(0)
	; wave barrier
	s_waitcnt lgkmcnt(0)
	buffer_load_dword v3, off, s[0:3], 0 offset:196
	buffer_load_dword v46, off, s[0:3], 0 offset:204
	;; [unrolled: 1-line block ×22, first 2 shown]
	ds_read_b128 v[4:7], v2 offset:528
	ds_read_b128 v[8:11], v2 offset:544
	buffer_load_dword v31, off, s[0:3], 0 offset:276
	buffer_load_dword v30, off, s[0:3], 0 offset:272
	;; [unrolled: 1-line block ×10, first 2 shown]
	ds_read_b128 v[12:15], v2 offset:560
	ds_read_b128 v[16:19], v2 offset:576
	;; [unrolled: 1-line block ×4, first 2 shown]
	buffer_load_dword v41, off, s[0:3], 0 offset:332
	buffer_load_dword v40, off, s[0:3], 0 offset:328
	buffer_load_dword v43, off, s[0:3], 0 offset:324
	buffer_load_dword v42, off, s[0:3], 0 offset:320
	buffer_load_dword v45, off, s[0:3], 0 offset:316
	buffer_load_dword v44, off, s[0:3], 0 offset:312
	v_cmp_lt_u32_e32 vcc, 22, v0
	s_waitcnt vmcnt(37) lgkmcnt(5)
	v_mul_f32_e32 v151, v4, v3
	s_waitcnt vmcnt(36)
	v_mul_f32_e32 v152, v6, v46
	s_waitcnt vmcnt(35) lgkmcnt(4)
	v_mul_f32_e32 v153, v8, v48
	v_mul_f32_e32 v3, v5, v3
	;; [unrolled: 1-line block ×4, first 2 shown]
	s_waitcnt vmcnt(34)
	v_mul_f32_e32 v154, v10, v50
	s_waitcnt vmcnt(33) lgkmcnt(3)
	v_mul_f32_e32 v155, v12, v51
	s_waitcnt vmcnt(32)
	v_mul_f32_e32 v156, v14, v52
	s_waitcnt vmcnt(31) lgkmcnt(2)
	v_mul_f32_e32 v157, v16, v53
	s_waitcnt vmcnt(27)
	v_fmac_f32_e32 v151, v5, v57
	s_waitcnt vmcnt(26)
	v_fmac_f32_e32 v152, v7, v58
	v_fma_f32 v3, v4, v57, -v3
	s_waitcnt vmcnt(25)
	v_fma_f32 v5, v8, v59, -v48
	v_add_f32_e32 v8, 0, v151
	v_fmac_f32_e32 v153, v9, v59
	v_fma_f32 v4, v6, v58, -v46
	v_add_f32_e32 v3, 0, v3
	v_add_f32_e32 v8, v8, v152
	s_waitcnt vmcnt(24)
	v_fmac_f32_e32 v154, v11, v60
	v_add_f32_e32 v3, v3, v4
	v_add_f32_e32 v4, v8, v153
	s_waitcnt vmcnt(23)
	v_fmac_f32_e32 v155, v13, v61
	v_add_f32_e32 v4, v4, v154
	v_mul_f32_e32 v50, v11, v50
	s_waitcnt vmcnt(22)
	v_fmac_f32_e32 v156, v15, v62
	v_add_f32_e32 v4, v4, v155
	v_mul_f32_e32 v158, v18, v54
	v_mul_f32_e32 v51, v13, v51
	s_waitcnt vmcnt(21)
	v_fmac_f32_e32 v157, v17, v63
	v_fma_f32 v6, v10, v60, -v50
	v_add_f32_e32 v3, v3, v5
	v_add_f32_e32 v4, v4, v156
	v_mul_f32_e32 v52, v15, v52
	s_waitcnt vmcnt(20)
	v_fmac_f32_e32 v158, v19, v148
	v_fma_f32 v7, v12, v61, -v51
	v_add_f32_e32 v3, v3, v6
	v_add_f32_e32 v4, v4, v157
	;; [unrolled: 1-line block ×4, first 2 shown]
	v_fma_f32 v4, v14, v62, -v52
	v_add_f32_e32 v3, v3, v4
	v_mul_f32_e32 v4, v17, v53
	v_fma_f32 v4, v16, v63, -v4
	v_add_f32_e32 v3, v3, v4
	v_mul_f32_e32 v4, v19, v54
	v_fma_f32 v4, v18, v148, -v4
	s_waitcnt vmcnt(15)
	v_mov_b32_e32 v16, v31
	s_waitcnt lgkmcnt(1)
	v_mul_f32_e32 v47, v20, v55
	v_add_f32_e32 v50, v3, v4
	v_mul_f32_e32 v3, v21, v55
	s_waitcnt lgkmcnt(0)
	v_pk_mul_f32 v[16:17], v[24:25], v[16:17] op_sel_hi:[1,0]
	v_mul_f32_e32 v49, v22, v56
	v_fmac_f32_e32 v47, v21, v149
	v_fma_f32 v46, v20, v149, -v3
	v_mul_f32_e32 v3, v23, v56
	s_waitcnt vmcnt(14)
	v_pk_fma_f32 v[18:19], v[24:25], v[30:31], v[16:17] op_sel:[0,0,1] op_sel_hi:[1,1,0] neg_lo:[0,0,1] neg_hi:[0,0,1]
	v_pk_fma_f32 v[16:17], v[24:25], v[30:31], v[16:17] op_sel:[0,0,1] op_sel_hi:[1,0,0]
	v_fmac_f32_e32 v49, v23, v150
	v_fma_f32 v48, v22, v150, -v3
	ds_read_b128 v[4:7], v2 offset:624
	ds_read_b128 v[8:11], v2 offset:640
	;; [unrolled: 1-line block ×3, first 2 shown]
	v_pk_add_f32 v[2:3], v[50:51], v[46:47]
	s_waitcnt vmcnt(13)
	v_mov_b32_e32 v16, v33
	v_pk_add_f32 v[2:3], v[2:3], v[48:49]
	v_mov_b32_e32 v19, v17
	v_pk_mul_f32 v[16:17], v[26:27], v[16:17] op_sel_hi:[1,0]
	v_pk_add_f32 v[2:3], v[2:3], v[18:19]
	s_waitcnt vmcnt(6)
	v_pk_fma_f32 v[18:19], v[26:27], v[32:33], v[16:17] op_sel:[0,0,1] op_sel_hi:[1,1,0] neg_lo:[0,0,1] neg_hi:[0,0,1]
	v_pk_fma_f32 v[16:17], v[26:27], v[32:33], v[16:17] op_sel:[0,0,1] op_sel_hi:[1,0,0]
	v_mov_b32_e32 v16, v39
	v_mov_b32_e32 v19, v17
	s_waitcnt lgkmcnt(2)
	v_pk_mul_f32 v[16:17], v[4:5], v[16:17] op_sel_hi:[1,0]
	v_pk_add_f32 v[2:3], v[2:3], v[18:19]
	v_pk_fma_f32 v[18:19], v[4:5], v[38:39], v[16:17] op_sel:[0,0,1] op_sel_hi:[1,1,0] neg_lo:[0,0,1] neg_hi:[0,0,1]
	v_pk_fma_f32 v[4:5], v[4:5], v[38:39], v[16:17] op_sel:[0,0,1] op_sel_hi:[1,0,0]
	v_mov_b32_e32 v4, v37
	v_mov_b32_e32 v19, v5
	v_pk_mul_f32 v[4:5], v[6:7], v[4:5] op_sel_hi:[1,0]
	v_pk_fma_f32 v[16:17], v[6:7], v[36:37], v[4:5] op_sel:[0,0,1] op_sel_hi:[1,1,0] neg_lo:[0,0,1] neg_hi:[0,0,1]
	v_pk_fma_f32 v[4:5], v[6:7], v[36:37], v[4:5] op_sel:[0,0,1] op_sel_hi:[1,0,0]
	v_mov_b32_e32 v4, v35
	v_mov_b32_e32 v17, v5
	s_waitcnt lgkmcnt(1)
	v_pk_mul_f32 v[4:5], v[8:9], v[4:5] op_sel_hi:[1,0]
	v_pk_fma_f32 v[6:7], v[8:9], v[34:35], v[4:5] op_sel:[0,0,1] op_sel_hi:[1,1,0] neg_lo:[0,0,1] neg_hi:[0,0,1]
	v_pk_fma_f32 v[4:5], v[8:9], v[34:35], v[4:5] op_sel:[0,0,1] op_sel_hi:[1,0,0]
	v_pk_add_f32 v[2:3], v[2:3], v[18:19]
	s_waitcnt vmcnt(1)
	v_mov_b32_e32 v4, v45
	v_pk_add_f32 v[2:3], v[2:3], v[16:17]
	v_mov_b32_e32 v7, v5
	v_pk_mul_f32 v[4:5], v[10:11], v[4:5] op_sel_hi:[1,0]
	v_pk_add_f32 v[2:3], v[2:3], v[6:7]
	s_waitcnt vmcnt(0)
	v_pk_fma_f32 v[6:7], v[10:11], v[44:45], v[4:5] op_sel:[0,0,1] op_sel_hi:[1,1,0] neg_lo:[0,0,1] neg_hi:[0,0,1]
	v_pk_fma_f32 v[4:5], v[10:11], v[44:45], v[4:5] op_sel:[0,0,1] op_sel_hi:[1,0,0]
	v_mov_b32_e32 v4, v43
	v_mov_b32_e32 v7, v5
	s_waitcnt lgkmcnt(0)
	v_pk_mul_f32 v[4:5], v[12:13], v[4:5] op_sel_hi:[1,0]
	v_pk_add_f32 v[2:3], v[2:3], v[6:7]
	v_pk_fma_f32 v[6:7], v[12:13], v[42:43], v[4:5] op_sel:[0,0,1] op_sel_hi:[1,1,0] neg_lo:[0,0,1] neg_hi:[0,0,1]
	v_pk_fma_f32 v[4:5], v[12:13], v[42:43], v[4:5] op_sel:[0,0,1] op_sel_hi:[1,0,0]
	v_mov_b32_e32 v4, v41
	v_mov_b32_e32 v7, v5
	v_pk_mul_f32 v[4:5], v[14:15], v[4:5] op_sel_hi:[1,0]
	v_pk_add_f32 v[2:3], v[2:3], v[6:7]
	v_pk_fma_f32 v[6:7], v[14:15], v[40:41], v[4:5] op_sel:[0,0,1] op_sel_hi:[1,1,0] neg_lo:[0,0,1] neg_hi:[0,0,1]
	v_pk_fma_f32 v[4:5], v[14:15], v[40:41], v[4:5] op_sel:[0,0,1] op_sel_hi:[1,0,0]
	v_mov_b32_e32 v7, v5
	v_pk_add_f32 v[2:3], v[2:3], v[6:7]
	v_pk_add_f32 v[2:3], v[28:29], v[2:3] neg_lo:[0,1] neg_hi:[0,1]
	buffer_store_dword v3, off, s[0:3], 0 offset:188
	buffer_store_dword v2, off, s[0:3], 0 offset:184
	s_and_saveexec_b64 s[4:5], vcc
	s_cbranch_execz .LBB41_221
; %bb.220:
	buffer_load_dword v2, off, s[0:3], 0 offset:176
	buffer_load_dword v3, off, s[0:3], 0 offset:180
	v_mov_b32_e32 v4, 0
	buffer_store_dword v4, off, s[0:3], 0 offset:176
	buffer_store_dword v4, off, s[0:3], 0 offset:180
	s_waitcnt vmcnt(2)
	ds_write_b64 v1, v[2:3]
.LBB41_221:
	s_or_b64 exec, exec, s[4:5]
	s_waitcnt lgkmcnt(0)
	; wave barrier
	s_waitcnt lgkmcnt(0)
	buffer_load_dword v3, off, s[0:3], 0 offset:188
	buffer_load_dword v46, off, s[0:3], 0 offset:196
	buffer_load_dword v48, off, s[0:3], 0 offset:204
	buffer_load_dword v50, off, s[0:3], 0 offset:212
	buffer_load_dword v52, off, s[0:3], 0 offset:220
	buffer_load_dword v53, off, s[0:3], 0 offset:228
	buffer_load_dword v54, off, s[0:3], 0 offset:236
	buffer_load_dword v55, off, s[0:3], 0 offset:244
	buffer_load_dword v56, off, s[0:3], 0 offset:252
	buffer_load_dword v57, off, s[0:3], 0 offset:260
	buffer_load_dword v58, off, s[0:3], 0 offset:268
	buffer_load_dword v51, off, s[0:3], 0 offset:184
	buffer_load_dword v59, off, s[0:3], 0 offset:192
	buffer_load_dword v60, off, s[0:3], 0 offset:200
	buffer_load_dword v61, off, s[0:3], 0 offset:208
	buffer_load_dword v62, off, s[0:3], 0 offset:216
	buffer_load_dword v63, off, s[0:3], 0 offset:224
	buffer_load_dword v148, off, s[0:3], 0 offset:232
	buffer_load_dword v149, off, s[0:3], 0 offset:240
	buffer_load_dword v150, off, s[0:3], 0 offset:248
	buffer_load_dword v151, off, s[0:3], 0 offset:256
	buffer_load_dword v152, off, s[0:3], 0 offset:264
	buffer_load_dword v28, off, s[0:3], 0 offset:176
	buffer_load_dword v29, off, s[0:3], 0 offset:180
	buffer_load_dword v31, off, s[0:3], 0 offset:300
	buffer_load_dword v30, off, s[0:3], 0 offset:296
	buffer_load_dword v33, off, s[0:3], 0 offset:292
	buffer_load_dword v32, off, s[0:3], 0 offset:288
	buffer_load_dword v35, off, s[0:3], 0 offset:284
	buffer_load_dword v34, off, s[0:3], 0 offset:280
	buffer_load_dword v37, off, s[0:3], 0 offset:276
	buffer_load_dword v36, off, s[0:3], 0 offset:272
	buffer_load_dword v39, off, s[0:3], 0 offset:332
	buffer_load_dword v38, off, s[0:3], 0 offset:328
	buffer_load_dword v41, off, s[0:3], 0 offset:324
	buffer_load_dword v40, off, s[0:3], 0 offset:320
	buffer_load_dword v43, off, s[0:3], 0 offset:316
	buffer_load_dword v42, off, s[0:3], 0 offset:312
	buffer_load_dword v45, off, s[0:3], 0 offset:308
	buffer_load_dword v44, off, s[0:3], 0 offset:304
	v_mov_b32_e32 v2, 0
	ds_read2_b64 v[4:7], v2 offset0:65 offset1:66
	ds_read2_b64 v[8:11], v2 offset0:67 offset1:68
	ds_read2_b64 v[12:15], v2 offset0:69 offset1:70
	ds_read2_b64 v[16:19], v2 offset0:71 offset1:72
	ds_read2_b64 v[20:23], v2 offset0:73 offset1:74
	ds_read2_b64 v[24:27], v2 offset0:75 offset1:76
	v_cmp_lt_u32_e32 vcc, 21, v0
	s_waitcnt vmcnt(39) lgkmcnt(5)
	v_mul_f32_e32 v153, v4, v3
	s_waitcnt vmcnt(38)
	v_mul_f32_e32 v154, v6, v46
	v_mul_f32_e32 v3, v5, v3
	s_waitcnt vmcnt(37) lgkmcnt(4)
	v_mul_f32_e32 v155, v8, v48
	v_mul_f32_e32 v46, v7, v46
	s_waitcnt vmcnt(36)
	v_mul_f32_e32 v156, v10, v50
	s_waitcnt vmcnt(35) lgkmcnt(3)
	v_mul_f32_e32 v157, v12, v52
	s_waitcnt vmcnt(34)
	v_mul_f32_e32 v158, v14, v53
	s_waitcnt vmcnt(33) lgkmcnt(2)
	;; [unrolled: 4-line block ×3, first 2 shown]
	v_mul_f32_e32 v161, v20, v56
	s_waitcnt vmcnt(28)
	v_fmac_f32_e32 v153, v5, v51
	s_waitcnt vmcnt(27)
	v_fmac_f32_e32 v154, v7, v59
	v_fma_f32 v3, v4, v51, -v3
	v_add_f32_e32 v7, 0, v153
	s_waitcnt vmcnt(26)
	v_fmac_f32_e32 v155, v9, v60
	v_fma_f32 v4, v6, v59, -v46
	v_add_f32_e32 v3, 0, v3
	v_add_f32_e32 v7, v7, v154
	s_waitcnt vmcnt(25)
	v_fmac_f32_e32 v156, v11, v61
	v_add_f32_e32 v3, v3, v4
	v_add_f32_e32 v4, v7, v155
	s_waitcnt vmcnt(24)
	v_fmac_f32_e32 v157, v13, v62
	v_add_f32_e32 v4, v4, v156
	s_waitcnt vmcnt(23)
	v_fmac_f32_e32 v158, v15, v63
	;; [unrolled: 3-line block ×3, first 2 shown]
	v_add_f32_e32 v4, v4, v158
	v_mul_f32_e32 v48, v9, v48
	s_waitcnt vmcnt(21)
	v_fmac_f32_e32 v160, v19, v149
	v_add_f32_e32 v4, v4, v159
	v_mul_f32_e32 v50, v11, v50
	s_waitcnt vmcnt(20)
	v_fmac_f32_e32 v161, v21, v150
	v_fma_f32 v5, v8, v60, -v48
	v_add_f32_e32 v4, v4, v160
	v_fma_f32 v6, v10, v61, -v50
	v_add_f32_e32 v3, v3, v5
	v_add_f32_e32 v51, v4, v161
	v_mul_f32_e32 v4, v13, v52
	v_add_f32_e32 v3, v3, v6
	v_fma_f32 v4, v12, v62, -v4
	v_add_f32_e32 v3, v3, v4
	v_mul_f32_e32 v4, v15, v53
	v_fma_f32 v4, v14, v63, -v4
	v_add_f32_e32 v3, v3, v4
	v_mul_f32_e32 v4, v17, v54
	;; [unrolled: 3-line block ×4, first 2 shown]
	v_fma_f32 v4, v20, v150, -v4
	s_waitcnt vmcnt(9)
	v_mov_b32_e32 v20, v37
	v_mul_f32_e32 v47, v22, v57
	v_add_f32_e32 v50, v3, v4
	v_mul_f32_e32 v3, v23, v57
	s_waitcnt lgkmcnt(0)
	v_pk_mul_f32 v[20:21], v[26:27], v[20:21] op_sel_hi:[1,0]
	v_mul_f32_e32 v49, v24, v58
	v_fmac_f32_e32 v47, v23, v151
	v_fma_f32 v46, v22, v151, -v3
	v_mul_f32_e32 v3, v25, v58
	ds_read2_b64 v[4:7], v2 offset0:77 offset1:78
	ds_read2_b64 v[8:11], v2 offset0:79 offset1:80
	;; [unrolled: 1-line block ×3, first 2 shown]
	ds_read_b64 v[16:17], v2 offset:664
	s_waitcnt vmcnt(8)
	v_pk_fma_f32 v[22:23], v[26:27], v[36:37], v[20:21] op_sel:[0,0,1] op_sel_hi:[1,1,0] neg_lo:[0,0,1] neg_hi:[0,0,1]
	v_pk_fma_f32 v[20:21], v[26:27], v[36:37], v[20:21] op_sel:[0,0,1] op_sel_hi:[1,0,0]
	v_fmac_f32_e32 v49, v25, v152
	v_fma_f32 v48, v24, v152, -v3
	v_pk_add_f32 v[18:19], v[50:51], v[46:47]
	v_mov_b32_e32 v20, v35
	v_pk_add_f32 v[18:19], v[18:19], v[48:49]
	v_mov_b32_e32 v23, v21
	s_waitcnt lgkmcnt(3)
	v_pk_mul_f32 v[20:21], v[4:5], v[20:21] op_sel_hi:[1,0]
	v_pk_add_f32 v[18:19], v[18:19], v[22:23]
	v_pk_fma_f32 v[22:23], v[4:5], v[34:35], v[20:21] op_sel:[0,0,1] op_sel_hi:[1,1,0] neg_lo:[0,0,1] neg_hi:[0,0,1]
	v_pk_fma_f32 v[4:5], v[4:5], v[34:35], v[20:21] op_sel:[0,0,1] op_sel_hi:[1,0,0]
	v_mov_b32_e32 v23, v5
	v_pk_add_f32 v[4:5], v[18:19], v[22:23]
	v_mov_b32_e32 v18, v33
	v_pk_mul_f32 v[18:19], v[6:7], v[18:19] op_sel_hi:[1,0]
	v_pk_fma_f32 v[20:21], v[6:7], v[32:33], v[18:19] op_sel:[0,0,1] op_sel_hi:[1,1,0] neg_lo:[0,0,1] neg_hi:[0,0,1]
	v_pk_fma_f32 v[6:7], v[6:7], v[32:33], v[18:19] op_sel:[0,0,1] op_sel_hi:[1,0,0]
	v_mov_b32_e32 v6, v31
	v_mov_b32_e32 v21, v7
	s_waitcnt lgkmcnt(2)
	v_pk_mul_f32 v[6:7], v[8:9], v[6:7] op_sel_hi:[1,0]
	v_pk_fma_f32 v[18:19], v[8:9], v[30:31], v[6:7] op_sel:[0,0,1] op_sel_hi:[1,1,0] neg_lo:[0,0,1] neg_hi:[0,0,1]
	v_pk_fma_f32 v[6:7], v[8:9], v[30:31], v[6:7] op_sel:[0,0,1] op_sel_hi:[1,0,0]
	s_waitcnt vmcnt(1)
	v_mov_b32_e32 v6, v45
	v_mov_b32_e32 v19, v7
	v_pk_mul_f32 v[6:7], v[10:11], v[6:7] op_sel_hi:[1,0]
	s_waitcnt vmcnt(0)
	v_pk_fma_f32 v[8:9], v[10:11], v[44:45], v[6:7] op_sel:[0,0,1] op_sel_hi:[1,1,0] neg_lo:[0,0,1] neg_hi:[0,0,1]
	v_pk_fma_f32 v[6:7], v[10:11], v[44:45], v[6:7] op_sel:[0,0,1] op_sel_hi:[1,0,0]
	v_pk_add_f32 v[4:5], v[4:5], v[20:21]
	v_mov_b32_e32 v6, v43
	v_pk_add_f32 v[4:5], v[4:5], v[18:19]
	v_mov_b32_e32 v9, v7
	s_waitcnt lgkmcnt(1)
	v_pk_mul_f32 v[6:7], v[12:13], v[6:7] op_sel_hi:[1,0]
	v_pk_add_f32 v[4:5], v[4:5], v[8:9]
	v_pk_fma_f32 v[8:9], v[12:13], v[42:43], v[6:7] op_sel:[0,0,1] op_sel_hi:[1,1,0] neg_lo:[0,0,1] neg_hi:[0,0,1]
	v_pk_fma_f32 v[6:7], v[12:13], v[42:43], v[6:7] op_sel:[0,0,1] op_sel_hi:[1,0,0]
	v_mov_b32_e32 v6, v41
	v_mov_b32_e32 v9, v7
	v_pk_mul_f32 v[6:7], v[14:15], v[6:7] op_sel_hi:[1,0]
	v_pk_add_f32 v[4:5], v[4:5], v[8:9]
	v_pk_fma_f32 v[8:9], v[14:15], v[40:41], v[6:7] op_sel:[0,0,1] op_sel_hi:[1,1,0] neg_lo:[0,0,1] neg_hi:[0,0,1]
	v_pk_fma_f32 v[6:7], v[14:15], v[40:41], v[6:7] op_sel:[0,0,1] op_sel_hi:[1,0,0]
	v_mov_b32_e32 v6, v39
	v_mov_b32_e32 v9, v7
	s_waitcnt lgkmcnt(0)
	v_pk_mul_f32 v[6:7], v[16:17], v[6:7] op_sel_hi:[1,0]
	v_pk_add_f32 v[4:5], v[4:5], v[8:9]
	v_pk_fma_f32 v[8:9], v[16:17], v[38:39], v[6:7] op_sel:[0,0,1] op_sel_hi:[1,1,0] neg_lo:[0,0,1] neg_hi:[0,0,1]
	v_pk_fma_f32 v[6:7], v[16:17], v[38:39], v[6:7] op_sel:[0,0,1] op_sel_hi:[1,0,0]
	v_mov_b32_e32 v9, v7
	v_pk_add_f32 v[4:5], v[4:5], v[8:9]
	v_pk_add_f32 v[4:5], v[28:29], v[4:5] neg_lo:[0,1] neg_hi:[0,1]
	buffer_store_dword v5, off, s[0:3], 0 offset:180
	buffer_store_dword v4, off, s[0:3], 0 offset:176
	s_and_saveexec_b64 s[4:5], vcc
	s_cbranch_execz .LBB41_223
; %bb.222:
	buffer_load_dword v4, off, s[0:3], 0 offset:168
	buffer_load_dword v5, off, s[0:3], 0 offset:172
	s_waitcnt vmcnt(0)
	ds_write_b64 v1, v[4:5]
	buffer_store_dword v2, off, s[0:3], 0 offset:168
	buffer_store_dword v2, off, s[0:3], 0 offset:172
.LBB41_223:
	s_or_b64 exec, exec, s[4:5]
	s_waitcnt lgkmcnt(0)
	; wave barrier
	s_waitcnt lgkmcnt(0)
	buffer_load_dword v3, off, s[0:3], 0 offset:180
	buffer_load_dword v46, off, s[0:3], 0 offset:188
	;; [unrolled: 1-line block ×26, first 2 shown]
	ds_read_b128 v[4:7], v2 offset:512
	ds_read_b128 v[8:11], v2 offset:528
	;; [unrolled: 1-line block ×6, first 2 shown]
	buffer_load_dword v31, off, s[0:3], 0 offset:292
	buffer_load_dword v30, off, s[0:3], 0 offset:288
	;; [unrolled: 1-line block ×16, first 2 shown]
	v_cmp_lt_u32_e32 vcc, 20, v0
	s_waitcnt vmcnt(41) lgkmcnt(5)
	v_mul_f32_e32 v155, v4, v3
	s_waitcnt vmcnt(40)
	v_mul_f32_e32 v156, v6, v46
	v_mul_f32_e32 v3, v5, v3
	;; [unrolled: 1-line block ×3, first 2 shown]
	s_waitcnt vmcnt(39) lgkmcnt(4)
	v_mul_f32_e32 v157, v8, v48
	s_waitcnt vmcnt(38)
	v_mul_f32_e32 v158, v10, v50
	s_waitcnt vmcnt(37) lgkmcnt(3)
	v_mul_f32_e32 v159, v12, v52
	s_waitcnt vmcnt(36)
	v_mul_f32_e32 v160, v14, v53
	;; [unrolled: 4-line block ×4, first 2 shown]
	s_waitcnt vmcnt(29)
	v_fmac_f32_e32 v155, v5, v51
	s_waitcnt vmcnt(28)
	v_fmac_f32_e32 v156, v7, v60
	v_fma_f32 v3, v4, v51, -v3
	v_fma_f32 v4, v6, v60, -v46
	v_add_f32_e32 v6, 0, v155
	s_waitcnt vmcnt(27)
	v_fmac_f32_e32 v157, v9, v61
	v_add_f32_e32 v3, 0, v3
	v_add_f32_e32 v6, v6, v156
	s_waitcnt vmcnt(26)
	v_fmac_f32_e32 v158, v11, v62
	v_add_f32_e32 v3, v3, v4
	;; [unrolled: 4-line block ×3, first 2 shown]
	s_waitcnt vmcnt(24)
	v_fmac_f32_e32 v160, v15, v148
	v_add_f32_e32 v4, v4, v159
	s_waitcnt vmcnt(23)
	v_fmac_f32_e32 v161, v17, v149
	v_add_f32_e32 v4, v4, v160
	;; [unrolled: 3-line block ×4, first 2 shown]
	v_mul_f32_e32 v48, v9, v48
	s_waitcnt vmcnt(20)
	v_fmac_f32_e32 v164, v23, v152
	v_add_f32_e32 v4, v4, v163
	v_fma_f32 v5, v8, v61, -v48
	v_add_f32_e32 v51, v4, v164
	v_mul_f32_e32 v4, v11, v50
	v_add_f32_e32 v3, v3, v5
	v_fma_f32 v4, v10, v62, -v4
	v_add_f32_e32 v3, v3, v4
	v_mul_f32_e32 v4, v13, v52
	v_fma_f32 v4, v12, v63, -v4
	v_add_f32_e32 v3, v3, v4
	v_mul_f32_e32 v4, v15, v53
	;; [unrolled: 3-line block ×6, first 2 shown]
	v_fma_f32 v4, v22, v152, -v4
	v_add_f32_e32 v50, v3, v4
	ds_read_b128 v[4:7], v2 offset:608
	ds_read_b128 v[8:11], v2 offset:624
	;; [unrolled: 1-line block ×4, first 2 shown]
	s_waitcnt vmcnt(11)
	v_mov_b32_e32 v20, v35
	s_waitcnt lgkmcnt(3)
	v_pk_mul_f32 v[20:21], v[4:5], v[20:21] op_sel_hi:[1,0]
	s_waitcnt vmcnt(10)
	v_pk_fma_f32 v[22:23], v[4:5], v[34:35], v[20:21] op_sel:[0,0,1] op_sel_hi:[1,1,0] neg_lo:[0,0,1] neg_hi:[0,0,1]
	v_pk_fma_f32 v[4:5], v[4:5], v[34:35], v[20:21] op_sel:[0,0,1] op_sel_hi:[1,0,0]
	v_mov_b32_e32 v4, v33
	v_mov_b32_e32 v23, v5
	v_pk_mul_f32 v[4:5], v[6:7], v[4:5] op_sel_hi:[1,0]
	v_mul_f32_e32 v47, v24, v58
	v_mul_f32_e32 v3, v25, v58
	v_pk_fma_f32 v[20:21], v[6:7], v[32:33], v[4:5] op_sel:[0,0,1] op_sel_hi:[1,1,0] neg_lo:[0,0,1] neg_hi:[0,0,1]
	v_pk_fma_f32 v[4:5], v[6:7], v[32:33], v[4:5] op_sel:[0,0,1] op_sel_hi:[1,0,0]
	v_mul_f32_e32 v49, v26, v59
	v_fmac_f32_e32 v47, v25, v153
	v_fma_f32 v46, v24, v153, -v3
	v_mul_f32_e32 v3, v27, v59
	v_mov_b32_e32 v4, v31
	v_fmac_f32_e32 v49, v27, v154
	v_fma_f32 v48, v26, v154, -v3
	v_pk_add_f32 v[2:3], v[50:51], v[46:47]
	v_mov_b32_e32 v21, v5
	s_waitcnt lgkmcnt(2)
	v_pk_mul_f32 v[4:5], v[8:9], v[4:5] op_sel_hi:[1,0]
	v_pk_add_f32 v[2:3], v[2:3], v[48:49]
	v_pk_fma_f32 v[6:7], v[8:9], v[30:31], v[4:5] op_sel:[0,0,1] op_sel_hi:[1,1,0] neg_lo:[0,0,1] neg_hi:[0,0,1]
	v_pk_fma_f32 v[4:5], v[8:9], v[30:31], v[4:5] op_sel:[0,0,1] op_sel_hi:[1,0,0]
	v_pk_add_f32 v[2:3], v[2:3], v[22:23]
	s_waitcnt vmcnt(3)
	v_mov_b32_e32 v4, v43
	v_pk_add_f32 v[2:3], v[2:3], v[20:21]
	v_mov_b32_e32 v7, v5
	v_pk_mul_f32 v[4:5], v[10:11], v[4:5] op_sel_hi:[1,0]
	v_pk_add_f32 v[2:3], v[2:3], v[6:7]
	s_waitcnt vmcnt(2)
	v_pk_fma_f32 v[6:7], v[10:11], v[42:43], v[4:5] op_sel:[0,0,1] op_sel_hi:[1,1,0] neg_lo:[0,0,1] neg_hi:[0,0,1]
	v_pk_fma_f32 v[4:5], v[10:11], v[42:43], v[4:5] op_sel:[0,0,1] op_sel_hi:[1,0,0]
	v_mov_b32_e32 v4, v41
	v_mov_b32_e32 v7, v5
	s_waitcnt lgkmcnt(1)
	v_pk_mul_f32 v[4:5], v[12:13], v[4:5] op_sel_hi:[1,0]
	v_pk_add_f32 v[2:3], v[2:3], v[6:7]
	v_pk_fma_f32 v[6:7], v[12:13], v[40:41], v[4:5] op_sel:[0,0,1] op_sel_hi:[1,1,0] neg_lo:[0,0,1] neg_hi:[0,0,1]
	v_pk_fma_f32 v[4:5], v[12:13], v[40:41], v[4:5] op_sel:[0,0,1] op_sel_hi:[1,0,0]
	v_mov_b32_e32 v4, v39
	v_mov_b32_e32 v7, v5
	v_pk_mul_f32 v[4:5], v[14:15], v[4:5] op_sel_hi:[1,0]
	v_pk_add_f32 v[2:3], v[2:3], v[6:7]
	v_pk_fma_f32 v[6:7], v[14:15], v[38:39], v[4:5] op_sel:[0,0,1] op_sel_hi:[1,1,0] neg_lo:[0,0,1] neg_hi:[0,0,1]
	v_pk_fma_f32 v[4:5], v[14:15], v[38:39], v[4:5] op_sel:[0,0,1] op_sel_hi:[1,0,0]
	v_mov_b32_e32 v4, v37
	v_mov_b32_e32 v7, v5
	s_waitcnt lgkmcnt(0)
	v_pk_mul_f32 v[4:5], v[16:17], v[4:5] op_sel_hi:[1,0]
	v_pk_add_f32 v[2:3], v[2:3], v[6:7]
	v_pk_fma_f32 v[6:7], v[16:17], v[36:37], v[4:5] op_sel:[0,0,1] op_sel_hi:[1,1,0] neg_lo:[0,0,1] neg_hi:[0,0,1]
	v_pk_fma_f32 v[4:5], v[16:17], v[36:37], v[4:5] op_sel:[0,0,1] op_sel_hi:[1,0,0]
	s_waitcnt vmcnt(1)
	v_mov_b32_e32 v4, v45
	v_mov_b32_e32 v7, v5
	v_pk_mul_f32 v[4:5], v[18:19], v[4:5] op_sel_hi:[1,0]
	v_pk_add_f32 v[2:3], v[2:3], v[6:7]
	s_waitcnt vmcnt(0)
	v_pk_fma_f32 v[6:7], v[18:19], v[44:45], v[4:5] op_sel:[0,0,1] op_sel_hi:[1,1,0] neg_lo:[0,0,1] neg_hi:[0,0,1]
	v_pk_fma_f32 v[4:5], v[18:19], v[44:45], v[4:5] op_sel:[0,0,1] op_sel_hi:[1,0,0]
	v_mov_b32_e32 v7, v5
	v_pk_add_f32 v[2:3], v[2:3], v[6:7]
	v_pk_add_f32 v[2:3], v[28:29], v[2:3] neg_lo:[0,1] neg_hi:[0,1]
	buffer_store_dword v3, off, s[0:3], 0 offset:172
	buffer_store_dword v2, off, s[0:3], 0 offset:168
	s_and_saveexec_b64 s[4:5], vcc
	s_cbranch_execz .LBB41_225
; %bb.224:
	buffer_load_dword v2, off, s[0:3], 0 offset:160
	buffer_load_dword v3, off, s[0:3], 0 offset:164
	v_mov_b32_e32 v4, 0
	buffer_store_dword v4, off, s[0:3], 0 offset:160
	buffer_store_dword v4, off, s[0:3], 0 offset:164
	s_waitcnt vmcnt(2)
	ds_write_b64 v1, v[2:3]
.LBB41_225:
	s_or_b64 exec, exec, s[4:5]
	v_mov_b32_e32 v12, 0
	s_waitcnt lgkmcnt(0)
	; wave barrier
	s_waitcnt lgkmcnt(0)
	ds_read2_b64 v[14:17], v12 offset0:63 offset1:64
	buffer_load_dword v6, off, s[0:3], 0 offset:160
	buffer_load_dword v7, off, s[0:3], 0 offset:164
	buffer_load_dword v8, off, s[0:3], 0 offset:168
	buffer_load_dword v10, off, s[0:3], 0 offset:172
	buffer_load_dword v13, off, s[0:3], 0 offset:176
	buffer_load_dword v38, off, s[0:3], 0 offset:180
	buffer_load_dword v56, off, s[0:3], 0 offset:184
	buffer_load_dword v57, off, s[0:3], 0 offset:188
	buffer_load_dword v58, off, s[0:3], 0 offset:192
	buffer_load_dword v59, off, s[0:3], 0 offset:196
	buffer_load_dword v60, off, s[0:3], 0 offset:200
	buffer_load_dword v61, off, s[0:3], 0 offset:204
	buffer_load_dword v62, off, s[0:3], 0 offset:208
	buffer_load_dword v63, off, s[0:3], 0 offset:212
	buffer_load_dword v148, off, s[0:3], 0 offset:216
	buffer_load_dword v149, off, s[0:3], 0 offset:220
	ds_read2_b64 v[18:21], v12 offset0:65 offset1:66
	ds_read2_b64 v[22:25], v12 offset0:67 offset1:68
	;; [unrolled: 1-line block ×3, first 2 shown]
	buffer_load_dword v150, off, s[0:3], 0 offset:224
	buffer_load_dword v151, off, s[0:3], 0 offset:228
	ds_read2_b64 v[30:33], v12 offset0:71 offset1:72
	buffer_load_dword v152, off, s[0:3], 0 offset:232
	buffer_load_dword v153, off, s[0:3], 0 offset:236
	;; [unrolled: 1-line block ×4, first 2 shown]
	ds_read2_b64 v[34:37], v12 offset0:73 offset1:74
	buffer_load_dword v156, off, s[0:3], 0 offset:248
	buffer_load_dword v157, off, s[0:3], 0 offset:252
	;; [unrolled: 1-line block ×4, first 2 shown]
	v_cmp_lt_u32_e32 vcc, 19, v0
	s_waitcnt vmcnt(22) lgkmcnt(5)
	v_mul_f32_e32 v2, v14, v10
	v_fmac_f32_e32 v2, v15, v8
	s_waitcnt vmcnt(20)
	v_mul_f32_e32 v3, v16, v38
	v_add_f32_e32 v2, 0, v2
	v_fmac_f32_e32 v3, v17, v13
	v_add_f32_e32 v2, v2, v3
	s_waitcnt vmcnt(18) lgkmcnt(4)
	v_mul_f32_e32 v3, v18, v57
	v_fmac_f32_e32 v3, v19, v56
	v_add_f32_e32 v2, v2, v3
	s_waitcnt vmcnt(16)
	v_mul_f32_e32 v3, v20, v59
	v_fmac_f32_e32 v3, v21, v58
	v_add_f32_e32 v2, v2, v3
	s_waitcnt vmcnt(14) lgkmcnt(3)
	v_mul_f32_e32 v3, v22, v61
	v_fmac_f32_e32 v3, v23, v60
	v_add_f32_e32 v2, v2, v3
	s_waitcnt vmcnt(12)
	v_mul_f32_e32 v3, v24, v63
	;; [unrolled: 8-line block ×4, first 2 shown]
	v_fmac_f32_e32 v3, v33, v154
	v_add_f32_e32 v2, v2, v3
	s_waitcnt vmcnt(2) lgkmcnt(0)
	v_mul_f32_e32 v3, v34, v157
	v_fmac_f32_e32 v3, v35, v156
	v_add_f32_e32 v9, v2, v3
	ds_read2_b64 v[2:5], v12 offset0:75 offset1:76
	buffer_load_dword v160, off, s[0:3], 0 offset:264
	buffer_load_dword v161, off, s[0:3], 0 offset:268
	;; [unrolled: 1-line block ×18, first 2 shown]
	v_mul_f32_e32 v10, v15, v10
	v_fma_f32 v8, v14, v8, -v10
	v_mul_f32_e32 v10, v17, v38
	v_add_f32_e32 v8, 0, v8
	v_fma_f32 v10, v16, v13, -v10
	v_add_f32_e32 v8, v8, v10
	v_mul_f32_e32 v10, v19, v57
	v_fma_f32 v10, v18, v56, -v10
	v_add_f32_e32 v8, v8, v10
	v_mul_f32_e32 v10, v21, v59
	;; [unrolled: 3-line block ×9, first 2 shown]
	v_fma_f32 v10, v34, v156, -v10
	s_waitcnt vmcnt(18)
	v_mul_f32_e32 v11, v36, v159
	v_add_f32_e32 v8, v8, v10
	v_mul_f32_e32 v10, v37, v159
	v_fmac_f32_e32 v11, v37, v158
	v_fma_f32 v10, v36, v158, -v10
	v_pk_add_f32 v[8:9], v[8:9], v[10:11]
	s_waitcnt vmcnt(15)
	v_mov_b32_e32 v10, v41
	s_waitcnt lgkmcnt(0)
	v_pk_mul_f32 v[10:11], v[4:5], v[10:11] op_sel_hi:[1,0]
	s_waitcnt vmcnt(14)
	v_pk_fma_f32 v[26:27], v[4:5], v[40:41], v[10:11] op_sel:[0,0,1] op_sel_hi:[1,1,0] neg_lo:[0,0,1] neg_hi:[0,0,1]
	v_pk_fma_f32 v[4:5], v[4:5], v[40:41], v[10:11] op_sel:[0,0,1] op_sel_hi:[1,0,0]
	v_mov_b32_e32 v27, v5
	v_mul_f32_e32 v39, v2, v161
	v_fmac_f32_e32 v39, v3, v160
	v_mul_f32_e32 v3, v3, v161
	v_fma_f32 v38, v2, v160, -v3
	ds_read2_b64 v[14:17], v12 offset0:77 offset1:78
	ds_read2_b64 v[18:21], v12 offset0:79 offset1:80
	;; [unrolled: 1-line block ×3, first 2 shown]
	ds_read_b64 v[2:3], v12 offset:664
	v_pk_add_f32 v[8:9], v[8:9], v[38:39]
	v_pk_add_f32 v[4:5], v[8:9], v[26:27]
	s_waitcnt vmcnt(13)
	v_mov_b32_e32 v8, v43
	s_waitcnt lgkmcnt(3)
	v_pk_mul_f32 v[8:9], v[14:15], v[8:9] op_sel_hi:[1,0]
	s_waitcnt vmcnt(12)
	v_pk_fma_f32 v[10:11], v[14:15], v[42:43], v[8:9] op_sel:[0,0,1] op_sel_hi:[1,1,0] neg_lo:[0,0,1] neg_hi:[0,0,1]
	v_pk_fma_f32 v[8:9], v[14:15], v[42:43], v[8:9] op_sel:[0,0,1] op_sel_hi:[1,0,0]
	s_waitcnt vmcnt(11)
	v_mov_b32_e32 v8, v45
	v_mov_b32_e32 v11, v9
	v_pk_mul_f32 v[8:9], v[16:17], v[8:9] op_sel_hi:[1,0]
	v_pk_add_f32 v[4:5], v[4:5], v[10:11]
	s_waitcnt vmcnt(10)
	v_pk_fma_f32 v[10:11], v[16:17], v[44:45], v[8:9] op_sel:[0,0,1] op_sel_hi:[1,1,0] neg_lo:[0,0,1] neg_hi:[0,0,1]
	v_pk_fma_f32 v[8:9], v[16:17], v[44:45], v[8:9] op_sel:[0,0,1] op_sel_hi:[1,0,0]
	s_waitcnt vmcnt(9)
	v_mov_b32_e32 v8, v47
	v_mov_b32_e32 v11, v9
	s_waitcnt lgkmcnt(2)
	v_pk_mul_f32 v[8:9], v[18:19], v[8:9] op_sel_hi:[1,0]
	v_pk_add_f32 v[4:5], v[4:5], v[10:11]
	s_waitcnt vmcnt(8)
	v_pk_fma_f32 v[10:11], v[18:19], v[46:47], v[8:9] op_sel:[0,0,1] op_sel_hi:[1,1,0] neg_lo:[0,0,1] neg_hi:[0,0,1]
	v_pk_fma_f32 v[8:9], v[18:19], v[46:47], v[8:9] op_sel:[0,0,1] op_sel_hi:[1,0,0]
	s_waitcnt vmcnt(7)
	v_mov_b32_e32 v8, v49
	v_mov_b32_e32 v11, v9
	v_pk_mul_f32 v[8:9], v[20:21], v[8:9] op_sel_hi:[1,0]
	v_pk_add_f32 v[4:5], v[4:5], v[10:11]
	s_waitcnt vmcnt(6)
	v_pk_fma_f32 v[10:11], v[20:21], v[48:49], v[8:9] op_sel:[0,0,1] op_sel_hi:[1,1,0] neg_lo:[0,0,1] neg_hi:[0,0,1]
	v_pk_fma_f32 v[8:9], v[20:21], v[48:49], v[8:9] op_sel:[0,0,1] op_sel_hi:[1,0,0]
	s_waitcnt vmcnt(5)
	v_mov_b32_e32 v8, v51
	v_mov_b32_e32 v11, v9
	s_waitcnt lgkmcnt(1)
	v_pk_mul_f32 v[8:9], v[22:23], v[8:9] op_sel_hi:[1,0]
	v_pk_add_f32 v[4:5], v[4:5], v[10:11]
	s_waitcnt vmcnt(4)
	v_pk_fma_f32 v[10:11], v[22:23], v[50:51], v[8:9] op_sel:[0,0,1] op_sel_hi:[1,1,0] neg_lo:[0,0,1] neg_hi:[0,0,1]
	v_pk_fma_f32 v[8:9], v[22:23], v[50:51], v[8:9] op_sel:[0,0,1] op_sel_hi:[1,0,0]
	s_waitcnt vmcnt(3)
	v_mov_b32_e32 v8, v53
	v_mov_b32_e32 v11, v9
	v_pk_mul_f32 v[8:9], v[24:25], v[8:9] op_sel_hi:[1,0]
	v_pk_add_f32 v[4:5], v[4:5], v[10:11]
	s_waitcnt vmcnt(2)
	v_pk_fma_f32 v[10:11], v[24:25], v[52:53], v[8:9] op_sel:[0,0,1] op_sel_hi:[1,1,0] neg_lo:[0,0,1] neg_hi:[0,0,1]
	v_pk_fma_f32 v[8:9], v[24:25], v[52:53], v[8:9] op_sel:[0,0,1] op_sel_hi:[1,0,0]
	s_waitcnt vmcnt(1)
	v_mov_b32_e32 v8, v55
	v_mov_b32_e32 v11, v9
	s_waitcnt lgkmcnt(0)
	v_pk_mul_f32 v[8:9], v[2:3], v[8:9] op_sel_hi:[1,0]
	v_pk_add_f32 v[4:5], v[4:5], v[10:11]
	s_waitcnt vmcnt(0)
	v_pk_fma_f32 v[10:11], v[2:3], v[54:55], v[8:9] op_sel:[0,0,1] op_sel_hi:[1,1,0] neg_lo:[0,0,1] neg_hi:[0,0,1]
	v_pk_fma_f32 v[2:3], v[2:3], v[54:55], v[8:9] op_sel:[0,0,1] op_sel_hi:[1,0,0]
	v_mov_b32_e32 v11, v3
	v_pk_add_f32 v[2:3], v[4:5], v[10:11]
	v_pk_add_f32 v[2:3], v[6:7], v[2:3] neg_lo:[0,1] neg_hi:[0,1]
	buffer_store_dword v3, off, s[0:3], 0 offset:164
	buffer_store_dword v2, off, s[0:3], 0 offset:160
	s_and_saveexec_b64 s[4:5], vcc
	s_cbranch_execz .LBB41_227
; %bb.226:
	buffer_load_dword v2, off, s[0:3], 0 offset:152
	buffer_load_dword v3, off, s[0:3], 0 offset:156
	s_waitcnt vmcnt(0)
	ds_write_b64 v1, v[2:3]
	buffer_store_dword v12, off, s[0:3], 0 offset:152
	buffer_store_dword v12, off, s[0:3], 0 offset:156
.LBB41_227:
	s_or_b64 exec, exec, s[4:5]
	s_waitcnt lgkmcnt(0)
	; wave barrier
	s_waitcnt lgkmcnt(0)
	buffer_load_dword v10, off, s[0:3], 0 offset:164
	buffer_load_dword v11, off, s[0:3], 0 offset:172
	;; [unrolled: 1-line block ×30, first 2 shown]
	ds_read_b128 v[2:5], v12 offset:496
	ds_read_b128 v[6:9], v12 offset:512
	ds_read_b128 v[14:17], v12 offset:528
	ds_read_b128 v[18:21], v12 offset:544
	ds_read_b128 v[22:25], v12 offset:560
	ds_read_b128 v[26:29], v12 offset:576
	buffer_load_dword v41, off, s[0:3], 0 offset:276
	buffer_load_dword v40, off, s[0:3], 0 offset:272
	ds_read_b128 v[30:33], v12 offset:592
	ds_read_b128 v[34:37], v12 offset:608
	buffer_load_dword v43, off, s[0:3], 0 offset:308
	buffer_load_dword v42, off, s[0:3], 0 offset:304
	;; [unrolled: 1-line block ×14, first 2 shown]
	v_cmp_lt_u32_e32 vcc, 18, v0
	s_waitcnt vmcnt(45) lgkmcnt(7)
	v_mul_f32_e32 v59, v2, v10
	s_waitcnt vmcnt(44)
	v_mul_f32_e32 v61, v4, v11
	s_waitcnt vmcnt(43) lgkmcnt(6)
	v_mul_f32_e32 v168, v6, v13
	s_waitcnt vmcnt(42)
	v_mul_f32_e32 v169, v8, v56
	;; [unrolled: 4-line block ×6, first 2 shown]
	s_waitcnt vmcnt(33) lgkmcnt(1)
	v_mul_f32_e32 v57, v30, v152
	s_waitcnt vmcnt(32)
	v_fmac_f32_e32 v59, v3, v153
	v_mul_f32_e32 v3, v3, v10
	v_fma_f32 v2, v2, v153, -v3
	v_mul_f32_e32 v3, v5, v11
	v_add_f32_e32 v2, 0, v2
	s_waitcnt vmcnt(31)
	v_fma_f32 v3, v4, v154, -v3
	v_add_f32_e32 v2, v2, v3
	v_mul_f32_e32 v3, v7, v13
	s_waitcnt vmcnt(30)
	v_fma_f32 v3, v6, v155, -v3
	v_add_f32_e32 v2, v2, v3
	v_mul_f32_e32 v3, v9, v56
	s_waitcnt vmcnt(29)
	v_fma_f32 v3, v8, v156, -v3
	v_add_f32_e32 v2, v2, v3
	v_mul_f32_e32 v3, v15, v58
	s_waitcnt vmcnt(28)
	v_fma_f32 v3, v14, v157, -v3
	v_add_f32_e32 v2, v2, v3
	v_mul_f32_e32 v3, v17, v60
	s_waitcnt vmcnt(27)
	v_fma_f32 v3, v16, v158, -v3
	v_add_f32_e32 v2, v2, v3
	v_mul_f32_e32 v3, v19, v62
	s_waitcnt vmcnt(26)
	v_fma_f32 v3, v18, v159, -v3
	v_fmac_f32_e32 v61, v5, v154
	v_add_f32_e32 v59, 0, v59
	v_add_f32_e32 v2, v2, v3
	v_mul_f32_e32 v3, v21, v63
	v_fmac_f32_e32 v168, v7, v155
	v_add_f32_e32 v59, v59, v61
	s_waitcnt vmcnt(25)
	v_fma_f32 v3, v20, v160, -v3
	v_fmac_f32_e32 v169, v9, v156
	v_add_f32_e32 v59, v59, v168
	v_add_f32_e32 v2, v2, v3
	v_mul_f32_e32 v3, v23, v148
	v_fmac_f32_e32 v170, v15, v157
	v_add_f32_e32 v59, v59, v169
	;; [unrolled: 8-line block ×5, first 2 shown]
	s_waitcnt vmcnt(21)
	v_fma_f32 v3, v28, v164, -v3
	s_waitcnt vmcnt(15)
	v_mov_b32_e32 v16, v41
	v_fmac_f32_e32 v177, v29, v164
	v_add_f32_e32 v59, v59, v176
	v_add_f32_e32 v58, v2, v3
	v_mul_f32_e32 v2, v31, v152
	s_waitcnt lgkmcnt(0)
	v_pk_mul_f32 v[16:17], v[34:35], v[16:17] op_sel_hi:[1,0]
	v_fmac_f32_e32 v57, v31, v165
	v_add_f32_e32 v59, v59, v177
	v_mul_f32_e32 v61, v32, v166
	v_fma_f32 v56, v30, v165, -v2
	v_mul_f32_e32 v2, v33, v166
	s_waitcnt vmcnt(14)
	v_pk_fma_f32 v[18:19], v[34:35], v[40:41], v[16:17] op_sel:[0,0,1] op_sel_hi:[1,1,0] neg_lo:[0,0,1] neg_hi:[0,0,1]
	v_pk_fma_f32 v[16:17], v[34:35], v[40:41], v[16:17] op_sel:[0,0,1] op_sel_hi:[1,0,0]
	v_fmac_f32_e32 v61, v33, v167
	v_fma_f32 v60, v32, v167, -v2
	v_pk_add_f32 v[14:15], v[58:59], v[56:57]
	s_waitcnt vmcnt(7)
	v_mov_b32_e32 v16, v49
	ds_read_b128 v[2:5], v12 offset:624
	ds_read_b128 v[6:9], v12 offset:640
	;; [unrolled: 1-line block ×3, first 2 shown]
	v_pk_add_f32 v[14:15], v[14:15], v[60:61]
	v_mov_b32_e32 v19, v17
	v_pk_mul_f32 v[16:17], v[36:37], v[16:17] op_sel_hi:[1,0]
	v_pk_add_f32 v[14:15], v[14:15], v[18:19]
	s_waitcnt vmcnt(6)
	v_pk_fma_f32 v[18:19], v[36:37], v[48:49], v[16:17] op_sel:[0,0,1] op_sel_hi:[1,1,0] neg_lo:[0,0,1] neg_hi:[0,0,1]
	v_pk_fma_f32 v[16:17], v[36:37], v[48:49], v[16:17] op_sel:[0,0,1] op_sel_hi:[1,0,0]
	v_mov_b32_e32 v16, v47
	v_mov_b32_e32 v19, v17
	s_waitcnt lgkmcnt(2)
	v_pk_mul_f32 v[16:17], v[2:3], v[16:17] op_sel_hi:[1,0]
	v_pk_add_f32 v[14:15], v[14:15], v[18:19]
	v_pk_fma_f32 v[18:19], v[2:3], v[46:47], v[16:17] op_sel:[0,0,1] op_sel_hi:[1,1,0] neg_lo:[0,0,1] neg_hi:[0,0,1]
	v_pk_fma_f32 v[2:3], v[2:3], v[46:47], v[16:17] op_sel:[0,0,1] op_sel_hi:[1,0,0]
	v_mov_b32_e32 v19, v3
	v_pk_add_f32 v[2:3], v[14:15], v[18:19]
	v_mov_b32_e32 v14, v45
	v_pk_mul_f32 v[14:15], v[4:5], v[14:15] op_sel_hi:[1,0]
	v_pk_fma_f32 v[16:17], v[4:5], v[44:45], v[14:15] op_sel:[0,0,1] op_sel_hi:[1,1,0] neg_lo:[0,0,1] neg_hi:[0,0,1]
	v_pk_fma_f32 v[4:5], v[4:5], v[44:45], v[14:15] op_sel:[0,0,1] op_sel_hi:[1,0,0]
	v_mov_b32_e32 v4, v43
	v_mov_b32_e32 v17, v5
	s_waitcnt lgkmcnt(1)
	v_pk_mul_f32 v[4:5], v[6:7], v[4:5] op_sel_hi:[1,0]
	v_pk_fma_f32 v[14:15], v[6:7], v[42:43], v[4:5] op_sel:[0,0,1] op_sel_hi:[1,1,0] neg_lo:[0,0,1] neg_hi:[0,0,1]
	v_pk_fma_f32 v[4:5], v[6:7], v[42:43], v[4:5] op_sel:[0,0,1] op_sel_hi:[1,0,0]
	s_waitcnt vmcnt(1)
	v_mov_b32_e32 v4, v55
	v_mov_b32_e32 v15, v5
	v_pk_mul_f32 v[4:5], v[8:9], v[4:5] op_sel_hi:[1,0]
	s_waitcnt vmcnt(0)
	v_pk_fma_f32 v[6:7], v[8:9], v[54:55], v[4:5] op_sel:[0,0,1] op_sel_hi:[1,1,0] neg_lo:[0,0,1] neg_hi:[0,0,1]
	v_pk_fma_f32 v[4:5], v[8:9], v[54:55], v[4:5] op_sel:[0,0,1] op_sel_hi:[1,0,0]
	v_pk_add_f32 v[2:3], v[2:3], v[16:17]
	v_mov_b32_e32 v4, v53
	v_pk_add_f32 v[2:3], v[2:3], v[14:15]
	v_mov_b32_e32 v7, v5
	s_waitcnt lgkmcnt(0)
	v_pk_mul_f32 v[4:5], v[10:11], v[4:5] op_sel_hi:[1,0]
	v_pk_add_f32 v[2:3], v[2:3], v[6:7]
	v_pk_fma_f32 v[6:7], v[10:11], v[52:53], v[4:5] op_sel:[0,0,1] op_sel_hi:[1,1,0] neg_lo:[0,0,1] neg_hi:[0,0,1]
	v_pk_fma_f32 v[4:5], v[10:11], v[52:53], v[4:5] op_sel:[0,0,1] op_sel_hi:[1,0,0]
	v_mov_b32_e32 v4, v51
	v_mov_b32_e32 v7, v5
	v_pk_mul_f32 v[4:5], v[12:13], v[4:5] op_sel_hi:[1,0]
	v_pk_add_f32 v[2:3], v[2:3], v[6:7]
	v_pk_fma_f32 v[6:7], v[12:13], v[50:51], v[4:5] op_sel:[0,0,1] op_sel_hi:[1,1,0] neg_lo:[0,0,1] neg_hi:[0,0,1]
	v_pk_fma_f32 v[4:5], v[12:13], v[50:51], v[4:5] op_sel:[0,0,1] op_sel_hi:[1,0,0]
	v_mov_b32_e32 v7, v5
	v_pk_add_f32 v[2:3], v[2:3], v[6:7]
	v_pk_add_f32 v[2:3], v[38:39], v[2:3] neg_lo:[0,1] neg_hi:[0,1]
	buffer_store_dword v3, off, s[0:3], 0 offset:156
	buffer_store_dword v2, off, s[0:3], 0 offset:152
	s_and_saveexec_b64 s[4:5], vcc
	s_cbranch_execz .LBB41_229
; %bb.228:
	buffer_load_dword v2, off, s[0:3], 0 offset:144
	buffer_load_dword v3, off, s[0:3], 0 offset:148
	v_mov_b32_e32 v4, 0
	buffer_store_dword v4, off, s[0:3], 0 offset:144
	buffer_store_dword v4, off, s[0:3], 0 offset:148
	s_waitcnt vmcnt(2)
	ds_write_b64 v1, v[2:3]
.LBB41_229:
	s_or_b64 exec, exec, s[4:5]
	s_waitcnt lgkmcnt(0)
	; wave barrier
	s_waitcnt lgkmcnt(0)
	buffer_load_dword v3, off, s[0:3], 0 offset:156
	buffer_load_dword v52, off, s[0:3], 0 offset:164
	;; [unrolled: 1-line block ×32, first 2 shown]
	v_mov_b32_e32 v2, 0
	buffer_load_dword v39, off, s[0:3], 0 offset:300
	buffer_load_dword v38, off, s[0:3], 0 offset:296
	;; [unrolled: 1-line block ×13, first 2 shown]
	ds_read2_b64 v[4:7], v2 offset0:61 offset1:62
	ds_read2_b64 v[8:11], v2 offset0:63 offset1:64
	ds_read2_b64 v[12:15], v2 offset0:65 offset1:66
	ds_read2_b64 v[16:19], v2 offset0:67 offset1:68
	ds_read2_b64 v[20:23], v2 offset0:69 offset1:70
	ds_read2_b64 v[24:27], v2 offset0:71 offset1:72
	ds_read2_b64 v[28:31], v2 offset0:73 offset1:74
	ds_read2_b64 v[32:35], v2 offset0:75 offset1:76
	v_cmp_lt_u32_e32 vcc, 17, v0
	s_waitcnt vmcnt(44) lgkmcnt(7)
	v_mul_f32_e32 v46, v4, v3
	s_waitcnt vmcnt(43)
	v_mul_f32_e32 v53, v6, v52
	s_waitcnt vmcnt(42) lgkmcnt(6)
	v_mul_f32_e32 v54, v8, v56
	s_waitcnt vmcnt(41)
	v_mul_f32_e32 v55, v10, v58
	s_waitcnt vmcnt(40) lgkmcnt(5)
	v_mul_f32_e32 v57, v12, v60
	s_waitcnt vmcnt(39)
	v_mul_f32_e32 v59, v14, v61
	s_waitcnt vmcnt(38) lgkmcnt(4)
	v_mul_f32_e32 v170, v16, v62
	s_waitcnt vmcnt(37)
	v_mul_f32_e32 v171, v18, v63
	s_waitcnt vmcnt(36) lgkmcnt(3)
	v_mul_f32_e32 v172, v20, v148
	s_waitcnt vmcnt(35)
	v_mul_f32_e32 v173, v22, v149
	s_waitcnt vmcnt(34) lgkmcnt(2)
	v_mul_f32_e32 v174, v24, v150
	s_waitcnt vmcnt(33)
	v_mul_f32_e32 v175, v26, v151
	s_waitcnt vmcnt(32) lgkmcnt(1)
	v_mul_f32_e32 v176, v28, v152
	s_waitcnt vmcnt(31)
	v_fmac_f32_e32 v46, v5, v153
	s_waitcnt vmcnt(30)
	v_fmac_f32_e32 v53, v7, v154
	v_add_f32_e32 v46, 0, v46
	s_waitcnt vmcnt(29)
	v_fmac_f32_e32 v54, v9, v155
	v_add_f32_e32 v46, v46, v53
	;; [unrolled: 3-line block ×12, first 2 shown]
	v_add_f32_e32 v53, v46, v176
	buffer_load_dword v55, off, s[0:3], 0 offset:316
	buffer_load_dword v54, off, s[0:3], 0 offset:312
	;; [unrolled: 1-line block ×3, first 2 shown]
	v_mul_f32_e32 v3, v5, v3
	v_fma_f32 v3, v4, v153, -v3
	v_mul_f32_e32 v4, v7, v52
	v_add_f32_e32 v3, 0, v3
	v_fma_f32 v4, v6, v154, -v4
	v_add_f32_e32 v3, v3, v4
	v_mul_f32_e32 v4, v9, v56
	v_fma_f32 v4, v8, v155, -v4
	v_add_f32_e32 v3, v3, v4
	v_mul_f32_e32 v4, v11, v58
	;; [unrolled: 3-line block ×11, first 2 shown]
	v_fma_f32 v4, v28, v165, -v4
	s_waitcnt vmcnt(9)
	v_mov_b32_e32 v20, v45
	v_mul_f32_e32 v57, v30, v166
	v_add_f32_e32 v52, v3, v4
	v_mul_f32_e32 v3, v31, v166
	s_waitcnt lgkmcnt(0)
	v_pk_mul_f32 v[20:21], v[34:35], v[20:21] op_sel_hi:[1,0]
	v_fmac_f32_e32 v57, v31, v167
	v_mul_f32_e32 v59, v32, v168
	v_fma_f32 v56, v30, v167, -v3
	v_mul_f32_e32 v3, v33, v168
	ds_read2_b64 v[4:7], v2 offset0:77 offset1:78
	ds_read2_b64 v[8:11], v2 offset0:79 offset1:80
	;; [unrolled: 1-line block ×3, first 2 shown]
	ds_read_b64 v[16:17], v2 offset:664
	s_waitcnt vmcnt(8)
	v_pk_fma_f32 v[22:23], v[34:35], v[44:45], v[20:21] op_sel:[0,0,1] op_sel_hi:[1,1,0] neg_lo:[0,0,1] neg_hi:[0,0,1]
	v_pk_fma_f32 v[20:21], v[34:35], v[44:45], v[20:21] op_sel:[0,0,1] op_sel_hi:[1,0,0]
	v_fmac_f32_e32 v59, v33, v169
	v_fma_f32 v58, v32, v169, -v3
	v_pk_add_f32 v[18:19], v[52:53], v[56:57]
	v_mov_b32_e32 v20, v43
	v_pk_add_f32 v[18:19], v[18:19], v[58:59]
	v_mov_b32_e32 v23, v21
	s_waitcnt lgkmcnt(3)
	v_pk_mul_f32 v[20:21], v[4:5], v[20:21] op_sel_hi:[1,0]
	v_pk_add_f32 v[18:19], v[18:19], v[22:23]
	v_pk_fma_f32 v[22:23], v[4:5], v[42:43], v[20:21] op_sel:[0,0,1] op_sel_hi:[1,1,0] neg_lo:[0,0,1] neg_hi:[0,0,1]
	v_pk_fma_f32 v[4:5], v[4:5], v[42:43], v[20:21] op_sel:[0,0,1] op_sel_hi:[1,0,0]
	v_mov_b32_e32 v23, v5
	v_pk_add_f32 v[4:5], v[18:19], v[22:23]
	v_mov_b32_e32 v18, v41
	v_pk_mul_f32 v[18:19], v[6:7], v[18:19] op_sel_hi:[1,0]
	v_pk_fma_f32 v[20:21], v[6:7], v[40:41], v[18:19] op_sel:[0,0,1] op_sel_hi:[1,1,0] neg_lo:[0,0,1] neg_hi:[0,0,1]
	v_pk_fma_f32 v[6:7], v[6:7], v[40:41], v[18:19] op_sel:[0,0,1] op_sel_hi:[1,0,0]
	v_mov_b32_e32 v6, v39
	v_mov_b32_e32 v21, v7
	s_waitcnt lgkmcnt(2)
	v_pk_mul_f32 v[6:7], v[8:9], v[6:7] op_sel_hi:[1,0]
	v_pk_fma_f32 v[18:19], v[8:9], v[38:39], v[6:7] op_sel:[0,0,1] op_sel_hi:[1,1,0] neg_lo:[0,0,1] neg_hi:[0,0,1]
	v_pk_fma_f32 v[6:7], v[8:9], v[38:39], v[6:7] op_sel:[0,0,1] op_sel_hi:[1,0,0]
	s_waitcnt vmcnt(7)
	v_mov_b32_e32 v6, v47
	v_mov_b32_e32 v19, v7
	v_pk_mul_f32 v[6:7], v[10:11], v[6:7] op_sel_hi:[1,0]
	v_pk_add_f32 v[4:5], v[4:5], v[20:21]
	v_pk_add_f32 v[4:5], v[4:5], v[18:19]
	s_waitcnt vmcnt(0)
	v_pk_fma_f32 v[8:9], v[10:11], v[46:47], v[6:7] op_sel:[0,0,1] op_sel_hi:[1,1,0] neg_lo:[0,0,1] neg_hi:[0,0,1]
	v_pk_fma_f32 v[6:7], v[10:11], v[46:47], v[6:7] op_sel:[0,0,1] op_sel_hi:[1,0,0]
	v_mov_b32_e32 v6, v55
	v_mov_b32_e32 v9, v7
	s_waitcnt lgkmcnt(1)
	v_pk_mul_f32 v[6:7], v[12:13], v[6:7] op_sel_hi:[1,0]
	v_pk_add_f32 v[4:5], v[4:5], v[8:9]
	v_pk_fma_f32 v[8:9], v[12:13], v[54:55], v[6:7] op_sel:[0,0,1] op_sel_hi:[1,1,0] neg_lo:[0,0,1] neg_hi:[0,0,1]
	v_pk_fma_f32 v[6:7], v[12:13], v[54:55], v[6:7] op_sel:[0,0,1] op_sel_hi:[1,0,0]
	v_mov_b32_e32 v6, v51
	v_mov_b32_e32 v9, v7
	v_pk_mul_f32 v[6:7], v[14:15], v[6:7] op_sel_hi:[1,0]
	v_pk_add_f32 v[4:5], v[4:5], v[8:9]
	v_pk_fma_f32 v[8:9], v[14:15], v[50:51], v[6:7] op_sel:[0,0,1] op_sel_hi:[1,1,0] neg_lo:[0,0,1] neg_hi:[0,0,1]
	v_pk_fma_f32 v[6:7], v[14:15], v[50:51], v[6:7] op_sel:[0,0,1] op_sel_hi:[1,0,0]
	v_mov_b32_e32 v6, v49
	v_mov_b32_e32 v9, v7
	s_waitcnt lgkmcnt(0)
	v_pk_mul_f32 v[6:7], v[16:17], v[6:7] op_sel_hi:[1,0]
	v_pk_add_f32 v[4:5], v[4:5], v[8:9]
	v_pk_fma_f32 v[8:9], v[16:17], v[48:49], v[6:7] op_sel:[0,0,1] op_sel_hi:[1,1,0] neg_lo:[0,0,1] neg_hi:[0,0,1]
	v_pk_fma_f32 v[6:7], v[16:17], v[48:49], v[6:7] op_sel:[0,0,1] op_sel_hi:[1,0,0]
	v_mov_b32_e32 v9, v7
	v_pk_add_f32 v[4:5], v[4:5], v[8:9]
	v_pk_add_f32 v[4:5], v[36:37], v[4:5] neg_lo:[0,1] neg_hi:[0,1]
	buffer_store_dword v5, off, s[0:3], 0 offset:148
	buffer_store_dword v4, off, s[0:3], 0 offset:144
	s_and_saveexec_b64 s[4:5], vcc
	s_cbranch_execz .LBB41_231
; %bb.230:
	buffer_load_dword v4, off, s[0:3], 0 offset:136
	buffer_load_dword v5, off, s[0:3], 0 offset:140
	s_waitcnt vmcnt(0)
	ds_write_b64 v1, v[4:5]
	buffer_store_dword v2, off, s[0:3], 0 offset:136
	buffer_store_dword v2, off, s[0:3], 0 offset:140
.LBB41_231:
	s_or_b64 exec, exec, s[4:5]
	s_waitcnt lgkmcnt(0)
	; wave barrier
	s_waitcnt lgkmcnt(0)
	buffer_load_dword v3, off, s[0:3], 0 offset:148
	buffer_load_dword v52, off, s[0:3], 0 offset:156
	;; [unrolled: 1-line block ×34, first 2 shown]
	ds_read_b128 v[4:7], v2 offset:480
	ds_read_b128 v[8:11], v2 offset:496
	;; [unrolled: 1-line block ×8, first 2 shown]
	buffer_load_dword v39, off, s[0:3], 0 offset:292
	buffer_load_dword v38, off, s[0:3], 0 offset:288
	;; [unrolled: 1-line block ×9, first 2 shown]
	v_cmp_lt_u32_e32 vcc, 16, v0
	s_waitcnt vmcnt(42) lgkmcnt(7)
	v_mul_f32_e32 v44, v4, v3
	s_waitcnt vmcnt(41)
	v_mul_f32_e32 v48, v6, v52
	s_waitcnt vmcnt(40) lgkmcnt(6)
	v_mul_f32_e32 v49, v8, v54
	s_waitcnt vmcnt(39)
	v_mul_f32_e32 v50, v10, v56
	s_waitcnt vmcnt(38) lgkmcnt(5)
	v_mul_f32_e32 v51, v12, v60
	s_waitcnt vmcnt(37)
	v_mul_f32_e32 v53, v14, v61
	s_waitcnt vmcnt(36) lgkmcnt(4)
	v_mul_f32_e32 v55, v16, v62
	s_waitcnt vmcnt(35)
	v_mul_f32_e32 v57, v18, v63
	s_waitcnt vmcnt(34) lgkmcnt(3)
	v_mul_f32_e32 v58, v20, v148
	s_waitcnt vmcnt(33)
	v_mul_f32_e32 v59, v22, v149
	s_waitcnt vmcnt(32) lgkmcnt(2)
	v_mul_f32_e32 v172, v24, v150
	s_waitcnt vmcnt(31)
	v_mul_f32_e32 v173, v26, v151
	s_waitcnt vmcnt(30) lgkmcnt(1)
	v_mul_f32_e32 v174, v28, v152
	v_mul_f32_e32 v3, v5, v3
	s_waitcnt vmcnt(28)
	v_fmac_f32_e32 v44, v5, v154
	s_waitcnt vmcnt(27)
	v_fmac_f32_e32 v48, v7, v155
	v_add_f32_e32 v44, 0, v44
	s_waitcnt vmcnt(26)
	v_fmac_f32_e32 v49, v9, v156
	v_add_f32_e32 v44, v44, v48
	;; [unrolled: 3-line block ×12, first 2 shown]
	v_add_f32_e32 v53, v44, v174
	buffer_load_dword v49, off, s[0:3], 0 offset:316
	buffer_load_dword v48, off, s[0:3], 0 offset:312
	;; [unrolled: 1-line block ×7, first 2 shown]
	v_fma_f32 v3, v4, v154, -v3
	v_mul_f32_e32 v4, v7, v52
	v_add_f32_e32 v3, 0, v3
	v_fma_f32 v4, v6, v155, -v4
	v_add_f32_e32 v3, v3, v4
	v_mul_f32_e32 v4, v9, v54
	v_fma_f32 v4, v8, v156, -v4
	v_add_f32_e32 v3, v3, v4
	v_mul_f32_e32 v4, v11, v56
	;; [unrolled: 3-line block ×12, first 2 shown]
	s_waitcnt vmcnt(22)
	v_fma_f32 v4, v30, v167, -v4
	v_add_f32_e32 v52, v3, v4
	ds_read_b128 v[4:7], v2 offset:608
	ds_read_b128 v[8:11], v2 offset:624
	;; [unrolled: 1-line block ×4, first 2 shown]
	s_waitcnt vmcnt(11)
	v_mov_b32_e32 v20, v43
	s_waitcnt lgkmcnt(3)
	v_pk_mul_f32 v[20:21], v[4:5], v[20:21] op_sel_hi:[1,0]
	s_waitcnt vmcnt(10)
	v_pk_fma_f32 v[22:23], v[4:5], v[42:43], v[20:21] op_sel:[0,0,1] op_sel_hi:[1,1,0] neg_lo:[0,0,1] neg_hi:[0,0,1]
	v_pk_fma_f32 v[4:5], v[4:5], v[42:43], v[20:21] op_sel:[0,0,1] op_sel_hi:[1,0,0]
	v_mov_b32_e32 v4, v41
	v_mul_f32_e32 v175, v30, v153
	v_mov_b32_e32 v23, v5
	v_pk_mul_f32 v[4:5], v[6:7], v[4:5] op_sel_hi:[1,0]
	v_fmac_f32_e32 v175, v31, v167
	v_mul_f32_e32 v55, v32, v168
	v_mul_f32_e32 v3, v33, v168
	v_pk_fma_f32 v[20:21], v[6:7], v[40:41], v[4:5] op_sel:[0,0,1] op_sel_hi:[1,1,0] neg_lo:[0,0,1] neg_hi:[0,0,1]
	v_pk_fma_f32 v[4:5], v[6:7], v[40:41], v[4:5] op_sel:[0,0,1] op_sel_hi:[1,0,0]
	v_add_f32_e32 v53, v53, v175
	v_fmac_f32_e32 v55, v33, v169
	v_mul_f32_e32 v57, v34, v170
	v_fma_f32 v54, v32, v169, -v3
	v_mul_f32_e32 v3, v35, v170
	v_mov_b32_e32 v4, v39
	v_fmac_f32_e32 v57, v35, v171
	v_fma_f32 v56, v34, v171, -v3
	v_pk_add_f32 v[2:3], v[52:53], v[54:55]
	v_mov_b32_e32 v21, v5
	s_waitcnt lgkmcnt(2)
	v_pk_mul_f32 v[4:5], v[8:9], v[4:5] op_sel_hi:[1,0]
	v_pk_add_f32 v[2:3], v[2:3], v[56:57]
	v_pk_fma_f32 v[6:7], v[8:9], v[38:39], v[4:5] op_sel:[0,0,1] op_sel_hi:[1,1,0] neg_lo:[0,0,1] neg_hi:[0,0,1]
	v_pk_fma_f32 v[4:5], v[8:9], v[38:39], v[4:5] op_sel:[0,0,1] op_sel_hi:[1,0,0]
	v_pk_add_f32 v[2:3], v[2:3], v[22:23]
	s_waitcnt vmcnt(9)
	v_mov_b32_e32 v4, v45
	v_pk_add_f32 v[2:3], v[2:3], v[20:21]
	v_mov_b32_e32 v7, v5
	v_pk_mul_f32 v[4:5], v[10:11], v[4:5] op_sel_hi:[1,0]
	v_pk_add_f32 v[2:3], v[2:3], v[6:7]
	s_waitcnt vmcnt(2)
	v_pk_fma_f32 v[6:7], v[10:11], v[44:45], v[4:5] op_sel:[0,0,1] op_sel_hi:[1,1,0] neg_lo:[0,0,1] neg_hi:[0,0,1]
	v_pk_fma_f32 v[4:5], v[10:11], v[44:45], v[4:5] op_sel:[0,0,1] op_sel_hi:[1,0,0]
	v_mov_b32_e32 v4, v51
	v_mov_b32_e32 v7, v5
	s_waitcnt lgkmcnt(1)
	v_pk_mul_f32 v[4:5], v[12:13], v[4:5] op_sel_hi:[1,0]
	v_pk_add_f32 v[2:3], v[2:3], v[6:7]
	v_pk_fma_f32 v[6:7], v[12:13], v[50:51], v[4:5] op_sel:[0,0,1] op_sel_hi:[1,1,0] neg_lo:[0,0,1] neg_hi:[0,0,1]
	v_pk_fma_f32 v[4:5], v[12:13], v[50:51], v[4:5] op_sel:[0,0,1] op_sel_hi:[1,0,0]
	v_mov_b32_e32 v4, v49
	v_mov_b32_e32 v7, v5
	v_pk_mul_f32 v[4:5], v[14:15], v[4:5] op_sel_hi:[1,0]
	v_pk_add_f32 v[2:3], v[2:3], v[6:7]
	v_pk_fma_f32 v[6:7], v[14:15], v[48:49], v[4:5] op_sel:[0,0,1] op_sel_hi:[1,1,0] neg_lo:[0,0,1] neg_hi:[0,0,1]
	v_pk_fma_f32 v[4:5], v[14:15], v[48:49], v[4:5] op_sel:[0,0,1] op_sel_hi:[1,0,0]
	v_mov_b32_e32 v4, v47
	v_mov_b32_e32 v7, v5
	s_waitcnt lgkmcnt(0)
	v_pk_mul_f32 v[4:5], v[16:17], v[4:5] op_sel_hi:[1,0]
	v_pk_add_f32 v[2:3], v[2:3], v[6:7]
	v_pk_fma_f32 v[6:7], v[16:17], v[46:47], v[4:5] op_sel:[0,0,1] op_sel_hi:[1,1,0] neg_lo:[0,0,1] neg_hi:[0,0,1]
	v_pk_fma_f32 v[4:5], v[16:17], v[46:47], v[4:5] op_sel:[0,0,1] op_sel_hi:[1,0,0]
	s_waitcnt vmcnt(1)
	v_mov_b32_e32 v4, v59
	v_mov_b32_e32 v7, v5
	v_pk_mul_f32 v[4:5], v[18:19], v[4:5] op_sel_hi:[1,0]
	v_pk_add_f32 v[2:3], v[2:3], v[6:7]
	s_waitcnt vmcnt(0)
	v_pk_fma_f32 v[6:7], v[18:19], v[58:59], v[4:5] op_sel:[0,0,1] op_sel_hi:[1,1,0] neg_lo:[0,0,1] neg_hi:[0,0,1]
	v_pk_fma_f32 v[4:5], v[18:19], v[58:59], v[4:5] op_sel:[0,0,1] op_sel_hi:[1,0,0]
	v_mov_b32_e32 v7, v5
	v_pk_add_f32 v[2:3], v[2:3], v[6:7]
	v_pk_add_f32 v[2:3], v[36:37], v[2:3] neg_lo:[0,1] neg_hi:[0,1]
	buffer_store_dword v3, off, s[0:3], 0 offset:140
	buffer_store_dword v2, off, s[0:3], 0 offset:136
	s_and_saveexec_b64 s[4:5], vcc
	s_cbranch_execz .LBB41_233
; %bb.232:
	buffer_load_dword v2, off, s[0:3], 0 offset:128
	buffer_load_dword v3, off, s[0:3], 0 offset:132
	v_mov_b32_e32 v4, 0
	buffer_store_dword v4, off, s[0:3], 0 offset:128
	buffer_store_dword v4, off, s[0:3], 0 offset:132
	s_waitcnt vmcnt(2)
	ds_write_b64 v1, v[2:3]
.LBB41_233:
	s_or_b64 exec, exec, s[4:5]
	s_waitcnt lgkmcnt(0)
	; wave barrier
	s_waitcnt lgkmcnt(0)
	buffer_load_dword v5, off, s[0:3], 0 offset:140
	buffer_load_dword v58, off, s[0:3], 0 offset:148
	;; [unrolled: 1-line block ×36, first 2 shown]
	v_mov_b32_e32 v4, 0
	buffer_load_dword v47, off, s[0:3], 0 offset:284
	buffer_load_dword v46, off, s[0:3], 0 offset:280
	;; [unrolled: 1-line block ×5, first 2 shown]
	ds_read2_b64 v[6:9], v4 offset0:59 offset1:60
	ds_read2_b64 v[10:13], v4 offset0:61 offset1:62
	;; [unrolled: 1-line block ×8, first 2 shown]
	v_cmp_lt_u32_e32 vcc, 15, v0
	s_waitcnt vmcnt(40) lgkmcnt(7)
	v_mul_f32_e32 v38, v6, v5
	s_waitcnt vmcnt(39)
	v_mul_f32_e32 v39, v8, v58
	s_waitcnt vmcnt(38) lgkmcnt(6)
	v_mul_f32_e32 v40, v10, v60
	s_waitcnt vmcnt(37)
	v_mul_f32_e32 v41, v12, v62
	;; [unrolled: 4-line block ×7, first 2 shown]
	s_waitcnt vmcnt(26) lgkmcnt(0)
	v_mul_f32_e32 v59, v34, v162
	s_waitcnt vmcnt(25)
	v_fmac_f32_e32 v38, v7, v163
	s_waitcnt vmcnt(24)
	v_fmac_f32_e32 v39, v9, v164
	v_add_f32_e32 v38, 0, v38
	s_waitcnt vmcnt(23)
	v_fmac_f32_e32 v40, v11, v165
	v_add_f32_e32 v38, v38, v39
	;; [unrolled: 3-line block ×13, first 2 shown]
	v_add_f32_e32 v42, v38, v56
	buffer_load_dword v53, off, s[0:3], 0 offset:316
	buffer_load_dword v52, off, s[0:3], 0 offset:312
	;; [unrolled: 1-line block ×7, first 2 shown]
	s_waitcnt vmcnt(18)
	v_fmac_f32_e32 v59, v35, v177
	ds_read2_b64 v[38:41], v4 offset0:75 offset1:76
	v_add_f32_e32 v59, v42, v59
	ds_read2_b64 v[42:45], v4 offset0:77 offset1:78
	buffer_load_dword v149, off, s[0:3], 0 offset:332
	buffer_load_dword v148, off, s[0:3], 0 offset:328
	;; [unrolled: 1-line block ×4, first 2 shown]
	v_mul_f32_e32 v5, v7, v5
	v_fma_f32 v5, v6, v163, -v5
	v_mul_f32_e32 v6, v9, v58
	v_add_f32_e32 v5, 0, v5
	v_fma_f32 v6, v8, v164, -v6
	v_add_f32_e32 v5, v5, v6
	v_mul_f32_e32 v6, v11, v60
	v_fma_f32 v6, v10, v165, -v6
	v_add_f32_e32 v5, v5, v6
	v_mul_f32_e32 v6, v13, v62
	;; [unrolled: 3-line block ×13, first 2 shown]
	v_fma_f32 v6, v34, v177, -v6
	s_waitcnt vmcnt(13)
	v_mov_b32_e32 v18, v49
	v_mul_f32_e32 v61, v36, v178
	v_add_f32_e32 v58, v5, v6
	v_mul_f32_e32 v5, v37, v178
	s_waitcnt lgkmcnt(1)
	v_pk_mul_f32 v[18:19], v[40:41], v[18:19] op_sel_hi:[1,0]
	v_fmac_f32_e32 v61, v37, v179
	v_mul_f32_e32 v63, v38, v180
	v_fma_f32 v60, v36, v179, -v5
	v_mul_f32_e32 v5, v39, v180
	s_waitcnt vmcnt(12)
	v_pk_fma_f32 v[20:21], v[40:41], v[48:49], v[18:19] op_sel:[0,0,1] op_sel_hi:[1,1,0] neg_lo:[0,0,1] neg_hi:[0,0,1]
	v_pk_fma_f32 v[18:19], v[40:41], v[48:49], v[18:19] op_sel:[0,0,1] op_sel_hi:[1,0,0]
	v_fmac_f32_e32 v63, v39, v181
	v_fma_f32 v62, v38, v181, -v5
	v_pk_add_f32 v[16:17], v[58:59], v[60:61]
	v_mov_b32_e32 v18, v47
	v_pk_add_f32 v[16:17], v[16:17], v[62:63]
	v_mov_b32_e32 v21, v19
	s_waitcnt lgkmcnt(0)
	v_pk_mul_f32 v[18:19], v[42:43], v[18:19] op_sel_hi:[1,0]
	v_pk_add_f32 v[16:17], v[16:17], v[20:21]
	v_pk_fma_f32 v[20:21], v[42:43], v[46:47], v[18:19] op_sel:[0,0,1] op_sel_hi:[1,1,0] neg_lo:[0,0,1] neg_hi:[0,0,1]
	v_pk_fma_f32 v[18:19], v[42:43], v[46:47], v[18:19] op_sel:[0,0,1] op_sel_hi:[1,0,0]
	s_waitcnt vmcnt(11)
	v_mov_b32_e32 v18, v51
	ds_read2_b64 v[6:9], v4 offset0:79 offset1:80
	ds_read2_b64 v[10:13], v4 offset0:81 offset1:82
	ds_read_b64 v[14:15], v4 offset:664
	v_mov_b32_e32 v21, v19
	v_pk_mul_f32 v[18:19], v[44:45], v[18:19] op_sel_hi:[1,0]
	v_pk_add_f32 v[16:17], v[16:17], v[20:21]
	s_waitcnt vmcnt(4)
	v_pk_fma_f32 v[20:21], v[44:45], v[50:51], v[18:19] op_sel:[0,0,1] op_sel_hi:[1,1,0] neg_lo:[0,0,1] neg_hi:[0,0,1]
	v_pk_fma_f32 v[18:19], v[44:45], v[50:51], v[18:19] op_sel:[0,0,1] op_sel_hi:[1,0,0]
	v_mov_b32_e32 v18, v57
	v_mov_b32_e32 v21, v19
	s_waitcnt lgkmcnt(2)
	v_pk_mul_f32 v[18:19], v[6:7], v[18:19] op_sel_hi:[1,0]
	v_pk_add_f32 v[16:17], v[16:17], v[20:21]
	v_pk_fma_f32 v[20:21], v[6:7], v[56:57], v[18:19] op_sel:[0,0,1] op_sel_hi:[1,1,0] neg_lo:[0,0,1] neg_hi:[0,0,1]
	v_pk_fma_f32 v[6:7], v[6:7], v[56:57], v[18:19] op_sel:[0,0,1] op_sel_hi:[1,0,0]
	v_mov_b32_e32 v21, v7
	v_pk_add_f32 v[6:7], v[16:17], v[20:21]
	v_mov_b32_e32 v16, v55
	v_pk_mul_f32 v[16:17], v[8:9], v[16:17] op_sel_hi:[1,0]
	v_pk_fma_f32 v[18:19], v[8:9], v[54:55], v[16:17] op_sel:[0,0,1] op_sel_hi:[1,1,0] neg_lo:[0,0,1] neg_hi:[0,0,1]
	v_pk_fma_f32 v[8:9], v[8:9], v[54:55], v[16:17] op_sel:[0,0,1] op_sel_hi:[1,0,0]
	v_mov_b32_e32 v8, v53
	v_mov_b32_e32 v19, v9
	s_waitcnt lgkmcnt(1)
	v_pk_mul_f32 v[8:9], v[10:11], v[8:9] op_sel_hi:[1,0]
	v_pk_fma_f32 v[16:17], v[10:11], v[52:53], v[8:9] op_sel:[0,0,1] op_sel_hi:[1,1,0] neg_lo:[0,0,1] neg_hi:[0,0,1]
	v_pk_fma_f32 v[8:9], v[10:11], v[52:53], v[8:9] op_sel:[0,0,1] op_sel_hi:[1,0,0]
	s_waitcnt vmcnt(1)
	v_mov_b32_e32 v8, v151
	v_mov_b32_e32 v17, v9
	v_pk_mul_f32 v[8:9], v[12:13], v[8:9] op_sel_hi:[1,0]
	s_waitcnt vmcnt(0)
	v_pk_fma_f32 v[10:11], v[12:13], v[150:151], v[8:9] op_sel:[0,0,1] op_sel_hi:[1,1,0] neg_lo:[0,0,1] neg_hi:[0,0,1]
	v_pk_fma_f32 v[8:9], v[12:13], v[150:151], v[8:9] op_sel:[0,0,1] op_sel_hi:[1,0,0]
	v_pk_add_f32 v[6:7], v[6:7], v[18:19]
	v_mov_b32_e32 v8, v149
	v_pk_add_f32 v[6:7], v[6:7], v[16:17]
	v_mov_b32_e32 v11, v9
	s_waitcnt lgkmcnt(0)
	v_pk_mul_f32 v[8:9], v[14:15], v[8:9] op_sel_hi:[1,0]
	v_pk_add_f32 v[6:7], v[6:7], v[10:11]
	v_pk_fma_f32 v[10:11], v[14:15], v[148:149], v[8:9] op_sel:[0,0,1] op_sel_hi:[1,1,0] neg_lo:[0,0,1] neg_hi:[0,0,1]
	v_pk_fma_f32 v[8:9], v[14:15], v[148:149], v[8:9] op_sel:[0,0,1] op_sel_hi:[1,0,0]
	v_mov_b32_e32 v11, v9
	v_pk_add_f32 v[6:7], v[6:7], v[10:11]
	v_pk_add_f32 v[2:3], v[2:3], v[6:7] neg_lo:[0,1] neg_hi:[0,1]
	buffer_store_dword v3, off, s[0:3], 0 offset:132
	buffer_store_dword v2, off, s[0:3], 0 offset:128
	s_and_saveexec_b64 s[4:5], vcc
	s_cbranch_execz .LBB41_235
; %bb.234:
	buffer_load_dword v2, off, s[0:3], 0 offset:120
	buffer_load_dword v3, off, s[0:3], 0 offset:124
	s_waitcnt vmcnt(0)
	ds_write_b64 v1, v[2:3]
	buffer_store_dword v4, off, s[0:3], 0 offset:120
	buffer_store_dword v4, off, s[0:3], 0 offset:124
.LBB41_235:
	s_or_b64 exec, exec, s[4:5]
	s_waitcnt lgkmcnt(0)
	; wave barrier
	s_waitcnt lgkmcnt(0)
	buffer_load_dword v2, off, s[0:3], 0 offset:132
	buffer_load_dword v3, off, s[0:3], 0 offset:140
	;; [unrolled: 1-line block ×38, first 2 shown]
	ds_read_b128 v[6:9], v4 offset:464
	ds_read_b128 v[10:13], v4 offset:480
	;; [unrolled: 1-line block ×8, first 2 shown]
	buffer_load_dword v49, off, s[0:3], 0 offset:276
	buffer_load_dword v48, off, s[0:3], 0 offset:272
	;; [unrolled: 1-line block ×4, first 2 shown]
	v_cmp_lt_u32_e32 vcc, 14, v0
	s_waitcnt vmcnt(41) lgkmcnt(7)
	v_mul_f32_e32 v38, v6, v2
	s_waitcnt vmcnt(40)
	v_mul_f32_e32 v39, v8, v3
	s_waitcnt vmcnt(39) lgkmcnt(6)
	v_mul_f32_e32 v40, v10, v5
	s_waitcnt vmcnt(38)
	v_mul_f32_e32 v41, v12, v58
	;; [unrolled: 4-line block ×7, first 2 shown]
	s_waitcnt vmcnt(27) lgkmcnt(0)
	v_mul_f32_e32 v59, v34, v162
	s_waitcnt vmcnt(26)
	v_fmac_f32_e32 v38, v7, v163
	s_waitcnt vmcnt(25)
	v_fmac_f32_e32 v39, v9, v164
	v_add_f32_e32 v38, 0, v38
	s_waitcnt vmcnt(24)
	v_fmac_f32_e32 v40, v11, v165
	v_add_f32_e32 v38, v38, v39
	;; [unrolled: 3-line block ×13, first 2 shown]
	v_add_f32_e32 v38, v38, v57
	buffer_load_dword v53, off, s[0:3], 0 offset:300
	buffer_load_dword v52, off, s[0:3], 0 offset:296
	buffer_load_dword v55, off, s[0:3], 0 offset:292
	buffer_load_dword v54, off, s[0:3], 0 offset:288
	buffer_load_dword v57, off, s[0:3], 0 offset:284
	buffer_load_dword v56, off, s[0:3], 0 offset:280
	s_waitcnt vmcnt(18)
	v_fmac_f32_e32 v59, v35, v177
	s_waitcnt vmcnt(17)
	v_mul_f32_e32 v43, v36, v178
	v_add_f32_e32 v42, v38, v59
	s_waitcnt vmcnt(16)
	v_fmac_f32_e32 v43, v37, v179
	ds_read_b128 v[38:41], v4 offset:592
	v_add_f32_e32 v59, v42, v43
	ds_read_b128 v[42:45], v4 offset:608
	buffer_load_dword v149, off, s[0:3], 0 offset:332
	buffer_load_dword v148, off, s[0:3], 0 offset:328
	;; [unrolled: 1-line block ×6, first 2 shown]
	v_mul_f32_e32 v2, v7, v2
	v_fma_f32 v2, v6, v163, -v2
	v_mul_f32_e32 v3, v9, v3
	v_add_f32_e32 v2, 0, v2
	v_fma_f32 v3, v8, v164, -v3
	v_add_f32_e32 v2, v2, v3
	v_mul_f32_e32 v3, v11, v5
	v_fma_f32 v3, v10, v165, -v3
	v_add_f32_e32 v2, v2, v3
	v_mul_f32_e32 v3, v13, v58
	;; [unrolled: 3-line block ×14, first 2 shown]
	v_fma_f32 v3, v36, v179, -v3
	s_waitcnt vmcnt(15)
	v_mov_b32_e32 v16, v49
	s_waitcnt lgkmcnt(1)
	v_mul_f32_e32 v61, v38, v180
	v_add_f32_e32 v58, v2, v3
	v_mul_f32_e32 v2, v39, v180
	s_waitcnt lgkmcnt(0)
	v_pk_mul_f32 v[16:17], v[42:43], v[16:17] op_sel_hi:[1,0]
	v_fmac_f32_e32 v61, v39, v181
	v_mul_f32_e32 v63, v40, v182
	v_fma_f32 v60, v38, v181, -v2
	v_mul_f32_e32 v2, v41, v182
	s_waitcnt vmcnt(14)
	v_pk_fma_f32 v[18:19], v[42:43], v[48:49], v[16:17] op_sel:[0,0,1] op_sel_hi:[1,1,0] neg_lo:[0,0,1] neg_hi:[0,0,1]
	v_pk_fma_f32 v[16:17], v[42:43], v[48:49], v[16:17] op_sel:[0,0,1] op_sel_hi:[1,0,0]
	v_fmac_f32_e32 v63, v41, v183
	v_fma_f32 v62, v40, v183, -v2
	v_pk_add_f32 v[14:15], v[58:59], v[60:61]
	ds_read_b128 v[6:9], v4 offset:624
	ds_read_b128 v[10:13], v4 offset:640
	;; [unrolled: 1-line block ×3, first 2 shown]
	v_pk_add_f32 v[14:15], v[14:15], v[62:63]
	v_mov_b32_e32 v19, v17
	v_pk_add_f32 v[14:15], v[14:15], v[18:19]
	s_waitcnt vmcnt(7)
	v_mov_b32_e32 v16, v57
	v_pk_mul_f32 v[16:17], v[44:45], v[16:17] op_sel_hi:[1,0]
	s_waitcnt vmcnt(6)
	v_pk_fma_f32 v[18:19], v[44:45], v[56:57], v[16:17] op_sel:[0,0,1] op_sel_hi:[1,1,0] neg_lo:[0,0,1] neg_hi:[0,0,1]
	v_pk_fma_f32 v[16:17], v[44:45], v[56:57], v[16:17] op_sel:[0,0,1] op_sel_hi:[1,0,0]
	v_mov_b32_e32 v16, v55
	v_mov_b32_e32 v19, v17
	s_waitcnt lgkmcnt(2)
	v_pk_mul_f32 v[16:17], v[6:7], v[16:17] op_sel_hi:[1,0]
	v_pk_add_f32 v[14:15], v[14:15], v[18:19]
	v_pk_fma_f32 v[18:19], v[6:7], v[54:55], v[16:17] op_sel:[0,0,1] op_sel_hi:[1,1,0] neg_lo:[0,0,1] neg_hi:[0,0,1]
	v_pk_fma_f32 v[6:7], v[6:7], v[54:55], v[16:17] op_sel:[0,0,1] op_sel_hi:[1,0,0]
	v_mov_b32_e32 v19, v7
	v_pk_add_f32 v[6:7], v[14:15], v[18:19]
	v_mov_b32_e32 v14, v53
	v_pk_mul_f32 v[14:15], v[8:9], v[14:15] op_sel_hi:[1,0]
	v_pk_fma_f32 v[16:17], v[8:9], v[52:53], v[14:15] op_sel:[0,0,1] op_sel_hi:[1,1,0] neg_lo:[0,0,1] neg_hi:[0,0,1]
	v_pk_fma_f32 v[8:9], v[8:9], v[52:53], v[14:15] op_sel:[0,0,1] op_sel_hi:[1,0,0]
	v_mov_b32_e32 v8, v51
	v_mov_b32_e32 v17, v9
	s_waitcnt lgkmcnt(1)
	v_pk_mul_f32 v[8:9], v[10:11], v[8:9] op_sel_hi:[1,0]
	v_pk_fma_f32 v[14:15], v[10:11], v[50:51], v[8:9] op_sel:[0,0,1] op_sel_hi:[1,1,0] neg_lo:[0,0,1] neg_hi:[0,0,1]
	v_pk_fma_f32 v[8:9], v[10:11], v[50:51], v[8:9] op_sel:[0,0,1] op_sel_hi:[1,0,0]
	s_waitcnt vmcnt(1)
	v_mov_b32_e32 v8, v153
	v_mov_b32_e32 v15, v9
	v_pk_mul_f32 v[8:9], v[12:13], v[8:9] op_sel_hi:[1,0]
	s_waitcnt vmcnt(0)
	v_pk_fma_f32 v[10:11], v[12:13], v[152:153], v[8:9] op_sel:[0,0,1] op_sel_hi:[1,1,0] neg_lo:[0,0,1] neg_hi:[0,0,1]
	v_pk_fma_f32 v[8:9], v[12:13], v[152:153], v[8:9] op_sel:[0,0,1] op_sel_hi:[1,0,0]
	v_pk_add_f32 v[6:7], v[6:7], v[16:17]
	v_mov_b32_e32 v8, v151
	v_pk_add_f32 v[6:7], v[6:7], v[14:15]
	v_mov_b32_e32 v11, v9
	s_waitcnt lgkmcnt(0)
	v_pk_mul_f32 v[8:9], v[2:3], v[8:9] op_sel_hi:[1,0]
	v_pk_add_f32 v[6:7], v[6:7], v[10:11]
	v_pk_fma_f32 v[10:11], v[2:3], v[150:151], v[8:9] op_sel:[0,0,1] op_sel_hi:[1,1,0] neg_lo:[0,0,1] neg_hi:[0,0,1]
	v_pk_fma_f32 v[2:3], v[2:3], v[150:151], v[8:9] op_sel:[0,0,1] op_sel_hi:[1,0,0]
	v_mov_b32_e32 v11, v3
	v_pk_add_f32 v[2:3], v[6:7], v[10:11]
	v_mov_b32_e32 v6, v149
	v_pk_mul_f32 v[6:7], v[4:5], v[6:7] op_sel_hi:[1,0]
	v_pk_fma_f32 v[8:9], v[4:5], v[148:149], v[6:7] op_sel:[0,0,1] op_sel_hi:[1,1,0] neg_lo:[0,0,1] neg_hi:[0,0,1]
	v_pk_fma_f32 v[4:5], v[4:5], v[148:149], v[6:7] op_sel:[0,0,1] op_sel_hi:[1,0,0]
	v_mov_b32_e32 v9, v5
	v_pk_add_f32 v[2:3], v[2:3], v[8:9]
	v_pk_add_f32 v[2:3], v[46:47], v[2:3] neg_lo:[0,1] neg_hi:[0,1]
	buffer_store_dword v3, off, s[0:3], 0 offset:124
	buffer_store_dword v2, off, s[0:3], 0 offset:120
	s_and_saveexec_b64 s[4:5], vcc
	s_cbranch_execz .LBB41_237
; %bb.236:
	buffer_load_dword v2, off, s[0:3], 0 offset:112
	buffer_load_dword v3, off, s[0:3], 0 offset:116
	v_mov_b32_e32 v4, 0
	buffer_store_dword v4, off, s[0:3], 0 offset:112
	buffer_store_dword v4, off, s[0:3], 0 offset:116
	s_waitcnt vmcnt(2)
	ds_write_b64 v1, v[2:3]
.LBB41_237:
	s_or_b64 exec, exec, s[4:5]
	s_waitcnt lgkmcnt(0)
	; wave barrier
	s_waitcnt lgkmcnt(0)
	buffer_load_dword v5, off, s[0:3], 0 offset:124
	buffer_load_dword v54, off, s[0:3], 0 offset:132
	;; [unrolled: 1-line block ×40, first 2 shown]
	v_mov_b32_e32 v4, 0
	ds_read2_b64 v[6:9], v4 offset0:57 offset1:58
	ds_read2_b64 v[10:13], v4 offset0:59 offset1:60
	;; [unrolled: 1-line block ×8, first 2 shown]
	v_cmp_lt_u32_e32 vcc, 13, v0
	s_waitcnt vmcnt(39) lgkmcnt(7)
	v_mul_f32_e32 v38, v6, v5
	s_waitcnt vmcnt(38)
	v_mul_f32_e32 v39, v8, v54
	s_waitcnt vmcnt(37) lgkmcnt(6)
	v_mul_f32_e32 v40, v10, v56
	s_waitcnt vmcnt(36)
	v_mul_f32_e32 v41, v12, v58
	;; [unrolled: 4-line block ×8, first 2 shown]
	s_waitcnt vmcnt(23)
	v_fmac_f32_e32 v38, v7, v164
	s_waitcnt vmcnt(22)
	v_fmac_f32_e32 v39, v9, v165
	v_add_f32_e32 v38, 0, v38
	s_waitcnt vmcnt(21)
	v_fmac_f32_e32 v40, v11, v166
	v_add_f32_e32 v38, v38, v39
	;; [unrolled: 3-line block ×14, first 2 shown]
	v_add_f32_e32 v38, v38, v52
	s_waitcnt vmcnt(8)
	v_fmac_f32_e32 v53, v37, v179
	v_add_f32_e32 v55, v38, v53
	ds_read2_b64 v[38:41], v4 offset0:73 offset1:74
	buffer_load_dword v47, off, s[0:3], 0 offset:276
	buffer_load_dword v49, off, s[0:3], 0 offset:300
	buffer_load_dword v48, off, s[0:3], 0 offset:296
	buffer_load_dword v51, off, s[0:3], 0 offset:292
	buffer_load_dword v50, off, s[0:3], 0 offset:288
	buffer_load_dword v53, off, s[0:3], 0 offset:284
	buffer_load_dword v52, off, s[0:3], 0 offset:280
	buffer_load_dword v46, off, s[0:3], 0 offset:272
	ds_read2_b64 v[42:45], v4 offset0:75 offset1:76
	buffer_load_dword v61, off, s[0:3], 0 offset:332
	buffer_load_dword v60, off, s[0:3], 0 offset:328
	;; [unrolled: 1-line block ×8, first 2 shown]
	v_mul_f32_e32 v5, v7, v5
	v_fma_f32 v5, v6, v164, -v5
	v_mul_f32_e32 v6, v9, v54
	v_add_f32_e32 v5, 0, v5
	v_fma_f32 v6, v8, v165, -v6
	v_add_f32_e32 v5, v5, v6
	v_mul_f32_e32 v6, v11, v56
	v_fma_f32 v6, v10, v166, -v6
	v_add_f32_e32 v5, v5, v6
	v_mul_f32_e32 v6, v13, v58
	v_fma_f32 v6, v12, v167, -v6
	v_add_f32_e32 v5, v5, v6
	v_mul_f32_e32 v6, v15, v152
	v_fma_f32 v6, v14, v168, -v6
	v_add_f32_e32 v5, v5, v6
	v_mul_f32_e32 v6, v17, v153
	v_fma_f32 v6, v16, v169, -v6
	v_add_f32_e32 v5, v5, v6
	v_mul_f32_e32 v6, v19, v154
	v_fma_f32 v6, v18, v170, -v6
	v_add_f32_e32 v5, v5, v6
	v_mul_f32_e32 v6, v21, v155
	v_fma_f32 v6, v20, v171, -v6
	v_add_f32_e32 v5, v5, v6
	v_mul_f32_e32 v6, v23, v156
	v_fma_f32 v6, v22, v172, -v6
	v_add_f32_e32 v5, v5, v6
	v_mul_f32_e32 v6, v25, v157
	v_fma_f32 v6, v24, v173, -v6
	v_add_f32_e32 v5, v5, v6
	v_mul_f32_e32 v6, v27, v158
	v_fma_f32 v6, v26, v174, -v6
	v_add_f32_e32 v5, v5, v6
	v_mul_f32_e32 v6, v29, v159
	v_fma_f32 v6, v28, v175, -v6
	v_add_f32_e32 v5, v5, v6
	v_mul_f32_e32 v6, v31, v160
	v_fma_f32 v6, v30, v176, -v6
	v_add_f32_e32 v5, v5, v6
	v_mul_f32_e32 v6, v33, v161
	v_fma_f32 v6, v32, v177, -v6
	v_add_f32_e32 v5, v5, v6
	v_mul_f32_e32 v6, v35, v162
	v_fma_f32 v6, v34, v178, -v6
	v_add_f32_e32 v5, v5, v6
	v_mul_f32_e32 v6, v37, v163
	v_fma_f32 v6, v36, v179, -v6
	s_waitcnt vmcnt(23) lgkmcnt(1)
	v_mul_f32_e32 v57, v38, v180
	v_add_f32_e32 v5, v5, v6
	v_mul_f32_e32 v6, v39, v180
	s_waitcnt vmcnt(22)
	v_fmac_f32_e32 v57, v39, v181
	v_fma_f32 v6, v38, v181, -v6
	v_add_f32_e32 v55, v55, v57
	s_waitcnt vmcnt(21)
	v_mul_f32_e32 v57, v40, v182
	v_add_f32_e32 v54, v5, v6
	v_mul_f32_e32 v5, v41, v182
	s_waitcnt vmcnt(20)
	v_fmac_f32_e32 v57, v41, v183
	s_waitcnt vmcnt(19) lgkmcnt(0)
	v_mul_f32_e32 v59, v42, v184
	v_fma_f32 v56, v40, v183, -v5
	v_mul_f32_e32 v5, v43, v184
	ds_read2_b64 v[6:9], v4 offset0:77 offset1:78
	ds_read2_b64 v[10:13], v4 offset0:79 offset1:80
	;; [unrolled: 1-line block ×3, first 2 shown]
	ds_read_b64 v[18:19], v4 offset:664
	s_waitcnt vmcnt(18)
	v_fmac_f32_e32 v59, v43, v185
	v_fma_f32 v58, v42, v185, -v5
	v_pk_add_f32 v[20:21], v[54:55], v[56:57]
	v_pk_add_f32 v[20:21], v[20:21], v[58:59]
	s_waitcnt vmcnt(15)
	v_mov_b32_e32 v22, v47
	v_pk_mul_f32 v[22:23], v[44:45], v[22:23] op_sel_hi:[1,0]
	s_waitcnt vmcnt(8)
	v_pk_fma_f32 v[24:25], v[44:45], v[46:47], v[22:23] op_sel:[0,0,1] op_sel_hi:[1,1,0] neg_lo:[0,0,1] neg_hi:[0,0,1]
	v_pk_fma_f32 v[22:23], v[44:45], v[46:47], v[22:23] op_sel:[0,0,1] op_sel_hi:[1,0,0]
	v_mov_b32_e32 v22, v53
	v_mov_b32_e32 v25, v23
	s_waitcnt lgkmcnt(3)
	v_pk_mul_f32 v[22:23], v[6:7], v[22:23] op_sel_hi:[1,0]
	v_pk_add_f32 v[20:21], v[20:21], v[24:25]
	v_pk_fma_f32 v[24:25], v[6:7], v[52:53], v[22:23] op_sel:[0,0,1] op_sel_hi:[1,1,0] neg_lo:[0,0,1] neg_hi:[0,0,1]
	v_pk_fma_f32 v[6:7], v[6:7], v[52:53], v[22:23] op_sel:[0,0,1] op_sel_hi:[1,0,0]
	v_mov_b32_e32 v25, v7
	v_pk_add_f32 v[6:7], v[20:21], v[24:25]
	v_mov_b32_e32 v20, v51
	v_pk_mul_f32 v[20:21], v[8:9], v[20:21] op_sel_hi:[1,0]
	v_pk_fma_f32 v[22:23], v[8:9], v[50:51], v[20:21] op_sel:[0,0,1] op_sel_hi:[1,1,0] neg_lo:[0,0,1] neg_hi:[0,0,1]
	v_pk_fma_f32 v[8:9], v[8:9], v[50:51], v[20:21] op_sel:[0,0,1] op_sel_hi:[1,0,0]
	v_mov_b32_e32 v8, v49
	v_mov_b32_e32 v23, v9
	s_waitcnt lgkmcnt(2)
	v_pk_mul_f32 v[8:9], v[10:11], v[8:9] op_sel_hi:[1,0]
	v_pk_fma_f32 v[20:21], v[10:11], v[48:49], v[8:9] op_sel:[0,0,1] op_sel_hi:[1,1,0] neg_lo:[0,0,1] neg_hi:[0,0,1]
	v_pk_fma_f32 v[8:9], v[10:11], v[48:49], v[8:9] op_sel:[0,0,1] op_sel_hi:[1,0,0]
	s_waitcnt vmcnt(1)
	v_mov_b32_e32 v8, v151
	v_mov_b32_e32 v21, v9
	v_pk_mul_f32 v[8:9], v[12:13], v[8:9] op_sel_hi:[1,0]
	s_waitcnt vmcnt(0)
	v_pk_fma_f32 v[10:11], v[12:13], v[150:151], v[8:9] op_sel:[0,0,1] op_sel_hi:[1,1,0] neg_lo:[0,0,1] neg_hi:[0,0,1]
	v_pk_fma_f32 v[8:9], v[12:13], v[150:151], v[8:9] op_sel:[0,0,1] op_sel_hi:[1,0,0]
	v_pk_add_f32 v[6:7], v[6:7], v[22:23]
	v_mov_b32_e32 v8, v149
	v_pk_add_f32 v[6:7], v[6:7], v[20:21]
	v_mov_b32_e32 v11, v9
	s_waitcnt lgkmcnt(1)
	v_pk_mul_f32 v[8:9], v[14:15], v[8:9] op_sel_hi:[1,0]
	v_pk_add_f32 v[6:7], v[6:7], v[10:11]
	v_pk_fma_f32 v[10:11], v[14:15], v[148:149], v[8:9] op_sel:[0,0,1] op_sel_hi:[1,1,0] neg_lo:[0,0,1] neg_hi:[0,0,1]
	v_pk_fma_f32 v[8:9], v[14:15], v[148:149], v[8:9] op_sel:[0,0,1] op_sel_hi:[1,0,0]
	v_mov_b32_e32 v8, v63
	v_mov_b32_e32 v11, v9
	v_pk_mul_f32 v[8:9], v[16:17], v[8:9] op_sel_hi:[1,0]
	v_pk_add_f32 v[6:7], v[6:7], v[10:11]
	v_pk_fma_f32 v[10:11], v[16:17], v[62:63], v[8:9] op_sel:[0,0,1] op_sel_hi:[1,1,0] neg_lo:[0,0,1] neg_hi:[0,0,1]
	v_pk_fma_f32 v[8:9], v[16:17], v[62:63], v[8:9] op_sel:[0,0,1] op_sel_hi:[1,0,0]
	v_mov_b32_e32 v8, v61
	v_mov_b32_e32 v11, v9
	s_waitcnt lgkmcnt(0)
	v_pk_mul_f32 v[8:9], v[18:19], v[8:9] op_sel_hi:[1,0]
	v_pk_add_f32 v[6:7], v[6:7], v[10:11]
	v_pk_fma_f32 v[10:11], v[18:19], v[60:61], v[8:9] op_sel:[0,0,1] op_sel_hi:[1,1,0] neg_lo:[0,0,1] neg_hi:[0,0,1]
	v_pk_fma_f32 v[8:9], v[18:19], v[60:61], v[8:9] op_sel:[0,0,1] op_sel_hi:[1,0,0]
	v_mov_b32_e32 v11, v9
	v_pk_add_f32 v[6:7], v[6:7], v[10:11]
	v_pk_add_f32 v[2:3], v[2:3], v[6:7] neg_lo:[0,1] neg_hi:[0,1]
	buffer_store_dword v3, off, s[0:3], 0 offset:116
	buffer_store_dword v2, off, s[0:3], 0 offset:112
	s_and_saveexec_b64 s[4:5], vcc
	s_cbranch_execz .LBB41_239
; %bb.238:
	buffer_load_dword v2, off, s[0:3], 0 offset:104
	buffer_load_dword v3, off, s[0:3], 0 offset:108
	s_waitcnt vmcnt(0)
	ds_write_b64 v1, v[2:3]
	buffer_store_dword v4, off, s[0:3], 0 offset:104
	buffer_store_dword v4, off, s[0:3], 0 offset:108
.LBB41_239:
	s_or_b64 exec, exec, s[4:5]
	s_waitcnt lgkmcnt(0)
	; wave barrier
	s_waitcnt lgkmcnt(0)
	buffer_load_dword v5, off, s[0:3], 0 offset:116
	buffer_load_dword v46, off, s[0:3], 0 offset:124
	;; [unrolled: 1-line block ×42, first 2 shown]
	ds_read_b128 v[6:9], v4 offset:448
	ds_read_b128 v[10:13], v4 offset:464
	;; [unrolled: 1-line block ×8, first 2 shown]
	v_cmp_lt_u32_e32 vcc, 12, v0
	s_waitcnt vmcnt(41) lgkmcnt(7)
	v_mul_f32_e32 v38, v6, v5
	s_waitcnt vmcnt(40)
	v_mul_f32_e32 v39, v8, v46
	s_waitcnt vmcnt(39) lgkmcnt(6)
	v_mul_f32_e32 v40, v10, v48
	s_waitcnt vmcnt(38)
	v_mul_f32_e32 v41, v12, v56
	;; [unrolled: 4-line block ×7, first 2 shown]
	s_waitcnt vmcnt(27) lgkmcnt(0)
	v_mul_f32_e32 v54, v34, v162
	s_waitcnt vmcnt(26)
	v_fmac_f32_e32 v38, v7, v163
	s_waitcnt vmcnt(25)
	v_fmac_f32_e32 v39, v9, v164
	v_add_f32_e32 v38, 0, v38
	s_waitcnt vmcnt(24)
	v_fmac_f32_e32 v40, v11, v165
	v_add_f32_e32 v38, v38, v39
	;; [unrolled: 3-line block ×14, first 2 shown]
	s_waitcnt vmcnt(11)
	v_mul_f32_e32 v43, v36, v178
	v_add_f32_e32 v42, v38, v54
	s_waitcnt vmcnt(10)
	v_fmac_f32_e32 v43, v37, v179
	ds_read_b128 v[38:41], v4 offset:576
	v_add_f32_e32 v47, v42, v43
	ds_read_b128 v[42:45], v4 offset:592
	buffer_load_dword v51, off, s[0:3], 0 offset:276
	buffer_load_dword v53, off, s[0:3], 0 offset:292
	;; [unrolled: 1-line block ×16, first 2 shown]
	v_mul_f32_e32 v5, v7, v5
	v_fma_f32 v5, v6, v163, -v5
	v_mul_f32_e32 v6, v9, v46
	v_add_f32_e32 v5, 0, v5
	v_fma_f32 v6, v8, v164, -v6
	v_add_f32_e32 v5, v5, v6
	v_mul_f32_e32 v6, v11, v48
	v_fma_f32 v6, v10, v165, -v6
	v_add_f32_e32 v5, v5, v6
	v_mul_f32_e32 v6, v13, v56
	;; [unrolled: 3-line block ×14, first 2 shown]
	v_fma_f32 v6, v36, v179, -v6
	v_add_f32_e32 v5, v5, v6
	s_waitcnt vmcnt(25) lgkmcnt(1)
	v_mul_f32_e32 v6, v39, v180
	s_waitcnt vmcnt(24)
	v_fma_f32 v6, v38, v181, -v6
	v_add_f32_e32 v5, v5, v6
	s_waitcnt vmcnt(23)
	v_mul_f32_e32 v6, v41, v182
	s_waitcnt vmcnt(22)
	v_fma_f32 v6, v40, v183, -v6
	v_add_f32_e32 v46, v5, v6
	ds_read_b128 v[6:9], v4 offset:608
	ds_read_b128 v[10:13], v4 offset:624
	;; [unrolled: 1-line block ×4, first 2 shown]
	v_mul_f32_e32 v49, v38, v180
	v_fmac_f32_e32 v49, v39, v181
	v_add_f32_e32 v47, v47, v49
	v_mul_f32_e32 v49, v40, v182
	v_fmac_f32_e32 v49, v41, v183
	v_add_f32_e32 v47, v47, v49
	s_waitcnt vmcnt(21) lgkmcnt(4)
	v_mul_f32_e32 v49, v42, v184
	v_mul_f32_e32 v5, v43, v184
	s_waitcnt vmcnt(20)
	v_fmac_f32_e32 v49, v43, v185
	s_waitcnt vmcnt(19)
	v_mul_f32_e32 v57, v44, v186
	v_fma_f32 v48, v42, v185, -v5
	v_mul_f32_e32 v5, v45, v186
	s_waitcnt vmcnt(18)
	v_fmac_f32_e32 v57, v45, v187
	v_fma_f32 v56, v44, v187, -v5
	v_pk_add_f32 v[4:5], v[46:47], v[48:49]
	v_pk_add_f32 v[4:5], v[4:5], v[56:57]
	s_waitcnt vmcnt(15)
	v_mov_b32_e32 v22, v51
	s_waitcnt lgkmcnt(3)
	v_pk_mul_f32 v[22:23], v[6:7], v[22:23] op_sel_hi:[1,0]
	s_waitcnt vmcnt(10)
	v_pk_fma_f32 v[24:25], v[6:7], v[50:51], v[22:23] op_sel:[0,0,1] op_sel_hi:[1,1,0] neg_lo:[0,0,1] neg_hi:[0,0,1]
	v_pk_fma_f32 v[6:7], v[6:7], v[50:51], v[22:23] op_sel:[0,0,1] op_sel_hi:[1,0,0]
	v_mov_b32_e32 v6, v55
	v_mov_b32_e32 v25, v7
	v_pk_mul_f32 v[6:7], v[8:9], v[6:7] op_sel_hi:[1,0]
	v_pk_fma_f32 v[22:23], v[8:9], v[54:55], v[6:7] op_sel:[0,0,1] op_sel_hi:[1,1,0] neg_lo:[0,0,1] neg_hi:[0,0,1]
	v_pk_fma_f32 v[6:7], v[8:9], v[54:55], v[6:7] op_sel:[0,0,1] op_sel_hi:[1,0,0]
	v_mov_b32_e32 v6, v53
	v_mov_b32_e32 v23, v7
	s_waitcnt lgkmcnt(2)
	v_pk_mul_f32 v[6:7], v[10:11], v[6:7] op_sel_hi:[1,0]
	v_pk_fma_f32 v[8:9], v[10:11], v[52:53], v[6:7] op_sel:[0,0,1] op_sel_hi:[1,1,0] neg_lo:[0,0,1] neg_hi:[0,0,1]
	v_pk_fma_f32 v[6:7], v[10:11], v[52:53], v[6:7] op_sel:[0,0,1] op_sel_hi:[1,0,0]
	v_pk_add_f32 v[4:5], v[4:5], v[24:25]
	s_waitcnt vmcnt(3)
	v_mov_b32_e32 v6, v149
	v_pk_add_f32 v[4:5], v[4:5], v[22:23]
	v_mov_b32_e32 v9, v7
	v_pk_mul_f32 v[6:7], v[12:13], v[6:7] op_sel_hi:[1,0]
	v_pk_add_f32 v[4:5], v[4:5], v[8:9]
	s_waitcnt vmcnt(2)
	v_pk_fma_f32 v[8:9], v[12:13], v[148:149], v[6:7] op_sel:[0,0,1] op_sel_hi:[1,1,0] neg_lo:[0,0,1] neg_hi:[0,0,1]
	v_pk_fma_f32 v[6:7], v[12:13], v[148:149], v[6:7] op_sel:[0,0,1] op_sel_hi:[1,0,0]
	v_mov_b32_e32 v6, v63
	v_mov_b32_e32 v9, v7
	s_waitcnt lgkmcnt(1)
	v_pk_mul_f32 v[6:7], v[14:15], v[6:7] op_sel_hi:[1,0]
	v_pk_add_f32 v[4:5], v[4:5], v[8:9]
	v_pk_fma_f32 v[8:9], v[14:15], v[62:63], v[6:7] op_sel:[0,0,1] op_sel_hi:[1,1,0] neg_lo:[0,0,1] neg_hi:[0,0,1]
	v_pk_fma_f32 v[6:7], v[14:15], v[62:63], v[6:7] op_sel:[0,0,1] op_sel_hi:[1,0,0]
	v_mov_b32_e32 v6, v61
	v_mov_b32_e32 v9, v7
	v_pk_mul_f32 v[6:7], v[16:17], v[6:7] op_sel_hi:[1,0]
	v_pk_add_f32 v[4:5], v[4:5], v[8:9]
	v_pk_fma_f32 v[8:9], v[16:17], v[60:61], v[6:7] op_sel:[0,0,1] op_sel_hi:[1,1,0] neg_lo:[0,0,1] neg_hi:[0,0,1]
	v_pk_fma_f32 v[6:7], v[16:17], v[60:61], v[6:7] op_sel:[0,0,1] op_sel_hi:[1,0,0]
	v_mov_b32_e32 v6, v59
	v_mov_b32_e32 v9, v7
	s_waitcnt lgkmcnt(0)
	v_pk_mul_f32 v[6:7], v[18:19], v[6:7] op_sel_hi:[1,0]
	v_pk_add_f32 v[4:5], v[4:5], v[8:9]
	v_pk_fma_f32 v[8:9], v[18:19], v[58:59], v[6:7] op_sel:[0,0,1] op_sel_hi:[1,1,0] neg_lo:[0,0,1] neg_hi:[0,0,1]
	v_pk_fma_f32 v[6:7], v[18:19], v[58:59], v[6:7] op_sel:[0,0,1] op_sel_hi:[1,0,0]
	s_waitcnt vmcnt(1)
	v_mov_b32_e32 v6, v151
	v_mov_b32_e32 v9, v7
	v_pk_mul_f32 v[6:7], v[20:21], v[6:7] op_sel_hi:[1,0]
	v_pk_add_f32 v[4:5], v[4:5], v[8:9]
	s_waitcnt vmcnt(0)
	v_pk_fma_f32 v[8:9], v[20:21], v[150:151], v[6:7] op_sel:[0,0,1] op_sel_hi:[1,1,0] neg_lo:[0,0,1] neg_hi:[0,0,1]
	v_pk_fma_f32 v[6:7], v[20:21], v[150:151], v[6:7] op_sel:[0,0,1] op_sel_hi:[1,0,0]
	v_mov_b32_e32 v9, v7
	v_pk_add_f32 v[4:5], v[4:5], v[8:9]
	v_pk_add_f32 v[2:3], v[2:3], v[4:5] neg_lo:[0,1] neg_hi:[0,1]
	buffer_store_dword v3, off, s[0:3], 0 offset:108
	buffer_store_dword v2, off, s[0:3], 0 offset:104
	s_and_saveexec_b64 s[4:5], vcc
	s_cbranch_execz .LBB41_241
; %bb.240:
	buffer_load_dword v2, off, s[0:3], 0 offset:96
	buffer_load_dword v3, off, s[0:3], 0 offset:100
	v_mov_b32_e32 v4, 0
	buffer_store_dword v4, off, s[0:3], 0 offset:96
	buffer_store_dword v4, off, s[0:3], 0 offset:100
	s_waitcnt vmcnt(2)
	ds_write_b64 v1, v[2:3]
.LBB41_241:
	s_or_b64 exec, exec, s[4:5]
	s_waitcnt lgkmcnt(0)
	; wave barrier
	s_waitcnt lgkmcnt(0)
	buffer_load_dword v5, off, s[0:3], 0 offset:108
	buffer_load_dword v54, off, s[0:3], 0 offset:116
	;; [unrolled: 1-line block ×44, first 2 shown]
	v_mov_b32_e32 v4, 0
	ds_read2_b64 v[6:9], v4 offset0:55 offset1:56
	ds_read2_b64 v[10:13], v4 offset0:57 offset1:58
	;; [unrolled: 1-line block ×8, first 2 shown]
	v_cmp_lt_u32_e32 vcc, 11, v0
	s_waitcnt vmcnt(43) lgkmcnt(7)
	v_mul_f32_e32 v38, v6, v5
	s_waitcnt vmcnt(42)
	v_mul_f32_e32 v39, v8, v54
	s_waitcnt vmcnt(41) lgkmcnt(6)
	v_mul_f32_e32 v40, v10, v60
	s_waitcnt vmcnt(40)
	v_mul_f32_e32 v41, v12, v62
	;; [unrolled: 4-line block ×7, first 2 shown]
	s_waitcnt vmcnt(29)
	v_fmac_f32_e32 v38, v7, v170
	s_waitcnt vmcnt(28)
	v_fmac_f32_e32 v39, v9, v171
	v_add_f32_e32 v38, 0, v38
	s_waitcnt vmcnt(27)
	v_fmac_f32_e32 v40, v11, v172
	v_add_f32_e32 v38, v38, v39
	s_waitcnt vmcnt(26)
	v_fmac_f32_e32 v41, v13, v173
	v_add_f32_e32 v38, v38, v40
	s_waitcnt vmcnt(25)
	v_fmac_f32_e32 v42, v15, v174
	v_add_f32_e32 v38, v38, v41
	s_waitcnt vmcnt(24)
	v_fmac_f32_e32 v43, v17, v175
	v_add_f32_e32 v38, v38, v42
	s_waitcnt vmcnt(23)
	v_fmac_f32_e32 v44, v19, v176
	v_add_f32_e32 v38, v38, v43
	s_waitcnt vmcnt(22)
	v_fmac_f32_e32 v45, v21, v177
	v_add_f32_e32 v38, v38, v44
	s_waitcnt vmcnt(21)
	v_fmac_f32_e32 v46, v23, v178
	v_add_f32_e32 v38, v38, v45
	s_waitcnt vmcnt(20)
	v_fmac_f32_e32 v47, v25, v179
	v_add_f32_e32 v38, v38, v46
	s_waitcnt vmcnt(19)
	v_fmac_f32_e32 v48, v27, v180
	v_add_f32_e32 v38, v38, v47
	s_waitcnt vmcnt(18)
	v_fmac_f32_e32 v49, v29, v181
	v_add_f32_e32 v38, v38, v48
	s_waitcnt vmcnt(17)
	v_fmac_f32_e32 v50, v31, v182
	v_add_f32_e32 v38, v38, v49
	v_add_f32_e32 v38, v38, v50
	s_waitcnt vmcnt(16)
	v_fmac_f32_e32 v51, v33, v183
	s_waitcnt vmcnt(15) lgkmcnt(0)
	v_mul_f32_e32 v39, v34, v184
	v_add_f32_e32 v38, v38, v51
	s_waitcnt vmcnt(14)
	v_fmac_f32_e32 v39, v35, v185
	v_add_f32_e32 v42, v38, v39
	ds_read2_b64 v[38:41], v4 offset0:71 offset1:72
	s_waitcnt vmcnt(13)
	v_mul_f32_e32 v43, v36, v186
	s_waitcnt vmcnt(12)
	v_fmac_f32_e32 v43, v37, v187
	v_add_f32_e32 v46, v42, v43
	ds_read2_b64 v[42:45], v4 offset0:73 offset1:74
	s_waitcnt vmcnt(11) lgkmcnt(1)
	v_mul_f32_e32 v47, v38, v188
	s_waitcnt vmcnt(10)
	v_fmac_f32_e32 v47, v39, v189
	v_add_f32_e32 v46, v46, v47
	s_waitcnt vmcnt(9)
	v_mul_f32_e32 v47, v40, v190
	s_waitcnt vmcnt(8)
	v_fmac_f32_e32 v47, v41, v191
	v_add_f32_e32 v46, v46, v47
	s_waitcnt vmcnt(7) lgkmcnt(0)
	v_mul_f32_e32 v47, v42, v192
	s_waitcnt vmcnt(6)
	v_fmac_f32_e32 v47, v43, v193
	v_add_f32_e32 v55, v46, v47
	ds_read2_b64 v[46:49], v4 offset0:75 offset1:76
	buffer_load_dword v57, off, s[0:3], 0 offset:284
	buffer_load_dword v56, off, s[0:3], 0 offset:280
	;; [unrolled: 1-line block ×4, first 2 shown]
	ds_read2_b64 v[50:53], v4 offset0:77 offset1:78
	buffer_load_dword v149, off, s[0:3], 0 offset:316
	buffer_load_dword v148, off, s[0:3], 0 offset:312
	;; [unrolled: 1-line block ×12, first 2 shown]
	v_mul_f32_e32 v5, v7, v5
	v_fma_f32 v5, v6, v170, -v5
	v_mul_f32_e32 v6, v9, v54
	v_add_f32_e32 v5, 0, v5
	v_fma_f32 v6, v8, v171, -v6
	v_add_f32_e32 v5, v5, v6
	v_mul_f32_e32 v6, v11, v60
	v_fma_f32 v6, v10, v172, -v6
	v_add_f32_e32 v5, v5, v6
	v_mul_f32_e32 v6, v13, v62
	;; [unrolled: 3-line block ×17, first 2 shown]
	v_fma_f32 v6, v42, v193, -v6
	s_waitcnt vmcnt(21)
	v_mul_f32_e32 v61, v44, v194
	v_add_f32_e32 v54, v5, v6
	v_mul_f32_e32 v5, v45, v194
	s_waitcnt vmcnt(20)
	v_fmac_f32_e32 v61, v45, v195
	s_waitcnt vmcnt(19) lgkmcnt(1)
	v_mul_f32_e32 v63, v46, v196
	v_fma_f32 v60, v44, v195, -v5
	v_mul_f32_e32 v5, v47, v196
	s_waitcnt vmcnt(18)
	v_fmac_f32_e32 v63, v47, v197
	v_fma_f32 v62, v46, v197, -v5
	v_pk_add_f32 v[16:17], v[54:55], v[60:61]
	v_pk_add_f32 v[16:17], v[16:17], v[62:63]
	ds_read2_b64 v[6:9], v4 offset0:79 offset1:80
	ds_read2_b64 v[10:13], v4 offset0:81 offset1:82
	ds_read_b64 v[14:15], v4 offset:664
	s_waitcnt vmcnt(13)
	v_mov_b32_e32 v18, v59
	v_pk_mul_f32 v[18:19], v[48:49], v[18:19] op_sel_hi:[1,0]
	s_waitcnt vmcnt(12)
	v_pk_fma_f32 v[20:21], v[48:49], v[58:59], v[18:19] op_sel:[0,0,1] op_sel_hi:[1,1,0] neg_lo:[0,0,1] neg_hi:[0,0,1]
	v_pk_fma_f32 v[18:19], v[48:49], v[58:59], v[18:19] op_sel:[0,0,1] op_sel_hi:[1,0,0]
	v_mov_b32_e32 v18, v57
	v_mov_b32_e32 v21, v19
	s_waitcnt lgkmcnt(3)
	v_pk_mul_f32 v[18:19], v[50:51], v[18:19] op_sel_hi:[1,0]
	v_pk_add_f32 v[16:17], v[16:17], v[20:21]
	v_pk_fma_f32 v[20:21], v[50:51], v[56:57], v[18:19] op_sel:[0,0,1] op_sel_hi:[1,1,0] neg_lo:[0,0,1] neg_hi:[0,0,1]
	v_pk_fma_f32 v[18:19], v[50:51], v[56:57], v[18:19] op_sel:[0,0,1] op_sel_hi:[1,0,0]
	s_waitcnt vmcnt(5)
	v_mov_b32_e32 v18, v155
	v_mov_b32_e32 v21, v19
	v_pk_mul_f32 v[18:19], v[52:53], v[18:19] op_sel_hi:[1,0]
	v_pk_add_f32 v[16:17], v[16:17], v[20:21]
	s_waitcnt vmcnt(4)
	v_pk_fma_f32 v[20:21], v[52:53], v[154:155], v[18:19] op_sel:[0,0,1] op_sel_hi:[1,1,0] neg_lo:[0,0,1] neg_hi:[0,0,1]
	v_pk_fma_f32 v[18:19], v[52:53], v[154:155], v[18:19] op_sel:[0,0,1] op_sel_hi:[1,0,0]
	v_mov_b32_e32 v18, v153
	v_mov_b32_e32 v21, v19
	s_waitcnt lgkmcnt(2)
	v_pk_mul_f32 v[18:19], v[6:7], v[18:19] op_sel_hi:[1,0]
	v_pk_add_f32 v[16:17], v[16:17], v[20:21]
	v_pk_fma_f32 v[20:21], v[6:7], v[152:153], v[18:19] op_sel:[0,0,1] op_sel_hi:[1,1,0] neg_lo:[0,0,1] neg_hi:[0,0,1]
	v_pk_fma_f32 v[6:7], v[6:7], v[152:153], v[18:19] op_sel:[0,0,1] op_sel_hi:[1,0,0]
	v_mov_b32_e32 v21, v7
	v_pk_add_f32 v[6:7], v[16:17], v[20:21]
	v_mov_b32_e32 v16, v151
	v_pk_mul_f32 v[16:17], v[8:9], v[16:17] op_sel_hi:[1,0]
	v_pk_fma_f32 v[18:19], v[8:9], v[150:151], v[16:17] op_sel:[0,0,1] op_sel_hi:[1,1,0] neg_lo:[0,0,1] neg_hi:[0,0,1]
	v_pk_fma_f32 v[8:9], v[8:9], v[150:151], v[16:17] op_sel:[0,0,1] op_sel_hi:[1,0,0]
	v_mov_b32_e32 v8, v149
	v_mov_b32_e32 v19, v9
	s_waitcnt lgkmcnt(1)
	v_pk_mul_f32 v[8:9], v[10:11], v[8:9] op_sel_hi:[1,0]
	v_pk_fma_f32 v[16:17], v[10:11], v[148:149], v[8:9] op_sel:[0,0,1] op_sel_hi:[1,1,0] neg_lo:[0,0,1] neg_hi:[0,0,1]
	v_pk_fma_f32 v[8:9], v[10:11], v[148:149], v[8:9] op_sel:[0,0,1] op_sel_hi:[1,0,0]
	s_waitcnt vmcnt(1)
	v_mov_b32_e32 v8, v159
	v_mov_b32_e32 v17, v9
	v_pk_mul_f32 v[8:9], v[12:13], v[8:9] op_sel_hi:[1,0]
	s_waitcnt vmcnt(0)
	v_pk_fma_f32 v[10:11], v[12:13], v[158:159], v[8:9] op_sel:[0,0,1] op_sel_hi:[1,1,0] neg_lo:[0,0,1] neg_hi:[0,0,1]
	v_pk_fma_f32 v[8:9], v[12:13], v[158:159], v[8:9] op_sel:[0,0,1] op_sel_hi:[1,0,0]
	v_pk_add_f32 v[6:7], v[6:7], v[18:19]
	v_mov_b32_e32 v8, v157
	v_pk_add_f32 v[6:7], v[6:7], v[16:17]
	v_mov_b32_e32 v11, v9
	s_waitcnt lgkmcnt(0)
	v_pk_mul_f32 v[8:9], v[14:15], v[8:9] op_sel_hi:[1,0]
	v_pk_add_f32 v[6:7], v[6:7], v[10:11]
	v_pk_fma_f32 v[10:11], v[14:15], v[156:157], v[8:9] op_sel:[0,0,1] op_sel_hi:[1,1,0] neg_lo:[0,0,1] neg_hi:[0,0,1]
	v_pk_fma_f32 v[8:9], v[14:15], v[156:157], v[8:9] op_sel:[0,0,1] op_sel_hi:[1,0,0]
	v_mov_b32_e32 v11, v9
	v_pk_add_f32 v[6:7], v[6:7], v[10:11]
	v_pk_add_f32 v[2:3], v[2:3], v[6:7] neg_lo:[0,1] neg_hi:[0,1]
	buffer_store_dword v3, off, s[0:3], 0 offset:100
	buffer_store_dword v2, off, s[0:3], 0 offset:96
	s_and_saveexec_b64 s[4:5], vcc
	s_cbranch_execz .LBB41_243
; %bb.242:
	buffer_load_dword v2, off, s[0:3], 0 offset:88
	buffer_load_dword v3, off, s[0:3], 0 offset:92
	s_waitcnt vmcnt(0)
	ds_write_b64 v1, v[2:3]
	buffer_store_dword v4, off, s[0:3], 0 offset:88
	buffer_store_dword v4, off, s[0:3], 0 offset:92
.LBB41_243:
	s_or_b64 exec, exec, s[4:5]
	s_waitcnt lgkmcnt(0)
	; wave barrier
	s_waitcnt lgkmcnt(0)
	buffer_load_dword v5, off, s[0:3], 0 offset:100
	buffer_load_dword v56, off, s[0:3], 0 offset:108
	;; [unrolled: 1-line block ×46, first 2 shown]
	ds_read_b128 v[6:9], v4 offset:432
	ds_read_b128 v[10:13], v4 offset:448
	;; [unrolled: 1-line block ×8, first 2 shown]
	v_cmp_lt_u32_e32 vcc, 10, v0
	s_waitcnt vmcnt(45) lgkmcnt(7)
	v_mul_f32_e32 v38, v6, v5
	s_waitcnt vmcnt(44)
	v_mul_f32_e32 v39, v8, v56
	s_waitcnt vmcnt(43) lgkmcnt(6)
	v_mul_f32_e32 v40, v10, v58
	s_waitcnt vmcnt(42)
	v_mul_f32_e32 v41, v12, v60
	;; [unrolled: 4-line block ×6, first 2 shown]
	s_waitcnt vmcnt(33) lgkmcnt(1)
	v_mul_f32_e32 v50, v30, v168
	s_waitcnt vmcnt(32)
	v_fmac_f32_e32 v38, v7, v169
	s_waitcnt vmcnt(31)
	v_fmac_f32_e32 v39, v9, v170
	v_add_f32_e32 v38, 0, v38
	s_waitcnt vmcnt(30)
	v_fmac_f32_e32 v40, v11, v171
	v_add_f32_e32 v38, v38, v39
	;; [unrolled: 3-line block ×12, first 2 shown]
	s_waitcnt vmcnt(19)
	v_mul_f32_e32 v39, v32, v182
	v_add_f32_e32 v38, v38, v50
	s_waitcnt vmcnt(18)
	v_fmac_f32_e32 v39, v33, v183
	v_add_f32_e32 v38, v38, v39
	s_waitcnt vmcnt(17) lgkmcnt(0)
	v_mul_f32_e32 v39, v34, v184
	s_waitcnt vmcnt(16)
	v_fmac_f32_e32 v39, v35, v185
	v_add_f32_e32 v42, v38, v39
	ds_read_b128 v[38:41], v4 offset:560
	s_waitcnt vmcnt(15)
	v_mul_f32_e32 v43, v36, v186
	s_waitcnt vmcnt(14)
	v_fmac_f32_e32 v43, v37, v187
	v_add_f32_e32 v46, v42, v43
	ds_read_b128 v[42:45], v4 offset:576
	buffer_load_dword v55, off, s[0:3], 0 offset:276
	buffer_load_dword v54, off, s[0:3], 0 offset:272
	s_waitcnt vmcnt(15) lgkmcnt(1)
	v_mul_f32_e32 v47, v38, v188
	s_waitcnt vmcnt(14)
	v_fmac_f32_e32 v47, v39, v189
	v_add_f32_e32 v46, v46, v47
	s_waitcnt vmcnt(13)
	v_mul_f32_e32 v47, v40, v190
	s_waitcnt vmcnt(12)
	v_fmac_f32_e32 v47, v41, v191
	v_add_f32_e32 v46, v46, v47
	s_waitcnt vmcnt(11) lgkmcnt(0)
	v_mul_f32_e32 v47, v42, v192
	s_waitcnt vmcnt(10)
	v_fmac_f32_e32 v47, v43, v193
	s_waitcnt vmcnt(9)
	v_mul_f32_e32 v51, v44, v194
	v_add_f32_e32 v50, v46, v47
	s_waitcnt vmcnt(8)
	v_fmac_f32_e32 v51, v45, v195
	ds_read_b128 v[46:49], v4 offset:592
	v_add_f32_e32 v57, v50, v51
	ds_read_b128 v[50:53], v4 offset:608
	buffer_load_dword v63, off, s[0:3], 0 offset:308
	buffer_load_dword v62, off, s[0:3], 0 offset:304
	;; [unrolled: 1-line block ×14, first 2 shown]
	v_mul_f32_e32 v5, v7, v5
	v_fma_f32 v5, v6, v169, -v5
	v_mul_f32_e32 v6, v9, v56
	v_add_f32_e32 v5, 0, v5
	v_fma_f32 v6, v8, v170, -v6
	v_add_f32_e32 v5, v5, v6
	v_mul_f32_e32 v6, v11, v58
	v_fma_f32 v6, v10, v171, -v6
	v_add_f32_e32 v5, v5, v6
	v_mul_f32_e32 v6, v13, v60
	;; [unrolled: 3-line block ×18, first 2 shown]
	v_fma_f32 v6, v44, v195, -v6
	s_waitcnt vmcnt(21) lgkmcnt(1)
	v_mul_f32_e32 v59, v46, v196
	v_add_f32_e32 v56, v5, v6
	v_mul_f32_e32 v5, v47, v196
	s_waitcnt vmcnt(20)
	v_fmac_f32_e32 v59, v47, v197
	s_waitcnt vmcnt(15)
	v_mov_b32_e32 v18, v55
	s_waitcnt lgkmcnt(0)
	v_pk_mul_f32 v[18:19], v[50:51], v[18:19] op_sel_hi:[1,0]
	v_mul_f32_e32 v61, v48, v198
	v_fma_f32 v58, v46, v197, -v5
	v_mul_f32_e32 v5, v49, v198
	s_waitcnt vmcnt(14)
	v_pk_fma_f32 v[20:21], v[50:51], v[54:55], v[18:19] op_sel:[0,0,1] op_sel_hi:[1,1,0] neg_lo:[0,0,1] neg_hi:[0,0,1]
	v_pk_fma_f32 v[18:19], v[50:51], v[54:55], v[18:19] op_sel:[0,0,1] op_sel_hi:[1,0,0]
	v_fmac_f32_e32 v61, v49, v199
	v_fma_f32 v60, v48, v199, -v5
	ds_read_b128 v[6:9], v4 offset:624
	ds_read_b128 v[10:13], v4 offset:640
	;; [unrolled: 1-line block ×3, first 2 shown]
	v_pk_add_f32 v[4:5], v[56:57], v[58:59]
	s_waitcnt vmcnt(7)
	v_mov_b32_e32 v18, v153
	v_pk_add_f32 v[4:5], v[4:5], v[60:61]
	v_mov_b32_e32 v21, v19
	v_pk_mul_f32 v[18:19], v[52:53], v[18:19] op_sel_hi:[1,0]
	v_pk_add_f32 v[4:5], v[4:5], v[20:21]
	s_waitcnt vmcnt(6)
	v_pk_fma_f32 v[20:21], v[52:53], v[152:153], v[18:19] op_sel:[0,0,1] op_sel_hi:[1,1,0] neg_lo:[0,0,1] neg_hi:[0,0,1]
	v_pk_fma_f32 v[18:19], v[52:53], v[152:153], v[18:19] op_sel:[0,0,1] op_sel_hi:[1,0,0]
	v_mov_b32_e32 v18, v151
	v_mov_b32_e32 v21, v19
	s_waitcnt lgkmcnt(2)
	v_pk_mul_f32 v[18:19], v[6:7], v[18:19] op_sel_hi:[1,0]
	v_pk_add_f32 v[4:5], v[4:5], v[20:21]
	v_pk_fma_f32 v[20:21], v[6:7], v[150:151], v[18:19] op_sel:[0,0,1] op_sel_hi:[1,1,0] neg_lo:[0,0,1] neg_hi:[0,0,1]
	v_pk_fma_f32 v[6:7], v[6:7], v[150:151], v[18:19] op_sel:[0,0,1] op_sel_hi:[1,0,0]
	v_mov_b32_e32 v6, v149
	v_mov_b32_e32 v21, v7
	v_pk_mul_f32 v[6:7], v[8:9], v[6:7] op_sel_hi:[1,0]
	v_pk_fma_f32 v[18:19], v[8:9], v[148:149], v[6:7] op_sel:[0,0,1] op_sel_hi:[1,1,0] neg_lo:[0,0,1] neg_hi:[0,0,1]
	v_pk_fma_f32 v[6:7], v[8:9], v[148:149], v[6:7] op_sel:[0,0,1] op_sel_hi:[1,0,0]
	v_mov_b32_e32 v6, v63
	v_mov_b32_e32 v19, v7
	s_waitcnt lgkmcnt(1)
	v_pk_mul_f32 v[6:7], v[10:11], v[6:7] op_sel_hi:[1,0]
	v_pk_fma_f32 v[8:9], v[10:11], v[62:63], v[6:7] op_sel:[0,0,1] op_sel_hi:[1,1,0] neg_lo:[0,0,1] neg_hi:[0,0,1]
	v_pk_fma_f32 v[6:7], v[10:11], v[62:63], v[6:7] op_sel:[0,0,1] op_sel_hi:[1,0,0]
	v_pk_add_f32 v[4:5], v[4:5], v[20:21]
	s_waitcnt vmcnt(1)
	v_mov_b32_e32 v6, v159
	v_pk_add_f32 v[4:5], v[4:5], v[18:19]
	v_mov_b32_e32 v9, v7
	v_pk_mul_f32 v[6:7], v[12:13], v[6:7] op_sel_hi:[1,0]
	v_pk_add_f32 v[4:5], v[4:5], v[8:9]
	s_waitcnt vmcnt(0)
	v_pk_fma_f32 v[8:9], v[12:13], v[158:159], v[6:7] op_sel:[0,0,1] op_sel_hi:[1,1,0] neg_lo:[0,0,1] neg_hi:[0,0,1]
	v_pk_fma_f32 v[6:7], v[12:13], v[158:159], v[6:7] op_sel:[0,0,1] op_sel_hi:[1,0,0]
	v_mov_b32_e32 v6, v157
	v_mov_b32_e32 v9, v7
	s_waitcnt lgkmcnt(0)
	v_pk_mul_f32 v[6:7], v[14:15], v[6:7] op_sel_hi:[1,0]
	v_pk_add_f32 v[4:5], v[4:5], v[8:9]
	v_pk_fma_f32 v[8:9], v[14:15], v[156:157], v[6:7] op_sel:[0,0,1] op_sel_hi:[1,1,0] neg_lo:[0,0,1] neg_hi:[0,0,1]
	v_pk_fma_f32 v[6:7], v[14:15], v[156:157], v[6:7] op_sel:[0,0,1] op_sel_hi:[1,0,0]
	v_mov_b32_e32 v6, v155
	v_mov_b32_e32 v9, v7
	v_pk_mul_f32 v[6:7], v[16:17], v[6:7] op_sel_hi:[1,0]
	v_pk_add_f32 v[4:5], v[4:5], v[8:9]
	v_pk_fma_f32 v[8:9], v[16:17], v[154:155], v[6:7] op_sel:[0,0,1] op_sel_hi:[1,1,0] neg_lo:[0,0,1] neg_hi:[0,0,1]
	v_pk_fma_f32 v[6:7], v[16:17], v[154:155], v[6:7] op_sel:[0,0,1] op_sel_hi:[1,0,0]
	v_mov_b32_e32 v9, v7
	v_pk_add_f32 v[4:5], v[4:5], v[8:9]
	v_pk_add_f32 v[2:3], v[2:3], v[4:5] neg_lo:[0,1] neg_hi:[0,1]
	buffer_store_dword v3, off, s[0:3], 0 offset:92
	buffer_store_dword v2, off, s[0:3], 0 offset:88
	s_and_saveexec_b64 s[4:5], vcc
	s_cbranch_execz .LBB41_245
; %bb.244:
	buffer_load_dword v2, off, s[0:3], 0 offset:80
	buffer_load_dword v3, off, s[0:3], 0 offset:84
	v_mov_b32_e32 v4, 0
	buffer_store_dword v4, off, s[0:3], 0 offset:80
	buffer_store_dword v4, off, s[0:3], 0 offset:84
	s_waitcnt vmcnt(2)
	ds_write_b64 v1, v[2:3]
.LBB41_245:
	s_or_b64 exec, exec, s[4:5]
	s_waitcnt lgkmcnt(0)
	; wave barrier
	s_waitcnt lgkmcnt(0)
	buffer_load_dword v5, off, s[0:3], 0 offset:92
	buffer_load_dword v54, off, s[0:3], 0 offset:100
	buffer_load_dword v56, off, s[0:3], 0 offset:108
	buffer_load_dword v58, off, s[0:3], 0 offset:116
	buffer_load_dword v160, off, s[0:3], 0 offset:124
	buffer_load_dword v161, off, s[0:3], 0 offset:132
	buffer_load_dword v162, off, s[0:3], 0 offset:140
	buffer_load_dword v163, off, s[0:3], 0 offset:148
	buffer_load_dword v164, off, s[0:3], 0 offset:156
	buffer_load_dword v165, off, s[0:3], 0 offset:164
	buffer_load_dword v166, off, s[0:3], 0 offset:172
	buffer_load_dword v167, off, s[0:3], 0 offset:180
	buffer_load_dword v168, off, s[0:3], 0 offset:88
	buffer_load_dword v169, off, s[0:3], 0 offset:96
	buffer_load_dword v170, off, s[0:3], 0 offset:104
	buffer_load_dword v171, off, s[0:3], 0 offset:112
	buffer_load_dword v172, off, s[0:3], 0 offset:120
	buffer_load_dword v173, off, s[0:3], 0 offset:128
	buffer_load_dword v174, off, s[0:3], 0 offset:136
	buffer_load_dword v175, off, s[0:3], 0 offset:144
	buffer_load_dword v176, off, s[0:3], 0 offset:152
	buffer_load_dword v177, off, s[0:3], 0 offset:160
	buffer_load_dword v178, off, s[0:3], 0 offset:168
	buffer_load_dword v179, off, s[0:3], 0 offset:176
	buffer_load_dword v180, off, s[0:3], 0 offset:188
	buffer_load_dword v181, off, s[0:3], 0 offset:184
	buffer_load_dword v182, off, s[0:3], 0 offset:196
	buffer_load_dword v183, off, s[0:3], 0 offset:192
	buffer_load_dword v184, off, s[0:3], 0 offset:204
	buffer_load_dword v185, off, s[0:3], 0 offset:200
	buffer_load_dword v186, off, s[0:3], 0 offset:212
	buffer_load_dword v187, off, s[0:3], 0 offset:208
	buffer_load_dword v188, off, s[0:3], 0 offset:220
	buffer_load_dword v189, off, s[0:3], 0 offset:216
	buffer_load_dword v190, off, s[0:3], 0 offset:228
	buffer_load_dword v191, off, s[0:3], 0 offset:224
	buffer_load_dword v192, off, s[0:3], 0 offset:236
	buffer_load_dword v193, off, s[0:3], 0 offset:232
	buffer_load_dword v194, off, s[0:3], 0 offset:244
	buffer_load_dword v195, off, s[0:3], 0 offset:240
	buffer_load_dword v196, off, s[0:3], 0 offset:248
	buffer_load_dword v197, off, s[0:3], 0 offset:252
	buffer_load_dword v2, off, s[0:3], 0 offset:80
	buffer_load_dword v3, off, s[0:3], 0 offset:84
	buffer_load_dword v198, off, s[0:3], 0 offset:260
	buffer_load_dword v199, off, s[0:3], 0 offset:256
	buffer_load_dword v200, off, s[0:3], 0 offset:268
	buffer_load_dword v201, off, s[0:3], 0 offset:264
	v_mov_b32_e32 v4, 0
	ds_read2_b64 v[6:9], v4 offset0:53 offset1:54
	ds_read2_b64 v[10:13], v4 offset0:55 offset1:56
	;; [unrolled: 1-line block ×6, first 2 shown]
	v_cmp_lt_u32_e32 vcc, 9, v0
	s_waitcnt vmcnt(47) lgkmcnt(5)
	v_mul_f32_e32 v30, v6, v5
	s_waitcnt vmcnt(46)
	v_mul_f32_e32 v31, v8, v54
	s_waitcnt vmcnt(45) lgkmcnt(4)
	v_mul_f32_e32 v32, v10, v56
	s_waitcnt vmcnt(44)
	v_mul_f32_e32 v33, v12, v58
	;; [unrolled: 4-line block ×6, first 2 shown]
	s_waitcnt vmcnt(35)
	v_fmac_f32_e32 v30, v7, v168
	s_waitcnt vmcnt(34)
	v_fmac_f32_e32 v31, v9, v169
	v_add_f32_e32 v30, 0, v30
	s_waitcnt vmcnt(33)
	v_fmac_f32_e32 v32, v11, v170
	v_add_f32_e32 v30, v30, v31
	;; [unrolled: 3-line block ×8, first 2 shown]
	v_add_f32_e32 v34, v30, v38
	ds_read2_b64 v[30:33], v4 offset0:65 offset1:66
	s_waitcnt vmcnt(26)
	v_fmac_f32_e32 v39, v25, v177
	s_waitcnt vmcnt(25)
	v_fmac_f32_e32 v40, v27, v178
	v_add_f32_e32 v34, v34, v39
	s_waitcnt vmcnt(24)
	v_fmac_f32_e32 v41, v29, v179
	v_add_f32_e32 v34, v34, v40
	v_add_f32_e32 v38, v34, v41
	ds_read2_b64 v[34:37], v4 offset0:67 offset1:68
	s_waitcnt vmcnt(23) lgkmcnt(1)
	v_mul_f32_e32 v39, v30, v180
	s_waitcnt vmcnt(22)
	v_fmac_f32_e32 v39, v31, v181
	v_add_f32_e32 v38, v38, v39
	s_waitcnt vmcnt(21)
	v_mul_f32_e32 v39, v32, v182
	s_waitcnt vmcnt(20)
	v_fmac_f32_e32 v39, v33, v183
	v_add_f32_e32 v38, v38, v39
	s_waitcnt vmcnt(19) lgkmcnt(0)
	v_mul_f32_e32 v39, v34, v184
	s_waitcnt vmcnt(18)
	v_fmac_f32_e32 v39, v35, v185
	v_add_f32_e32 v42, v38, v39
	ds_read2_b64 v[38:41], v4 offset0:69 offset1:70
	s_waitcnt vmcnt(17)
	v_mul_f32_e32 v43, v36, v186
	s_waitcnt vmcnt(16)
	v_fmac_f32_e32 v43, v37, v187
	v_add_f32_e32 v46, v42, v43
	ds_read2_b64 v[42:45], v4 offset0:71 offset1:72
	s_waitcnt vmcnt(15) lgkmcnt(1)
	v_mul_f32_e32 v47, v38, v188
	s_waitcnt vmcnt(14)
	v_fmac_f32_e32 v47, v39, v189
	v_add_f32_e32 v46, v46, v47
	s_waitcnt vmcnt(13)
	v_mul_f32_e32 v47, v40, v190
	s_waitcnt vmcnt(12)
	v_fmac_f32_e32 v47, v41, v191
	v_add_f32_e32 v46, v46, v47
	s_waitcnt vmcnt(11) lgkmcnt(0)
	v_mul_f32_e32 v47, v42, v192
	s_waitcnt vmcnt(10)
	v_fmac_f32_e32 v47, v43, v193
	s_waitcnt vmcnt(9)
	v_mul_f32_e32 v51, v44, v194
	v_add_f32_e32 v50, v46, v47
	s_waitcnt vmcnt(8)
	v_fmac_f32_e32 v51, v45, v195
	ds_read2_b64 v[46:49], v4 offset0:73 offset1:74
	v_add_f32_e32 v55, v50, v51
	ds_read2_b64 v[50:53], v4 offset0:75 offset1:76
	buffer_load_dword v61, off, s[0:3], 0 offset:300
	buffer_load_dword v60, off, s[0:3], 0 offset:296
	;; [unrolled: 1-line block ×16, first 2 shown]
	v_mul_f32_e32 v5, v7, v5
	v_fma_f32 v5, v6, v168, -v5
	v_mul_f32_e32 v6, v9, v54
	v_add_f32_e32 v5, 0, v5
	v_fma_f32 v6, v8, v169, -v6
	v_add_f32_e32 v5, v5, v6
	v_mul_f32_e32 v6, v11, v56
	v_fma_f32 v6, v10, v170, -v6
	v_add_f32_e32 v5, v5, v6
	v_mul_f32_e32 v6, v13, v58
	;; [unrolled: 3-line block ×18, first 2 shown]
	v_fma_f32 v6, v44, v195, -v6
	s_waitcnt vmcnt(22) lgkmcnt(1)
	v_mul_f32_e32 v57, v46, v197
	v_add_f32_e32 v5, v5, v6
	v_mul_f32_e32 v6, v47, v197
	v_fmac_f32_e32 v57, v47, v196
	v_fma_f32 v6, v46, v196, -v6
	v_add_f32_e32 v55, v55, v57
	s_waitcnt vmcnt(19)
	v_mul_f32_e32 v57, v48, v198
	v_add_f32_e32 v54, v5, v6
	v_mul_f32_e32 v5, v49, v198
	s_waitcnt vmcnt(18)
	v_fmac_f32_e32 v57, v49, v199
	s_waitcnt vmcnt(17) lgkmcnt(0)
	v_mul_f32_e32 v59, v50, v200
	s_waitcnt vmcnt(9)
	v_mov_b32_e32 v22, v151
	v_pk_mul_f32 v[22:23], v[52:53], v[22:23] op_sel_hi:[1,0]
	v_fma_f32 v56, v48, v199, -v5
	v_mul_f32_e32 v5, v51, v200
	ds_read2_b64 v[6:9], v4 offset0:77 offset1:78
	ds_read2_b64 v[10:13], v4 offset0:79 offset1:80
	;; [unrolled: 1-line block ×3, first 2 shown]
	ds_read_b64 v[18:19], v4 offset:664
	s_waitcnt vmcnt(8)
	v_pk_fma_f32 v[24:25], v[52:53], v[150:151], v[22:23] op_sel:[0,0,1] op_sel_hi:[1,1,0] neg_lo:[0,0,1] neg_hi:[0,0,1]
	v_pk_fma_f32 v[22:23], v[52:53], v[150:151], v[22:23] op_sel:[0,0,1] op_sel_hi:[1,0,0]
	v_fmac_f32_e32 v59, v51, v201
	v_fma_f32 v58, v50, v201, -v5
	v_pk_add_f32 v[20:21], v[54:55], v[56:57]
	v_mov_b32_e32 v22, v149
	v_pk_add_f32 v[20:21], v[20:21], v[58:59]
	v_mov_b32_e32 v25, v23
	s_waitcnt lgkmcnt(3)
	v_pk_mul_f32 v[22:23], v[6:7], v[22:23] op_sel_hi:[1,0]
	v_pk_add_f32 v[20:21], v[20:21], v[24:25]
	v_pk_fma_f32 v[24:25], v[6:7], v[148:149], v[22:23] op_sel:[0,0,1] op_sel_hi:[1,1,0] neg_lo:[0,0,1] neg_hi:[0,0,1]
	v_pk_fma_f32 v[6:7], v[6:7], v[148:149], v[22:23] op_sel:[0,0,1] op_sel_hi:[1,0,0]
	v_mov_b32_e32 v25, v7
	v_pk_add_f32 v[6:7], v[20:21], v[24:25]
	v_mov_b32_e32 v20, v63
	v_pk_mul_f32 v[20:21], v[8:9], v[20:21] op_sel_hi:[1,0]
	v_pk_fma_f32 v[22:23], v[8:9], v[62:63], v[20:21] op_sel:[0,0,1] op_sel_hi:[1,1,0] neg_lo:[0,0,1] neg_hi:[0,0,1]
	v_pk_fma_f32 v[8:9], v[8:9], v[62:63], v[20:21] op_sel:[0,0,1] op_sel_hi:[1,0,0]
	v_mov_b32_e32 v8, v61
	v_mov_b32_e32 v23, v9
	s_waitcnt lgkmcnt(2)
	v_pk_mul_f32 v[8:9], v[10:11], v[8:9] op_sel_hi:[1,0]
	v_pk_fma_f32 v[20:21], v[10:11], v[60:61], v[8:9] op_sel:[0,0,1] op_sel_hi:[1,1,0] neg_lo:[0,0,1] neg_hi:[0,0,1]
	v_pk_fma_f32 v[8:9], v[10:11], v[60:61], v[8:9] op_sel:[0,0,1] op_sel_hi:[1,0,0]
	s_waitcnt vmcnt(1)
	v_mov_b32_e32 v8, v159
	v_mov_b32_e32 v21, v9
	v_pk_mul_f32 v[8:9], v[12:13], v[8:9] op_sel_hi:[1,0]
	s_waitcnt vmcnt(0)
	v_pk_fma_f32 v[10:11], v[12:13], v[158:159], v[8:9] op_sel:[0,0,1] op_sel_hi:[1,1,0] neg_lo:[0,0,1] neg_hi:[0,0,1]
	v_pk_fma_f32 v[8:9], v[12:13], v[158:159], v[8:9] op_sel:[0,0,1] op_sel_hi:[1,0,0]
	v_pk_add_f32 v[6:7], v[6:7], v[22:23]
	v_mov_b32_e32 v8, v157
	v_pk_add_f32 v[6:7], v[6:7], v[20:21]
	v_mov_b32_e32 v11, v9
	s_waitcnt lgkmcnt(1)
	v_pk_mul_f32 v[8:9], v[14:15], v[8:9] op_sel_hi:[1,0]
	v_pk_add_f32 v[6:7], v[6:7], v[10:11]
	v_pk_fma_f32 v[10:11], v[14:15], v[156:157], v[8:9] op_sel:[0,0,1] op_sel_hi:[1,1,0] neg_lo:[0,0,1] neg_hi:[0,0,1]
	v_pk_fma_f32 v[8:9], v[14:15], v[156:157], v[8:9] op_sel:[0,0,1] op_sel_hi:[1,0,0]
	v_mov_b32_e32 v8, v155
	v_mov_b32_e32 v11, v9
	v_pk_mul_f32 v[8:9], v[16:17], v[8:9] op_sel_hi:[1,0]
	v_pk_add_f32 v[6:7], v[6:7], v[10:11]
	v_pk_fma_f32 v[10:11], v[16:17], v[154:155], v[8:9] op_sel:[0,0,1] op_sel_hi:[1,1,0] neg_lo:[0,0,1] neg_hi:[0,0,1]
	v_pk_fma_f32 v[8:9], v[16:17], v[154:155], v[8:9] op_sel:[0,0,1] op_sel_hi:[1,0,0]
	v_mov_b32_e32 v8, v153
	v_mov_b32_e32 v11, v9
	s_waitcnt lgkmcnt(0)
	v_pk_mul_f32 v[8:9], v[18:19], v[8:9] op_sel_hi:[1,0]
	v_pk_add_f32 v[6:7], v[6:7], v[10:11]
	v_pk_fma_f32 v[10:11], v[18:19], v[152:153], v[8:9] op_sel:[0,0,1] op_sel_hi:[1,1,0] neg_lo:[0,0,1] neg_hi:[0,0,1]
	v_pk_fma_f32 v[8:9], v[18:19], v[152:153], v[8:9] op_sel:[0,0,1] op_sel_hi:[1,0,0]
	v_mov_b32_e32 v11, v9
	v_pk_add_f32 v[6:7], v[6:7], v[10:11]
	v_pk_add_f32 v[2:3], v[2:3], v[6:7] neg_lo:[0,1] neg_hi:[0,1]
	buffer_store_dword v3, off, s[0:3], 0 offset:84
	buffer_store_dword v2, off, s[0:3], 0 offset:80
	s_and_saveexec_b64 s[4:5], vcc
	s_cbranch_execz .LBB41_247
; %bb.246:
	buffer_load_dword v2, off, s[0:3], 0 offset:72
	buffer_load_dword v3, off, s[0:3], 0 offset:76
	s_waitcnt vmcnt(0)
	ds_write_b64 v1, v[2:3]
	buffer_store_dword v4, off, s[0:3], 0 offset:72
	buffer_store_dword v4, off, s[0:3], 0 offset:76
.LBB41_247:
	s_or_b64 exec, exec, s[4:5]
	s_waitcnt lgkmcnt(0)
	; wave barrier
	s_waitcnt lgkmcnt(0)
	buffer_load_dword v5, off, s[0:3], 0 offset:84
	buffer_load_dword v54, off, s[0:3], 0 offset:92
	;; [unrolled: 1-line block ×48, first 2 shown]
	ds_read_b128 v[6:9], v4 offset:416
	ds_read_b128 v[10:13], v4 offset:432
	;; [unrolled: 1-line block ×6, first 2 shown]
	buffer_load_dword v202, off, s[0:3], 0 offset:264
	buffer_load_dword v203, off, s[0:3], 0 offset:268
	v_cmp_lt_u32_e32 vcc, 8, v0
	s_waitcnt vmcnt(49) lgkmcnt(5)
	v_mul_f32_e32 v30, v6, v5
	s_waitcnt vmcnt(48)
	v_mul_f32_e32 v31, v8, v54
	s_waitcnt vmcnt(47) lgkmcnt(4)
	v_mul_f32_e32 v32, v10, v56
	s_waitcnt vmcnt(46)
	v_mul_f32_e32 v33, v12, v148
	;; [unrolled: 4-line block ×6, first 2 shown]
	s_waitcnt vmcnt(37)
	v_fmac_f32_e32 v30, v7, v168
	s_waitcnt vmcnt(36)
	v_fmac_f32_e32 v31, v9, v169
	v_add_f32_e32 v30, 0, v30
	s_waitcnt vmcnt(35)
	v_fmac_f32_e32 v32, v11, v170
	v_add_f32_e32 v30, v30, v31
	;; [unrolled: 3-line block ×9, first 2 shown]
	v_add_f32_e32 v34, v30, v39
	ds_read_b128 v[30:33], v4 offset:512
	s_waitcnt vmcnt(27)
	v_fmac_f32_e32 v40, v27, v178
	v_add_f32_e32 v34, v34, v40
	s_waitcnt vmcnt(26)
	v_fmac_f32_e32 v41, v29, v179
	v_add_f32_e32 v38, v34, v41
	ds_read_b128 v[34:37], v4 offset:528
	s_waitcnt vmcnt(25) lgkmcnt(1)
	v_mul_f32_e32 v39, v30, v180
	s_waitcnt vmcnt(24)
	v_fmac_f32_e32 v39, v31, v181
	v_add_f32_e32 v38, v38, v39
	s_waitcnt vmcnt(23)
	v_mul_f32_e32 v39, v32, v182
	s_waitcnt vmcnt(22)
	v_fmac_f32_e32 v39, v33, v183
	v_add_f32_e32 v38, v38, v39
	s_waitcnt vmcnt(21) lgkmcnt(0)
	v_mul_f32_e32 v39, v34, v184
	s_waitcnt vmcnt(20)
	v_fmac_f32_e32 v39, v35, v185
	v_add_f32_e32 v42, v38, v39
	ds_read_b128 v[38:41], v4 offset:544
	s_waitcnt vmcnt(19)
	v_mul_f32_e32 v43, v36, v186
	s_waitcnt vmcnt(18)
	v_fmac_f32_e32 v43, v37, v187
	v_add_f32_e32 v46, v42, v43
	ds_read_b128 v[42:45], v4 offset:560
	s_waitcnt vmcnt(17) lgkmcnt(1)
	v_mul_f32_e32 v47, v38, v188
	s_waitcnt vmcnt(16)
	v_fmac_f32_e32 v47, v39, v189
	v_add_f32_e32 v46, v46, v47
	s_waitcnt vmcnt(15)
	v_mul_f32_e32 v47, v40, v190
	s_waitcnt vmcnt(14)
	v_fmac_f32_e32 v47, v41, v191
	v_add_f32_e32 v46, v46, v47
	s_waitcnt vmcnt(13) lgkmcnt(0)
	v_mul_f32_e32 v47, v42, v192
	s_waitcnt vmcnt(12)
	v_fmac_f32_e32 v47, v43, v193
	s_waitcnt vmcnt(11)
	v_mul_f32_e32 v51, v44, v194
	v_add_f32_e32 v50, v46, v47
	s_waitcnt vmcnt(10)
	v_fmac_f32_e32 v51, v45, v195
	ds_read_b128 v[46:49], v4 offset:576
	v_add_f32_e32 v55, v50, v51
	ds_read_b128 v[50:53], v4 offset:592
	buffer_load_dword v59, off, s[0:3], 0 offset:292
	buffer_load_dword v58, off, s[0:3], 0 offset:288
	;; [unrolled: 1-line block ×16, first 2 shown]
	v_mul_f32_e32 v5, v7, v5
	v_fma_f32 v5, v6, v168, -v5
	v_mul_f32_e32 v6, v9, v54
	v_add_f32_e32 v5, 0, v5
	v_fma_f32 v6, v8, v169, -v6
	v_add_f32_e32 v5, v5, v6
	v_mul_f32_e32 v6, v11, v56
	v_fma_f32 v6, v10, v170, -v6
	v_add_f32_e32 v5, v5, v6
	v_mul_f32_e32 v6, v13, v148
	;; [unrolled: 3-line block ×18, first 2 shown]
	v_fma_f32 v6, v44, v195, -v6
	v_add_f32_e32 v5, v5, v6
	s_waitcnt vmcnt(23) lgkmcnt(1)
	v_mul_f32_e32 v6, v47, v196
	s_waitcnt vmcnt(22)
	v_fma_f32 v6, v46, v197, -v6
	v_add_f32_e32 v5, v5, v6
	s_waitcnt vmcnt(20)
	v_mul_f32_e32 v6, v49, v199
	v_fma_f32 v6, v48, v198, -v6
	v_add_f32_e32 v54, v5, v6
	ds_read_b128 v[6:9], v4 offset:608
	ds_read_b128 v[10:13], v4 offset:624
	;; [unrolled: 1-line block ×4, first 2 shown]
	v_mul_f32_e32 v57, v46, v196
	v_fmac_f32_e32 v57, v47, v197
	v_add_f32_e32 v55, v55, v57
	v_mul_f32_e32 v57, v48, v199
	v_fmac_f32_e32 v57, v49, v198
	v_add_f32_e32 v55, v55, v57
	s_waitcnt vmcnt(18) lgkmcnt(4)
	v_mul_f32_e32 v57, v50, v201
	v_mul_f32_e32 v5, v51, v201
	v_fmac_f32_e32 v57, v51, v200
	s_waitcnt vmcnt(16)
	v_mul_f32_e32 v149, v52, v203
	s_waitcnt vmcnt(11)
	v_mov_b32_e32 v22, v63
	s_waitcnt lgkmcnt(3)
	v_pk_mul_f32 v[22:23], v[6:7], v[22:23] op_sel_hi:[1,0]
	s_waitcnt vmcnt(10)
	v_pk_fma_f32 v[24:25], v[6:7], v[62:63], v[22:23] op_sel:[0,0,1] op_sel_hi:[1,1,0] neg_lo:[0,0,1] neg_hi:[0,0,1]
	v_pk_fma_f32 v[6:7], v[6:7], v[62:63], v[22:23] op_sel:[0,0,1] op_sel_hi:[1,0,0]
	v_mov_b32_e32 v6, v61
	v_mov_b32_e32 v25, v7
	v_pk_mul_f32 v[6:7], v[8:9], v[6:7] op_sel_hi:[1,0]
	v_pk_fma_f32 v[22:23], v[8:9], v[60:61], v[6:7] op_sel:[0,0,1] op_sel_hi:[1,1,0] neg_lo:[0,0,1] neg_hi:[0,0,1]
	v_pk_fma_f32 v[6:7], v[8:9], v[60:61], v[6:7] op_sel:[0,0,1] op_sel_hi:[1,0,0]
	v_fma_f32 v56, v50, v200, -v5
	v_mul_f32_e32 v5, v53, v203
	v_mov_b32_e32 v6, v59
	v_fmac_f32_e32 v149, v53, v202
	v_fma_f32 v148, v52, v202, -v5
	v_pk_add_f32 v[4:5], v[54:55], v[56:57]
	v_mov_b32_e32 v23, v7
	s_waitcnt lgkmcnt(2)
	v_pk_mul_f32 v[6:7], v[10:11], v[6:7] op_sel_hi:[1,0]
	v_pk_add_f32 v[4:5], v[4:5], v[148:149]
	v_pk_fma_f32 v[8:9], v[10:11], v[58:59], v[6:7] op_sel:[0,0,1] op_sel_hi:[1,1,0] neg_lo:[0,0,1] neg_hi:[0,0,1]
	v_pk_fma_f32 v[6:7], v[10:11], v[58:59], v[6:7] op_sel:[0,0,1] op_sel_hi:[1,0,0]
	v_pk_add_f32 v[4:5], v[4:5], v[24:25]
	s_waitcnt vmcnt(3)
	v_mov_b32_e32 v6, v157
	v_pk_add_f32 v[4:5], v[4:5], v[22:23]
	v_mov_b32_e32 v9, v7
	v_pk_mul_f32 v[6:7], v[12:13], v[6:7] op_sel_hi:[1,0]
	v_pk_add_f32 v[4:5], v[4:5], v[8:9]
	s_waitcnt vmcnt(2)
	v_pk_fma_f32 v[8:9], v[12:13], v[156:157], v[6:7] op_sel:[0,0,1] op_sel_hi:[1,1,0] neg_lo:[0,0,1] neg_hi:[0,0,1]
	v_pk_fma_f32 v[6:7], v[12:13], v[156:157], v[6:7] op_sel:[0,0,1] op_sel_hi:[1,0,0]
	v_mov_b32_e32 v6, v155
	v_mov_b32_e32 v9, v7
	s_waitcnt lgkmcnt(1)
	v_pk_mul_f32 v[6:7], v[14:15], v[6:7] op_sel_hi:[1,0]
	v_pk_add_f32 v[4:5], v[4:5], v[8:9]
	v_pk_fma_f32 v[8:9], v[14:15], v[154:155], v[6:7] op_sel:[0,0,1] op_sel_hi:[1,1,0] neg_lo:[0,0,1] neg_hi:[0,0,1]
	v_pk_fma_f32 v[6:7], v[14:15], v[154:155], v[6:7] op_sel:[0,0,1] op_sel_hi:[1,0,0]
	v_mov_b32_e32 v6, v153
	v_mov_b32_e32 v9, v7
	v_pk_mul_f32 v[6:7], v[16:17], v[6:7] op_sel_hi:[1,0]
	v_pk_add_f32 v[4:5], v[4:5], v[8:9]
	v_pk_fma_f32 v[8:9], v[16:17], v[152:153], v[6:7] op_sel:[0,0,1] op_sel_hi:[1,1,0] neg_lo:[0,0,1] neg_hi:[0,0,1]
	v_pk_fma_f32 v[6:7], v[16:17], v[152:153], v[6:7] op_sel:[0,0,1] op_sel_hi:[1,0,0]
	v_mov_b32_e32 v6, v151
	v_mov_b32_e32 v9, v7
	s_waitcnt lgkmcnt(0)
	v_pk_mul_f32 v[6:7], v[18:19], v[6:7] op_sel_hi:[1,0]
	v_pk_add_f32 v[4:5], v[4:5], v[8:9]
	v_pk_fma_f32 v[8:9], v[18:19], v[150:151], v[6:7] op_sel:[0,0,1] op_sel_hi:[1,1,0] neg_lo:[0,0,1] neg_hi:[0,0,1]
	v_pk_fma_f32 v[6:7], v[18:19], v[150:151], v[6:7] op_sel:[0,0,1] op_sel_hi:[1,0,0]
	s_waitcnt vmcnt(1)
	v_mov_b32_e32 v6, v159
	v_mov_b32_e32 v9, v7
	v_pk_mul_f32 v[6:7], v[20:21], v[6:7] op_sel_hi:[1,0]
	v_pk_add_f32 v[4:5], v[4:5], v[8:9]
	s_waitcnt vmcnt(0)
	v_pk_fma_f32 v[8:9], v[20:21], v[158:159], v[6:7] op_sel:[0,0,1] op_sel_hi:[1,1,0] neg_lo:[0,0,1] neg_hi:[0,0,1]
	v_pk_fma_f32 v[6:7], v[20:21], v[158:159], v[6:7] op_sel:[0,0,1] op_sel_hi:[1,0,0]
	v_mov_b32_e32 v9, v7
	v_pk_add_f32 v[4:5], v[4:5], v[8:9]
	v_pk_add_f32 v[2:3], v[2:3], v[4:5] neg_lo:[0,1] neg_hi:[0,1]
	buffer_store_dword v3, off, s[0:3], 0 offset:76
	buffer_store_dword v2, off, s[0:3], 0 offset:72
	s_and_saveexec_b64 s[4:5], vcc
	s_cbranch_execz .LBB41_249
; %bb.248:
	buffer_load_dword v2, off, s[0:3], 0 offset:64
	buffer_load_dword v3, off, s[0:3], 0 offset:68
	v_mov_b32_e32 v4, 0
	buffer_store_dword v4, off, s[0:3], 0 offset:64
	buffer_store_dword v4, off, s[0:3], 0 offset:68
	s_waitcnt vmcnt(2)
	ds_write_b64 v1, v[2:3]
.LBB41_249:
	s_or_b64 exec, exec, s[4:5]
	s_waitcnt lgkmcnt(0)
	; wave barrier
	s_waitcnt lgkmcnt(0)
	buffer_load_dword v5, off, s[0:3], 0 offset:76
	buffer_load_dword v62, off, s[0:3], 0 offset:84
	;; [unrolled: 1-line block ×52, first 2 shown]
	v_mov_b32_e32 v4, 0
	ds_read2_b64 v[6:9], v4 offset0:51 offset1:52
	ds_read2_b64 v[10:13], v4 offset0:53 offset1:54
	;; [unrolled: 1-line block ×6, first 2 shown]
	v_cmp_lt_u32_e32 vcc, 7, v0
	s_waitcnt vmcnt(51) lgkmcnt(5)
	v_mul_f32_e32 v30, v6, v5
	s_waitcnt vmcnt(50)
	v_mul_f32_e32 v31, v8, v62
	s_waitcnt vmcnt(49) lgkmcnt(4)
	v_mul_f32_e32 v32, v10, v152
	s_waitcnt vmcnt(48)
	v_mul_f32_e32 v33, v12, v154
	;; [unrolled: 4-line block ×5, first 2 shown]
	s_waitcnt vmcnt(41) lgkmcnt(0)
	v_mul_f32_e32 v40, v26, v174
	s_waitcnt vmcnt(40)
	v_fmac_f32_e32 v30, v7, v175
	s_waitcnt vmcnt(39)
	v_fmac_f32_e32 v31, v9, v176
	v_add_f32_e32 v30, 0, v30
	s_waitcnt vmcnt(38)
	v_fmac_f32_e32 v32, v11, v177
	v_add_f32_e32 v30, v30, v31
	;; [unrolled: 3-line block ×9, first 2 shown]
	v_add_f32_e32 v30, v30, v39
	s_waitcnt vmcnt(30)
	v_fmac_f32_e32 v40, v27, v185
	v_add_f32_e32 v34, v30, v40
	ds_read2_b64 v[30:33], v4 offset0:63 offset1:64
	s_waitcnt vmcnt(29)
	v_mul_f32_e32 v35, v28, v186
	s_waitcnt vmcnt(28)
	v_fmac_f32_e32 v35, v29, v187
	v_add_f32_e32 v38, v34, v35
	ds_read2_b64 v[34:37], v4 offset0:65 offset1:66
	s_waitcnt vmcnt(27) lgkmcnt(1)
	v_mul_f32_e32 v39, v30, v188
	s_waitcnt vmcnt(26)
	v_fmac_f32_e32 v39, v31, v189
	v_add_f32_e32 v38, v38, v39
	s_waitcnt vmcnt(25)
	v_mul_f32_e32 v39, v32, v190
	s_waitcnt vmcnt(24)
	v_fmac_f32_e32 v39, v33, v191
	v_add_f32_e32 v38, v38, v39
	s_waitcnt vmcnt(23) lgkmcnt(0)
	v_mul_f32_e32 v39, v34, v192
	s_waitcnt vmcnt(22)
	v_fmac_f32_e32 v39, v35, v193
	v_add_f32_e32 v42, v38, v39
	ds_read2_b64 v[38:41], v4 offset0:67 offset1:68
	s_waitcnt vmcnt(21)
	v_mul_f32_e32 v43, v36, v194
	s_waitcnt vmcnt(20)
	v_fmac_f32_e32 v43, v37, v195
	v_add_f32_e32 v46, v42, v43
	ds_read2_b64 v[42:45], v4 offset0:69 offset1:70
	s_waitcnt vmcnt(19) lgkmcnt(1)
	v_mul_f32_e32 v47, v38, v196
	s_waitcnt vmcnt(18)
	v_fmac_f32_e32 v47, v39, v197
	v_add_f32_e32 v46, v46, v47
	s_waitcnt vmcnt(17)
	v_mul_f32_e32 v47, v40, v198
	s_waitcnt vmcnt(16)
	v_fmac_f32_e32 v47, v41, v199
	v_add_f32_e32 v46, v46, v47
	s_waitcnt vmcnt(14) lgkmcnt(0)
	v_mul_f32_e32 v47, v42, v201
	v_fmac_f32_e32 v47, v43, v200
	v_add_f32_e32 v50, v46, v47
	ds_read2_b64 v[46:49], v4 offset0:71 offset1:72
	s_waitcnt vmcnt(10)
	v_mul_f32_e32 v51, v44, v203
	v_fmac_f32_e32 v51, v45, v202
	v_add_f32_e32 v54, v50, v51
	ds_read2_b64 v[50:53], v4 offset0:73 offset1:74
	s_waitcnt vmcnt(8) lgkmcnt(1)
	v_mul_f32_e32 v55, v46, v205
	v_fmac_f32_e32 v55, v47, v204
	v_add_f32_e32 v54, v54, v55
	s_waitcnt vmcnt(6)
	v_mul_f32_e32 v55, v48, v207
	v_fmac_f32_e32 v55, v49, v206
	v_add_f32_e32 v54, v54, v55
	s_waitcnt vmcnt(4) lgkmcnt(0)
	v_mul_f32_e32 v55, v50, v209
	v_fmac_f32_e32 v55, v51, v208
	v_add_f32_e32 v63, v54, v55
	ds_read2_b64 v[54:57], v4 offset0:75 offset1:76
	buffer_load_dword v149, off, s[0:3], 0 offset:284
	buffer_load_dword v148, off, s[0:3], 0 offset:280
	;; [unrolled: 1-line block ×4, first 2 shown]
	ds_read2_b64 v[58:61], v4 offset0:77 offset1:78
	buffer_load_dword v157, off, s[0:3], 0 offset:316
	buffer_load_dword v156, off, s[0:3], 0 offset:312
	;; [unrolled: 1-line block ×12, first 2 shown]
	v_mul_f32_e32 v5, v7, v5
	v_fma_f32 v5, v6, v175, -v5
	v_mul_f32_e32 v6, v9, v62
	v_add_f32_e32 v5, 0, v5
	v_fma_f32 v6, v8, v176, -v6
	v_add_f32_e32 v5, v5, v6
	v_mul_f32_e32 v6, v11, v152
	v_fma_f32 v6, v10, v177, -v6
	v_add_f32_e32 v5, v5, v6
	v_mul_f32_e32 v6, v13, v154
	;; [unrolled: 3-line block ×21, first 2 shown]
	v_fma_f32 v6, v50, v208, -v6
	s_waitcnt vmcnt(18)
	v_mul_f32_e32 v153, v52, v211
	v_add_f32_e32 v62, v5, v6
	v_mul_f32_e32 v5, v53, v211
	v_fmac_f32_e32 v153, v53, v210
	s_waitcnt vmcnt(16) lgkmcnt(1)
	v_mul_f32_e32 v155, v54, v213
	v_fma_f32 v152, v52, v210, -v5
	v_mul_f32_e32 v5, v55, v213
	v_fmac_f32_e32 v155, v55, v212
	s_waitcnt vmcnt(13)
	v_mov_b32_e32 v18, v151
	v_pk_mul_f32 v[18:19], v[56:57], v[18:19] op_sel_hi:[1,0]
	s_waitcnt vmcnt(12)
	v_pk_fma_f32 v[20:21], v[56:57], v[150:151], v[18:19] op_sel:[0,0,1] op_sel_hi:[1,1,0] neg_lo:[0,0,1] neg_hi:[0,0,1]
	v_pk_fma_f32 v[18:19], v[56:57], v[150:151], v[18:19] op_sel:[0,0,1] op_sel_hi:[1,0,0]
	v_fma_f32 v154, v54, v212, -v5
	v_pk_add_f32 v[16:17], v[62:63], v[152:153]
	v_mov_b32_e32 v18, v149
	v_pk_add_f32 v[16:17], v[16:17], v[154:155]
	v_mov_b32_e32 v21, v19
	s_waitcnt lgkmcnt(0)
	v_pk_mul_f32 v[18:19], v[58:59], v[18:19] op_sel_hi:[1,0]
	v_pk_add_f32 v[16:17], v[16:17], v[20:21]
	v_pk_fma_f32 v[20:21], v[58:59], v[148:149], v[18:19] op_sel:[0,0,1] op_sel_hi:[1,1,0] neg_lo:[0,0,1] neg_hi:[0,0,1]
	v_pk_fma_f32 v[18:19], v[58:59], v[148:149], v[18:19] op_sel:[0,0,1] op_sel_hi:[1,0,0]
	s_waitcnt vmcnt(5)
	v_mov_b32_e32 v18, v163
	ds_read2_b64 v[6:9], v4 offset0:79 offset1:80
	ds_read2_b64 v[10:13], v4 offset0:81 offset1:82
	ds_read_b64 v[14:15], v4 offset:664
	v_mov_b32_e32 v21, v19
	v_pk_mul_f32 v[18:19], v[60:61], v[18:19] op_sel_hi:[1,0]
	v_pk_add_f32 v[16:17], v[16:17], v[20:21]
	s_waitcnt vmcnt(4)
	v_pk_fma_f32 v[20:21], v[60:61], v[162:163], v[18:19] op_sel:[0,0,1] op_sel_hi:[1,1,0] neg_lo:[0,0,1] neg_hi:[0,0,1]
	v_pk_fma_f32 v[18:19], v[60:61], v[162:163], v[18:19] op_sel:[0,0,1] op_sel_hi:[1,0,0]
	v_mov_b32_e32 v18, v161
	v_mov_b32_e32 v21, v19
	s_waitcnt lgkmcnt(2)
	v_pk_mul_f32 v[18:19], v[6:7], v[18:19] op_sel_hi:[1,0]
	v_pk_add_f32 v[16:17], v[16:17], v[20:21]
	v_pk_fma_f32 v[20:21], v[6:7], v[160:161], v[18:19] op_sel:[0,0,1] op_sel_hi:[1,1,0] neg_lo:[0,0,1] neg_hi:[0,0,1]
	v_pk_fma_f32 v[6:7], v[6:7], v[160:161], v[18:19] op_sel:[0,0,1] op_sel_hi:[1,0,0]
	v_mov_b32_e32 v21, v7
	v_pk_add_f32 v[6:7], v[16:17], v[20:21]
	v_mov_b32_e32 v16, v159
	v_pk_mul_f32 v[16:17], v[8:9], v[16:17] op_sel_hi:[1,0]
	v_pk_fma_f32 v[18:19], v[8:9], v[158:159], v[16:17] op_sel:[0,0,1] op_sel_hi:[1,1,0] neg_lo:[0,0,1] neg_hi:[0,0,1]
	v_pk_fma_f32 v[8:9], v[8:9], v[158:159], v[16:17] op_sel:[0,0,1] op_sel_hi:[1,0,0]
	v_mov_b32_e32 v8, v157
	v_mov_b32_e32 v19, v9
	s_waitcnt lgkmcnt(1)
	v_pk_mul_f32 v[8:9], v[10:11], v[8:9] op_sel_hi:[1,0]
	v_pk_fma_f32 v[16:17], v[10:11], v[156:157], v[8:9] op_sel:[0,0,1] op_sel_hi:[1,1,0] neg_lo:[0,0,1] neg_hi:[0,0,1]
	v_pk_fma_f32 v[8:9], v[10:11], v[156:157], v[8:9] op_sel:[0,0,1] op_sel_hi:[1,0,0]
	s_waitcnt vmcnt(1)
	v_mov_b32_e32 v8, v167
	v_mov_b32_e32 v17, v9
	v_pk_mul_f32 v[8:9], v[12:13], v[8:9] op_sel_hi:[1,0]
	s_waitcnt vmcnt(0)
	v_pk_fma_f32 v[10:11], v[12:13], v[166:167], v[8:9] op_sel:[0,0,1] op_sel_hi:[1,1,0] neg_lo:[0,0,1] neg_hi:[0,0,1]
	v_pk_fma_f32 v[8:9], v[12:13], v[166:167], v[8:9] op_sel:[0,0,1] op_sel_hi:[1,0,0]
	v_pk_add_f32 v[6:7], v[6:7], v[18:19]
	v_mov_b32_e32 v8, v165
	v_pk_add_f32 v[6:7], v[6:7], v[16:17]
	v_mov_b32_e32 v11, v9
	s_waitcnt lgkmcnt(0)
	v_pk_mul_f32 v[8:9], v[14:15], v[8:9] op_sel_hi:[1,0]
	v_pk_add_f32 v[6:7], v[6:7], v[10:11]
	v_pk_fma_f32 v[10:11], v[14:15], v[164:165], v[8:9] op_sel:[0,0,1] op_sel_hi:[1,1,0] neg_lo:[0,0,1] neg_hi:[0,0,1]
	v_pk_fma_f32 v[8:9], v[14:15], v[164:165], v[8:9] op_sel:[0,0,1] op_sel_hi:[1,0,0]
	v_mov_b32_e32 v11, v9
	v_pk_add_f32 v[6:7], v[6:7], v[10:11]
	v_pk_add_f32 v[2:3], v[2:3], v[6:7] neg_lo:[0,1] neg_hi:[0,1]
	buffer_store_dword v3, off, s[0:3], 0 offset:68
	buffer_store_dword v2, off, s[0:3], 0 offset:64
	s_and_saveexec_b64 s[4:5], vcc
	s_cbranch_execz .LBB41_251
; %bb.250:
	buffer_load_dword v2, off, s[0:3], 0 offset:56
	buffer_load_dword v3, off, s[0:3], 0 offset:60
	s_waitcnt vmcnt(0)
	ds_write_b64 v1, v[2:3]
	buffer_store_dword v4, off, s[0:3], 0 offset:56
	buffer_store_dword v4, off, s[0:3], 0 offset:60
.LBB41_251:
	s_or_b64 exec, exec, s[4:5]
	s_waitcnt lgkmcnt(0)
	; wave barrier
	s_waitcnt lgkmcnt(0)
	buffer_load_dword v5, off, s[0:3], 0 offset:68
	buffer_load_dword v148, off, s[0:3], 0 offset:76
	buffer_load_dword v150, off, s[0:3], 0 offset:84
	buffer_load_dword v152, off, s[0:3], 0 offset:92
	buffer_load_dword v168, off, s[0:3], 0 offset:100
	buffer_load_dword v169, off, s[0:3], 0 offset:108
	buffer_load_dword v170, off, s[0:3], 0 offset:116
	buffer_load_dword v171, off, s[0:3], 0 offset:124
	buffer_load_dword v172, off, s[0:3], 0 offset:132
	buffer_load_dword v173, off, s[0:3], 0 offset:140
	buffer_load_dword v174, off, s[0:3], 0 offset:64
	buffer_load_dword v175, off, s[0:3], 0 offset:72
	buffer_load_dword v176, off, s[0:3], 0 offset:80
	buffer_load_dword v177, off, s[0:3], 0 offset:88
	buffer_load_dword v178, off, s[0:3], 0 offset:96
	buffer_load_dword v179, off, s[0:3], 0 offset:104
	buffer_load_dword v180, off, s[0:3], 0 offset:112
	buffer_load_dword v181, off, s[0:3], 0 offset:120
	buffer_load_dword v182, off, s[0:3], 0 offset:128
	buffer_load_dword v183, off, s[0:3], 0 offset:136
	buffer_load_dword v184, off, s[0:3], 0 offset:148
	buffer_load_dword v185, off, s[0:3], 0 offset:144
	buffer_load_dword v186, off, s[0:3], 0 offset:156
	buffer_load_dword v187, off, s[0:3], 0 offset:152
	buffer_load_dword v188, off, s[0:3], 0 offset:164
	buffer_load_dword v189, off, s[0:3], 0 offset:160
	buffer_load_dword v190, off, s[0:3], 0 offset:172
	buffer_load_dword v191, off, s[0:3], 0 offset:168
	buffer_load_dword v192, off, s[0:3], 0 offset:180
	buffer_load_dword v193, off, s[0:3], 0 offset:176
	buffer_load_dword v194, off, s[0:3], 0 offset:188
	buffer_load_dword v195, off, s[0:3], 0 offset:184
	buffer_load_dword v196, off, s[0:3], 0 offset:196
	buffer_load_dword v197, off, s[0:3], 0 offset:192
	buffer_load_dword v198, off, s[0:3], 0 offset:200
	buffer_load_dword v199, off, s[0:3], 0 offset:204
	buffer_load_dword v2, off, s[0:3], 0 offset:56
	buffer_load_dword v3, off, s[0:3], 0 offset:60
	buffer_load_dword v200, off, s[0:3], 0 offset:212
	buffer_load_dword v201, off, s[0:3], 0 offset:208
	buffer_load_dword v202, off, s[0:3], 0 offset:216
	buffer_load_dword v203, off, s[0:3], 0 offset:220
	ds_read_b128 v[6:9], v4 offset:400
	ds_read_b128 v[10:13], v4 offset:416
	buffer_load_dword v204, off, s[0:3], 0 offset:224
	buffer_load_dword v205, off, s[0:3], 0 offset:228
	ds_read_b128 v[14:17], v4 offset:432
	ds_read_b128 v[18:21], v4 offset:448
	buffer_load_dword v206, off, s[0:3], 0 offset:232
	buffer_load_dword v207, off, s[0:3], 0 offset:236
	;; [unrolled: 1-line block ×4, first 2 shown]
	ds_read_b128 v[22:25], v4 offset:464
	ds_read_b128 v[26:29], v4 offset:480
	buffer_load_dword v210, off, s[0:3], 0 offset:248
	buffer_load_dword v211, off, s[0:3], 0 offset:252
	;; [unrolled: 1-line block ×6, first 2 shown]
	v_cmp_lt_u32_e32 vcc, 6, v0
	s_waitcnt vmcnt(53) lgkmcnt(5)
	v_mul_f32_e32 v30, v6, v5
	s_waitcnt vmcnt(52)
	v_mul_f32_e32 v31, v8, v148
	s_waitcnt vmcnt(51) lgkmcnt(4)
	v_mul_f32_e32 v32, v10, v150
	s_waitcnt vmcnt(50)
	v_mul_f32_e32 v33, v12, v152
	;; [unrolled: 4-line block ×5, first 2 shown]
	s_waitcnt vmcnt(43)
	v_fmac_f32_e32 v30, v7, v174
	s_waitcnt vmcnt(42)
	v_fmac_f32_e32 v31, v9, v175
	v_add_f32_e32 v30, 0, v30
	s_waitcnt vmcnt(41)
	v_fmac_f32_e32 v32, v11, v176
	v_add_f32_e32 v30, v30, v31
	;; [unrolled: 3-line block ×9, first 2 shown]
	s_waitcnt vmcnt(33) lgkmcnt(0)
	v_mul_f32_e32 v31, v26, v184
	v_add_f32_e32 v30, v30, v39
	s_waitcnt vmcnt(32)
	v_fmac_f32_e32 v31, v27, v185
	v_add_f32_e32 v34, v30, v31
	ds_read_b128 v[30:33], v4 offset:496
	s_waitcnt vmcnt(31)
	v_mul_f32_e32 v35, v28, v186
	s_waitcnt vmcnt(30)
	v_fmac_f32_e32 v35, v29, v187
	v_add_f32_e32 v38, v34, v35
	ds_read_b128 v[34:37], v4 offset:512
	s_waitcnt vmcnt(29) lgkmcnt(1)
	v_mul_f32_e32 v39, v30, v188
	s_waitcnt vmcnt(28)
	v_fmac_f32_e32 v39, v31, v189
	v_add_f32_e32 v38, v38, v39
	s_waitcnt vmcnt(27)
	v_mul_f32_e32 v39, v32, v190
	s_waitcnt vmcnt(26)
	v_fmac_f32_e32 v39, v33, v191
	v_add_f32_e32 v38, v38, v39
	s_waitcnt vmcnt(25) lgkmcnt(0)
	v_mul_f32_e32 v39, v34, v192
	s_waitcnt vmcnt(24)
	v_fmac_f32_e32 v39, v35, v193
	v_add_f32_e32 v42, v38, v39
	ds_read_b128 v[38:41], v4 offset:528
	s_waitcnt vmcnt(23)
	v_mul_f32_e32 v43, v36, v194
	s_waitcnt vmcnt(22)
	v_fmac_f32_e32 v43, v37, v195
	v_add_f32_e32 v46, v42, v43
	ds_read_b128 v[42:45], v4 offset:544
	s_waitcnt vmcnt(21) lgkmcnt(1)
	v_mul_f32_e32 v47, v38, v196
	s_waitcnt vmcnt(20)
	v_fmac_f32_e32 v47, v39, v197
	v_add_f32_e32 v46, v46, v47
	s_waitcnt vmcnt(18)
	v_mul_f32_e32 v47, v40, v199
	v_fmac_f32_e32 v47, v41, v198
	v_add_f32_e32 v46, v46, v47
	s_waitcnt vmcnt(15) lgkmcnt(0)
	v_mul_f32_e32 v47, v42, v200
	s_waitcnt vmcnt(14)
	v_fmac_f32_e32 v47, v43, v201
	v_add_f32_e32 v50, v46, v47
	ds_read_b128 v[46:49], v4 offset:560
	s_waitcnt vmcnt(12)
	v_mul_f32_e32 v51, v44, v203
	v_fmac_f32_e32 v51, v45, v202
	v_add_f32_e32 v54, v50, v51
	ds_read_b128 v[50:53], v4 offset:576
	buffer_load_dword v63, off, s[0:3], 0 offset:276
	buffer_load_dword v62, off, s[0:3], 0 offset:272
	s_waitcnt vmcnt(12) lgkmcnt(1)
	v_mul_f32_e32 v55, v46, v205
	v_fmac_f32_e32 v55, v47, v204
	v_add_f32_e32 v54, v54, v55
	s_waitcnt vmcnt(10)
	v_mul_f32_e32 v55, v48, v207
	v_fmac_f32_e32 v55, v49, v206
	v_add_f32_e32 v54, v54, v55
	s_waitcnt vmcnt(8) lgkmcnt(0)
	v_mul_f32_e32 v55, v50, v209
	v_fmac_f32_e32 v55, v51, v208
	s_waitcnt vmcnt(6)
	v_mul_f32_e32 v59, v52, v211
	v_add_f32_e32 v58, v54, v55
	v_fmac_f32_e32 v59, v53, v210
	ds_read_b128 v[54:57], v4 offset:592
	v_add_f32_e32 v149, v58, v59
	ds_read_b128 v[58:61], v4 offset:608
	buffer_load_dword v155, off, s[0:3], 0 offset:308
	buffer_load_dword v154, off, s[0:3], 0 offset:304
	;; [unrolled: 1-line block ×14, first 2 shown]
	v_mul_f32_e32 v5, v7, v5
	v_fma_f32 v5, v6, v174, -v5
	v_mul_f32_e32 v6, v9, v148
	v_add_f32_e32 v5, 0, v5
	v_fma_f32 v6, v8, v175, -v6
	v_add_f32_e32 v5, v5, v6
	v_mul_f32_e32 v6, v11, v150
	v_fma_f32 v6, v10, v176, -v6
	v_add_f32_e32 v5, v5, v6
	v_mul_f32_e32 v6, v13, v152
	;; [unrolled: 3-line block ×22, first 2 shown]
	v_fma_f32 v6, v52, v210, -v6
	s_waitcnt vmcnt(15)
	v_mov_b32_e32 v18, v63
	s_waitcnt lgkmcnt(1)
	v_mul_f32_e32 v151, v54, v213
	v_add_f32_e32 v148, v5, v6
	v_mul_f32_e32 v5, v55, v213
	s_waitcnt lgkmcnt(0)
	v_pk_mul_f32 v[18:19], v[58:59], v[18:19] op_sel_hi:[1,0]
	v_fmac_f32_e32 v151, v55, v212
	v_mul_f32_e32 v153, v56, v215
	v_fma_f32 v150, v54, v212, -v5
	v_mul_f32_e32 v5, v57, v215
	s_waitcnt vmcnt(14)
	v_pk_fma_f32 v[20:21], v[58:59], v[62:63], v[18:19] op_sel:[0,0,1] op_sel_hi:[1,1,0] neg_lo:[0,0,1] neg_hi:[0,0,1]
	v_pk_fma_f32 v[18:19], v[58:59], v[62:63], v[18:19] op_sel:[0,0,1] op_sel_hi:[1,0,0]
	v_fmac_f32_e32 v153, v57, v214
	v_fma_f32 v152, v56, v214, -v5
	ds_read_b128 v[6:9], v4 offset:624
	ds_read_b128 v[10:13], v4 offset:640
	;; [unrolled: 1-line block ×3, first 2 shown]
	v_pk_add_f32 v[4:5], v[148:149], v[150:151]
	s_waitcnt vmcnt(7)
	v_mov_b32_e32 v18, v161
	v_pk_add_f32 v[4:5], v[4:5], v[152:153]
	v_mov_b32_e32 v21, v19
	v_pk_mul_f32 v[18:19], v[60:61], v[18:19] op_sel_hi:[1,0]
	v_pk_add_f32 v[4:5], v[4:5], v[20:21]
	s_waitcnt vmcnt(6)
	v_pk_fma_f32 v[20:21], v[60:61], v[160:161], v[18:19] op_sel:[0,0,1] op_sel_hi:[1,1,0] neg_lo:[0,0,1] neg_hi:[0,0,1]
	v_pk_fma_f32 v[18:19], v[60:61], v[160:161], v[18:19] op_sel:[0,0,1] op_sel_hi:[1,0,0]
	v_mov_b32_e32 v18, v159
	v_mov_b32_e32 v21, v19
	s_waitcnt lgkmcnt(2)
	v_pk_mul_f32 v[18:19], v[6:7], v[18:19] op_sel_hi:[1,0]
	v_pk_add_f32 v[4:5], v[4:5], v[20:21]
	v_pk_fma_f32 v[20:21], v[6:7], v[158:159], v[18:19] op_sel:[0,0,1] op_sel_hi:[1,1,0] neg_lo:[0,0,1] neg_hi:[0,0,1]
	v_pk_fma_f32 v[6:7], v[6:7], v[158:159], v[18:19] op_sel:[0,0,1] op_sel_hi:[1,0,0]
	v_mov_b32_e32 v6, v157
	v_mov_b32_e32 v21, v7
	v_pk_mul_f32 v[6:7], v[8:9], v[6:7] op_sel_hi:[1,0]
	v_pk_fma_f32 v[18:19], v[8:9], v[156:157], v[6:7] op_sel:[0,0,1] op_sel_hi:[1,1,0] neg_lo:[0,0,1] neg_hi:[0,0,1]
	v_pk_fma_f32 v[6:7], v[8:9], v[156:157], v[6:7] op_sel:[0,0,1] op_sel_hi:[1,0,0]
	v_mov_b32_e32 v6, v155
	v_mov_b32_e32 v19, v7
	s_waitcnt lgkmcnt(1)
	v_pk_mul_f32 v[6:7], v[10:11], v[6:7] op_sel_hi:[1,0]
	v_pk_fma_f32 v[8:9], v[10:11], v[154:155], v[6:7] op_sel:[0,0,1] op_sel_hi:[1,1,0] neg_lo:[0,0,1] neg_hi:[0,0,1]
	v_pk_fma_f32 v[6:7], v[10:11], v[154:155], v[6:7] op_sel:[0,0,1] op_sel_hi:[1,0,0]
	v_pk_add_f32 v[4:5], v[4:5], v[20:21]
	s_waitcnt vmcnt(1)
	v_mov_b32_e32 v6, v167
	v_pk_add_f32 v[4:5], v[4:5], v[18:19]
	v_mov_b32_e32 v9, v7
	v_pk_mul_f32 v[6:7], v[12:13], v[6:7] op_sel_hi:[1,0]
	v_pk_add_f32 v[4:5], v[4:5], v[8:9]
	s_waitcnt vmcnt(0)
	v_pk_fma_f32 v[8:9], v[12:13], v[166:167], v[6:7] op_sel:[0,0,1] op_sel_hi:[1,1,0] neg_lo:[0,0,1] neg_hi:[0,0,1]
	v_pk_fma_f32 v[6:7], v[12:13], v[166:167], v[6:7] op_sel:[0,0,1] op_sel_hi:[1,0,0]
	v_mov_b32_e32 v6, v165
	v_mov_b32_e32 v9, v7
	s_waitcnt lgkmcnt(0)
	v_pk_mul_f32 v[6:7], v[14:15], v[6:7] op_sel_hi:[1,0]
	v_pk_add_f32 v[4:5], v[4:5], v[8:9]
	v_pk_fma_f32 v[8:9], v[14:15], v[164:165], v[6:7] op_sel:[0,0,1] op_sel_hi:[1,1,0] neg_lo:[0,0,1] neg_hi:[0,0,1]
	v_pk_fma_f32 v[6:7], v[14:15], v[164:165], v[6:7] op_sel:[0,0,1] op_sel_hi:[1,0,0]
	v_mov_b32_e32 v6, v163
	v_mov_b32_e32 v9, v7
	v_pk_mul_f32 v[6:7], v[16:17], v[6:7] op_sel_hi:[1,0]
	v_pk_add_f32 v[4:5], v[4:5], v[8:9]
	v_pk_fma_f32 v[8:9], v[16:17], v[162:163], v[6:7] op_sel:[0,0,1] op_sel_hi:[1,1,0] neg_lo:[0,0,1] neg_hi:[0,0,1]
	v_pk_fma_f32 v[6:7], v[16:17], v[162:163], v[6:7] op_sel:[0,0,1] op_sel_hi:[1,0,0]
	v_mov_b32_e32 v9, v7
	v_pk_add_f32 v[4:5], v[4:5], v[8:9]
	v_pk_add_f32 v[2:3], v[2:3], v[4:5] neg_lo:[0,1] neg_hi:[0,1]
	buffer_store_dword v3, off, s[0:3], 0 offset:60
	buffer_store_dword v2, off, s[0:3], 0 offset:56
	s_and_saveexec_b64 s[4:5], vcc
	s_cbranch_execz .LBB41_253
; %bb.252:
	buffer_load_dword v2, off, s[0:3], 0 offset:48
	buffer_load_dword v3, off, s[0:3], 0 offset:52
	v_mov_b32_e32 v4, 0
	buffer_store_dword v4, off, s[0:3], 0 offset:48
	buffer_store_dword v4, off, s[0:3], 0 offset:52
	s_waitcnt vmcnt(2)
	ds_write_b64 v1, v[2:3]
.LBB41_253:
	s_or_b64 exec, exec, s[4:5]
	s_waitcnt lgkmcnt(0)
	; wave barrier
	s_waitcnt lgkmcnt(0)
	buffer_load_dword v5, off, s[0:3], 0 offset:60
	buffer_load_dword v62, off, s[0:3], 0 offset:68
	;; [unrolled: 1-line block ×56, first 2 shown]
	v_mov_b32_e32 v4, 0
	ds_read2_b64 v[6:9], v4 offset0:49 offset1:50
	ds_read2_b64 v[10:13], v4 offset0:51 offset1:52
	;; [unrolled: 1-line block ×6, first 2 shown]
	v_cmp_lt_u32_e32 vcc, 5, v0
	s_waitcnt vmcnt(55) lgkmcnt(5)
	v_mul_f32_e32 v30, v6, v5
	s_waitcnt vmcnt(54)
	v_mul_f32_e32 v31, v8, v62
	s_waitcnt vmcnt(53) lgkmcnt(4)
	v_mul_f32_e32 v32, v10, v148
	s_waitcnt vmcnt(52)
	v_mul_f32_e32 v33, v12, v150
	;; [unrolled: 4-line block ×4, first 2 shown]
	s_waitcnt vmcnt(47) lgkmcnt(1)
	v_mul_f32_e32 v38, v22, v172
	s_waitcnt vmcnt(46)
	v_fmac_f32_e32 v30, v7, v173
	s_waitcnt vmcnt(45)
	v_fmac_f32_e32 v31, v9, v174
	v_add_f32_e32 v30, 0, v30
	s_waitcnt vmcnt(44)
	v_fmac_f32_e32 v32, v11, v175
	v_add_f32_e32 v30, v30, v31
	;; [unrolled: 3-line block ×7, first 2 shown]
	v_add_f32_e32 v30, v30, v37
	s_waitcnt vmcnt(38)
	v_fmac_f32_e32 v38, v23, v181
	s_waitcnt vmcnt(37)
	v_mul_f32_e32 v31, v24, v182
	v_add_f32_e32 v30, v30, v38
	s_waitcnt vmcnt(36)
	v_fmac_f32_e32 v31, v25, v183
	v_add_f32_e32 v30, v30, v31
	s_waitcnt vmcnt(35) lgkmcnt(0)
	v_mul_f32_e32 v31, v26, v184
	s_waitcnt vmcnt(34)
	v_fmac_f32_e32 v31, v27, v185
	v_add_f32_e32 v34, v30, v31
	ds_read2_b64 v[30:33], v4 offset0:61 offset1:62
	s_waitcnt vmcnt(33)
	v_mul_f32_e32 v35, v28, v186
	s_waitcnt vmcnt(32)
	v_fmac_f32_e32 v35, v29, v187
	v_add_f32_e32 v38, v34, v35
	ds_read2_b64 v[34:37], v4 offset0:63 offset1:64
	s_waitcnt vmcnt(31) lgkmcnt(1)
	v_mul_f32_e32 v39, v30, v188
	s_waitcnt vmcnt(30)
	v_fmac_f32_e32 v39, v31, v189
	v_add_f32_e32 v38, v38, v39
	s_waitcnt vmcnt(29)
	v_mul_f32_e32 v39, v32, v190
	s_waitcnt vmcnt(28)
	v_fmac_f32_e32 v39, v33, v191
	v_add_f32_e32 v38, v38, v39
	s_waitcnt vmcnt(27) lgkmcnt(0)
	v_mul_f32_e32 v39, v34, v192
	s_waitcnt vmcnt(26)
	v_fmac_f32_e32 v39, v35, v193
	v_add_f32_e32 v42, v38, v39
	ds_read2_b64 v[38:41], v4 offset0:65 offset1:66
	s_waitcnt vmcnt(24)
	v_mul_f32_e32 v43, v36, v195
	v_fmac_f32_e32 v43, v37, v194
	v_add_f32_e32 v46, v42, v43
	ds_read2_b64 v[42:45], v4 offset0:67 offset1:68
	s_waitcnt vmcnt(20) lgkmcnt(1)
	v_mul_f32_e32 v47, v38, v197
	v_fmac_f32_e32 v47, v39, v196
	v_add_f32_e32 v46, v46, v47
	s_waitcnt vmcnt(18)
	v_mul_f32_e32 v47, v40, v199
	v_fmac_f32_e32 v47, v41, v198
	v_add_f32_e32 v46, v46, v47
	s_waitcnt vmcnt(16) lgkmcnt(0)
	v_mul_f32_e32 v47, v42, v201
	v_fmac_f32_e32 v47, v43, v200
	v_add_f32_e32 v50, v46, v47
	ds_read2_b64 v[46:49], v4 offset0:69 offset1:70
	s_waitcnt vmcnt(14)
	v_mul_f32_e32 v51, v44, v203
	v_fmac_f32_e32 v51, v45, v202
	v_add_f32_e32 v54, v50, v51
	ds_read2_b64 v[50:53], v4 offset0:71 offset1:72
	s_waitcnt vmcnt(12) lgkmcnt(1)
	v_mul_f32_e32 v55, v46, v205
	v_fmac_f32_e32 v55, v47, v204
	v_add_f32_e32 v54, v54, v55
	s_waitcnt vmcnt(10)
	v_mul_f32_e32 v55, v48, v207
	v_fmac_f32_e32 v55, v49, v206
	v_add_f32_e32 v54, v54, v55
	s_waitcnt vmcnt(8) lgkmcnt(0)
	v_mul_f32_e32 v55, v50, v209
	v_fmac_f32_e32 v55, v51, v208
	s_waitcnt vmcnt(6)
	v_mul_f32_e32 v59, v52, v211
	v_add_f32_e32 v58, v54, v55
	v_fmac_f32_e32 v59, v53, v210
	ds_read2_b64 v[54:57], v4 offset0:73 offset1:74
	v_add_f32_e32 v63, v58, v59
	ds_read2_b64 v[58:61], v4 offset0:75 offset1:76
	buffer_load_dword v153, off, s[0:3], 0 offset:300
	buffer_load_dword v152, off, s[0:3], 0 offset:296
	;; [unrolled: 1-line block ×16, first 2 shown]
	v_mul_f32_e32 v5, v7, v5
	v_fma_f32 v5, v6, v173, -v5
	v_mul_f32_e32 v6, v9, v62
	v_add_f32_e32 v5, 0, v5
	v_fma_f32 v6, v8, v174, -v6
	v_add_f32_e32 v5, v5, v6
	v_mul_f32_e32 v6, v11, v148
	v_fma_f32 v6, v10, v175, -v6
	v_add_f32_e32 v5, v5, v6
	v_mul_f32_e32 v6, v13, v150
	;; [unrolled: 3-line block ×22, first 2 shown]
	v_fma_f32 v6, v52, v210, -v6
	s_waitcnt vmcnt(20) lgkmcnt(1)
	v_mul_f32_e32 v149, v54, v213
	v_add_f32_e32 v5, v5, v6
	v_mul_f32_e32 v6, v55, v213
	v_fmac_f32_e32 v149, v55, v212
	v_fma_f32 v6, v54, v212, -v6
	s_waitcnt vmcnt(9)
	v_mov_b32_e32 v22, v159
	v_add_f32_e32 v63, v63, v149
	v_mul_f32_e32 v149, v56, v215
	v_add_f32_e32 v62, v5, v6
	v_mul_f32_e32 v5, v57, v215
	s_waitcnt lgkmcnt(0)
	v_pk_mul_f32 v[22:23], v[60:61], v[22:23] op_sel_hi:[1,0]
	v_fmac_f32_e32 v149, v57, v214
	v_mul_f32_e32 v151, v58, v217
	v_fma_f32 v148, v56, v214, -v5
	v_mul_f32_e32 v5, v59, v217
	ds_read2_b64 v[6:9], v4 offset0:77 offset1:78
	ds_read2_b64 v[10:13], v4 offset0:79 offset1:80
	;; [unrolled: 1-line block ×3, first 2 shown]
	ds_read_b64 v[18:19], v4 offset:664
	s_waitcnt vmcnt(8)
	v_pk_fma_f32 v[24:25], v[60:61], v[158:159], v[22:23] op_sel:[0,0,1] op_sel_hi:[1,1,0] neg_lo:[0,0,1] neg_hi:[0,0,1]
	v_pk_fma_f32 v[22:23], v[60:61], v[158:159], v[22:23] op_sel:[0,0,1] op_sel_hi:[1,0,0]
	v_fmac_f32_e32 v151, v59, v216
	v_fma_f32 v150, v58, v216, -v5
	v_pk_add_f32 v[20:21], v[62:63], v[148:149]
	v_mov_b32_e32 v22, v157
	v_pk_add_f32 v[20:21], v[20:21], v[150:151]
	v_mov_b32_e32 v25, v23
	s_waitcnt lgkmcnt(3)
	v_pk_mul_f32 v[22:23], v[6:7], v[22:23] op_sel_hi:[1,0]
	v_pk_add_f32 v[20:21], v[20:21], v[24:25]
	v_pk_fma_f32 v[24:25], v[6:7], v[156:157], v[22:23] op_sel:[0,0,1] op_sel_hi:[1,1,0] neg_lo:[0,0,1] neg_hi:[0,0,1]
	v_pk_fma_f32 v[6:7], v[6:7], v[156:157], v[22:23] op_sel:[0,0,1] op_sel_hi:[1,0,0]
	v_mov_b32_e32 v25, v7
	v_pk_add_f32 v[6:7], v[20:21], v[24:25]
	v_mov_b32_e32 v20, v155
	v_pk_mul_f32 v[20:21], v[8:9], v[20:21] op_sel_hi:[1,0]
	v_pk_fma_f32 v[22:23], v[8:9], v[154:155], v[20:21] op_sel:[0,0,1] op_sel_hi:[1,1,0] neg_lo:[0,0,1] neg_hi:[0,0,1]
	v_pk_fma_f32 v[8:9], v[8:9], v[154:155], v[20:21] op_sel:[0,0,1] op_sel_hi:[1,0,0]
	v_mov_b32_e32 v8, v153
	v_mov_b32_e32 v23, v9
	s_waitcnt lgkmcnt(2)
	v_pk_mul_f32 v[8:9], v[10:11], v[8:9] op_sel_hi:[1,0]
	v_pk_fma_f32 v[20:21], v[10:11], v[152:153], v[8:9] op_sel:[0,0,1] op_sel_hi:[1,1,0] neg_lo:[0,0,1] neg_hi:[0,0,1]
	v_pk_fma_f32 v[8:9], v[10:11], v[152:153], v[8:9] op_sel:[0,0,1] op_sel_hi:[1,0,0]
	s_waitcnt vmcnt(1)
	v_mov_b32_e32 v8, v167
	v_mov_b32_e32 v21, v9
	v_pk_mul_f32 v[8:9], v[12:13], v[8:9] op_sel_hi:[1,0]
	s_waitcnt vmcnt(0)
	v_pk_fma_f32 v[10:11], v[12:13], v[166:167], v[8:9] op_sel:[0,0,1] op_sel_hi:[1,1,0] neg_lo:[0,0,1] neg_hi:[0,0,1]
	v_pk_fma_f32 v[8:9], v[12:13], v[166:167], v[8:9] op_sel:[0,0,1] op_sel_hi:[1,0,0]
	v_pk_add_f32 v[6:7], v[6:7], v[22:23]
	v_mov_b32_e32 v8, v165
	v_pk_add_f32 v[6:7], v[6:7], v[20:21]
	v_mov_b32_e32 v11, v9
	s_waitcnt lgkmcnt(1)
	v_pk_mul_f32 v[8:9], v[14:15], v[8:9] op_sel_hi:[1,0]
	v_pk_add_f32 v[6:7], v[6:7], v[10:11]
	v_pk_fma_f32 v[10:11], v[14:15], v[164:165], v[8:9] op_sel:[0,0,1] op_sel_hi:[1,1,0] neg_lo:[0,0,1] neg_hi:[0,0,1]
	v_pk_fma_f32 v[8:9], v[14:15], v[164:165], v[8:9] op_sel:[0,0,1] op_sel_hi:[1,0,0]
	v_mov_b32_e32 v8, v163
	v_mov_b32_e32 v11, v9
	v_pk_mul_f32 v[8:9], v[16:17], v[8:9] op_sel_hi:[1,0]
	v_pk_add_f32 v[6:7], v[6:7], v[10:11]
	v_pk_fma_f32 v[10:11], v[16:17], v[162:163], v[8:9] op_sel:[0,0,1] op_sel_hi:[1,1,0] neg_lo:[0,0,1] neg_hi:[0,0,1]
	v_pk_fma_f32 v[8:9], v[16:17], v[162:163], v[8:9] op_sel:[0,0,1] op_sel_hi:[1,0,0]
	v_mov_b32_e32 v8, v161
	v_mov_b32_e32 v11, v9
	s_waitcnt lgkmcnt(0)
	v_pk_mul_f32 v[8:9], v[18:19], v[8:9] op_sel_hi:[1,0]
	v_pk_add_f32 v[6:7], v[6:7], v[10:11]
	v_pk_fma_f32 v[10:11], v[18:19], v[160:161], v[8:9] op_sel:[0,0,1] op_sel_hi:[1,1,0] neg_lo:[0,0,1] neg_hi:[0,0,1]
	v_pk_fma_f32 v[8:9], v[18:19], v[160:161], v[8:9] op_sel:[0,0,1] op_sel_hi:[1,0,0]
	v_mov_b32_e32 v11, v9
	v_pk_add_f32 v[6:7], v[6:7], v[10:11]
	v_pk_add_f32 v[2:3], v[2:3], v[6:7] neg_lo:[0,1] neg_hi:[0,1]
	buffer_store_dword v3, off, s[0:3], 0 offset:52
	buffer_store_dword v2, off, s[0:3], 0 offset:48
	s_and_saveexec_b64 s[4:5], vcc
	s_cbranch_execz .LBB41_255
; %bb.254:
	buffer_load_dword v2, off, s[0:3], 0 offset:40
	buffer_load_dword v3, off, s[0:3], 0 offset:44
	s_waitcnt vmcnt(0)
	ds_write_b64 v1, v[2:3]
	buffer_store_dword v4, off, s[0:3], 0 offset:40
	buffer_store_dword v4, off, s[0:3], 0 offset:44
.LBB41_255:
	s_or_b64 exec, exec, s[4:5]
	s_waitcnt lgkmcnt(0)
	; wave barrier
	s_waitcnt lgkmcnt(0)
	buffer_load_dword v5, off, s[0:3], 0 offset:52
	buffer_load_dword v62, off, s[0:3], 0 offset:60
	buffer_load_dword v148, off, s[0:3], 0 offset:68
	buffer_load_dword v156, off, s[0:3], 0 offset:76
	buffer_load_dword v168, off, s[0:3], 0 offset:84
	buffer_load_dword v169, off, s[0:3], 0 offset:92
	buffer_load_dword v170, off, s[0:3], 0 offset:100
	buffer_load_dword v171, off, s[0:3], 0 offset:108
	buffer_load_dword v172, off, s[0:3], 0 offset:48
	buffer_load_dword v173, off, s[0:3], 0 offset:56
	buffer_load_dword v174, off, s[0:3], 0 offset:64
	buffer_load_dword v175, off, s[0:3], 0 offset:72
	buffer_load_dword v176, off, s[0:3], 0 offset:80
	buffer_load_dword v177, off, s[0:3], 0 offset:88
	buffer_load_dword v178, off, s[0:3], 0 offset:96
	buffer_load_dword v179, off, s[0:3], 0 offset:104
	buffer_load_dword v180, off, s[0:3], 0 offset:116
	buffer_load_dword v181, off, s[0:3], 0 offset:112
	buffer_load_dword v182, off, s[0:3], 0 offset:124
	buffer_load_dword v183, off, s[0:3], 0 offset:120
	buffer_load_dword v184, off, s[0:3], 0 offset:132
	buffer_load_dword v185, off, s[0:3], 0 offset:128
	buffer_load_dword v186, off, s[0:3], 0 offset:140
	buffer_load_dword v187, off, s[0:3], 0 offset:136
	buffer_load_dword v188, off, s[0:3], 0 offset:148
	buffer_load_dword v189, off, s[0:3], 0 offset:144
	buffer_load_dword v190, off, s[0:3], 0 offset:156
	buffer_load_dword v191, off, s[0:3], 0 offset:152
	buffer_load_dword v192, off, s[0:3], 0 offset:164
	buffer_load_dword v193, off, s[0:3], 0 offset:160
	buffer_load_dword v2, off, s[0:3], 0 offset:40
	buffer_load_dword v3, off, s[0:3], 0 offset:44
	buffer_load_dword v194, off, s[0:3], 0 offset:172
	buffer_load_dword v195, off, s[0:3], 0 offset:168
	buffer_load_dword v196, off, s[0:3], 0 offset:176
	buffer_load_dword v197, off, s[0:3], 0 offset:180
	ds_read_b128 v[6:9], v4 offset:384
	ds_read_b128 v[10:13], v4 offset:400
	buffer_load_dword v198, off, s[0:3], 0 offset:184
	buffer_load_dword v199, off, s[0:3], 0 offset:188
	;; [unrolled: 1-line block ×4, first 2 shown]
	ds_read_b128 v[14:17], v4 offset:416
	ds_read_b128 v[18:21], v4 offset:432
	buffer_load_dword v202, off, s[0:3], 0 offset:200
	buffer_load_dword v203, off, s[0:3], 0 offset:204
	ds_read_b128 v[22:25], v4 offset:448
	ds_read_b128 v[26:29], v4 offset:464
	buffer_load_dword v204, off, s[0:3], 0 offset:208
	buffer_load_dword v205, off, s[0:3], 0 offset:212
	;; [unrolled: 1-line block ×16, first 2 shown]
	v_cmp_lt_u32_e32 vcc, 4, v0
	s_waitcnt vmcnt(57) lgkmcnt(5)
	v_mul_f32_e32 v30, v6, v5
	s_waitcnt vmcnt(56)
	v_mul_f32_e32 v31, v8, v62
	s_waitcnt vmcnt(55) lgkmcnt(4)
	v_mul_f32_e32 v32, v10, v148
	s_waitcnt vmcnt(54)
	v_mul_f32_e32 v33, v12, v156
	;; [unrolled: 4-line block ×4, first 2 shown]
	s_waitcnt vmcnt(49)
	v_fmac_f32_e32 v30, v7, v172
	s_waitcnt vmcnt(48)
	v_fmac_f32_e32 v31, v9, v173
	v_add_f32_e32 v30, 0, v30
	s_waitcnt vmcnt(47)
	v_fmac_f32_e32 v32, v11, v174
	v_add_f32_e32 v30, v30, v31
	;; [unrolled: 3-line block ×7, first 2 shown]
	s_waitcnt vmcnt(41) lgkmcnt(1)
	v_mul_f32_e32 v31, v22, v180
	v_add_f32_e32 v30, v30, v37
	s_waitcnt vmcnt(40)
	v_fmac_f32_e32 v31, v23, v181
	v_add_f32_e32 v30, v30, v31
	s_waitcnt vmcnt(39)
	v_mul_f32_e32 v31, v24, v182
	s_waitcnt vmcnt(38)
	v_fmac_f32_e32 v31, v25, v183
	v_add_f32_e32 v30, v30, v31
	s_waitcnt vmcnt(37) lgkmcnt(0)
	v_mul_f32_e32 v31, v26, v184
	s_waitcnt vmcnt(36)
	v_fmac_f32_e32 v31, v27, v185
	v_add_f32_e32 v34, v30, v31
	ds_read_b128 v[30:33], v4 offset:480
	s_waitcnt vmcnt(35)
	v_mul_f32_e32 v35, v28, v186
	s_waitcnt vmcnt(34)
	v_fmac_f32_e32 v35, v29, v187
	v_add_f32_e32 v38, v34, v35
	ds_read_b128 v[34:37], v4 offset:496
	s_waitcnt vmcnt(33) lgkmcnt(1)
	v_mul_f32_e32 v39, v30, v188
	s_waitcnt vmcnt(32)
	v_fmac_f32_e32 v39, v31, v189
	v_add_f32_e32 v38, v38, v39
	s_waitcnt vmcnt(31)
	v_mul_f32_e32 v39, v32, v190
	s_waitcnt vmcnt(30)
	v_fmac_f32_e32 v39, v33, v191
	v_add_f32_e32 v38, v38, v39
	s_waitcnt vmcnt(29) lgkmcnt(0)
	v_mul_f32_e32 v39, v34, v192
	s_waitcnt vmcnt(28)
	v_fmac_f32_e32 v39, v35, v193
	v_add_f32_e32 v42, v38, v39
	ds_read_b128 v[38:41], v4 offset:512
	s_waitcnt vmcnt(25)
	v_mul_f32_e32 v43, v36, v194
	s_waitcnt vmcnt(24)
	v_fmac_f32_e32 v43, v37, v195
	v_add_f32_e32 v46, v42, v43
	ds_read_b128 v[42:45], v4 offset:528
	s_waitcnt vmcnt(22) lgkmcnt(1)
	v_mul_f32_e32 v47, v38, v197
	v_fmac_f32_e32 v47, v39, v196
	v_add_f32_e32 v46, v46, v47
	s_waitcnt vmcnt(20)
	v_mul_f32_e32 v47, v40, v199
	v_fmac_f32_e32 v47, v41, v198
	v_add_f32_e32 v46, v46, v47
	s_waitcnt vmcnt(18) lgkmcnt(0)
	v_mul_f32_e32 v47, v42, v201
	v_fmac_f32_e32 v47, v43, v200
	v_add_f32_e32 v50, v46, v47
	ds_read_b128 v[46:49], v4 offset:544
	s_waitcnt vmcnt(16)
	v_mul_f32_e32 v51, v44, v203
	v_fmac_f32_e32 v51, v45, v202
	v_add_f32_e32 v54, v50, v51
	ds_read_b128 v[50:53], v4 offset:560
	s_waitcnt vmcnt(14) lgkmcnt(1)
	v_mul_f32_e32 v55, v46, v205
	v_fmac_f32_e32 v55, v47, v204
	v_add_f32_e32 v54, v54, v55
	s_waitcnt vmcnt(12)
	v_mul_f32_e32 v55, v48, v207
	v_fmac_f32_e32 v55, v49, v206
	v_add_f32_e32 v54, v54, v55
	s_waitcnt vmcnt(10) lgkmcnt(0)
	v_mul_f32_e32 v55, v50, v209
	v_fmac_f32_e32 v55, v51, v208
	s_waitcnt vmcnt(8)
	v_mul_f32_e32 v59, v52, v211
	v_add_f32_e32 v58, v54, v55
	v_fmac_f32_e32 v59, v53, v210
	ds_read_b128 v[54:57], v4 offset:576
	v_add_f32_e32 v63, v58, v59
	ds_read_b128 v[58:61], v4 offset:592
	buffer_load_dword v151, off, s[0:3], 0 offset:292
	buffer_load_dword v150, off, s[0:3], 0 offset:288
	buffer_load_dword v153, off, s[0:3], 0 offset:284
	buffer_load_dword v152, off, s[0:3], 0 offset:280
	buffer_load_dword v155, off, s[0:3], 0 offset:276
	buffer_load_dword v154, off, s[0:3], 0 offset:272
	buffer_load_dword v159, off, s[0:3], 0 offset:324
	buffer_load_dword v158, off, s[0:3], 0 offset:320
	buffer_load_dword v161, off, s[0:3], 0 offset:316
	buffer_load_dword v160, off, s[0:3], 0 offset:312
	buffer_load_dword v163, off, s[0:3], 0 offset:308
	buffer_load_dword v162, off, s[0:3], 0 offset:304
	buffer_load_dword v165, off, s[0:3], 0 offset:300
	buffer_load_dword v164, off, s[0:3], 0 offset:296
	buffer_load_dword v167, off, s[0:3], 0 offset:332
	buffer_load_dword v166, off, s[0:3], 0 offset:328
	v_mul_f32_e32 v5, v7, v5
	v_fma_f32 v5, v6, v172, -v5
	v_mul_f32_e32 v6, v9, v62
	v_add_f32_e32 v5, 0, v5
	v_fma_f32 v6, v8, v173, -v6
	v_add_f32_e32 v5, v5, v6
	v_mul_f32_e32 v6, v11, v148
	v_fma_f32 v6, v10, v174, -v6
	v_add_f32_e32 v5, v5, v6
	v_mul_f32_e32 v6, v13, v156
	;; [unrolled: 3-line block ×22, first 2 shown]
	v_fma_f32 v6, v52, v210, -v6
	v_add_f32_e32 v5, v5, v6
	s_waitcnt vmcnt(22) lgkmcnt(1)
	v_mul_f32_e32 v6, v55, v213
	v_fma_f32 v6, v54, v212, -v6
	v_add_f32_e32 v5, v5, v6
	s_waitcnt vmcnt(20)
	v_mul_f32_e32 v6, v57, v215
	v_fma_f32 v6, v56, v214, -v6
	v_add_f32_e32 v62, v5, v6
	ds_read_b128 v[6:9], v4 offset:608
	ds_read_b128 v[10:13], v4 offset:624
	;; [unrolled: 1-line block ×4, first 2 shown]
	s_waitcnt vmcnt(11)
	v_mov_b32_e32 v22, v155
	v_mul_f32_e32 v149, v54, v213
	s_waitcnt lgkmcnt(3)
	v_pk_mul_f32 v[22:23], v[6:7], v[22:23] op_sel_hi:[1,0]
	v_fmac_f32_e32 v149, v55, v212
	s_waitcnt vmcnt(10)
	v_pk_fma_f32 v[24:25], v[6:7], v[154:155], v[22:23] op_sel:[0,0,1] op_sel_hi:[1,1,0] neg_lo:[0,0,1] neg_hi:[0,0,1]
	v_pk_fma_f32 v[6:7], v[6:7], v[154:155], v[22:23] op_sel:[0,0,1] op_sel_hi:[1,0,0]
	v_add_f32_e32 v63, v63, v149
	v_mul_f32_e32 v149, v56, v215
	v_mov_b32_e32 v6, v153
	v_fmac_f32_e32 v149, v57, v214
	v_mov_b32_e32 v25, v7
	v_pk_mul_f32 v[6:7], v[8:9], v[6:7] op_sel_hi:[1,0]
	v_add_f32_e32 v63, v63, v149
	v_mul_f32_e32 v149, v58, v217
	v_mul_f32_e32 v5, v59, v217
	v_pk_fma_f32 v[22:23], v[8:9], v[152:153], v[6:7] op_sel:[0,0,1] op_sel_hi:[1,1,0] neg_lo:[0,0,1] neg_hi:[0,0,1]
	v_pk_fma_f32 v[6:7], v[8:9], v[152:153], v[6:7] op_sel:[0,0,1] op_sel_hi:[1,0,0]
	v_fmac_f32_e32 v149, v59, v216
	v_mul_f32_e32 v157, v60, v219
	v_fma_f32 v148, v58, v216, -v5
	v_mul_f32_e32 v5, v61, v219
	v_mov_b32_e32 v6, v151
	v_fmac_f32_e32 v157, v61, v218
	v_fma_f32 v156, v60, v218, -v5
	v_pk_add_f32 v[4:5], v[62:63], v[148:149]
	v_mov_b32_e32 v23, v7
	s_waitcnt lgkmcnt(2)
	v_pk_mul_f32 v[6:7], v[10:11], v[6:7] op_sel_hi:[1,0]
	v_pk_add_f32 v[4:5], v[4:5], v[156:157]
	v_pk_fma_f32 v[8:9], v[10:11], v[150:151], v[6:7] op_sel:[0,0,1] op_sel_hi:[1,1,0] neg_lo:[0,0,1] neg_hi:[0,0,1]
	v_pk_fma_f32 v[6:7], v[10:11], v[150:151], v[6:7] op_sel:[0,0,1] op_sel_hi:[1,0,0]
	v_pk_add_f32 v[4:5], v[4:5], v[24:25]
	s_waitcnt vmcnt(3)
	v_mov_b32_e32 v6, v165
	v_pk_add_f32 v[4:5], v[4:5], v[22:23]
	v_mov_b32_e32 v9, v7
	v_pk_mul_f32 v[6:7], v[12:13], v[6:7] op_sel_hi:[1,0]
	v_pk_add_f32 v[4:5], v[4:5], v[8:9]
	s_waitcnt vmcnt(2)
	v_pk_fma_f32 v[8:9], v[12:13], v[164:165], v[6:7] op_sel:[0,0,1] op_sel_hi:[1,1,0] neg_lo:[0,0,1] neg_hi:[0,0,1]
	v_pk_fma_f32 v[6:7], v[12:13], v[164:165], v[6:7] op_sel:[0,0,1] op_sel_hi:[1,0,0]
	v_mov_b32_e32 v6, v163
	v_mov_b32_e32 v9, v7
	s_waitcnt lgkmcnt(1)
	v_pk_mul_f32 v[6:7], v[14:15], v[6:7] op_sel_hi:[1,0]
	v_pk_add_f32 v[4:5], v[4:5], v[8:9]
	v_pk_fma_f32 v[8:9], v[14:15], v[162:163], v[6:7] op_sel:[0,0,1] op_sel_hi:[1,1,0] neg_lo:[0,0,1] neg_hi:[0,0,1]
	v_pk_fma_f32 v[6:7], v[14:15], v[162:163], v[6:7] op_sel:[0,0,1] op_sel_hi:[1,0,0]
	v_mov_b32_e32 v6, v161
	v_mov_b32_e32 v9, v7
	v_pk_mul_f32 v[6:7], v[16:17], v[6:7] op_sel_hi:[1,0]
	v_pk_add_f32 v[4:5], v[4:5], v[8:9]
	v_pk_fma_f32 v[8:9], v[16:17], v[160:161], v[6:7] op_sel:[0,0,1] op_sel_hi:[1,1,0] neg_lo:[0,0,1] neg_hi:[0,0,1]
	v_pk_fma_f32 v[6:7], v[16:17], v[160:161], v[6:7] op_sel:[0,0,1] op_sel_hi:[1,0,0]
	v_mov_b32_e32 v6, v159
	v_mov_b32_e32 v9, v7
	s_waitcnt lgkmcnt(0)
	v_pk_mul_f32 v[6:7], v[18:19], v[6:7] op_sel_hi:[1,0]
	v_pk_add_f32 v[4:5], v[4:5], v[8:9]
	v_pk_fma_f32 v[8:9], v[18:19], v[158:159], v[6:7] op_sel:[0,0,1] op_sel_hi:[1,1,0] neg_lo:[0,0,1] neg_hi:[0,0,1]
	v_pk_fma_f32 v[6:7], v[18:19], v[158:159], v[6:7] op_sel:[0,0,1] op_sel_hi:[1,0,0]
	s_waitcnt vmcnt(1)
	v_mov_b32_e32 v6, v167
	v_mov_b32_e32 v9, v7
	v_pk_mul_f32 v[6:7], v[20:21], v[6:7] op_sel_hi:[1,0]
	v_pk_add_f32 v[4:5], v[4:5], v[8:9]
	s_waitcnt vmcnt(0)
	v_pk_fma_f32 v[8:9], v[20:21], v[166:167], v[6:7] op_sel:[0,0,1] op_sel_hi:[1,1,0] neg_lo:[0,0,1] neg_hi:[0,0,1]
	v_pk_fma_f32 v[6:7], v[20:21], v[166:167], v[6:7] op_sel:[0,0,1] op_sel_hi:[1,0,0]
	v_mov_b32_e32 v9, v7
	v_pk_add_f32 v[4:5], v[4:5], v[8:9]
	v_pk_add_f32 v[2:3], v[2:3], v[4:5] neg_lo:[0,1] neg_hi:[0,1]
	buffer_store_dword v3, off, s[0:3], 0 offset:44
	buffer_store_dword v2, off, s[0:3], 0 offset:40
	s_and_saveexec_b64 s[4:5], vcc
	s_cbranch_execz .LBB41_257
; %bb.256:
	buffer_load_dword v2, off, s[0:3], 0 offset:32
	buffer_load_dword v3, off, s[0:3], 0 offset:36
	v_mov_b32_e32 v4, 0
	buffer_store_dword v4, off, s[0:3], 0 offset:32
	buffer_store_dword v4, off, s[0:3], 0 offset:36
	s_waitcnt vmcnt(2)
	ds_write_b64 v1, v[2:3]
.LBB41_257:
	s_or_b64 exec, exec, s[4:5]
	s_waitcnt lgkmcnt(0)
	; wave barrier
	s_waitcnt lgkmcnt(0)
	buffer_load_dword v17, off, s[0:3], 0 offset:44
	buffer_load_dword v62, off, s[0:3], 0 offset:52
	;; [unrolled: 1-line block ×56, first 2 shown]
	v_mov_b32_e32 v16, 0
	ds_read2_b64 v[2:5], v16 offset0:47 offset1:48
	buffer_load_dword v226, off, s[0:3], 0 offset:256
	buffer_load_dword v227, off, s[0:3], 0 offset:260
	;; [unrolled: 1-line block ×4, first 2 shown]
	ds_read2_b64 v[8:11], v16 offset0:49 offset1:50
	ds_read2_b64 v[12:15], v16 offset0:51 offset1:52
	;; [unrolled: 1-line block ×3, first 2 shown]
	v_cmp_lt_u32_e32 vcc, 3, v0
	s_waitcnt vmcnt(59) lgkmcnt(3)
	v_mul_f32_e32 v22, v2, v17
	s_waitcnt vmcnt(58)
	v_mul_f32_e32 v23, v4, v62
	s_waitcnt vmcnt(57) lgkmcnt(2)
	v_mul_f32_e32 v24, v8, v160
	s_waitcnt vmcnt(56)
	v_mul_f32_e32 v25, v10, v162
	;; [unrolled: 4-line block ×3, first 2 shown]
	s_waitcnt vmcnt(53) lgkmcnt(0)
	v_mul_f32_e32 v28, v18, v178
	s_waitcnt vmcnt(52)
	v_fmac_f32_e32 v22, v3, v179
	s_waitcnt vmcnt(51)
	v_fmac_f32_e32 v23, v5, v180
	v_add_f32_e32 v22, 0, v22
	s_waitcnt vmcnt(50)
	v_fmac_f32_e32 v24, v9, v181
	v_add_f32_e32 v22, v22, v23
	;; [unrolled: 3-line block ×6, first 2 shown]
	v_add_f32_e32 v26, v22, v28
	ds_read2_b64 v[22:25], v16 offset0:55 offset1:56
	s_waitcnt vmcnt(45)
	v_mul_f32_e32 v27, v20, v186
	s_waitcnt vmcnt(44)
	v_fmac_f32_e32 v27, v21, v187
	v_add_f32_e32 v30, v26, v27
	ds_read2_b64 v[26:29], v16 offset0:57 offset1:58
	s_waitcnt vmcnt(43) lgkmcnt(1)
	v_mul_f32_e32 v31, v22, v188
	s_waitcnt vmcnt(42)
	v_fmac_f32_e32 v31, v23, v189
	v_add_f32_e32 v30, v30, v31
	s_waitcnt vmcnt(41)
	v_mul_f32_e32 v31, v24, v190
	s_waitcnt vmcnt(40)
	v_fmac_f32_e32 v31, v25, v191
	v_add_f32_e32 v30, v30, v31
	s_waitcnt vmcnt(39) lgkmcnt(0)
	v_mul_f32_e32 v31, v26, v192
	s_waitcnt vmcnt(38)
	v_fmac_f32_e32 v31, v27, v193
	v_add_f32_e32 v34, v30, v31
	ds_read2_b64 v[30:33], v16 offset0:59 offset1:60
	s_waitcnt vmcnt(37)
	v_mul_f32_e32 v35, v28, v194
	s_waitcnt vmcnt(36)
	v_fmac_f32_e32 v35, v29, v195
	v_add_f32_e32 v38, v34, v35
	ds_read2_b64 v[34:37], v16 offset0:61 offset1:62
	s_waitcnt vmcnt(34) lgkmcnt(1)
	v_mul_f32_e32 v39, v30, v197
	v_fmac_f32_e32 v39, v31, v196
	v_add_f32_e32 v38, v38, v39
	s_waitcnt vmcnt(31)
	v_mul_f32_e32 v39, v32, v198
	s_waitcnt vmcnt(30)
	v_fmac_f32_e32 v39, v33, v199
	v_add_f32_e32 v38, v38, v39
	s_waitcnt vmcnt(28) lgkmcnt(0)
	v_mul_f32_e32 v39, v34, v201
	v_fmac_f32_e32 v39, v35, v200
	v_add_f32_e32 v42, v38, v39
	ds_read2_b64 v[38:41], v16 offset0:63 offset1:64
	s_waitcnt vmcnt(26)
	v_mul_f32_e32 v43, v36, v203
	v_fmac_f32_e32 v43, v37, v202
	v_add_f32_e32 v46, v42, v43
	ds_read2_b64 v[42:45], v16 offset0:65 offset1:66
	s_waitcnt vmcnt(24) lgkmcnt(1)
	v_mul_f32_e32 v47, v38, v205
	v_fmac_f32_e32 v47, v39, v204
	v_add_f32_e32 v46, v46, v47
	s_waitcnt vmcnt(22)
	v_mul_f32_e32 v47, v40, v207
	v_fmac_f32_e32 v47, v41, v206
	v_add_f32_e32 v46, v46, v47
	s_waitcnt vmcnt(20) lgkmcnt(0)
	v_mul_f32_e32 v47, v42, v209
	v_fmac_f32_e32 v47, v43, v208
	v_add_f32_e32 v50, v46, v47
	ds_read2_b64 v[46:49], v16 offset0:67 offset1:68
	s_waitcnt vmcnt(18)
	v_mul_f32_e32 v51, v44, v211
	v_fmac_f32_e32 v51, v45, v210
	v_add_f32_e32 v54, v50, v51
	ds_read2_b64 v[50:53], v16 offset0:69 offset1:70
	s_waitcnt vmcnt(16) lgkmcnt(1)
	v_mul_f32_e32 v55, v46, v213
	v_fmac_f32_e32 v55, v47, v212
	v_add_f32_e32 v54, v54, v55
	s_waitcnt vmcnt(14)
	v_mul_f32_e32 v55, v48, v215
	;; [unrolled: 18-line block ×3, first 2 shown]
	v_fmac_f32_e32 v148, v57, v222
	v_add_f32_e32 v63, v63, v148
	s_waitcnt vmcnt(4) lgkmcnt(0)
	v_mul_f32_e32 v148, v58, v225
	v_fmac_f32_e32 v148, v59, v224
	v_add_f32_e32 v63, v63, v148
	ds_read2_b64 v[148:151], v16 offset0:75 offset1:76
	buffer_load_dword v157, off, s[0:3], 0 offset:284
	buffer_load_dword v156, off, s[0:3], 0 offset:280
	buffer_load_dword v159, off, s[0:3], 0 offset:276
	buffer_load_dword v158, off, s[0:3], 0 offset:272
	ds_read2_b64 v[152:155], v16 offset0:77 offset1:78
	buffer_load_dword v165, off, s[0:3], 0 offset:316
	buffer_load_dword v164, off, s[0:3], 0 offset:312
	;; [unrolled: 1-line block ×12, first 2 shown]
	v_mul_f32_e32 v3, v3, v17
	v_fma_f32 v2, v2, v179, -v3
	v_mul_f32_e32 v3, v5, v62
	v_add_f32_e32 v2, 0, v2
	v_fma_f32 v3, v4, v180, -v3
	v_add_f32_e32 v2, v2, v3
	v_mul_f32_e32 v3, v9, v160
	v_fma_f32 v3, v8, v181, -v3
	v_add_f32_e32 v2, v2, v3
	v_mul_f32_e32 v3, v11, v162
	;; [unrolled: 3-line block ×25, first 2 shown]
	v_fma_f32 v3, v58, v224, -v3
	s_waitcnt vmcnt(13)
	v_mov_b32_e32 v18, v159
	v_mul_f32_e32 v161, v60, v227
	v_add_f32_e32 v62, v2, v3
	v_mul_f32_e32 v2, v61, v227
	s_waitcnt lgkmcnt(1)
	v_pk_mul_f32 v[18:19], v[150:151], v[18:19] op_sel_hi:[1,0]
	v_fmac_f32_e32 v161, v61, v226
	v_mul_f32_e32 v163, v148, v229
	v_fma_f32 v160, v60, v226, -v2
	v_mul_f32_e32 v2, v149, v229
	s_waitcnt vmcnt(12)
	v_pk_fma_f32 v[20:21], v[150:151], v[158:159], v[18:19] op_sel:[0,0,1] op_sel_hi:[1,1,0] neg_lo:[0,0,1] neg_hi:[0,0,1]
	v_pk_fma_f32 v[18:19], v[150:151], v[158:159], v[18:19] op_sel:[0,0,1] op_sel_hi:[1,0,0]
	v_fmac_f32_e32 v163, v149, v228
	v_fma_f32 v162, v148, v228, -v2
	v_pk_add_f32 v[14:15], v[62:63], v[160:161]
	v_mov_b32_e32 v18, v157
	v_pk_add_f32 v[14:15], v[14:15], v[162:163]
	v_mov_b32_e32 v21, v19
	s_waitcnt lgkmcnt(0)
	v_pk_mul_f32 v[18:19], v[152:153], v[18:19] op_sel_hi:[1,0]
	v_pk_add_f32 v[14:15], v[14:15], v[20:21]
	v_pk_fma_f32 v[20:21], v[152:153], v[156:157], v[18:19] op_sel:[0,0,1] op_sel_hi:[1,1,0] neg_lo:[0,0,1] neg_hi:[0,0,1]
	v_pk_fma_f32 v[18:19], v[152:153], v[156:157], v[18:19] op_sel:[0,0,1] op_sel_hi:[1,0,0]
	s_waitcnt vmcnt(5)
	v_mov_b32_e32 v18, v171
	ds_read2_b64 v[2:5], v16 offset0:79 offset1:80
	ds_read2_b64 v[8:11], v16 offset0:81 offset1:82
	ds_read_b64 v[12:13], v16 offset:664
	v_mov_b32_e32 v21, v19
	v_pk_mul_f32 v[18:19], v[154:155], v[18:19] op_sel_hi:[1,0]
	v_pk_add_f32 v[14:15], v[14:15], v[20:21]
	s_waitcnt vmcnt(4)
	v_pk_fma_f32 v[20:21], v[154:155], v[170:171], v[18:19] op_sel:[0,0,1] op_sel_hi:[1,1,0] neg_lo:[0,0,1] neg_hi:[0,0,1]
	v_pk_fma_f32 v[18:19], v[154:155], v[170:171], v[18:19] op_sel:[0,0,1] op_sel_hi:[1,0,0]
	v_mov_b32_e32 v18, v169
	v_mov_b32_e32 v21, v19
	s_waitcnt lgkmcnt(2)
	v_pk_mul_f32 v[18:19], v[2:3], v[18:19] op_sel_hi:[1,0]
	v_pk_add_f32 v[14:15], v[14:15], v[20:21]
	v_pk_fma_f32 v[20:21], v[2:3], v[168:169], v[18:19] op_sel:[0,0,1] op_sel_hi:[1,1,0] neg_lo:[0,0,1] neg_hi:[0,0,1]
	v_pk_fma_f32 v[2:3], v[2:3], v[168:169], v[18:19] op_sel:[0,0,1] op_sel_hi:[1,0,0]
	v_mov_b32_e32 v21, v3
	v_pk_add_f32 v[2:3], v[14:15], v[20:21]
	v_mov_b32_e32 v14, v167
	v_pk_mul_f32 v[14:15], v[4:5], v[14:15] op_sel_hi:[1,0]
	v_pk_fma_f32 v[18:19], v[4:5], v[166:167], v[14:15] op_sel:[0,0,1] op_sel_hi:[1,1,0] neg_lo:[0,0,1] neg_hi:[0,0,1]
	v_pk_fma_f32 v[4:5], v[4:5], v[166:167], v[14:15] op_sel:[0,0,1] op_sel_hi:[1,0,0]
	v_mov_b32_e32 v4, v165
	v_mov_b32_e32 v19, v5
	s_waitcnt lgkmcnt(1)
	v_pk_mul_f32 v[4:5], v[8:9], v[4:5] op_sel_hi:[1,0]
	v_pk_fma_f32 v[14:15], v[8:9], v[164:165], v[4:5] op_sel:[0,0,1] op_sel_hi:[1,1,0] neg_lo:[0,0,1] neg_hi:[0,0,1]
	v_pk_fma_f32 v[4:5], v[8:9], v[164:165], v[4:5] op_sel:[0,0,1] op_sel_hi:[1,0,0]
	s_waitcnt vmcnt(1)
	v_mov_b32_e32 v4, v175
	v_mov_b32_e32 v15, v5
	v_pk_mul_f32 v[4:5], v[10:11], v[4:5] op_sel_hi:[1,0]
	s_waitcnt vmcnt(0)
	v_pk_fma_f32 v[8:9], v[10:11], v[174:175], v[4:5] op_sel:[0,0,1] op_sel_hi:[1,1,0] neg_lo:[0,0,1] neg_hi:[0,0,1]
	v_pk_fma_f32 v[4:5], v[10:11], v[174:175], v[4:5] op_sel:[0,0,1] op_sel_hi:[1,0,0]
	v_pk_add_f32 v[2:3], v[2:3], v[18:19]
	v_mov_b32_e32 v4, v173
	v_pk_add_f32 v[2:3], v[2:3], v[14:15]
	v_mov_b32_e32 v9, v5
	s_waitcnt lgkmcnt(0)
	v_pk_mul_f32 v[4:5], v[12:13], v[4:5] op_sel_hi:[1,0]
	v_pk_add_f32 v[2:3], v[2:3], v[8:9]
	v_pk_fma_f32 v[8:9], v[12:13], v[172:173], v[4:5] op_sel:[0,0,1] op_sel_hi:[1,1,0] neg_lo:[0,0,1] neg_hi:[0,0,1]
	v_pk_fma_f32 v[4:5], v[12:13], v[172:173], v[4:5] op_sel:[0,0,1] op_sel_hi:[1,0,0]
	v_mov_b32_e32 v9, v5
	v_pk_add_f32 v[2:3], v[2:3], v[8:9]
	v_pk_add_f32 v[2:3], v[6:7], v[2:3] neg_lo:[0,1] neg_hi:[0,1]
	buffer_store_dword v3, off, s[0:3], 0 offset:36
	buffer_store_dword v2, off, s[0:3], 0 offset:32
	s_and_saveexec_b64 s[4:5], vcc
	s_cbranch_execz .LBB41_259
; %bb.258:
	buffer_load_dword v2, off, s[0:3], 0 offset:24
	buffer_load_dword v3, off, s[0:3], 0 offset:28
	s_waitcnt vmcnt(0)
	ds_write_b64 v1, v[2:3]
	buffer_store_dword v16, off, s[0:3], 0 offset:24
	buffer_store_dword v16, off, s[0:3], 0 offset:28
.LBB41_259:
	s_or_b64 exec, exec, s[4:5]
	s_waitcnt lgkmcnt(0)
	; wave barrier
	s_waitcnt lgkmcnt(0)
	buffer_load_dword v17, off, s[0:3], 0 offset:36
	buffer_load_dword v156, off, s[0:3], 0 offset:44
	;; [unrolled: 1-line block ×32, first 2 shown]
	ds_read_b128 v[18:21], v16 offset:368
	ds_read_b128 v[6:9], v16 offset:384
	buffer_load_dword v202, off, s[0:3], 0 offset:152
	buffer_load_dword v203, off, s[0:3], 0 offset:156
	ds_read_b128 v[10:13], v16 offset:400
	ds_read_b128 v[2:5], v16 offset:416
	buffer_load_dword v204, off, s[0:3], 0 offset:160
	buffer_load_dword v205, off, s[0:3], 0 offset:164
	;; [unrolled: 1-line block ×28, first 2 shown]
	v_cmp_lt_u32_e32 vcc, 2, v0
	s_waitcnt vmcnt(61) lgkmcnt(3)
	v_mul_f32_e32 v22, v18, v17
	s_waitcnt vmcnt(60)
	v_mul_f32_e32 v23, v20, v156
	s_waitcnt vmcnt(59) lgkmcnt(2)
	v_mul_f32_e32 v24, v6, v158
	s_waitcnt vmcnt(58)
	v_mul_f32_e32 v25, v8, v160
	;; [unrolled: 4-line block ×3, first 2 shown]
	s_waitcnt vmcnt(55) lgkmcnt(0)
	v_mul_f32_e32 v28, v2, v178
	s_waitcnt vmcnt(54)
	v_fmac_f32_e32 v22, v19, v179
	s_waitcnt vmcnt(53)
	v_fmac_f32_e32 v23, v21, v180
	v_add_f32_e32 v22, 0, v22
	s_waitcnt vmcnt(52)
	v_fmac_f32_e32 v24, v7, v181
	v_add_f32_e32 v22, v22, v23
	;; [unrolled: 3-line block ×6, first 2 shown]
	v_add_f32_e32 v26, v22, v28
	ds_read_b128 v[22:25], v16 offset:432
	s_waitcnt vmcnt(47)
	v_mul_f32_e32 v27, v4, v186
	s_waitcnt vmcnt(46)
	v_fmac_f32_e32 v27, v5, v187
	v_add_f32_e32 v30, v26, v27
	ds_read_b128 v[26:29], v16 offset:448
	s_waitcnt vmcnt(45) lgkmcnt(1)
	v_mul_f32_e32 v31, v22, v188
	s_waitcnt vmcnt(44)
	v_fmac_f32_e32 v31, v23, v189
	v_add_f32_e32 v30, v30, v31
	s_waitcnt vmcnt(43)
	v_mul_f32_e32 v31, v24, v190
	s_waitcnt vmcnt(42)
	v_fmac_f32_e32 v31, v25, v191
	v_add_f32_e32 v30, v30, v31
	s_waitcnt vmcnt(41) lgkmcnt(0)
	v_mul_f32_e32 v31, v26, v192
	s_waitcnt vmcnt(40)
	v_fmac_f32_e32 v31, v27, v193
	v_add_f32_e32 v34, v30, v31
	ds_read_b128 v[30:33], v16 offset:464
	s_waitcnt vmcnt(39)
	v_mul_f32_e32 v35, v28, v194
	s_waitcnt vmcnt(38)
	v_fmac_f32_e32 v35, v29, v195
	v_add_f32_e32 v38, v34, v35
	ds_read_b128 v[34:37], v16 offset:480
	s_waitcnt vmcnt(35) lgkmcnt(1)
	v_mul_f32_e32 v39, v30, v196
	s_waitcnt vmcnt(34)
	v_fmac_f32_e32 v39, v31, v197
	v_add_f32_e32 v38, v38, v39
	s_waitcnt vmcnt(32)
	v_mul_f32_e32 v39, v32, v199
	v_fmac_f32_e32 v39, v33, v198
	v_add_f32_e32 v38, v38, v39
	s_waitcnt vmcnt(30) lgkmcnt(0)
	v_mul_f32_e32 v39, v34, v201
	v_fmac_f32_e32 v39, v35, v200
	v_add_f32_e32 v42, v38, v39
	ds_read_b128 v[38:41], v16 offset:496
	s_waitcnt vmcnt(28)
	v_mul_f32_e32 v43, v36, v203
	v_fmac_f32_e32 v43, v37, v202
	v_add_f32_e32 v46, v42, v43
	ds_read_b128 v[42:45], v16 offset:512
	s_waitcnt vmcnt(26) lgkmcnt(1)
	v_mul_f32_e32 v47, v38, v205
	v_fmac_f32_e32 v47, v39, v204
	v_add_f32_e32 v46, v46, v47
	s_waitcnt vmcnt(24)
	v_mul_f32_e32 v47, v40, v207
	v_fmac_f32_e32 v47, v41, v206
	v_add_f32_e32 v46, v46, v47
	s_waitcnt vmcnt(22) lgkmcnt(0)
	v_mul_f32_e32 v47, v42, v209
	v_fmac_f32_e32 v47, v43, v208
	v_add_f32_e32 v50, v46, v47
	ds_read_b128 v[46:49], v16 offset:528
	s_waitcnt vmcnt(20)
	v_mul_f32_e32 v51, v44, v211
	v_fmac_f32_e32 v51, v45, v210
	v_add_f32_e32 v54, v50, v51
	ds_read_b128 v[50:53], v16 offset:544
	s_waitcnt vmcnt(18) lgkmcnt(1)
	v_mul_f32_e32 v55, v46, v213
	;; [unrolled: 18-line block ×3, first 2 shown]
	v_fmac_f32_e32 v63, v55, v220
	v_add_f32_e32 v62, v62, v63
	s_waitcnt vmcnt(8)
	v_mul_f32_e32 v63, v56, v223
	v_fmac_f32_e32 v63, v57, v222
	v_add_f32_e32 v62, v62, v63
	s_waitcnt vmcnt(6) lgkmcnt(0)
	v_mul_f32_e32 v63, v58, v225
	v_fmac_f32_e32 v63, v59, v224
	v_add_f32_e32 v152, v62, v63
	buffer_load_dword v63, off, s[0:3], 0 offset:276
	buffer_load_dword v62, off, s[0:3], 0 offset:272
	s_waitcnt vmcnt(6)
	v_mul_f32_e32 v153, v60, v227
	v_fmac_f32_e32 v153, v61, v226
	ds_read_b128 v[148:151], v16 offset:592
	v_add_f32_e32 v157, v152, v153
	ds_read_b128 v[152:155], v16 offset:608
	buffer_load_dword v163, off, s[0:3], 0 offset:308
	buffer_load_dword v162, off, s[0:3], 0 offset:304
	buffer_load_dword v165, off, s[0:3], 0 offset:300
	buffer_load_dword v164, off, s[0:3], 0 offset:296
	buffer_load_dword v167, off, s[0:3], 0 offset:292
	buffer_load_dword v166, off, s[0:3], 0 offset:288
	buffer_load_dword v169, off, s[0:3], 0 offset:284
	buffer_load_dword v168, off, s[0:3], 0 offset:280
	buffer_load_dword v171, off, s[0:3], 0 offset:332
	buffer_load_dword v170, off, s[0:3], 0 offset:328
	buffer_load_dword v173, off, s[0:3], 0 offset:324
	buffer_load_dword v172, off, s[0:3], 0 offset:320
	buffer_load_dword v175, off, s[0:3], 0 offset:316
	buffer_load_dword v174, off, s[0:3], 0 offset:312
	v_mul_f32_e32 v17, v19, v17
	v_fma_f32 v17, v18, v179, -v17
	v_mul_f32_e32 v18, v21, v156
	v_add_f32_e32 v17, 0, v17
	v_fma_f32 v18, v20, v180, -v18
	v_mul_f32_e32 v7, v7, v158
	v_add_f32_e32 v17, v17, v18
	;; [unrolled: 3-line block ×3, first 2 shown]
	v_fma_f32 v7, v8, v182, -v7
	v_add_f32_e32 v6, v6, v7
	v_mul_f32_e32 v7, v11, v176
	v_fma_f32 v7, v10, v183, -v7
	v_add_f32_e32 v6, v6, v7
	v_mul_f32_e32 v7, v13, v177
	v_fma_f32 v7, v12, v184, -v7
	v_mul_f32_e32 v3, v3, v178
	v_add_f32_e32 v6, v6, v7
	v_fma_f32 v2, v2, v185, -v3
	v_mul_f32_e32 v3, v5, v186
	v_add_f32_e32 v2, v6, v2
	v_fma_f32 v3, v4, v187, -v3
	v_add_f32_e32 v2, v2, v3
	v_mul_f32_e32 v3, v23, v188
	v_fma_f32 v3, v22, v189, -v3
	v_add_f32_e32 v2, v2, v3
	v_mul_f32_e32 v3, v25, v190
	;; [unrolled: 3-line block ×20, first 2 shown]
	v_fma_f32 v3, v60, v226, -v3
	s_waitcnt vmcnt(15)
	v_mov_b32_e32 v18, v63
	s_waitcnt lgkmcnt(1)
	v_mul_f32_e32 v159, v148, v229
	v_add_f32_e32 v156, v2, v3
	v_mul_f32_e32 v2, v149, v229
	s_waitcnt lgkmcnt(0)
	v_pk_mul_f32 v[18:19], v[152:153], v[18:19] op_sel_hi:[1,0]
	v_fmac_f32_e32 v159, v149, v228
	v_mul_f32_e32 v161, v150, v231
	v_fma_f32 v158, v148, v228, -v2
	v_mul_f32_e32 v2, v151, v231
	s_waitcnt vmcnt(14)
	v_pk_fma_f32 v[20:21], v[152:153], v[62:63], v[18:19] op_sel:[0,0,1] op_sel_hi:[1,1,0] neg_lo:[0,0,1] neg_hi:[0,0,1]
	v_pk_fma_f32 v[18:19], v[152:153], v[62:63], v[18:19] op_sel:[0,0,1] op_sel_hi:[1,0,0]
	v_fmac_f32_e32 v161, v151, v230
	v_fma_f32 v160, v150, v230, -v2
	ds_read_b128 v[2:5], v16 offset:624
	ds_read_b128 v[6:9], v16 offset:640
	;; [unrolled: 1-line block ×3, first 2 shown]
	v_pk_add_f32 v[16:17], v[156:157], v[158:159]
	s_waitcnt vmcnt(7)
	v_mov_b32_e32 v18, v169
	v_pk_add_f32 v[16:17], v[16:17], v[160:161]
	v_mov_b32_e32 v21, v19
	v_pk_mul_f32 v[18:19], v[154:155], v[18:19] op_sel_hi:[1,0]
	v_pk_add_f32 v[16:17], v[16:17], v[20:21]
	s_waitcnt vmcnt(6)
	v_pk_fma_f32 v[20:21], v[154:155], v[168:169], v[18:19] op_sel:[0,0,1] op_sel_hi:[1,1,0] neg_lo:[0,0,1] neg_hi:[0,0,1]
	v_pk_fma_f32 v[18:19], v[154:155], v[168:169], v[18:19] op_sel:[0,0,1] op_sel_hi:[1,0,0]
	v_mov_b32_e32 v18, v167
	v_mov_b32_e32 v21, v19
	s_waitcnt lgkmcnt(2)
	v_pk_mul_f32 v[18:19], v[2:3], v[18:19] op_sel_hi:[1,0]
	v_pk_add_f32 v[16:17], v[16:17], v[20:21]
	v_pk_fma_f32 v[20:21], v[2:3], v[166:167], v[18:19] op_sel:[0,0,1] op_sel_hi:[1,1,0] neg_lo:[0,0,1] neg_hi:[0,0,1]
	v_pk_fma_f32 v[2:3], v[2:3], v[166:167], v[18:19] op_sel:[0,0,1] op_sel_hi:[1,0,0]
	v_mov_b32_e32 v21, v3
	v_pk_add_f32 v[2:3], v[16:17], v[20:21]
	v_mov_b32_e32 v16, v165
	v_pk_mul_f32 v[16:17], v[4:5], v[16:17] op_sel_hi:[1,0]
	v_pk_fma_f32 v[18:19], v[4:5], v[164:165], v[16:17] op_sel:[0,0,1] op_sel_hi:[1,1,0] neg_lo:[0,0,1] neg_hi:[0,0,1]
	v_pk_fma_f32 v[4:5], v[4:5], v[164:165], v[16:17] op_sel:[0,0,1] op_sel_hi:[1,0,0]
	v_mov_b32_e32 v4, v163
	v_mov_b32_e32 v19, v5
	s_waitcnt lgkmcnt(1)
	v_pk_mul_f32 v[4:5], v[6:7], v[4:5] op_sel_hi:[1,0]
	v_pk_fma_f32 v[16:17], v[6:7], v[162:163], v[4:5] op_sel:[0,0,1] op_sel_hi:[1,1,0] neg_lo:[0,0,1] neg_hi:[0,0,1]
	v_pk_fma_f32 v[4:5], v[6:7], v[162:163], v[4:5] op_sel:[0,0,1] op_sel_hi:[1,0,0]
	s_waitcnt vmcnt(1)
	v_mov_b32_e32 v4, v175
	v_mov_b32_e32 v17, v5
	v_pk_mul_f32 v[4:5], v[8:9], v[4:5] op_sel_hi:[1,0]
	s_waitcnt vmcnt(0)
	v_pk_fma_f32 v[6:7], v[8:9], v[174:175], v[4:5] op_sel:[0,0,1] op_sel_hi:[1,1,0] neg_lo:[0,0,1] neg_hi:[0,0,1]
	v_pk_fma_f32 v[4:5], v[8:9], v[174:175], v[4:5] op_sel:[0,0,1] op_sel_hi:[1,0,0]
	v_pk_add_f32 v[2:3], v[2:3], v[18:19]
	v_mov_b32_e32 v4, v173
	v_pk_add_f32 v[2:3], v[2:3], v[16:17]
	v_mov_b32_e32 v7, v5
	s_waitcnt lgkmcnt(0)
	v_pk_mul_f32 v[4:5], v[10:11], v[4:5] op_sel_hi:[1,0]
	v_pk_add_f32 v[2:3], v[2:3], v[6:7]
	v_pk_fma_f32 v[6:7], v[10:11], v[172:173], v[4:5] op_sel:[0,0,1] op_sel_hi:[1,1,0] neg_lo:[0,0,1] neg_hi:[0,0,1]
	v_pk_fma_f32 v[4:5], v[10:11], v[172:173], v[4:5] op_sel:[0,0,1] op_sel_hi:[1,0,0]
	v_mov_b32_e32 v4, v171
	v_mov_b32_e32 v7, v5
	v_pk_mul_f32 v[4:5], v[12:13], v[4:5] op_sel_hi:[1,0]
	v_pk_add_f32 v[2:3], v[2:3], v[6:7]
	v_pk_fma_f32 v[6:7], v[12:13], v[170:171], v[4:5] op_sel:[0,0,1] op_sel_hi:[1,1,0] neg_lo:[0,0,1] neg_hi:[0,0,1]
	v_pk_fma_f32 v[4:5], v[12:13], v[170:171], v[4:5] op_sel:[0,0,1] op_sel_hi:[1,0,0]
	v_mov_b32_e32 v7, v5
	v_pk_add_f32 v[2:3], v[2:3], v[6:7]
	v_pk_add_f32 v[2:3], v[14:15], v[2:3] neg_lo:[0,1] neg_hi:[0,1]
	buffer_store_dword v3, off, s[0:3], 0 offset:28
	buffer_store_dword v2, off, s[0:3], 0 offset:24
	s_and_saveexec_b64 s[4:5], vcc
	s_cbranch_execz .LBB41_261
; %bb.260:
	buffer_load_dword v2, off, s[0:3], 0 offset:16
	buffer_load_dword v3, off, s[0:3], 0 offset:20
	v_mov_b32_e32 v4, 0
	buffer_store_dword v4, off, s[0:3], 0 offset:16
	buffer_store_dword v4, off, s[0:3], 0 offset:20
	s_waitcnt vmcnt(2)
	ds_write_b64 v1, v[2:3]
.LBB41_261:
	s_or_b64 exec, exec, s[4:5]
	s_waitcnt lgkmcnt(0)
	; wave barrier
	s_waitcnt lgkmcnt(0)
	buffer_load_dword v21, off, s[0:3], 0 offset:28
	buffer_load_dword v62, off, s[0:3], 0 offset:36
	;; [unrolled: 1-line block ×48, first 2 shown]
	v_mov_b32_e32 v20, 0
	ds_read2_b64 v[4:7], v20 offset0:45 offset1:46
	buffer_load_dword v218, off, s[0:3], 0 offset:208
	buffer_load_dword v219, off, s[0:3], 0 offset:212
	;; [unrolled: 1-line block ×8, first 2 shown]
	ds_read2_b64 v[8:11], v20 offset0:47 offset1:48
	ds_read2_b64 v[12:15], v20 offset0:49 offset1:50
	ds_read2_b64 v[16:19], v20 offset0:51 offset1:52
	buffer_load_dword v226, off, s[0:3], 0 offset:240
	buffer_load_dword v227, off, s[0:3], 0 offset:244
	buffer_load_dword v228, off, s[0:3], 0 offset:248
	buffer_load_dword v229, off, s[0:3], 0 offset:252
	buffer_load_dword v230, off, s[0:3], 0 offset:256
	buffer_load_dword v231, off, s[0:3], 0 offset:260
	buffer_load_dword v232, off, s[0:3], 0 offset:264
	buffer_load_dword v233, off, s[0:3], 0 offset:268
	v_cmp_lt_u32_e32 vcc, 1, v0
	s_waitcnt vmcnt(62) lgkmcnt(3)
	v_mul_f32_e32 v22, v4, v21
	v_mul_f32_e32 v23, v6, v62
	s_waitcnt vmcnt(61) lgkmcnt(2)
	v_mul_f32_e32 v24, v8, v156
	s_waitcnt vmcnt(60)
	v_mul_f32_e32 v25, v10, v158
	s_waitcnt vmcnt(59) lgkmcnt(1)
	v_mul_f32_e32 v26, v12, v176
	s_waitcnt vmcnt(58)
	;; [unrolled: 4-line block ×3, first 2 shown]
	v_fmac_f32_e32 v22, v5, v179
	s_waitcnt vmcnt(55)
	v_fmac_f32_e32 v23, v7, v180
	v_add_f32_e32 v22, 0, v22
	s_waitcnt vmcnt(54)
	v_fmac_f32_e32 v24, v9, v181
	v_add_f32_e32 v22, v22, v23
	;; [unrolled: 3-line block ×6, first 2 shown]
	v_add_f32_e32 v26, v22, v28
	ds_read2_b64 v[22:25], v20 offset0:53 offset1:54
	s_waitcnt vmcnt(49)
	v_mul_f32_e32 v27, v18, v186
	s_waitcnt vmcnt(48)
	v_fmac_f32_e32 v27, v19, v187
	v_add_f32_e32 v30, v26, v27
	ds_read2_b64 v[26:29], v20 offset0:55 offset1:56
	s_waitcnt vmcnt(47) lgkmcnt(1)
	v_mul_f32_e32 v31, v22, v188
	s_waitcnt vmcnt(46)
	v_fmac_f32_e32 v31, v23, v189
	v_add_f32_e32 v30, v30, v31
	s_waitcnt vmcnt(45)
	v_mul_f32_e32 v31, v24, v190
	s_waitcnt vmcnt(44)
	v_fmac_f32_e32 v31, v25, v191
	v_add_f32_e32 v30, v30, v31
	s_waitcnt vmcnt(42) lgkmcnt(0)
	v_mul_f32_e32 v31, v26, v193
	v_fmac_f32_e32 v31, v27, v192
	v_add_f32_e32 v34, v30, v31
	ds_read2_b64 v[30:33], v20 offset0:57 offset1:58
	s_waitcnt vmcnt(38)
	v_mul_f32_e32 v35, v28, v195
	v_fmac_f32_e32 v35, v29, v194
	v_add_f32_e32 v38, v34, v35
	ds_read2_b64 v[34:37], v20 offset0:59 offset1:60
	s_waitcnt vmcnt(36) lgkmcnt(1)
	v_mul_f32_e32 v39, v30, v197
	v_fmac_f32_e32 v39, v31, v196
	v_add_f32_e32 v38, v38, v39
	s_waitcnt vmcnt(34)
	v_mul_f32_e32 v39, v32, v199
	v_fmac_f32_e32 v39, v33, v198
	v_add_f32_e32 v38, v38, v39
	s_waitcnt vmcnt(32) lgkmcnt(0)
	v_mul_f32_e32 v39, v34, v201
	v_fmac_f32_e32 v39, v35, v200
	v_add_f32_e32 v42, v38, v39
	ds_read2_b64 v[38:41], v20 offset0:61 offset1:62
	s_waitcnt vmcnt(30)
	v_mul_f32_e32 v43, v36, v203
	v_fmac_f32_e32 v43, v37, v202
	v_add_f32_e32 v46, v42, v43
	ds_read2_b64 v[42:45], v20 offset0:63 offset1:64
	s_waitcnt vmcnt(28) lgkmcnt(1)
	v_mul_f32_e32 v47, v38, v205
	v_fmac_f32_e32 v47, v39, v204
	v_add_f32_e32 v46, v46, v47
	s_waitcnt vmcnt(26)
	v_mul_f32_e32 v47, v40, v207
	;; [unrolled: 18-line block ×4, first 2 shown]
	v_fmac_f32_e32 v148, v57, v222
	v_add_f32_e32 v63, v63, v148
	s_waitcnt vmcnt(8) lgkmcnt(0)
	v_mul_f32_e32 v148, v58, v225
	v_fmac_f32_e32 v148, v59, v224
	s_waitcnt vmcnt(6)
	v_mul_f32_e32 v152, v60, v227
	v_add_f32_e32 v63, v63, v148
	v_fmac_f32_e32 v152, v61, v226
	ds_read2_b64 v[148:151], v20 offset0:73 offset1:74
	v_add_f32_e32 v63, v63, v152
	ds_read2_b64 v[152:155], v20 offset0:75 offset1:76
	buffer_load_dword v161, off, s[0:3], 0 offset:300
	buffer_load_dword v160, off, s[0:3], 0 offset:296
	;; [unrolled: 1-line block ×16, first 2 shown]
	v_mul_f32_e32 v5, v5, v21
	v_fma_f32 v4, v4, v179, -v5
	v_mul_f32_e32 v5, v7, v62
	v_add_f32_e32 v4, 0, v4
	v_fma_f32 v5, v6, v180, -v5
	v_add_f32_e32 v4, v4, v5
	v_mul_f32_e32 v5, v9, v156
	v_fma_f32 v5, v8, v181, -v5
	v_add_f32_e32 v4, v4, v5
	v_mul_f32_e32 v5, v11, v158
	;; [unrolled: 3-line block ×26, first 2 shown]
	v_fma_f32 v5, v60, v226, -v5
	v_add_f32_e32 v4, v4, v5
	s_waitcnt vmcnt(20) lgkmcnt(1)
	v_mul_f32_e32 v5, v149, v229
	v_mul_f32_e32 v157, v148, v229
	v_fma_f32 v5, v148, v228, -v5
	v_fmac_f32_e32 v157, v149, v228
	v_add_f32_e32 v62, v4, v5
	s_waitcnt vmcnt(18)
	v_mul_f32_e32 v4, v151, v231
	s_waitcnt vmcnt(9)
	v_mov_b32_e32 v22, v167
	v_add_f32_e32 v63, v63, v157
	v_mul_f32_e32 v157, v150, v231
	v_fma_f32 v156, v150, v230, -v4
	s_waitcnt lgkmcnt(0)
	v_mul_f32_e32 v4, v153, v233
	v_pk_mul_f32 v[22:23], v[154:155], v[22:23] op_sel_hi:[1,0]
	v_fmac_f32_e32 v157, v151, v230
	v_mul_f32_e32 v159, v152, v233
	v_fma_f32 v158, v152, v232, -v4
	ds_read2_b64 v[4:7], v20 offset0:77 offset1:78
	ds_read2_b64 v[8:11], v20 offset0:79 offset1:80
	;; [unrolled: 1-line block ×3, first 2 shown]
	ds_read_b64 v[16:17], v20 offset:664
	s_waitcnt vmcnt(8)
	v_pk_fma_f32 v[24:25], v[154:155], v[166:167], v[22:23] op_sel:[0,0,1] op_sel_hi:[1,1,0] neg_lo:[0,0,1] neg_hi:[0,0,1]
	v_pk_fma_f32 v[22:23], v[154:155], v[166:167], v[22:23] op_sel:[0,0,1] op_sel_hi:[1,0,0]
	v_fmac_f32_e32 v159, v153, v232
	v_pk_add_f32 v[18:19], v[62:63], v[156:157]
	v_mov_b32_e32 v22, v165
	v_pk_add_f32 v[18:19], v[18:19], v[158:159]
	v_mov_b32_e32 v25, v23
	s_waitcnt lgkmcnt(3)
	v_pk_mul_f32 v[22:23], v[4:5], v[22:23] op_sel_hi:[1,0]
	v_pk_add_f32 v[18:19], v[18:19], v[24:25]
	v_pk_fma_f32 v[24:25], v[4:5], v[164:165], v[22:23] op_sel:[0,0,1] op_sel_hi:[1,1,0] neg_lo:[0,0,1] neg_hi:[0,0,1]
	v_pk_fma_f32 v[4:5], v[4:5], v[164:165], v[22:23] op_sel:[0,0,1] op_sel_hi:[1,0,0]
	v_mov_b32_e32 v25, v5
	v_pk_add_f32 v[4:5], v[18:19], v[24:25]
	v_mov_b32_e32 v18, v163
	v_pk_mul_f32 v[18:19], v[6:7], v[18:19] op_sel_hi:[1,0]
	v_pk_fma_f32 v[22:23], v[6:7], v[162:163], v[18:19] op_sel:[0,0,1] op_sel_hi:[1,1,0] neg_lo:[0,0,1] neg_hi:[0,0,1]
	v_pk_fma_f32 v[6:7], v[6:7], v[162:163], v[18:19] op_sel:[0,0,1] op_sel_hi:[1,0,0]
	v_mov_b32_e32 v6, v161
	v_mov_b32_e32 v23, v7
	s_waitcnt lgkmcnt(2)
	v_pk_mul_f32 v[6:7], v[8:9], v[6:7] op_sel_hi:[1,0]
	v_pk_fma_f32 v[18:19], v[8:9], v[160:161], v[6:7] op_sel:[0,0,1] op_sel_hi:[1,1,0] neg_lo:[0,0,1] neg_hi:[0,0,1]
	v_pk_fma_f32 v[6:7], v[8:9], v[160:161], v[6:7] op_sel:[0,0,1] op_sel_hi:[1,0,0]
	s_waitcnt vmcnt(1)
	v_mov_b32_e32 v6, v175
	v_mov_b32_e32 v19, v7
	v_pk_mul_f32 v[6:7], v[10:11], v[6:7] op_sel_hi:[1,0]
	s_waitcnt vmcnt(0)
	v_pk_fma_f32 v[8:9], v[10:11], v[174:175], v[6:7] op_sel:[0,0,1] op_sel_hi:[1,1,0] neg_lo:[0,0,1] neg_hi:[0,0,1]
	v_pk_fma_f32 v[6:7], v[10:11], v[174:175], v[6:7] op_sel:[0,0,1] op_sel_hi:[1,0,0]
	v_pk_add_f32 v[4:5], v[4:5], v[22:23]
	v_mov_b32_e32 v6, v173
	v_pk_add_f32 v[4:5], v[4:5], v[18:19]
	v_mov_b32_e32 v9, v7
	s_waitcnt lgkmcnt(1)
	v_pk_mul_f32 v[6:7], v[12:13], v[6:7] op_sel_hi:[1,0]
	v_pk_add_f32 v[4:5], v[4:5], v[8:9]
	v_pk_fma_f32 v[8:9], v[12:13], v[172:173], v[6:7] op_sel:[0,0,1] op_sel_hi:[1,1,0] neg_lo:[0,0,1] neg_hi:[0,0,1]
	v_pk_fma_f32 v[6:7], v[12:13], v[172:173], v[6:7] op_sel:[0,0,1] op_sel_hi:[1,0,0]
	v_mov_b32_e32 v6, v171
	v_mov_b32_e32 v9, v7
	v_pk_mul_f32 v[6:7], v[14:15], v[6:7] op_sel_hi:[1,0]
	v_pk_add_f32 v[4:5], v[4:5], v[8:9]
	v_pk_fma_f32 v[8:9], v[14:15], v[170:171], v[6:7] op_sel:[0,0,1] op_sel_hi:[1,1,0] neg_lo:[0,0,1] neg_hi:[0,0,1]
	v_pk_fma_f32 v[6:7], v[14:15], v[170:171], v[6:7] op_sel:[0,0,1] op_sel_hi:[1,0,0]
	v_mov_b32_e32 v6, v169
	v_mov_b32_e32 v9, v7
	s_waitcnt lgkmcnt(0)
	v_pk_mul_f32 v[6:7], v[16:17], v[6:7] op_sel_hi:[1,0]
	v_pk_add_f32 v[4:5], v[4:5], v[8:9]
	v_pk_fma_f32 v[8:9], v[16:17], v[168:169], v[6:7] op_sel:[0,0,1] op_sel_hi:[1,1,0] neg_lo:[0,0,1] neg_hi:[0,0,1]
	v_pk_fma_f32 v[6:7], v[16:17], v[168:169], v[6:7] op_sel:[0,0,1] op_sel_hi:[1,0,0]
	v_mov_b32_e32 v9, v7
	v_pk_add_f32 v[4:5], v[4:5], v[8:9]
	v_pk_add_f32 v[2:3], v[2:3], v[4:5] neg_lo:[0,1] neg_hi:[0,1]
	buffer_store_dword v3, off, s[0:3], 0 offset:20
	buffer_store_dword v2, off, s[0:3], 0 offset:16
	s_and_saveexec_b64 s[4:5], vcc
	s_cbranch_execz .LBB41_263
; %bb.262:
	buffer_load_dword v2, off, s[0:3], 0 offset:8
	buffer_load_dword v3, off, s[0:3], 0 offset:12
	s_waitcnt vmcnt(0)
	ds_write_b64 v1, v[2:3]
	buffer_store_dword v20, off, s[0:3], 0 offset:8
	buffer_store_dword v20, off, s[0:3], 0 offset:12
.LBB41_263:
	s_or_b64 exec, exec, s[4:5]
	s_waitcnt lgkmcnt(0)
	; wave barrier
	s_waitcnt lgkmcnt(0)
	buffer_load_dword v21, off, s[0:3], 0 offset:20
	buffer_load_dword v62, off, s[0:3], 0 offset:28
	;; [unrolled: 1-line block ×26, first 2 shown]
	ds_read_b128 v[14:17], v20 offset:352
	ds_read_b128 v[6:9], v20 offset:368
	buffer_load_dword v196, off, s[0:3], 0 offset:112
	buffer_load_dword v197, off, s[0:3], 0 offset:116
	ds_read_b128 v[10:13], v20 offset:384
	ds_read_b128 v[2:5], v20 offset:400
	buffer_load_dword v198, off, s[0:3], 0 offset:120
	buffer_load_dword v199, off, s[0:3], 0 offset:124
	;; [unrolled: 1-line block ×32, first 2 shown]
	v_cmp_ne_u32_e32 vcc, 0, v0
	s_waitcnt vmcnt(59) lgkmcnt(3)
	v_mul_f32_e32 v22, v14, v21
	s_waitcnt vmcnt(58)
	v_mul_f32_e32 v23, v16, v62
	s_waitcnt vmcnt(57) lgkmcnt(2)
	v_mul_f32_e32 v24, v6, v156
	s_waitcnt vmcnt(56)
	v_mul_f32_e32 v25, v8, v164
	;; [unrolled: 4-line block ×4, first 2 shown]
	s_waitcnt vmcnt(51)
	v_fmac_f32_e32 v22, v15, v180
	s_waitcnt vmcnt(50)
	v_fmac_f32_e32 v23, v17, v181
	v_add_f32_e32 v22, 0, v22
	s_waitcnt vmcnt(49)
	v_fmac_f32_e32 v24, v7, v182
	v_add_f32_e32 v22, v22, v23
	;; [unrolled: 3-line block ×6, first 2 shown]
	v_add_f32_e32 v26, v22, v28
	ds_read_b128 v[22:25], v20 offset:416
	s_waitcnt vmcnt(44)
	v_fmac_f32_e32 v29, v5, v187
	buffer_load_dword v230, off, s[0:3], 0 offset:248
	buffer_load_dword v231, off, s[0:3], 0 offset:252
	v_add_f32_e32 v30, v26, v29
	buffer_load_dword v232, off, s[0:3], 0 offset:256
	buffer_load_dword v233, off, s[0:3], 0 offset:260
	ds_read_b128 v[26:29], v20 offset:432
	s_waitcnt vmcnt(47) lgkmcnt(1)
	v_mul_f32_e32 v31, v22, v188
	s_waitcnt vmcnt(46)
	v_fmac_f32_e32 v31, v23, v189
	v_add_f32_e32 v30, v30, v31
	s_waitcnt vmcnt(45)
	v_mul_f32_e32 v31, v24, v190
	s_waitcnt vmcnt(44)
	v_fmac_f32_e32 v31, v25, v191
	v_add_f32_e32 v30, v30, v31
	s_waitcnt vmcnt(41) lgkmcnt(0)
	v_mul_f32_e32 v31, v26, v192
	s_waitcnt vmcnt(40)
	v_fmac_f32_e32 v31, v27, v193
	buffer_load_dword v234, off, s[0:3], 0 offset:264
	buffer_load_dword v235, off, s[0:3], 0 offset:268
	v_add_f32_e32 v34, v30, v31
	ds_read_b128 v[30:33], v20 offset:448
	s_waitcnt vmcnt(40)
	v_mul_f32_e32 v35, v28, v195
	v_fmac_f32_e32 v35, v29, v194
	v_add_f32_e32 v38, v34, v35
	ds_read_b128 v[34:37], v20 offset:464
	s_waitcnt vmcnt(38) lgkmcnt(1)
	v_mul_f32_e32 v39, v30, v197
	v_fmac_f32_e32 v39, v31, v196
	v_add_f32_e32 v38, v38, v39
	s_waitcnt vmcnt(36)
	v_mul_f32_e32 v39, v32, v199
	v_fmac_f32_e32 v39, v33, v198
	v_add_f32_e32 v38, v38, v39
	s_waitcnt vmcnt(34) lgkmcnt(0)
	v_mul_f32_e32 v39, v34, v201
	v_fmac_f32_e32 v39, v35, v200
	v_add_f32_e32 v42, v38, v39
	ds_read_b128 v[38:41], v20 offset:480
	s_waitcnt vmcnt(32)
	v_mul_f32_e32 v43, v36, v203
	v_fmac_f32_e32 v43, v37, v202
	v_add_f32_e32 v46, v42, v43
	ds_read_b128 v[42:45], v20 offset:496
	s_waitcnt vmcnt(30) lgkmcnt(1)
	v_mul_f32_e32 v47, v38, v205
	v_fmac_f32_e32 v47, v39, v204
	v_add_f32_e32 v46, v46, v47
	s_waitcnt vmcnt(28)
	v_mul_f32_e32 v47, v40, v207
	v_fmac_f32_e32 v47, v41, v206
	v_add_f32_e32 v46, v46, v47
	s_waitcnt vmcnt(26) lgkmcnt(0)
	v_mul_f32_e32 v47, v42, v209
	v_fmac_f32_e32 v47, v43, v208
	;; [unrolled: 18-line block ×4, first 2 shown]
	s_waitcnt vmcnt(8)
	v_mul_f32_e32 v152, v60, v227
	v_add_f32_e32 v63, v63, v148
	v_fmac_f32_e32 v152, v61, v226
	ds_read_b128 v[148:151], v20 offset:576
	v_add_f32_e32 v63, v63, v152
	ds_read_b128 v[152:155], v20 offset:592
	buffer_load_dword v159, off, s[0:3], 0 offset:292
	buffer_load_dword v158, off, s[0:3], 0 offset:288
	;; [unrolled: 1-line block ×16, first 2 shown]
	v_mul_f32_e32 v15, v15, v21
	v_fma_f32 v14, v14, v180, -v15
	v_mul_f32_e32 v15, v17, v62
	v_add_f32_e32 v14, 0, v14
	v_fma_f32 v15, v16, v181, -v15
	v_mul_f32_e32 v7, v7, v156
	v_add_f32_e32 v14, v14, v15
	;; [unrolled: 3-line block ×3, first 2 shown]
	v_fma_f32 v7, v8, v183, -v7
	v_add_f32_e32 v6, v6, v7
	v_mul_f32_e32 v7, v11, v176
	v_fma_f32 v7, v10, v184, -v7
	v_add_f32_e32 v6, v6, v7
	v_mul_f32_e32 v7, v13, v177
	v_fma_f32 v7, v12, v185, -v7
	v_mul_f32_e32 v3, v3, v178
	v_add_f32_e32 v6, v6, v7
	v_fma_f32 v2, v2, v186, -v3
	v_mul_f32_e32 v3, v5, v179
	v_add_f32_e32 v2, v6, v2
	v_fma_f32 v3, v4, v187, -v3
	v_add_f32_e32 v2, v2, v3
	v_mul_f32_e32 v3, v23, v188
	v_fma_f32 v3, v22, v189, -v3
	v_add_f32_e32 v2, v2, v3
	v_mul_f32_e32 v3, v25, v190
	;; [unrolled: 3-line block ×20, first 2 shown]
	v_fma_f32 v3, v60, v226, -v3
	v_add_f32_e32 v2, v2, v3
	s_waitcnt vmcnt(22) lgkmcnt(1)
	v_mul_f32_e32 v3, v149, v229
	v_fma_f32 v3, v148, v228, -v3
	v_add_f32_e32 v2, v2, v3
	s_waitcnt vmcnt(20)
	v_mul_f32_e32 v3, v151, v231
	v_mul_f32_e32 v157, v148, v229
	v_fma_f32 v3, v150, v230, -v3
	v_fmac_f32_e32 v157, v149, v228
	v_add_f32_e32 v62, v2, v3
	s_waitcnt vmcnt(18) lgkmcnt(0)
	v_mul_f32_e32 v2, v153, v233
	v_add_f32_e32 v63, v63, v157
	v_mul_f32_e32 v157, v150, v231
	v_fma_f32 v156, v152, v232, -v2
	s_waitcnt vmcnt(16)
	v_mul_f32_e32 v2, v155, v235
	v_fmac_f32_e32 v157, v151, v230
	v_fma_f32 v164, v154, v234, -v2
	ds_read_b128 v[2:5], v20 offset:608
	ds_read_b128 v[6:9], v20 offset:624
	;; [unrolled: 1-line block ×4, first 2 shown]
	v_add_f32_e32 v63, v63, v157
	v_mul_f32_e32 v157, v152, v233
	s_waitcnt vmcnt(11)
	v_mov_b32_e32 v22, v163
	v_fmac_f32_e32 v157, v153, v232
	v_mul_f32_e32 v165, v154, v235
	s_waitcnt lgkmcnt(3)
	v_pk_mul_f32 v[22:23], v[2:3], v[22:23] op_sel_hi:[1,0]
	v_fmac_f32_e32 v165, v155, v234
	v_pk_add_f32 v[20:21], v[62:63], v[156:157]
	s_waitcnt vmcnt(10)
	v_pk_fma_f32 v[24:25], v[2:3], v[162:163], v[22:23] op_sel:[0,0,1] op_sel_hi:[1,1,0] neg_lo:[0,0,1] neg_hi:[0,0,1]
	v_pk_fma_f32 v[2:3], v[2:3], v[162:163], v[22:23] op_sel:[0,0,1] op_sel_hi:[1,0,0]
	v_pk_add_f32 v[20:21], v[20:21], v[164:165]
	v_mov_b32_e32 v25, v3
	v_pk_add_f32 v[2:3], v[20:21], v[24:25]
	v_mov_b32_e32 v20, v161
	v_pk_mul_f32 v[20:21], v[4:5], v[20:21] op_sel_hi:[1,0]
	v_pk_fma_f32 v[22:23], v[4:5], v[160:161], v[20:21] op_sel:[0,0,1] op_sel_hi:[1,1,0] neg_lo:[0,0,1] neg_hi:[0,0,1]
	v_pk_fma_f32 v[4:5], v[4:5], v[160:161], v[20:21] op_sel:[0,0,1] op_sel_hi:[1,0,0]
	v_mov_b32_e32 v4, v159
	v_mov_b32_e32 v23, v5
	s_waitcnt lgkmcnt(2)
	v_pk_mul_f32 v[4:5], v[6:7], v[4:5] op_sel_hi:[1,0]
	v_pk_fma_f32 v[20:21], v[6:7], v[158:159], v[4:5] op_sel:[0,0,1] op_sel_hi:[1,1,0] neg_lo:[0,0,1] neg_hi:[0,0,1]
	v_pk_fma_f32 v[4:5], v[6:7], v[158:159], v[4:5] op_sel:[0,0,1] op_sel_hi:[1,0,0]
	s_waitcnt vmcnt(3)
	v_mov_b32_e32 v4, v173
	v_mov_b32_e32 v21, v5
	v_pk_mul_f32 v[4:5], v[8:9], v[4:5] op_sel_hi:[1,0]
	s_waitcnt vmcnt(2)
	v_pk_fma_f32 v[6:7], v[8:9], v[172:173], v[4:5] op_sel:[0,0,1] op_sel_hi:[1,1,0] neg_lo:[0,0,1] neg_hi:[0,0,1]
	v_pk_fma_f32 v[4:5], v[8:9], v[172:173], v[4:5] op_sel:[0,0,1] op_sel_hi:[1,0,0]
	v_pk_add_f32 v[2:3], v[2:3], v[22:23]
	v_mov_b32_e32 v4, v171
	v_pk_add_f32 v[2:3], v[2:3], v[20:21]
	v_mov_b32_e32 v7, v5
	s_waitcnt lgkmcnt(1)
	v_pk_mul_f32 v[4:5], v[10:11], v[4:5] op_sel_hi:[1,0]
	v_pk_add_f32 v[2:3], v[2:3], v[6:7]
	v_pk_fma_f32 v[6:7], v[10:11], v[170:171], v[4:5] op_sel:[0,0,1] op_sel_hi:[1,1,0] neg_lo:[0,0,1] neg_hi:[0,0,1]
	v_pk_fma_f32 v[4:5], v[10:11], v[170:171], v[4:5] op_sel:[0,0,1] op_sel_hi:[1,0,0]
	v_mov_b32_e32 v4, v169
	v_mov_b32_e32 v7, v5
	v_pk_mul_f32 v[4:5], v[12:13], v[4:5] op_sel_hi:[1,0]
	v_pk_add_f32 v[2:3], v[2:3], v[6:7]
	v_pk_fma_f32 v[6:7], v[12:13], v[168:169], v[4:5] op_sel:[0,0,1] op_sel_hi:[1,1,0] neg_lo:[0,0,1] neg_hi:[0,0,1]
	v_pk_fma_f32 v[4:5], v[12:13], v[168:169], v[4:5] op_sel:[0,0,1] op_sel_hi:[1,0,0]
	v_mov_b32_e32 v4, v167
	v_mov_b32_e32 v7, v5
	s_waitcnt lgkmcnt(0)
	v_pk_mul_f32 v[4:5], v[14:15], v[4:5] op_sel_hi:[1,0]
	v_pk_add_f32 v[2:3], v[2:3], v[6:7]
	v_pk_fma_f32 v[6:7], v[14:15], v[166:167], v[4:5] op_sel:[0,0,1] op_sel_hi:[1,1,0] neg_lo:[0,0,1] neg_hi:[0,0,1]
	v_pk_fma_f32 v[4:5], v[14:15], v[166:167], v[4:5] op_sel:[0,0,1] op_sel_hi:[1,0,0]
	s_waitcnt vmcnt(1)
	v_mov_b32_e32 v4, v175
	v_mov_b32_e32 v7, v5
	v_pk_mul_f32 v[4:5], v[16:17], v[4:5] op_sel_hi:[1,0]
	v_pk_add_f32 v[2:3], v[2:3], v[6:7]
	s_waitcnt vmcnt(0)
	v_pk_fma_f32 v[6:7], v[16:17], v[174:175], v[4:5] op_sel:[0,0,1] op_sel_hi:[1,1,0] neg_lo:[0,0,1] neg_hi:[0,0,1]
	v_pk_fma_f32 v[4:5], v[16:17], v[174:175], v[4:5] op_sel:[0,0,1] op_sel_hi:[1,0,0]
	v_mov_b32_e32 v7, v5
	v_pk_add_f32 v[2:3], v[2:3], v[6:7]
	v_pk_add_f32 v[2:3], v[18:19], v[2:3] neg_lo:[0,1] neg_hi:[0,1]
	buffer_store_dword v3, off, s[0:3], 0 offset:12
	buffer_store_dword v2, off, s[0:3], 0 offset:8
	s_and_saveexec_b64 s[4:5], vcc
	s_cbranch_execz .LBB41_265
; %bb.264:
	buffer_load_dword v2, off, s[0:3], 0
	buffer_load_dword v3, off, s[0:3], 0 offset:4
	v_mov_b32_e32 v0, 0
	buffer_store_dword v0, off, s[0:3], 0
	buffer_store_dword v0, off, s[0:3], 0 offset:4
	s_waitcnt vmcnt(2)
	ds_write_b64 v1, v[2:3]
.LBB41_265:
	s_or_b64 exec, exec, s[4:5]
	s_waitcnt lgkmcnt(0)
	; wave barrier
	s_waitcnt lgkmcnt(0)
	buffer_load_dword v152, off, s[0:3], 0 offset:12
	buffer_load_dword v157, off, s[0:3], 0 offset:20
	;; [unrolled: 1-line block ×21, first 2 shown]
	buffer_load_dword v148, off, s[0:3], 0
	buffer_load_dword v149, off, s[0:3], 0 offset:4
	buffer_load_dword v199, off, s[0:3], 0 offset:88
	v_mov_b32_e32 v156, 0
	buffer_load_dword v200, off, s[0:3], 0 offset:96
	buffer_load_dword v201, off, s[0:3], 0 offset:100
	;; [unrolled: 1-line block ×32, first 2 shown]
	ds_read2_b64 v[16:19], v156 offset0:43 offset1:44
	ds_read2_b64 v[12:15], v156 offset0:45 offset1:46
	;; [unrolled: 1-line block ×5, first 2 shown]
	buffer_load_dword v232, off, s[0:3], 0 offset:224
	buffer_load_dword v233, off, s[0:3], 0 offset:228
	;; [unrolled: 1-line block ×4, first 2 shown]
	s_and_b64 vcc, exec, s[20:21]
	s_waitcnt vmcnt(59) lgkmcnt(4)
	v_mul_f32_e32 v20, v16, v152
	s_waitcnt vmcnt(58)
	v_mul_f32_e32 v21, v18, v157
	s_waitcnt vmcnt(57) lgkmcnt(3)
	v_mul_f32_e32 v22, v12, v166
	s_waitcnt vmcnt(56)
	v_mul_f32_e32 v23, v14, v168
	;; [unrolled: 4-line block ×4, first 2 shown]
	s_waitcnt vmcnt(51)
	v_fmac_f32_e32 v20, v17, v186
	s_waitcnt vmcnt(50)
	v_fmac_f32_e32 v21, v19, v187
	v_add_f32_e32 v20, 0, v20
	s_waitcnt vmcnt(49)
	v_fmac_f32_e32 v22, v13, v188
	v_add_f32_e32 v20, v20, v21
	;; [unrolled: 3-line block ×7, first 2 shown]
	v_add_f32_e32 v24, v20, v27
	ds_read2_b64 v[20:23], v156 offset0:53 offset1:54
	buffer_load_dword v236, off, s[0:3], 0 offset:240
	buffer_load_dword v237, off, s[0:3], 0 offset:244
	;; [unrolled: 1-line block ×4, first 2 shown]
	s_waitcnt vmcnt(47) lgkmcnt(1)
	v_mul_f32_e32 v25, v0, v194
	s_waitcnt vmcnt(46)
	v_fmac_f32_e32 v25, v1, v195
	v_add_f32_e32 v24, v24, v25
	s_waitcnt vmcnt(45)
	v_mul_f32_e32 v25, v2, v196
	s_waitcnt vmcnt(44)
	v_fmac_f32_e32 v25, v3, v197
	buffer_load_dword v240, off, s[0:3], 0 offset:256
	buffer_load_dword v241, off, s[0:3], 0 offset:260
	;; [unrolled: 1-line block ×4, first 2 shown]
	ds_read2_b64 v[32:35], v156 offset0:55 offset1:56
	ds_read2_b64 v[28:31], v156 offset0:57 offset1:58
	v_add_f32_e32 v24, v24, v25
	s_waitcnt vmcnt(47) lgkmcnt(2)
	v_mul_f32_e32 v25, v20, v198
	s_waitcnt vmcnt(44)
	v_fmac_f32_e32 v25, v21, v199
	v_add_f32_e32 v24, v24, v25
	s_waitcnt vmcnt(42)
	v_mul_f32_e32 v25, v22, v201
	v_fmac_f32_e32 v25, v23, v200
	v_add_f32_e32 v24, v24, v25
	s_waitcnt vmcnt(40) lgkmcnt(1)
	v_mul_f32_e32 v25, v32, v203
	v_fmac_f32_e32 v25, v33, v202
	v_add_f32_e32 v24, v24, v25
	s_waitcnt vmcnt(38)
	v_mul_f32_e32 v25, v34, v205
	v_fmac_f32_e32 v25, v35, v204
	ds_read2_b64 v[40:43], v156 offset0:59 offset1:60
	ds_read2_b64 v[36:39], v156 offset0:61 offset1:62
	v_add_f32_e32 v24, v24, v25
	s_waitcnt vmcnt(36) lgkmcnt(2)
	v_mul_f32_e32 v25, v28, v207
	v_fmac_f32_e32 v25, v29, v206
	v_add_f32_e32 v24, v24, v25
	s_waitcnt vmcnt(34)
	v_mul_f32_e32 v25, v30, v209
	v_fmac_f32_e32 v25, v31, v208
	v_add_f32_e32 v24, v24, v25
	s_waitcnt vmcnt(32) lgkmcnt(1)
	v_mul_f32_e32 v25, v40, v211
	v_fmac_f32_e32 v25, v41, v210
	v_add_f32_e32 v24, v24, v25
	s_waitcnt vmcnt(30)
	v_mul_f32_e32 v25, v42, v213
	v_fmac_f32_e32 v25, v43, v212
	ds_read2_b64 v[48:51], v156 offset0:63 offset1:64
	ds_read2_b64 v[44:47], v156 offset0:65 offset1:66
	v_add_f32_e32 v24, v24, v25
	s_waitcnt vmcnt(28) lgkmcnt(2)
	v_mul_f32_e32 v25, v36, v215
	;; [unrolled: 18-line block ×4, first 2 shown]
	v_fmac_f32_e32 v25, v53, v230
	v_add_f32_e32 v24, v24, v25
	s_waitcnt vmcnt(10)
	v_mul_f32_e32 v25, v54, v233
	v_fmac_f32_e32 v25, v55, v232
	v_add_f32_e32 v24, v24, v25
	s_waitcnt vmcnt(8) lgkmcnt(1)
	v_mul_f32_e32 v25, v158, v235
	v_fmac_f32_e32 v25, v159, v234
	v_add_f32_e32 v24, v24, v25
	v_mul_f32_e32 v17, v17, v152
	v_fma_f32 v16, v16, v186, -v17
	v_mul_f32_e32 v17, v19, v157
	s_waitcnt vmcnt(6)
	v_mul_f32_e32 v25, v160, v237
	v_fmac_f32_e32 v25, v161, v236
	v_add_f32_e32 v24, v24, v25
	s_waitcnt vmcnt(4) lgkmcnt(0)
	v_mul_f32_e32 v25, v60, v239
	v_fmac_f32_e32 v25, v61, v238
	v_add_f32_e32 v153, v24, v25
	ds_read2_b64 v[24:27], v156 offset0:75 offset1:76
	buffer_load_dword v151, off, s[0:3], 0 offset:284
	buffer_load_dword v150, off, s[0:3], 0 offset:280
	;; [unrolled: 1-line block ×4, first 2 shown]
	ds_read2_b64 v[162:165], v156 offset0:77 offset1:78
	buffer_load_dword v171, off, s[0:3], 0 offset:316
	buffer_load_dword v170, off, s[0:3], 0 offset:312
	;; [unrolled: 1-line block ×12, first 2 shown]
	v_add_f32_e32 v16, 0, v16
	v_fma_f32 v17, v18, v187, -v17
	v_mul_f32_e32 v13, v13, v166
	v_add_f32_e32 v16, v16, v17
	v_fma_f32 v12, v12, v188, -v13
	v_mul_f32_e32 v13, v15, v168
	;; [unrolled: 3-line block ×8, first 2 shown]
	v_add_f32_e32 v0, v4, v0
	v_fma_f32 v1, v2, v197, -v1
	v_add_f32_e32 v0, v0, v1
	v_mul_f32_e32 v1, v21, v198
	v_fma_f32 v1, v20, v199, -v1
	v_add_f32_e32 v0, v0, v1
	v_mul_f32_e32 v1, v23, v201
	;; [unrolled: 3-line block ×21, first 2 shown]
	v_fma_f32 v1, v60, v238, -v1
	s_waitcnt vmcnt(13)
	v_mov_b32_e32 v12, v155
	v_mul_f32_e32 v167, v62, v241
	v_add_f32_e32 v152, v0, v1
	v_mul_f32_e32 v0, v63, v241
	s_waitcnt lgkmcnt(1)
	v_pk_mul_f32 v[12:13], v[26:27], v[12:13] op_sel_hi:[1,0]
	v_fmac_f32_e32 v167, v63, v240
	v_mul_f32_e32 v169, v24, v243
	v_fma_f32 v166, v62, v240, -v0
	v_mul_f32_e32 v0, v25, v243
	s_waitcnt vmcnt(12)
	v_pk_fma_f32 v[14:15], v[26:27], v[154:155], v[12:13] op_sel:[0,0,1] op_sel_hi:[1,1,0] neg_lo:[0,0,1] neg_hi:[0,0,1]
	v_pk_fma_f32 v[12:13], v[26:27], v[154:155], v[12:13] op_sel:[0,0,1] op_sel_hi:[1,0,0]
	v_fmac_f32_e32 v169, v25, v242
	v_fma_f32 v168, v24, v242, -v0
	v_pk_add_f32 v[10:11], v[152:153], v[166:167]
	v_mov_b32_e32 v12, v151
	v_pk_add_f32 v[10:11], v[10:11], v[168:169]
	v_mov_b32_e32 v15, v13
	s_waitcnt lgkmcnt(0)
	v_pk_mul_f32 v[12:13], v[162:163], v[12:13] op_sel_hi:[1,0]
	v_pk_add_f32 v[10:11], v[10:11], v[14:15]
	v_pk_fma_f32 v[14:15], v[162:163], v[150:151], v[12:13] op_sel:[0,0,1] op_sel_hi:[1,1,0] neg_lo:[0,0,1] neg_hi:[0,0,1]
	v_pk_fma_f32 v[12:13], v[162:163], v[150:151], v[12:13] op_sel:[0,0,1] op_sel_hi:[1,0,0]
	s_waitcnt vmcnt(5)
	v_mov_b32_e32 v12, v177
	ds_read2_b64 v[0:3], v156 offset0:79 offset1:80
	ds_read2_b64 v[4:7], v156 offset0:81 offset1:82
	ds_read_b64 v[8:9], v156 offset:664
	v_mov_b32_e32 v15, v13
	v_pk_mul_f32 v[12:13], v[164:165], v[12:13] op_sel_hi:[1,0]
	v_pk_add_f32 v[10:11], v[10:11], v[14:15]
	s_waitcnt vmcnt(4)
	v_pk_fma_f32 v[14:15], v[164:165], v[176:177], v[12:13] op_sel:[0,0,1] op_sel_hi:[1,1,0] neg_lo:[0,0,1] neg_hi:[0,0,1]
	v_pk_fma_f32 v[12:13], v[164:165], v[176:177], v[12:13] op_sel:[0,0,1] op_sel_hi:[1,0,0]
	v_mov_b32_e32 v12, v175
	v_mov_b32_e32 v15, v13
	s_waitcnt lgkmcnt(2)
	v_pk_mul_f32 v[12:13], v[0:1], v[12:13] op_sel_hi:[1,0]
	v_pk_add_f32 v[10:11], v[10:11], v[14:15]
	v_pk_fma_f32 v[14:15], v[0:1], v[174:175], v[12:13] op_sel:[0,0,1] op_sel_hi:[1,1,0] neg_lo:[0,0,1] neg_hi:[0,0,1]
	v_pk_fma_f32 v[0:1], v[0:1], v[174:175], v[12:13] op_sel:[0,0,1] op_sel_hi:[1,0,0]
	v_mov_b32_e32 v15, v1
	v_pk_add_f32 v[0:1], v[10:11], v[14:15]
	v_mov_b32_e32 v10, v173
	v_pk_mul_f32 v[10:11], v[2:3], v[10:11] op_sel_hi:[1,0]
	v_pk_fma_f32 v[12:13], v[2:3], v[172:173], v[10:11] op_sel:[0,0,1] op_sel_hi:[1,1,0] neg_lo:[0,0,1] neg_hi:[0,0,1]
	v_pk_fma_f32 v[2:3], v[2:3], v[172:173], v[10:11] op_sel:[0,0,1] op_sel_hi:[1,0,0]
	v_mov_b32_e32 v2, v171
	v_mov_b32_e32 v13, v3
	s_waitcnt lgkmcnt(1)
	v_pk_mul_f32 v[2:3], v[4:5], v[2:3] op_sel_hi:[1,0]
	v_pk_fma_f32 v[10:11], v[4:5], v[170:171], v[2:3] op_sel:[0,0,1] op_sel_hi:[1,1,0] neg_lo:[0,0,1] neg_hi:[0,0,1]
	v_pk_fma_f32 v[2:3], v[4:5], v[170:171], v[2:3] op_sel:[0,0,1] op_sel_hi:[1,0,0]
	s_waitcnt vmcnt(1)
	v_mov_b32_e32 v2, v181
	v_mov_b32_e32 v11, v3
	v_pk_mul_f32 v[2:3], v[6:7], v[2:3] op_sel_hi:[1,0]
	s_waitcnt vmcnt(0)
	v_pk_fma_f32 v[4:5], v[6:7], v[180:181], v[2:3] op_sel:[0,0,1] op_sel_hi:[1,1,0] neg_lo:[0,0,1] neg_hi:[0,0,1]
	v_pk_fma_f32 v[2:3], v[6:7], v[180:181], v[2:3] op_sel:[0,0,1] op_sel_hi:[1,0,0]
	v_pk_add_f32 v[0:1], v[0:1], v[12:13]
	v_mov_b32_e32 v2, v179
	v_pk_add_f32 v[0:1], v[0:1], v[10:11]
	v_mov_b32_e32 v5, v3
	s_waitcnt lgkmcnt(0)
	v_pk_mul_f32 v[2:3], v[8:9], v[2:3] op_sel_hi:[1,0]
	v_pk_add_f32 v[0:1], v[0:1], v[4:5]
	v_pk_fma_f32 v[4:5], v[8:9], v[178:179], v[2:3] op_sel:[0,0,1] op_sel_hi:[1,1,0] neg_lo:[0,0,1] neg_hi:[0,0,1]
	v_pk_fma_f32 v[2:3], v[8:9], v[178:179], v[2:3] op_sel:[0,0,1] op_sel_hi:[1,0,0]
	v_mov_b32_e32 v5, v3
	v_pk_add_f32 v[0:1], v[0:1], v[4:5]
	v_pk_add_f32 v[0:1], v[148:149], v[0:1] neg_lo:[0,1] neg_hi:[0,1]
	buffer_store_dword v1, off, s[0:3], 0 offset:4
	buffer_store_dword v0, off, s[0:3], 0
	s_cbranch_vccz .LBB41_349
; %bb.266:
	v_pk_mov_b32 v[0:1], s[10:11], s[10:11] op_sel:[0,1]
	flat_load_dword v0, v[0:1] offset:160
	s_waitcnt vmcnt(0) lgkmcnt(0)
	v_add_u32_e32 v0, -1, v0
	v_cmp_ne_u32_e32 vcc, 40, v0
	s_and_saveexec_b64 s[4:5], vcc
	s_cbranch_execz .LBB41_268
; %bb.267:
	v_mov_b32_e32 v1, 0
	v_lshl_add_u32 v0, v0, 3, v1
	buffer_load_dword v1, v0, s[0:3], 0 offen
	buffer_load_dword v2, v0, s[0:3], 0 offen offset:4
	buffer_load_dword v3, off, s[0:3], 0 offset:324
	buffer_load_dword v4, off, s[0:3], 0 offset:320
	s_waitcnt vmcnt(3)
	buffer_store_dword v1, off, s[0:3], 0 offset:320
	s_waitcnt vmcnt(3)
	buffer_store_dword v2, off, s[0:3], 0 offset:324
	s_waitcnt vmcnt(3)
	buffer_store_dword v3, v0, s[0:3], 0 offen offset:4
	s_waitcnt vmcnt(3)
	buffer_store_dword v4, v0, s[0:3], 0 offen
.LBB41_268:
	s_or_b64 exec, exec, s[4:5]
	v_pk_mov_b32 v[0:1], s[10:11], s[10:11] op_sel:[0,1]
	flat_load_dword v0, v[0:1] offset:156
	s_waitcnt vmcnt(0) lgkmcnt(0)
	v_add_u32_e32 v0, -1, v0
	v_cmp_ne_u32_e32 vcc, 39, v0
	s_and_saveexec_b64 s[4:5], vcc
	s_cbranch_execz .LBB41_270
; %bb.269:
	v_mov_b32_e32 v1, 0
	v_lshl_add_u32 v0, v0, 3, v1
	buffer_load_dword v1, v0, s[0:3], 0 offen
	buffer_load_dword v2, v0, s[0:3], 0 offen offset:4
	buffer_load_dword v3, off, s[0:3], 0 offset:312
	buffer_load_dword v4, off, s[0:3], 0 offset:316
	s_waitcnt vmcnt(3)
	buffer_store_dword v1, off, s[0:3], 0 offset:312
	s_waitcnt vmcnt(3)
	buffer_store_dword v2, off, s[0:3], 0 offset:316
	s_waitcnt vmcnt(3)
	buffer_store_dword v3, v0, s[0:3], 0 offen
	s_waitcnt vmcnt(3)
	buffer_store_dword v4, v0, s[0:3], 0 offen offset:4
.LBB41_270:
	s_or_b64 exec, exec, s[4:5]
	v_pk_mov_b32 v[0:1], s[10:11], s[10:11] op_sel:[0,1]
	flat_load_dword v0, v[0:1] offset:152
	s_waitcnt vmcnt(0) lgkmcnt(0)
	v_add_u32_e32 v0, -1, v0
	v_cmp_ne_u32_e32 vcc, 38, v0
	s_and_saveexec_b64 s[4:5], vcc
	s_cbranch_execz .LBB41_272
; %bb.271:
	v_mov_b32_e32 v1, 0
	v_lshl_add_u32 v0, v0, 3, v1
	buffer_load_dword v1, v0, s[0:3], 0 offen
	buffer_load_dword v2, v0, s[0:3], 0 offen offset:4
	buffer_load_dword v3, off, s[0:3], 0 offset:308
	buffer_load_dword v4, off, s[0:3], 0 offset:304
	s_waitcnt vmcnt(3)
	buffer_store_dword v1, off, s[0:3], 0 offset:304
	s_waitcnt vmcnt(3)
	buffer_store_dword v2, off, s[0:3], 0 offset:308
	s_waitcnt vmcnt(3)
	buffer_store_dword v3, v0, s[0:3], 0 offen offset:4
	s_waitcnt vmcnt(3)
	buffer_store_dword v4, v0, s[0:3], 0 offen
.LBB41_272:
	s_or_b64 exec, exec, s[4:5]
	v_pk_mov_b32 v[0:1], s[10:11], s[10:11] op_sel:[0,1]
	flat_load_dword v0, v[0:1] offset:148
	s_waitcnt vmcnt(0) lgkmcnt(0)
	v_add_u32_e32 v0, -1, v0
	v_cmp_ne_u32_e32 vcc, 37, v0
	s_and_saveexec_b64 s[4:5], vcc
	s_cbranch_execz .LBB41_274
; %bb.273:
	v_mov_b32_e32 v1, 0
	v_lshl_add_u32 v0, v0, 3, v1
	buffer_load_dword v1, v0, s[0:3], 0 offen
	buffer_load_dword v2, v0, s[0:3], 0 offen offset:4
	buffer_load_dword v3, off, s[0:3], 0 offset:296
	buffer_load_dword v4, off, s[0:3], 0 offset:300
	s_waitcnt vmcnt(3)
	buffer_store_dword v1, off, s[0:3], 0 offset:296
	s_waitcnt vmcnt(3)
	buffer_store_dword v2, off, s[0:3], 0 offset:300
	s_waitcnt vmcnt(3)
	buffer_store_dword v3, v0, s[0:3], 0 offen
	s_waitcnt vmcnt(3)
	buffer_store_dword v4, v0, s[0:3], 0 offen offset:4
.LBB41_274:
	s_or_b64 exec, exec, s[4:5]
	;; [unrolled: 48-line block ×20, first 2 shown]
	v_pk_mov_b32 v[0:1], s[10:11], s[10:11] op_sel:[0,1]
	flat_load_dword v2, v[0:1]
	s_nop 0
	buffer_load_dword v0, off, s[0:3], 0
	buffer_load_dword v1, off, s[0:3], 0 offset:4
	s_waitcnt vmcnt(0) lgkmcnt(0)
	v_add_u32_e32 v2, -1, v2
	v_cmp_ne_u32_e32 vcc, 0, v2
	s_and_saveexec_b64 s[4:5], vcc
	s_cbranch_execz .LBB41_348
; %bb.347:
	v_mov_b32_e32 v3, 0
	v_lshl_add_u32 v2, v2, 3, v3
	buffer_load_dword v3, v2, s[0:3], 0 offen offset:4
	buffer_load_dword v4, v2, s[0:3], 0 offen
	s_waitcnt vmcnt(1)
	buffer_store_dword v3, off, s[0:3], 0 offset:4
	s_waitcnt vmcnt(1)
	buffer_store_dword v4, off, s[0:3], 0
	buffer_store_dword v1, v2, s[0:3], 0 offen offset:4
	buffer_store_dword v0, v2, s[0:3], 0 offen
	buffer_load_dword v0, off, s[0:3], 0
	s_nop 0
	buffer_load_dword v1, off, s[0:3], 0 offset:4
.LBB41_348:
	s_or_b64 exec, exec, s[4:5]
.LBB41_349:
	buffer_load_dword v2, off, s[0:3], 0 offset:8
	buffer_load_dword v3, off, s[0:3], 0 offset:12
	;; [unrolled: 1-line block ×82, first 2 shown]
	s_waitcnt vmcnt(62)
	global_store_dwordx2 v[136:137], v[0:1], off
	global_store_dwordx2 v[138:139], v[2:3], off
	;; [unrolled: 1-line block ×11, first 2 shown]
	s_waitcnt vmcnt(62)
	global_store_dwordx2 v[82:83], v[22:23], off
	global_store_dwordx2 v[84:85], v[24:25], off
	;; [unrolled: 1-line block ×5, first 2 shown]
	s_waitcnt vmcnt(62)
	global_store_dwordx2 v[92:93], v[32:33], off
	global_store_dwordx2 v[94:95], v[34:35], off
	;; [unrolled: 1-line block ×3, first 2 shown]
	s_waitcnt vmcnt(62)
	global_store_dwordx2 v[98:99], v[38:39], off
	s_waitcnt vmcnt(62)
	global_store_dwordx2 v[100:101], v[40:41], off
	s_waitcnt vmcnt(61)
	global_store_dwordx2 v[102:103], v[42:43], off
	s_waitcnt vmcnt(60)
	global_store_dwordx2 v[104:105], v[44:45], off
	s_waitcnt vmcnt(59)
	global_store_dwordx2 v[106:107], v[46:47], off
	s_waitcnt vmcnt(58)
	global_store_dwordx2 v[108:109], v[48:49], off
	s_waitcnt vmcnt(57)
	global_store_dwordx2 v[110:111], v[50:51], off
	s_waitcnt vmcnt(56)
	global_store_dwordx2 v[112:113], v[52:53], off
	s_waitcnt vmcnt(55)
	global_store_dwordx2 v[114:115], v[54:55], off
	s_waitcnt vmcnt(54)
	global_store_dwordx2 v[116:117], v[56:57], off
	s_waitcnt vmcnt(53)
	global_store_dwordx2 v[118:119], v[58:59], off
	s_waitcnt vmcnt(52)
	global_store_dwordx2 v[120:121], v[60:61], off
	s_waitcnt vmcnt(51)
	global_store_dwordx2 v[122:123], v[62:63], off
	s_waitcnt vmcnt(50)
	global_store_dwordx2 v[124:125], v[148:149], off
	s_waitcnt vmcnt(49)
	global_store_dwordx2 v[126:127], v[150:151], off
	s_waitcnt vmcnt(48)
	global_store_dwordx2 v[128:129], v[152:153], off
	s_waitcnt vmcnt(47)
	global_store_dwordx2 v[130:131], v[154:155], off
	s_waitcnt vmcnt(46)
	global_store_dwordx2 v[132:133], v[156:157], off
	s_waitcnt vmcnt(45)
	global_store_dwordx2 v[134:135], v[158:159], off
	s_waitcnt vmcnt(44)
	global_store_dwordx2 v[140:141], v[160:161], off
	s_waitcnt vmcnt(43)
	global_store_dwordx2 v[142:143], v[162:163], off
	s_waitcnt vmcnt(42)
	global_store_dwordx2 v[144:145], v[164:165], off
	s_waitcnt vmcnt(41)
	global_store_dwordx2 v[146:147], v[166:167], off
	s_endpgm
	.section	.rodata,"a",@progbits
	.p2align	6, 0x0
	.amdhsa_kernel _ZN9rocsolver6v33100L18getri_kernel_smallILi42E19rocblas_complex_numIfEPS3_EEvT1_iilPiilS6_bb
		.amdhsa_group_segment_fixed_size 676
		.amdhsa_private_segment_fixed_size 352
		.amdhsa_kernarg_size 60
		.amdhsa_user_sgpr_count 8
		.amdhsa_user_sgpr_private_segment_buffer 1
		.amdhsa_user_sgpr_dispatch_ptr 0
		.amdhsa_user_sgpr_queue_ptr 0
		.amdhsa_user_sgpr_kernarg_segment_ptr 1
		.amdhsa_user_sgpr_dispatch_id 0
		.amdhsa_user_sgpr_flat_scratch_init 1
		.amdhsa_user_sgpr_kernarg_preload_length 0
		.amdhsa_user_sgpr_kernarg_preload_offset 0
		.amdhsa_user_sgpr_private_segment_size 0
		.amdhsa_uses_dynamic_stack 0
		.amdhsa_system_sgpr_private_segment_wavefront_offset 1
		.amdhsa_system_sgpr_workgroup_id_x 1
		.amdhsa_system_sgpr_workgroup_id_y 0
		.amdhsa_system_sgpr_workgroup_id_z 0
		.amdhsa_system_sgpr_workgroup_info 0
		.amdhsa_system_vgpr_workitem_id 0
		.amdhsa_next_free_vgpr 244
		.amdhsa_next_free_sgpr 23
		.amdhsa_accum_offset 244
		.amdhsa_reserve_vcc 1
		.amdhsa_reserve_flat_scratch 1
		.amdhsa_float_round_mode_32 0
		.amdhsa_float_round_mode_16_64 0
		.amdhsa_float_denorm_mode_32 3
		.amdhsa_float_denorm_mode_16_64 3
		.amdhsa_dx10_clamp 1
		.amdhsa_ieee_mode 1
		.amdhsa_fp16_overflow 0
		.amdhsa_tg_split 0
		.amdhsa_exception_fp_ieee_invalid_op 0
		.amdhsa_exception_fp_denorm_src 0
		.amdhsa_exception_fp_ieee_div_zero 0
		.amdhsa_exception_fp_ieee_overflow 0
		.amdhsa_exception_fp_ieee_underflow 0
		.amdhsa_exception_fp_ieee_inexact 0
		.amdhsa_exception_int_div_zero 0
	.end_amdhsa_kernel
	.section	.text._ZN9rocsolver6v33100L18getri_kernel_smallILi42E19rocblas_complex_numIfEPS3_EEvT1_iilPiilS6_bb,"axG",@progbits,_ZN9rocsolver6v33100L18getri_kernel_smallILi42E19rocblas_complex_numIfEPS3_EEvT1_iilPiilS6_bb,comdat
.Lfunc_end41:
	.size	_ZN9rocsolver6v33100L18getri_kernel_smallILi42E19rocblas_complex_numIfEPS3_EEvT1_iilPiilS6_bb, .Lfunc_end41-_ZN9rocsolver6v33100L18getri_kernel_smallILi42E19rocblas_complex_numIfEPS3_EEvT1_iilPiilS6_bb
                                        ; -- End function
	.section	.AMDGPU.csdata,"",@progbits
; Kernel info:
; codeLenInByte = 73956
; NumSgprs: 29
; NumVgprs: 244
; NumAgprs: 0
; TotalNumVgprs: 244
; ScratchSize: 352
; MemoryBound: 0
; FloatMode: 240
; IeeeMode: 1
; LDSByteSize: 676 bytes/workgroup (compile time only)
; SGPRBlocks: 3
; VGPRBlocks: 30
; NumSGPRsForWavesPerEU: 29
; NumVGPRsForWavesPerEU: 244
; AccumOffset: 244
; Occupancy: 2
; WaveLimiterHint : 1
; COMPUTE_PGM_RSRC2:SCRATCH_EN: 1
; COMPUTE_PGM_RSRC2:USER_SGPR: 8
; COMPUTE_PGM_RSRC2:TRAP_HANDLER: 0
; COMPUTE_PGM_RSRC2:TGID_X_EN: 1
; COMPUTE_PGM_RSRC2:TGID_Y_EN: 0
; COMPUTE_PGM_RSRC2:TGID_Z_EN: 0
; COMPUTE_PGM_RSRC2:TIDIG_COMP_CNT: 0
; COMPUTE_PGM_RSRC3_GFX90A:ACCUM_OFFSET: 60
; COMPUTE_PGM_RSRC3_GFX90A:TG_SPLIT: 0
	.section	.text._ZN9rocsolver6v33100L18getri_kernel_smallILi43E19rocblas_complex_numIfEPS3_EEvT1_iilPiilS6_bb,"axG",@progbits,_ZN9rocsolver6v33100L18getri_kernel_smallILi43E19rocblas_complex_numIfEPS3_EEvT1_iilPiilS6_bb,comdat
	.globl	_ZN9rocsolver6v33100L18getri_kernel_smallILi43E19rocblas_complex_numIfEPS3_EEvT1_iilPiilS6_bb ; -- Begin function _ZN9rocsolver6v33100L18getri_kernel_smallILi43E19rocblas_complex_numIfEPS3_EEvT1_iilPiilS6_bb
	.p2align	8
	.type	_ZN9rocsolver6v33100L18getri_kernel_smallILi43E19rocblas_complex_numIfEPS3_EEvT1_iilPiilS6_bb,@function
_ZN9rocsolver6v33100L18getri_kernel_smallILi43E19rocblas_complex_numIfEPS3_EEvT1_iilPiilS6_bb: ; @_ZN9rocsolver6v33100L18getri_kernel_smallILi43E19rocblas_complex_numIfEPS3_EEvT1_iilPiilS6_bb
; %bb.0:
	s_add_u32 flat_scratch_lo, s6, s9
	s_addc_u32 flat_scratch_hi, s7, 0
	s_add_u32 s0, s0, s9
	s_addc_u32 s1, s1, 0
	v_cmp_gt_u32_e32 vcc, 43, v0
	s_and_saveexec_b64 s[6:7], vcc
	s_cbranch_execz .LBB42_186
; %bb.1:
	s_load_dword s22, s[4:5], 0x38
	s_load_dwordx4 s[16:19], s[4:5], 0x10
	s_load_dwordx4 s[12:15], s[4:5], 0x28
                                        ; implicit-def: $sgpr10_sgpr11
	s_waitcnt lgkmcnt(0)
	s_bitcmp1_b32 s22, 8
	s_cselect_b64 s[20:21], -1, 0
	s_ashr_i32 s9, s8, 31
	s_bfe_u32 s6, s22, 0x10008
	s_cmp_eq_u32 s6, 0
	s_cbranch_scc1 .LBB42_3
; %bb.2:
	s_load_dword s6, s[4:5], 0x20
	s_mul_i32 s7, s8, s13
	s_mul_hi_u32 s10, s8, s12
	s_mul_i32 s11, s9, s12
	s_add_i32 s10, s10, s7
	s_add_i32 s11, s10, s11
	s_mul_i32 s10, s8, s12
	s_waitcnt lgkmcnt(0)
	s_ashr_i32 s7, s6, 31
	s_lshl_b64 s[10:11], s[10:11], 2
	s_add_u32 s10, s18, s10
	s_addc_u32 s11, s19, s11
	s_lshl_b64 s[6:7], s[6:7], 2
	s_add_u32 s10, s10, s6
	s_addc_u32 s11, s11, s7
.LBB42_3:
	s_load_dwordx4 s[4:7], s[4:5], 0x0
	s_mul_i32 s12, s8, s17
	s_mul_hi_u32 s13, s8, s16
	s_add_i32 s17, s13, s12
	v_lshlrev_b32_e32 v6, 3, v0
	s_waitcnt lgkmcnt(0)
	s_ashr_i32 s13, s6, 31
	s_mov_b32 s12, s6
	s_mul_i32 s6, s9, s16
	s_add_i32 s17, s17, s6
	s_mul_i32 s16, s8, s16
	s_lshl_b64 s[16:17], s[16:17], 3
	s_add_u32 s6, s4, s16
	s_addc_u32 s16, s5, s17
	s_lshl_b64 s[4:5], s[12:13], 3
	s_add_u32 s4, s6, s4
	s_addc_u32 s5, s16, s5
	s_add_i32 s6, s7, s7
	v_add_u32_e32 v2, s6, v0
	v_ashrrev_i32_e32 v3, 31, v2
	v_lshlrev_b64 v[4:5], 3, v[2:3]
	v_add_u32_e32 v2, s7, v2
	v_mov_b32_e32 v1, s5
	v_add_co_u32_e32 v66, vcc, s4, v4
	v_ashrrev_i32_e32 v3, 31, v2
	v_addc_co_u32_e32 v67, vcc, v1, v5, vcc
	v_lshlrev_b64 v[4:5], 3, v[2:3]
	v_add_u32_e32 v2, s7, v2
	v_add_co_u32_e32 v68, vcc, s4, v4
	v_ashrrev_i32_e32 v3, 31, v2
	v_addc_co_u32_e32 v69, vcc, v1, v5, vcc
	v_lshlrev_b64 v[4:5], 3, v[2:3]
	v_add_u32_e32 v2, s7, v2
	;; [unrolled: 5-line block ×34, first 2 shown]
	v_add_co_u32_e32 v134, vcc, s4, v4
	v_ashrrev_i32_e32 v3, 31, v2
	v_addc_co_u32_e32 v135, vcc, v1, v5, vcc
	v_lshlrev_b64 v[4:5], 3, v[2:3]
	v_add_co_u32_e32 v136, vcc, s4, v4
	v_addc_co_u32_e32 v137, vcc, v1, v5, vcc
	v_mov_b32_e32 v7, s5
	v_add_co_u32_e32 v140, vcc, s4, v6
	s_ashr_i32 s13, s7, 31
	s_mov_b32 s12, s7
	v_add_u32_e32 v2, s7, v2
	v_addc_co_u32_e32 v141, vcc, 0, v7, vcc
	s_lshl_b64 s[12:13], s[12:13], 3
	v_ashrrev_i32_e32 v3, 31, v2
	v_mov_b32_e32 v7, s13
	v_add_co_u32_e32 v144, vcc, s12, v140
	v_addc_co_u32_e32 v145, vcc, v141, v7, vcc
	v_lshlrev_b64 v[10:11], 3, v[2:3]
	v_add_u32_e32 v2, s7, v2
	v_add_co_u32_e32 v138, vcc, s4, v10
	v_ashrrev_i32_e32 v3, 31, v2
	v_addc_co_u32_e32 v139, vcc, v1, v11, vcc
	v_lshlrev_b64 v[24:25], 3, v[2:3]
	v_add_u32_e32 v2, s7, v2
	v_add_co_u32_e32 v142, vcc, s4, v24
	v_ashrrev_i32_e32 v3, 31, v2
	;; [unrolled: 5-line block ×3, first 2 shown]
	v_addc_co_u32_e32 v147, vcc, v1, v41, vcc
	v_lshlrev_b64 v[56:57], 3, v[2:3]
	v_add_u32_e32 v2, s7, v2
	global_load_dwordx2 v[4:5], v6, s[4:5]
	global_load_dwordx2 v[8:9], v[144:145], off
	v_add_co_u32_e32 v148, vcc, s4, v56
	v_ashrrev_i32_e32 v3, 31, v2
	v_addc_co_u32_e32 v149, vcc, v1, v57, vcc
	v_lshlrev_b64 v[2:3], 3, v[2:3]
	v_add_co_u32_e32 v150, vcc, s4, v2
	global_load_dwordx2 v[12:13], v[66:67], off
	global_load_dwordx2 v[14:15], v[68:69], off
	global_load_dwordx2 v[16:17], v[70:71], off
	global_load_dwordx2 v[10:11], v[72:73], off
	global_load_dwordx2 v[18:19], v[74:75], off
	global_load_dwordx2 v[20:21], v[76:77], off
	global_load_dwordx2 v[22:23], v[78:79], off
	global_load_dwordx2 v[26:27], v[80:81], off
	global_load_dwordx2 v[28:29], v[82:83], off
	global_load_dwordx2 v[30:31], v[84:85], off
	global_load_dwordx2 v[32:33], v[86:87], off
	global_load_dwordx2 v[24:25], v[88:89], off
	global_load_dwordx2 v[34:35], v[90:91], off
	global_load_dwordx2 v[36:37], v[92:93], off
	global_load_dwordx2 v[38:39], v[94:95], off
	global_load_dwordx2 v[42:43], v[96:97], off
	global_load_dwordx2 v[44:45], v[98:99], off
	global_load_dwordx2 v[46:47], v[100:101], off
	global_load_dwordx2 v[48:49], v[102:103], off
	global_load_dwordx2 v[40:41], v[104:105], off
	global_load_dwordx2 v[50:51], v[106:107], off
	global_load_dwordx2 v[52:53], v[108:109], off
	global_load_dwordx2 v[54:55], v[110:111], off
	global_load_dwordx2 v[58:59], v[112:113], off
	global_load_dwordx2 v[60:61], v[114:115], off
	global_load_dwordx2 v[62:63], v[116:117], off
	global_load_dwordx2 v[64:65], v[118:119], off
	global_load_dwordx2 v[56:57], v[120:121], off
	global_load_dwordx2 v[152:153], v[122:123], off
	global_load_dwordx2 v[154:155], v[124:125], off
	global_load_dwordx2 v[156:157], v[126:127], off
	global_load_dwordx2 v[158:159], v[128:129], off
	global_load_dwordx2 v[160:161], v[130:131], off
	global_load_dwordx2 v[162:163], v[132:133], off
	global_load_dwordx2 v[164:165], v[134:135], off
	v_addc_co_u32_e32 v151, vcc, v1, v3, vcc
	global_load_dwordx2 v[2:3], v[136:137], off
	global_load_dwordx2 v[166:167], v[150:151], off
	;; [unrolled: 1-line block ×5, first 2 shown]
	s_bitcmp0_b32 s22, 0
	s_mov_b64 s[6:7], -1
	s_waitcnt vmcnt(41)
	buffer_store_dword v5, off, s[0:3], 0 offset:4
	buffer_store_dword v4, off, s[0:3], 0
	global_load_dwordx2 v[4:5], v[146:147], off
	s_waitcnt vmcnt(43)
	buffer_store_dword v9, off, s[0:3], 0 offset:12
	buffer_store_dword v8, off, s[0:3], 0 offset:8
	s_waitcnt vmcnt(44)
	buffer_store_dword v13, off, s[0:3], 0 offset:20
	buffer_store_dword v12, off, s[0:3], 0 offset:16
	;; [unrolled: 3-line block ×21, first 2 shown]
	buffer_store_dword v50, off, s[0:3], 0 offset:176
	buffer_store_dword v51, off, s[0:3], 0 offset:180
	s_waitcnt vmcnt(62)
	buffer_store_dword v52, off, s[0:3], 0 offset:184
	buffer_store_dword v53, off, s[0:3], 0 offset:188
	;; [unrolled: 1-line block ×8, first 2 shown]
	s_waitcnt vmcnt(62)
	buffer_store_dword v62, off, s[0:3], 0 offset:216
	buffer_store_dword v63, off, s[0:3], 0 offset:220
	;; [unrolled: 1-line block ×16, first 2 shown]
	s_waitcnt vmcnt(62)
	buffer_store_dword v162, off, s[0:3], 0 offset:280
	buffer_store_dword v163, off, s[0:3], 0 offset:284
	;; [unrolled: 1-line block ×16, first 2 shown]
	s_cbranch_scc1 .LBB42_184
; %bb.4:
	v_cmp_eq_u32_e64 s[4:5], 0, v0
	s_and_saveexec_b64 s[6:7], s[4:5]
	s_cbranch_execz .LBB42_6
; %bb.5:
	v_mov_b32_e32 v1, 0
	ds_write_b32 v1, v1 offset:344
.LBB42_6:
	s_or_b64 exec, exec, s[6:7]
	v_mov_b32_e32 v1, 0
	v_lshl_add_u32 v7, v0, 3, v1
	s_waitcnt lgkmcnt(0)
	; wave barrier
	s_waitcnt lgkmcnt(0)
	buffer_load_dword v1, v7, s[0:3], 0 offen
	buffer_load_dword v2, v7, s[0:3], 0 offen offset:4
	s_waitcnt vmcnt(1)
	v_cmp_eq_f32_e32 vcc, 0, v1
	s_waitcnt vmcnt(0)
	v_cmp_eq_f32_e64 s[6:7], 0, v2
	s_and_b64 s[6:7], vcc, s[6:7]
	s_and_saveexec_b64 s[12:13], s[6:7]
	s_cbranch_execz .LBB42_10
; %bb.7:
	v_mov_b32_e32 v1, 0
	ds_read_b32 v3, v1 offset:344
	v_add_u32_e32 v2, 1, v0
	s_waitcnt lgkmcnt(0)
	v_readfirstlane_b32 s6, v3
	s_cmp_eq_u32 s6, 0
	s_cselect_b64 s[16:17], -1, 0
	v_cmp_gt_i32_e32 vcc, s6, v2
	s_or_b64 s[16:17], s[16:17], vcc
	s_and_b64 exec, exec, s[16:17]
	s_cbranch_execz .LBB42_10
; %bb.8:
	s_mov_b64 s[16:17], 0
	v_mov_b32_e32 v3, s6
.LBB42_9:                               ; =>This Inner Loop Header: Depth=1
	ds_cmpst_rtn_b32 v3, v1, v3, v2 offset:344
	s_waitcnt lgkmcnt(0)
	v_cmp_ne_u32_e32 vcc, 0, v3
	v_cmp_le_i32_e64 s[6:7], v3, v2
	s_and_b64 s[6:7], vcc, s[6:7]
	s_and_b64 s[6:7], exec, s[6:7]
	s_or_b64 s[16:17], s[6:7], s[16:17]
	s_andn2_b64 exec, exec, s[16:17]
	s_cbranch_execnz .LBB42_9
.LBB42_10:
	s_or_b64 exec, exec, s[12:13]
	v_mov_b32_e32 v2, 0
	s_waitcnt lgkmcnt(0)
	; wave barrier
	ds_read_b32 v1, v2 offset:344
	s_and_saveexec_b64 s[6:7], s[4:5]
	s_cbranch_execz .LBB42_12
; %bb.11:
	s_lshl_b64 s[12:13], s[8:9], 2
	s_add_u32 s12, s14, s12
	s_addc_u32 s13, s15, s13
	s_waitcnt lgkmcnt(0)
	global_store_dword v2, v1, s[12:13]
.LBB42_12:
	s_or_b64 exec, exec, s[6:7]
	s_waitcnt lgkmcnt(0)
	v_cmp_ne_u32_e32 vcc, 0, v1
	s_mov_b64 s[6:7], 0
	s_cbranch_vccnz .LBB42_184
; %bb.13:
	buffer_load_dword v8, v7, s[0:3], 0 offen offset:4
	buffer_load_dword v3, v7, s[0:3], 0 offen
	s_waitcnt vmcnt(1)
	v_cmp_gt_f32_e32 vcc, 0, v8
	v_cndmask_b32_e64 v1, v8, -v8, vcc
	s_waitcnt vmcnt(0)
	v_cmp_gt_f32_e32 vcc, 0, v3
	v_cndmask_b32_e64 v2, v3, -v3, vcc
	v_cmp_ngt_f32_e32 vcc, v2, v1
                                        ; implicit-def: $vgpr1
                                        ; implicit-def: $vgpr2
	s_and_saveexec_b64 s[6:7], vcc
	s_xor_b64 s[6:7], exec, s[6:7]
                                        ; implicit-def: $vgpr4_vgpr5
	s_cbranch_execz .LBB42_15
; %bb.14:
	v_div_scale_f32 v1, s[12:13], v8, v8, v3
	v_rcp_f32_e32 v2, v1
	v_div_scale_f32 v4, vcc, v3, v8, v3
	v_fma_f32 v5, -v1, v2, 1.0
	v_fmac_f32_e32 v2, v5, v2
	v_mul_f32_e32 v5, v4, v2
	v_fma_f32 v9, -v1, v5, v4
	v_fmac_f32_e32 v5, v9, v2
	v_fma_f32 v1, -v1, v5, v4
	v_div_fmas_f32 v1, v1, v2, v5
	v_div_fixup_f32 v2, v1, v8, v3
	v_fmac_f32_e32 v8, v3, v2
	v_div_scale_f32 v1, s[12:13], v8, v8, -1.0
	v_rcp_f32_e32 v3, v1
	v_fma_f32 v4, -v1, v3, 1.0
	v_fmac_f32_e32 v3, v4, v3
	v_div_scale_f32 v4, vcc, -1.0, v8, -1.0
	v_mul_f32_e32 v5, v4, v3
	v_fma_f32 v9, -v1, v5, v4
	v_fmac_f32_e32 v5, v9, v3
	v_fma_f32 v1, -v1, v5, v4
	v_div_fmas_f32 v1, v1, v3, v5
	v_div_fixup_f32 v1, v1, v8, -1.0
	v_mul_f32_e32 v2, v2, v1
	v_xor_b32_e32 v4, 0x80000000, v2
                                        ; implicit-def: $vgpr3
                                        ; implicit-def: $vgpr8
.LBB42_15:
	s_andn2_saveexec_b64 s[6:7], s[6:7]
	s_cbranch_execz .LBB42_17
; %bb.16:
	v_div_scale_f32 v1, s[12:13], v3, v3, v8
	v_rcp_f32_e32 v2, v1
	v_div_scale_f32 v4, vcc, v8, v3, v8
	v_fma_f32 v5, -v1, v2, 1.0
	v_fmac_f32_e32 v2, v5, v2
	v_mul_f32_e32 v5, v4, v2
	v_fma_f32 v9, -v1, v5, v4
	v_fmac_f32_e32 v5, v9, v2
	v_fma_f32 v1, -v1, v5, v4
	v_div_fmas_f32 v1, v1, v2, v5
	v_div_fixup_f32 v1, v1, v3, v8
	v_fmac_f32_e32 v3, v8, v1
	v_div_scale_f32 v2, s[12:13], v3, v3, 1.0
	v_rcp_f32_e32 v4, v2
	v_fma_f32 v5, -v2, v4, 1.0
	v_fmac_f32_e32 v4, v5, v4
	v_div_scale_f32 v5, vcc, 1.0, v3, 1.0
	v_mul_f32_e32 v8, v5, v4
	v_fma_f32 v9, -v2, v8, v5
	v_fmac_f32_e32 v8, v9, v4
	v_fma_f32 v2, -v2, v8, v5
	v_div_fmas_f32 v2, v2, v4, v8
	v_div_fixup_f32 v4, v2, v3, 1.0
	v_xor_b32_e32 v2, 0x80000000, v4
	v_mul_f32_e64 v1, v1, -v4
.LBB42_17:
	s_or_b64 exec, exec, s[6:7]
	buffer_store_dword v1, v7, s[0:3], 0 offen offset:4
	buffer_store_dword v4, v7, s[0:3], 0 offen
	buffer_load_dword v5, off, s[0:3], 0 offset:12
	s_nop 0
	buffer_load_dword v4, off, s[0:3], 0 offset:8
	v_xor_b32_e32 v3, 0x80000000, v1
	v_add_u32_e32 v1, 0x160, v6
	s_waitcnt vmcnt(0)
	ds_write2_b64 v6, v[2:3], v[4:5] offset1:44
	s_waitcnt lgkmcnt(0)
	; wave barrier
	s_waitcnt lgkmcnt(0)
	s_and_saveexec_b64 s[6:7], s[4:5]
	s_cbranch_execz .LBB42_19
; %bb.18:
	buffer_load_dword v8, v7, s[0:3], 0 offen offset:4
	buffer_load_dword v9, v7, s[0:3], 0 offen
	ds_read_b64 v[2:3], v1
	v_mov_b32_e32 v4, 0
	ds_read_b64 v[4:5], v4 offset:8
	s_waitcnt vmcnt(1) lgkmcnt(1)
	v_mul_f32_e32 v10, v3, v8
	v_mul_f32_e32 v8, v2, v8
	s_waitcnt vmcnt(0)
	v_fmac_f32_e32 v8, v3, v9
	v_fma_f32 v2, v2, v9, -v10
	v_add_f32_e32 v3, 0, v8
	v_add_f32_e32 v2, 0, v2
	s_waitcnt lgkmcnt(0)
	v_mul_f32_e32 v8, v3, v5
	v_mul_f32_e32 v5, v2, v5
	v_fma_f32 v2, v2, v4, -v8
	v_fmac_f32_e32 v5, v3, v4
	buffer_store_dword v2, off, s[0:3], 0 offset:8
	buffer_store_dword v5, off, s[0:3], 0 offset:12
.LBB42_19:
	s_or_b64 exec, exec, s[6:7]
	s_waitcnt lgkmcnt(0)
	; wave barrier
	buffer_load_dword v2, off, s[0:3], 0 offset:16
	buffer_load_dword v3, off, s[0:3], 0 offset:20
	v_cmp_gt_u32_e32 vcc, 2, v0
	s_waitcnt vmcnt(0)
	ds_write_b64 v1, v[2:3]
	s_waitcnt lgkmcnt(0)
	; wave barrier
	s_waitcnt lgkmcnt(0)
	s_and_saveexec_b64 s[6:7], vcc
	s_cbranch_execz .LBB42_23
; %bb.20:
	buffer_load_dword v4, v7, s[0:3], 0 offen offset:4
	buffer_load_dword v5, v7, s[0:3], 0 offen
	ds_read_b64 v[2:3], v1
	s_waitcnt vmcnt(1) lgkmcnt(0)
	v_mul_f32_e32 v7, v3, v4
	v_mul_f32_e32 v4, v2, v4
	s_waitcnt vmcnt(0)
	v_fma_f32 v2, v2, v5, -v7
	v_fmac_f32_e32 v4, v3, v5
	v_add_f32_e32 v3, 0, v2
	v_add_f32_e32 v2, 0, v4
	s_and_saveexec_b64 s[12:13], s[4:5]
	s_cbranch_execz .LBB42_22
; %bb.21:
	buffer_load_dword v7, off, s[0:3], 0 offset:12
	buffer_load_dword v8, off, s[0:3], 0 offset:8
	v_mov_b32_e32 v4, 0
	ds_read_b64 v[4:5], v4 offset:360
	s_waitcnt vmcnt(1) lgkmcnt(0)
	v_mul_f32_e32 v9, v4, v7
	v_mul_f32_e32 v7, v5, v7
	s_waitcnt vmcnt(0)
	v_fmac_f32_e32 v9, v5, v8
	v_fma_f32 v4, v4, v8, -v7
	v_add_f32_e32 v2, v2, v9
	v_add_f32_e32 v3, v3, v4
.LBB42_22:
	s_or_b64 exec, exec, s[12:13]
	v_mov_b32_e32 v4, 0
	ds_read_b64 v[4:5], v4 offset:16
	s_waitcnt lgkmcnt(0)
	v_mul_f32_e32 v7, v2, v5
	v_mul_f32_e32 v5, v3, v5
	v_fma_f32 v3, v3, v4, -v7
	v_fmac_f32_e32 v5, v2, v4
	buffer_store_dword v3, off, s[0:3], 0 offset:16
	buffer_store_dword v5, off, s[0:3], 0 offset:20
.LBB42_23:
	s_or_b64 exec, exec, s[6:7]
	s_waitcnt lgkmcnt(0)
	; wave barrier
	buffer_load_dword v2, off, s[0:3], 0 offset:24
	buffer_load_dword v3, off, s[0:3], 0 offset:28
	v_cmp_gt_u32_e32 vcc, 3, v0
	s_waitcnt vmcnt(0)
	ds_write_b64 v1, v[2:3]
	v_add_u32_e32 v2, -1, v0
	s_waitcnt lgkmcnt(0)
	; wave barrier
	s_waitcnt lgkmcnt(0)
	s_and_saveexec_b64 s[4:5], vcc
	s_cbranch_execz .LBB42_27
; %bb.24:
	v_add_u32_e32 v4, -1, v0
	v_add_u32_e32 v5, 0x160, v6
	v_add_u32_e32 v7, 0, v6
	s_mov_b64 s[6:7], 0
	v_mov_b32_e32 v3, 0
	v_mov_b32_e32 v8, 0
.LBB42_25:                              ; =>This Inner Loop Header: Depth=1
	buffer_load_dword v9, v7, s[0:3], 0 offen offset:4
	buffer_load_dword v12, v7, s[0:3], 0 offen
	ds_read_b64 v[10:11], v5
	v_add_u32_e32 v4, 1, v4
	v_cmp_lt_u32_e32 vcc, 1, v4
	v_add_u32_e32 v5, 8, v5
	v_add_u32_e32 v7, 8, v7
	s_or_b64 s[6:7], vcc, s[6:7]
	s_waitcnt vmcnt(1) lgkmcnt(0)
	v_mul_f32_e32 v13, v11, v9
	v_mul_f32_e32 v9, v10, v9
	s_waitcnt vmcnt(0)
	v_fma_f32 v10, v10, v12, -v13
	v_fmac_f32_e32 v9, v11, v12
	v_add_f32_e32 v8, v8, v10
	v_add_f32_e32 v3, v3, v9
	s_andn2_b64 exec, exec, s[6:7]
	s_cbranch_execnz .LBB42_25
; %bb.26:
	s_or_b64 exec, exec, s[6:7]
	v_mov_b32_e32 v4, 0
	ds_read_b64 v[4:5], v4 offset:24
	s_waitcnt lgkmcnt(0)
	v_mul_f32_e32 v7, v3, v5
	v_mul_f32_e32 v5, v8, v5
	v_fma_f32 v7, v8, v4, -v7
	v_fmac_f32_e32 v5, v3, v4
	buffer_store_dword v7, off, s[0:3], 0 offset:24
	buffer_store_dword v5, off, s[0:3], 0 offset:28
.LBB42_27:
	s_or_b64 exec, exec, s[4:5]
	s_waitcnt lgkmcnt(0)
	; wave barrier
	buffer_load_dword v4, off, s[0:3], 0 offset:32
	buffer_load_dword v5, off, s[0:3], 0 offset:36
	v_cmp_gt_u32_e32 vcc, 4, v0
	s_waitcnt vmcnt(0)
	ds_write_b64 v1, v[4:5]
	s_waitcnt lgkmcnt(0)
	; wave barrier
	s_waitcnt lgkmcnt(0)
	s_and_saveexec_b64 s[4:5], vcc
	s_cbranch_execz .LBB42_31
; %bb.28:
	v_add_u32_e32 v4, -1, v0
	v_add_u32_e32 v5, 0x160, v6
	v_add_u32_e32 v7, 0, v6
	s_mov_b64 s[6:7], 0
	v_mov_b32_e32 v3, 0
	v_mov_b32_e32 v8, 0
.LBB42_29:                              ; =>This Inner Loop Header: Depth=1
	buffer_load_dword v9, v7, s[0:3], 0 offen offset:4
	buffer_load_dword v12, v7, s[0:3], 0 offen
	ds_read_b64 v[10:11], v5
	v_add_u32_e32 v4, 1, v4
	v_cmp_lt_u32_e32 vcc, 2, v4
	v_add_u32_e32 v5, 8, v5
	v_add_u32_e32 v7, 8, v7
	s_or_b64 s[6:7], vcc, s[6:7]
	s_waitcnt vmcnt(1) lgkmcnt(0)
	v_mul_f32_e32 v13, v11, v9
	v_mul_f32_e32 v9, v10, v9
	s_waitcnt vmcnt(0)
	v_fma_f32 v10, v10, v12, -v13
	v_fmac_f32_e32 v9, v11, v12
	v_add_f32_e32 v8, v8, v10
	v_add_f32_e32 v3, v3, v9
	s_andn2_b64 exec, exec, s[6:7]
	s_cbranch_execnz .LBB42_29
; %bb.30:
	s_or_b64 exec, exec, s[6:7]
	v_mov_b32_e32 v4, 0
	ds_read_b64 v[4:5], v4 offset:32
	s_waitcnt lgkmcnt(0)
	v_mul_f32_e32 v7, v3, v5
	v_mul_f32_e32 v5, v8, v5
	v_fma_f32 v7, v8, v4, -v7
	v_fmac_f32_e32 v5, v3, v4
	buffer_store_dword v7, off, s[0:3], 0 offset:32
	buffer_store_dword v5, off, s[0:3], 0 offset:36
.LBB42_31:
	s_or_b64 exec, exec, s[4:5]
	s_waitcnt lgkmcnt(0)
	; wave barrier
	buffer_load_dword v4, off, s[0:3], 0 offset:40
	buffer_load_dword v5, off, s[0:3], 0 offset:44
	v_cmp_gt_u32_e32 vcc, 5, v0
	s_waitcnt vmcnt(0)
	ds_write_b64 v1, v[4:5]
	;; [unrolled: 51-line block ×19, first 2 shown]
	s_waitcnt lgkmcnt(0)
	; wave barrier
	s_waitcnt lgkmcnt(0)
	s_and_saveexec_b64 s[4:5], vcc
	s_cbranch_execz .LBB42_103
; %bb.100:
	v_add_u32_e32 v4, -1, v0
	v_add_u32_e32 v5, 0x160, v6
	v_add_u32_e32 v7, 0, v6
	s_mov_b64 s[6:7], 0
	v_mov_b32_e32 v3, 0
	v_mov_b32_e32 v8, 0
.LBB42_101:                             ; =>This Inner Loop Header: Depth=1
	buffer_load_dword v9, v7, s[0:3], 0 offen offset:4
	buffer_load_dword v12, v7, s[0:3], 0 offen
	ds_read_b64 v[10:11], v5
	v_add_u32_e32 v4, 1, v4
	v_cmp_lt_u32_e32 vcc, 20, v4
	v_add_u32_e32 v5, 8, v5
	v_add_u32_e32 v7, 8, v7
	s_or_b64 s[6:7], vcc, s[6:7]
	s_waitcnt vmcnt(1) lgkmcnt(0)
	v_mul_f32_e32 v13, v11, v9
	v_mul_f32_e32 v9, v10, v9
	s_waitcnt vmcnt(0)
	v_fma_f32 v10, v10, v12, -v13
	v_fmac_f32_e32 v9, v11, v12
	v_add_f32_e32 v8, v8, v10
	v_add_f32_e32 v3, v3, v9
	s_andn2_b64 exec, exec, s[6:7]
	s_cbranch_execnz .LBB42_101
; %bb.102:
	s_or_b64 exec, exec, s[6:7]
	v_mov_b32_e32 v4, 0
	ds_read_b64 v[4:5], v4 offset:176
	s_waitcnt lgkmcnt(0)
	v_mul_f32_e32 v7, v3, v5
	v_mul_f32_e32 v5, v8, v5
	v_fma_f32 v7, v8, v4, -v7
	v_fmac_f32_e32 v5, v3, v4
	buffer_store_dword v7, off, s[0:3], 0 offset:176
	buffer_store_dword v5, off, s[0:3], 0 offset:180
.LBB42_103:
	s_or_b64 exec, exec, s[4:5]
	s_waitcnt lgkmcnt(0)
	; wave barrier
	buffer_load_dword v4, off, s[0:3], 0 offset:184
	buffer_load_dword v5, off, s[0:3], 0 offset:188
	v_cmp_gt_u32_e32 vcc, 23, v0
	s_waitcnt vmcnt(0)
	ds_write_b64 v1, v[4:5]
	s_waitcnt lgkmcnt(0)
	; wave barrier
	s_waitcnt lgkmcnt(0)
	s_and_saveexec_b64 s[4:5], vcc
	s_cbranch_execz .LBB42_107
; %bb.104:
	v_add_u32_e32 v4, -1, v0
	v_add_u32_e32 v5, 0x160, v6
	v_add_u32_e32 v7, 0, v6
	s_mov_b64 s[6:7], 0
	v_mov_b32_e32 v3, 0
	v_mov_b32_e32 v8, 0
.LBB42_105:                             ; =>This Inner Loop Header: Depth=1
	buffer_load_dword v9, v7, s[0:3], 0 offen offset:4
	buffer_load_dword v12, v7, s[0:3], 0 offen
	ds_read_b64 v[10:11], v5
	v_add_u32_e32 v4, 1, v4
	v_cmp_lt_u32_e32 vcc, 21, v4
	v_add_u32_e32 v5, 8, v5
	v_add_u32_e32 v7, 8, v7
	s_or_b64 s[6:7], vcc, s[6:7]
	s_waitcnt vmcnt(1) lgkmcnt(0)
	v_mul_f32_e32 v13, v11, v9
	v_mul_f32_e32 v9, v10, v9
	s_waitcnt vmcnt(0)
	v_fma_f32 v10, v10, v12, -v13
	v_fmac_f32_e32 v9, v11, v12
	v_add_f32_e32 v8, v8, v10
	v_add_f32_e32 v3, v3, v9
	s_andn2_b64 exec, exec, s[6:7]
	s_cbranch_execnz .LBB42_105
; %bb.106:
	s_or_b64 exec, exec, s[6:7]
	v_mov_b32_e32 v4, 0
	ds_read_b64 v[4:5], v4 offset:184
	s_waitcnt lgkmcnt(0)
	v_mul_f32_e32 v7, v3, v5
	v_mul_f32_e32 v5, v8, v5
	v_fma_f32 v7, v8, v4, -v7
	v_fmac_f32_e32 v5, v3, v4
	buffer_store_dword v7, off, s[0:3], 0 offset:184
	buffer_store_dword v5, off, s[0:3], 0 offset:188
.LBB42_107:
	s_or_b64 exec, exec, s[4:5]
	s_waitcnt lgkmcnt(0)
	; wave barrier
	buffer_load_dword v4, off, s[0:3], 0 offset:192
	buffer_load_dword v5, off, s[0:3], 0 offset:196
	v_cmp_gt_u32_e32 vcc, 24, v0
	s_waitcnt vmcnt(0)
	ds_write_b64 v1, v[4:5]
	s_waitcnt lgkmcnt(0)
	; wave barrier
	s_waitcnt lgkmcnt(0)
	s_and_saveexec_b64 s[4:5], vcc
	s_cbranch_execz .LBB42_111
; %bb.108:
	v_add_u32_e32 v4, -1, v0
	v_add_u32_e32 v5, 0x160, v6
	v_add_u32_e32 v7, 0, v6
	s_mov_b64 s[6:7], 0
	v_mov_b32_e32 v3, 0
	v_mov_b32_e32 v8, 0
.LBB42_109:                             ; =>This Inner Loop Header: Depth=1
	buffer_load_dword v9, v7, s[0:3], 0 offen offset:4
	buffer_load_dword v12, v7, s[0:3], 0 offen
	ds_read_b64 v[10:11], v5
	v_add_u32_e32 v4, 1, v4
	v_cmp_lt_u32_e32 vcc, 22, v4
	v_add_u32_e32 v5, 8, v5
	v_add_u32_e32 v7, 8, v7
	s_or_b64 s[6:7], vcc, s[6:7]
	s_waitcnt vmcnt(1) lgkmcnt(0)
	v_mul_f32_e32 v13, v11, v9
	v_mul_f32_e32 v9, v10, v9
	s_waitcnt vmcnt(0)
	v_fma_f32 v10, v10, v12, -v13
	v_fmac_f32_e32 v9, v11, v12
	v_add_f32_e32 v8, v8, v10
	v_add_f32_e32 v3, v3, v9
	s_andn2_b64 exec, exec, s[6:7]
	s_cbranch_execnz .LBB42_109
; %bb.110:
	s_or_b64 exec, exec, s[6:7]
	v_mov_b32_e32 v4, 0
	ds_read_b64 v[4:5], v4 offset:192
	s_waitcnt lgkmcnt(0)
	v_mul_f32_e32 v7, v3, v5
	v_mul_f32_e32 v5, v8, v5
	v_fma_f32 v7, v8, v4, -v7
	v_fmac_f32_e32 v5, v3, v4
	buffer_store_dword v7, off, s[0:3], 0 offset:192
	buffer_store_dword v5, off, s[0:3], 0 offset:196
.LBB42_111:
	s_or_b64 exec, exec, s[4:5]
	s_waitcnt lgkmcnt(0)
	; wave barrier
	buffer_load_dword v4, off, s[0:3], 0 offset:200
	buffer_load_dword v5, off, s[0:3], 0 offset:204
	v_cmp_gt_u32_e32 vcc, 25, v0
	s_waitcnt vmcnt(0)
	ds_write_b64 v1, v[4:5]
	s_waitcnt lgkmcnt(0)
	; wave barrier
	s_waitcnt lgkmcnt(0)
	s_and_saveexec_b64 s[4:5], vcc
	s_cbranch_execz .LBB42_115
; %bb.112:
	v_add_u32_e32 v4, -1, v0
	v_add_u32_e32 v5, 0x160, v6
	v_add_u32_e32 v7, 0, v6
	s_mov_b64 s[6:7], 0
	v_mov_b32_e32 v3, 0
	v_mov_b32_e32 v8, 0
.LBB42_113:                             ; =>This Inner Loop Header: Depth=1
	buffer_load_dword v9, v7, s[0:3], 0 offen offset:4
	buffer_load_dword v12, v7, s[0:3], 0 offen
	ds_read_b64 v[10:11], v5
	v_add_u32_e32 v4, 1, v4
	v_cmp_lt_u32_e32 vcc, 23, v4
	v_add_u32_e32 v5, 8, v5
	v_add_u32_e32 v7, 8, v7
	s_or_b64 s[6:7], vcc, s[6:7]
	s_waitcnt vmcnt(1) lgkmcnt(0)
	v_mul_f32_e32 v13, v11, v9
	v_mul_f32_e32 v9, v10, v9
	s_waitcnt vmcnt(0)
	v_fma_f32 v10, v10, v12, -v13
	v_fmac_f32_e32 v9, v11, v12
	v_add_f32_e32 v8, v8, v10
	v_add_f32_e32 v3, v3, v9
	s_andn2_b64 exec, exec, s[6:7]
	s_cbranch_execnz .LBB42_113
; %bb.114:
	s_or_b64 exec, exec, s[6:7]
	v_mov_b32_e32 v4, 0
	ds_read_b64 v[4:5], v4 offset:200
	s_waitcnt lgkmcnt(0)
	v_mul_f32_e32 v7, v3, v5
	v_mul_f32_e32 v5, v8, v5
	v_fma_f32 v7, v8, v4, -v7
	v_fmac_f32_e32 v5, v3, v4
	buffer_store_dword v7, off, s[0:3], 0 offset:200
	buffer_store_dword v5, off, s[0:3], 0 offset:204
.LBB42_115:
	s_or_b64 exec, exec, s[4:5]
	s_waitcnt lgkmcnt(0)
	; wave barrier
	buffer_load_dword v4, off, s[0:3], 0 offset:208
	buffer_load_dword v5, off, s[0:3], 0 offset:212
	v_cmp_gt_u32_e32 vcc, 26, v0
	s_waitcnt vmcnt(0)
	ds_write_b64 v1, v[4:5]
	s_waitcnt lgkmcnt(0)
	; wave barrier
	s_waitcnt lgkmcnt(0)
	s_and_saveexec_b64 s[4:5], vcc
	s_cbranch_execz .LBB42_119
; %bb.116:
	v_add_u32_e32 v4, -1, v0
	v_add_u32_e32 v5, 0x160, v6
	v_add_u32_e32 v7, 0, v6
	s_mov_b64 s[6:7], 0
	v_mov_b32_e32 v3, 0
	v_mov_b32_e32 v8, 0
.LBB42_117:                             ; =>This Inner Loop Header: Depth=1
	buffer_load_dword v9, v7, s[0:3], 0 offen offset:4
	buffer_load_dword v12, v7, s[0:3], 0 offen
	ds_read_b64 v[10:11], v5
	v_add_u32_e32 v4, 1, v4
	v_cmp_lt_u32_e32 vcc, 24, v4
	v_add_u32_e32 v5, 8, v5
	v_add_u32_e32 v7, 8, v7
	s_or_b64 s[6:7], vcc, s[6:7]
	s_waitcnt vmcnt(1) lgkmcnt(0)
	v_mul_f32_e32 v13, v11, v9
	v_mul_f32_e32 v9, v10, v9
	s_waitcnt vmcnt(0)
	v_fma_f32 v10, v10, v12, -v13
	v_fmac_f32_e32 v9, v11, v12
	v_add_f32_e32 v8, v8, v10
	v_add_f32_e32 v3, v3, v9
	s_andn2_b64 exec, exec, s[6:7]
	s_cbranch_execnz .LBB42_117
; %bb.118:
	s_or_b64 exec, exec, s[6:7]
	v_mov_b32_e32 v4, 0
	ds_read_b64 v[4:5], v4 offset:208
	s_waitcnt lgkmcnt(0)
	v_mul_f32_e32 v7, v3, v5
	v_mul_f32_e32 v5, v8, v5
	v_fma_f32 v7, v8, v4, -v7
	v_fmac_f32_e32 v5, v3, v4
	buffer_store_dword v7, off, s[0:3], 0 offset:208
	buffer_store_dword v5, off, s[0:3], 0 offset:212
.LBB42_119:
	s_or_b64 exec, exec, s[4:5]
	s_waitcnt lgkmcnt(0)
	; wave barrier
	buffer_load_dword v4, off, s[0:3], 0 offset:216
	buffer_load_dword v5, off, s[0:3], 0 offset:220
	v_cmp_gt_u32_e32 vcc, 27, v0
	s_waitcnt vmcnt(0)
	ds_write_b64 v1, v[4:5]
	s_waitcnt lgkmcnt(0)
	; wave barrier
	s_waitcnt lgkmcnt(0)
	s_and_saveexec_b64 s[4:5], vcc
	s_cbranch_execz .LBB42_123
; %bb.120:
	v_add_u32_e32 v4, -1, v0
	v_add_u32_e32 v5, 0x160, v6
	v_add_u32_e32 v7, 0, v6
	s_mov_b64 s[6:7], 0
	v_mov_b32_e32 v3, 0
	v_mov_b32_e32 v8, 0
.LBB42_121:                             ; =>This Inner Loop Header: Depth=1
	buffer_load_dword v9, v7, s[0:3], 0 offen offset:4
	buffer_load_dword v12, v7, s[0:3], 0 offen
	ds_read_b64 v[10:11], v5
	v_add_u32_e32 v4, 1, v4
	v_cmp_lt_u32_e32 vcc, 25, v4
	v_add_u32_e32 v5, 8, v5
	v_add_u32_e32 v7, 8, v7
	s_or_b64 s[6:7], vcc, s[6:7]
	s_waitcnt vmcnt(1) lgkmcnt(0)
	v_mul_f32_e32 v13, v11, v9
	v_mul_f32_e32 v9, v10, v9
	s_waitcnt vmcnt(0)
	v_fma_f32 v10, v10, v12, -v13
	v_fmac_f32_e32 v9, v11, v12
	v_add_f32_e32 v8, v8, v10
	v_add_f32_e32 v3, v3, v9
	s_andn2_b64 exec, exec, s[6:7]
	s_cbranch_execnz .LBB42_121
; %bb.122:
	s_or_b64 exec, exec, s[6:7]
	v_mov_b32_e32 v4, 0
	ds_read_b64 v[4:5], v4 offset:216
	s_waitcnt lgkmcnt(0)
	v_mul_f32_e32 v7, v3, v5
	v_mul_f32_e32 v5, v8, v5
	v_fma_f32 v7, v8, v4, -v7
	v_fmac_f32_e32 v5, v3, v4
	buffer_store_dword v7, off, s[0:3], 0 offset:216
	buffer_store_dword v5, off, s[0:3], 0 offset:220
.LBB42_123:
	s_or_b64 exec, exec, s[4:5]
	s_waitcnt lgkmcnt(0)
	; wave barrier
	buffer_load_dword v4, off, s[0:3], 0 offset:224
	buffer_load_dword v5, off, s[0:3], 0 offset:228
	v_cmp_gt_u32_e32 vcc, 28, v0
	s_waitcnt vmcnt(0)
	ds_write_b64 v1, v[4:5]
	s_waitcnt lgkmcnt(0)
	; wave barrier
	s_waitcnt lgkmcnt(0)
	s_and_saveexec_b64 s[4:5], vcc
	s_cbranch_execz .LBB42_127
; %bb.124:
	v_add_u32_e32 v4, -1, v0
	v_add_u32_e32 v5, 0x160, v6
	v_add_u32_e32 v7, 0, v6
	s_mov_b64 s[6:7], 0
	v_mov_b32_e32 v3, 0
	v_mov_b32_e32 v8, 0
.LBB42_125:                             ; =>This Inner Loop Header: Depth=1
	buffer_load_dword v9, v7, s[0:3], 0 offen offset:4
	buffer_load_dword v12, v7, s[0:3], 0 offen
	ds_read_b64 v[10:11], v5
	v_add_u32_e32 v4, 1, v4
	v_cmp_lt_u32_e32 vcc, 26, v4
	v_add_u32_e32 v5, 8, v5
	v_add_u32_e32 v7, 8, v7
	s_or_b64 s[6:7], vcc, s[6:7]
	s_waitcnt vmcnt(1) lgkmcnt(0)
	v_mul_f32_e32 v13, v11, v9
	v_mul_f32_e32 v9, v10, v9
	s_waitcnt vmcnt(0)
	v_fma_f32 v10, v10, v12, -v13
	v_fmac_f32_e32 v9, v11, v12
	v_add_f32_e32 v8, v8, v10
	v_add_f32_e32 v3, v3, v9
	s_andn2_b64 exec, exec, s[6:7]
	s_cbranch_execnz .LBB42_125
; %bb.126:
	s_or_b64 exec, exec, s[6:7]
	v_mov_b32_e32 v4, 0
	ds_read_b64 v[4:5], v4 offset:224
	s_waitcnt lgkmcnt(0)
	v_mul_f32_e32 v7, v3, v5
	v_mul_f32_e32 v5, v8, v5
	v_fma_f32 v7, v8, v4, -v7
	v_fmac_f32_e32 v5, v3, v4
	buffer_store_dword v7, off, s[0:3], 0 offset:224
	buffer_store_dword v5, off, s[0:3], 0 offset:228
.LBB42_127:
	s_or_b64 exec, exec, s[4:5]
	s_waitcnt lgkmcnt(0)
	; wave barrier
	buffer_load_dword v4, off, s[0:3], 0 offset:232
	buffer_load_dword v5, off, s[0:3], 0 offset:236
	v_cmp_gt_u32_e32 vcc, 29, v0
	s_waitcnt vmcnt(0)
	ds_write_b64 v1, v[4:5]
	s_waitcnt lgkmcnt(0)
	; wave barrier
	s_waitcnt lgkmcnt(0)
	s_and_saveexec_b64 s[4:5], vcc
	s_cbranch_execz .LBB42_131
; %bb.128:
	v_add_u32_e32 v4, -1, v0
	v_add_u32_e32 v5, 0x160, v6
	v_add_u32_e32 v7, 0, v6
	s_mov_b64 s[6:7], 0
	v_mov_b32_e32 v3, 0
	v_mov_b32_e32 v8, 0
.LBB42_129:                             ; =>This Inner Loop Header: Depth=1
	buffer_load_dword v9, v7, s[0:3], 0 offen offset:4
	buffer_load_dword v12, v7, s[0:3], 0 offen
	ds_read_b64 v[10:11], v5
	v_add_u32_e32 v4, 1, v4
	v_cmp_lt_u32_e32 vcc, 27, v4
	v_add_u32_e32 v5, 8, v5
	v_add_u32_e32 v7, 8, v7
	s_or_b64 s[6:7], vcc, s[6:7]
	s_waitcnt vmcnt(1) lgkmcnt(0)
	v_mul_f32_e32 v13, v11, v9
	v_mul_f32_e32 v9, v10, v9
	s_waitcnt vmcnt(0)
	v_fma_f32 v10, v10, v12, -v13
	v_fmac_f32_e32 v9, v11, v12
	v_add_f32_e32 v8, v8, v10
	v_add_f32_e32 v3, v3, v9
	s_andn2_b64 exec, exec, s[6:7]
	s_cbranch_execnz .LBB42_129
; %bb.130:
	s_or_b64 exec, exec, s[6:7]
	v_mov_b32_e32 v4, 0
	ds_read_b64 v[4:5], v4 offset:232
	s_waitcnt lgkmcnt(0)
	v_mul_f32_e32 v7, v3, v5
	v_mul_f32_e32 v5, v8, v5
	v_fma_f32 v7, v8, v4, -v7
	v_fmac_f32_e32 v5, v3, v4
	buffer_store_dword v7, off, s[0:3], 0 offset:232
	buffer_store_dword v5, off, s[0:3], 0 offset:236
.LBB42_131:
	s_or_b64 exec, exec, s[4:5]
	s_waitcnt lgkmcnt(0)
	; wave barrier
	buffer_load_dword v4, off, s[0:3], 0 offset:240
	buffer_load_dword v5, off, s[0:3], 0 offset:244
	v_cmp_gt_u32_e32 vcc, 30, v0
	s_waitcnt vmcnt(0)
	ds_write_b64 v1, v[4:5]
	s_waitcnt lgkmcnt(0)
	; wave barrier
	s_waitcnt lgkmcnt(0)
	s_and_saveexec_b64 s[4:5], vcc
	s_cbranch_execz .LBB42_135
; %bb.132:
	v_add_u32_e32 v4, -1, v0
	v_add_u32_e32 v5, 0x160, v6
	v_add_u32_e32 v7, 0, v6
	s_mov_b64 s[6:7], 0
	v_mov_b32_e32 v3, 0
	v_mov_b32_e32 v8, 0
.LBB42_133:                             ; =>This Inner Loop Header: Depth=1
	buffer_load_dword v9, v7, s[0:3], 0 offen offset:4
	buffer_load_dword v12, v7, s[0:3], 0 offen
	ds_read_b64 v[10:11], v5
	v_add_u32_e32 v4, 1, v4
	v_cmp_lt_u32_e32 vcc, 28, v4
	v_add_u32_e32 v5, 8, v5
	v_add_u32_e32 v7, 8, v7
	s_or_b64 s[6:7], vcc, s[6:7]
	s_waitcnt vmcnt(1) lgkmcnt(0)
	v_mul_f32_e32 v13, v11, v9
	v_mul_f32_e32 v9, v10, v9
	s_waitcnt vmcnt(0)
	v_fma_f32 v10, v10, v12, -v13
	v_fmac_f32_e32 v9, v11, v12
	v_add_f32_e32 v8, v8, v10
	v_add_f32_e32 v3, v3, v9
	s_andn2_b64 exec, exec, s[6:7]
	s_cbranch_execnz .LBB42_133
; %bb.134:
	s_or_b64 exec, exec, s[6:7]
	v_mov_b32_e32 v4, 0
	ds_read_b64 v[4:5], v4 offset:240
	s_waitcnt lgkmcnt(0)
	v_mul_f32_e32 v7, v3, v5
	v_mul_f32_e32 v5, v8, v5
	v_fma_f32 v7, v8, v4, -v7
	v_fmac_f32_e32 v5, v3, v4
	buffer_store_dword v7, off, s[0:3], 0 offset:240
	buffer_store_dword v5, off, s[0:3], 0 offset:244
.LBB42_135:
	s_or_b64 exec, exec, s[4:5]
	s_waitcnt lgkmcnt(0)
	; wave barrier
	buffer_load_dword v4, off, s[0:3], 0 offset:248
	buffer_load_dword v5, off, s[0:3], 0 offset:252
	v_cmp_gt_u32_e32 vcc, 31, v0
	s_waitcnt vmcnt(0)
	ds_write_b64 v1, v[4:5]
	s_waitcnt lgkmcnt(0)
	; wave barrier
	s_waitcnt lgkmcnt(0)
	s_and_saveexec_b64 s[4:5], vcc
	s_cbranch_execz .LBB42_139
; %bb.136:
	v_add_u32_e32 v4, -1, v0
	v_add_u32_e32 v5, 0x160, v6
	v_add_u32_e32 v7, 0, v6
	s_mov_b64 s[6:7], 0
	v_mov_b32_e32 v3, 0
	v_mov_b32_e32 v8, 0
.LBB42_137:                             ; =>This Inner Loop Header: Depth=1
	buffer_load_dword v9, v7, s[0:3], 0 offen offset:4
	buffer_load_dword v12, v7, s[0:3], 0 offen
	ds_read_b64 v[10:11], v5
	v_add_u32_e32 v4, 1, v4
	v_cmp_lt_u32_e32 vcc, 29, v4
	v_add_u32_e32 v5, 8, v5
	v_add_u32_e32 v7, 8, v7
	s_or_b64 s[6:7], vcc, s[6:7]
	s_waitcnt vmcnt(1) lgkmcnt(0)
	v_mul_f32_e32 v13, v11, v9
	v_mul_f32_e32 v9, v10, v9
	s_waitcnt vmcnt(0)
	v_fma_f32 v10, v10, v12, -v13
	v_fmac_f32_e32 v9, v11, v12
	v_add_f32_e32 v8, v8, v10
	v_add_f32_e32 v3, v3, v9
	s_andn2_b64 exec, exec, s[6:7]
	s_cbranch_execnz .LBB42_137
; %bb.138:
	s_or_b64 exec, exec, s[6:7]
	v_mov_b32_e32 v4, 0
	ds_read_b64 v[4:5], v4 offset:248
	s_waitcnt lgkmcnt(0)
	v_mul_f32_e32 v7, v3, v5
	v_mul_f32_e32 v5, v8, v5
	v_fma_f32 v7, v8, v4, -v7
	v_fmac_f32_e32 v5, v3, v4
	buffer_store_dword v7, off, s[0:3], 0 offset:248
	buffer_store_dword v5, off, s[0:3], 0 offset:252
.LBB42_139:
	s_or_b64 exec, exec, s[4:5]
	s_waitcnt lgkmcnt(0)
	; wave barrier
	buffer_load_dword v4, off, s[0:3], 0 offset:256
	buffer_load_dword v5, off, s[0:3], 0 offset:260
	v_cmp_gt_u32_e32 vcc, 32, v0
	s_waitcnt vmcnt(0)
	ds_write_b64 v1, v[4:5]
	s_waitcnt lgkmcnt(0)
	; wave barrier
	s_waitcnt lgkmcnt(0)
	s_and_saveexec_b64 s[4:5], vcc
	s_cbranch_execz .LBB42_143
; %bb.140:
	v_add_u32_e32 v4, -1, v0
	v_add_u32_e32 v5, 0x160, v6
	v_add_u32_e32 v7, 0, v6
	s_mov_b64 s[6:7], 0
	v_mov_b32_e32 v3, 0
	v_mov_b32_e32 v8, 0
.LBB42_141:                             ; =>This Inner Loop Header: Depth=1
	buffer_load_dword v9, v7, s[0:3], 0 offen offset:4
	buffer_load_dword v12, v7, s[0:3], 0 offen
	ds_read_b64 v[10:11], v5
	v_add_u32_e32 v4, 1, v4
	v_cmp_lt_u32_e32 vcc, 30, v4
	v_add_u32_e32 v5, 8, v5
	v_add_u32_e32 v7, 8, v7
	s_or_b64 s[6:7], vcc, s[6:7]
	s_waitcnt vmcnt(1) lgkmcnt(0)
	v_mul_f32_e32 v13, v11, v9
	v_mul_f32_e32 v9, v10, v9
	s_waitcnt vmcnt(0)
	v_fma_f32 v10, v10, v12, -v13
	v_fmac_f32_e32 v9, v11, v12
	v_add_f32_e32 v8, v8, v10
	v_add_f32_e32 v3, v3, v9
	s_andn2_b64 exec, exec, s[6:7]
	s_cbranch_execnz .LBB42_141
; %bb.142:
	s_or_b64 exec, exec, s[6:7]
	v_mov_b32_e32 v4, 0
	ds_read_b64 v[4:5], v4 offset:256
	s_waitcnt lgkmcnt(0)
	v_mul_f32_e32 v7, v3, v5
	v_mul_f32_e32 v5, v8, v5
	v_fma_f32 v7, v8, v4, -v7
	v_fmac_f32_e32 v5, v3, v4
	buffer_store_dword v7, off, s[0:3], 0 offset:256
	buffer_store_dword v5, off, s[0:3], 0 offset:260
.LBB42_143:
	s_or_b64 exec, exec, s[4:5]
	s_waitcnt lgkmcnt(0)
	; wave barrier
	buffer_load_dword v4, off, s[0:3], 0 offset:264
	buffer_load_dword v5, off, s[0:3], 0 offset:268
	v_cmp_gt_u32_e32 vcc, 33, v0
	s_waitcnt vmcnt(0)
	ds_write_b64 v1, v[4:5]
	s_waitcnt lgkmcnt(0)
	; wave barrier
	s_waitcnt lgkmcnt(0)
	s_and_saveexec_b64 s[4:5], vcc
	s_cbranch_execz .LBB42_147
; %bb.144:
	v_add_u32_e32 v4, -1, v0
	v_add_u32_e32 v5, 0x160, v6
	v_add_u32_e32 v7, 0, v6
	s_mov_b64 s[6:7], 0
	v_mov_b32_e32 v3, 0
	v_mov_b32_e32 v8, 0
.LBB42_145:                             ; =>This Inner Loop Header: Depth=1
	buffer_load_dword v9, v7, s[0:3], 0 offen offset:4
	buffer_load_dword v12, v7, s[0:3], 0 offen
	ds_read_b64 v[10:11], v5
	v_add_u32_e32 v4, 1, v4
	v_cmp_lt_u32_e32 vcc, 31, v4
	v_add_u32_e32 v5, 8, v5
	v_add_u32_e32 v7, 8, v7
	s_or_b64 s[6:7], vcc, s[6:7]
	s_waitcnt vmcnt(1) lgkmcnt(0)
	v_mul_f32_e32 v13, v11, v9
	v_mul_f32_e32 v9, v10, v9
	s_waitcnt vmcnt(0)
	v_fma_f32 v10, v10, v12, -v13
	v_fmac_f32_e32 v9, v11, v12
	v_add_f32_e32 v8, v8, v10
	v_add_f32_e32 v3, v3, v9
	s_andn2_b64 exec, exec, s[6:7]
	s_cbranch_execnz .LBB42_145
; %bb.146:
	s_or_b64 exec, exec, s[6:7]
	v_mov_b32_e32 v4, 0
	ds_read_b64 v[4:5], v4 offset:264
	s_waitcnt lgkmcnt(0)
	v_mul_f32_e32 v7, v3, v5
	v_mul_f32_e32 v5, v8, v5
	v_fma_f32 v7, v8, v4, -v7
	v_fmac_f32_e32 v5, v3, v4
	buffer_store_dword v7, off, s[0:3], 0 offset:264
	buffer_store_dword v5, off, s[0:3], 0 offset:268
.LBB42_147:
	s_or_b64 exec, exec, s[4:5]
	s_waitcnt lgkmcnt(0)
	; wave barrier
	buffer_load_dword v4, off, s[0:3], 0 offset:272
	buffer_load_dword v5, off, s[0:3], 0 offset:276
	v_cmp_gt_u32_e32 vcc, 34, v0
	s_waitcnt vmcnt(0)
	ds_write_b64 v1, v[4:5]
	s_waitcnt lgkmcnt(0)
	; wave barrier
	s_waitcnt lgkmcnt(0)
	s_and_saveexec_b64 s[4:5], vcc
	s_cbranch_execz .LBB42_151
; %bb.148:
	v_add_u32_e32 v4, -1, v0
	v_add_u32_e32 v5, 0x160, v6
	v_add_u32_e32 v7, 0, v6
	s_mov_b64 s[6:7], 0
	v_mov_b32_e32 v3, 0
	v_mov_b32_e32 v8, 0
.LBB42_149:                             ; =>This Inner Loop Header: Depth=1
	buffer_load_dword v9, v7, s[0:3], 0 offen offset:4
	buffer_load_dword v12, v7, s[0:3], 0 offen
	ds_read_b64 v[10:11], v5
	v_add_u32_e32 v4, 1, v4
	v_cmp_lt_u32_e32 vcc, 32, v4
	v_add_u32_e32 v5, 8, v5
	v_add_u32_e32 v7, 8, v7
	s_or_b64 s[6:7], vcc, s[6:7]
	s_waitcnt vmcnt(1) lgkmcnt(0)
	v_mul_f32_e32 v13, v11, v9
	v_mul_f32_e32 v9, v10, v9
	s_waitcnt vmcnt(0)
	v_fma_f32 v10, v10, v12, -v13
	v_fmac_f32_e32 v9, v11, v12
	v_add_f32_e32 v8, v8, v10
	v_add_f32_e32 v3, v3, v9
	s_andn2_b64 exec, exec, s[6:7]
	s_cbranch_execnz .LBB42_149
; %bb.150:
	s_or_b64 exec, exec, s[6:7]
	v_mov_b32_e32 v4, 0
	ds_read_b64 v[4:5], v4 offset:272
	s_waitcnt lgkmcnt(0)
	v_mul_f32_e32 v7, v3, v5
	v_mul_f32_e32 v5, v8, v5
	v_fma_f32 v7, v8, v4, -v7
	v_fmac_f32_e32 v5, v3, v4
	buffer_store_dword v7, off, s[0:3], 0 offset:272
	buffer_store_dword v5, off, s[0:3], 0 offset:276
.LBB42_151:
	s_or_b64 exec, exec, s[4:5]
	s_waitcnt lgkmcnt(0)
	; wave barrier
	buffer_load_dword v4, off, s[0:3], 0 offset:280
	buffer_load_dword v5, off, s[0:3], 0 offset:284
	v_cmp_gt_u32_e32 vcc, 35, v0
	s_waitcnt vmcnt(0)
	ds_write_b64 v1, v[4:5]
	s_waitcnt lgkmcnt(0)
	; wave barrier
	s_waitcnt lgkmcnt(0)
	s_and_saveexec_b64 s[4:5], vcc
	s_cbranch_execz .LBB42_155
; %bb.152:
	v_add_u32_e32 v4, -1, v0
	v_add_u32_e32 v5, 0x160, v6
	v_add_u32_e32 v7, 0, v6
	s_mov_b64 s[6:7], 0
	v_mov_b32_e32 v3, 0
	v_mov_b32_e32 v8, 0
.LBB42_153:                             ; =>This Inner Loop Header: Depth=1
	buffer_load_dword v9, v7, s[0:3], 0 offen offset:4
	buffer_load_dword v12, v7, s[0:3], 0 offen
	ds_read_b64 v[10:11], v5
	v_add_u32_e32 v4, 1, v4
	v_cmp_lt_u32_e32 vcc, 33, v4
	v_add_u32_e32 v5, 8, v5
	v_add_u32_e32 v7, 8, v7
	s_or_b64 s[6:7], vcc, s[6:7]
	s_waitcnt vmcnt(1) lgkmcnt(0)
	v_mul_f32_e32 v13, v11, v9
	v_mul_f32_e32 v9, v10, v9
	s_waitcnt vmcnt(0)
	v_fma_f32 v10, v10, v12, -v13
	v_fmac_f32_e32 v9, v11, v12
	v_add_f32_e32 v8, v8, v10
	v_add_f32_e32 v3, v3, v9
	s_andn2_b64 exec, exec, s[6:7]
	s_cbranch_execnz .LBB42_153
; %bb.154:
	s_or_b64 exec, exec, s[6:7]
	v_mov_b32_e32 v4, 0
	ds_read_b64 v[4:5], v4 offset:280
	s_waitcnt lgkmcnt(0)
	v_mul_f32_e32 v7, v3, v5
	v_mul_f32_e32 v5, v8, v5
	v_fma_f32 v7, v8, v4, -v7
	v_fmac_f32_e32 v5, v3, v4
	buffer_store_dword v7, off, s[0:3], 0 offset:280
	buffer_store_dword v5, off, s[0:3], 0 offset:284
.LBB42_155:
	s_or_b64 exec, exec, s[4:5]
	s_waitcnt lgkmcnt(0)
	; wave barrier
	buffer_load_dword v4, off, s[0:3], 0 offset:288
	buffer_load_dword v5, off, s[0:3], 0 offset:292
	v_cmp_gt_u32_e32 vcc, 36, v0
	s_waitcnt vmcnt(0)
	ds_write_b64 v1, v[4:5]
	s_waitcnt lgkmcnt(0)
	; wave barrier
	s_waitcnt lgkmcnt(0)
	s_and_saveexec_b64 s[4:5], vcc
	s_cbranch_execz .LBB42_159
; %bb.156:
	v_add_u32_e32 v4, -1, v0
	v_add_u32_e32 v5, 0x160, v6
	v_add_u32_e32 v7, 0, v6
	s_mov_b64 s[6:7], 0
	v_mov_b32_e32 v3, 0
	v_mov_b32_e32 v8, 0
.LBB42_157:                             ; =>This Inner Loop Header: Depth=1
	buffer_load_dword v9, v7, s[0:3], 0 offen offset:4
	buffer_load_dword v12, v7, s[0:3], 0 offen
	ds_read_b64 v[10:11], v5
	v_add_u32_e32 v4, 1, v4
	v_cmp_lt_u32_e32 vcc, 34, v4
	v_add_u32_e32 v5, 8, v5
	v_add_u32_e32 v7, 8, v7
	s_or_b64 s[6:7], vcc, s[6:7]
	s_waitcnt vmcnt(1) lgkmcnt(0)
	v_mul_f32_e32 v13, v11, v9
	v_mul_f32_e32 v9, v10, v9
	s_waitcnt vmcnt(0)
	v_fma_f32 v10, v10, v12, -v13
	v_fmac_f32_e32 v9, v11, v12
	v_add_f32_e32 v8, v8, v10
	v_add_f32_e32 v3, v3, v9
	s_andn2_b64 exec, exec, s[6:7]
	s_cbranch_execnz .LBB42_157
; %bb.158:
	s_or_b64 exec, exec, s[6:7]
	v_mov_b32_e32 v4, 0
	ds_read_b64 v[4:5], v4 offset:288
	s_waitcnt lgkmcnt(0)
	v_mul_f32_e32 v7, v3, v5
	v_mul_f32_e32 v5, v8, v5
	v_fma_f32 v7, v8, v4, -v7
	v_fmac_f32_e32 v5, v3, v4
	buffer_store_dword v7, off, s[0:3], 0 offset:288
	buffer_store_dword v5, off, s[0:3], 0 offset:292
.LBB42_159:
	s_or_b64 exec, exec, s[4:5]
	s_waitcnt lgkmcnt(0)
	; wave barrier
	buffer_load_dword v4, off, s[0:3], 0 offset:296
	buffer_load_dword v5, off, s[0:3], 0 offset:300
	v_cmp_gt_u32_e32 vcc, 37, v0
	s_waitcnt vmcnt(0)
	ds_write_b64 v1, v[4:5]
	s_waitcnt lgkmcnt(0)
	; wave barrier
	s_waitcnt lgkmcnt(0)
	s_and_saveexec_b64 s[4:5], vcc
	s_cbranch_execz .LBB42_163
; %bb.160:
	v_add_u32_e32 v4, -1, v0
	v_add_u32_e32 v5, 0x160, v6
	v_add_u32_e32 v7, 0, v6
	s_mov_b64 s[6:7], 0
	v_mov_b32_e32 v3, 0
	v_mov_b32_e32 v8, 0
.LBB42_161:                             ; =>This Inner Loop Header: Depth=1
	buffer_load_dword v9, v7, s[0:3], 0 offen offset:4
	buffer_load_dword v12, v7, s[0:3], 0 offen
	ds_read_b64 v[10:11], v5
	v_add_u32_e32 v4, 1, v4
	v_cmp_lt_u32_e32 vcc, 35, v4
	v_add_u32_e32 v5, 8, v5
	v_add_u32_e32 v7, 8, v7
	s_or_b64 s[6:7], vcc, s[6:7]
	s_waitcnt vmcnt(1) lgkmcnt(0)
	v_mul_f32_e32 v13, v11, v9
	v_mul_f32_e32 v9, v10, v9
	s_waitcnt vmcnt(0)
	v_fma_f32 v10, v10, v12, -v13
	v_fmac_f32_e32 v9, v11, v12
	v_add_f32_e32 v8, v8, v10
	v_add_f32_e32 v3, v3, v9
	s_andn2_b64 exec, exec, s[6:7]
	s_cbranch_execnz .LBB42_161
; %bb.162:
	s_or_b64 exec, exec, s[6:7]
	v_mov_b32_e32 v4, 0
	ds_read_b64 v[4:5], v4 offset:296
	s_waitcnt lgkmcnt(0)
	v_mul_f32_e32 v7, v3, v5
	v_mul_f32_e32 v5, v8, v5
	v_fma_f32 v7, v8, v4, -v7
	v_fmac_f32_e32 v5, v3, v4
	buffer_store_dword v7, off, s[0:3], 0 offset:296
	buffer_store_dword v5, off, s[0:3], 0 offset:300
.LBB42_163:
	s_or_b64 exec, exec, s[4:5]
	s_waitcnt lgkmcnt(0)
	; wave barrier
	buffer_load_dword v4, off, s[0:3], 0 offset:304
	buffer_load_dword v5, off, s[0:3], 0 offset:308
	v_cmp_gt_u32_e32 vcc, 38, v0
	s_waitcnt vmcnt(0)
	ds_write_b64 v1, v[4:5]
	s_waitcnt lgkmcnt(0)
	; wave barrier
	s_waitcnt lgkmcnt(0)
	s_and_saveexec_b64 s[4:5], vcc
	s_cbranch_execz .LBB42_167
; %bb.164:
	v_add_u32_e32 v4, -1, v0
	v_add_u32_e32 v5, 0x160, v6
	v_add_u32_e32 v7, 0, v6
	s_mov_b64 s[6:7], 0
	v_mov_b32_e32 v3, 0
	v_mov_b32_e32 v8, 0
.LBB42_165:                             ; =>This Inner Loop Header: Depth=1
	buffer_load_dword v9, v7, s[0:3], 0 offen offset:4
	buffer_load_dword v12, v7, s[0:3], 0 offen
	ds_read_b64 v[10:11], v5
	v_add_u32_e32 v4, 1, v4
	v_cmp_lt_u32_e32 vcc, 36, v4
	v_add_u32_e32 v5, 8, v5
	v_add_u32_e32 v7, 8, v7
	s_or_b64 s[6:7], vcc, s[6:7]
	s_waitcnt vmcnt(1) lgkmcnt(0)
	v_mul_f32_e32 v13, v11, v9
	v_mul_f32_e32 v9, v10, v9
	s_waitcnt vmcnt(0)
	v_fma_f32 v10, v10, v12, -v13
	v_fmac_f32_e32 v9, v11, v12
	v_add_f32_e32 v8, v8, v10
	v_add_f32_e32 v3, v3, v9
	s_andn2_b64 exec, exec, s[6:7]
	s_cbranch_execnz .LBB42_165
; %bb.166:
	s_or_b64 exec, exec, s[6:7]
	v_mov_b32_e32 v4, 0
	ds_read_b64 v[4:5], v4 offset:304
	s_waitcnt lgkmcnt(0)
	v_mul_f32_e32 v7, v3, v5
	v_mul_f32_e32 v5, v8, v5
	v_fma_f32 v7, v8, v4, -v7
	v_fmac_f32_e32 v5, v3, v4
	buffer_store_dword v7, off, s[0:3], 0 offset:304
	buffer_store_dword v5, off, s[0:3], 0 offset:308
.LBB42_167:
	s_or_b64 exec, exec, s[4:5]
	s_waitcnt lgkmcnt(0)
	; wave barrier
	buffer_load_dword v4, off, s[0:3], 0 offset:312
	buffer_load_dword v5, off, s[0:3], 0 offset:316
	v_cmp_gt_u32_e32 vcc, 39, v0
	s_waitcnt vmcnt(0)
	ds_write_b64 v1, v[4:5]
	s_waitcnt lgkmcnt(0)
	; wave barrier
	s_waitcnt lgkmcnt(0)
	s_and_saveexec_b64 s[4:5], vcc
	s_cbranch_execz .LBB42_171
; %bb.168:
	v_add_u32_e32 v4, -1, v0
	v_add_u32_e32 v5, 0x160, v6
	v_add_u32_e32 v7, 0, v6
	s_mov_b64 s[6:7], 0
	v_mov_b32_e32 v3, 0
	v_mov_b32_e32 v8, 0
.LBB42_169:                             ; =>This Inner Loop Header: Depth=1
	buffer_load_dword v9, v7, s[0:3], 0 offen offset:4
	buffer_load_dword v12, v7, s[0:3], 0 offen
	ds_read_b64 v[10:11], v5
	v_add_u32_e32 v4, 1, v4
	v_cmp_lt_u32_e32 vcc, 37, v4
	v_add_u32_e32 v5, 8, v5
	v_add_u32_e32 v7, 8, v7
	s_or_b64 s[6:7], vcc, s[6:7]
	s_waitcnt vmcnt(1) lgkmcnt(0)
	v_mul_f32_e32 v13, v11, v9
	v_mul_f32_e32 v9, v10, v9
	s_waitcnt vmcnt(0)
	v_fma_f32 v10, v10, v12, -v13
	v_fmac_f32_e32 v9, v11, v12
	v_add_f32_e32 v8, v8, v10
	v_add_f32_e32 v3, v3, v9
	s_andn2_b64 exec, exec, s[6:7]
	s_cbranch_execnz .LBB42_169
; %bb.170:
	s_or_b64 exec, exec, s[6:7]
	v_mov_b32_e32 v4, 0
	ds_read_b64 v[4:5], v4 offset:312
	s_waitcnt lgkmcnt(0)
	v_mul_f32_e32 v7, v3, v5
	v_mul_f32_e32 v5, v8, v5
	v_fma_f32 v7, v8, v4, -v7
	v_fmac_f32_e32 v5, v3, v4
	buffer_store_dword v7, off, s[0:3], 0 offset:312
	buffer_store_dword v5, off, s[0:3], 0 offset:316
.LBB42_171:
	s_or_b64 exec, exec, s[4:5]
	s_waitcnt lgkmcnt(0)
	; wave barrier
	buffer_load_dword v4, off, s[0:3], 0 offset:320
	buffer_load_dword v5, off, s[0:3], 0 offset:324
	v_cmp_gt_u32_e32 vcc, 40, v0
	s_waitcnt vmcnt(0)
	ds_write_b64 v1, v[4:5]
	s_waitcnt lgkmcnt(0)
	; wave barrier
	s_waitcnt lgkmcnt(0)
	s_and_saveexec_b64 s[4:5], vcc
	s_cbranch_execz .LBB42_175
; %bb.172:
	v_add_u32_e32 v4, -1, v0
	v_add_u32_e32 v5, 0x160, v6
	v_add_u32_e32 v7, 0, v6
	s_mov_b64 s[6:7], 0
	v_mov_b32_e32 v3, 0
	v_mov_b32_e32 v8, 0
.LBB42_173:                             ; =>This Inner Loop Header: Depth=1
	buffer_load_dword v9, v7, s[0:3], 0 offen offset:4
	buffer_load_dword v12, v7, s[0:3], 0 offen
	ds_read_b64 v[10:11], v5
	v_add_u32_e32 v4, 1, v4
	v_cmp_lt_u32_e32 vcc, 38, v4
	v_add_u32_e32 v5, 8, v5
	v_add_u32_e32 v7, 8, v7
	s_or_b64 s[6:7], vcc, s[6:7]
	s_waitcnt vmcnt(1) lgkmcnt(0)
	v_mul_f32_e32 v13, v11, v9
	v_mul_f32_e32 v9, v10, v9
	s_waitcnt vmcnt(0)
	v_fma_f32 v10, v10, v12, -v13
	v_fmac_f32_e32 v9, v11, v12
	v_add_f32_e32 v8, v8, v10
	v_add_f32_e32 v3, v3, v9
	s_andn2_b64 exec, exec, s[6:7]
	s_cbranch_execnz .LBB42_173
; %bb.174:
	s_or_b64 exec, exec, s[6:7]
	v_mov_b32_e32 v4, 0
	ds_read_b64 v[4:5], v4 offset:320
	s_waitcnt lgkmcnt(0)
	v_mul_f32_e32 v7, v3, v5
	v_mul_f32_e32 v5, v8, v5
	v_fma_f32 v7, v8, v4, -v7
	v_fmac_f32_e32 v5, v3, v4
	buffer_store_dword v7, off, s[0:3], 0 offset:320
	buffer_store_dword v5, off, s[0:3], 0 offset:324
.LBB42_175:
	s_or_b64 exec, exec, s[4:5]
	s_waitcnt lgkmcnt(0)
	; wave barrier
	buffer_load_dword v4, off, s[0:3], 0 offset:328
	buffer_load_dword v5, off, s[0:3], 0 offset:332
	v_cmp_gt_u32_e32 vcc, 41, v0
	s_waitcnt vmcnt(0)
	ds_write_b64 v1, v[4:5]
	s_waitcnt lgkmcnt(0)
	; wave barrier
	s_waitcnt lgkmcnt(0)
	s_and_saveexec_b64 s[4:5], vcc
	s_cbranch_execz .LBB42_179
; %bb.176:
	v_add_u32_e32 v4, -1, v0
	v_add_u32_e32 v5, 0x160, v6
	v_add_u32_e32 v7, 0, v6
	s_mov_b64 s[6:7], 0
	v_mov_b32_e32 v3, 0
	v_mov_b32_e32 v8, 0
.LBB42_177:                             ; =>This Inner Loop Header: Depth=1
	buffer_load_dword v9, v7, s[0:3], 0 offen offset:4
	buffer_load_dword v12, v7, s[0:3], 0 offen
	ds_read_b64 v[10:11], v5
	v_add_u32_e32 v4, 1, v4
	v_cmp_lt_u32_e32 vcc, 39, v4
	v_add_u32_e32 v5, 8, v5
	v_add_u32_e32 v7, 8, v7
	s_or_b64 s[6:7], vcc, s[6:7]
	s_waitcnt vmcnt(1) lgkmcnt(0)
	v_mul_f32_e32 v13, v11, v9
	v_mul_f32_e32 v9, v10, v9
	s_waitcnt vmcnt(0)
	v_fma_f32 v10, v10, v12, -v13
	v_fmac_f32_e32 v9, v11, v12
	v_add_f32_e32 v8, v8, v10
	v_add_f32_e32 v3, v3, v9
	s_andn2_b64 exec, exec, s[6:7]
	s_cbranch_execnz .LBB42_177
; %bb.178:
	s_or_b64 exec, exec, s[6:7]
	v_mov_b32_e32 v4, 0
	ds_read_b64 v[4:5], v4 offset:328
	s_waitcnt lgkmcnt(0)
	v_mul_f32_e32 v7, v3, v5
	v_mul_f32_e32 v5, v8, v5
	v_fma_f32 v7, v8, v4, -v7
	v_fmac_f32_e32 v5, v3, v4
	buffer_store_dword v7, off, s[0:3], 0 offset:328
	buffer_store_dword v5, off, s[0:3], 0 offset:332
.LBB42_179:
	s_or_b64 exec, exec, s[4:5]
	s_waitcnt lgkmcnt(0)
	; wave barrier
	buffer_load_dword v4, off, s[0:3], 0 offset:336
	buffer_load_dword v5, off, s[0:3], 0 offset:340
	v_cmp_ne_u32_e32 vcc, 42, v0
	s_waitcnt vmcnt(0)
	ds_write_b64 v1, v[4:5]
	s_waitcnt lgkmcnt(0)
	; wave barrier
	s_waitcnt lgkmcnt(0)
	s_and_saveexec_b64 s[4:5], vcc
	s_cbranch_execz .LBB42_183
; %bb.180:
	v_add_u32_e32 v3, 0x160, v6
	v_add_u32_e32 v4, 0, v6
	s_mov_b64 s[6:7], 0
	v_mov_b32_e32 v1, 0
	v_mov_b32_e32 v5, 0
.LBB42_181:                             ; =>This Inner Loop Header: Depth=1
	buffer_load_dword v8, v4, s[0:3], 0 offen offset:4
	buffer_load_dword v9, v4, s[0:3], 0 offen
	ds_read_b64 v[6:7], v3
	v_add_u32_e32 v2, 1, v2
	v_cmp_lt_u32_e32 vcc, 40, v2
	v_add_u32_e32 v3, 8, v3
	v_add_u32_e32 v4, 8, v4
	s_or_b64 s[6:7], vcc, s[6:7]
	s_waitcnt vmcnt(1) lgkmcnt(0)
	v_mul_f32_e32 v10, v7, v8
	v_mul_f32_e32 v8, v6, v8
	s_waitcnt vmcnt(0)
	v_fma_f32 v6, v6, v9, -v10
	v_fmac_f32_e32 v8, v7, v9
	v_add_f32_e32 v5, v5, v6
	v_add_f32_e32 v1, v1, v8
	s_andn2_b64 exec, exec, s[6:7]
	s_cbranch_execnz .LBB42_181
; %bb.182:
	s_or_b64 exec, exec, s[6:7]
	v_mov_b32_e32 v2, 0
	ds_read_b64 v[2:3], v2 offset:336
	s_waitcnt lgkmcnt(0)
	v_mul_f32_e32 v4, v1, v3
	v_mul_f32_e32 v3, v5, v3
	v_fma_f32 v4, v5, v2, -v4
	v_fmac_f32_e32 v3, v1, v2
	buffer_store_dword v4, off, s[0:3], 0 offset:336
	buffer_store_dword v3, off, s[0:3], 0 offset:340
.LBB42_183:
	s_or_b64 exec, exec, s[4:5]
	s_mov_b64 s[6:7], -1
	s_waitcnt lgkmcnt(0)
	; wave barrier
.LBB42_184:
	s_and_b64 vcc, exec, s[6:7]
	s_cbranch_vccz .LBB42_186
; %bb.185:
	s_lshl_b64 s[4:5], s[8:9], 2
	s_add_u32 s4, s14, s4
	s_addc_u32 s5, s15, s5
	v_mov_b32_e32 v1, 0
	global_load_dword v1, v1, s[4:5]
	s_waitcnt vmcnt(0)
	v_cmp_ne_u32_e32 vcc, 0, v1
	s_cbranch_vccz .LBB42_187
.LBB42_186:
	s_endpgm
.LBB42_187:
	v_mov_b32_e32 v1, 0x160
	v_lshl_add_u32 v1, v0, 3, v1
	v_cmp_eq_u32_e32 vcc, 42, v0
	s_and_saveexec_b64 s[4:5], vcc
	s_cbranch_execz .LBB42_189
; %bb.188:
	buffer_load_dword v2, off, s[0:3], 0 offset:328
	buffer_load_dword v3, off, s[0:3], 0 offset:332
	v_mov_b32_e32 v4, 0
	buffer_store_dword v4, off, s[0:3], 0 offset:328
	buffer_store_dword v4, off, s[0:3], 0 offset:332
	s_waitcnt vmcnt(2)
	ds_write_b64 v1, v[2:3]
.LBB42_189:
	s_or_b64 exec, exec, s[4:5]
	s_waitcnt lgkmcnt(0)
	; wave barrier
	s_waitcnt lgkmcnt(0)
	buffer_load_dword v5, off, s[0:3], 0 offset:340
	buffer_load_dword v4, off, s[0:3], 0 offset:336
	;; [unrolled: 1-line block ×4, first 2 shown]
	v_mov_b32_e32 v2, 0
	ds_read_b64 v[8:9], v2 offset:688
	v_cmp_lt_u32_e32 vcc, 40, v0
	s_waitcnt vmcnt(3)
	v_mov_b32_e32 v10, v5
	s_waitcnt lgkmcnt(0)
	v_pk_mul_f32 v[10:11], v[8:9], v[10:11] op_sel_hi:[1,0]
	s_waitcnt vmcnt(2)
	v_pk_fma_f32 v[12:13], v[8:9], v[4:5], v[10:11] op_sel:[0,0,1] op_sel_hi:[1,1,0] neg_lo:[0,0,1] neg_hi:[0,0,1]
	v_pk_fma_f32 v[4:5], v[8:9], v[4:5], v[10:11] op_sel:[0,0,1] op_sel_hi:[1,0,0]
	v_mov_b32_e32 v13, v5
	v_pk_add_f32 v[4:5], v[12:13], 0 op_sel_hi:[1,0]
	s_waitcnt vmcnt(0)
	v_pk_add_f32 v[4:5], v[6:7], v[4:5] neg_lo:[0,1] neg_hi:[0,1]
	buffer_store_dword v4, off, s[0:3], 0 offset:328
	buffer_store_dword v5, off, s[0:3], 0 offset:332
	s_and_saveexec_b64 s[4:5], vcc
	s_cbranch_execz .LBB42_191
; %bb.190:
	buffer_load_dword v4, off, s[0:3], 0 offset:320
	buffer_load_dword v5, off, s[0:3], 0 offset:324
	s_waitcnt vmcnt(0)
	ds_write_b64 v1, v[4:5]
	buffer_store_dword v2, off, s[0:3], 0 offset:320
	buffer_store_dword v2, off, s[0:3], 0 offset:324
.LBB42_191:
	s_or_b64 exec, exec, s[4:5]
	s_waitcnt lgkmcnt(0)
	; wave barrier
	s_waitcnt lgkmcnt(0)
	buffer_load_dword v7, off, s[0:3], 0 offset:332
	buffer_load_dword v9, off, s[0:3], 0 offset:340
	;; [unrolled: 1-line block ×6, first 2 shown]
	ds_read2_b64 v[2:5], v2 offset0:85 offset1:86
	v_cmp_lt_u32_e32 vcc, 39, v0
	s_waitcnt vmcnt(5)
	v_mov_b32_e32 v12, v7
	s_waitcnt vmcnt(4)
	v_mov_b32_e32 v14, v9
	s_waitcnt lgkmcnt(0)
	v_pk_mul_f32 v[12:13], v[2:3], v[12:13] op_sel_hi:[1,0]
	v_pk_mul_f32 v[14:15], v[4:5], v[14:15] op_sel_hi:[1,0]
	s_waitcnt vmcnt(3)
	v_pk_fma_f32 v[16:17], v[2:3], v[6:7], v[12:13] op_sel:[0,0,1] op_sel_hi:[1,1,0] neg_lo:[0,0,1] neg_hi:[0,0,1]
	v_pk_fma_f32 v[2:3], v[2:3], v[6:7], v[12:13] op_sel:[0,0,1] op_sel_hi:[1,0,0]
	s_waitcnt vmcnt(2)
	v_pk_fma_f32 v[6:7], v[4:5], v[8:9], v[14:15] op_sel:[0,0,1] op_sel_hi:[1,1,0] neg_lo:[0,0,1] neg_hi:[0,0,1]
	v_pk_fma_f32 v[4:5], v[4:5], v[8:9], v[14:15] op_sel:[0,0,1] op_sel_hi:[1,0,0]
	v_mov_b32_e32 v17, v3
	v_mov_b32_e32 v7, v5
	v_pk_add_f32 v[2:3], v[16:17], 0 op_sel_hi:[1,0]
	v_pk_add_f32 v[2:3], v[2:3], v[6:7]
	s_waitcnt vmcnt(0)
	v_pk_add_f32 v[2:3], v[10:11], v[2:3] neg_lo:[0,1] neg_hi:[0,1]
	buffer_store_dword v2, off, s[0:3], 0 offset:320
	buffer_store_dword v3, off, s[0:3], 0 offset:324
	s_and_saveexec_b64 s[4:5], vcc
	s_cbranch_execz .LBB42_193
; %bb.192:
	buffer_load_dword v2, off, s[0:3], 0 offset:312
	buffer_load_dword v3, off, s[0:3], 0 offset:316
	v_mov_b32_e32 v4, 0
	buffer_store_dword v4, off, s[0:3], 0 offset:312
	buffer_store_dword v4, off, s[0:3], 0 offset:316
	s_waitcnt vmcnt(2)
	ds_write_b64 v1, v[2:3]
.LBB42_193:
	s_or_b64 exec, exec, s[4:5]
	s_waitcnt lgkmcnt(0)
	; wave barrier
	s_waitcnt lgkmcnt(0)
	buffer_load_dword v9, off, s[0:3], 0 offset:324
	buffer_load_dword v11, off, s[0:3], 0 offset:332
	;; [unrolled: 1-line block ×8, first 2 shown]
	v_mov_b32_e32 v2, 0
	ds_read_b128 v[4:7], v2 offset:672
	ds_read_b64 v[16:17], v2 offset:688
	v_cmp_lt_u32_e32 vcc, 38, v0
	s_waitcnt vmcnt(7)
	v_mov_b32_e32 v18, v9
	s_waitcnt vmcnt(6)
	v_mov_b32_e32 v20, v11
	s_waitcnt lgkmcnt(1)
	v_pk_mul_f32 v[18:19], v[4:5], v[18:19] op_sel_hi:[1,0]
	s_waitcnt vmcnt(5)
	v_mov_b32_e32 v22, v13
	v_pk_mul_f32 v[20:21], v[6:7], v[20:21] op_sel_hi:[1,0]
	s_waitcnt vmcnt(4)
	v_pk_fma_f32 v[24:25], v[4:5], v[8:9], v[18:19] op_sel:[0,0,1] op_sel_hi:[1,1,0] neg_lo:[0,0,1] neg_hi:[0,0,1]
	v_pk_fma_f32 v[4:5], v[4:5], v[8:9], v[18:19] op_sel:[0,0,1] op_sel_hi:[1,0,0]
	s_waitcnt lgkmcnt(0)
	v_pk_mul_f32 v[22:23], v[16:17], v[22:23] op_sel_hi:[1,0]
	s_waitcnt vmcnt(3)
	v_pk_fma_f32 v[8:9], v[6:7], v[10:11], v[20:21] op_sel:[0,0,1] op_sel_hi:[1,1,0] neg_lo:[0,0,1] neg_hi:[0,0,1]
	v_pk_fma_f32 v[6:7], v[6:7], v[10:11], v[20:21] op_sel:[0,0,1] op_sel_hi:[1,0,0]
	v_mov_b32_e32 v25, v5
	s_waitcnt vmcnt(2)
	v_pk_fma_f32 v[10:11], v[16:17], v[12:13], v[22:23] op_sel:[0,0,1] op_sel_hi:[1,1,0] neg_lo:[0,0,1] neg_hi:[0,0,1]
	v_pk_fma_f32 v[12:13], v[16:17], v[12:13], v[22:23] op_sel:[0,0,1] op_sel_hi:[1,0,0]
	v_mov_b32_e32 v9, v7
	v_pk_add_f32 v[4:5], v[24:25], 0 op_sel_hi:[1,0]
	v_mov_b32_e32 v11, v13
	v_pk_add_f32 v[4:5], v[4:5], v[8:9]
	v_pk_add_f32 v[4:5], v[4:5], v[10:11]
	s_waitcnt vmcnt(0)
	v_pk_add_f32 v[4:5], v[14:15], v[4:5] neg_lo:[0,1] neg_hi:[0,1]
	buffer_store_dword v4, off, s[0:3], 0 offset:312
	buffer_store_dword v5, off, s[0:3], 0 offset:316
	s_and_saveexec_b64 s[4:5], vcc
	s_cbranch_execz .LBB42_195
; %bb.194:
	buffer_load_dword v4, off, s[0:3], 0 offset:304
	buffer_load_dword v5, off, s[0:3], 0 offset:308
	s_waitcnt vmcnt(0)
	ds_write_b64 v1, v[4:5]
	buffer_store_dword v2, off, s[0:3], 0 offset:304
	buffer_store_dword v2, off, s[0:3], 0 offset:308
.LBB42_195:
	s_or_b64 exec, exec, s[4:5]
	s_waitcnt lgkmcnt(0)
	; wave barrier
	s_waitcnt lgkmcnt(0)
	buffer_load_dword v13, off, s[0:3], 0 offset:316
	buffer_load_dword v15, off, s[0:3], 0 offset:324
	;; [unrolled: 1-line block ×10, first 2 shown]
	ds_read2_b64 v[4:7], v2 offset0:83 offset1:84
	ds_read2_b64 v[8:11], v2 offset0:85 offset1:86
	v_cmp_lt_u32_e32 vcc, 37, v0
	s_waitcnt vmcnt(9)
	v_mov_b32_e32 v2, v13
	s_waitcnt vmcnt(8)
	v_mov_b32_e32 v22, v15
	s_waitcnt lgkmcnt(1)
	v_pk_mul_f32 v[2:3], v[4:5], v[2:3] op_sel_hi:[1,0]
	s_waitcnt vmcnt(7)
	v_mov_b32_e32 v24, v17
	v_pk_mul_f32 v[22:23], v[6:7], v[22:23] op_sel_hi:[1,0]
	s_waitcnt vmcnt(5)
	v_pk_fma_f32 v[28:29], v[4:5], v[12:13], v[2:3] op_sel:[0,0,1] op_sel_hi:[1,1,0] neg_lo:[0,0,1] neg_hi:[0,0,1]
	v_pk_fma_f32 v[2:3], v[4:5], v[12:13], v[2:3] op_sel:[0,0,1] op_sel_hi:[1,0,0]
	v_mov_b32_e32 v26, v19
	s_waitcnt lgkmcnt(0)
	v_pk_mul_f32 v[24:25], v[8:9], v[24:25] op_sel_hi:[1,0]
	s_waitcnt vmcnt(4)
	v_pk_fma_f32 v[4:5], v[6:7], v[14:15], v[22:23] op_sel:[0,0,1] op_sel_hi:[1,1,0] neg_lo:[0,0,1] neg_hi:[0,0,1]
	v_pk_fma_f32 v[6:7], v[6:7], v[14:15], v[22:23] op_sel:[0,0,1] op_sel_hi:[1,0,0]
	v_mov_b32_e32 v29, v3
	v_pk_mul_f32 v[26:27], v[10:11], v[26:27] op_sel_hi:[1,0]
	s_waitcnt vmcnt(3)
	v_pk_fma_f32 v[12:13], v[8:9], v[16:17], v[24:25] op_sel:[0,0,1] op_sel_hi:[1,1,0] neg_lo:[0,0,1] neg_hi:[0,0,1]
	v_pk_fma_f32 v[8:9], v[8:9], v[16:17], v[24:25] op_sel:[0,0,1] op_sel_hi:[1,0,0]
	v_mov_b32_e32 v5, v7
	v_pk_add_f32 v[2:3], v[28:29], 0 op_sel_hi:[1,0]
	s_waitcnt vmcnt(2)
	v_pk_fma_f32 v[14:15], v[10:11], v[18:19], v[26:27] op_sel:[0,0,1] op_sel_hi:[1,1,0] neg_lo:[0,0,1] neg_hi:[0,0,1]
	v_pk_fma_f32 v[10:11], v[10:11], v[18:19], v[26:27] op_sel:[0,0,1] op_sel_hi:[1,0,0]
	v_mov_b32_e32 v13, v9
	v_pk_add_f32 v[2:3], v[2:3], v[4:5]
	v_mov_b32_e32 v15, v11
	v_pk_add_f32 v[2:3], v[2:3], v[12:13]
	v_pk_add_f32 v[2:3], v[2:3], v[14:15]
	s_waitcnt vmcnt(0)
	v_pk_add_f32 v[2:3], v[20:21], v[2:3] neg_lo:[0,1] neg_hi:[0,1]
	buffer_store_dword v2, off, s[0:3], 0 offset:304
	buffer_store_dword v3, off, s[0:3], 0 offset:308
	s_and_saveexec_b64 s[4:5], vcc
	s_cbranch_execz .LBB42_197
; %bb.196:
	buffer_load_dword v2, off, s[0:3], 0 offset:296
	buffer_load_dword v3, off, s[0:3], 0 offset:300
	v_mov_b32_e32 v4, 0
	buffer_store_dword v4, off, s[0:3], 0 offset:296
	buffer_store_dword v4, off, s[0:3], 0 offset:300
	s_waitcnt vmcnt(2)
	ds_write_b64 v1, v[2:3]
.LBB42_197:
	s_or_b64 exec, exec, s[4:5]
	s_waitcnt lgkmcnt(0)
	; wave barrier
	s_waitcnt lgkmcnt(0)
	buffer_load_dword v13, off, s[0:3], 0 offset:308
	buffer_load_dword v15, off, s[0:3], 0 offset:316
	;; [unrolled: 1-line block ×12, first 2 shown]
	v_mov_b32_e32 v2, 0
	ds_read_b128 v[4:7], v2 offset:656
	ds_read_b128 v[8:11], v2 offset:672
	ds_read_b64 v[24:25], v2 offset:688
	v_cmp_lt_u32_e32 vcc, 36, v0
	s_waitcnt vmcnt(11)
	v_mov_b32_e32 v26, v13
	s_waitcnt vmcnt(10)
	v_mov_b32_e32 v28, v15
	s_waitcnt lgkmcnt(2)
	v_pk_mul_f32 v[26:27], v[4:5], v[26:27] op_sel_hi:[1,0]
	s_waitcnt vmcnt(9)
	v_mov_b32_e32 v30, v17
	v_pk_mul_f32 v[28:29], v[6:7], v[28:29] op_sel_hi:[1,0]
	s_waitcnt vmcnt(6)
	v_pk_fma_f32 v[36:37], v[4:5], v[12:13], v[26:27] op_sel:[0,0,1] op_sel_hi:[1,1,0] neg_lo:[0,0,1] neg_hi:[0,0,1]
	v_pk_fma_f32 v[4:5], v[4:5], v[12:13], v[26:27] op_sel:[0,0,1] op_sel_hi:[1,0,0]
	v_mov_b32_e32 v32, v19
	s_waitcnt lgkmcnt(1)
	v_pk_mul_f32 v[30:31], v[8:9], v[30:31] op_sel_hi:[1,0]
	s_waitcnt vmcnt(5)
	v_pk_fma_f32 v[12:13], v[6:7], v[14:15], v[28:29] op_sel:[0,0,1] op_sel_hi:[1,1,0] neg_lo:[0,0,1] neg_hi:[0,0,1]
	v_pk_fma_f32 v[6:7], v[6:7], v[14:15], v[28:29] op_sel:[0,0,1] op_sel_hi:[1,0,0]
	v_mov_b32_e32 v37, v5
	v_mov_b32_e32 v34, v21
	v_pk_mul_f32 v[32:33], v[10:11], v[32:33] op_sel_hi:[1,0]
	s_waitcnt vmcnt(4)
	v_pk_fma_f32 v[14:15], v[8:9], v[16:17], v[30:31] op_sel:[0,0,1] op_sel_hi:[1,1,0] neg_lo:[0,0,1] neg_hi:[0,0,1]
	v_pk_fma_f32 v[8:9], v[8:9], v[16:17], v[30:31] op_sel:[0,0,1] op_sel_hi:[1,0,0]
	v_mov_b32_e32 v13, v7
	v_pk_add_f32 v[4:5], v[36:37], 0 op_sel_hi:[1,0]
	s_waitcnt lgkmcnt(0)
	v_pk_mul_f32 v[34:35], v[24:25], v[34:35] op_sel_hi:[1,0]
	s_waitcnt vmcnt(3)
	v_pk_fma_f32 v[16:17], v[10:11], v[18:19], v[32:33] op_sel:[0,0,1] op_sel_hi:[1,1,0] neg_lo:[0,0,1] neg_hi:[0,0,1]
	v_pk_fma_f32 v[10:11], v[10:11], v[18:19], v[32:33] op_sel:[0,0,1] op_sel_hi:[1,0,0]
	v_mov_b32_e32 v15, v9
	v_pk_add_f32 v[4:5], v[4:5], v[12:13]
	s_waitcnt vmcnt(2)
	v_pk_fma_f32 v[18:19], v[24:25], v[20:21], v[34:35] op_sel:[0,0,1] op_sel_hi:[1,1,0] neg_lo:[0,0,1] neg_hi:[0,0,1]
	v_pk_fma_f32 v[20:21], v[24:25], v[20:21], v[34:35] op_sel:[0,0,1] op_sel_hi:[1,0,0]
	v_mov_b32_e32 v17, v11
	v_pk_add_f32 v[4:5], v[4:5], v[14:15]
	v_mov_b32_e32 v19, v21
	v_pk_add_f32 v[4:5], v[4:5], v[16:17]
	v_pk_add_f32 v[4:5], v[4:5], v[18:19]
	s_waitcnt vmcnt(0)
	v_pk_add_f32 v[4:5], v[22:23], v[4:5] neg_lo:[0,1] neg_hi:[0,1]
	buffer_store_dword v4, off, s[0:3], 0 offset:296
	buffer_store_dword v5, off, s[0:3], 0 offset:300
	s_and_saveexec_b64 s[4:5], vcc
	s_cbranch_execz .LBB42_199
; %bb.198:
	buffer_load_dword v4, off, s[0:3], 0 offset:288
	buffer_load_dword v5, off, s[0:3], 0 offset:292
	s_waitcnt vmcnt(0)
	ds_write_b64 v1, v[4:5]
	buffer_store_dword v2, off, s[0:3], 0 offset:288
	buffer_store_dword v2, off, s[0:3], 0 offset:292
.LBB42_199:
	s_or_b64 exec, exec, s[4:5]
	s_waitcnt lgkmcnt(0)
	; wave barrier
	s_waitcnt lgkmcnt(0)
	buffer_load_dword v17, off, s[0:3], 0 offset:300
	buffer_load_dword v19, off, s[0:3], 0 offset:308
	;; [unrolled: 1-line block ×14, first 2 shown]
	ds_read2_b64 v[4:7], v2 offset0:81 offset1:82
	ds_read2_b64 v[8:11], v2 offset0:83 offset1:84
	;; [unrolled: 1-line block ×3, first 2 shown]
	v_cmp_lt_u32_e32 vcc, 35, v0
	s_waitcnt vmcnt(13)
	v_mov_b32_e32 v2, v17
	s_waitcnt vmcnt(12)
	v_mov_b32_e32 v30, v19
	s_waitcnt lgkmcnt(2)
	v_pk_mul_f32 v[2:3], v[4:5], v[2:3] op_sel_hi:[1,0]
	s_waitcnt vmcnt(11)
	v_mov_b32_e32 v32, v21
	v_pk_mul_f32 v[30:31], v[6:7], v[30:31] op_sel_hi:[1,0]
	s_waitcnt vmcnt(10)
	v_mov_b32_e32 v34, v23
	s_waitcnt vmcnt(7)
	v_pk_fma_f32 v[40:41], v[4:5], v[16:17], v[2:3] op_sel:[0,0,1] op_sel_hi:[1,1,0] neg_lo:[0,0,1] neg_hi:[0,0,1]
	v_pk_fma_f32 v[2:3], v[4:5], v[16:17], v[2:3] op_sel:[0,0,1] op_sel_hi:[1,0,0]
	s_waitcnt lgkmcnt(1)
	v_pk_mul_f32 v[32:33], v[8:9], v[32:33] op_sel_hi:[1,0]
	s_waitcnt vmcnt(6)
	v_pk_fma_f32 v[4:5], v[6:7], v[18:19], v[30:31] op_sel:[0,0,1] op_sel_hi:[1,1,0] neg_lo:[0,0,1] neg_hi:[0,0,1]
	v_pk_fma_f32 v[6:7], v[6:7], v[18:19], v[30:31] op_sel:[0,0,1] op_sel_hi:[1,0,0]
	v_mov_b32_e32 v41, v3
	v_mov_b32_e32 v36, v25
	v_pk_mul_f32 v[34:35], v[10:11], v[34:35] op_sel_hi:[1,0]
	s_waitcnt vmcnt(5)
	v_pk_fma_f32 v[16:17], v[8:9], v[20:21], v[32:33] op_sel:[0,0,1] op_sel_hi:[1,1,0] neg_lo:[0,0,1] neg_hi:[0,0,1]
	v_pk_fma_f32 v[8:9], v[8:9], v[20:21], v[32:33] op_sel:[0,0,1] op_sel_hi:[1,0,0]
	v_mov_b32_e32 v5, v7
	v_pk_add_f32 v[2:3], v[40:41], 0 op_sel_hi:[1,0]
	v_mov_b32_e32 v38, v27
	s_waitcnt lgkmcnt(0)
	v_pk_mul_f32 v[36:37], v[12:13], v[36:37] op_sel_hi:[1,0]
	s_waitcnt vmcnt(4)
	v_pk_fma_f32 v[18:19], v[10:11], v[22:23], v[34:35] op_sel:[0,0,1] op_sel_hi:[1,1,0] neg_lo:[0,0,1] neg_hi:[0,0,1]
	v_pk_fma_f32 v[10:11], v[10:11], v[22:23], v[34:35] op_sel:[0,0,1] op_sel_hi:[1,0,0]
	v_mov_b32_e32 v17, v9
	v_pk_add_f32 v[2:3], v[2:3], v[4:5]
	v_pk_mul_f32 v[38:39], v[14:15], v[38:39] op_sel_hi:[1,0]
	s_waitcnt vmcnt(3)
	v_pk_fma_f32 v[20:21], v[12:13], v[24:25], v[36:37] op_sel:[0,0,1] op_sel_hi:[1,1,0] neg_lo:[0,0,1] neg_hi:[0,0,1]
	v_pk_fma_f32 v[12:13], v[12:13], v[24:25], v[36:37] op_sel:[0,0,1] op_sel_hi:[1,0,0]
	v_mov_b32_e32 v19, v11
	v_pk_add_f32 v[2:3], v[2:3], v[16:17]
	s_waitcnt vmcnt(2)
	v_pk_fma_f32 v[22:23], v[14:15], v[26:27], v[38:39] op_sel:[0,0,1] op_sel_hi:[1,1,0] neg_lo:[0,0,1] neg_hi:[0,0,1]
	v_pk_fma_f32 v[14:15], v[14:15], v[26:27], v[38:39] op_sel:[0,0,1] op_sel_hi:[1,0,0]
	v_mov_b32_e32 v21, v13
	v_pk_add_f32 v[2:3], v[2:3], v[18:19]
	v_mov_b32_e32 v23, v15
	v_pk_add_f32 v[2:3], v[2:3], v[20:21]
	v_pk_add_f32 v[2:3], v[2:3], v[22:23]
	s_waitcnt vmcnt(0)
	v_pk_add_f32 v[2:3], v[28:29], v[2:3] neg_lo:[0,1] neg_hi:[0,1]
	buffer_store_dword v2, off, s[0:3], 0 offset:288
	buffer_store_dword v3, off, s[0:3], 0 offset:292
	s_and_saveexec_b64 s[4:5], vcc
	s_cbranch_execz .LBB42_201
; %bb.200:
	buffer_load_dword v2, off, s[0:3], 0 offset:280
	buffer_load_dword v3, off, s[0:3], 0 offset:284
	v_mov_b32_e32 v4, 0
	buffer_store_dword v4, off, s[0:3], 0 offset:280
	buffer_store_dword v4, off, s[0:3], 0 offset:284
	s_waitcnt vmcnt(2)
	ds_write_b64 v1, v[2:3]
.LBB42_201:
	s_or_b64 exec, exec, s[4:5]
	s_waitcnt lgkmcnt(0)
	; wave barrier
	s_waitcnt lgkmcnt(0)
	buffer_load_dword v16, off, s[0:3], 0 offset:280
	buffer_load_dword v17, off, s[0:3], 0 offset:284
	;; [unrolled: 1-line block ×16, first 2 shown]
	v_mov_b32_e32 v2, 0
	ds_read_b128 v[4:7], v2 offset:640
	ds_read_b128 v[8:11], v2 offset:656
	;; [unrolled: 1-line block ×3, first 2 shown]
	ds_read_b64 v[32:33], v2 offset:688
	v_cmp_lt_u32_e32 vcc, 34, v0
	s_waitcnt vmcnt(12)
	v_mov_b32_e32 v34, v19
	s_waitcnt lgkmcnt(3)
	v_pk_mul_f32 v[34:35], v[4:5], v[34:35] op_sel_hi:[1,0]
	v_pk_fma_f32 v[36:37], v[4:5], v[18:19], v[34:35] op_sel:[0,0,1] op_sel_hi:[1,1,0] neg_lo:[0,0,1] neg_hi:[0,0,1]
	v_pk_fma_f32 v[4:5], v[4:5], v[18:19], v[34:35] op_sel:[0,0,1] op_sel_hi:[1,0,0]
	s_waitcnt vmcnt(10)
	v_mov_b32_e32 v18, v21
	v_pk_mul_f32 v[18:19], v[6:7], v[18:19] op_sel_hi:[1,0]
	v_pk_fma_f32 v[34:35], v[6:7], v[20:21], v[18:19] op_sel:[0,0,1] op_sel_hi:[1,1,0] neg_lo:[0,0,1] neg_hi:[0,0,1]
	v_pk_fma_f32 v[6:7], v[6:7], v[20:21], v[18:19] op_sel:[0,0,1] op_sel_hi:[1,0,0]
	s_waitcnt vmcnt(8)
	v_mov_b32_e32 v6, v23
	v_mov_b32_e32 v35, v7
	s_waitcnt lgkmcnt(2)
	v_pk_mul_f32 v[6:7], v[8:9], v[6:7] op_sel_hi:[1,0]
	v_pk_fma_f32 v[18:19], v[8:9], v[22:23], v[6:7] op_sel:[0,0,1] op_sel_hi:[1,1,0] neg_lo:[0,0,1] neg_hi:[0,0,1]
	v_pk_fma_f32 v[6:7], v[8:9], v[22:23], v[6:7] op_sel:[0,0,1] op_sel_hi:[1,0,0]
	s_waitcnt vmcnt(6)
	v_mov_b32_e32 v6, v25
	v_mov_b32_e32 v37, v5
	;; [unrolled: 1-line block ×3, first 2 shown]
	v_pk_mul_f32 v[6:7], v[10:11], v[6:7] op_sel_hi:[1,0]
	v_pk_add_f32 v[4:5], v[36:37], 0 op_sel_hi:[1,0]
	v_pk_fma_f32 v[8:9], v[10:11], v[24:25], v[6:7] op_sel:[0,0,1] op_sel_hi:[1,1,0] neg_lo:[0,0,1] neg_hi:[0,0,1]
	v_pk_fma_f32 v[6:7], v[10:11], v[24:25], v[6:7] op_sel:[0,0,1] op_sel_hi:[1,0,0]
	v_pk_add_f32 v[4:5], v[4:5], v[34:35]
	s_waitcnt vmcnt(4)
	v_mov_b32_e32 v6, v27
	v_pk_add_f32 v[4:5], v[4:5], v[18:19]
	v_mov_b32_e32 v9, v7
	s_waitcnt lgkmcnt(1)
	v_pk_mul_f32 v[6:7], v[12:13], v[6:7] op_sel_hi:[1,0]
	v_pk_add_f32 v[4:5], v[4:5], v[8:9]
	v_pk_fma_f32 v[8:9], v[12:13], v[26:27], v[6:7] op_sel:[0,0,1] op_sel_hi:[1,1,0] neg_lo:[0,0,1] neg_hi:[0,0,1]
	v_pk_fma_f32 v[6:7], v[12:13], v[26:27], v[6:7] op_sel:[0,0,1] op_sel_hi:[1,0,0]
	s_waitcnt vmcnt(2)
	v_mov_b32_e32 v6, v29
	v_mov_b32_e32 v9, v7
	v_pk_mul_f32 v[6:7], v[14:15], v[6:7] op_sel_hi:[1,0]
	v_pk_add_f32 v[4:5], v[4:5], v[8:9]
	v_pk_fma_f32 v[8:9], v[14:15], v[28:29], v[6:7] op_sel:[0,0,1] op_sel_hi:[1,1,0] neg_lo:[0,0,1] neg_hi:[0,0,1]
	v_pk_fma_f32 v[6:7], v[14:15], v[28:29], v[6:7] op_sel:[0,0,1] op_sel_hi:[1,0,0]
	s_waitcnt vmcnt(0)
	v_mov_b32_e32 v6, v31
	v_mov_b32_e32 v9, v7
	s_waitcnt lgkmcnt(0)
	v_pk_mul_f32 v[6:7], v[32:33], v[6:7] op_sel_hi:[1,0]
	v_pk_add_f32 v[4:5], v[4:5], v[8:9]
	v_pk_fma_f32 v[8:9], v[32:33], v[30:31], v[6:7] op_sel:[0,0,1] op_sel_hi:[1,1,0] neg_lo:[0,0,1] neg_hi:[0,0,1]
	v_pk_fma_f32 v[6:7], v[32:33], v[30:31], v[6:7] op_sel:[0,0,1] op_sel_hi:[1,0,0]
	v_mov_b32_e32 v9, v7
	v_pk_add_f32 v[4:5], v[4:5], v[8:9]
	v_pk_add_f32 v[4:5], v[16:17], v[4:5] neg_lo:[0,1] neg_hi:[0,1]
	buffer_store_dword v4, off, s[0:3], 0 offset:280
	buffer_store_dword v5, off, s[0:3], 0 offset:284
	s_and_saveexec_b64 s[4:5], vcc
	s_cbranch_execz .LBB42_203
; %bb.202:
	buffer_load_dword v4, off, s[0:3], 0 offset:272
	buffer_load_dword v5, off, s[0:3], 0 offset:276
	s_waitcnt vmcnt(0)
	ds_write_b64 v1, v[4:5]
	buffer_store_dword v2, off, s[0:3], 0 offset:272
	buffer_store_dword v2, off, s[0:3], 0 offset:276
.LBB42_203:
	s_or_b64 exec, exec, s[4:5]
	s_waitcnt lgkmcnt(0)
	; wave barrier
	s_waitcnt lgkmcnt(0)
	buffer_load_dword v20, off, s[0:3], 0 offset:272
	buffer_load_dword v21, off, s[0:3], 0 offset:276
	buffer_load_dword v22, off, s[0:3], 0 offset:280
	buffer_load_dword v23, off, s[0:3], 0 offset:284
	buffer_load_dword v24, off, s[0:3], 0 offset:288
	buffer_load_dword v25, off, s[0:3], 0 offset:292
	buffer_load_dword v26, off, s[0:3], 0 offset:296
	buffer_load_dword v27, off, s[0:3], 0 offset:300
	buffer_load_dword v28, off, s[0:3], 0 offset:304
	buffer_load_dword v29, off, s[0:3], 0 offset:308
	buffer_load_dword v30, off, s[0:3], 0 offset:312
	buffer_load_dword v31, off, s[0:3], 0 offset:316
	buffer_load_dword v32, off, s[0:3], 0 offset:320
	buffer_load_dword v33, off, s[0:3], 0 offset:324
	buffer_load_dword v34, off, s[0:3], 0 offset:328
	buffer_load_dword v35, off, s[0:3], 0 offset:332
	ds_read2_b64 v[4:7], v2 offset0:79 offset1:80
	buffer_load_dword v37, off, s[0:3], 0 offset:340
	buffer_load_dword v36, off, s[0:3], 0 offset:336
	ds_read2_b64 v[8:11], v2 offset0:81 offset1:82
	ds_read2_b64 v[12:15], v2 offset0:83 offset1:84
	;; [unrolled: 1-line block ×3, first 2 shown]
	v_cmp_lt_u32_e32 vcc, 33, v0
	s_waitcnt vmcnt(14)
	v_mov_b32_e32 v2, v23
	s_waitcnt lgkmcnt(3)
	v_pk_mul_f32 v[2:3], v[4:5], v[2:3] op_sel_hi:[1,0]
	v_pk_fma_f32 v[38:39], v[4:5], v[22:23], v[2:3] op_sel:[0,0,1] op_sel_hi:[1,1,0] neg_lo:[0,0,1] neg_hi:[0,0,1]
	v_pk_fma_f32 v[2:3], v[4:5], v[22:23], v[2:3] op_sel:[0,0,1] op_sel_hi:[1,0,0]
	s_waitcnt vmcnt(12)
	v_mov_b32_e32 v4, v25
	v_pk_mul_f32 v[4:5], v[6:7], v[4:5] op_sel_hi:[1,0]
	v_pk_fma_f32 v[22:23], v[6:7], v[24:25], v[4:5] op_sel:[0,0,1] op_sel_hi:[1,1,0] neg_lo:[0,0,1] neg_hi:[0,0,1]
	v_pk_fma_f32 v[4:5], v[6:7], v[24:25], v[4:5] op_sel:[0,0,1] op_sel_hi:[1,0,0]
	s_waitcnt vmcnt(10)
	v_mov_b32_e32 v4, v27
	v_mov_b32_e32 v23, v5
	s_waitcnt lgkmcnt(2)
	v_pk_mul_f32 v[4:5], v[8:9], v[4:5] op_sel_hi:[1,0]
	v_mov_b32_e32 v39, v3
	v_pk_fma_f32 v[6:7], v[8:9], v[26:27], v[4:5] op_sel:[0,0,1] op_sel_hi:[1,1,0] neg_lo:[0,0,1] neg_hi:[0,0,1]
	v_pk_fma_f32 v[4:5], v[8:9], v[26:27], v[4:5] op_sel:[0,0,1] op_sel_hi:[1,0,0]
	v_pk_add_f32 v[2:3], v[38:39], 0 op_sel_hi:[1,0]
	s_waitcnt vmcnt(8)
	v_mov_b32_e32 v4, v29
	v_pk_add_f32 v[2:3], v[2:3], v[22:23]
	v_mov_b32_e32 v7, v5
	v_pk_mul_f32 v[4:5], v[10:11], v[4:5] op_sel_hi:[1,0]
	v_pk_add_f32 v[2:3], v[2:3], v[6:7]
	v_pk_fma_f32 v[6:7], v[10:11], v[28:29], v[4:5] op_sel:[0,0,1] op_sel_hi:[1,1,0] neg_lo:[0,0,1] neg_hi:[0,0,1]
	v_pk_fma_f32 v[4:5], v[10:11], v[28:29], v[4:5] op_sel:[0,0,1] op_sel_hi:[1,0,0]
	s_waitcnt vmcnt(6)
	v_mov_b32_e32 v4, v31
	v_mov_b32_e32 v7, v5
	s_waitcnt lgkmcnt(1)
	v_pk_mul_f32 v[4:5], v[12:13], v[4:5] op_sel_hi:[1,0]
	v_pk_add_f32 v[2:3], v[2:3], v[6:7]
	v_pk_fma_f32 v[6:7], v[12:13], v[30:31], v[4:5] op_sel:[0,0,1] op_sel_hi:[1,1,0] neg_lo:[0,0,1] neg_hi:[0,0,1]
	v_pk_fma_f32 v[4:5], v[12:13], v[30:31], v[4:5] op_sel:[0,0,1] op_sel_hi:[1,0,0]
	s_waitcnt vmcnt(4)
	v_mov_b32_e32 v4, v33
	v_mov_b32_e32 v7, v5
	v_pk_mul_f32 v[4:5], v[14:15], v[4:5] op_sel_hi:[1,0]
	v_pk_add_f32 v[2:3], v[2:3], v[6:7]
	v_pk_fma_f32 v[6:7], v[14:15], v[32:33], v[4:5] op_sel:[0,0,1] op_sel_hi:[1,1,0] neg_lo:[0,0,1] neg_hi:[0,0,1]
	v_pk_fma_f32 v[4:5], v[14:15], v[32:33], v[4:5] op_sel:[0,0,1] op_sel_hi:[1,0,0]
	s_waitcnt vmcnt(2)
	v_mov_b32_e32 v4, v35
	v_mov_b32_e32 v7, v5
	s_waitcnt lgkmcnt(0)
	v_pk_mul_f32 v[4:5], v[16:17], v[4:5] op_sel_hi:[1,0]
	v_pk_add_f32 v[2:3], v[2:3], v[6:7]
	v_pk_fma_f32 v[6:7], v[16:17], v[34:35], v[4:5] op_sel:[0,0,1] op_sel_hi:[1,1,0] neg_lo:[0,0,1] neg_hi:[0,0,1]
	v_pk_fma_f32 v[4:5], v[16:17], v[34:35], v[4:5] op_sel:[0,0,1] op_sel_hi:[1,0,0]
	s_waitcnt vmcnt(1)
	v_mov_b32_e32 v4, v37
	v_mov_b32_e32 v7, v5
	v_pk_mul_f32 v[4:5], v[18:19], v[4:5] op_sel_hi:[1,0]
	v_pk_add_f32 v[2:3], v[2:3], v[6:7]
	s_waitcnt vmcnt(0)
	v_pk_fma_f32 v[6:7], v[18:19], v[36:37], v[4:5] op_sel:[0,0,1] op_sel_hi:[1,1,0] neg_lo:[0,0,1] neg_hi:[0,0,1]
	v_pk_fma_f32 v[4:5], v[18:19], v[36:37], v[4:5] op_sel:[0,0,1] op_sel_hi:[1,0,0]
	v_mov_b32_e32 v7, v5
	v_pk_add_f32 v[2:3], v[2:3], v[6:7]
	v_pk_add_f32 v[2:3], v[20:21], v[2:3] neg_lo:[0,1] neg_hi:[0,1]
	buffer_store_dword v2, off, s[0:3], 0 offset:272
	buffer_store_dword v3, off, s[0:3], 0 offset:276
	s_and_saveexec_b64 s[4:5], vcc
	s_cbranch_execz .LBB42_205
; %bb.204:
	buffer_load_dword v2, off, s[0:3], 0 offset:264
	buffer_load_dword v3, off, s[0:3], 0 offset:268
	v_mov_b32_e32 v4, 0
	buffer_store_dword v4, off, s[0:3], 0 offset:264
	buffer_store_dword v4, off, s[0:3], 0 offset:268
	s_waitcnt vmcnt(2)
	ds_write_b64 v1, v[2:3]
.LBB42_205:
	s_or_b64 exec, exec, s[4:5]
	s_waitcnt lgkmcnt(0)
	; wave barrier
	s_waitcnt lgkmcnt(0)
	buffer_load_dword v3, off, s[0:3], 0 offset:276
	buffer_load_dword v21, off, s[0:3], 0 offset:284
	;; [unrolled: 1-line block ×20, first 2 shown]
	v_mov_b32_e32 v2, 0
	ds_read_b128 v[4:7], v2 offset:624
	ds_read_b128 v[8:11], v2 offset:640
	;; [unrolled: 1-line block ×4, first 2 shown]
	ds_read_b64 v[38:39], v2 offset:688
	v_cmp_lt_u32_e32 vcc, 32, v0
	s_waitcnt vmcnt(19) lgkmcnt(4)
	v_mul_f32_e32 v41, v4, v3
	v_mul_f32_e32 v3, v5, v3
	s_waitcnt vmcnt(18)
	v_mov_b32_e32 v42, v21
	s_waitcnt vmcnt(17)
	v_mov_b32_e32 v44, v23
	;; [unrolled: 2-line block ×8, first 2 shown]
	s_waitcnt vmcnt(10)
	v_fmac_f32_e32 v41, v5, v40
	v_fma_f32 v40, v4, v40, -v3
	v_pk_mul_f32 v[4:5], v[6:7], v[42:43] op_sel_hi:[1,0]
	s_waitcnt lgkmcnt(3)
	v_pk_mul_f32 v[42:43], v[8:9], v[44:45] op_sel_hi:[1,0]
	v_pk_mul_f32 v[44:45], v[10:11], v[46:47] op_sel_hi:[1,0]
	s_waitcnt lgkmcnt(2)
	v_pk_mul_f32 v[46:47], v[12:13], v[48:49] op_sel_hi:[1,0]
	;; [unrolled: 3-line block ×4, first 2 shown]
	s_waitcnt vmcnt(9)
	v_pk_fma_f32 v[56:57], v[6:7], v[20:21], v[4:5] op_sel:[0,0,1] op_sel_hi:[1,1,0] neg_lo:[0,0,1] neg_hi:[0,0,1]
	v_pk_fma_f32 v[4:5], v[6:7], v[20:21], v[4:5] op_sel:[0,0,1] op_sel_hi:[1,0,0]
	v_pk_add_f32 v[40:41], v[40:41], 0 op_sel_hi:[1,0]
	s_waitcnt vmcnt(8)
	v_pk_fma_f32 v[6:7], v[8:9], v[22:23], v[42:43] op_sel:[0,0,1] op_sel_hi:[1,1,0] neg_lo:[0,0,1] neg_hi:[0,0,1]
	v_pk_fma_f32 v[8:9], v[8:9], v[22:23], v[42:43] op_sel:[0,0,1] op_sel_hi:[1,0,0]
	v_mov_b32_e32 v57, v5
	s_waitcnt vmcnt(7)
	v_pk_fma_f32 v[20:21], v[10:11], v[24:25], v[44:45] op_sel:[0,0,1] op_sel_hi:[1,1,0] neg_lo:[0,0,1] neg_hi:[0,0,1]
	v_pk_fma_f32 v[10:11], v[10:11], v[24:25], v[44:45] op_sel:[0,0,1] op_sel_hi:[1,0,0]
	v_mov_b32_e32 v7, v9
	v_pk_add_f32 v[4:5], v[40:41], v[56:57]
	s_waitcnt vmcnt(6)
	v_pk_fma_f32 v[22:23], v[12:13], v[26:27], v[46:47] op_sel:[0,0,1] op_sel_hi:[1,1,0] neg_lo:[0,0,1] neg_hi:[0,0,1]
	v_pk_fma_f32 v[12:13], v[12:13], v[26:27], v[46:47] op_sel:[0,0,1] op_sel_hi:[1,0,0]
	v_mov_b32_e32 v21, v11
	v_pk_add_f32 v[4:5], v[4:5], v[6:7]
	;; [unrolled: 5-line block ×5, first 2 shown]
	v_pk_fma_f32 v[30:31], v[38:39], v[34:35], v[54:55] op_sel:[0,0,1] op_sel_hi:[1,1,0] neg_lo:[0,0,1] neg_hi:[0,0,1]
	v_pk_fma_f32 v[32:33], v[38:39], v[34:35], v[54:55] op_sel:[0,0,1] op_sel_hi:[1,0,0]
	v_mov_b32_e32 v29, v19
	v_pk_add_f32 v[4:5], v[4:5], v[26:27]
	v_mov_b32_e32 v31, v33
	v_pk_add_f32 v[4:5], v[4:5], v[28:29]
	v_pk_add_f32 v[4:5], v[4:5], v[30:31]
	s_waitcnt vmcnt(0)
	v_pk_add_f32 v[4:5], v[36:37], v[4:5] neg_lo:[0,1] neg_hi:[0,1]
	buffer_store_dword v4, off, s[0:3], 0 offset:264
	buffer_store_dword v5, off, s[0:3], 0 offset:268
	s_and_saveexec_b64 s[4:5], vcc
	s_cbranch_execz .LBB42_207
; %bb.206:
	buffer_load_dword v4, off, s[0:3], 0 offset:256
	buffer_load_dword v5, off, s[0:3], 0 offset:260
	s_waitcnt vmcnt(0)
	ds_write_b64 v1, v[4:5]
	buffer_store_dword v2, off, s[0:3], 0 offset:256
	buffer_store_dword v2, off, s[0:3], 0 offset:260
.LBB42_207:
	s_or_b64 exec, exec, s[4:5]
	s_waitcnt lgkmcnt(0)
	; wave barrier
	s_waitcnt lgkmcnt(0)
	buffer_load_dword v42, off, s[0:3], 0 offset:268
	buffer_load_dword v44, off, s[0:3], 0 offset:276
	;; [unrolled: 1-line block ×22, first 2 shown]
	ds_read2_b64 v[4:7], v2 offset0:77 offset1:78
	ds_read2_b64 v[8:11], v2 offset0:79 offset1:80
	;; [unrolled: 1-line block ×5, first 2 shown]
	v_cmp_lt_u32_e32 vcc, 31, v0
	s_waitcnt vmcnt(21) lgkmcnt(4)
	v_mul_f32_e32 v3, v4, v42
	s_waitcnt vmcnt(20)
	v_mul_f32_e32 v43, v6, v44
	v_mul_f32_e32 v2, v5, v42
	;; [unrolled: 1-line block ×3, first 2 shown]
	s_waitcnt vmcnt(19)
	v_mov_b32_e32 v44, v25
	s_waitcnt vmcnt(18)
	v_mov_b32_e32 v46, v27
	;; [unrolled: 2-line block ×5, first 2 shown]
	v_mov_b32_e32 v50, v31
	s_waitcnt vmcnt(11)
	v_fmac_f32_e32 v3, v5, v45
	v_fma_f32 v2, v4, v45, -v2
	s_waitcnt lgkmcnt(3)
	v_pk_mul_f32 v[4:5], v[8:9], v[44:45] op_sel_hi:[1,0]
	s_waitcnt vmcnt(10)
	v_fmac_f32_e32 v43, v7, v47
	v_fma_f32 v42, v6, v47, -v42
	v_pk_mul_f32 v[6:7], v[10:11], v[46:47] op_sel_hi:[1,0]
	s_waitcnt lgkmcnt(2)
	v_pk_mul_f32 v[44:45], v[12:13], v[48:49] op_sel_hi:[1,0]
	s_waitcnt lgkmcnt(1)
	;; [unrolled: 2-line block ×3, first 2 shown]
	v_pk_mul_f32 v[52:53], v[20:21], v[56:57] op_sel_hi:[1,0]
	v_pk_add_f32 v[2:3], v[2:3], 0 op_sel_hi:[1,0]
	s_waitcnt vmcnt(9)
	v_pk_fma_f32 v[56:57], v[8:9], v[24:25], v[4:5] op_sel:[0,0,1] op_sel_hi:[1,1,0] neg_lo:[0,0,1] neg_hi:[0,0,1]
	v_pk_fma_f32 v[4:5], v[8:9], v[24:25], v[4:5] op_sel:[0,0,1] op_sel_hi:[1,0,0]
	s_waitcnt vmcnt(8)
	v_pk_fma_f32 v[8:9], v[10:11], v[26:27], v[6:7] op_sel:[0,0,1] op_sel_hi:[1,1,0] neg_lo:[0,0,1] neg_hi:[0,0,1]
	v_pk_fma_f32 v[6:7], v[10:11], v[26:27], v[6:7] op_sel:[0,0,1] op_sel_hi:[1,0,0]
	v_pk_add_f32 v[2:3], v[2:3], v[42:43]
	v_mov_b32_e32 v57, v5
	v_pk_mul_f32 v[46:47], v[14:15], v[50:51] op_sel_hi:[1,0]
	s_waitcnt vmcnt(7)
	v_pk_fma_f32 v[10:11], v[12:13], v[28:29], v[44:45] op_sel:[0,0,1] op_sel_hi:[1,1,0] neg_lo:[0,0,1] neg_hi:[0,0,1]
	v_pk_fma_f32 v[12:13], v[12:13], v[28:29], v[44:45] op_sel:[0,0,1] op_sel_hi:[1,0,0]
	v_mov_b32_e32 v9, v7
	v_pk_add_f32 v[2:3], v[2:3], v[56:57]
	v_mov_b32_e32 v54, v35
	s_waitcnt vmcnt(6)
	v_pk_fma_f32 v[24:25], v[14:15], v[30:31], v[46:47] op_sel:[0,0,1] op_sel_hi:[1,1,0] neg_lo:[0,0,1] neg_hi:[0,0,1]
	v_pk_fma_f32 v[14:15], v[14:15], v[30:31], v[46:47] op_sel:[0,0,1] op_sel_hi:[1,0,0]
	v_mov_b32_e32 v11, v13
	v_pk_add_f32 v[2:3], v[2:3], v[8:9]
	v_pk_mul_f32 v[50:51], v[18:19], v[54:55] op_sel_hi:[1,0]
	s_waitcnt vmcnt(5)
	v_pk_fma_f32 v[26:27], v[16:17], v[32:33], v[48:49] op_sel:[0,0,1] op_sel_hi:[1,1,0] neg_lo:[0,0,1] neg_hi:[0,0,1]
	v_pk_fma_f32 v[16:17], v[16:17], v[32:33], v[48:49] op_sel:[0,0,1] op_sel_hi:[1,0,0]
	v_mov_b32_e32 v25, v15
	v_pk_add_f32 v[2:3], v[2:3], v[10:11]
	v_mov_b32_e32 v58, v39
	s_waitcnt vmcnt(2)
	v_pk_fma_f32 v[28:29], v[18:19], v[34:35], v[50:51] op_sel:[0,0,1] op_sel_hi:[1,1,0] neg_lo:[0,0,1] neg_hi:[0,0,1]
	v_pk_fma_f32 v[18:19], v[18:19], v[34:35], v[50:51] op_sel:[0,0,1] op_sel_hi:[1,0,0]
	v_mov_b32_e32 v27, v17
	v_pk_add_f32 v[2:3], v[2:3], v[24:25]
	v_pk_mul_f32 v[54:55], v[22:23], v[58:59] op_sel_hi:[1,0]
	v_pk_fma_f32 v[30:31], v[20:21], v[36:37], v[52:53] op_sel:[0,0,1] op_sel_hi:[1,1,0] neg_lo:[0,0,1] neg_hi:[0,0,1]
	v_pk_fma_f32 v[20:21], v[20:21], v[36:37], v[52:53] op_sel:[0,0,1] op_sel_hi:[1,0,0]
	v_mov_b32_e32 v29, v19
	v_pk_add_f32 v[2:3], v[2:3], v[26:27]
	v_pk_fma_f32 v[32:33], v[22:23], v[38:39], v[54:55] op_sel:[0,0,1] op_sel_hi:[1,1,0] neg_lo:[0,0,1] neg_hi:[0,0,1]
	v_pk_fma_f32 v[22:23], v[22:23], v[38:39], v[54:55] op_sel:[0,0,1] op_sel_hi:[1,0,0]
	v_mov_b32_e32 v31, v21
	v_pk_add_f32 v[2:3], v[2:3], v[28:29]
	v_mov_b32_e32 v33, v23
	v_pk_add_f32 v[2:3], v[2:3], v[30:31]
	v_pk_add_f32 v[2:3], v[2:3], v[32:33]
	s_waitcnt vmcnt(0)
	v_pk_add_f32 v[2:3], v[40:41], v[2:3] neg_lo:[0,1] neg_hi:[0,1]
	buffer_store_dword v2, off, s[0:3], 0 offset:256
	buffer_store_dword v3, off, s[0:3], 0 offset:260
	s_and_saveexec_b64 s[4:5], vcc
	s_cbranch_execz .LBB42_209
; %bb.208:
	buffer_load_dword v2, off, s[0:3], 0 offset:248
	buffer_load_dword v3, off, s[0:3], 0 offset:252
	v_mov_b32_e32 v4, 0
	buffer_store_dword v4, off, s[0:3], 0 offset:248
	buffer_store_dword v4, off, s[0:3], 0 offset:252
	s_waitcnt vmcnt(2)
	ds_write_b64 v1, v[2:3]
.LBB42_209:
	s_or_b64 exec, exec, s[4:5]
	s_waitcnt lgkmcnt(0)
	; wave barrier
	s_waitcnt lgkmcnt(0)
	buffer_load_dword v3, off, s[0:3], 0 offset:260
	buffer_load_dword v44, off, s[0:3], 0 offset:268
	;; [unrolled: 1-line block ×24, first 2 shown]
	v_mov_b32_e32 v2, 0
	ds_read_b128 v[4:7], v2 offset:608
	ds_read_b128 v[8:11], v2 offset:624
	ds_read_b128 v[12:15], v2 offset:640
	ds_read_b128 v[16:19], v2 offset:656
	ds_read_b128 v[20:23], v2 offset:672
	ds_read_b64 v[42:43], v2 offset:688
	v_cmp_lt_u32_e32 vcc, 30, v0
	s_waitcnt vmcnt(23) lgkmcnt(5)
	v_mul_f32_e32 v57, v4, v3
	v_mul_f32_e32 v3, v5, v3
	s_waitcnt vmcnt(22)
	v_mul_f32_e32 v45, v6, v44
	s_waitcnt vmcnt(21) lgkmcnt(4)
	v_mul_f32_e32 v47, v8, v46
	v_mul_f32_e32 v44, v7, v44
	;; [unrolled: 1-line block ×3, first 2 shown]
	s_waitcnt vmcnt(20)
	v_mov_b32_e32 v48, v25
	s_waitcnt vmcnt(19)
	v_mov_b32_e32 v50, v27
	;; [unrolled: 2-line block ×5, first 2 shown]
	s_waitcnt vmcnt(12)
	v_fmac_f32_e32 v57, v5, v49
	v_fma_f32 v3, v4, v49, -v3
	v_mov_b32_e32 v58, v35
	s_waitcnt vmcnt(11)
	v_fmac_f32_e32 v45, v7, v51
	s_waitcnt vmcnt(10)
	v_fmac_f32_e32 v47, v9, v53
	v_fma_f32 v44, v6, v51, -v44
	v_fma_f32 v46, v8, v53, -v46
	v_pk_mul_f32 v[4:5], v[10:11], v[48:49] op_sel_hi:[1,0]
	s_waitcnt lgkmcnt(3)
	v_pk_mul_f32 v[6:7], v[12:13], v[50:51] op_sel_hi:[1,0]
	v_pk_mul_f32 v[8:9], v[14:15], v[52:53] op_sel_hi:[1,0]
	s_waitcnt lgkmcnt(2)
	v_pk_mul_f32 v[48:49], v[16:17], v[54:55] op_sel_hi:[1,0]
	v_pk_mul_f32 v[50:51], v[18:19], v[56:57] op_sel_hi:[1,0]
	v_add_f32_e32 v57, 0, v57
	v_add_f32_e32 v56, 0, v3
	s_waitcnt lgkmcnt(1)
	v_pk_mul_f32 v[52:53], v[20:21], v[58:59] op_sel_hi:[1,0]
	s_waitcnt vmcnt(9)
	v_pk_fma_f32 v[58:59], v[10:11], v[24:25], v[4:5] op_sel:[0,0,1] op_sel_hi:[1,1,0] neg_lo:[0,0,1] neg_hi:[0,0,1]
	v_pk_fma_f32 v[4:5], v[10:11], v[24:25], v[4:5] op_sel:[0,0,1] op_sel_hi:[1,0,0]
	s_waitcnt vmcnt(8)
	v_pk_fma_f32 v[10:11], v[12:13], v[26:27], v[6:7] op_sel:[0,0,1] op_sel_hi:[1,1,0] neg_lo:[0,0,1] neg_hi:[0,0,1]
	v_pk_fma_f32 v[6:7], v[12:13], v[26:27], v[6:7] op_sel:[0,0,1] op_sel_hi:[1,0,0]
	;; [unrolled: 3-line block ×4, first 2 shown]
	v_pk_add_f32 v[30:31], v[56:57], v[44:45]
	v_mov_b32_e32 v59, v5
	v_pk_add_f32 v[4:5], v[30:31], v[46:47]
	v_mov_b32_e32 v11, v7
	;; [unrolled: 2-line block ×4, first 2 shown]
	s_waitcnt vmcnt(2)
	v_pk_fma_f32 v[24:25], v[18:19], v[32:33], v[50:51] op_sel:[0,0,1] op_sel_hi:[1,1,0] neg_lo:[0,0,1] neg_hi:[0,0,1]
	v_pk_fma_f32 v[18:19], v[18:19], v[32:33], v[50:51] op_sel:[0,0,1] op_sel_hi:[1,0,0]
	v_mov_b32_e32 v15, v17
	v_pk_add_f32 v[4:5], v[4:5], v[12:13]
	v_mov_b32_e32 v62, v39
	v_pk_mul_f32 v[54:55], v[22:23], v[60:61] op_sel_hi:[1,0]
	v_pk_fma_f32 v[26:27], v[20:21], v[34:35], v[52:53] op_sel:[0,0,1] op_sel_hi:[1,1,0] neg_lo:[0,0,1] neg_hi:[0,0,1]
	v_pk_fma_f32 v[20:21], v[20:21], v[34:35], v[52:53] op_sel:[0,0,1] op_sel_hi:[1,0,0]
	v_mov_b32_e32 v25, v19
	v_pk_add_f32 v[4:5], v[4:5], v[14:15]
	v_pk_fma_f32 v[28:29], v[22:23], v[36:37], v[54:55] op_sel:[0,0,1] op_sel_hi:[1,1,0] neg_lo:[0,0,1] neg_hi:[0,0,1]
	v_pk_fma_f32 v[22:23], v[22:23], v[36:37], v[54:55] op_sel:[0,0,1] op_sel_hi:[1,0,0]
	v_mov_b32_e32 v27, v21
	v_pk_add_f32 v[4:5], v[4:5], v[24:25]
	s_waitcnt lgkmcnt(0)
	v_pk_mul_f32 v[6:7], v[42:43], v[62:63] op_sel_hi:[1,0]
	v_mov_b32_e32 v29, v23
	v_pk_add_f32 v[4:5], v[4:5], v[26:27]
	v_pk_fma_f32 v[8:9], v[42:43], v[38:39], v[6:7] op_sel:[0,0,1] op_sel_hi:[1,1,0] neg_lo:[0,0,1] neg_hi:[0,0,1]
	v_pk_fma_f32 v[6:7], v[42:43], v[38:39], v[6:7] op_sel:[0,0,1] op_sel_hi:[1,0,0]
	v_pk_add_f32 v[4:5], v[4:5], v[28:29]
	v_mov_b32_e32 v9, v7
	v_pk_add_f32 v[4:5], v[4:5], v[8:9]
	s_waitcnt vmcnt(0)
	v_pk_add_f32 v[4:5], v[40:41], v[4:5] neg_lo:[0,1] neg_hi:[0,1]
	buffer_store_dword v5, off, s[0:3], 0 offset:252
	buffer_store_dword v4, off, s[0:3], 0 offset:248
	s_and_saveexec_b64 s[4:5], vcc
	s_cbranch_execz .LBB42_211
; %bb.210:
	buffer_load_dword v4, off, s[0:3], 0 offset:240
	buffer_load_dword v5, off, s[0:3], 0 offset:244
	s_waitcnt vmcnt(0)
	ds_write_b64 v1, v[4:5]
	buffer_store_dword v2, off, s[0:3], 0 offset:240
	buffer_store_dword v2, off, s[0:3], 0 offset:244
.LBB42_211:
	s_or_b64 exec, exec, s[4:5]
	s_waitcnt lgkmcnt(0)
	; wave barrier
	s_waitcnt lgkmcnt(0)
	buffer_load_dword v46, off, s[0:3], 0 offset:252
	buffer_load_dword v48, off, s[0:3], 0 offset:260
	;; [unrolled: 1-line block ×26, first 2 shown]
	ds_read2_b64 v[4:7], v2 offset0:75 offset1:76
	ds_read2_b64 v[8:11], v2 offset0:77 offset1:78
	;; [unrolled: 1-line block ×6, first 2 shown]
	v_cmp_lt_u32_e32 vcc, 29, v0
	s_waitcnt vmcnt(25) lgkmcnt(5)
	v_mul_f32_e32 v59, v4, v46
	v_mul_f32_e32 v2, v5, v46
	s_waitcnt vmcnt(24)
	v_mul_f32_e32 v60, v6, v48
	s_waitcnt vmcnt(23) lgkmcnt(4)
	v_mul_f32_e32 v3, v8, v49
	s_waitcnt vmcnt(22)
	v_mul_f32_e32 v47, v10, v50
	v_mul_f32_e32 v46, v7, v48
	;; [unrolled: 1-line block ×4, first 2 shown]
	s_waitcnt vmcnt(21)
	v_mov_b32_e32 v48, v29
	s_waitcnt vmcnt(20)
	v_mov_b32_e32 v50, v31
	;; [unrolled: 2-line block ×3, first 2 shown]
	s_waitcnt vmcnt(15)
	v_fmac_f32_e32 v59, v5, v51
	v_fma_f32 v62, v4, v51, -v2
	v_mov_b32_e32 v52, v33
	s_waitcnt vmcnt(14)
	v_fmac_f32_e32 v60, v7, v53
	s_waitcnt vmcnt(13)
	v_fmac_f32_e32 v3, v9, v55
	;; [unrolled: 2-line block ×3, first 2 shown]
	v_fma_f32 v63, v6, v53, -v46
	v_fma_f32 v2, v8, v55, -v49
	;; [unrolled: 1-line block ×3, first 2 shown]
	s_waitcnt lgkmcnt(3)
	v_pk_mul_f32 v[4:5], v[12:13], v[48:49] op_sel_hi:[1,0]
	v_pk_mul_f32 v[6:7], v[14:15], v[50:51] op_sel_hi:[1,0]
	s_waitcnt lgkmcnt(2)
	v_pk_mul_f32 v[10:11], v[18:19], v[54:55] op_sel_hi:[1,0]
	v_add_f32_e32 v54, 0, v59
	v_add_f32_e32 v55, 0, v62
	v_pk_mul_f32 v[8:9], v[16:17], v[52:53] op_sel_hi:[1,0]
	s_waitcnt vmcnt(11)
	v_pk_fma_f32 v[52:53], v[12:13], v[28:29], v[4:5] op_sel:[0,0,1] op_sel_hi:[1,1,0] neg_lo:[0,0,1] neg_hi:[0,0,1]
	v_pk_fma_f32 v[4:5], v[12:13], v[28:29], v[4:5] op_sel:[0,0,1] op_sel_hi:[1,0,0]
	s_waitcnt vmcnt(10)
	v_pk_fma_f32 v[12:13], v[14:15], v[30:31], v[6:7] op_sel:[0,0,1] op_sel_hi:[1,1,0] neg_lo:[0,0,1] neg_hi:[0,0,1]
	v_pk_fma_f32 v[6:7], v[14:15], v[30:31], v[6:7] op_sel:[0,0,1] op_sel_hi:[1,0,0]
	v_add_f32_e32 v31, v54, v60
	v_add_f32_e32 v30, v55, v63
	v_pk_add_f32 v[2:3], v[30:31], v[2:3]
	v_mov_b32_e32 v53, v5
	v_pk_add_f32 v[2:3], v[2:3], v[46:47]
	v_mov_b32_e32 v56, v37
	s_waitcnt vmcnt(9)
	v_pk_fma_f32 v[14:15], v[16:17], v[32:33], v[8:9] op_sel:[0,0,1] op_sel_hi:[1,1,0] neg_lo:[0,0,1] neg_hi:[0,0,1]
	v_pk_fma_f32 v[8:9], v[16:17], v[32:33], v[8:9] op_sel:[0,0,1] op_sel_hi:[1,0,0]
	v_mov_b32_e32 v13, v7
	v_pk_add_f32 v[2:3], v[2:3], v[52:53]
	v_mov_b32_e32 v58, v39
	s_waitcnt lgkmcnt(1)
	v_pk_mul_f32 v[48:49], v[20:21], v[56:57] op_sel_hi:[1,0]
	s_waitcnt vmcnt(5)
	v_pk_fma_f32 v[16:17], v[18:19], v[34:35], v[10:11] op_sel:[0,0,1] op_sel_hi:[1,1,0] neg_lo:[0,0,1] neg_hi:[0,0,1]
	v_pk_fma_f32 v[10:11], v[18:19], v[34:35], v[10:11] op_sel:[0,0,1] op_sel_hi:[1,0,0]
	v_mov_b32_e32 v15, v9
	v_pk_add_f32 v[2:3], v[2:3], v[12:13]
	s_waitcnt vmcnt(4)
	v_mov_b32_e32 v4, v41
	v_pk_mul_f32 v[50:51], v[22:23], v[58:59] op_sel_hi:[1,0]
	v_pk_fma_f32 v[18:19], v[20:21], v[36:37], v[48:49] op_sel:[0,0,1] op_sel_hi:[1,1,0] neg_lo:[0,0,1] neg_hi:[0,0,1]
	v_pk_fma_f32 v[20:21], v[20:21], v[36:37], v[48:49] op_sel:[0,0,1] op_sel_hi:[1,0,0]
	v_mov_b32_e32 v17, v11
	v_pk_add_f32 v[2:3], v[2:3], v[14:15]
	s_waitcnt lgkmcnt(0)
	v_pk_mul_f32 v[4:5], v[24:25], v[4:5] op_sel_hi:[1,0]
	v_pk_fma_f32 v[28:29], v[22:23], v[38:39], v[50:51] op_sel:[0,0,1] op_sel_hi:[1,1,0] neg_lo:[0,0,1] neg_hi:[0,0,1]
	v_pk_fma_f32 v[22:23], v[22:23], v[38:39], v[50:51] op_sel:[0,0,1] op_sel_hi:[1,0,0]
	v_mov_b32_e32 v19, v21
	v_pk_add_f32 v[2:3], v[2:3], v[16:17]
	v_pk_fma_f32 v[6:7], v[24:25], v[40:41], v[4:5] op_sel:[0,0,1] op_sel_hi:[1,1,0] neg_lo:[0,0,1] neg_hi:[0,0,1]
	v_pk_fma_f32 v[4:5], v[24:25], v[40:41], v[4:5] op_sel:[0,0,1] op_sel_hi:[1,0,0]
	v_mov_b32_e32 v29, v23
	v_pk_add_f32 v[2:3], v[2:3], v[18:19]
	s_waitcnt vmcnt(3)
	v_mov_b32_e32 v4, v43
	v_pk_add_f32 v[2:3], v[2:3], v[28:29]
	v_mov_b32_e32 v7, v5
	v_pk_mul_f32 v[4:5], v[26:27], v[4:5] op_sel_hi:[1,0]
	v_pk_add_f32 v[2:3], v[2:3], v[6:7]
	s_waitcnt vmcnt(2)
	v_pk_fma_f32 v[6:7], v[26:27], v[42:43], v[4:5] op_sel:[0,0,1] op_sel_hi:[1,1,0] neg_lo:[0,0,1] neg_hi:[0,0,1]
	v_pk_fma_f32 v[4:5], v[26:27], v[42:43], v[4:5] op_sel:[0,0,1] op_sel_hi:[1,0,0]
	v_mov_b32_e32 v7, v5
	v_pk_add_f32 v[2:3], v[2:3], v[6:7]
	s_waitcnt vmcnt(0)
	v_pk_add_f32 v[2:3], v[44:45], v[2:3] neg_lo:[0,1] neg_hi:[0,1]
	buffer_store_dword v3, off, s[0:3], 0 offset:244
	buffer_store_dword v2, off, s[0:3], 0 offset:240
	s_and_saveexec_b64 s[4:5], vcc
	s_cbranch_execz .LBB42_213
; %bb.212:
	buffer_load_dword v2, off, s[0:3], 0 offset:232
	buffer_load_dword v3, off, s[0:3], 0 offset:236
	v_mov_b32_e32 v4, 0
	buffer_store_dword v4, off, s[0:3], 0 offset:232
	buffer_store_dword v4, off, s[0:3], 0 offset:236
	s_waitcnt vmcnt(2)
	ds_write_b64 v1, v[2:3]
.LBB42_213:
	s_or_b64 exec, exec, s[4:5]
	s_waitcnt lgkmcnt(0)
	; wave barrier
	s_waitcnt lgkmcnt(0)
	buffer_load_dword v3, off, s[0:3], 0 offset:244
	buffer_load_dword v48, off, s[0:3], 0 offset:252
	;; [unrolled: 1-line block ×28, first 2 shown]
	v_mov_b32_e32 v2, 0
	ds_read_b128 v[4:7], v2 offset:592
	ds_read_b128 v[8:11], v2 offset:608
	;; [unrolled: 1-line block ×6, first 2 shown]
	ds_read_b64 v[46:47], v2 offset:688
	v_cmp_lt_u32_e32 vcc, 28, v0
	s_waitcnt vmcnt(27) lgkmcnt(6)
	v_mul_f32_e32 v63, v4, v3
	v_mul_f32_e32 v3, v5, v3
	s_waitcnt vmcnt(26)
	v_mul_f32_e32 v64, v6, v48
	s_waitcnt vmcnt(24) lgkmcnt(5)
	v_mul_f32_e32 v49, v10, v52
	s_waitcnt vmcnt(23) lgkmcnt(4)
	v_mul_f32_e32 v51, v12, v53
	v_mul_f32_e32 v152, v11, v52
	;; [unrolled: 1-line block ×3, first 2 shown]
	s_waitcnt vmcnt(22)
	v_mov_b32_e32 v52, v29
	v_mul_f32_e32 v65, v8, v50
	v_mul_f32_e32 v48, v7, v48
	v_mul_f32_e32 v50, v9, v50
	s_waitcnt vmcnt(17)
	v_fmac_f32_e32 v63, v5, v55
	v_fma_f32 v3, v4, v55, -v3
	v_pk_mul_f32 v[4:5], v[14:15], v[52:53] op_sel_hi:[1,0]
	s_waitcnt vmcnt(16)
	v_fmac_f32_e32 v64, v7, v57
	s_waitcnt vmcnt(13)
	v_fmac_f32_e32 v51, v13, v62
	v_fma_f32 v55, v6, v57, -v48
	v_fma_f32 v57, v8, v59, -v50
	v_fma_f32 v50, v12, v62, -v53
	v_add_f32_e32 v52, 0, v63
	v_add_f32_e32 v3, 0, v3
	s_waitcnt vmcnt(12)
	v_pk_fma_f32 v[12:13], v[14:15], v[28:29], v[4:5] op_sel:[0,0,1] op_sel_hi:[1,1,0] neg_lo:[0,0,1] neg_hi:[0,0,1]
	v_pk_fma_f32 v[4:5], v[14:15], v[28:29], v[4:5] op_sel:[0,0,1] op_sel_hi:[1,0,0]
	v_fmac_f32_e32 v65, v9, v59
	v_add_f32_e32 v4, v52, v64
	v_add_f32_e32 v3, v3, v55
	v_mov_b32_e32 v54, v31
	v_fmac_f32_e32 v49, v11, v61
	v_fma_f32 v48, v10, v61, -v152
	v_mov_b32_e32 v13, v5
	v_add_f32_e32 v5, v4, v65
	v_add_f32_e32 v4, v3, v57
	v_mov_b32_e32 v56, v33
	s_waitcnt lgkmcnt(3)
	v_pk_mul_f32 v[6:7], v[16:17], v[54:55] op_sel_hi:[1,0]
	v_pk_add_f32 v[4:5], v[4:5], v[48:49]
	v_mov_b32_e32 v58, v35
	v_mov_b32_e32 v60, v37
	v_pk_mul_f32 v[8:9], v[18:19], v[56:57] op_sel_hi:[1,0]
	s_waitcnt vmcnt(11)
	v_pk_fma_f32 v[14:15], v[16:17], v[30:31], v[6:7] op_sel:[0,0,1] op_sel_hi:[1,1,0] neg_lo:[0,0,1] neg_hi:[0,0,1]
	v_pk_fma_f32 v[6:7], v[16:17], v[30:31], v[6:7] op_sel:[0,0,1] op_sel_hi:[1,0,0]
	v_pk_add_f32 v[4:5], v[4:5], v[50:51]
	s_waitcnt lgkmcnt(2)
	v_pk_mul_f32 v[10:11], v[20:21], v[58:59] op_sel_hi:[1,0]
	s_waitcnt vmcnt(7)
	v_pk_fma_f32 v[16:17], v[18:19], v[32:33], v[8:9] op_sel:[0,0,1] op_sel_hi:[1,1,0] neg_lo:[0,0,1] neg_hi:[0,0,1]
	v_pk_fma_f32 v[8:9], v[18:19], v[32:33], v[8:9] op_sel:[0,0,1] op_sel_hi:[1,0,0]
	v_mov_b32_e32 v15, v7
	v_pk_add_f32 v[4:5], v[4:5], v[12:13]
	v_pk_mul_f32 v[6:7], v[22:23], v[60:61] op_sel_hi:[1,0]
	v_pk_fma_f32 v[18:19], v[20:21], v[34:35], v[10:11] op_sel:[0,0,1] op_sel_hi:[1,1,0] neg_lo:[0,0,1] neg_hi:[0,0,1]
	v_pk_fma_f32 v[10:11], v[20:21], v[34:35], v[10:11] op_sel:[0,0,1] op_sel_hi:[1,0,0]
	v_mov_b32_e32 v17, v9
	v_pk_add_f32 v[4:5], v[4:5], v[14:15]
	v_pk_fma_f32 v[8:9], v[22:23], v[36:37], v[6:7] op_sel:[0,0,1] op_sel_hi:[1,1,0] neg_lo:[0,0,1] neg_hi:[0,0,1]
	v_pk_fma_f32 v[6:7], v[22:23], v[36:37], v[6:7] op_sel:[0,0,1] op_sel_hi:[1,0,0]
	v_mov_b32_e32 v19, v11
	v_pk_add_f32 v[4:5], v[4:5], v[16:17]
	s_waitcnt vmcnt(6)
	v_mov_b32_e32 v6, v39
	v_pk_add_f32 v[4:5], v[4:5], v[18:19]
	v_mov_b32_e32 v9, v7
	s_waitcnt lgkmcnt(1)
	v_pk_mul_f32 v[6:7], v[24:25], v[6:7] op_sel_hi:[1,0]
	v_pk_add_f32 v[4:5], v[4:5], v[8:9]
	v_pk_fma_f32 v[8:9], v[24:25], v[38:39], v[6:7] op_sel:[0,0,1] op_sel_hi:[1,1,0] neg_lo:[0,0,1] neg_hi:[0,0,1]
	v_pk_fma_f32 v[6:7], v[24:25], v[38:39], v[6:7] op_sel:[0,0,1] op_sel_hi:[1,0,0]
	s_waitcnt vmcnt(5)
	v_mov_b32_e32 v6, v41
	v_mov_b32_e32 v9, v7
	v_pk_mul_f32 v[6:7], v[26:27], v[6:7] op_sel_hi:[1,0]
	v_pk_add_f32 v[4:5], v[4:5], v[8:9]
	s_waitcnt vmcnt(3)
	v_pk_fma_f32 v[8:9], v[26:27], v[40:41], v[6:7] op_sel:[0,0,1] op_sel_hi:[1,1,0] neg_lo:[0,0,1] neg_hi:[0,0,1]
	v_pk_fma_f32 v[6:7], v[26:27], v[40:41], v[6:7] op_sel:[0,0,1] op_sel_hi:[1,0,0]
	s_waitcnt vmcnt(2)
	v_mov_b32_e32 v6, v43
	v_mov_b32_e32 v9, v7
	s_waitcnt lgkmcnt(0)
	v_pk_mul_f32 v[6:7], v[46:47], v[6:7] op_sel_hi:[1,0]
	v_pk_add_f32 v[4:5], v[4:5], v[8:9]
	v_pk_fma_f32 v[8:9], v[46:47], v[42:43], v[6:7] op_sel:[0,0,1] op_sel_hi:[1,1,0] neg_lo:[0,0,1] neg_hi:[0,0,1]
	v_pk_fma_f32 v[6:7], v[46:47], v[42:43], v[6:7] op_sel:[0,0,1] op_sel_hi:[1,0,0]
	v_mov_b32_e32 v9, v7
	v_pk_add_f32 v[4:5], v[4:5], v[8:9]
	s_waitcnt vmcnt(0)
	v_pk_add_f32 v[4:5], v[44:45], v[4:5] neg_lo:[0,1] neg_hi:[0,1]
	buffer_store_dword v5, off, s[0:3], 0 offset:236
	buffer_store_dword v4, off, s[0:3], 0 offset:232
	s_and_saveexec_b64 s[4:5], vcc
	s_cbranch_execz .LBB42_215
; %bb.214:
	buffer_load_dword v4, off, s[0:3], 0 offset:224
	buffer_load_dword v5, off, s[0:3], 0 offset:228
	s_waitcnt vmcnt(0)
	ds_write_b64 v1, v[4:5]
	buffer_store_dword v2, off, s[0:3], 0 offset:224
	buffer_store_dword v2, off, s[0:3], 0 offset:228
.LBB42_215:
	s_or_b64 exec, exec, s[4:5]
	s_waitcnt lgkmcnt(0)
	; wave barrier
	s_waitcnt lgkmcnt(0)
	buffer_load_dword v50, off, s[0:3], 0 offset:236
	buffer_load_dword v52, off, s[0:3], 0 offset:244
	;; [unrolled: 1-line block ×30, first 2 shown]
	ds_read2_b64 v[4:7], v2 offset0:73 offset1:74
	ds_read2_b64 v[8:11], v2 offset0:75 offset1:76
	;; [unrolled: 1-line block ×7, first 2 shown]
	v_cmp_lt_u32_e32 vcc, 27, v0
	s_waitcnt vmcnt(29) lgkmcnt(6)
	v_mul_f32_e32 v63, v4, v50
	s_waitcnt vmcnt(28)
	v_mul_f32_e32 v64, v6, v52
	s_waitcnt vmcnt(27) lgkmcnt(5)
	v_mul_f32_e32 v65, v8, v53
	v_mul_f32_e32 v53, v9, v53
	s_waitcnt vmcnt(26)
	v_mul_f32_e32 v152, v10, v54
	s_waitcnt vmcnt(25) lgkmcnt(4)
	v_mul_f32_e32 v3, v12, v55
	v_mul_f32_e32 v2, v5, v50
	;; [unrolled: 1-line block ×5, first 2 shown]
	s_waitcnt vmcnt(23)
	v_mov_b32_e32 v52, v33
	s_waitcnt vmcnt(22)
	v_mov_b32_e32 v54, v35
	s_waitcnt vmcnt(18)
	v_fma_f32 v53, v8, v59, -v53
	v_fmac_f32_e32 v63, v5, v57
	v_fmac_f32_e32 v64, v7, v58
	s_waitcnt vmcnt(17)
	v_fmac_f32_e32 v152, v11, v60
	v_fma_f32 v11, v4, v57, -v2
	v_fma_f32 v57, v6, v58, -v50
	s_waitcnt lgkmcnt(3)
	v_pk_mul_f32 v[4:5], v[16:17], v[52:53] op_sel_hi:[1,0]
	v_pk_mul_f32 v[6:7], v[18:19], v[54:55] op_sel_hi:[1,0]
	s_waitcnt vmcnt(16)
	v_fmac_f32_e32 v3, v13, v61
	v_fma_f32 v58, v10, v60, -v153
	v_fma_f32 v2, v12, v61, -v55
	v_add_f32_e32 v52, 0, v63
	v_add_f32_e32 v54, 0, v11
	s_waitcnt vmcnt(14)
	v_pk_fma_f32 v[10:11], v[16:17], v[32:33], v[4:5] op_sel:[0,0,1] op_sel_hi:[1,1,0] neg_lo:[0,0,1] neg_hi:[0,0,1]
	v_pk_fma_f32 v[4:5], v[16:17], v[32:33], v[4:5] op_sel:[0,0,1] op_sel_hi:[1,0,0]
	s_waitcnt vmcnt(10)
	v_pk_fma_f32 v[12:13], v[18:19], v[34:35], v[6:7] op_sel:[0,0,1] op_sel_hi:[1,1,0] neg_lo:[0,0,1] neg_hi:[0,0,1]
	v_pk_fma_f32 v[6:7], v[18:19], v[34:35], v[6:7] op_sel:[0,0,1] op_sel_hi:[1,0,0]
	v_fmac_f32_e32 v65, v9, v59
	v_add_f32_e32 v4, v52, v64
	v_add_f32_e32 v6, v54, v57
	;; [unrolled: 1-line block ×4, first 2 shown]
	v_mul_f32_e32 v51, v14, v56
	v_mul_f32_e32 v154, v15, v56
	v_mov_b32_e32 v11, v5
	v_add_f32_e32 v5, v4, v152
	v_add_f32_e32 v4, v6, v58
	v_mov_b32_e32 v56, v37
	v_fmac_f32_e32 v51, v15, v62
	v_fma_f32 v50, v14, v62, -v154
	v_pk_add_f32 v[2:3], v[4:5], v[2:3]
	s_waitcnt vmcnt(9)
	v_mov_b32_e32 v4, v41
	s_waitcnt lgkmcnt(2)
	v_pk_mul_f32 v[8:9], v[20:21], v[56:57] op_sel_hi:[1,0]
	v_pk_add_f32 v[2:3], v[2:3], v[50:51]
	v_pk_mul_f32 v[4:5], v[22:23], v[4:5] op_sel_hi:[1,0]
	v_pk_fma_f32 v[14:15], v[20:21], v[36:37], v[8:9] op_sel:[0,0,1] op_sel_hi:[1,1,0] neg_lo:[0,0,1] neg_hi:[0,0,1]
	v_pk_fma_f32 v[8:9], v[20:21], v[36:37], v[8:9] op_sel:[0,0,1] op_sel_hi:[1,0,0]
	v_mov_b32_e32 v13, v7
	v_pk_add_f32 v[2:3], v[2:3], v[10:11]
	v_pk_fma_f32 v[6:7], v[22:23], v[40:41], v[4:5] op_sel:[0,0,1] op_sel_hi:[1,1,0] neg_lo:[0,0,1] neg_hi:[0,0,1]
	v_pk_fma_f32 v[4:5], v[22:23], v[40:41], v[4:5] op_sel:[0,0,1] op_sel_hi:[1,0,0]
	v_mov_b32_e32 v15, v9
	v_pk_add_f32 v[2:3], v[2:3], v[12:13]
	s_waitcnt vmcnt(8)
	v_mov_b32_e32 v4, v39
	v_pk_add_f32 v[2:3], v[2:3], v[14:15]
	v_mov_b32_e32 v7, v5
	s_waitcnt lgkmcnt(1)
	v_pk_mul_f32 v[4:5], v[24:25], v[4:5] op_sel_hi:[1,0]
	v_pk_add_f32 v[2:3], v[2:3], v[6:7]
	v_pk_fma_f32 v[6:7], v[24:25], v[38:39], v[4:5] op_sel:[0,0,1] op_sel_hi:[1,1,0] neg_lo:[0,0,1] neg_hi:[0,0,1]
	v_pk_fma_f32 v[4:5], v[24:25], v[38:39], v[4:5] op_sel:[0,0,1] op_sel_hi:[1,0,0]
	s_waitcnt vmcnt(7)
	v_mov_b32_e32 v4, v43
	v_mov_b32_e32 v7, v5
	v_pk_mul_f32 v[4:5], v[26:27], v[4:5] op_sel_hi:[1,0]
	v_pk_add_f32 v[2:3], v[2:3], v[6:7]
	s_waitcnt vmcnt(4)
	v_pk_fma_f32 v[6:7], v[26:27], v[42:43], v[4:5] op_sel:[0,0,1] op_sel_hi:[1,1,0] neg_lo:[0,0,1] neg_hi:[0,0,1]
	v_pk_fma_f32 v[4:5], v[26:27], v[42:43], v[4:5] op_sel:[0,0,1] op_sel_hi:[1,0,0]
	s_waitcnt vmcnt(3)
	v_mov_b32_e32 v4, v47
	v_mov_b32_e32 v7, v5
	s_waitcnt lgkmcnt(0)
	v_pk_mul_f32 v[4:5], v[28:29], v[4:5] op_sel_hi:[1,0]
	v_pk_add_f32 v[2:3], v[2:3], v[6:7]
	v_pk_fma_f32 v[6:7], v[28:29], v[46:47], v[4:5] op_sel:[0,0,1] op_sel_hi:[1,1,0] neg_lo:[0,0,1] neg_hi:[0,0,1]
	v_pk_fma_f32 v[4:5], v[28:29], v[46:47], v[4:5] op_sel:[0,0,1] op_sel_hi:[1,0,0]
	s_waitcnt vmcnt(0)
	v_mov_b32_e32 v4, v45
	v_mov_b32_e32 v7, v5
	v_pk_mul_f32 v[4:5], v[30:31], v[4:5] op_sel_hi:[1,0]
	v_pk_add_f32 v[2:3], v[2:3], v[6:7]
	v_pk_fma_f32 v[6:7], v[30:31], v[44:45], v[4:5] op_sel:[0,0,1] op_sel_hi:[1,1,0] neg_lo:[0,0,1] neg_hi:[0,0,1]
	v_pk_fma_f32 v[4:5], v[30:31], v[44:45], v[4:5] op_sel:[0,0,1] op_sel_hi:[1,0,0]
	v_mov_b32_e32 v7, v5
	v_pk_add_f32 v[2:3], v[2:3], v[6:7]
	v_pk_add_f32 v[2:3], v[48:49], v[2:3] neg_lo:[0,1] neg_hi:[0,1]
	buffer_store_dword v3, off, s[0:3], 0 offset:228
	buffer_store_dword v2, off, s[0:3], 0 offset:224
	s_and_saveexec_b64 s[4:5], vcc
	s_cbranch_execz .LBB42_217
; %bb.216:
	buffer_load_dword v2, off, s[0:3], 0 offset:216
	buffer_load_dword v3, off, s[0:3], 0 offset:220
	v_mov_b32_e32 v4, 0
	buffer_store_dword v4, off, s[0:3], 0 offset:216
	buffer_store_dword v4, off, s[0:3], 0 offset:220
	s_waitcnt vmcnt(2)
	ds_write_b64 v1, v[2:3]
.LBB42_217:
	s_or_b64 exec, exec, s[4:5]
	s_waitcnt lgkmcnt(0)
	; wave barrier
	s_waitcnt lgkmcnt(0)
	buffer_load_dword v3, off, s[0:3], 0 offset:228
	buffer_load_dword v52, off, s[0:3], 0 offset:236
	;; [unrolled: 1-line block ×32, first 2 shown]
	v_mov_b32_e32 v2, 0
	ds_read_b128 v[4:7], v2 offset:576
	ds_read_b128 v[8:11], v2 offset:592
	;; [unrolled: 1-line block ×7, first 2 shown]
	ds_read_b64 v[50:51], v2 offset:688
	v_cmp_lt_u32_e32 vcc, 26, v0
	s_waitcnt vmcnt(31) lgkmcnt(7)
	v_mul_f32_e32 v153, v4, v3
	v_mul_f32_e32 v3, v5, v3
	s_waitcnt vmcnt(30)
	v_mul_f32_e32 v154, v6, v52
	s_waitcnt vmcnt(28) lgkmcnt(6)
	v_mul_f32_e32 v156, v10, v56
	s_waitcnt vmcnt(27) lgkmcnt(5)
	v_mul_f32_e32 v157, v12, v57
	v_mul_f32_e32 v158, v11, v56
	;; [unrolled: 1-line block ×3, first 2 shown]
	s_waitcnt vmcnt(24)
	v_mov_b32_e32 v56, v33
	v_mul_f32_e32 v155, v8, v54
	v_mul_f32_e32 v52, v7, v52
	s_waitcnt vmcnt(22)
	v_fmac_f32_e32 v153, v5, v60
	v_fma_f32 v3, v4, v60, -v3
	s_waitcnt lgkmcnt(4)
	v_pk_mul_f32 v[4:5], v[18:19], v[56:57] op_sel_hi:[1,0]
	v_mul_f32_e32 v54, v9, v54
	s_waitcnt vmcnt(21)
	v_fmac_f32_e32 v154, v7, v61
	s_waitcnt vmcnt(20)
	v_fmac_f32_e32 v155, v9, v62
	;; [unrolled: 2-line block ×3, first 2 shown]
	v_fma_f32 v9, v6, v61, -v52
	s_waitcnt vmcnt(18)
	v_fma_f32 v11, v12, v64, -v57
	v_add_f32_e32 v12, 0, v153
	v_add_f32_e32 v3, 0, v3
	s_waitcnt vmcnt(12)
	v_pk_fma_f32 v[6:7], v[18:19], v[32:33], v[4:5] op_sel:[0,0,1] op_sel_hi:[1,1,0] neg_lo:[0,0,1] neg_hi:[0,0,1]
	v_pk_fma_f32 v[4:5], v[18:19], v[32:33], v[4:5] op_sel:[0,0,1] op_sel_hi:[1,0,0]
	v_fma_f32 v8, v8, v62, -v54
	v_add_f32_e32 v4, v12, v154
	v_add_f32_e32 v3, v3, v9
	v_fma_f32 v10, v10, v63, -v158
	v_add_f32_e32 v4, v4, v155
	v_add_f32_e32 v3, v3, v8
	v_mul_f32_e32 v53, v14, v58
	v_mul_f32_e32 v159, v15, v58
	v_fmac_f32_e32 v157, v13, v64
	v_add_f32_e32 v4, v4, v156
	v_add_f32_e32 v3, v3, v10
	v_mul_f32_e32 v55, v16, v59
	v_mul_f32_e32 v59, v17, v59
	v_fmac_f32_e32 v53, v15, v65
	v_fma_f32 v52, v14, v65, -v159
	v_mov_b32_e32 v7, v5
	v_add_f32_e32 v5, v4, v157
	v_add_f32_e32 v4, v3, v11
	v_fmac_f32_e32 v55, v17, v152
	v_fma_f32 v54, v16, v152, -v59
	v_pk_add_f32 v[4:5], v[4:5], v[52:53]
	v_mov_b32_e32 v58, v35
	v_pk_add_f32 v[4:5], v[4:5], v[54:55]
	v_pk_add_f32 v[4:5], v[4:5], v[6:7]
	s_waitcnt lgkmcnt(3)
	v_pk_mul_f32 v[6:7], v[20:21], v[58:59] op_sel_hi:[1,0]
	v_pk_fma_f32 v[8:9], v[20:21], v[34:35], v[6:7] op_sel:[0,0,1] op_sel_hi:[1,1,0] neg_lo:[0,0,1] neg_hi:[0,0,1]
	v_pk_fma_f32 v[6:7], v[20:21], v[34:35], v[6:7] op_sel:[0,0,1] op_sel_hi:[1,0,0]
	s_waitcnt vmcnt(11)
	v_mov_b32_e32 v6, v39
	v_mov_b32_e32 v9, v7
	v_pk_mul_f32 v[6:7], v[22:23], v[6:7] op_sel_hi:[1,0]
	v_pk_add_f32 v[4:5], v[4:5], v[8:9]
	v_pk_fma_f32 v[8:9], v[22:23], v[38:39], v[6:7] op_sel:[0,0,1] op_sel_hi:[1,1,0] neg_lo:[0,0,1] neg_hi:[0,0,1]
	v_pk_fma_f32 v[6:7], v[22:23], v[38:39], v[6:7] op_sel:[0,0,1] op_sel_hi:[1,0,0]
	s_waitcnt vmcnt(10)
	v_mov_b32_e32 v6, v37
	v_mov_b32_e32 v9, v7
	s_waitcnt lgkmcnt(2)
	v_pk_mul_f32 v[6:7], v[24:25], v[6:7] op_sel_hi:[1,0]
	v_pk_add_f32 v[4:5], v[4:5], v[8:9]
	v_pk_fma_f32 v[8:9], v[24:25], v[36:37], v[6:7] op_sel:[0,0,1] op_sel_hi:[1,1,0] neg_lo:[0,0,1] neg_hi:[0,0,1]
	v_pk_fma_f32 v[6:7], v[24:25], v[36:37], v[6:7] op_sel:[0,0,1] op_sel_hi:[1,0,0]
	s_waitcnt vmcnt(9)
	v_mov_b32_e32 v6, v41
	v_mov_b32_e32 v9, v7
	v_pk_mul_f32 v[6:7], v[26:27], v[6:7] op_sel_hi:[1,0]
	v_pk_add_f32 v[4:5], v[4:5], v[8:9]
	s_waitcnt vmcnt(4)
	v_pk_fma_f32 v[8:9], v[26:27], v[40:41], v[6:7] op_sel:[0,0,1] op_sel_hi:[1,1,0] neg_lo:[0,0,1] neg_hi:[0,0,1]
	v_pk_fma_f32 v[6:7], v[26:27], v[40:41], v[6:7] op_sel:[0,0,1] op_sel_hi:[1,0,0]
	v_mov_b32_e32 v6, v47
	v_mov_b32_e32 v9, v7
	s_waitcnt lgkmcnt(1)
	v_pk_mul_f32 v[6:7], v[28:29], v[6:7] op_sel_hi:[1,0]
	v_pk_add_f32 v[4:5], v[4:5], v[8:9]
	v_pk_fma_f32 v[8:9], v[28:29], v[46:47], v[6:7] op_sel:[0,0,1] op_sel_hi:[1,1,0] neg_lo:[0,0,1] neg_hi:[0,0,1]
	v_pk_fma_f32 v[6:7], v[28:29], v[46:47], v[6:7] op_sel:[0,0,1] op_sel_hi:[1,0,0]
	s_waitcnt vmcnt(3)
	v_mov_b32_e32 v6, v45
	v_mov_b32_e32 v9, v7
	v_pk_mul_f32 v[6:7], v[30:31], v[6:7] op_sel_hi:[1,0]
	v_pk_add_f32 v[4:5], v[4:5], v[8:9]
	v_pk_fma_f32 v[8:9], v[30:31], v[44:45], v[6:7] op_sel:[0,0,1] op_sel_hi:[1,1,0] neg_lo:[0,0,1] neg_hi:[0,0,1]
	v_pk_fma_f32 v[6:7], v[30:31], v[44:45], v[6:7] op_sel:[0,0,1] op_sel_hi:[1,0,0]
	s_waitcnt vmcnt(0)
	v_mov_b32_e32 v6, v43
	v_mov_b32_e32 v9, v7
	s_waitcnt lgkmcnt(0)
	v_pk_mul_f32 v[6:7], v[50:51], v[6:7] op_sel_hi:[1,0]
	v_pk_add_f32 v[4:5], v[4:5], v[8:9]
	v_pk_fma_f32 v[8:9], v[50:51], v[42:43], v[6:7] op_sel:[0,0,1] op_sel_hi:[1,1,0] neg_lo:[0,0,1] neg_hi:[0,0,1]
	v_pk_fma_f32 v[6:7], v[50:51], v[42:43], v[6:7] op_sel:[0,0,1] op_sel_hi:[1,0,0]
	v_mov_b32_e32 v9, v7
	v_pk_add_f32 v[4:5], v[4:5], v[8:9]
	v_pk_add_f32 v[4:5], v[48:49], v[4:5] neg_lo:[0,1] neg_hi:[0,1]
	buffer_store_dword v5, off, s[0:3], 0 offset:220
	buffer_store_dword v4, off, s[0:3], 0 offset:216
	s_and_saveexec_b64 s[4:5], vcc
	s_cbranch_execz .LBB42_219
; %bb.218:
	buffer_load_dword v4, off, s[0:3], 0 offset:208
	buffer_load_dword v5, off, s[0:3], 0 offset:212
	s_waitcnt vmcnt(0)
	ds_write_b64 v1, v[4:5]
	buffer_store_dword v2, off, s[0:3], 0 offset:208
	buffer_store_dword v2, off, s[0:3], 0 offset:212
.LBB42_219:
	s_or_b64 exec, exec, s[4:5]
	s_waitcnt lgkmcnt(0)
	; wave barrier
	s_waitcnt lgkmcnt(0)
	buffer_load_dword v54, off, s[0:3], 0 offset:220
	buffer_load_dword v56, off, s[0:3], 0 offset:228
	;; [unrolled: 1-line block ×32, first 2 shown]
	ds_read2_b64 v[4:7], v2 offset0:71 offset1:72
	ds_read2_b64 v[8:11], v2 offset0:73 offset1:74
	;; [unrolled: 1-line block ×4, first 2 shown]
	buffer_load_dword v53, off, s[0:3], 0 offset:340
	buffer_load_dword v52, off, s[0:3], 0 offset:336
	ds_read2_b64 v[20:23], v2 offset0:79 offset1:80
	ds_read2_b64 v[24:27], v2 offset0:81 offset1:82
	;; [unrolled: 1-line block ×4, first 2 shown]
	v_cmp_lt_u32_e32 vcc, 25, v0
	s_waitcnt vmcnt(33) lgkmcnt(7)
	v_mul_f32_e32 v157, v4, v54
	v_mul_f32_e32 v2, v5, v54
	s_waitcnt vmcnt(32)
	v_mul_f32_e32 v158, v6, v56
	s_waitcnt vmcnt(31) lgkmcnt(6)
	v_mul_f32_e32 v159, v8, v57
	v_mul_f32_e32 v54, v7, v56
	;; [unrolled: 1-line block ×3, first 2 shown]
	s_waitcnt vmcnt(30)
	v_mul_f32_e32 v57, v11, v58
	v_mul_f32_e32 v160, v10, v58
	s_waitcnt vmcnt(25)
	v_fmac_f32_e32 v157, v5, v63
	v_fma_f32 v4, v4, v63, -v2
	s_waitcnt vmcnt(24)
	v_fmac_f32_e32 v158, v7, v64
	v_fma_f32 v5, v6, v64, -v54
	s_waitcnt vmcnt(22)
	v_fma_f32 v7, v10, v152, -v57
	v_add_f32_e32 v10, 0, v157
	v_add_f32_e32 v4, 0, v4
	v_fmac_f32_e32 v159, v9, v65
	v_fma_f32 v6, v8, v65, -v56
	v_add_f32_e32 v10, v10, v158
	v_add_f32_e32 v4, v4, v5
	s_waitcnt lgkmcnt(5)
	v_mul_f32_e32 v161, v12, v59
	v_mul_f32_e32 v58, v13, v59
	v_fmac_f32_e32 v160, v11, v152
	v_add_f32_e32 v5, v10, v159
	v_add_f32_e32 v4, v4, v6
	v_mul_f32_e32 v162, v14, v60
	v_mul_f32_e32 v59, v15, v60
	s_waitcnt vmcnt(21)
	v_fmac_f32_e32 v161, v13, v153
	v_fma_f32 v8, v12, v153, -v58
	v_add_f32_e32 v5, v5, v160
	v_add_f32_e32 v4, v4, v7
	s_waitcnt lgkmcnt(4)
	v_mul_f32_e32 v3, v16, v61
	v_mul_f32_e32 v60, v17, v61
	s_waitcnt vmcnt(20)
	v_fmac_f32_e32 v162, v15, v154
	v_fma_f32 v9, v14, v154, -v59
	v_add_f32_e32 v5, v5, v161
	v_add_f32_e32 v4, v4, v8
	s_waitcnt vmcnt(19)
	v_fmac_f32_e32 v3, v17, v155
	v_fma_f32 v2, v16, v155, -v60
	v_add_f32_e32 v5, v5, v162
	v_add_f32_e32 v4, v4, v9
	v_pk_add_f32 v[2:3], v[4:5], v[2:3]
	s_waitcnt vmcnt(17)
	v_mov_b32_e32 v4, v37
	s_waitcnt lgkmcnt(3)
	v_pk_mul_f32 v[4:5], v[20:21], v[4:5] op_sel_hi:[1,0]
	v_mul_f32_e32 v55, v18, v62
	v_mul_f32_e32 v61, v19, v62
	s_waitcnt vmcnt(14)
	v_pk_fma_f32 v[6:7], v[20:21], v[36:37], v[4:5] op_sel:[0,0,1] op_sel_hi:[1,1,0] neg_lo:[0,0,1] neg_hi:[0,0,1]
	v_pk_fma_f32 v[4:5], v[20:21], v[36:37], v[4:5] op_sel:[0,0,1] op_sel_hi:[1,0,0]
	v_fmac_f32_e32 v55, v19, v156
	v_fma_f32 v54, v18, v156, -v61
	s_waitcnt vmcnt(13)
	v_mov_b32_e32 v4, v41
	v_pk_add_f32 v[2:3], v[2:3], v[54:55]
	v_mov_b32_e32 v7, v5
	v_pk_mul_f32 v[4:5], v[22:23], v[4:5] op_sel_hi:[1,0]
	v_pk_add_f32 v[2:3], v[2:3], v[6:7]
	v_pk_fma_f32 v[6:7], v[22:23], v[40:41], v[4:5] op_sel:[0,0,1] op_sel_hi:[1,1,0] neg_lo:[0,0,1] neg_hi:[0,0,1]
	v_pk_fma_f32 v[4:5], v[22:23], v[40:41], v[4:5] op_sel:[0,0,1] op_sel_hi:[1,0,0]
	s_waitcnt vmcnt(12)
	v_mov_b32_e32 v4, v39
	v_mov_b32_e32 v7, v5
	s_waitcnt lgkmcnt(2)
	v_pk_mul_f32 v[4:5], v[24:25], v[4:5] op_sel_hi:[1,0]
	v_pk_add_f32 v[2:3], v[2:3], v[6:7]
	v_pk_fma_f32 v[6:7], v[24:25], v[38:39], v[4:5] op_sel:[0,0,1] op_sel_hi:[1,1,0] neg_lo:[0,0,1] neg_hi:[0,0,1]
	v_pk_fma_f32 v[4:5], v[24:25], v[38:39], v[4:5] op_sel:[0,0,1] op_sel_hi:[1,0,0]
	s_waitcnt vmcnt(11)
	v_mov_b32_e32 v4, v43
	v_mov_b32_e32 v7, v5
	v_pk_mul_f32 v[4:5], v[26:27], v[4:5] op_sel_hi:[1,0]
	v_pk_add_f32 v[2:3], v[2:3], v[6:7]
	s_waitcnt vmcnt(5)
	v_pk_fma_f32 v[6:7], v[26:27], v[42:43], v[4:5] op_sel:[0,0,1] op_sel_hi:[1,1,0] neg_lo:[0,0,1] neg_hi:[0,0,1]
	v_pk_fma_f32 v[4:5], v[26:27], v[42:43], v[4:5] op_sel:[0,0,1] op_sel_hi:[1,0,0]
	v_mov_b32_e32 v4, v49
	v_mov_b32_e32 v7, v5
	s_waitcnt lgkmcnt(1)
	v_pk_mul_f32 v[4:5], v[28:29], v[4:5] op_sel_hi:[1,0]
	v_pk_add_f32 v[2:3], v[2:3], v[6:7]
	v_pk_fma_f32 v[6:7], v[28:29], v[48:49], v[4:5] op_sel:[0,0,1] op_sel_hi:[1,1,0] neg_lo:[0,0,1] neg_hi:[0,0,1]
	v_pk_fma_f32 v[4:5], v[28:29], v[48:49], v[4:5] op_sel:[0,0,1] op_sel_hi:[1,0,0]
	v_mov_b32_e32 v4, v47
	v_mov_b32_e32 v7, v5
	v_pk_mul_f32 v[4:5], v[30:31], v[4:5] op_sel_hi:[1,0]
	v_pk_add_f32 v[2:3], v[2:3], v[6:7]
	v_pk_fma_f32 v[6:7], v[30:31], v[46:47], v[4:5] op_sel:[0,0,1] op_sel_hi:[1,1,0] neg_lo:[0,0,1] neg_hi:[0,0,1]
	v_pk_fma_f32 v[4:5], v[30:31], v[46:47], v[4:5] op_sel:[0,0,1] op_sel_hi:[1,0,0]
	s_waitcnt vmcnt(2)
	v_mov_b32_e32 v4, v45
	v_mov_b32_e32 v7, v5
	s_waitcnt lgkmcnt(0)
	v_pk_mul_f32 v[4:5], v[32:33], v[4:5] op_sel_hi:[1,0]
	v_pk_add_f32 v[2:3], v[2:3], v[6:7]
	v_pk_fma_f32 v[6:7], v[32:33], v[44:45], v[4:5] op_sel:[0,0,1] op_sel_hi:[1,1,0] neg_lo:[0,0,1] neg_hi:[0,0,1]
	v_pk_fma_f32 v[4:5], v[32:33], v[44:45], v[4:5] op_sel:[0,0,1] op_sel_hi:[1,0,0]
	s_waitcnt vmcnt(1)
	v_mov_b32_e32 v4, v53
	v_mov_b32_e32 v7, v5
	v_pk_mul_f32 v[4:5], v[34:35], v[4:5] op_sel_hi:[1,0]
	v_pk_add_f32 v[2:3], v[2:3], v[6:7]
	s_waitcnt vmcnt(0)
	v_pk_fma_f32 v[6:7], v[34:35], v[52:53], v[4:5] op_sel:[0,0,1] op_sel_hi:[1,1,0] neg_lo:[0,0,1] neg_hi:[0,0,1]
	v_pk_fma_f32 v[4:5], v[34:35], v[52:53], v[4:5] op_sel:[0,0,1] op_sel_hi:[1,0,0]
	v_mov_b32_e32 v7, v5
	v_pk_add_f32 v[2:3], v[2:3], v[6:7]
	v_pk_add_f32 v[2:3], v[50:51], v[2:3] neg_lo:[0,1] neg_hi:[0,1]
	buffer_store_dword v3, off, s[0:3], 0 offset:212
	buffer_store_dword v2, off, s[0:3], 0 offset:208
	s_and_saveexec_b64 s[4:5], vcc
	s_cbranch_execz .LBB42_221
; %bb.220:
	buffer_load_dword v2, off, s[0:3], 0 offset:200
	buffer_load_dword v3, off, s[0:3], 0 offset:204
	v_mov_b32_e32 v4, 0
	buffer_store_dword v4, off, s[0:3], 0 offset:200
	buffer_store_dword v4, off, s[0:3], 0 offset:204
	s_waitcnt vmcnt(2)
	ds_write_b64 v1, v[2:3]
.LBB42_221:
	s_or_b64 exec, exec, s[4:5]
	s_waitcnt lgkmcnt(0)
	; wave barrier
	s_waitcnt lgkmcnt(0)
	buffer_load_dword v3, off, s[0:3], 0 offset:212
	buffer_load_dword v46, off, s[0:3], 0 offset:220
	;; [unrolled: 1-line block ×36, first 2 shown]
	v_mov_b32_e32 v2, 0
	ds_read_b128 v[4:7], v2 offset:560
	ds_read_b128 v[8:11], v2 offset:576
	;; [unrolled: 1-line block ×6, first 2 shown]
	v_cmp_lt_u32_e32 vcc, 24, v0
	s_waitcnt vmcnt(35) lgkmcnt(5)
	v_mul_f32_e32 v65, v4, v3
	s_waitcnt vmcnt(34)
	v_mul_f32_e32 v152, v6, v46
	s_waitcnt vmcnt(33) lgkmcnt(4)
	v_mul_f32_e32 v153, v8, v48
	v_mul_f32_e32 v3, v5, v3
	;; [unrolled: 1-line block ×4, first 2 shown]
	s_waitcnt vmcnt(32)
	v_mul_f32_e32 v154, v10, v50
	s_waitcnt vmcnt(31) lgkmcnt(3)
	v_mul_f32_e32 v155, v12, v51
	v_mul_f32_e32 v50, v11, v50
	s_waitcnt vmcnt(26)
	v_fmac_f32_e32 v65, v5, v56
	s_waitcnt vmcnt(25)
	v_fmac_f32_e32 v152, v7, v57
	;; [unrolled: 2-line block ×3, first 2 shown]
	v_fma_f32 v3, v4, v56, -v3
	v_add_f32_e32 v9, 0, v65
	v_fma_f32 v4, v6, v57, -v46
	v_add_f32_e32 v3, 0, v3
	v_add_f32_e32 v9, v9, v152
	s_waitcnt vmcnt(23)
	v_fmac_f32_e32 v154, v11, v59
	v_fma_f32 v5, v8, v58, -v48
	v_add_f32_e32 v3, v3, v4
	v_add_f32_e32 v4, v9, v153
	v_mul_f32_e32 v156, v14, v52
	v_mul_f32_e32 v51, v13, v51
	s_waitcnt vmcnt(22)
	v_fmac_f32_e32 v155, v13, v60
	v_fma_f32 v6, v10, v59, -v50
	v_add_f32_e32 v3, v3, v5
	v_add_f32_e32 v4, v4, v154
	s_waitcnt lgkmcnt(2)
	v_mul_f32_e32 v157, v16, v53
	v_mul_f32_e32 v52, v15, v52
	s_waitcnt vmcnt(21)
	v_fmac_f32_e32 v156, v15, v61
	v_fma_f32 v7, v12, v60, -v51
	v_add_f32_e32 v3, v3, v6
	v_add_f32_e32 v4, v4, v155
	v_mul_f32_e32 v53, v17, v53
	s_waitcnt vmcnt(20)
	v_fmac_f32_e32 v157, v17, v62
	v_fma_f32 v8, v14, v61, -v52
	v_add_f32_e32 v3, v3, v7
	v_add_f32_e32 v4, v4, v156
	;; [unrolled: 1-line block ×4, first 2 shown]
	v_fma_f32 v4, v16, v62, -v53
	s_waitcnt vmcnt(17)
	v_mov_b32_e32 v16, v29
	v_mul_f32_e32 v47, v18, v54
	v_add_f32_e32 v12, v3, v4
	v_mul_f32_e32 v3, v19, v54
	s_waitcnt lgkmcnt(1)
	v_pk_mul_f32 v[16:17], v[22:23], v[16:17] op_sel_hi:[1,0]
	v_mul_f32_e32 v49, v20, v55
	v_fmac_f32_e32 v47, v19, v63
	v_fma_f32 v46, v18, v63, -v3
	v_mul_f32_e32 v3, v21, v55
	s_waitcnt vmcnt(15)
	v_pk_fma_f32 v[18:19], v[22:23], v[28:29], v[16:17] op_sel:[0,0,1] op_sel_hi:[1,1,0] neg_lo:[0,0,1] neg_hi:[0,0,1]
	v_pk_fma_f32 v[16:17], v[22:23], v[28:29], v[16:17] op_sel:[0,0,1] op_sel_hi:[1,0,0]
	v_fmac_f32_e32 v49, v21, v64
	v_fma_f32 v48, v20, v64, -v3
	v_pk_add_f32 v[12:13], v[12:13], v[46:47]
	s_waitcnt vmcnt(12)
	v_mov_b32_e32 v16, v31
	v_pk_add_f32 v[12:13], v[12:13], v[48:49]
	v_mov_b32_e32 v19, v17
	s_waitcnt lgkmcnt(0)
	v_pk_mul_f32 v[16:17], v[24:25], v[16:17] op_sel_hi:[1,0]
	v_pk_add_f32 v[12:13], v[12:13], v[18:19]
	v_pk_fma_f32 v[18:19], v[24:25], v[30:31], v[16:17] op_sel:[0,0,1] op_sel_hi:[1,1,0] neg_lo:[0,0,1] neg_hi:[0,0,1]
	v_pk_fma_f32 v[16:17], v[24:25], v[30:31], v[16:17] op_sel:[0,0,1] op_sel_hi:[1,0,0]
	s_waitcnt vmcnt(11)
	v_mov_b32_e32 v16, v35
	ds_read_b128 v[4:7], v2 offset:656
	ds_read_b128 v[8:11], v2 offset:672
	ds_read_b64 v[14:15], v2 offset:688
	v_mov_b32_e32 v19, v17
	v_pk_mul_f32 v[16:17], v[26:27], v[16:17] op_sel_hi:[1,0]
	v_pk_add_f32 v[12:13], v[12:13], v[18:19]
	s_waitcnt vmcnt(4)
	v_pk_fma_f32 v[18:19], v[26:27], v[34:35], v[16:17] op_sel:[0,0,1] op_sel_hi:[1,1,0] neg_lo:[0,0,1] neg_hi:[0,0,1]
	v_pk_fma_f32 v[16:17], v[26:27], v[34:35], v[16:17] op_sel:[0,0,1] op_sel_hi:[1,0,0]
	v_mov_b32_e32 v16, v41
	v_mov_b32_e32 v19, v17
	s_waitcnt lgkmcnt(2)
	v_pk_mul_f32 v[16:17], v[4:5], v[16:17] op_sel_hi:[1,0]
	v_pk_add_f32 v[12:13], v[12:13], v[18:19]
	v_pk_fma_f32 v[18:19], v[4:5], v[40:41], v[16:17] op_sel:[0,0,1] op_sel_hi:[1,1,0] neg_lo:[0,0,1] neg_hi:[0,0,1]
	v_pk_fma_f32 v[4:5], v[4:5], v[40:41], v[16:17] op_sel:[0,0,1] op_sel_hi:[1,0,0]
	v_mov_b32_e32 v19, v5
	v_pk_add_f32 v[4:5], v[12:13], v[18:19]
	v_mov_b32_e32 v12, v39
	v_pk_mul_f32 v[12:13], v[6:7], v[12:13] op_sel_hi:[1,0]
	v_pk_fma_f32 v[16:17], v[6:7], v[38:39], v[12:13] op_sel:[0,0,1] op_sel_hi:[1,1,0] neg_lo:[0,0,1] neg_hi:[0,0,1]
	v_pk_fma_f32 v[6:7], v[6:7], v[38:39], v[12:13] op_sel:[0,0,1] op_sel_hi:[1,0,0]
	v_mov_b32_e32 v6, v37
	v_mov_b32_e32 v17, v7
	s_waitcnt lgkmcnt(1)
	v_pk_mul_f32 v[6:7], v[8:9], v[6:7] op_sel_hi:[1,0]
	v_pk_fma_f32 v[12:13], v[8:9], v[36:37], v[6:7] op_sel:[0,0,1] op_sel_hi:[1,1,0] neg_lo:[0,0,1] neg_hi:[0,0,1]
	v_pk_fma_f32 v[6:7], v[8:9], v[36:37], v[6:7] op_sel:[0,0,1] op_sel_hi:[1,0,0]
	s_waitcnt vmcnt(1)
	v_mov_b32_e32 v6, v45
	v_mov_b32_e32 v13, v7
	v_pk_mul_f32 v[6:7], v[10:11], v[6:7] op_sel_hi:[1,0]
	s_waitcnt vmcnt(0)
	v_pk_fma_f32 v[8:9], v[10:11], v[44:45], v[6:7] op_sel:[0,0,1] op_sel_hi:[1,1,0] neg_lo:[0,0,1] neg_hi:[0,0,1]
	v_pk_fma_f32 v[6:7], v[10:11], v[44:45], v[6:7] op_sel:[0,0,1] op_sel_hi:[1,0,0]
	v_pk_add_f32 v[4:5], v[4:5], v[16:17]
	v_mov_b32_e32 v6, v43
	v_pk_add_f32 v[4:5], v[4:5], v[12:13]
	v_mov_b32_e32 v9, v7
	s_waitcnt lgkmcnt(0)
	v_pk_mul_f32 v[6:7], v[14:15], v[6:7] op_sel_hi:[1,0]
	v_pk_add_f32 v[4:5], v[4:5], v[8:9]
	v_pk_fma_f32 v[8:9], v[14:15], v[42:43], v[6:7] op_sel:[0,0,1] op_sel_hi:[1,1,0] neg_lo:[0,0,1] neg_hi:[0,0,1]
	v_pk_fma_f32 v[6:7], v[14:15], v[42:43], v[6:7] op_sel:[0,0,1] op_sel_hi:[1,0,0]
	v_mov_b32_e32 v9, v7
	v_pk_add_f32 v[4:5], v[4:5], v[8:9]
	v_pk_add_f32 v[4:5], v[32:33], v[4:5] neg_lo:[0,1] neg_hi:[0,1]
	buffer_store_dword v5, off, s[0:3], 0 offset:204
	buffer_store_dword v4, off, s[0:3], 0 offset:200
	s_and_saveexec_b64 s[4:5], vcc
	s_cbranch_execz .LBB42_223
; %bb.222:
	buffer_load_dword v4, off, s[0:3], 0 offset:192
	buffer_load_dword v5, off, s[0:3], 0 offset:196
	s_waitcnt vmcnt(0)
	ds_write_b64 v1, v[4:5]
	buffer_store_dword v2, off, s[0:3], 0 offset:192
	buffer_store_dword v2, off, s[0:3], 0 offset:196
.LBB42_223:
	s_or_b64 exec, exec, s[4:5]
	s_waitcnt lgkmcnt(0)
	; wave barrier
	s_waitcnt lgkmcnt(0)
	buffer_load_dword v3, off, s[0:3], 0 offset:204
	buffer_load_dword v46, off, s[0:3], 0 offset:212
	;; [unrolled: 1-line block ×22, first 2 shown]
	ds_read2_b64 v[4:7], v2 offset0:69 offset1:70
	ds_read2_b64 v[8:11], v2 offset0:71 offset1:72
	buffer_load_dword v31, off, s[0:3], 0 offset:284
	buffer_load_dword v30, off, s[0:3], 0 offset:280
	;; [unrolled: 1-line block ×10, first 2 shown]
	ds_read2_b64 v[12:15], v2 offset0:73 offset1:74
	ds_read2_b64 v[16:19], v2 offset0:75 offset1:76
	;; [unrolled: 1-line block ×4, first 2 shown]
	buffer_load_dword v41, off, s[0:3], 0 offset:340
	buffer_load_dword v40, off, s[0:3], 0 offset:336
	buffer_load_dword v43, off, s[0:3], 0 offset:332
	buffer_load_dword v42, off, s[0:3], 0 offset:328
	buffer_load_dword v45, off, s[0:3], 0 offset:324
	buffer_load_dword v44, off, s[0:3], 0 offset:320
	v_cmp_lt_u32_e32 vcc, 23, v0
	s_waitcnt vmcnt(37) lgkmcnt(5)
	v_mul_f32_e32 v153, v4, v3
	s_waitcnt vmcnt(36)
	v_mul_f32_e32 v154, v6, v46
	s_waitcnt vmcnt(35) lgkmcnt(4)
	v_mul_f32_e32 v155, v8, v48
	v_mul_f32_e32 v3, v5, v3
	;; [unrolled: 1-line block ×4, first 2 shown]
	s_waitcnt vmcnt(34)
	v_mul_f32_e32 v156, v10, v50
	s_waitcnt vmcnt(33) lgkmcnt(3)
	v_mul_f32_e32 v157, v12, v51
	s_waitcnt vmcnt(32)
	v_mul_f32_e32 v158, v14, v52
	s_waitcnt vmcnt(31) lgkmcnt(2)
	v_mul_f32_e32 v159, v16, v53
	s_waitcnt vmcnt(27)
	v_fmac_f32_e32 v153, v5, v57
	s_waitcnt vmcnt(26)
	v_fmac_f32_e32 v154, v7, v58
	v_fma_f32 v3, v4, v57, -v3
	s_waitcnt vmcnt(25)
	v_fma_f32 v5, v8, v59, -v48
	v_add_f32_e32 v8, 0, v153
	v_fmac_f32_e32 v155, v9, v59
	v_fma_f32 v4, v6, v58, -v46
	v_add_f32_e32 v3, 0, v3
	v_add_f32_e32 v8, v8, v154
	s_waitcnt vmcnt(24)
	v_fmac_f32_e32 v156, v11, v60
	v_add_f32_e32 v3, v3, v4
	v_add_f32_e32 v4, v8, v155
	s_waitcnt vmcnt(23)
	v_fmac_f32_e32 v157, v13, v61
	v_add_f32_e32 v4, v4, v156
	v_mul_f32_e32 v50, v11, v50
	s_waitcnt vmcnt(22)
	v_fmac_f32_e32 v158, v15, v62
	v_add_f32_e32 v4, v4, v157
	v_mul_f32_e32 v160, v18, v54
	v_mul_f32_e32 v51, v13, v51
	s_waitcnt vmcnt(21)
	v_fmac_f32_e32 v159, v17, v63
	v_fma_f32 v6, v10, v60, -v50
	v_add_f32_e32 v3, v3, v5
	v_add_f32_e32 v4, v4, v158
	v_mul_f32_e32 v52, v15, v52
	s_waitcnt vmcnt(20)
	v_fmac_f32_e32 v160, v19, v64
	v_fma_f32 v7, v12, v61, -v51
	v_add_f32_e32 v3, v3, v6
	v_add_f32_e32 v4, v4, v159
	;; [unrolled: 1-line block ×4, first 2 shown]
	v_fma_f32 v4, v14, v62, -v52
	v_add_f32_e32 v3, v3, v4
	v_mul_f32_e32 v4, v17, v53
	v_fma_f32 v4, v16, v63, -v4
	v_add_f32_e32 v3, v3, v4
	v_mul_f32_e32 v4, v19, v54
	v_fma_f32 v4, v18, v64, -v4
	s_waitcnt vmcnt(15)
	v_mov_b32_e32 v16, v31
	s_waitcnt lgkmcnt(1)
	v_mul_f32_e32 v47, v20, v55
	v_add_f32_e32 v50, v3, v4
	v_mul_f32_e32 v3, v21, v55
	s_waitcnt lgkmcnt(0)
	v_pk_mul_f32 v[16:17], v[24:25], v[16:17] op_sel_hi:[1,0]
	v_mul_f32_e32 v49, v22, v56
	v_fmac_f32_e32 v47, v21, v65
	v_fma_f32 v46, v20, v65, -v3
	v_mul_f32_e32 v3, v23, v56
	s_waitcnt vmcnt(14)
	v_pk_fma_f32 v[18:19], v[24:25], v[30:31], v[16:17] op_sel:[0,0,1] op_sel_hi:[1,1,0] neg_lo:[0,0,1] neg_hi:[0,0,1]
	v_pk_fma_f32 v[16:17], v[24:25], v[30:31], v[16:17] op_sel:[0,0,1] op_sel_hi:[1,0,0]
	v_fmac_f32_e32 v49, v23, v152
	v_fma_f32 v48, v22, v152, -v3
	ds_read2_b64 v[4:7], v2 offset0:81 offset1:82
	ds_read2_b64 v[8:11], v2 offset0:83 offset1:84
	ds_read2_b64 v[12:15], v2 offset0:85 offset1:86
	v_pk_add_f32 v[2:3], v[50:51], v[46:47]
	s_waitcnt vmcnt(13)
	v_mov_b32_e32 v16, v33
	v_pk_add_f32 v[2:3], v[2:3], v[48:49]
	v_mov_b32_e32 v19, v17
	v_pk_mul_f32 v[16:17], v[26:27], v[16:17] op_sel_hi:[1,0]
	v_pk_add_f32 v[2:3], v[2:3], v[18:19]
	s_waitcnt vmcnt(6)
	v_pk_fma_f32 v[18:19], v[26:27], v[32:33], v[16:17] op_sel:[0,0,1] op_sel_hi:[1,1,0] neg_lo:[0,0,1] neg_hi:[0,0,1]
	v_pk_fma_f32 v[16:17], v[26:27], v[32:33], v[16:17] op_sel:[0,0,1] op_sel_hi:[1,0,0]
	v_mov_b32_e32 v16, v39
	v_mov_b32_e32 v19, v17
	s_waitcnt lgkmcnt(2)
	v_pk_mul_f32 v[16:17], v[4:5], v[16:17] op_sel_hi:[1,0]
	v_pk_add_f32 v[2:3], v[2:3], v[18:19]
	v_pk_fma_f32 v[18:19], v[4:5], v[38:39], v[16:17] op_sel:[0,0,1] op_sel_hi:[1,1,0] neg_lo:[0,0,1] neg_hi:[0,0,1]
	v_pk_fma_f32 v[4:5], v[4:5], v[38:39], v[16:17] op_sel:[0,0,1] op_sel_hi:[1,0,0]
	v_mov_b32_e32 v4, v37
	v_mov_b32_e32 v19, v5
	v_pk_mul_f32 v[4:5], v[6:7], v[4:5] op_sel_hi:[1,0]
	v_pk_fma_f32 v[16:17], v[6:7], v[36:37], v[4:5] op_sel:[0,0,1] op_sel_hi:[1,1,0] neg_lo:[0,0,1] neg_hi:[0,0,1]
	v_pk_fma_f32 v[4:5], v[6:7], v[36:37], v[4:5] op_sel:[0,0,1] op_sel_hi:[1,0,0]
	v_mov_b32_e32 v4, v35
	v_mov_b32_e32 v17, v5
	s_waitcnt lgkmcnt(1)
	v_pk_mul_f32 v[4:5], v[8:9], v[4:5] op_sel_hi:[1,0]
	v_pk_fma_f32 v[6:7], v[8:9], v[34:35], v[4:5] op_sel:[0,0,1] op_sel_hi:[1,1,0] neg_lo:[0,0,1] neg_hi:[0,0,1]
	v_pk_fma_f32 v[4:5], v[8:9], v[34:35], v[4:5] op_sel:[0,0,1] op_sel_hi:[1,0,0]
	v_pk_add_f32 v[2:3], v[2:3], v[18:19]
	s_waitcnt vmcnt(1)
	v_mov_b32_e32 v4, v45
	v_pk_add_f32 v[2:3], v[2:3], v[16:17]
	v_mov_b32_e32 v7, v5
	v_pk_mul_f32 v[4:5], v[10:11], v[4:5] op_sel_hi:[1,0]
	v_pk_add_f32 v[2:3], v[2:3], v[6:7]
	s_waitcnt vmcnt(0)
	v_pk_fma_f32 v[6:7], v[10:11], v[44:45], v[4:5] op_sel:[0,0,1] op_sel_hi:[1,1,0] neg_lo:[0,0,1] neg_hi:[0,0,1]
	v_pk_fma_f32 v[4:5], v[10:11], v[44:45], v[4:5] op_sel:[0,0,1] op_sel_hi:[1,0,0]
	v_mov_b32_e32 v4, v43
	v_mov_b32_e32 v7, v5
	s_waitcnt lgkmcnt(0)
	v_pk_mul_f32 v[4:5], v[12:13], v[4:5] op_sel_hi:[1,0]
	v_pk_add_f32 v[2:3], v[2:3], v[6:7]
	v_pk_fma_f32 v[6:7], v[12:13], v[42:43], v[4:5] op_sel:[0,0,1] op_sel_hi:[1,1,0] neg_lo:[0,0,1] neg_hi:[0,0,1]
	v_pk_fma_f32 v[4:5], v[12:13], v[42:43], v[4:5] op_sel:[0,0,1] op_sel_hi:[1,0,0]
	v_mov_b32_e32 v4, v41
	v_mov_b32_e32 v7, v5
	v_pk_mul_f32 v[4:5], v[14:15], v[4:5] op_sel_hi:[1,0]
	v_pk_add_f32 v[2:3], v[2:3], v[6:7]
	v_pk_fma_f32 v[6:7], v[14:15], v[40:41], v[4:5] op_sel:[0,0,1] op_sel_hi:[1,1,0] neg_lo:[0,0,1] neg_hi:[0,0,1]
	v_pk_fma_f32 v[4:5], v[14:15], v[40:41], v[4:5] op_sel:[0,0,1] op_sel_hi:[1,0,0]
	v_mov_b32_e32 v7, v5
	v_pk_add_f32 v[2:3], v[2:3], v[6:7]
	v_pk_add_f32 v[2:3], v[28:29], v[2:3] neg_lo:[0,1] neg_hi:[0,1]
	buffer_store_dword v3, off, s[0:3], 0 offset:196
	buffer_store_dword v2, off, s[0:3], 0 offset:192
	s_and_saveexec_b64 s[4:5], vcc
	s_cbranch_execz .LBB42_225
; %bb.224:
	buffer_load_dword v2, off, s[0:3], 0 offset:184
	buffer_load_dword v3, off, s[0:3], 0 offset:188
	v_mov_b32_e32 v4, 0
	buffer_store_dword v4, off, s[0:3], 0 offset:184
	buffer_store_dword v4, off, s[0:3], 0 offset:188
	s_waitcnt vmcnt(2)
	ds_write_b64 v1, v[2:3]
.LBB42_225:
	s_or_b64 exec, exec, s[4:5]
	s_waitcnt lgkmcnt(0)
	; wave barrier
	s_waitcnt lgkmcnt(0)
	buffer_load_dword v3, off, s[0:3], 0 offset:196
	buffer_load_dword v46, off, s[0:3], 0 offset:204
	;; [unrolled: 1-line block ×40, first 2 shown]
	v_mov_b32_e32 v2, 0
	ds_read_b128 v[4:7], v2 offset:544
	ds_read_b128 v[8:11], v2 offset:560
	;; [unrolled: 1-line block ×6, first 2 shown]
	v_cmp_lt_u32_e32 vcc, 22, v0
	s_waitcnt vmcnt(39) lgkmcnt(5)
	v_mul_f32_e32 v155, v4, v3
	s_waitcnt vmcnt(38)
	v_mul_f32_e32 v156, v6, v46
	v_mul_f32_e32 v3, v5, v3
	s_waitcnt vmcnt(37) lgkmcnt(4)
	v_mul_f32_e32 v157, v8, v48
	v_mul_f32_e32 v46, v7, v46
	s_waitcnt vmcnt(36)
	v_mul_f32_e32 v158, v10, v50
	s_waitcnt vmcnt(35) lgkmcnt(3)
	v_mul_f32_e32 v159, v12, v52
	s_waitcnt vmcnt(34)
	v_mul_f32_e32 v160, v14, v53
	s_waitcnt vmcnt(33) lgkmcnt(2)
	v_mul_f32_e32 v161, v16, v54
	s_waitcnt vmcnt(32)
	v_mul_f32_e32 v162, v18, v55
	s_waitcnt vmcnt(31) lgkmcnt(1)
	v_mul_f32_e32 v163, v20, v56
	s_waitcnt vmcnt(28)
	v_fmac_f32_e32 v155, v5, v51
	s_waitcnt vmcnt(27)
	v_fmac_f32_e32 v156, v7, v59
	v_fma_f32 v3, v4, v51, -v3
	v_add_f32_e32 v7, 0, v155
	s_waitcnt vmcnt(26)
	v_fmac_f32_e32 v157, v9, v60
	v_fma_f32 v4, v6, v59, -v46
	v_add_f32_e32 v3, 0, v3
	v_add_f32_e32 v7, v7, v156
	s_waitcnt vmcnt(25)
	v_fmac_f32_e32 v158, v11, v61
	v_add_f32_e32 v3, v3, v4
	v_add_f32_e32 v4, v7, v157
	s_waitcnt vmcnt(24)
	v_fmac_f32_e32 v159, v13, v62
	v_add_f32_e32 v4, v4, v158
	s_waitcnt vmcnt(23)
	v_fmac_f32_e32 v160, v15, v63
	;; [unrolled: 3-line block ×3, first 2 shown]
	v_add_f32_e32 v4, v4, v160
	v_mul_f32_e32 v48, v9, v48
	s_waitcnt vmcnt(21)
	v_fmac_f32_e32 v162, v19, v65
	v_add_f32_e32 v4, v4, v161
	v_mul_f32_e32 v50, v11, v50
	s_waitcnt vmcnt(20)
	v_fmac_f32_e32 v163, v21, v152
	v_fma_f32 v5, v8, v60, -v48
	v_add_f32_e32 v4, v4, v162
	v_fma_f32 v6, v10, v61, -v50
	v_add_f32_e32 v3, v3, v5
	v_add_f32_e32 v51, v4, v163
	v_mul_f32_e32 v4, v13, v52
	v_add_f32_e32 v3, v3, v6
	v_fma_f32 v4, v12, v62, -v4
	v_add_f32_e32 v3, v3, v4
	v_mul_f32_e32 v4, v15, v53
	v_fma_f32 v4, v14, v63, -v4
	v_add_f32_e32 v3, v3, v4
	v_mul_f32_e32 v4, v17, v54
	;; [unrolled: 3-line block ×4, first 2 shown]
	v_fma_f32 v4, v20, v152, -v4
	s_waitcnt vmcnt(9)
	v_mov_b32_e32 v20, v37
	v_mul_f32_e32 v47, v22, v57
	v_add_f32_e32 v50, v3, v4
	v_mul_f32_e32 v3, v23, v57
	s_waitcnt lgkmcnt(0)
	v_pk_mul_f32 v[20:21], v[26:27], v[20:21] op_sel_hi:[1,0]
	v_mul_f32_e32 v49, v24, v58
	v_fmac_f32_e32 v47, v23, v153
	v_fma_f32 v46, v22, v153, -v3
	v_mul_f32_e32 v3, v25, v58
	ds_read_b128 v[4:7], v2 offset:640
	ds_read_b128 v[8:11], v2 offset:656
	;; [unrolled: 1-line block ×3, first 2 shown]
	ds_read_b64 v[16:17], v2 offset:688
	s_waitcnt vmcnt(8)
	v_pk_fma_f32 v[22:23], v[26:27], v[36:37], v[20:21] op_sel:[0,0,1] op_sel_hi:[1,1,0] neg_lo:[0,0,1] neg_hi:[0,0,1]
	v_pk_fma_f32 v[20:21], v[26:27], v[36:37], v[20:21] op_sel:[0,0,1] op_sel_hi:[1,0,0]
	v_fmac_f32_e32 v49, v25, v154
	v_fma_f32 v48, v24, v154, -v3
	v_pk_add_f32 v[18:19], v[50:51], v[46:47]
	v_mov_b32_e32 v20, v35
	v_pk_add_f32 v[18:19], v[18:19], v[48:49]
	v_mov_b32_e32 v23, v21
	s_waitcnt lgkmcnt(3)
	v_pk_mul_f32 v[20:21], v[4:5], v[20:21] op_sel_hi:[1,0]
	v_pk_add_f32 v[18:19], v[18:19], v[22:23]
	v_pk_fma_f32 v[22:23], v[4:5], v[34:35], v[20:21] op_sel:[0,0,1] op_sel_hi:[1,1,0] neg_lo:[0,0,1] neg_hi:[0,0,1]
	v_pk_fma_f32 v[4:5], v[4:5], v[34:35], v[20:21] op_sel:[0,0,1] op_sel_hi:[1,0,0]
	v_mov_b32_e32 v23, v5
	v_pk_add_f32 v[4:5], v[18:19], v[22:23]
	v_mov_b32_e32 v18, v33
	v_pk_mul_f32 v[18:19], v[6:7], v[18:19] op_sel_hi:[1,0]
	v_pk_fma_f32 v[20:21], v[6:7], v[32:33], v[18:19] op_sel:[0,0,1] op_sel_hi:[1,1,0] neg_lo:[0,0,1] neg_hi:[0,0,1]
	v_pk_fma_f32 v[6:7], v[6:7], v[32:33], v[18:19] op_sel:[0,0,1] op_sel_hi:[1,0,0]
	v_mov_b32_e32 v6, v31
	v_mov_b32_e32 v21, v7
	s_waitcnt lgkmcnt(2)
	v_pk_mul_f32 v[6:7], v[8:9], v[6:7] op_sel_hi:[1,0]
	v_pk_fma_f32 v[18:19], v[8:9], v[30:31], v[6:7] op_sel:[0,0,1] op_sel_hi:[1,1,0] neg_lo:[0,0,1] neg_hi:[0,0,1]
	v_pk_fma_f32 v[6:7], v[8:9], v[30:31], v[6:7] op_sel:[0,0,1] op_sel_hi:[1,0,0]
	s_waitcnt vmcnt(1)
	v_mov_b32_e32 v6, v45
	v_mov_b32_e32 v19, v7
	v_pk_mul_f32 v[6:7], v[10:11], v[6:7] op_sel_hi:[1,0]
	s_waitcnt vmcnt(0)
	v_pk_fma_f32 v[8:9], v[10:11], v[44:45], v[6:7] op_sel:[0,0,1] op_sel_hi:[1,1,0] neg_lo:[0,0,1] neg_hi:[0,0,1]
	v_pk_fma_f32 v[6:7], v[10:11], v[44:45], v[6:7] op_sel:[0,0,1] op_sel_hi:[1,0,0]
	v_pk_add_f32 v[4:5], v[4:5], v[20:21]
	v_mov_b32_e32 v6, v43
	v_pk_add_f32 v[4:5], v[4:5], v[18:19]
	v_mov_b32_e32 v9, v7
	s_waitcnt lgkmcnt(1)
	v_pk_mul_f32 v[6:7], v[12:13], v[6:7] op_sel_hi:[1,0]
	v_pk_add_f32 v[4:5], v[4:5], v[8:9]
	v_pk_fma_f32 v[8:9], v[12:13], v[42:43], v[6:7] op_sel:[0,0,1] op_sel_hi:[1,1,0] neg_lo:[0,0,1] neg_hi:[0,0,1]
	v_pk_fma_f32 v[6:7], v[12:13], v[42:43], v[6:7] op_sel:[0,0,1] op_sel_hi:[1,0,0]
	v_mov_b32_e32 v6, v41
	v_mov_b32_e32 v9, v7
	v_pk_mul_f32 v[6:7], v[14:15], v[6:7] op_sel_hi:[1,0]
	v_pk_add_f32 v[4:5], v[4:5], v[8:9]
	v_pk_fma_f32 v[8:9], v[14:15], v[40:41], v[6:7] op_sel:[0,0,1] op_sel_hi:[1,1,0] neg_lo:[0,0,1] neg_hi:[0,0,1]
	v_pk_fma_f32 v[6:7], v[14:15], v[40:41], v[6:7] op_sel:[0,0,1] op_sel_hi:[1,0,0]
	v_mov_b32_e32 v6, v39
	v_mov_b32_e32 v9, v7
	s_waitcnt lgkmcnt(0)
	v_pk_mul_f32 v[6:7], v[16:17], v[6:7] op_sel_hi:[1,0]
	v_pk_add_f32 v[4:5], v[4:5], v[8:9]
	v_pk_fma_f32 v[8:9], v[16:17], v[38:39], v[6:7] op_sel:[0,0,1] op_sel_hi:[1,1,0] neg_lo:[0,0,1] neg_hi:[0,0,1]
	v_pk_fma_f32 v[6:7], v[16:17], v[38:39], v[6:7] op_sel:[0,0,1] op_sel_hi:[1,0,0]
	v_mov_b32_e32 v9, v7
	v_pk_add_f32 v[4:5], v[4:5], v[8:9]
	v_pk_add_f32 v[4:5], v[28:29], v[4:5] neg_lo:[0,1] neg_hi:[0,1]
	buffer_store_dword v5, off, s[0:3], 0 offset:188
	buffer_store_dword v4, off, s[0:3], 0 offset:184
	s_and_saveexec_b64 s[4:5], vcc
	s_cbranch_execz .LBB42_227
; %bb.226:
	buffer_load_dword v4, off, s[0:3], 0 offset:176
	buffer_load_dword v5, off, s[0:3], 0 offset:180
	s_waitcnt vmcnt(0)
	ds_write_b64 v1, v[4:5]
	buffer_store_dword v2, off, s[0:3], 0 offset:176
	buffer_store_dword v2, off, s[0:3], 0 offset:180
.LBB42_227:
	s_or_b64 exec, exec, s[4:5]
	s_waitcnt lgkmcnt(0)
	; wave barrier
	s_waitcnt lgkmcnt(0)
	buffer_load_dword v3, off, s[0:3], 0 offset:188
	buffer_load_dword v46, off, s[0:3], 0 offset:196
	;; [unrolled: 1-line block ×26, first 2 shown]
	ds_read2_b64 v[4:7], v2 offset0:67 offset1:68
	ds_read2_b64 v[8:11], v2 offset0:69 offset1:70
	;; [unrolled: 1-line block ×6, first 2 shown]
	buffer_load_dword v31, off, s[0:3], 0 offset:300
	buffer_load_dword v30, off, s[0:3], 0 offset:296
	;; [unrolled: 1-line block ×16, first 2 shown]
	v_cmp_lt_u32_e32 vcc, 21, v0
	s_waitcnt vmcnt(41) lgkmcnt(5)
	v_mul_f32_e32 v157, v4, v3
	s_waitcnt vmcnt(40)
	v_mul_f32_e32 v158, v6, v46
	v_mul_f32_e32 v3, v5, v3
	;; [unrolled: 1-line block ×3, first 2 shown]
	s_waitcnt vmcnt(39) lgkmcnt(4)
	v_mul_f32_e32 v159, v8, v48
	s_waitcnt vmcnt(38)
	v_mul_f32_e32 v160, v10, v50
	s_waitcnt vmcnt(37) lgkmcnt(3)
	v_mul_f32_e32 v161, v12, v52
	s_waitcnt vmcnt(36)
	v_mul_f32_e32 v162, v14, v53
	;; [unrolled: 4-line block ×4, first 2 shown]
	s_waitcnt vmcnt(29)
	v_fmac_f32_e32 v157, v5, v51
	s_waitcnt vmcnt(28)
	v_fmac_f32_e32 v158, v7, v60
	v_fma_f32 v3, v4, v51, -v3
	v_fma_f32 v4, v6, v60, -v46
	v_add_f32_e32 v6, 0, v157
	s_waitcnt vmcnt(27)
	v_fmac_f32_e32 v159, v9, v61
	v_add_f32_e32 v3, 0, v3
	v_add_f32_e32 v6, v6, v158
	s_waitcnt vmcnt(26)
	v_fmac_f32_e32 v160, v11, v62
	v_add_f32_e32 v3, v3, v4
	;; [unrolled: 4-line block ×3, first 2 shown]
	s_waitcnt vmcnt(24)
	v_fmac_f32_e32 v162, v15, v64
	v_add_f32_e32 v4, v4, v161
	s_waitcnt vmcnt(23)
	v_fmac_f32_e32 v163, v17, v65
	v_add_f32_e32 v4, v4, v162
	;; [unrolled: 3-line block ×4, first 2 shown]
	v_mul_f32_e32 v48, v9, v48
	s_waitcnt vmcnt(20)
	v_fmac_f32_e32 v166, v23, v154
	v_add_f32_e32 v4, v4, v165
	v_fma_f32 v5, v8, v61, -v48
	v_add_f32_e32 v51, v4, v166
	v_mul_f32_e32 v4, v11, v50
	v_add_f32_e32 v3, v3, v5
	v_fma_f32 v4, v10, v62, -v4
	v_add_f32_e32 v3, v3, v4
	v_mul_f32_e32 v4, v13, v52
	v_fma_f32 v4, v12, v63, -v4
	v_add_f32_e32 v3, v3, v4
	v_mul_f32_e32 v4, v15, v53
	;; [unrolled: 3-line block ×6, first 2 shown]
	v_fma_f32 v4, v22, v154, -v4
	v_add_f32_e32 v50, v3, v4
	ds_read2_b64 v[4:7], v2 offset0:79 offset1:80
	ds_read2_b64 v[8:11], v2 offset0:81 offset1:82
	;; [unrolled: 1-line block ×4, first 2 shown]
	s_waitcnt vmcnt(11)
	v_mov_b32_e32 v20, v35
	s_waitcnt lgkmcnt(3)
	v_pk_mul_f32 v[20:21], v[4:5], v[20:21] op_sel_hi:[1,0]
	s_waitcnt vmcnt(10)
	v_pk_fma_f32 v[22:23], v[4:5], v[34:35], v[20:21] op_sel:[0,0,1] op_sel_hi:[1,1,0] neg_lo:[0,0,1] neg_hi:[0,0,1]
	v_pk_fma_f32 v[4:5], v[4:5], v[34:35], v[20:21] op_sel:[0,0,1] op_sel_hi:[1,0,0]
	v_mov_b32_e32 v4, v33
	v_mov_b32_e32 v23, v5
	v_pk_mul_f32 v[4:5], v[6:7], v[4:5] op_sel_hi:[1,0]
	v_mul_f32_e32 v47, v24, v58
	v_mul_f32_e32 v3, v25, v58
	v_pk_fma_f32 v[20:21], v[6:7], v[32:33], v[4:5] op_sel:[0,0,1] op_sel_hi:[1,1,0] neg_lo:[0,0,1] neg_hi:[0,0,1]
	v_pk_fma_f32 v[4:5], v[6:7], v[32:33], v[4:5] op_sel:[0,0,1] op_sel_hi:[1,0,0]
	v_mul_f32_e32 v49, v26, v59
	v_fmac_f32_e32 v47, v25, v155
	v_fma_f32 v46, v24, v155, -v3
	v_mul_f32_e32 v3, v27, v59
	v_mov_b32_e32 v4, v31
	v_fmac_f32_e32 v49, v27, v156
	v_fma_f32 v48, v26, v156, -v3
	v_pk_add_f32 v[2:3], v[50:51], v[46:47]
	v_mov_b32_e32 v21, v5
	s_waitcnt lgkmcnt(2)
	v_pk_mul_f32 v[4:5], v[8:9], v[4:5] op_sel_hi:[1,0]
	v_pk_add_f32 v[2:3], v[2:3], v[48:49]
	v_pk_fma_f32 v[6:7], v[8:9], v[30:31], v[4:5] op_sel:[0,0,1] op_sel_hi:[1,1,0] neg_lo:[0,0,1] neg_hi:[0,0,1]
	v_pk_fma_f32 v[4:5], v[8:9], v[30:31], v[4:5] op_sel:[0,0,1] op_sel_hi:[1,0,0]
	v_pk_add_f32 v[2:3], v[2:3], v[22:23]
	s_waitcnt vmcnt(3)
	v_mov_b32_e32 v4, v43
	v_pk_add_f32 v[2:3], v[2:3], v[20:21]
	v_mov_b32_e32 v7, v5
	v_pk_mul_f32 v[4:5], v[10:11], v[4:5] op_sel_hi:[1,0]
	v_pk_add_f32 v[2:3], v[2:3], v[6:7]
	s_waitcnt vmcnt(2)
	v_pk_fma_f32 v[6:7], v[10:11], v[42:43], v[4:5] op_sel:[0,0,1] op_sel_hi:[1,1,0] neg_lo:[0,0,1] neg_hi:[0,0,1]
	v_pk_fma_f32 v[4:5], v[10:11], v[42:43], v[4:5] op_sel:[0,0,1] op_sel_hi:[1,0,0]
	v_mov_b32_e32 v4, v41
	v_mov_b32_e32 v7, v5
	s_waitcnt lgkmcnt(1)
	v_pk_mul_f32 v[4:5], v[12:13], v[4:5] op_sel_hi:[1,0]
	v_pk_add_f32 v[2:3], v[2:3], v[6:7]
	v_pk_fma_f32 v[6:7], v[12:13], v[40:41], v[4:5] op_sel:[0,0,1] op_sel_hi:[1,1,0] neg_lo:[0,0,1] neg_hi:[0,0,1]
	v_pk_fma_f32 v[4:5], v[12:13], v[40:41], v[4:5] op_sel:[0,0,1] op_sel_hi:[1,0,0]
	v_mov_b32_e32 v4, v39
	v_mov_b32_e32 v7, v5
	v_pk_mul_f32 v[4:5], v[14:15], v[4:5] op_sel_hi:[1,0]
	v_pk_add_f32 v[2:3], v[2:3], v[6:7]
	v_pk_fma_f32 v[6:7], v[14:15], v[38:39], v[4:5] op_sel:[0,0,1] op_sel_hi:[1,1,0] neg_lo:[0,0,1] neg_hi:[0,0,1]
	v_pk_fma_f32 v[4:5], v[14:15], v[38:39], v[4:5] op_sel:[0,0,1] op_sel_hi:[1,0,0]
	v_mov_b32_e32 v4, v37
	v_mov_b32_e32 v7, v5
	s_waitcnt lgkmcnt(0)
	v_pk_mul_f32 v[4:5], v[16:17], v[4:5] op_sel_hi:[1,0]
	v_pk_add_f32 v[2:3], v[2:3], v[6:7]
	v_pk_fma_f32 v[6:7], v[16:17], v[36:37], v[4:5] op_sel:[0,0,1] op_sel_hi:[1,1,0] neg_lo:[0,0,1] neg_hi:[0,0,1]
	v_pk_fma_f32 v[4:5], v[16:17], v[36:37], v[4:5] op_sel:[0,0,1] op_sel_hi:[1,0,0]
	s_waitcnt vmcnt(1)
	v_mov_b32_e32 v4, v45
	v_mov_b32_e32 v7, v5
	v_pk_mul_f32 v[4:5], v[18:19], v[4:5] op_sel_hi:[1,0]
	v_pk_add_f32 v[2:3], v[2:3], v[6:7]
	s_waitcnt vmcnt(0)
	v_pk_fma_f32 v[6:7], v[18:19], v[44:45], v[4:5] op_sel:[0,0,1] op_sel_hi:[1,1,0] neg_lo:[0,0,1] neg_hi:[0,0,1]
	v_pk_fma_f32 v[4:5], v[18:19], v[44:45], v[4:5] op_sel:[0,0,1] op_sel_hi:[1,0,0]
	v_mov_b32_e32 v7, v5
	v_pk_add_f32 v[2:3], v[2:3], v[6:7]
	v_pk_add_f32 v[2:3], v[28:29], v[2:3] neg_lo:[0,1] neg_hi:[0,1]
	buffer_store_dword v3, off, s[0:3], 0 offset:180
	buffer_store_dword v2, off, s[0:3], 0 offset:176
	s_and_saveexec_b64 s[4:5], vcc
	s_cbranch_execz .LBB42_229
; %bb.228:
	buffer_load_dword v2, off, s[0:3], 0 offset:168
	buffer_load_dword v3, off, s[0:3], 0 offset:172
	v_mov_b32_e32 v4, 0
	buffer_store_dword v4, off, s[0:3], 0 offset:168
	buffer_store_dword v4, off, s[0:3], 0 offset:172
	s_waitcnt vmcnt(2)
	ds_write_b64 v1, v[2:3]
.LBB42_229:
	s_or_b64 exec, exec, s[4:5]
	v_mov_b32_e32 v12, 0
	s_waitcnt lgkmcnt(0)
	; wave barrier
	s_waitcnt lgkmcnt(0)
	ds_read_b128 v[14:17], v12 offset:528
	ds_read_b128 v[18:21], v12 offset:544
	;; [unrolled: 1-line block ×4, first 2 shown]
	buffer_load_dword v6, off, s[0:3], 0 offset:168
	buffer_load_dword v7, off, s[0:3], 0 offset:172
	buffer_load_dword v8, off, s[0:3], 0 offset:176
	buffer_load_dword v10, off, s[0:3], 0 offset:180
	buffer_load_dword v13, off, s[0:3], 0 offset:184
	buffer_load_dword v38, off, s[0:3], 0 offset:188
	buffer_load_dword v56, off, s[0:3], 0 offset:192
	buffer_load_dword v57, off, s[0:3], 0 offset:196
	buffer_load_dword v58, off, s[0:3], 0 offset:200
	buffer_load_dword v59, off, s[0:3], 0 offset:204
	buffer_load_dword v60, off, s[0:3], 0 offset:208
	buffer_load_dword v61, off, s[0:3], 0 offset:212
	buffer_load_dword v62, off, s[0:3], 0 offset:216
	buffer_load_dword v63, off, s[0:3], 0 offset:220
	buffer_load_dword v64, off, s[0:3], 0 offset:224
	buffer_load_dword v65, off, s[0:3], 0 offset:228
	buffer_load_dword v152, off, s[0:3], 0 offset:232
	buffer_load_dword v153, off, s[0:3], 0 offset:236
	ds_read_b128 v[30:33], v12 offset:592
	buffer_load_dword v154, off, s[0:3], 0 offset:240
	buffer_load_dword v155, off, s[0:3], 0 offset:244
	;; [unrolled: 1-line block ×4, first 2 shown]
	ds_read_b128 v[34:37], v12 offset:608
	buffer_load_dword v158, off, s[0:3], 0 offset:256
	buffer_load_dword v159, off, s[0:3], 0 offset:260
	;; [unrolled: 1-line block ×4, first 2 shown]
	v_cmp_lt_u32_e32 vcc, 20, v0
	s_waitcnt vmcnt(22) lgkmcnt(5)
	v_mul_f32_e32 v2, v14, v10
	v_fmac_f32_e32 v2, v15, v8
	s_waitcnt vmcnt(20)
	v_mul_f32_e32 v3, v16, v38
	v_add_f32_e32 v2, 0, v2
	v_fmac_f32_e32 v3, v17, v13
	v_add_f32_e32 v2, v2, v3
	s_waitcnt vmcnt(18) lgkmcnt(4)
	v_mul_f32_e32 v3, v18, v57
	v_fmac_f32_e32 v3, v19, v56
	v_add_f32_e32 v2, v2, v3
	s_waitcnt vmcnt(16)
	v_mul_f32_e32 v3, v20, v59
	v_fmac_f32_e32 v3, v21, v58
	v_add_f32_e32 v2, v2, v3
	s_waitcnt vmcnt(14) lgkmcnt(3)
	v_mul_f32_e32 v3, v22, v61
	v_fmac_f32_e32 v3, v23, v60
	v_add_f32_e32 v2, v2, v3
	s_waitcnt vmcnt(12)
	v_mul_f32_e32 v3, v24, v63
	;; [unrolled: 8-line block ×4, first 2 shown]
	v_fmac_f32_e32 v3, v33, v156
	v_add_f32_e32 v2, v2, v3
	s_waitcnt vmcnt(2) lgkmcnt(0)
	v_mul_f32_e32 v3, v34, v159
	v_fmac_f32_e32 v3, v35, v158
	v_add_f32_e32 v9, v2, v3
	ds_read_b128 v[2:5], v12 offset:624
	buffer_load_dword v162, off, s[0:3], 0 offset:272
	buffer_load_dword v163, off, s[0:3], 0 offset:276
	;; [unrolled: 1-line block ×18, first 2 shown]
	v_mul_f32_e32 v10, v15, v10
	v_fma_f32 v8, v14, v8, -v10
	v_mul_f32_e32 v10, v17, v38
	v_add_f32_e32 v8, 0, v8
	v_fma_f32 v10, v16, v13, -v10
	v_add_f32_e32 v8, v8, v10
	v_mul_f32_e32 v10, v19, v57
	v_fma_f32 v10, v18, v56, -v10
	v_add_f32_e32 v8, v8, v10
	v_mul_f32_e32 v10, v21, v59
	;; [unrolled: 3-line block ×9, first 2 shown]
	v_fma_f32 v10, v34, v158, -v10
	s_waitcnt vmcnt(18)
	v_mul_f32_e32 v11, v36, v161
	v_add_f32_e32 v8, v8, v10
	v_mul_f32_e32 v10, v37, v161
	v_fmac_f32_e32 v11, v37, v160
	v_fma_f32 v10, v36, v160, -v10
	v_pk_add_f32 v[8:9], v[8:9], v[10:11]
	s_waitcnt vmcnt(15)
	v_mov_b32_e32 v10, v41
	s_waitcnt lgkmcnt(0)
	v_pk_mul_f32 v[10:11], v[4:5], v[10:11] op_sel_hi:[1,0]
	s_waitcnt vmcnt(14)
	v_pk_fma_f32 v[26:27], v[4:5], v[40:41], v[10:11] op_sel:[0,0,1] op_sel_hi:[1,1,0] neg_lo:[0,0,1] neg_hi:[0,0,1]
	v_pk_fma_f32 v[4:5], v[4:5], v[40:41], v[10:11] op_sel:[0,0,1] op_sel_hi:[1,0,0]
	v_mov_b32_e32 v27, v5
	v_mul_f32_e32 v39, v2, v163
	v_fmac_f32_e32 v39, v3, v162
	v_mul_f32_e32 v3, v3, v163
	v_fma_f32 v38, v2, v162, -v3
	ds_read_b128 v[14:17], v12 offset:640
	ds_read_b128 v[18:21], v12 offset:656
	;; [unrolled: 1-line block ×3, first 2 shown]
	ds_read_b64 v[2:3], v12 offset:688
	v_pk_add_f32 v[8:9], v[8:9], v[38:39]
	v_pk_add_f32 v[4:5], v[8:9], v[26:27]
	s_waitcnt vmcnt(13)
	v_mov_b32_e32 v8, v43
	s_waitcnt lgkmcnt(3)
	v_pk_mul_f32 v[8:9], v[14:15], v[8:9] op_sel_hi:[1,0]
	s_waitcnt vmcnt(12)
	v_pk_fma_f32 v[10:11], v[14:15], v[42:43], v[8:9] op_sel:[0,0,1] op_sel_hi:[1,1,0] neg_lo:[0,0,1] neg_hi:[0,0,1]
	v_pk_fma_f32 v[8:9], v[14:15], v[42:43], v[8:9] op_sel:[0,0,1] op_sel_hi:[1,0,0]
	s_waitcnt vmcnt(11)
	v_mov_b32_e32 v8, v45
	v_mov_b32_e32 v11, v9
	v_pk_mul_f32 v[8:9], v[16:17], v[8:9] op_sel_hi:[1,0]
	v_pk_add_f32 v[4:5], v[4:5], v[10:11]
	s_waitcnt vmcnt(10)
	v_pk_fma_f32 v[10:11], v[16:17], v[44:45], v[8:9] op_sel:[0,0,1] op_sel_hi:[1,1,0] neg_lo:[0,0,1] neg_hi:[0,0,1]
	v_pk_fma_f32 v[8:9], v[16:17], v[44:45], v[8:9] op_sel:[0,0,1] op_sel_hi:[1,0,0]
	s_waitcnt vmcnt(9)
	v_mov_b32_e32 v8, v47
	v_mov_b32_e32 v11, v9
	s_waitcnt lgkmcnt(2)
	v_pk_mul_f32 v[8:9], v[18:19], v[8:9] op_sel_hi:[1,0]
	v_pk_add_f32 v[4:5], v[4:5], v[10:11]
	s_waitcnt vmcnt(8)
	v_pk_fma_f32 v[10:11], v[18:19], v[46:47], v[8:9] op_sel:[0,0,1] op_sel_hi:[1,1,0] neg_lo:[0,0,1] neg_hi:[0,0,1]
	v_pk_fma_f32 v[8:9], v[18:19], v[46:47], v[8:9] op_sel:[0,0,1] op_sel_hi:[1,0,0]
	s_waitcnt vmcnt(7)
	v_mov_b32_e32 v8, v49
	v_mov_b32_e32 v11, v9
	v_pk_mul_f32 v[8:9], v[20:21], v[8:9] op_sel_hi:[1,0]
	v_pk_add_f32 v[4:5], v[4:5], v[10:11]
	s_waitcnt vmcnt(6)
	v_pk_fma_f32 v[10:11], v[20:21], v[48:49], v[8:9] op_sel:[0,0,1] op_sel_hi:[1,1,0] neg_lo:[0,0,1] neg_hi:[0,0,1]
	v_pk_fma_f32 v[8:9], v[20:21], v[48:49], v[8:9] op_sel:[0,0,1] op_sel_hi:[1,0,0]
	s_waitcnt vmcnt(5)
	v_mov_b32_e32 v8, v51
	v_mov_b32_e32 v11, v9
	s_waitcnt lgkmcnt(1)
	v_pk_mul_f32 v[8:9], v[22:23], v[8:9] op_sel_hi:[1,0]
	v_pk_add_f32 v[4:5], v[4:5], v[10:11]
	;; [unrolled: 17-line block ×3, first 2 shown]
	s_waitcnt vmcnt(0)
	v_pk_fma_f32 v[10:11], v[2:3], v[54:55], v[8:9] op_sel:[0,0,1] op_sel_hi:[1,1,0] neg_lo:[0,0,1] neg_hi:[0,0,1]
	v_pk_fma_f32 v[2:3], v[2:3], v[54:55], v[8:9] op_sel:[0,0,1] op_sel_hi:[1,0,0]
	v_mov_b32_e32 v11, v3
	v_pk_add_f32 v[2:3], v[4:5], v[10:11]
	v_pk_add_f32 v[2:3], v[6:7], v[2:3] neg_lo:[0,1] neg_hi:[0,1]
	buffer_store_dword v3, off, s[0:3], 0 offset:172
	buffer_store_dword v2, off, s[0:3], 0 offset:168
	s_and_saveexec_b64 s[4:5], vcc
	s_cbranch_execz .LBB42_231
; %bb.230:
	buffer_load_dword v2, off, s[0:3], 0 offset:160
	buffer_load_dword v3, off, s[0:3], 0 offset:164
	s_waitcnt vmcnt(0)
	ds_write_b64 v1, v[2:3]
	buffer_store_dword v12, off, s[0:3], 0 offset:160
	buffer_store_dword v12, off, s[0:3], 0 offset:164
.LBB42_231:
	s_or_b64 exec, exec, s[4:5]
	s_waitcnt lgkmcnt(0)
	; wave barrier
	s_waitcnt lgkmcnt(0)
	buffer_load_dword v10, off, s[0:3], 0 offset:172
	buffer_load_dword v11, off, s[0:3], 0 offset:180
	;; [unrolled: 1-line block ×30, first 2 shown]
	ds_read2_b64 v[2:5], v12 offset0:65 offset1:66
	ds_read2_b64 v[6:9], v12 offset0:67 offset1:68
	;; [unrolled: 1-line block ×6, first 2 shown]
	buffer_load_dword v41, off, s[0:3], 0 offset:284
	buffer_load_dword v40, off, s[0:3], 0 offset:280
	ds_read2_b64 v[30:33], v12 offset0:77 offset1:78
	ds_read2_b64 v[34:37], v12 offset0:79 offset1:80
	buffer_load_dword v43, off, s[0:3], 0 offset:316
	buffer_load_dword v42, off, s[0:3], 0 offset:312
	;; [unrolled: 1-line block ×14, first 2 shown]
	v_cmp_lt_u32_e32 vcc, 19, v0
	s_waitcnt vmcnt(45) lgkmcnt(7)
	v_mul_f32_e32 v59, v2, v10
	s_waitcnt vmcnt(44)
	v_mul_f32_e32 v61, v4, v11
	s_waitcnt vmcnt(43) lgkmcnt(6)
	v_mul_f32_e32 v170, v6, v13
	s_waitcnt vmcnt(42)
	v_mul_f32_e32 v171, v8, v56
	;; [unrolled: 4-line block ×6, first 2 shown]
	s_waitcnt vmcnt(33) lgkmcnt(1)
	v_mul_f32_e32 v57, v30, v154
	s_waitcnt vmcnt(32)
	v_fmac_f32_e32 v59, v3, v155
	v_mul_f32_e32 v3, v3, v10
	v_fma_f32 v2, v2, v155, -v3
	v_mul_f32_e32 v3, v5, v11
	v_add_f32_e32 v2, 0, v2
	s_waitcnt vmcnt(31)
	v_fma_f32 v3, v4, v156, -v3
	v_add_f32_e32 v2, v2, v3
	v_mul_f32_e32 v3, v7, v13
	s_waitcnt vmcnt(30)
	v_fma_f32 v3, v6, v157, -v3
	v_add_f32_e32 v2, v2, v3
	v_mul_f32_e32 v3, v9, v56
	;; [unrolled: 4-line block ×5, first 2 shown]
	s_waitcnt vmcnt(26)
	v_fma_f32 v3, v18, v161, -v3
	v_fmac_f32_e32 v61, v5, v156
	v_add_f32_e32 v59, 0, v59
	v_add_f32_e32 v2, v2, v3
	v_mul_f32_e32 v3, v21, v63
	v_fmac_f32_e32 v170, v7, v157
	v_add_f32_e32 v59, v59, v61
	s_waitcnt vmcnt(25)
	v_fma_f32 v3, v20, v162, -v3
	v_fmac_f32_e32 v171, v9, v158
	v_add_f32_e32 v59, v59, v170
	v_add_f32_e32 v2, v2, v3
	v_mul_f32_e32 v3, v23, v64
	v_fmac_f32_e32 v172, v15, v159
	v_add_f32_e32 v59, v59, v171
	;; [unrolled: 8-line block ×5, first 2 shown]
	s_waitcnt vmcnt(21)
	v_fma_f32 v3, v28, v166, -v3
	s_waitcnt vmcnt(15)
	v_mov_b32_e32 v16, v41
	v_fmac_f32_e32 v179, v29, v166
	v_add_f32_e32 v59, v59, v178
	v_add_f32_e32 v58, v2, v3
	v_mul_f32_e32 v2, v31, v154
	s_waitcnt lgkmcnt(0)
	v_pk_mul_f32 v[16:17], v[34:35], v[16:17] op_sel_hi:[1,0]
	v_fmac_f32_e32 v57, v31, v167
	v_add_f32_e32 v59, v59, v179
	v_mul_f32_e32 v61, v32, v168
	v_fma_f32 v56, v30, v167, -v2
	v_mul_f32_e32 v2, v33, v168
	s_waitcnt vmcnt(14)
	v_pk_fma_f32 v[18:19], v[34:35], v[40:41], v[16:17] op_sel:[0,0,1] op_sel_hi:[1,1,0] neg_lo:[0,0,1] neg_hi:[0,0,1]
	v_pk_fma_f32 v[16:17], v[34:35], v[40:41], v[16:17] op_sel:[0,0,1] op_sel_hi:[1,0,0]
	v_fmac_f32_e32 v61, v33, v169
	v_fma_f32 v60, v32, v169, -v2
	v_pk_add_f32 v[14:15], v[58:59], v[56:57]
	s_waitcnt vmcnt(7)
	v_mov_b32_e32 v16, v49
	ds_read2_b64 v[2:5], v12 offset0:81 offset1:82
	ds_read2_b64 v[6:9], v12 offset0:83 offset1:84
	;; [unrolled: 1-line block ×3, first 2 shown]
	v_pk_add_f32 v[14:15], v[14:15], v[60:61]
	v_mov_b32_e32 v19, v17
	v_pk_mul_f32 v[16:17], v[36:37], v[16:17] op_sel_hi:[1,0]
	v_pk_add_f32 v[14:15], v[14:15], v[18:19]
	s_waitcnt vmcnt(6)
	v_pk_fma_f32 v[18:19], v[36:37], v[48:49], v[16:17] op_sel:[0,0,1] op_sel_hi:[1,1,0] neg_lo:[0,0,1] neg_hi:[0,0,1]
	v_pk_fma_f32 v[16:17], v[36:37], v[48:49], v[16:17] op_sel:[0,0,1] op_sel_hi:[1,0,0]
	v_mov_b32_e32 v16, v47
	v_mov_b32_e32 v19, v17
	s_waitcnt lgkmcnt(2)
	v_pk_mul_f32 v[16:17], v[2:3], v[16:17] op_sel_hi:[1,0]
	v_pk_add_f32 v[14:15], v[14:15], v[18:19]
	v_pk_fma_f32 v[18:19], v[2:3], v[46:47], v[16:17] op_sel:[0,0,1] op_sel_hi:[1,1,0] neg_lo:[0,0,1] neg_hi:[0,0,1]
	v_pk_fma_f32 v[2:3], v[2:3], v[46:47], v[16:17] op_sel:[0,0,1] op_sel_hi:[1,0,0]
	v_mov_b32_e32 v19, v3
	v_pk_add_f32 v[2:3], v[14:15], v[18:19]
	v_mov_b32_e32 v14, v45
	v_pk_mul_f32 v[14:15], v[4:5], v[14:15] op_sel_hi:[1,0]
	v_pk_fma_f32 v[16:17], v[4:5], v[44:45], v[14:15] op_sel:[0,0,1] op_sel_hi:[1,1,0] neg_lo:[0,0,1] neg_hi:[0,0,1]
	v_pk_fma_f32 v[4:5], v[4:5], v[44:45], v[14:15] op_sel:[0,0,1] op_sel_hi:[1,0,0]
	v_mov_b32_e32 v4, v43
	v_mov_b32_e32 v17, v5
	s_waitcnt lgkmcnt(1)
	v_pk_mul_f32 v[4:5], v[6:7], v[4:5] op_sel_hi:[1,0]
	v_pk_fma_f32 v[14:15], v[6:7], v[42:43], v[4:5] op_sel:[0,0,1] op_sel_hi:[1,1,0] neg_lo:[0,0,1] neg_hi:[0,0,1]
	v_pk_fma_f32 v[4:5], v[6:7], v[42:43], v[4:5] op_sel:[0,0,1] op_sel_hi:[1,0,0]
	s_waitcnt vmcnt(1)
	v_mov_b32_e32 v4, v55
	v_mov_b32_e32 v15, v5
	v_pk_mul_f32 v[4:5], v[8:9], v[4:5] op_sel_hi:[1,0]
	s_waitcnt vmcnt(0)
	v_pk_fma_f32 v[6:7], v[8:9], v[54:55], v[4:5] op_sel:[0,0,1] op_sel_hi:[1,1,0] neg_lo:[0,0,1] neg_hi:[0,0,1]
	v_pk_fma_f32 v[4:5], v[8:9], v[54:55], v[4:5] op_sel:[0,0,1] op_sel_hi:[1,0,0]
	v_pk_add_f32 v[2:3], v[2:3], v[16:17]
	v_mov_b32_e32 v4, v53
	v_pk_add_f32 v[2:3], v[2:3], v[14:15]
	v_mov_b32_e32 v7, v5
	s_waitcnt lgkmcnt(0)
	v_pk_mul_f32 v[4:5], v[10:11], v[4:5] op_sel_hi:[1,0]
	v_pk_add_f32 v[2:3], v[2:3], v[6:7]
	v_pk_fma_f32 v[6:7], v[10:11], v[52:53], v[4:5] op_sel:[0,0,1] op_sel_hi:[1,1,0] neg_lo:[0,0,1] neg_hi:[0,0,1]
	v_pk_fma_f32 v[4:5], v[10:11], v[52:53], v[4:5] op_sel:[0,0,1] op_sel_hi:[1,0,0]
	v_mov_b32_e32 v4, v51
	v_mov_b32_e32 v7, v5
	v_pk_mul_f32 v[4:5], v[12:13], v[4:5] op_sel_hi:[1,0]
	v_pk_add_f32 v[2:3], v[2:3], v[6:7]
	v_pk_fma_f32 v[6:7], v[12:13], v[50:51], v[4:5] op_sel:[0,0,1] op_sel_hi:[1,1,0] neg_lo:[0,0,1] neg_hi:[0,0,1]
	v_pk_fma_f32 v[4:5], v[12:13], v[50:51], v[4:5] op_sel:[0,0,1] op_sel_hi:[1,0,0]
	v_mov_b32_e32 v7, v5
	v_pk_add_f32 v[2:3], v[2:3], v[6:7]
	v_pk_add_f32 v[2:3], v[38:39], v[2:3] neg_lo:[0,1] neg_hi:[0,1]
	buffer_store_dword v3, off, s[0:3], 0 offset:164
	buffer_store_dword v2, off, s[0:3], 0 offset:160
	s_and_saveexec_b64 s[4:5], vcc
	s_cbranch_execz .LBB42_233
; %bb.232:
	buffer_load_dword v2, off, s[0:3], 0 offset:152
	buffer_load_dword v3, off, s[0:3], 0 offset:156
	v_mov_b32_e32 v4, 0
	buffer_store_dword v4, off, s[0:3], 0 offset:152
	buffer_store_dword v4, off, s[0:3], 0 offset:156
	s_waitcnt vmcnt(2)
	ds_write_b64 v1, v[2:3]
.LBB42_233:
	s_or_b64 exec, exec, s[4:5]
	s_waitcnt lgkmcnt(0)
	; wave barrier
	s_waitcnt lgkmcnt(0)
	buffer_load_dword v3, off, s[0:3], 0 offset:164
	buffer_load_dword v52, off, s[0:3], 0 offset:172
	;; [unrolled: 1-line block ×32, first 2 shown]
	v_mov_b32_e32 v2, 0
	buffer_load_dword v39, off, s[0:3], 0 offset:308
	buffer_load_dword v38, off, s[0:3], 0 offset:304
	;; [unrolled: 1-line block ×13, first 2 shown]
	ds_read_b128 v[4:7], v2 offset:512
	ds_read_b128 v[8:11], v2 offset:528
	;; [unrolled: 1-line block ×8, first 2 shown]
	v_cmp_lt_u32_e32 vcc, 18, v0
	s_waitcnt vmcnt(44) lgkmcnt(7)
	v_mul_f32_e32 v46, v4, v3
	s_waitcnt vmcnt(43)
	v_mul_f32_e32 v53, v6, v52
	s_waitcnt vmcnt(42) lgkmcnt(6)
	v_mul_f32_e32 v54, v8, v56
	s_waitcnt vmcnt(41)
	v_mul_f32_e32 v55, v10, v58
	;; [unrolled: 4-line block ×6, first 2 shown]
	s_waitcnt vmcnt(32) lgkmcnt(1)
	v_mul_f32_e32 v178, v28, v154
	s_waitcnt vmcnt(31)
	v_fmac_f32_e32 v46, v5, v155
	s_waitcnt vmcnt(30)
	v_fmac_f32_e32 v53, v7, v156
	v_add_f32_e32 v46, 0, v46
	s_waitcnt vmcnt(29)
	v_fmac_f32_e32 v54, v9, v157
	v_add_f32_e32 v46, v46, v53
	;; [unrolled: 3-line block ×12, first 2 shown]
	v_add_f32_e32 v53, v46, v178
	buffer_load_dword v55, off, s[0:3], 0 offset:324
	buffer_load_dword v54, off, s[0:3], 0 offset:320
	;; [unrolled: 1-line block ×3, first 2 shown]
	v_mul_f32_e32 v3, v5, v3
	v_fma_f32 v3, v4, v155, -v3
	v_mul_f32_e32 v4, v7, v52
	v_add_f32_e32 v3, 0, v3
	v_fma_f32 v4, v6, v156, -v4
	v_add_f32_e32 v3, v3, v4
	v_mul_f32_e32 v4, v9, v56
	v_fma_f32 v4, v8, v157, -v4
	v_add_f32_e32 v3, v3, v4
	v_mul_f32_e32 v4, v11, v58
	;; [unrolled: 3-line block ×11, first 2 shown]
	v_fma_f32 v4, v28, v167, -v4
	s_waitcnt vmcnt(9)
	v_mov_b32_e32 v20, v45
	v_mul_f32_e32 v57, v30, v168
	v_add_f32_e32 v52, v3, v4
	v_mul_f32_e32 v3, v31, v168
	s_waitcnt lgkmcnt(0)
	v_pk_mul_f32 v[20:21], v[34:35], v[20:21] op_sel_hi:[1,0]
	v_fmac_f32_e32 v57, v31, v169
	v_mul_f32_e32 v59, v32, v170
	v_fma_f32 v56, v30, v169, -v3
	v_mul_f32_e32 v3, v33, v170
	ds_read_b128 v[4:7], v2 offset:640
	ds_read_b128 v[8:11], v2 offset:656
	ds_read_b128 v[12:15], v2 offset:672
	ds_read_b64 v[16:17], v2 offset:688
	s_waitcnt vmcnt(8)
	v_pk_fma_f32 v[22:23], v[34:35], v[44:45], v[20:21] op_sel:[0,0,1] op_sel_hi:[1,1,0] neg_lo:[0,0,1] neg_hi:[0,0,1]
	v_pk_fma_f32 v[20:21], v[34:35], v[44:45], v[20:21] op_sel:[0,0,1] op_sel_hi:[1,0,0]
	v_fmac_f32_e32 v59, v33, v171
	v_fma_f32 v58, v32, v171, -v3
	v_pk_add_f32 v[18:19], v[52:53], v[56:57]
	v_mov_b32_e32 v20, v43
	v_pk_add_f32 v[18:19], v[18:19], v[58:59]
	v_mov_b32_e32 v23, v21
	s_waitcnt lgkmcnt(3)
	v_pk_mul_f32 v[20:21], v[4:5], v[20:21] op_sel_hi:[1,0]
	v_pk_add_f32 v[18:19], v[18:19], v[22:23]
	v_pk_fma_f32 v[22:23], v[4:5], v[42:43], v[20:21] op_sel:[0,0,1] op_sel_hi:[1,1,0] neg_lo:[0,0,1] neg_hi:[0,0,1]
	v_pk_fma_f32 v[4:5], v[4:5], v[42:43], v[20:21] op_sel:[0,0,1] op_sel_hi:[1,0,0]
	v_mov_b32_e32 v23, v5
	v_pk_add_f32 v[4:5], v[18:19], v[22:23]
	v_mov_b32_e32 v18, v41
	v_pk_mul_f32 v[18:19], v[6:7], v[18:19] op_sel_hi:[1,0]
	v_pk_fma_f32 v[20:21], v[6:7], v[40:41], v[18:19] op_sel:[0,0,1] op_sel_hi:[1,1,0] neg_lo:[0,0,1] neg_hi:[0,0,1]
	v_pk_fma_f32 v[6:7], v[6:7], v[40:41], v[18:19] op_sel:[0,0,1] op_sel_hi:[1,0,0]
	v_mov_b32_e32 v6, v39
	v_mov_b32_e32 v21, v7
	s_waitcnt lgkmcnt(2)
	v_pk_mul_f32 v[6:7], v[8:9], v[6:7] op_sel_hi:[1,0]
	v_pk_fma_f32 v[18:19], v[8:9], v[38:39], v[6:7] op_sel:[0,0,1] op_sel_hi:[1,1,0] neg_lo:[0,0,1] neg_hi:[0,0,1]
	v_pk_fma_f32 v[6:7], v[8:9], v[38:39], v[6:7] op_sel:[0,0,1] op_sel_hi:[1,0,0]
	s_waitcnt vmcnt(7)
	v_mov_b32_e32 v6, v47
	v_mov_b32_e32 v19, v7
	v_pk_mul_f32 v[6:7], v[10:11], v[6:7] op_sel_hi:[1,0]
	v_pk_add_f32 v[4:5], v[4:5], v[20:21]
	v_pk_add_f32 v[4:5], v[4:5], v[18:19]
	s_waitcnt vmcnt(0)
	v_pk_fma_f32 v[8:9], v[10:11], v[46:47], v[6:7] op_sel:[0,0,1] op_sel_hi:[1,1,0] neg_lo:[0,0,1] neg_hi:[0,0,1]
	v_pk_fma_f32 v[6:7], v[10:11], v[46:47], v[6:7] op_sel:[0,0,1] op_sel_hi:[1,0,0]
	v_mov_b32_e32 v6, v55
	v_mov_b32_e32 v9, v7
	s_waitcnt lgkmcnt(1)
	v_pk_mul_f32 v[6:7], v[12:13], v[6:7] op_sel_hi:[1,0]
	v_pk_add_f32 v[4:5], v[4:5], v[8:9]
	v_pk_fma_f32 v[8:9], v[12:13], v[54:55], v[6:7] op_sel:[0,0,1] op_sel_hi:[1,1,0] neg_lo:[0,0,1] neg_hi:[0,0,1]
	v_pk_fma_f32 v[6:7], v[12:13], v[54:55], v[6:7] op_sel:[0,0,1] op_sel_hi:[1,0,0]
	v_mov_b32_e32 v6, v51
	v_mov_b32_e32 v9, v7
	v_pk_mul_f32 v[6:7], v[14:15], v[6:7] op_sel_hi:[1,0]
	v_pk_add_f32 v[4:5], v[4:5], v[8:9]
	v_pk_fma_f32 v[8:9], v[14:15], v[50:51], v[6:7] op_sel:[0,0,1] op_sel_hi:[1,1,0] neg_lo:[0,0,1] neg_hi:[0,0,1]
	v_pk_fma_f32 v[6:7], v[14:15], v[50:51], v[6:7] op_sel:[0,0,1] op_sel_hi:[1,0,0]
	v_mov_b32_e32 v6, v49
	v_mov_b32_e32 v9, v7
	s_waitcnt lgkmcnt(0)
	v_pk_mul_f32 v[6:7], v[16:17], v[6:7] op_sel_hi:[1,0]
	v_pk_add_f32 v[4:5], v[4:5], v[8:9]
	v_pk_fma_f32 v[8:9], v[16:17], v[48:49], v[6:7] op_sel:[0,0,1] op_sel_hi:[1,1,0] neg_lo:[0,0,1] neg_hi:[0,0,1]
	v_pk_fma_f32 v[6:7], v[16:17], v[48:49], v[6:7] op_sel:[0,0,1] op_sel_hi:[1,0,0]
	v_mov_b32_e32 v9, v7
	v_pk_add_f32 v[4:5], v[4:5], v[8:9]
	v_pk_add_f32 v[4:5], v[36:37], v[4:5] neg_lo:[0,1] neg_hi:[0,1]
	buffer_store_dword v5, off, s[0:3], 0 offset:156
	buffer_store_dword v4, off, s[0:3], 0 offset:152
	s_and_saveexec_b64 s[4:5], vcc
	s_cbranch_execz .LBB42_235
; %bb.234:
	buffer_load_dword v4, off, s[0:3], 0 offset:144
	buffer_load_dword v5, off, s[0:3], 0 offset:148
	s_waitcnt vmcnt(0)
	ds_write_b64 v1, v[4:5]
	buffer_store_dword v2, off, s[0:3], 0 offset:144
	buffer_store_dword v2, off, s[0:3], 0 offset:148
.LBB42_235:
	s_or_b64 exec, exec, s[4:5]
	s_waitcnt lgkmcnt(0)
	; wave barrier
	s_waitcnt lgkmcnt(0)
	buffer_load_dword v3, off, s[0:3], 0 offset:156
	buffer_load_dword v52, off, s[0:3], 0 offset:164
	;; [unrolled: 1-line block ×34, first 2 shown]
	ds_read2_b64 v[4:7], v2 offset0:63 offset1:64
	ds_read2_b64 v[8:11], v2 offset0:65 offset1:66
	;; [unrolled: 1-line block ×8, first 2 shown]
	buffer_load_dword v39, off, s[0:3], 0 offset:300
	buffer_load_dword v38, off, s[0:3], 0 offset:296
	;; [unrolled: 1-line block ×9, first 2 shown]
	v_cmp_lt_u32_e32 vcc, 17, v0
	s_waitcnt vmcnt(42) lgkmcnt(7)
	v_mul_f32_e32 v44, v4, v3
	s_waitcnt vmcnt(41)
	v_mul_f32_e32 v48, v6, v52
	s_waitcnt vmcnt(40) lgkmcnt(6)
	v_mul_f32_e32 v49, v8, v54
	s_waitcnt vmcnt(39)
	v_mul_f32_e32 v50, v10, v56
	;; [unrolled: 4-line block ×6, first 2 shown]
	s_waitcnt vmcnt(30) lgkmcnt(1)
	v_mul_f32_e32 v176, v28, v154
	v_mul_f32_e32 v3, v5, v3
	s_waitcnt vmcnt(28)
	v_fmac_f32_e32 v44, v5, v156
	s_waitcnt vmcnt(27)
	v_fmac_f32_e32 v48, v7, v157
	v_add_f32_e32 v44, 0, v44
	s_waitcnt vmcnt(26)
	v_fmac_f32_e32 v49, v9, v158
	v_add_f32_e32 v44, v44, v48
	;; [unrolled: 3-line block ×12, first 2 shown]
	v_add_f32_e32 v53, v44, v176
	buffer_load_dword v49, off, s[0:3], 0 offset:324
	buffer_load_dword v48, off, s[0:3], 0 offset:320
	buffer_load_dword v51, off, s[0:3], 0 offset:316
	buffer_load_dword v50, off, s[0:3], 0 offset:312
	buffer_load_dword v44, off, s[0:3], 0 offset:304
	buffer_load_dword v59, off, s[0:3], 0 offset:340
	buffer_load_dword v58, off, s[0:3], 0 offset:336
	v_fma_f32 v3, v4, v156, -v3
	v_mul_f32_e32 v4, v7, v52
	v_add_f32_e32 v3, 0, v3
	v_fma_f32 v4, v6, v157, -v4
	v_add_f32_e32 v3, v3, v4
	v_mul_f32_e32 v4, v9, v54
	v_fma_f32 v4, v8, v158, -v4
	v_add_f32_e32 v3, v3, v4
	v_mul_f32_e32 v4, v11, v56
	;; [unrolled: 3-line block ×12, first 2 shown]
	s_waitcnt vmcnt(22)
	v_fma_f32 v4, v30, v169, -v4
	v_add_f32_e32 v52, v3, v4
	ds_read2_b64 v[4:7], v2 offset0:79 offset1:80
	ds_read2_b64 v[8:11], v2 offset0:81 offset1:82
	;; [unrolled: 1-line block ×4, first 2 shown]
	s_waitcnt vmcnt(11)
	v_mov_b32_e32 v20, v43
	s_waitcnt lgkmcnt(3)
	v_pk_mul_f32 v[20:21], v[4:5], v[20:21] op_sel_hi:[1,0]
	s_waitcnt vmcnt(10)
	v_pk_fma_f32 v[22:23], v[4:5], v[42:43], v[20:21] op_sel:[0,0,1] op_sel_hi:[1,1,0] neg_lo:[0,0,1] neg_hi:[0,0,1]
	v_pk_fma_f32 v[4:5], v[4:5], v[42:43], v[20:21] op_sel:[0,0,1] op_sel_hi:[1,0,0]
	v_mov_b32_e32 v4, v41
	v_mul_f32_e32 v177, v30, v155
	v_mov_b32_e32 v23, v5
	v_pk_mul_f32 v[4:5], v[6:7], v[4:5] op_sel_hi:[1,0]
	v_fmac_f32_e32 v177, v31, v169
	v_mul_f32_e32 v55, v32, v170
	v_mul_f32_e32 v3, v33, v170
	v_pk_fma_f32 v[20:21], v[6:7], v[40:41], v[4:5] op_sel:[0,0,1] op_sel_hi:[1,1,0] neg_lo:[0,0,1] neg_hi:[0,0,1]
	v_pk_fma_f32 v[4:5], v[6:7], v[40:41], v[4:5] op_sel:[0,0,1] op_sel_hi:[1,0,0]
	v_add_f32_e32 v53, v53, v177
	v_fmac_f32_e32 v55, v33, v171
	v_mul_f32_e32 v57, v34, v172
	v_fma_f32 v54, v32, v171, -v3
	v_mul_f32_e32 v3, v35, v172
	v_mov_b32_e32 v4, v39
	v_fmac_f32_e32 v57, v35, v173
	v_fma_f32 v56, v34, v173, -v3
	v_pk_add_f32 v[2:3], v[52:53], v[54:55]
	v_mov_b32_e32 v21, v5
	s_waitcnt lgkmcnt(2)
	v_pk_mul_f32 v[4:5], v[8:9], v[4:5] op_sel_hi:[1,0]
	v_pk_add_f32 v[2:3], v[2:3], v[56:57]
	v_pk_fma_f32 v[6:7], v[8:9], v[38:39], v[4:5] op_sel:[0,0,1] op_sel_hi:[1,1,0] neg_lo:[0,0,1] neg_hi:[0,0,1]
	v_pk_fma_f32 v[4:5], v[8:9], v[38:39], v[4:5] op_sel:[0,0,1] op_sel_hi:[1,0,0]
	v_pk_add_f32 v[2:3], v[2:3], v[22:23]
	s_waitcnt vmcnt(9)
	v_mov_b32_e32 v4, v45
	v_pk_add_f32 v[2:3], v[2:3], v[20:21]
	v_mov_b32_e32 v7, v5
	v_pk_mul_f32 v[4:5], v[10:11], v[4:5] op_sel_hi:[1,0]
	v_pk_add_f32 v[2:3], v[2:3], v[6:7]
	s_waitcnt vmcnt(2)
	v_pk_fma_f32 v[6:7], v[10:11], v[44:45], v[4:5] op_sel:[0,0,1] op_sel_hi:[1,1,0] neg_lo:[0,0,1] neg_hi:[0,0,1]
	v_pk_fma_f32 v[4:5], v[10:11], v[44:45], v[4:5] op_sel:[0,0,1] op_sel_hi:[1,0,0]
	v_mov_b32_e32 v4, v51
	v_mov_b32_e32 v7, v5
	s_waitcnt lgkmcnt(1)
	v_pk_mul_f32 v[4:5], v[12:13], v[4:5] op_sel_hi:[1,0]
	v_pk_add_f32 v[2:3], v[2:3], v[6:7]
	v_pk_fma_f32 v[6:7], v[12:13], v[50:51], v[4:5] op_sel:[0,0,1] op_sel_hi:[1,1,0] neg_lo:[0,0,1] neg_hi:[0,0,1]
	v_pk_fma_f32 v[4:5], v[12:13], v[50:51], v[4:5] op_sel:[0,0,1] op_sel_hi:[1,0,0]
	v_mov_b32_e32 v4, v49
	v_mov_b32_e32 v7, v5
	v_pk_mul_f32 v[4:5], v[14:15], v[4:5] op_sel_hi:[1,0]
	v_pk_add_f32 v[2:3], v[2:3], v[6:7]
	v_pk_fma_f32 v[6:7], v[14:15], v[48:49], v[4:5] op_sel:[0,0,1] op_sel_hi:[1,1,0] neg_lo:[0,0,1] neg_hi:[0,0,1]
	v_pk_fma_f32 v[4:5], v[14:15], v[48:49], v[4:5] op_sel:[0,0,1] op_sel_hi:[1,0,0]
	v_mov_b32_e32 v4, v47
	v_mov_b32_e32 v7, v5
	s_waitcnt lgkmcnt(0)
	v_pk_mul_f32 v[4:5], v[16:17], v[4:5] op_sel_hi:[1,0]
	v_pk_add_f32 v[2:3], v[2:3], v[6:7]
	v_pk_fma_f32 v[6:7], v[16:17], v[46:47], v[4:5] op_sel:[0,0,1] op_sel_hi:[1,1,0] neg_lo:[0,0,1] neg_hi:[0,0,1]
	v_pk_fma_f32 v[4:5], v[16:17], v[46:47], v[4:5] op_sel:[0,0,1] op_sel_hi:[1,0,0]
	s_waitcnt vmcnt(1)
	v_mov_b32_e32 v4, v59
	v_mov_b32_e32 v7, v5
	v_pk_mul_f32 v[4:5], v[18:19], v[4:5] op_sel_hi:[1,0]
	v_pk_add_f32 v[2:3], v[2:3], v[6:7]
	s_waitcnt vmcnt(0)
	v_pk_fma_f32 v[6:7], v[18:19], v[58:59], v[4:5] op_sel:[0,0,1] op_sel_hi:[1,1,0] neg_lo:[0,0,1] neg_hi:[0,0,1]
	v_pk_fma_f32 v[4:5], v[18:19], v[58:59], v[4:5] op_sel:[0,0,1] op_sel_hi:[1,0,0]
	v_mov_b32_e32 v7, v5
	v_pk_add_f32 v[2:3], v[2:3], v[6:7]
	v_pk_add_f32 v[2:3], v[36:37], v[2:3] neg_lo:[0,1] neg_hi:[0,1]
	buffer_store_dword v3, off, s[0:3], 0 offset:148
	buffer_store_dword v2, off, s[0:3], 0 offset:144
	s_and_saveexec_b64 s[4:5], vcc
	s_cbranch_execz .LBB42_237
; %bb.236:
	buffer_load_dword v2, off, s[0:3], 0 offset:136
	buffer_load_dword v3, off, s[0:3], 0 offset:140
	v_mov_b32_e32 v4, 0
	buffer_store_dword v4, off, s[0:3], 0 offset:136
	buffer_store_dword v4, off, s[0:3], 0 offset:140
	s_waitcnt vmcnt(2)
	ds_write_b64 v1, v[2:3]
.LBB42_237:
	s_or_b64 exec, exec, s[4:5]
	s_waitcnt lgkmcnt(0)
	; wave barrier
	s_waitcnt lgkmcnt(0)
	buffer_load_dword v5, off, s[0:3], 0 offset:148
	buffer_load_dword v58, off, s[0:3], 0 offset:156
	;; [unrolled: 1-line block ×36, first 2 shown]
	v_mov_b32_e32 v4, 0
	buffer_load_dword v47, off, s[0:3], 0 offset:292
	buffer_load_dword v46, off, s[0:3], 0 offset:288
	;; [unrolled: 1-line block ×5, first 2 shown]
	ds_read_b128 v[6:9], v4 offset:496
	ds_read_b128 v[10:13], v4 offset:512
	;; [unrolled: 1-line block ×8, first 2 shown]
	v_cmp_lt_u32_e32 vcc, 16, v0
	s_waitcnt vmcnt(40) lgkmcnt(7)
	v_mul_f32_e32 v38, v6, v5
	s_waitcnt vmcnt(39)
	v_mul_f32_e32 v39, v8, v58
	s_waitcnt vmcnt(38) lgkmcnt(6)
	v_mul_f32_e32 v40, v10, v60
	s_waitcnt vmcnt(37)
	v_mul_f32_e32 v41, v12, v62
	;; [unrolled: 4-line block ×7, first 2 shown]
	s_waitcnt vmcnt(26) lgkmcnt(0)
	v_mul_f32_e32 v59, v34, v164
	s_waitcnt vmcnt(25)
	v_fmac_f32_e32 v38, v7, v165
	s_waitcnt vmcnt(24)
	v_fmac_f32_e32 v39, v9, v166
	v_add_f32_e32 v38, 0, v38
	s_waitcnt vmcnt(23)
	v_fmac_f32_e32 v40, v11, v167
	v_add_f32_e32 v38, v38, v39
	;; [unrolled: 3-line block ×13, first 2 shown]
	v_add_f32_e32 v42, v38, v56
	buffer_load_dword v53, off, s[0:3], 0 offset:324
	buffer_load_dword v52, off, s[0:3], 0 offset:320
	;; [unrolled: 1-line block ×7, first 2 shown]
	s_waitcnt vmcnt(18)
	v_fmac_f32_e32 v59, v35, v179
	ds_read_b128 v[38:41], v4 offset:624
	v_add_f32_e32 v59, v42, v59
	ds_read_b128 v[42:45], v4 offset:640
	buffer_load_dword v65, off, s[0:3], 0 offset:340
	buffer_load_dword v64, off, s[0:3], 0 offset:336
	;; [unrolled: 1-line block ×4, first 2 shown]
	v_mul_f32_e32 v5, v7, v5
	v_fma_f32 v5, v6, v165, -v5
	v_mul_f32_e32 v6, v9, v58
	v_add_f32_e32 v5, 0, v5
	v_fma_f32 v6, v8, v166, -v6
	v_add_f32_e32 v5, v5, v6
	v_mul_f32_e32 v6, v11, v60
	v_fma_f32 v6, v10, v167, -v6
	v_add_f32_e32 v5, v5, v6
	v_mul_f32_e32 v6, v13, v62
	;; [unrolled: 3-line block ×13, first 2 shown]
	v_fma_f32 v6, v34, v179, -v6
	s_waitcnt vmcnt(13)
	v_mov_b32_e32 v18, v49
	v_mul_f32_e32 v61, v36, v180
	v_add_f32_e32 v58, v5, v6
	v_mul_f32_e32 v5, v37, v180
	s_waitcnt lgkmcnt(1)
	v_pk_mul_f32 v[18:19], v[40:41], v[18:19] op_sel_hi:[1,0]
	v_fmac_f32_e32 v61, v37, v181
	v_mul_f32_e32 v63, v38, v182
	v_fma_f32 v60, v36, v181, -v5
	v_mul_f32_e32 v5, v39, v182
	s_waitcnt vmcnt(12)
	v_pk_fma_f32 v[20:21], v[40:41], v[48:49], v[18:19] op_sel:[0,0,1] op_sel_hi:[1,1,0] neg_lo:[0,0,1] neg_hi:[0,0,1]
	v_pk_fma_f32 v[18:19], v[40:41], v[48:49], v[18:19] op_sel:[0,0,1] op_sel_hi:[1,0,0]
	v_fmac_f32_e32 v63, v39, v183
	v_fma_f32 v62, v38, v183, -v5
	v_pk_add_f32 v[16:17], v[58:59], v[60:61]
	v_mov_b32_e32 v18, v47
	v_pk_add_f32 v[16:17], v[16:17], v[62:63]
	v_mov_b32_e32 v21, v19
	s_waitcnt lgkmcnt(0)
	v_pk_mul_f32 v[18:19], v[42:43], v[18:19] op_sel_hi:[1,0]
	v_pk_add_f32 v[16:17], v[16:17], v[20:21]
	v_pk_fma_f32 v[20:21], v[42:43], v[46:47], v[18:19] op_sel:[0,0,1] op_sel_hi:[1,1,0] neg_lo:[0,0,1] neg_hi:[0,0,1]
	v_pk_fma_f32 v[18:19], v[42:43], v[46:47], v[18:19] op_sel:[0,0,1] op_sel_hi:[1,0,0]
	s_waitcnt vmcnt(11)
	v_mov_b32_e32 v18, v51
	ds_read_b128 v[6:9], v4 offset:656
	ds_read_b128 v[10:13], v4 offset:672
	ds_read_b64 v[14:15], v4 offset:688
	v_mov_b32_e32 v21, v19
	v_pk_mul_f32 v[18:19], v[44:45], v[18:19] op_sel_hi:[1,0]
	v_pk_add_f32 v[16:17], v[16:17], v[20:21]
	s_waitcnt vmcnt(4)
	v_pk_fma_f32 v[20:21], v[44:45], v[50:51], v[18:19] op_sel:[0,0,1] op_sel_hi:[1,1,0] neg_lo:[0,0,1] neg_hi:[0,0,1]
	v_pk_fma_f32 v[18:19], v[44:45], v[50:51], v[18:19] op_sel:[0,0,1] op_sel_hi:[1,0,0]
	v_mov_b32_e32 v18, v57
	v_mov_b32_e32 v21, v19
	s_waitcnt lgkmcnt(2)
	v_pk_mul_f32 v[18:19], v[6:7], v[18:19] op_sel_hi:[1,0]
	v_pk_add_f32 v[16:17], v[16:17], v[20:21]
	v_pk_fma_f32 v[20:21], v[6:7], v[56:57], v[18:19] op_sel:[0,0,1] op_sel_hi:[1,1,0] neg_lo:[0,0,1] neg_hi:[0,0,1]
	v_pk_fma_f32 v[6:7], v[6:7], v[56:57], v[18:19] op_sel:[0,0,1] op_sel_hi:[1,0,0]
	v_mov_b32_e32 v21, v7
	v_pk_add_f32 v[6:7], v[16:17], v[20:21]
	v_mov_b32_e32 v16, v55
	v_pk_mul_f32 v[16:17], v[8:9], v[16:17] op_sel_hi:[1,0]
	v_pk_fma_f32 v[18:19], v[8:9], v[54:55], v[16:17] op_sel:[0,0,1] op_sel_hi:[1,1,0] neg_lo:[0,0,1] neg_hi:[0,0,1]
	v_pk_fma_f32 v[8:9], v[8:9], v[54:55], v[16:17] op_sel:[0,0,1] op_sel_hi:[1,0,0]
	v_mov_b32_e32 v8, v53
	v_mov_b32_e32 v19, v9
	s_waitcnt lgkmcnt(1)
	v_pk_mul_f32 v[8:9], v[10:11], v[8:9] op_sel_hi:[1,0]
	v_pk_fma_f32 v[16:17], v[10:11], v[52:53], v[8:9] op_sel:[0,0,1] op_sel_hi:[1,1,0] neg_lo:[0,0,1] neg_hi:[0,0,1]
	v_pk_fma_f32 v[8:9], v[10:11], v[52:53], v[8:9] op_sel:[0,0,1] op_sel_hi:[1,0,0]
	s_waitcnt vmcnt(1)
	v_mov_b32_e32 v8, v153
	v_mov_b32_e32 v17, v9
	v_pk_mul_f32 v[8:9], v[12:13], v[8:9] op_sel_hi:[1,0]
	s_waitcnt vmcnt(0)
	v_pk_fma_f32 v[10:11], v[12:13], v[152:153], v[8:9] op_sel:[0,0,1] op_sel_hi:[1,1,0] neg_lo:[0,0,1] neg_hi:[0,0,1]
	v_pk_fma_f32 v[8:9], v[12:13], v[152:153], v[8:9] op_sel:[0,0,1] op_sel_hi:[1,0,0]
	v_pk_add_f32 v[6:7], v[6:7], v[18:19]
	v_mov_b32_e32 v8, v65
	v_pk_add_f32 v[6:7], v[6:7], v[16:17]
	v_mov_b32_e32 v11, v9
	s_waitcnt lgkmcnt(0)
	v_pk_mul_f32 v[8:9], v[14:15], v[8:9] op_sel_hi:[1,0]
	v_pk_add_f32 v[6:7], v[6:7], v[10:11]
	v_pk_fma_f32 v[10:11], v[14:15], v[64:65], v[8:9] op_sel:[0,0,1] op_sel_hi:[1,1,0] neg_lo:[0,0,1] neg_hi:[0,0,1]
	v_pk_fma_f32 v[8:9], v[14:15], v[64:65], v[8:9] op_sel:[0,0,1] op_sel_hi:[1,0,0]
	v_mov_b32_e32 v11, v9
	v_pk_add_f32 v[6:7], v[6:7], v[10:11]
	v_pk_add_f32 v[2:3], v[2:3], v[6:7] neg_lo:[0,1] neg_hi:[0,1]
	buffer_store_dword v3, off, s[0:3], 0 offset:140
	buffer_store_dword v2, off, s[0:3], 0 offset:136
	s_and_saveexec_b64 s[4:5], vcc
	s_cbranch_execz .LBB42_239
; %bb.238:
	buffer_load_dword v2, off, s[0:3], 0 offset:128
	buffer_load_dword v3, off, s[0:3], 0 offset:132
	s_waitcnt vmcnt(0)
	ds_write_b64 v1, v[2:3]
	buffer_store_dword v4, off, s[0:3], 0 offset:128
	buffer_store_dword v4, off, s[0:3], 0 offset:132
.LBB42_239:
	s_or_b64 exec, exec, s[4:5]
	s_waitcnt lgkmcnt(0)
	; wave barrier
	s_waitcnt lgkmcnt(0)
	buffer_load_dword v2, off, s[0:3], 0 offset:140
	buffer_load_dword v3, off, s[0:3], 0 offset:148
	;; [unrolled: 1-line block ×38, first 2 shown]
	ds_read2_b64 v[6:9], v4 offset0:61 offset1:62
	ds_read2_b64 v[10:13], v4 offset0:63 offset1:64
	ds_read2_b64 v[14:17], v4 offset0:65 offset1:66
	ds_read2_b64 v[18:21], v4 offset0:67 offset1:68
	ds_read2_b64 v[22:25], v4 offset0:69 offset1:70
	ds_read2_b64 v[26:29], v4 offset0:71 offset1:72
	ds_read2_b64 v[30:33], v4 offset0:73 offset1:74
	ds_read2_b64 v[34:37], v4 offset0:75 offset1:76
	buffer_load_dword v49, off, s[0:3], 0 offset:284
	buffer_load_dword v48, off, s[0:3], 0 offset:280
	;; [unrolled: 1-line block ×4, first 2 shown]
	v_cmp_lt_u32_e32 vcc, 15, v0
	s_waitcnt vmcnt(41) lgkmcnt(7)
	v_mul_f32_e32 v38, v6, v2
	s_waitcnt vmcnt(40)
	v_mul_f32_e32 v39, v8, v3
	s_waitcnt vmcnt(39) lgkmcnt(6)
	v_mul_f32_e32 v40, v10, v5
	s_waitcnt vmcnt(38)
	v_mul_f32_e32 v41, v12, v58
	;; [unrolled: 4-line block ×7, first 2 shown]
	s_waitcnt vmcnt(27) lgkmcnt(0)
	v_mul_f32_e32 v59, v34, v164
	s_waitcnt vmcnt(26)
	v_fmac_f32_e32 v38, v7, v165
	s_waitcnt vmcnt(25)
	v_fmac_f32_e32 v39, v9, v166
	v_add_f32_e32 v38, 0, v38
	s_waitcnt vmcnt(24)
	v_fmac_f32_e32 v40, v11, v167
	v_add_f32_e32 v38, v38, v39
	;; [unrolled: 3-line block ×13, first 2 shown]
	v_add_f32_e32 v38, v38, v57
	buffer_load_dword v53, off, s[0:3], 0 offset:308
	buffer_load_dword v52, off, s[0:3], 0 offset:304
	;; [unrolled: 1-line block ×6, first 2 shown]
	s_waitcnt vmcnt(18)
	v_fmac_f32_e32 v59, v35, v179
	s_waitcnt vmcnt(17)
	v_mul_f32_e32 v43, v36, v180
	v_add_f32_e32 v42, v38, v59
	s_waitcnt vmcnt(16)
	v_fmac_f32_e32 v43, v37, v181
	ds_read2_b64 v[38:41], v4 offset0:77 offset1:78
	v_add_f32_e32 v59, v42, v43
	ds_read2_b64 v[42:45], v4 offset0:79 offset1:80
	buffer_load_dword v65, off, s[0:3], 0 offset:340
	buffer_load_dword v64, off, s[0:3], 0 offset:336
	;; [unrolled: 1-line block ×6, first 2 shown]
	v_mul_f32_e32 v2, v7, v2
	v_fma_f32 v2, v6, v165, -v2
	v_mul_f32_e32 v3, v9, v3
	v_add_f32_e32 v2, 0, v2
	v_fma_f32 v3, v8, v166, -v3
	v_add_f32_e32 v2, v2, v3
	v_mul_f32_e32 v3, v11, v5
	v_fma_f32 v3, v10, v167, -v3
	v_add_f32_e32 v2, v2, v3
	v_mul_f32_e32 v3, v13, v58
	v_fma_f32 v3, v12, v168, -v3
	v_add_f32_e32 v2, v2, v3
	v_mul_f32_e32 v3, v15, v60
	v_fma_f32 v3, v14, v169, -v3
	v_add_f32_e32 v2, v2, v3
	v_mul_f32_e32 v3, v17, v62
	v_fma_f32 v3, v16, v170, -v3
	v_add_f32_e32 v2, v2, v3
	v_mul_f32_e32 v3, v19, v156
	v_fma_f32 v3, v18, v171, -v3
	v_add_f32_e32 v2, v2, v3
	v_mul_f32_e32 v3, v21, v157
	v_fma_f32 v3, v20, v172, -v3
	v_add_f32_e32 v2, v2, v3
	v_mul_f32_e32 v3, v23, v158
	v_fma_f32 v3, v22, v173, -v3
	v_add_f32_e32 v2, v2, v3
	v_mul_f32_e32 v3, v25, v159
	v_fma_f32 v3, v24, v174, -v3
	v_add_f32_e32 v2, v2, v3
	v_mul_f32_e32 v3, v27, v160
	v_fma_f32 v3, v26, v175, -v3
	v_add_f32_e32 v2, v2, v3
	v_mul_f32_e32 v3, v29, v161
	v_fma_f32 v3, v28, v176, -v3
	v_add_f32_e32 v2, v2, v3
	v_mul_f32_e32 v3, v31, v162
	v_fma_f32 v3, v30, v177, -v3
	v_add_f32_e32 v2, v2, v3
	v_mul_f32_e32 v3, v33, v163
	v_fma_f32 v3, v32, v178, -v3
	v_add_f32_e32 v2, v2, v3
	v_mul_f32_e32 v3, v35, v164
	v_fma_f32 v3, v34, v179, -v3
	v_add_f32_e32 v2, v2, v3
	v_mul_f32_e32 v3, v37, v180
	v_fma_f32 v3, v36, v181, -v3
	s_waitcnt vmcnt(15)
	v_mov_b32_e32 v16, v49
	s_waitcnt lgkmcnt(1)
	v_mul_f32_e32 v61, v38, v182
	v_add_f32_e32 v58, v2, v3
	v_mul_f32_e32 v2, v39, v182
	s_waitcnt lgkmcnt(0)
	v_pk_mul_f32 v[16:17], v[42:43], v[16:17] op_sel_hi:[1,0]
	v_fmac_f32_e32 v61, v39, v183
	v_mul_f32_e32 v63, v40, v184
	v_fma_f32 v60, v38, v183, -v2
	v_mul_f32_e32 v2, v41, v184
	s_waitcnt vmcnt(14)
	v_pk_fma_f32 v[18:19], v[42:43], v[48:49], v[16:17] op_sel:[0,0,1] op_sel_hi:[1,1,0] neg_lo:[0,0,1] neg_hi:[0,0,1]
	v_pk_fma_f32 v[16:17], v[42:43], v[48:49], v[16:17] op_sel:[0,0,1] op_sel_hi:[1,0,0]
	v_fmac_f32_e32 v63, v41, v185
	v_fma_f32 v62, v40, v185, -v2
	v_pk_add_f32 v[14:15], v[58:59], v[60:61]
	ds_read2_b64 v[6:9], v4 offset0:81 offset1:82
	ds_read2_b64 v[10:13], v4 offset0:83 offset1:84
	;; [unrolled: 1-line block ×3, first 2 shown]
	v_pk_add_f32 v[14:15], v[14:15], v[62:63]
	v_mov_b32_e32 v19, v17
	v_pk_add_f32 v[14:15], v[14:15], v[18:19]
	s_waitcnt vmcnt(7)
	v_mov_b32_e32 v16, v57
	v_pk_mul_f32 v[16:17], v[44:45], v[16:17] op_sel_hi:[1,0]
	s_waitcnt vmcnt(6)
	v_pk_fma_f32 v[18:19], v[44:45], v[56:57], v[16:17] op_sel:[0,0,1] op_sel_hi:[1,1,0] neg_lo:[0,0,1] neg_hi:[0,0,1]
	v_pk_fma_f32 v[16:17], v[44:45], v[56:57], v[16:17] op_sel:[0,0,1] op_sel_hi:[1,0,0]
	v_mov_b32_e32 v16, v55
	v_mov_b32_e32 v19, v17
	s_waitcnt lgkmcnt(2)
	v_pk_mul_f32 v[16:17], v[6:7], v[16:17] op_sel_hi:[1,0]
	v_pk_add_f32 v[14:15], v[14:15], v[18:19]
	v_pk_fma_f32 v[18:19], v[6:7], v[54:55], v[16:17] op_sel:[0,0,1] op_sel_hi:[1,1,0] neg_lo:[0,0,1] neg_hi:[0,0,1]
	v_pk_fma_f32 v[6:7], v[6:7], v[54:55], v[16:17] op_sel:[0,0,1] op_sel_hi:[1,0,0]
	v_mov_b32_e32 v19, v7
	v_pk_add_f32 v[6:7], v[14:15], v[18:19]
	v_mov_b32_e32 v14, v53
	v_pk_mul_f32 v[14:15], v[8:9], v[14:15] op_sel_hi:[1,0]
	v_pk_fma_f32 v[16:17], v[8:9], v[52:53], v[14:15] op_sel:[0,0,1] op_sel_hi:[1,1,0] neg_lo:[0,0,1] neg_hi:[0,0,1]
	v_pk_fma_f32 v[8:9], v[8:9], v[52:53], v[14:15] op_sel:[0,0,1] op_sel_hi:[1,0,0]
	v_mov_b32_e32 v8, v51
	v_mov_b32_e32 v17, v9
	s_waitcnt lgkmcnt(1)
	v_pk_mul_f32 v[8:9], v[10:11], v[8:9] op_sel_hi:[1,0]
	v_pk_fma_f32 v[14:15], v[10:11], v[50:51], v[8:9] op_sel:[0,0,1] op_sel_hi:[1,1,0] neg_lo:[0,0,1] neg_hi:[0,0,1]
	v_pk_fma_f32 v[8:9], v[10:11], v[50:51], v[8:9] op_sel:[0,0,1] op_sel_hi:[1,0,0]
	s_waitcnt vmcnt(1)
	v_mov_b32_e32 v8, v155
	v_mov_b32_e32 v15, v9
	v_pk_mul_f32 v[8:9], v[12:13], v[8:9] op_sel_hi:[1,0]
	s_waitcnt vmcnt(0)
	v_pk_fma_f32 v[10:11], v[12:13], v[154:155], v[8:9] op_sel:[0,0,1] op_sel_hi:[1,1,0] neg_lo:[0,0,1] neg_hi:[0,0,1]
	v_pk_fma_f32 v[8:9], v[12:13], v[154:155], v[8:9] op_sel:[0,0,1] op_sel_hi:[1,0,0]
	v_pk_add_f32 v[6:7], v[6:7], v[16:17]
	v_mov_b32_e32 v8, v153
	v_pk_add_f32 v[6:7], v[6:7], v[14:15]
	v_mov_b32_e32 v11, v9
	s_waitcnt lgkmcnt(0)
	v_pk_mul_f32 v[8:9], v[2:3], v[8:9] op_sel_hi:[1,0]
	v_pk_add_f32 v[6:7], v[6:7], v[10:11]
	v_pk_fma_f32 v[10:11], v[2:3], v[152:153], v[8:9] op_sel:[0,0,1] op_sel_hi:[1,1,0] neg_lo:[0,0,1] neg_hi:[0,0,1]
	v_pk_fma_f32 v[2:3], v[2:3], v[152:153], v[8:9] op_sel:[0,0,1] op_sel_hi:[1,0,0]
	v_mov_b32_e32 v11, v3
	v_pk_add_f32 v[2:3], v[6:7], v[10:11]
	v_mov_b32_e32 v6, v65
	v_pk_mul_f32 v[6:7], v[4:5], v[6:7] op_sel_hi:[1,0]
	v_pk_fma_f32 v[8:9], v[4:5], v[64:65], v[6:7] op_sel:[0,0,1] op_sel_hi:[1,1,0] neg_lo:[0,0,1] neg_hi:[0,0,1]
	v_pk_fma_f32 v[4:5], v[4:5], v[64:65], v[6:7] op_sel:[0,0,1] op_sel_hi:[1,0,0]
	v_mov_b32_e32 v9, v5
	v_pk_add_f32 v[2:3], v[2:3], v[8:9]
	v_pk_add_f32 v[2:3], v[46:47], v[2:3] neg_lo:[0,1] neg_hi:[0,1]
	buffer_store_dword v3, off, s[0:3], 0 offset:132
	buffer_store_dword v2, off, s[0:3], 0 offset:128
	s_and_saveexec_b64 s[4:5], vcc
	s_cbranch_execz .LBB42_241
; %bb.240:
	buffer_load_dword v2, off, s[0:3], 0 offset:120
	buffer_load_dword v3, off, s[0:3], 0 offset:124
	v_mov_b32_e32 v4, 0
	buffer_store_dword v4, off, s[0:3], 0 offset:120
	buffer_store_dword v4, off, s[0:3], 0 offset:124
	s_waitcnt vmcnt(2)
	ds_write_b64 v1, v[2:3]
.LBB42_241:
	s_or_b64 exec, exec, s[4:5]
	s_waitcnt lgkmcnt(0)
	; wave barrier
	s_waitcnt lgkmcnt(0)
	buffer_load_dword v5, off, s[0:3], 0 offset:132
	buffer_load_dword v54, off, s[0:3], 0 offset:140
	;; [unrolled: 1-line block ×40, first 2 shown]
	v_mov_b32_e32 v4, 0
	ds_read_b128 v[6:9], v4 offset:480
	ds_read_b128 v[10:13], v4 offset:496
	;; [unrolled: 1-line block ×8, first 2 shown]
	v_cmp_lt_u32_e32 vcc, 14, v0
	s_waitcnt vmcnt(39) lgkmcnt(7)
	v_mul_f32_e32 v38, v6, v5
	s_waitcnt vmcnt(38)
	v_mul_f32_e32 v39, v8, v54
	s_waitcnt vmcnt(37) lgkmcnt(6)
	v_mul_f32_e32 v40, v10, v56
	s_waitcnt vmcnt(36)
	v_mul_f32_e32 v41, v12, v58
	;; [unrolled: 4-line block ×8, first 2 shown]
	s_waitcnt vmcnt(23)
	v_fmac_f32_e32 v38, v7, v166
	s_waitcnt vmcnt(22)
	v_fmac_f32_e32 v39, v9, v167
	v_add_f32_e32 v38, 0, v38
	s_waitcnt vmcnt(21)
	v_fmac_f32_e32 v40, v11, v168
	v_add_f32_e32 v38, v38, v39
	;; [unrolled: 3-line block ×14, first 2 shown]
	v_add_f32_e32 v38, v38, v52
	s_waitcnt vmcnt(8)
	v_fmac_f32_e32 v53, v37, v181
	v_add_f32_e32 v55, v38, v53
	ds_read_b128 v[38:41], v4 offset:608
	buffer_load_dword v47, off, s[0:3], 0 offset:284
	buffer_load_dword v49, off, s[0:3], 0 offset:308
	;; [unrolled: 1-line block ×8, first 2 shown]
	ds_read_b128 v[42:45], v4 offset:624
	buffer_load_dword v61, off, s[0:3], 0 offset:340
	buffer_load_dword v60, off, s[0:3], 0 offset:336
	;; [unrolled: 1-line block ×8, first 2 shown]
	v_mul_f32_e32 v5, v7, v5
	v_fma_f32 v5, v6, v166, -v5
	v_mul_f32_e32 v6, v9, v54
	v_add_f32_e32 v5, 0, v5
	v_fma_f32 v6, v8, v167, -v6
	v_add_f32_e32 v5, v5, v6
	v_mul_f32_e32 v6, v11, v56
	v_fma_f32 v6, v10, v168, -v6
	v_add_f32_e32 v5, v5, v6
	v_mul_f32_e32 v6, v13, v58
	v_fma_f32 v6, v12, v169, -v6
	v_add_f32_e32 v5, v5, v6
	v_mul_f32_e32 v6, v15, v154
	v_fma_f32 v6, v14, v170, -v6
	v_add_f32_e32 v5, v5, v6
	v_mul_f32_e32 v6, v17, v155
	v_fma_f32 v6, v16, v171, -v6
	v_add_f32_e32 v5, v5, v6
	v_mul_f32_e32 v6, v19, v156
	v_fma_f32 v6, v18, v172, -v6
	v_add_f32_e32 v5, v5, v6
	v_mul_f32_e32 v6, v21, v157
	v_fma_f32 v6, v20, v173, -v6
	v_add_f32_e32 v5, v5, v6
	v_mul_f32_e32 v6, v23, v158
	v_fma_f32 v6, v22, v174, -v6
	v_add_f32_e32 v5, v5, v6
	v_mul_f32_e32 v6, v25, v159
	v_fma_f32 v6, v24, v175, -v6
	v_add_f32_e32 v5, v5, v6
	v_mul_f32_e32 v6, v27, v160
	v_fma_f32 v6, v26, v176, -v6
	v_add_f32_e32 v5, v5, v6
	v_mul_f32_e32 v6, v29, v161
	v_fma_f32 v6, v28, v177, -v6
	v_add_f32_e32 v5, v5, v6
	v_mul_f32_e32 v6, v31, v162
	v_fma_f32 v6, v30, v178, -v6
	v_add_f32_e32 v5, v5, v6
	v_mul_f32_e32 v6, v33, v163
	v_fma_f32 v6, v32, v179, -v6
	v_add_f32_e32 v5, v5, v6
	v_mul_f32_e32 v6, v35, v164
	v_fma_f32 v6, v34, v180, -v6
	v_add_f32_e32 v5, v5, v6
	v_mul_f32_e32 v6, v37, v165
	v_fma_f32 v6, v36, v181, -v6
	s_waitcnt vmcnt(23) lgkmcnt(1)
	v_mul_f32_e32 v57, v38, v182
	v_add_f32_e32 v5, v5, v6
	v_mul_f32_e32 v6, v39, v182
	s_waitcnt vmcnt(22)
	v_fmac_f32_e32 v57, v39, v183
	v_fma_f32 v6, v38, v183, -v6
	v_add_f32_e32 v55, v55, v57
	s_waitcnt vmcnt(21)
	v_mul_f32_e32 v57, v40, v184
	v_add_f32_e32 v54, v5, v6
	v_mul_f32_e32 v5, v41, v184
	s_waitcnt vmcnt(20)
	v_fmac_f32_e32 v57, v41, v185
	s_waitcnt vmcnt(19) lgkmcnt(0)
	v_mul_f32_e32 v59, v42, v186
	v_fma_f32 v56, v40, v185, -v5
	v_mul_f32_e32 v5, v43, v186
	ds_read_b128 v[6:9], v4 offset:640
	ds_read_b128 v[10:13], v4 offset:656
	;; [unrolled: 1-line block ×3, first 2 shown]
	ds_read_b64 v[18:19], v4 offset:688
	s_waitcnt vmcnt(18)
	v_fmac_f32_e32 v59, v43, v187
	v_fma_f32 v58, v42, v187, -v5
	v_pk_add_f32 v[20:21], v[54:55], v[56:57]
	v_pk_add_f32 v[20:21], v[20:21], v[58:59]
	s_waitcnt vmcnt(15)
	v_mov_b32_e32 v22, v47
	v_pk_mul_f32 v[22:23], v[44:45], v[22:23] op_sel_hi:[1,0]
	s_waitcnt vmcnt(8)
	v_pk_fma_f32 v[24:25], v[44:45], v[46:47], v[22:23] op_sel:[0,0,1] op_sel_hi:[1,1,0] neg_lo:[0,0,1] neg_hi:[0,0,1]
	v_pk_fma_f32 v[22:23], v[44:45], v[46:47], v[22:23] op_sel:[0,0,1] op_sel_hi:[1,0,0]
	v_mov_b32_e32 v22, v53
	v_mov_b32_e32 v25, v23
	s_waitcnt lgkmcnt(3)
	v_pk_mul_f32 v[22:23], v[6:7], v[22:23] op_sel_hi:[1,0]
	v_pk_add_f32 v[20:21], v[20:21], v[24:25]
	v_pk_fma_f32 v[24:25], v[6:7], v[52:53], v[22:23] op_sel:[0,0,1] op_sel_hi:[1,1,0] neg_lo:[0,0,1] neg_hi:[0,0,1]
	v_pk_fma_f32 v[6:7], v[6:7], v[52:53], v[22:23] op_sel:[0,0,1] op_sel_hi:[1,0,0]
	v_mov_b32_e32 v25, v7
	v_pk_add_f32 v[6:7], v[20:21], v[24:25]
	v_mov_b32_e32 v20, v51
	v_pk_mul_f32 v[20:21], v[8:9], v[20:21] op_sel_hi:[1,0]
	v_pk_fma_f32 v[22:23], v[8:9], v[50:51], v[20:21] op_sel:[0,0,1] op_sel_hi:[1,1,0] neg_lo:[0,0,1] neg_hi:[0,0,1]
	v_pk_fma_f32 v[8:9], v[8:9], v[50:51], v[20:21] op_sel:[0,0,1] op_sel_hi:[1,0,0]
	v_mov_b32_e32 v8, v49
	v_mov_b32_e32 v23, v9
	s_waitcnt lgkmcnt(2)
	v_pk_mul_f32 v[8:9], v[10:11], v[8:9] op_sel_hi:[1,0]
	v_pk_fma_f32 v[20:21], v[10:11], v[48:49], v[8:9] op_sel:[0,0,1] op_sel_hi:[1,1,0] neg_lo:[0,0,1] neg_hi:[0,0,1]
	v_pk_fma_f32 v[8:9], v[10:11], v[48:49], v[8:9] op_sel:[0,0,1] op_sel_hi:[1,0,0]
	s_waitcnt vmcnt(1)
	v_mov_b32_e32 v8, v153
	v_mov_b32_e32 v21, v9
	v_pk_mul_f32 v[8:9], v[12:13], v[8:9] op_sel_hi:[1,0]
	s_waitcnt vmcnt(0)
	v_pk_fma_f32 v[10:11], v[12:13], v[152:153], v[8:9] op_sel:[0,0,1] op_sel_hi:[1,1,0] neg_lo:[0,0,1] neg_hi:[0,0,1]
	v_pk_fma_f32 v[8:9], v[12:13], v[152:153], v[8:9] op_sel:[0,0,1] op_sel_hi:[1,0,0]
	v_pk_add_f32 v[6:7], v[6:7], v[22:23]
	v_mov_b32_e32 v8, v65
	v_pk_add_f32 v[6:7], v[6:7], v[20:21]
	v_mov_b32_e32 v11, v9
	s_waitcnt lgkmcnt(1)
	v_pk_mul_f32 v[8:9], v[14:15], v[8:9] op_sel_hi:[1,0]
	v_pk_add_f32 v[6:7], v[6:7], v[10:11]
	v_pk_fma_f32 v[10:11], v[14:15], v[64:65], v[8:9] op_sel:[0,0,1] op_sel_hi:[1,1,0] neg_lo:[0,0,1] neg_hi:[0,0,1]
	v_pk_fma_f32 v[8:9], v[14:15], v[64:65], v[8:9] op_sel:[0,0,1] op_sel_hi:[1,0,0]
	v_mov_b32_e32 v8, v63
	v_mov_b32_e32 v11, v9
	v_pk_mul_f32 v[8:9], v[16:17], v[8:9] op_sel_hi:[1,0]
	v_pk_add_f32 v[6:7], v[6:7], v[10:11]
	v_pk_fma_f32 v[10:11], v[16:17], v[62:63], v[8:9] op_sel:[0,0,1] op_sel_hi:[1,1,0] neg_lo:[0,0,1] neg_hi:[0,0,1]
	v_pk_fma_f32 v[8:9], v[16:17], v[62:63], v[8:9] op_sel:[0,0,1] op_sel_hi:[1,0,0]
	v_mov_b32_e32 v8, v61
	v_mov_b32_e32 v11, v9
	s_waitcnt lgkmcnt(0)
	v_pk_mul_f32 v[8:9], v[18:19], v[8:9] op_sel_hi:[1,0]
	v_pk_add_f32 v[6:7], v[6:7], v[10:11]
	v_pk_fma_f32 v[10:11], v[18:19], v[60:61], v[8:9] op_sel:[0,0,1] op_sel_hi:[1,1,0] neg_lo:[0,0,1] neg_hi:[0,0,1]
	v_pk_fma_f32 v[8:9], v[18:19], v[60:61], v[8:9] op_sel:[0,0,1] op_sel_hi:[1,0,0]
	v_mov_b32_e32 v11, v9
	v_pk_add_f32 v[6:7], v[6:7], v[10:11]
	v_pk_add_f32 v[2:3], v[2:3], v[6:7] neg_lo:[0,1] neg_hi:[0,1]
	buffer_store_dword v3, off, s[0:3], 0 offset:124
	buffer_store_dword v2, off, s[0:3], 0 offset:120
	s_and_saveexec_b64 s[4:5], vcc
	s_cbranch_execz .LBB42_243
; %bb.242:
	buffer_load_dword v2, off, s[0:3], 0 offset:112
	buffer_load_dword v3, off, s[0:3], 0 offset:116
	s_waitcnt vmcnt(0)
	ds_write_b64 v1, v[2:3]
	buffer_store_dword v4, off, s[0:3], 0 offset:112
	buffer_store_dword v4, off, s[0:3], 0 offset:116
.LBB42_243:
	s_or_b64 exec, exec, s[4:5]
	s_waitcnt lgkmcnt(0)
	; wave barrier
	s_waitcnt lgkmcnt(0)
	buffer_load_dword v5, off, s[0:3], 0 offset:124
	buffer_load_dword v46, off, s[0:3], 0 offset:132
	;; [unrolled: 1-line block ×42, first 2 shown]
	ds_read2_b64 v[6:9], v4 offset0:59 offset1:60
	ds_read2_b64 v[10:13], v4 offset0:61 offset1:62
	ds_read2_b64 v[14:17], v4 offset0:63 offset1:64
	ds_read2_b64 v[18:21], v4 offset0:65 offset1:66
	ds_read2_b64 v[22:25], v4 offset0:67 offset1:68
	ds_read2_b64 v[26:29], v4 offset0:69 offset1:70
	ds_read2_b64 v[30:33], v4 offset0:71 offset1:72
	ds_read2_b64 v[34:37], v4 offset0:73 offset1:74
	v_cmp_lt_u32_e32 vcc, 13, v0
	s_waitcnt vmcnt(41) lgkmcnt(7)
	v_mul_f32_e32 v38, v6, v5
	s_waitcnt vmcnt(40)
	v_mul_f32_e32 v39, v8, v46
	s_waitcnt vmcnt(39) lgkmcnt(6)
	v_mul_f32_e32 v40, v10, v48
	s_waitcnt vmcnt(38)
	v_mul_f32_e32 v41, v12, v56
	;; [unrolled: 4-line block ×7, first 2 shown]
	s_waitcnt vmcnt(27) lgkmcnt(0)
	v_mul_f32_e32 v54, v34, v164
	s_waitcnt vmcnt(26)
	v_fmac_f32_e32 v38, v7, v165
	s_waitcnt vmcnt(25)
	v_fmac_f32_e32 v39, v9, v166
	v_add_f32_e32 v38, 0, v38
	s_waitcnt vmcnt(24)
	v_fmac_f32_e32 v40, v11, v167
	v_add_f32_e32 v38, v38, v39
	;; [unrolled: 3-line block ×14, first 2 shown]
	s_waitcnt vmcnt(11)
	v_mul_f32_e32 v43, v36, v180
	v_add_f32_e32 v42, v38, v54
	s_waitcnt vmcnt(10)
	v_fmac_f32_e32 v43, v37, v181
	ds_read2_b64 v[38:41], v4 offset0:75 offset1:76
	v_add_f32_e32 v47, v42, v43
	ds_read2_b64 v[42:45], v4 offset0:77 offset1:78
	buffer_load_dword v51, off, s[0:3], 0 offset:284
	buffer_load_dword v53, off, s[0:3], 0 offset:300
	;; [unrolled: 1-line block ×16, first 2 shown]
	v_mul_f32_e32 v5, v7, v5
	v_fma_f32 v5, v6, v165, -v5
	v_mul_f32_e32 v6, v9, v46
	v_add_f32_e32 v5, 0, v5
	v_fma_f32 v6, v8, v166, -v6
	v_add_f32_e32 v5, v5, v6
	v_mul_f32_e32 v6, v11, v48
	v_fma_f32 v6, v10, v167, -v6
	v_add_f32_e32 v5, v5, v6
	v_mul_f32_e32 v6, v13, v56
	;; [unrolled: 3-line block ×14, first 2 shown]
	v_fma_f32 v6, v36, v181, -v6
	v_add_f32_e32 v5, v5, v6
	s_waitcnt vmcnt(25) lgkmcnt(1)
	v_mul_f32_e32 v6, v39, v182
	s_waitcnt vmcnt(24)
	v_fma_f32 v6, v38, v183, -v6
	v_add_f32_e32 v5, v5, v6
	s_waitcnt vmcnt(23)
	v_mul_f32_e32 v6, v41, v184
	s_waitcnt vmcnt(22)
	v_fma_f32 v6, v40, v185, -v6
	v_add_f32_e32 v46, v5, v6
	ds_read2_b64 v[6:9], v4 offset0:79 offset1:80
	ds_read2_b64 v[10:13], v4 offset0:81 offset1:82
	;; [unrolled: 1-line block ×4, first 2 shown]
	v_mul_f32_e32 v49, v38, v182
	v_fmac_f32_e32 v49, v39, v183
	v_add_f32_e32 v47, v47, v49
	v_mul_f32_e32 v49, v40, v184
	v_fmac_f32_e32 v49, v41, v185
	v_add_f32_e32 v47, v47, v49
	s_waitcnt vmcnt(21) lgkmcnt(4)
	v_mul_f32_e32 v49, v42, v186
	v_mul_f32_e32 v5, v43, v186
	s_waitcnt vmcnt(20)
	v_fmac_f32_e32 v49, v43, v187
	s_waitcnt vmcnt(19)
	v_mul_f32_e32 v57, v44, v188
	v_fma_f32 v48, v42, v187, -v5
	v_mul_f32_e32 v5, v45, v188
	s_waitcnt vmcnt(18)
	v_fmac_f32_e32 v57, v45, v189
	v_fma_f32 v56, v44, v189, -v5
	v_pk_add_f32 v[4:5], v[46:47], v[48:49]
	v_pk_add_f32 v[4:5], v[4:5], v[56:57]
	s_waitcnt vmcnt(15)
	v_mov_b32_e32 v22, v51
	s_waitcnt lgkmcnt(3)
	v_pk_mul_f32 v[22:23], v[6:7], v[22:23] op_sel_hi:[1,0]
	s_waitcnt vmcnt(10)
	v_pk_fma_f32 v[24:25], v[6:7], v[50:51], v[22:23] op_sel:[0,0,1] op_sel_hi:[1,1,0] neg_lo:[0,0,1] neg_hi:[0,0,1]
	v_pk_fma_f32 v[6:7], v[6:7], v[50:51], v[22:23] op_sel:[0,0,1] op_sel_hi:[1,0,0]
	v_mov_b32_e32 v6, v55
	v_mov_b32_e32 v25, v7
	v_pk_mul_f32 v[6:7], v[8:9], v[6:7] op_sel_hi:[1,0]
	v_pk_fma_f32 v[22:23], v[8:9], v[54:55], v[6:7] op_sel:[0,0,1] op_sel_hi:[1,1,0] neg_lo:[0,0,1] neg_hi:[0,0,1]
	v_pk_fma_f32 v[6:7], v[8:9], v[54:55], v[6:7] op_sel:[0,0,1] op_sel_hi:[1,0,0]
	v_mov_b32_e32 v6, v53
	v_mov_b32_e32 v23, v7
	s_waitcnt lgkmcnt(2)
	v_pk_mul_f32 v[6:7], v[10:11], v[6:7] op_sel_hi:[1,0]
	v_pk_fma_f32 v[8:9], v[10:11], v[52:53], v[6:7] op_sel:[0,0,1] op_sel_hi:[1,1,0] neg_lo:[0,0,1] neg_hi:[0,0,1]
	v_pk_fma_f32 v[6:7], v[10:11], v[52:53], v[6:7] op_sel:[0,0,1] op_sel_hi:[1,0,0]
	v_pk_add_f32 v[4:5], v[4:5], v[24:25]
	s_waitcnt vmcnt(3)
	v_mov_b32_e32 v6, v65
	v_pk_add_f32 v[4:5], v[4:5], v[22:23]
	v_mov_b32_e32 v9, v7
	v_pk_mul_f32 v[6:7], v[12:13], v[6:7] op_sel_hi:[1,0]
	v_pk_add_f32 v[4:5], v[4:5], v[8:9]
	s_waitcnt vmcnt(2)
	v_pk_fma_f32 v[8:9], v[12:13], v[64:65], v[6:7] op_sel:[0,0,1] op_sel_hi:[1,1,0] neg_lo:[0,0,1] neg_hi:[0,0,1]
	v_pk_fma_f32 v[6:7], v[12:13], v[64:65], v[6:7] op_sel:[0,0,1] op_sel_hi:[1,0,0]
	v_mov_b32_e32 v6, v63
	v_mov_b32_e32 v9, v7
	s_waitcnt lgkmcnt(1)
	v_pk_mul_f32 v[6:7], v[14:15], v[6:7] op_sel_hi:[1,0]
	v_pk_add_f32 v[4:5], v[4:5], v[8:9]
	v_pk_fma_f32 v[8:9], v[14:15], v[62:63], v[6:7] op_sel:[0,0,1] op_sel_hi:[1,1,0] neg_lo:[0,0,1] neg_hi:[0,0,1]
	v_pk_fma_f32 v[6:7], v[14:15], v[62:63], v[6:7] op_sel:[0,0,1] op_sel_hi:[1,0,0]
	v_mov_b32_e32 v6, v61
	v_mov_b32_e32 v9, v7
	v_pk_mul_f32 v[6:7], v[16:17], v[6:7] op_sel_hi:[1,0]
	v_pk_add_f32 v[4:5], v[4:5], v[8:9]
	v_pk_fma_f32 v[8:9], v[16:17], v[60:61], v[6:7] op_sel:[0,0,1] op_sel_hi:[1,1,0] neg_lo:[0,0,1] neg_hi:[0,0,1]
	v_pk_fma_f32 v[6:7], v[16:17], v[60:61], v[6:7] op_sel:[0,0,1] op_sel_hi:[1,0,0]
	v_mov_b32_e32 v6, v59
	v_mov_b32_e32 v9, v7
	s_waitcnt lgkmcnt(0)
	v_pk_mul_f32 v[6:7], v[18:19], v[6:7] op_sel_hi:[1,0]
	v_pk_add_f32 v[4:5], v[4:5], v[8:9]
	v_pk_fma_f32 v[8:9], v[18:19], v[58:59], v[6:7] op_sel:[0,0,1] op_sel_hi:[1,1,0] neg_lo:[0,0,1] neg_hi:[0,0,1]
	v_pk_fma_f32 v[6:7], v[18:19], v[58:59], v[6:7] op_sel:[0,0,1] op_sel_hi:[1,0,0]
	s_waitcnt vmcnt(1)
	v_mov_b32_e32 v6, v153
	v_mov_b32_e32 v9, v7
	v_pk_mul_f32 v[6:7], v[20:21], v[6:7] op_sel_hi:[1,0]
	v_pk_add_f32 v[4:5], v[4:5], v[8:9]
	s_waitcnt vmcnt(0)
	v_pk_fma_f32 v[8:9], v[20:21], v[152:153], v[6:7] op_sel:[0,0,1] op_sel_hi:[1,1,0] neg_lo:[0,0,1] neg_hi:[0,0,1]
	v_pk_fma_f32 v[6:7], v[20:21], v[152:153], v[6:7] op_sel:[0,0,1] op_sel_hi:[1,0,0]
	v_mov_b32_e32 v9, v7
	v_pk_add_f32 v[4:5], v[4:5], v[8:9]
	v_pk_add_f32 v[2:3], v[2:3], v[4:5] neg_lo:[0,1] neg_hi:[0,1]
	buffer_store_dword v3, off, s[0:3], 0 offset:116
	buffer_store_dword v2, off, s[0:3], 0 offset:112
	s_and_saveexec_b64 s[4:5], vcc
	s_cbranch_execz .LBB42_245
; %bb.244:
	buffer_load_dword v2, off, s[0:3], 0 offset:104
	buffer_load_dword v3, off, s[0:3], 0 offset:108
	v_mov_b32_e32 v4, 0
	buffer_store_dword v4, off, s[0:3], 0 offset:104
	buffer_store_dword v4, off, s[0:3], 0 offset:108
	s_waitcnt vmcnt(2)
	ds_write_b64 v1, v[2:3]
.LBB42_245:
	s_or_b64 exec, exec, s[4:5]
	s_waitcnt lgkmcnt(0)
	; wave barrier
	s_waitcnt lgkmcnt(0)
	buffer_load_dword v5, off, s[0:3], 0 offset:116
	buffer_load_dword v54, off, s[0:3], 0 offset:124
	;; [unrolled: 1-line block ×44, first 2 shown]
	v_mov_b32_e32 v4, 0
	ds_read_b128 v[6:9], v4 offset:464
	ds_read_b128 v[10:13], v4 offset:480
	;; [unrolled: 1-line block ×8, first 2 shown]
	v_cmp_lt_u32_e32 vcc, 12, v0
	s_waitcnt vmcnt(43) lgkmcnt(7)
	v_mul_f32_e32 v38, v6, v5
	s_waitcnt vmcnt(42)
	v_mul_f32_e32 v39, v8, v54
	s_waitcnt vmcnt(41) lgkmcnt(6)
	v_mul_f32_e32 v40, v10, v60
	s_waitcnt vmcnt(40)
	v_mul_f32_e32 v41, v12, v62
	;; [unrolled: 4-line block ×7, first 2 shown]
	s_waitcnt vmcnt(29)
	v_fmac_f32_e32 v38, v7, v172
	s_waitcnt vmcnt(28)
	v_fmac_f32_e32 v39, v9, v173
	v_add_f32_e32 v38, 0, v38
	s_waitcnt vmcnt(27)
	v_fmac_f32_e32 v40, v11, v174
	v_add_f32_e32 v38, v38, v39
	;; [unrolled: 3-line block ×12, first 2 shown]
	v_add_f32_e32 v38, v38, v50
	s_waitcnt vmcnt(16)
	v_fmac_f32_e32 v51, v33, v185
	s_waitcnt vmcnt(15) lgkmcnt(0)
	v_mul_f32_e32 v39, v34, v186
	v_add_f32_e32 v38, v38, v51
	s_waitcnt vmcnt(14)
	v_fmac_f32_e32 v39, v35, v187
	v_add_f32_e32 v42, v38, v39
	ds_read_b128 v[38:41], v4 offset:592
	s_waitcnt vmcnt(13)
	v_mul_f32_e32 v43, v36, v188
	s_waitcnt vmcnt(12)
	v_fmac_f32_e32 v43, v37, v189
	v_add_f32_e32 v46, v42, v43
	ds_read_b128 v[42:45], v4 offset:608
	s_waitcnt vmcnt(11) lgkmcnt(1)
	v_mul_f32_e32 v47, v38, v190
	s_waitcnt vmcnt(10)
	v_fmac_f32_e32 v47, v39, v191
	v_add_f32_e32 v46, v46, v47
	s_waitcnt vmcnt(9)
	v_mul_f32_e32 v47, v40, v192
	s_waitcnt vmcnt(8)
	v_fmac_f32_e32 v47, v41, v193
	v_add_f32_e32 v46, v46, v47
	s_waitcnt vmcnt(7) lgkmcnt(0)
	v_mul_f32_e32 v47, v42, v194
	s_waitcnt vmcnt(6)
	v_fmac_f32_e32 v47, v43, v195
	v_add_f32_e32 v55, v46, v47
	ds_read_b128 v[46:49], v4 offset:624
	buffer_load_dword v57, off, s[0:3], 0 offset:292
	buffer_load_dword v56, off, s[0:3], 0 offset:288
	;; [unrolled: 1-line block ×4, first 2 shown]
	ds_read_b128 v[50:53], v4 offset:640
	buffer_load_dword v65, off, s[0:3], 0 offset:324
	buffer_load_dword v64, off, s[0:3], 0 offset:320
	;; [unrolled: 1-line block ×12, first 2 shown]
	v_mul_f32_e32 v5, v7, v5
	v_fma_f32 v5, v6, v172, -v5
	v_mul_f32_e32 v6, v9, v54
	v_add_f32_e32 v5, 0, v5
	v_fma_f32 v6, v8, v173, -v6
	v_add_f32_e32 v5, v5, v6
	v_mul_f32_e32 v6, v11, v60
	v_fma_f32 v6, v10, v174, -v6
	v_add_f32_e32 v5, v5, v6
	v_mul_f32_e32 v6, v13, v62
	;; [unrolled: 3-line block ×17, first 2 shown]
	v_fma_f32 v6, v42, v195, -v6
	s_waitcnt vmcnt(21)
	v_mul_f32_e32 v61, v44, v196
	v_add_f32_e32 v54, v5, v6
	v_mul_f32_e32 v5, v45, v196
	s_waitcnt vmcnt(20)
	v_fmac_f32_e32 v61, v45, v197
	s_waitcnt vmcnt(19) lgkmcnt(1)
	v_mul_f32_e32 v63, v46, v198
	v_fma_f32 v60, v44, v197, -v5
	v_mul_f32_e32 v5, v47, v198
	s_waitcnt vmcnt(18)
	v_fmac_f32_e32 v63, v47, v199
	v_fma_f32 v62, v46, v199, -v5
	v_pk_add_f32 v[16:17], v[54:55], v[60:61]
	v_pk_add_f32 v[16:17], v[16:17], v[62:63]
	ds_read_b128 v[6:9], v4 offset:656
	ds_read_b128 v[10:13], v4 offset:672
	ds_read_b64 v[14:15], v4 offset:688
	s_waitcnt vmcnt(13)
	v_mov_b32_e32 v18, v59
	v_pk_mul_f32 v[18:19], v[48:49], v[18:19] op_sel_hi:[1,0]
	s_waitcnt vmcnt(12)
	v_pk_fma_f32 v[20:21], v[48:49], v[58:59], v[18:19] op_sel:[0,0,1] op_sel_hi:[1,1,0] neg_lo:[0,0,1] neg_hi:[0,0,1]
	v_pk_fma_f32 v[18:19], v[48:49], v[58:59], v[18:19] op_sel:[0,0,1] op_sel_hi:[1,0,0]
	v_mov_b32_e32 v18, v57
	v_mov_b32_e32 v21, v19
	s_waitcnt lgkmcnt(3)
	v_pk_mul_f32 v[18:19], v[50:51], v[18:19] op_sel_hi:[1,0]
	v_pk_add_f32 v[16:17], v[16:17], v[20:21]
	v_pk_fma_f32 v[20:21], v[50:51], v[56:57], v[18:19] op_sel:[0,0,1] op_sel_hi:[1,1,0] neg_lo:[0,0,1] neg_hi:[0,0,1]
	v_pk_fma_f32 v[18:19], v[50:51], v[56:57], v[18:19] op_sel:[0,0,1] op_sel_hi:[1,0,0]
	s_waitcnt vmcnt(5)
	v_mov_b32_e32 v18, v157
	v_mov_b32_e32 v21, v19
	v_pk_mul_f32 v[18:19], v[52:53], v[18:19] op_sel_hi:[1,0]
	v_pk_add_f32 v[16:17], v[16:17], v[20:21]
	s_waitcnt vmcnt(4)
	v_pk_fma_f32 v[20:21], v[52:53], v[156:157], v[18:19] op_sel:[0,0,1] op_sel_hi:[1,1,0] neg_lo:[0,0,1] neg_hi:[0,0,1]
	v_pk_fma_f32 v[18:19], v[52:53], v[156:157], v[18:19] op_sel:[0,0,1] op_sel_hi:[1,0,0]
	v_mov_b32_e32 v18, v155
	v_mov_b32_e32 v21, v19
	s_waitcnt lgkmcnt(2)
	v_pk_mul_f32 v[18:19], v[6:7], v[18:19] op_sel_hi:[1,0]
	v_pk_add_f32 v[16:17], v[16:17], v[20:21]
	v_pk_fma_f32 v[20:21], v[6:7], v[154:155], v[18:19] op_sel:[0,0,1] op_sel_hi:[1,1,0] neg_lo:[0,0,1] neg_hi:[0,0,1]
	v_pk_fma_f32 v[6:7], v[6:7], v[154:155], v[18:19] op_sel:[0,0,1] op_sel_hi:[1,0,0]
	v_mov_b32_e32 v21, v7
	v_pk_add_f32 v[6:7], v[16:17], v[20:21]
	v_mov_b32_e32 v16, v153
	v_pk_mul_f32 v[16:17], v[8:9], v[16:17] op_sel_hi:[1,0]
	v_pk_fma_f32 v[18:19], v[8:9], v[152:153], v[16:17] op_sel:[0,0,1] op_sel_hi:[1,1,0] neg_lo:[0,0,1] neg_hi:[0,0,1]
	v_pk_fma_f32 v[8:9], v[8:9], v[152:153], v[16:17] op_sel:[0,0,1] op_sel_hi:[1,0,0]
	v_mov_b32_e32 v8, v65
	v_mov_b32_e32 v19, v9
	s_waitcnt lgkmcnt(1)
	v_pk_mul_f32 v[8:9], v[10:11], v[8:9] op_sel_hi:[1,0]
	v_pk_fma_f32 v[16:17], v[10:11], v[64:65], v[8:9] op_sel:[0,0,1] op_sel_hi:[1,1,0] neg_lo:[0,0,1] neg_hi:[0,0,1]
	v_pk_fma_f32 v[8:9], v[10:11], v[64:65], v[8:9] op_sel:[0,0,1] op_sel_hi:[1,0,0]
	s_waitcnt vmcnt(1)
	v_mov_b32_e32 v8, v161
	v_mov_b32_e32 v17, v9
	v_pk_mul_f32 v[8:9], v[12:13], v[8:9] op_sel_hi:[1,0]
	s_waitcnt vmcnt(0)
	v_pk_fma_f32 v[10:11], v[12:13], v[160:161], v[8:9] op_sel:[0,0,1] op_sel_hi:[1,1,0] neg_lo:[0,0,1] neg_hi:[0,0,1]
	v_pk_fma_f32 v[8:9], v[12:13], v[160:161], v[8:9] op_sel:[0,0,1] op_sel_hi:[1,0,0]
	v_pk_add_f32 v[6:7], v[6:7], v[18:19]
	v_mov_b32_e32 v8, v159
	v_pk_add_f32 v[6:7], v[6:7], v[16:17]
	v_mov_b32_e32 v11, v9
	s_waitcnt lgkmcnt(0)
	v_pk_mul_f32 v[8:9], v[14:15], v[8:9] op_sel_hi:[1,0]
	v_pk_add_f32 v[6:7], v[6:7], v[10:11]
	v_pk_fma_f32 v[10:11], v[14:15], v[158:159], v[8:9] op_sel:[0,0,1] op_sel_hi:[1,1,0] neg_lo:[0,0,1] neg_hi:[0,0,1]
	v_pk_fma_f32 v[8:9], v[14:15], v[158:159], v[8:9] op_sel:[0,0,1] op_sel_hi:[1,0,0]
	v_mov_b32_e32 v11, v9
	v_pk_add_f32 v[6:7], v[6:7], v[10:11]
	v_pk_add_f32 v[2:3], v[2:3], v[6:7] neg_lo:[0,1] neg_hi:[0,1]
	buffer_store_dword v3, off, s[0:3], 0 offset:108
	buffer_store_dword v2, off, s[0:3], 0 offset:104
	s_and_saveexec_b64 s[4:5], vcc
	s_cbranch_execz .LBB42_247
; %bb.246:
	buffer_load_dword v2, off, s[0:3], 0 offset:96
	buffer_load_dword v3, off, s[0:3], 0 offset:100
	s_waitcnt vmcnt(0)
	ds_write_b64 v1, v[2:3]
	buffer_store_dword v4, off, s[0:3], 0 offset:96
	buffer_store_dword v4, off, s[0:3], 0 offset:100
.LBB42_247:
	s_or_b64 exec, exec, s[4:5]
	s_waitcnt lgkmcnt(0)
	; wave barrier
	s_waitcnt lgkmcnt(0)
	buffer_load_dword v5, off, s[0:3], 0 offset:108
	buffer_load_dword v56, off, s[0:3], 0 offset:116
	;; [unrolled: 1-line block ×46, first 2 shown]
	ds_read2_b64 v[6:9], v4 offset0:57 offset1:58
	ds_read2_b64 v[10:13], v4 offset0:59 offset1:60
	;; [unrolled: 1-line block ×8, first 2 shown]
	v_cmp_lt_u32_e32 vcc, 11, v0
	s_waitcnt vmcnt(45) lgkmcnt(7)
	v_mul_f32_e32 v38, v6, v5
	s_waitcnt vmcnt(44)
	v_mul_f32_e32 v39, v8, v56
	s_waitcnt vmcnt(43) lgkmcnt(6)
	v_mul_f32_e32 v40, v10, v58
	s_waitcnt vmcnt(42)
	v_mul_f32_e32 v41, v12, v60
	s_waitcnt vmcnt(41) lgkmcnt(5)
	v_mul_f32_e32 v42, v14, v162
	s_waitcnt vmcnt(40)
	v_mul_f32_e32 v43, v16, v163
	s_waitcnt vmcnt(39) lgkmcnt(4)
	v_mul_f32_e32 v44, v18, v164
	s_waitcnt vmcnt(38)
	v_mul_f32_e32 v45, v20, v165
	s_waitcnt vmcnt(37) lgkmcnt(3)
	v_mul_f32_e32 v46, v22, v166
	s_waitcnt vmcnt(36)
	v_mul_f32_e32 v47, v24, v167
	s_waitcnt vmcnt(35) lgkmcnt(2)
	v_mul_f32_e32 v48, v26, v168
	s_waitcnt vmcnt(34)
	v_mul_f32_e32 v49, v28, v169
	s_waitcnt vmcnt(33) lgkmcnt(1)
	v_mul_f32_e32 v50, v30, v170
	s_waitcnt vmcnt(32)
	v_fmac_f32_e32 v38, v7, v171
	s_waitcnt vmcnt(31)
	v_fmac_f32_e32 v39, v9, v172
	v_add_f32_e32 v38, 0, v38
	s_waitcnt vmcnt(30)
	v_fmac_f32_e32 v40, v11, v173
	v_add_f32_e32 v38, v38, v39
	s_waitcnt vmcnt(29)
	v_fmac_f32_e32 v41, v13, v174
	v_add_f32_e32 v38, v38, v40
	s_waitcnt vmcnt(28)
	v_fmac_f32_e32 v42, v15, v175
	v_add_f32_e32 v38, v38, v41
	s_waitcnt vmcnt(27)
	v_fmac_f32_e32 v43, v17, v176
	v_add_f32_e32 v38, v38, v42
	s_waitcnt vmcnt(26)
	v_fmac_f32_e32 v44, v19, v177
	v_add_f32_e32 v38, v38, v43
	s_waitcnt vmcnt(25)
	v_fmac_f32_e32 v45, v21, v178
	v_add_f32_e32 v38, v38, v44
	s_waitcnt vmcnt(24)
	v_fmac_f32_e32 v46, v23, v179
	v_add_f32_e32 v38, v38, v45
	s_waitcnt vmcnt(23)
	v_fmac_f32_e32 v47, v25, v180
	v_add_f32_e32 v38, v38, v46
	s_waitcnt vmcnt(22)
	v_fmac_f32_e32 v48, v27, v181
	v_add_f32_e32 v38, v38, v47
	s_waitcnt vmcnt(21)
	v_fmac_f32_e32 v49, v29, v182
	v_add_f32_e32 v38, v38, v48
	s_waitcnt vmcnt(20)
	v_fmac_f32_e32 v50, v31, v183
	v_add_f32_e32 v38, v38, v49
	s_waitcnt vmcnt(19)
	v_mul_f32_e32 v39, v32, v184
	v_add_f32_e32 v38, v38, v50
	s_waitcnt vmcnt(18)
	v_fmac_f32_e32 v39, v33, v185
	v_add_f32_e32 v38, v38, v39
	s_waitcnt vmcnt(17) lgkmcnt(0)
	v_mul_f32_e32 v39, v34, v186
	s_waitcnt vmcnt(16)
	v_fmac_f32_e32 v39, v35, v187
	v_add_f32_e32 v42, v38, v39
	ds_read2_b64 v[38:41], v4 offset0:73 offset1:74
	s_waitcnt vmcnt(15)
	v_mul_f32_e32 v43, v36, v188
	s_waitcnt vmcnt(14)
	v_fmac_f32_e32 v43, v37, v189
	v_add_f32_e32 v46, v42, v43
	ds_read2_b64 v[42:45], v4 offset0:75 offset1:76
	buffer_load_dword v55, off, s[0:3], 0 offset:284
	buffer_load_dword v54, off, s[0:3], 0 offset:280
	s_waitcnt vmcnt(15) lgkmcnt(1)
	v_mul_f32_e32 v47, v38, v190
	s_waitcnt vmcnt(14)
	v_fmac_f32_e32 v47, v39, v191
	v_add_f32_e32 v46, v46, v47
	s_waitcnt vmcnt(13)
	v_mul_f32_e32 v47, v40, v192
	s_waitcnt vmcnt(12)
	v_fmac_f32_e32 v47, v41, v193
	v_add_f32_e32 v46, v46, v47
	s_waitcnt vmcnt(11) lgkmcnt(0)
	v_mul_f32_e32 v47, v42, v194
	s_waitcnt vmcnt(10)
	v_fmac_f32_e32 v47, v43, v195
	s_waitcnt vmcnt(9)
	v_mul_f32_e32 v51, v44, v196
	v_add_f32_e32 v50, v46, v47
	s_waitcnt vmcnt(8)
	v_fmac_f32_e32 v51, v45, v197
	ds_read2_b64 v[46:49], v4 offset0:77 offset1:78
	v_add_f32_e32 v57, v50, v51
	ds_read2_b64 v[50:53], v4 offset0:79 offset1:80
	buffer_load_dword v63, off, s[0:3], 0 offset:316
	buffer_load_dword v62, off, s[0:3], 0 offset:312
	;; [unrolled: 1-line block ×14, first 2 shown]
	v_mul_f32_e32 v5, v7, v5
	v_fma_f32 v5, v6, v171, -v5
	v_mul_f32_e32 v6, v9, v56
	v_add_f32_e32 v5, 0, v5
	v_fma_f32 v6, v8, v172, -v6
	v_add_f32_e32 v5, v5, v6
	v_mul_f32_e32 v6, v11, v58
	v_fma_f32 v6, v10, v173, -v6
	v_add_f32_e32 v5, v5, v6
	v_mul_f32_e32 v6, v13, v60
	;; [unrolled: 3-line block ×18, first 2 shown]
	v_fma_f32 v6, v44, v197, -v6
	s_waitcnt vmcnt(21) lgkmcnt(1)
	v_mul_f32_e32 v59, v46, v198
	v_add_f32_e32 v56, v5, v6
	v_mul_f32_e32 v5, v47, v198
	s_waitcnt vmcnt(20)
	v_fmac_f32_e32 v59, v47, v199
	s_waitcnt vmcnt(15)
	v_mov_b32_e32 v18, v55
	s_waitcnt lgkmcnt(0)
	v_pk_mul_f32 v[18:19], v[50:51], v[18:19] op_sel_hi:[1,0]
	v_mul_f32_e32 v61, v48, v200
	v_fma_f32 v58, v46, v199, -v5
	v_mul_f32_e32 v5, v49, v200
	s_waitcnt vmcnt(14)
	v_pk_fma_f32 v[20:21], v[50:51], v[54:55], v[18:19] op_sel:[0,0,1] op_sel_hi:[1,1,0] neg_lo:[0,0,1] neg_hi:[0,0,1]
	v_pk_fma_f32 v[18:19], v[50:51], v[54:55], v[18:19] op_sel:[0,0,1] op_sel_hi:[1,0,0]
	v_fmac_f32_e32 v61, v49, v201
	v_fma_f32 v60, v48, v201, -v5
	ds_read2_b64 v[6:9], v4 offset0:81 offset1:82
	ds_read2_b64 v[10:13], v4 offset0:83 offset1:84
	;; [unrolled: 1-line block ×3, first 2 shown]
	v_pk_add_f32 v[4:5], v[56:57], v[58:59]
	s_waitcnt vmcnt(7)
	v_mov_b32_e32 v18, v155
	v_pk_add_f32 v[4:5], v[4:5], v[60:61]
	v_mov_b32_e32 v21, v19
	v_pk_mul_f32 v[18:19], v[52:53], v[18:19] op_sel_hi:[1,0]
	v_pk_add_f32 v[4:5], v[4:5], v[20:21]
	s_waitcnt vmcnt(6)
	v_pk_fma_f32 v[20:21], v[52:53], v[154:155], v[18:19] op_sel:[0,0,1] op_sel_hi:[1,1,0] neg_lo:[0,0,1] neg_hi:[0,0,1]
	v_pk_fma_f32 v[18:19], v[52:53], v[154:155], v[18:19] op_sel:[0,0,1] op_sel_hi:[1,0,0]
	v_mov_b32_e32 v18, v153
	v_mov_b32_e32 v21, v19
	s_waitcnt lgkmcnt(2)
	v_pk_mul_f32 v[18:19], v[6:7], v[18:19] op_sel_hi:[1,0]
	v_pk_add_f32 v[4:5], v[4:5], v[20:21]
	v_pk_fma_f32 v[20:21], v[6:7], v[152:153], v[18:19] op_sel:[0,0,1] op_sel_hi:[1,1,0] neg_lo:[0,0,1] neg_hi:[0,0,1]
	v_pk_fma_f32 v[6:7], v[6:7], v[152:153], v[18:19] op_sel:[0,0,1] op_sel_hi:[1,0,0]
	v_mov_b32_e32 v6, v65
	v_mov_b32_e32 v21, v7
	v_pk_mul_f32 v[6:7], v[8:9], v[6:7] op_sel_hi:[1,0]
	v_pk_fma_f32 v[18:19], v[8:9], v[64:65], v[6:7] op_sel:[0,0,1] op_sel_hi:[1,1,0] neg_lo:[0,0,1] neg_hi:[0,0,1]
	v_pk_fma_f32 v[6:7], v[8:9], v[64:65], v[6:7] op_sel:[0,0,1] op_sel_hi:[1,0,0]
	v_mov_b32_e32 v6, v63
	v_mov_b32_e32 v19, v7
	s_waitcnt lgkmcnt(1)
	v_pk_mul_f32 v[6:7], v[10:11], v[6:7] op_sel_hi:[1,0]
	v_pk_fma_f32 v[8:9], v[10:11], v[62:63], v[6:7] op_sel:[0,0,1] op_sel_hi:[1,1,0] neg_lo:[0,0,1] neg_hi:[0,0,1]
	v_pk_fma_f32 v[6:7], v[10:11], v[62:63], v[6:7] op_sel:[0,0,1] op_sel_hi:[1,0,0]
	v_pk_add_f32 v[4:5], v[4:5], v[20:21]
	s_waitcnt vmcnt(1)
	v_mov_b32_e32 v6, v161
	v_pk_add_f32 v[4:5], v[4:5], v[18:19]
	v_mov_b32_e32 v9, v7
	v_pk_mul_f32 v[6:7], v[12:13], v[6:7] op_sel_hi:[1,0]
	v_pk_add_f32 v[4:5], v[4:5], v[8:9]
	s_waitcnt vmcnt(0)
	v_pk_fma_f32 v[8:9], v[12:13], v[160:161], v[6:7] op_sel:[0,0,1] op_sel_hi:[1,1,0] neg_lo:[0,0,1] neg_hi:[0,0,1]
	v_pk_fma_f32 v[6:7], v[12:13], v[160:161], v[6:7] op_sel:[0,0,1] op_sel_hi:[1,0,0]
	v_mov_b32_e32 v6, v159
	v_mov_b32_e32 v9, v7
	s_waitcnt lgkmcnt(0)
	v_pk_mul_f32 v[6:7], v[14:15], v[6:7] op_sel_hi:[1,0]
	v_pk_add_f32 v[4:5], v[4:5], v[8:9]
	v_pk_fma_f32 v[8:9], v[14:15], v[158:159], v[6:7] op_sel:[0,0,1] op_sel_hi:[1,1,0] neg_lo:[0,0,1] neg_hi:[0,0,1]
	v_pk_fma_f32 v[6:7], v[14:15], v[158:159], v[6:7] op_sel:[0,0,1] op_sel_hi:[1,0,0]
	v_mov_b32_e32 v6, v157
	v_mov_b32_e32 v9, v7
	v_pk_mul_f32 v[6:7], v[16:17], v[6:7] op_sel_hi:[1,0]
	v_pk_add_f32 v[4:5], v[4:5], v[8:9]
	v_pk_fma_f32 v[8:9], v[16:17], v[156:157], v[6:7] op_sel:[0,0,1] op_sel_hi:[1,1,0] neg_lo:[0,0,1] neg_hi:[0,0,1]
	v_pk_fma_f32 v[6:7], v[16:17], v[156:157], v[6:7] op_sel:[0,0,1] op_sel_hi:[1,0,0]
	v_mov_b32_e32 v9, v7
	v_pk_add_f32 v[4:5], v[4:5], v[8:9]
	v_pk_add_f32 v[2:3], v[2:3], v[4:5] neg_lo:[0,1] neg_hi:[0,1]
	buffer_store_dword v3, off, s[0:3], 0 offset:100
	buffer_store_dword v2, off, s[0:3], 0 offset:96
	s_and_saveexec_b64 s[4:5], vcc
	s_cbranch_execz .LBB42_249
; %bb.248:
	buffer_load_dword v2, off, s[0:3], 0 offset:88
	buffer_load_dword v3, off, s[0:3], 0 offset:92
	v_mov_b32_e32 v4, 0
	buffer_store_dword v4, off, s[0:3], 0 offset:88
	buffer_store_dword v4, off, s[0:3], 0 offset:92
	s_waitcnt vmcnt(2)
	ds_write_b64 v1, v[2:3]
.LBB42_249:
	s_or_b64 exec, exec, s[4:5]
	s_waitcnt lgkmcnt(0)
	; wave barrier
	s_waitcnt lgkmcnt(0)
	buffer_load_dword v5, off, s[0:3], 0 offset:100
	buffer_load_dword v54, off, s[0:3], 0 offset:108
	;; [unrolled: 1-line block ×48, first 2 shown]
	v_mov_b32_e32 v4, 0
	ds_read_b128 v[6:9], v4 offset:448
	ds_read_b128 v[10:13], v4 offset:464
	;; [unrolled: 1-line block ×6, first 2 shown]
	v_cmp_lt_u32_e32 vcc, 10, v0
	s_waitcnt vmcnt(47) lgkmcnt(5)
	v_mul_f32_e32 v30, v6, v5
	s_waitcnt vmcnt(46)
	v_mul_f32_e32 v31, v8, v54
	s_waitcnt vmcnt(45) lgkmcnt(4)
	v_mul_f32_e32 v32, v10, v56
	s_waitcnt vmcnt(44)
	v_mul_f32_e32 v33, v12, v58
	s_waitcnt vmcnt(43) lgkmcnt(3)
	v_mul_f32_e32 v34, v14, v162
	s_waitcnt vmcnt(42)
	v_mul_f32_e32 v35, v16, v163
	s_waitcnt vmcnt(41) lgkmcnt(2)
	v_mul_f32_e32 v36, v18, v164
	s_waitcnt vmcnt(40)
	v_mul_f32_e32 v37, v20, v165
	s_waitcnt vmcnt(39) lgkmcnt(1)
	v_mul_f32_e32 v38, v22, v166
	s_waitcnt vmcnt(38)
	v_mul_f32_e32 v39, v24, v167
	s_waitcnt vmcnt(37) lgkmcnt(0)
	v_mul_f32_e32 v40, v26, v168
	s_waitcnt vmcnt(36)
	v_mul_f32_e32 v41, v28, v169
	s_waitcnt vmcnt(35)
	v_fmac_f32_e32 v30, v7, v170
	s_waitcnt vmcnt(34)
	v_fmac_f32_e32 v31, v9, v171
	v_add_f32_e32 v30, 0, v30
	s_waitcnt vmcnt(33)
	v_fmac_f32_e32 v32, v11, v172
	v_add_f32_e32 v30, v30, v31
	;; [unrolled: 3-line block ×8, first 2 shown]
	v_add_f32_e32 v34, v30, v38
	ds_read_b128 v[30:33], v4 offset:544
	s_waitcnt vmcnt(26)
	v_fmac_f32_e32 v39, v25, v179
	s_waitcnt vmcnt(25)
	v_fmac_f32_e32 v40, v27, v180
	v_add_f32_e32 v34, v34, v39
	s_waitcnt vmcnt(24)
	v_fmac_f32_e32 v41, v29, v181
	v_add_f32_e32 v34, v34, v40
	v_add_f32_e32 v38, v34, v41
	ds_read_b128 v[34:37], v4 offset:560
	s_waitcnt vmcnt(23) lgkmcnt(1)
	v_mul_f32_e32 v39, v30, v182
	s_waitcnt vmcnt(22)
	v_fmac_f32_e32 v39, v31, v183
	v_add_f32_e32 v38, v38, v39
	s_waitcnt vmcnt(21)
	v_mul_f32_e32 v39, v32, v184
	s_waitcnt vmcnt(20)
	v_fmac_f32_e32 v39, v33, v185
	v_add_f32_e32 v38, v38, v39
	s_waitcnt vmcnt(19) lgkmcnt(0)
	v_mul_f32_e32 v39, v34, v186
	s_waitcnt vmcnt(18)
	v_fmac_f32_e32 v39, v35, v187
	v_add_f32_e32 v42, v38, v39
	ds_read_b128 v[38:41], v4 offset:576
	s_waitcnt vmcnt(17)
	v_mul_f32_e32 v43, v36, v188
	s_waitcnt vmcnt(16)
	v_fmac_f32_e32 v43, v37, v189
	v_add_f32_e32 v46, v42, v43
	ds_read_b128 v[42:45], v4 offset:592
	s_waitcnt vmcnt(15) lgkmcnt(1)
	v_mul_f32_e32 v47, v38, v190
	s_waitcnt vmcnt(14)
	v_fmac_f32_e32 v47, v39, v191
	v_add_f32_e32 v46, v46, v47
	s_waitcnt vmcnt(13)
	v_mul_f32_e32 v47, v40, v192
	s_waitcnt vmcnt(12)
	v_fmac_f32_e32 v47, v41, v193
	v_add_f32_e32 v46, v46, v47
	s_waitcnt vmcnt(11) lgkmcnt(0)
	v_mul_f32_e32 v47, v42, v194
	s_waitcnt vmcnt(10)
	v_fmac_f32_e32 v47, v43, v195
	s_waitcnt vmcnt(9)
	v_mul_f32_e32 v51, v44, v196
	v_add_f32_e32 v50, v46, v47
	s_waitcnt vmcnt(8)
	v_fmac_f32_e32 v51, v45, v197
	ds_read_b128 v[46:49], v4 offset:608
	v_add_f32_e32 v55, v50, v51
	ds_read_b128 v[50:53], v4 offset:624
	buffer_load_dword v61, off, s[0:3], 0 offset:308
	buffer_load_dword v60, off, s[0:3], 0 offset:304
	;; [unrolled: 1-line block ×16, first 2 shown]
	v_mul_f32_e32 v5, v7, v5
	v_fma_f32 v5, v6, v170, -v5
	v_mul_f32_e32 v6, v9, v54
	v_add_f32_e32 v5, 0, v5
	v_fma_f32 v6, v8, v171, -v6
	v_add_f32_e32 v5, v5, v6
	v_mul_f32_e32 v6, v11, v56
	v_fma_f32 v6, v10, v172, -v6
	v_add_f32_e32 v5, v5, v6
	v_mul_f32_e32 v6, v13, v58
	v_fma_f32 v6, v12, v173, -v6
	v_add_f32_e32 v5, v5, v6
	v_mul_f32_e32 v6, v15, v162
	v_fma_f32 v6, v14, v174, -v6
	v_add_f32_e32 v5, v5, v6
	v_mul_f32_e32 v6, v17, v163
	v_fma_f32 v6, v16, v175, -v6
	v_add_f32_e32 v5, v5, v6
	v_mul_f32_e32 v6, v19, v164
	v_fma_f32 v6, v18, v176, -v6
	v_add_f32_e32 v5, v5, v6
	v_mul_f32_e32 v6, v21, v165
	v_fma_f32 v6, v20, v177, -v6
	v_add_f32_e32 v5, v5, v6
	v_mul_f32_e32 v6, v23, v166
	v_fma_f32 v6, v22, v178, -v6
	v_add_f32_e32 v5, v5, v6
	v_mul_f32_e32 v6, v25, v167
	v_fma_f32 v6, v24, v179, -v6
	v_add_f32_e32 v5, v5, v6
	v_mul_f32_e32 v6, v27, v168
	v_fma_f32 v6, v26, v180, -v6
	v_add_f32_e32 v5, v5, v6
	v_mul_f32_e32 v6, v29, v169
	v_fma_f32 v6, v28, v181, -v6
	v_add_f32_e32 v5, v5, v6
	v_mul_f32_e32 v6, v31, v182
	v_fma_f32 v6, v30, v183, -v6
	v_add_f32_e32 v5, v5, v6
	v_mul_f32_e32 v6, v33, v184
	v_fma_f32 v6, v32, v185, -v6
	v_add_f32_e32 v5, v5, v6
	v_mul_f32_e32 v6, v35, v186
	v_fma_f32 v6, v34, v187, -v6
	v_add_f32_e32 v5, v5, v6
	v_mul_f32_e32 v6, v37, v188
	v_fma_f32 v6, v36, v189, -v6
	v_add_f32_e32 v5, v5, v6
	v_mul_f32_e32 v6, v39, v190
	v_fma_f32 v6, v38, v191, -v6
	v_add_f32_e32 v5, v5, v6
	v_mul_f32_e32 v6, v41, v192
	v_fma_f32 v6, v40, v193, -v6
	v_add_f32_e32 v5, v5, v6
	v_mul_f32_e32 v6, v43, v194
	v_fma_f32 v6, v42, v195, -v6
	v_add_f32_e32 v5, v5, v6
	v_mul_f32_e32 v6, v45, v196
	v_fma_f32 v6, v44, v197, -v6
	s_waitcnt vmcnt(22) lgkmcnt(1)
	v_mul_f32_e32 v57, v46, v199
	v_add_f32_e32 v5, v5, v6
	v_mul_f32_e32 v6, v47, v199
	v_fmac_f32_e32 v57, v47, v198
	v_fma_f32 v6, v46, v198, -v6
	v_add_f32_e32 v55, v55, v57
	s_waitcnt vmcnt(19)
	v_mul_f32_e32 v57, v48, v200
	v_add_f32_e32 v54, v5, v6
	v_mul_f32_e32 v5, v49, v200
	s_waitcnt vmcnt(18)
	v_fmac_f32_e32 v57, v49, v201
	s_waitcnt vmcnt(17) lgkmcnt(0)
	v_mul_f32_e32 v59, v50, v202
	s_waitcnt vmcnt(9)
	v_mov_b32_e32 v22, v153
	v_pk_mul_f32 v[22:23], v[52:53], v[22:23] op_sel_hi:[1,0]
	v_fma_f32 v56, v48, v201, -v5
	v_mul_f32_e32 v5, v51, v202
	ds_read_b128 v[6:9], v4 offset:640
	ds_read_b128 v[10:13], v4 offset:656
	;; [unrolled: 1-line block ×3, first 2 shown]
	ds_read_b64 v[18:19], v4 offset:688
	s_waitcnt vmcnt(8)
	v_pk_fma_f32 v[24:25], v[52:53], v[152:153], v[22:23] op_sel:[0,0,1] op_sel_hi:[1,1,0] neg_lo:[0,0,1] neg_hi:[0,0,1]
	v_pk_fma_f32 v[22:23], v[52:53], v[152:153], v[22:23] op_sel:[0,0,1] op_sel_hi:[1,0,0]
	v_fmac_f32_e32 v59, v51, v203
	v_fma_f32 v58, v50, v203, -v5
	v_pk_add_f32 v[20:21], v[54:55], v[56:57]
	v_mov_b32_e32 v22, v65
	v_pk_add_f32 v[20:21], v[20:21], v[58:59]
	v_mov_b32_e32 v25, v23
	s_waitcnt lgkmcnt(3)
	v_pk_mul_f32 v[22:23], v[6:7], v[22:23] op_sel_hi:[1,0]
	v_pk_add_f32 v[20:21], v[20:21], v[24:25]
	v_pk_fma_f32 v[24:25], v[6:7], v[64:65], v[22:23] op_sel:[0,0,1] op_sel_hi:[1,1,0] neg_lo:[0,0,1] neg_hi:[0,0,1]
	v_pk_fma_f32 v[6:7], v[6:7], v[64:65], v[22:23] op_sel:[0,0,1] op_sel_hi:[1,0,0]
	v_mov_b32_e32 v25, v7
	v_pk_add_f32 v[6:7], v[20:21], v[24:25]
	v_mov_b32_e32 v20, v63
	v_pk_mul_f32 v[20:21], v[8:9], v[20:21] op_sel_hi:[1,0]
	v_pk_fma_f32 v[22:23], v[8:9], v[62:63], v[20:21] op_sel:[0,0,1] op_sel_hi:[1,1,0] neg_lo:[0,0,1] neg_hi:[0,0,1]
	v_pk_fma_f32 v[8:9], v[8:9], v[62:63], v[20:21] op_sel:[0,0,1] op_sel_hi:[1,0,0]
	v_mov_b32_e32 v8, v61
	v_mov_b32_e32 v23, v9
	s_waitcnt lgkmcnt(2)
	v_pk_mul_f32 v[8:9], v[10:11], v[8:9] op_sel_hi:[1,0]
	v_pk_fma_f32 v[20:21], v[10:11], v[60:61], v[8:9] op_sel:[0,0,1] op_sel_hi:[1,1,0] neg_lo:[0,0,1] neg_hi:[0,0,1]
	v_pk_fma_f32 v[8:9], v[10:11], v[60:61], v[8:9] op_sel:[0,0,1] op_sel_hi:[1,0,0]
	s_waitcnt vmcnt(1)
	v_mov_b32_e32 v8, v161
	v_mov_b32_e32 v21, v9
	v_pk_mul_f32 v[8:9], v[12:13], v[8:9] op_sel_hi:[1,0]
	s_waitcnt vmcnt(0)
	v_pk_fma_f32 v[10:11], v[12:13], v[160:161], v[8:9] op_sel:[0,0,1] op_sel_hi:[1,1,0] neg_lo:[0,0,1] neg_hi:[0,0,1]
	v_pk_fma_f32 v[8:9], v[12:13], v[160:161], v[8:9] op_sel:[0,0,1] op_sel_hi:[1,0,0]
	v_pk_add_f32 v[6:7], v[6:7], v[22:23]
	v_mov_b32_e32 v8, v159
	v_pk_add_f32 v[6:7], v[6:7], v[20:21]
	v_mov_b32_e32 v11, v9
	s_waitcnt lgkmcnt(1)
	v_pk_mul_f32 v[8:9], v[14:15], v[8:9] op_sel_hi:[1,0]
	v_pk_add_f32 v[6:7], v[6:7], v[10:11]
	v_pk_fma_f32 v[10:11], v[14:15], v[158:159], v[8:9] op_sel:[0,0,1] op_sel_hi:[1,1,0] neg_lo:[0,0,1] neg_hi:[0,0,1]
	v_pk_fma_f32 v[8:9], v[14:15], v[158:159], v[8:9] op_sel:[0,0,1] op_sel_hi:[1,0,0]
	v_mov_b32_e32 v8, v157
	v_mov_b32_e32 v11, v9
	v_pk_mul_f32 v[8:9], v[16:17], v[8:9] op_sel_hi:[1,0]
	v_pk_add_f32 v[6:7], v[6:7], v[10:11]
	v_pk_fma_f32 v[10:11], v[16:17], v[156:157], v[8:9] op_sel:[0,0,1] op_sel_hi:[1,1,0] neg_lo:[0,0,1] neg_hi:[0,0,1]
	v_pk_fma_f32 v[8:9], v[16:17], v[156:157], v[8:9] op_sel:[0,0,1] op_sel_hi:[1,0,0]
	v_mov_b32_e32 v8, v155
	v_mov_b32_e32 v11, v9
	s_waitcnt lgkmcnt(0)
	v_pk_mul_f32 v[8:9], v[18:19], v[8:9] op_sel_hi:[1,0]
	v_pk_add_f32 v[6:7], v[6:7], v[10:11]
	v_pk_fma_f32 v[10:11], v[18:19], v[154:155], v[8:9] op_sel:[0,0,1] op_sel_hi:[1,1,0] neg_lo:[0,0,1] neg_hi:[0,0,1]
	v_pk_fma_f32 v[8:9], v[18:19], v[154:155], v[8:9] op_sel:[0,0,1] op_sel_hi:[1,0,0]
	v_mov_b32_e32 v11, v9
	v_pk_add_f32 v[6:7], v[6:7], v[10:11]
	v_pk_add_f32 v[2:3], v[2:3], v[6:7] neg_lo:[0,1] neg_hi:[0,1]
	buffer_store_dword v3, off, s[0:3], 0 offset:92
	buffer_store_dword v2, off, s[0:3], 0 offset:88
	s_and_saveexec_b64 s[4:5], vcc
	s_cbranch_execz .LBB42_251
; %bb.250:
	buffer_load_dword v2, off, s[0:3], 0 offset:80
	buffer_load_dword v3, off, s[0:3], 0 offset:84
	s_waitcnt vmcnt(0)
	ds_write_b64 v1, v[2:3]
	buffer_store_dword v4, off, s[0:3], 0 offset:80
	buffer_store_dword v4, off, s[0:3], 0 offset:84
.LBB42_251:
	s_or_b64 exec, exec, s[4:5]
	s_waitcnt lgkmcnt(0)
	; wave barrier
	s_waitcnt lgkmcnt(0)
	buffer_load_dword v5, off, s[0:3], 0 offset:92
	buffer_load_dword v54, off, s[0:3], 0 offset:100
	;; [unrolled: 1-line block ×48, first 2 shown]
	ds_read2_b64 v[6:9], v4 offset0:55 offset1:56
	ds_read2_b64 v[10:13], v4 offset0:57 offset1:58
	;; [unrolled: 1-line block ×6, first 2 shown]
	buffer_load_dword v204, off, s[0:3], 0 offset:272
	buffer_load_dword v205, off, s[0:3], 0 offset:276
	v_cmp_lt_u32_e32 vcc, 9, v0
	s_waitcnt vmcnt(49) lgkmcnt(5)
	v_mul_f32_e32 v30, v6, v5
	s_waitcnt vmcnt(48)
	v_mul_f32_e32 v31, v8, v54
	s_waitcnt vmcnt(47) lgkmcnt(4)
	v_mul_f32_e32 v32, v10, v56
	s_waitcnt vmcnt(46)
	v_mul_f32_e32 v33, v12, v64
	;; [unrolled: 4-line block ×6, first 2 shown]
	s_waitcnt vmcnt(37)
	v_fmac_f32_e32 v30, v7, v170
	s_waitcnt vmcnt(36)
	v_fmac_f32_e32 v31, v9, v171
	v_add_f32_e32 v30, 0, v30
	s_waitcnt vmcnt(35)
	v_fmac_f32_e32 v32, v11, v172
	v_add_f32_e32 v30, v30, v31
	;; [unrolled: 3-line block ×9, first 2 shown]
	v_add_f32_e32 v34, v30, v39
	ds_read2_b64 v[30:33], v4 offset0:67 offset1:68
	s_waitcnt vmcnt(27)
	v_fmac_f32_e32 v40, v27, v180
	v_add_f32_e32 v34, v34, v40
	s_waitcnt vmcnt(26)
	v_fmac_f32_e32 v41, v29, v181
	v_add_f32_e32 v38, v34, v41
	ds_read2_b64 v[34:37], v4 offset0:69 offset1:70
	s_waitcnt vmcnt(25) lgkmcnt(1)
	v_mul_f32_e32 v39, v30, v182
	s_waitcnt vmcnt(24)
	v_fmac_f32_e32 v39, v31, v183
	v_add_f32_e32 v38, v38, v39
	s_waitcnt vmcnt(23)
	v_mul_f32_e32 v39, v32, v184
	s_waitcnt vmcnt(22)
	v_fmac_f32_e32 v39, v33, v185
	v_add_f32_e32 v38, v38, v39
	s_waitcnt vmcnt(21) lgkmcnt(0)
	v_mul_f32_e32 v39, v34, v186
	s_waitcnt vmcnt(20)
	v_fmac_f32_e32 v39, v35, v187
	v_add_f32_e32 v42, v38, v39
	ds_read2_b64 v[38:41], v4 offset0:71 offset1:72
	s_waitcnt vmcnt(19)
	v_mul_f32_e32 v43, v36, v188
	s_waitcnt vmcnt(18)
	v_fmac_f32_e32 v43, v37, v189
	v_add_f32_e32 v46, v42, v43
	ds_read2_b64 v[42:45], v4 offset0:73 offset1:74
	s_waitcnt vmcnt(17) lgkmcnt(1)
	v_mul_f32_e32 v47, v38, v190
	s_waitcnt vmcnt(16)
	v_fmac_f32_e32 v47, v39, v191
	v_add_f32_e32 v46, v46, v47
	s_waitcnt vmcnt(15)
	v_mul_f32_e32 v47, v40, v192
	s_waitcnt vmcnt(14)
	v_fmac_f32_e32 v47, v41, v193
	v_add_f32_e32 v46, v46, v47
	s_waitcnt vmcnt(13) lgkmcnt(0)
	v_mul_f32_e32 v47, v42, v194
	s_waitcnt vmcnt(12)
	v_fmac_f32_e32 v47, v43, v195
	s_waitcnt vmcnt(11)
	v_mul_f32_e32 v51, v44, v196
	v_add_f32_e32 v50, v46, v47
	s_waitcnt vmcnt(10)
	v_fmac_f32_e32 v51, v45, v197
	ds_read2_b64 v[46:49], v4 offset0:75 offset1:76
	v_add_f32_e32 v55, v50, v51
	ds_read2_b64 v[50:53], v4 offset0:77 offset1:78
	buffer_load_dword v59, off, s[0:3], 0 offset:300
	buffer_load_dword v58, off, s[0:3], 0 offset:296
	;; [unrolled: 1-line block ×16, first 2 shown]
	v_mul_f32_e32 v5, v7, v5
	v_fma_f32 v5, v6, v170, -v5
	v_mul_f32_e32 v6, v9, v54
	v_add_f32_e32 v5, 0, v5
	v_fma_f32 v6, v8, v171, -v6
	v_add_f32_e32 v5, v5, v6
	v_mul_f32_e32 v6, v11, v56
	v_fma_f32 v6, v10, v172, -v6
	v_add_f32_e32 v5, v5, v6
	v_mul_f32_e32 v6, v13, v64
	;; [unrolled: 3-line block ×18, first 2 shown]
	v_fma_f32 v6, v44, v197, -v6
	v_add_f32_e32 v5, v5, v6
	s_waitcnt vmcnt(23) lgkmcnt(1)
	v_mul_f32_e32 v6, v47, v198
	s_waitcnt vmcnt(22)
	v_fma_f32 v6, v46, v199, -v6
	v_add_f32_e32 v5, v5, v6
	s_waitcnt vmcnt(20)
	v_mul_f32_e32 v6, v49, v201
	v_fma_f32 v6, v48, v200, -v6
	v_add_f32_e32 v54, v5, v6
	ds_read2_b64 v[6:9], v4 offset0:79 offset1:80
	ds_read2_b64 v[10:13], v4 offset0:81 offset1:82
	;; [unrolled: 1-line block ×4, first 2 shown]
	v_mul_f32_e32 v57, v46, v198
	v_fmac_f32_e32 v57, v47, v199
	v_add_f32_e32 v55, v55, v57
	v_mul_f32_e32 v57, v48, v201
	v_fmac_f32_e32 v57, v49, v200
	v_add_f32_e32 v55, v55, v57
	s_waitcnt vmcnt(18) lgkmcnt(4)
	v_mul_f32_e32 v57, v50, v203
	v_mul_f32_e32 v5, v51, v203
	v_fmac_f32_e32 v57, v51, v202
	s_waitcnt vmcnt(16)
	v_mul_f32_e32 v65, v52, v205
	s_waitcnt vmcnt(11)
	v_mov_b32_e32 v22, v63
	s_waitcnt lgkmcnt(3)
	v_pk_mul_f32 v[22:23], v[6:7], v[22:23] op_sel_hi:[1,0]
	s_waitcnt vmcnt(10)
	v_pk_fma_f32 v[24:25], v[6:7], v[62:63], v[22:23] op_sel:[0,0,1] op_sel_hi:[1,1,0] neg_lo:[0,0,1] neg_hi:[0,0,1]
	v_pk_fma_f32 v[6:7], v[6:7], v[62:63], v[22:23] op_sel:[0,0,1] op_sel_hi:[1,0,0]
	v_mov_b32_e32 v6, v61
	v_mov_b32_e32 v25, v7
	v_pk_mul_f32 v[6:7], v[8:9], v[6:7] op_sel_hi:[1,0]
	v_pk_fma_f32 v[22:23], v[8:9], v[60:61], v[6:7] op_sel:[0,0,1] op_sel_hi:[1,1,0] neg_lo:[0,0,1] neg_hi:[0,0,1]
	v_pk_fma_f32 v[6:7], v[8:9], v[60:61], v[6:7] op_sel:[0,0,1] op_sel_hi:[1,0,0]
	v_fma_f32 v56, v50, v202, -v5
	v_mul_f32_e32 v5, v53, v205
	v_mov_b32_e32 v6, v59
	v_fmac_f32_e32 v65, v53, v204
	v_fma_f32 v64, v52, v204, -v5
	v_pk_add_f32 v[4:5], v[54:55], v[56:57]
	v_mov_b32_e32 v23, v7
	s_waitcnt lgkmcnt(2)
	v_pk_mul_f32 v[6:7], v[10:11], v[6:7] op_sel_hi:[1,0]
	v_pk_add_f32 v[4:5], v[4:5], v[64:65]
	v_pk_fma_f32 v[8:9], v[10:11], v[58:59], v[6:7] op_sel:[0,0,1] op_sel_hi:[1,1,0] neg_lo:[0,0,1] neg_hi:[0,0,1]
	v_pk_fma_f32 v[6:7], v[10:11], v[58:59], v[6:7] op_sel:[0,0,1] op_sel_hi:[1,0,0]
	v_pk_add_f32 v[4:5], v[4:5], v[24:25]
	s_waitcnt vmcnt(3)
	v_mov_b32_e32 v6, v159
	v_pk_add_f32 v[4:5], v[4:5], v[22:23]
	v_mov_b32_e32 v9, v7
	v_pk_mul_f32 v[6:7], v[12:13], v[6:7] op_sel_hi:[1,0]
	v_pk_add_f32 v[4:5], v[4:5], v[8:9]
	s_waitcnt vmcnt(2)
	v_pk_fma_f32 v[8:9], v[12:13], v[158:159], v[6:7] op_sel:[0,0,1] op_sel_hi:[1,1,0] neg_lo:[0,0,1] neg_hi:[0,0,1]
	v_pk_fma_f32 v[6:7], v[12:13], v[158:159], v[6:7] op_sel:[0,0,1] op_sel_hi:[1,0,0]
	v_mov_b32_e32 v6, v157
	v_mov_b32_e32 v9, v7
	s_waitcnt lgkmcnt(1)
	v_pk_mul_f32 v[6:7], v[14:15], v[6:7] op_sel_hi:[1,0]
	v_pk_add_f32 v[4:5], v[4:5], v[8:9]
	v_pk_fma_f32 v[8:9], v[14:15], v[156:157], v[6:7] op_sel:[0,0,1] op_sel_hi:[1,1,0] neg_lo:[0,0,1] neg_hi:[0,0,1]
	v_pk_fma_f32 v[6:7], v[14:15], v[156:157], v[6:7] op_sel:[0,0,1] op_sel_hi:[1,0,0]
	v_mov_b32_e32 v6, v155
	v_mov_b32_e32 v9, v7
	v_pk_mul_f32 v[6:7], v[16:17], v[6:7] op_sel_hi:[1,0]
	v_pk_add_f32 v[4:5], v[4:5], v[8:9]
	v_pk_fma_f32 v[8:9], v[16:17], v[154:155], v[6:7] op_sel:[0,0,1] op_sel_hi:[1,1,0] neg_lo:[0,0,1] neg_hi:[0,0,1]
	v_pk_fma_f32 v[6:7], v[16:17], v[154:155], v[6:7] op_sel:[0,0,1] op_sel_hi:[1,0,0]
	v_mov_b32_e32 v6, v153
	v_mov_b32_e32 v9, v7
	s_waitcnt lgkmcnt(0)
	v_pk_mul_f32 v[6:7], v[18:19], v[6:7] op_sel_hi:[1,0]
	v_pk_add_f32 v[4:5], v[4:5], v[8:9]
	v_pk_fma_f32 v[8:9], v[18:19], v[152:153], v[6:7] op_sel:[0,0,1] op_sel_hi:[1,1,0] neg_lo:[0,0,1] neg_hi:[0,0,1]
	v_pk_fma_f32 v[6:7], v[18:19], v[152:153], v[6:7] op_sel:[0,0,1] op_sel_hi:[1,0,0]
	s_waitcnt vmcnt(1)
	v_mov_b32_e32 v6, v161
	v_mov_b32_e32 v9, v7
	v_pk_mul_f32 v[6:7], v[20:21], v[6:7] op_sel_hi:[1,0]
	v_pk_add_f32 v[4:5], v[4:5], v[8:9]
	s_waitcnt vmcnt(0)
	v_pk_fma_f32 v[8:9], v[20:21], v[160:161], v[6:7] op_sel:[0,0,1] op_sel_hi:[1,1,0] neg_lo:[0,0,1] neg_hi:[0,0,1]
	v_pk_fma_f32 v[6:7], v[20:21], v[160:161], v[6:7] op_sel:[0,0,1] op_sel_hi:[1,0,0]
	v_mov_b32_e32 v9, v7
	v_pk_add_f32 v[4:5], v[4:5], v[8:9]
	v_pk_add_f32 v[2:3], v[2:3], v[4:5] neg_lo:[0,1] neg_hi:[0,1]
	buffer_store_dword v3, off, s[0:3], 0 offset:84
	buffer_store_dword v2, off, s[0:3], 0 offset:80
	s_and_saveexec_b64 s[4:5], vcc
	s_cbranch_execz .LBB42_253
; %bb.252:
	buffer_load_dword v2, off, s[0:3], 0 offset:72
	buffer_load_dword v3, off, s[0:3], 0 offset:76
	v_mov_b32_e32 v4, 0
	buffer_store_dword v4, off, s[0:3], 0 offset:72
	buffer_store_dword v4, off, s[0:3], 0 offset:76
	s_waitcnt vmcnt(2)
	ds_write_b64 v1, v[2:3]
.LBB42_253:
	s_or_b64 exec, exec, s[4:5]
	s_waitcnt lgkmcnt(0)
	; wave barrier
	s_waitcnt lgkmcnt(0)
	buffer_load_dword v5, off, s[0:3], 0 offset:84
	buffer_load_dword v62, off, s[0:3], 0 offset:92
	;; [unrolled: 1-line block ×52, first 2 shown]
	v_mov_b32_e32 v4, 0
	ds_read_b128 v[6:9], v4 offset:432
	ds_read_b128 v[10:13], v4 offset:448
	;; [unrolled: 1-line block ×6, first 2 shown]
	v_cmp_lt_u32_e32 vcc, 8, v0
	s_waitcnt vmcnt(51) lgkmcnt(5)
	v_mul_f32_e32 v30, v6, v5
	s_waitcnt vmcnt(50)
	v_mul_f32_e32 v31, v8, v62
	s_waitcnt vmcnt(49) lgkmcnt(4)
	v_mul_f32_e32 v32, v10, v154
	s_waitcnt vmcnt(48)
	v_mul_f32_e32 v33, v12, v156
	;; [unrolled: 4-line block ×5, first 2 shown]
	s_waitcnt vmcnt(41) lgkmcnt(0)
	v_mul_f32_e32 v40, v26, v176
	s_waitcnt vmcnt(40)
	v_fmac_f32_e32 v30, v7, v177
	s_waitcnt vmcnt(39)
	v_fmac_f32_e32 v31, v9, v178
	v_add_f32_e32 v30, 0, v30
	s_waitcnt vmcnt(38)
	v_fmac_f32_e32 v32, v11, v179
	v_add_f32_e32 v30, v30, v31
	;; [unrolled: 3-line block ×9, first 2 shown]
	v_add_f32_e32 v30, v30, v39
	s_waitcnt vmcnt(30)
	v_fmac_f32_e32 v40, v27, v187
	v_add_f32_e32 v34, v30, v40
	ds_read_b128 v[30:33], v4 offset:528
	s_waitcnt vmcnt(29)
	v_mul_f32_e32 v35, v28, v188
	s_waitcnt vmcnt(28)
	v_fmac_f32_e32 v35, v29, v189
	v_add_f32_e32 v38, v34, v35
	ds_read_b128 v[34:37], v4 offset:544
	s_waitcnt vmcnt(27) lgkmcnt(1)
	v_mul_f32_e32 v39, v30, v190
	s_waitcnt vmcnt(26)
	v_fmac_f32_e32 v39, v31, v191
	v_add_f32_e32 v38, v38, v39
	s_waitcnt vmcnt(25)
	v_mul_f32_e32 v39, v32, v192
	s_waitcnt vmcnt(24)
	v_fmac_f32_e32 v39, v33, v193
	v_add_f32_e32 v38, v38, v39
	s_waitcnt vmcnt(23) lgkmcnt(0)
	v_mul_f32_e32 v39, v34, v194
	s_waitcnt vmcnt(22)
	v_fmac_f32_e32 v39, v35, v195
	v_add_f32_e32 v42, v38, v39
	ds_read_b128 v[38:41], v4 offset:560
	s_waitcnt vmcnt(21)
	v_mul_f32_e32 v43, v36, v196
	s_waitcnt vmcnt(20)
	v_fmac_f32_e32 v43, v37, v197
	v_add_f32_e32 v46, v42, v43
	ds_read_b128 v[42:45], v4 offset:576
	s_waitcnt vmcnt(19) lgkmcnt(1)
	v_mul_f32_e32 v47, v38, v198
	s_waitcnt vmcnt(18)
	v_fmac_f32_e32 v47, v39, v199
	v_add_f32_e32 v46, v46, v47
	s_waitcnt vmcnt(17)
	v_mul_f32_e32 v47, v40, v200
	s_waitcnt vmcnt(16)
	v_fmac_f32_e32 v47, v41, v201
	v_add_f32_e32 v46, v46, v47
	s_waitcnt vmcnt(14) lgkmcnt(0)
	v_mul_f32_e32 v47, v42, v203
	v_fmac_f32_e32 v47, v43, v202
	v_add_f32_e32 v50, v46, v47
	ds_read_b128 v[46:49], v4 offset:592
	s_waitcnt vmcnt(10)
	v_mul_f32_e32 v51, v44, v205
	v_fmac_f32_e32 v51, v45, v204
	v_add_f32_e32 v54, v50, v51
	ds_read_b128 v[50:53], v4 offset:608
	s_waitcnt vmcnt(8) lgkmcnt(1)
	v_mul_f32_e32 v55, v46, v207
	v_fmac_f32_e32 v55, v47, v206
	v_add_f32_e32 v54, v54, v55
	s_waitcnt vmcnt(6)
	v_mul_f32_e32 v55, v48, v209
	v_fmac_f32_e32 v55, v49, v208
	v_add_f32_e32 v54, v54, v55
	s_waitcnt vmcnt(4) lgkmcnt(0)
	v_mul_f32_e32 v55, v50, v211
	v_fmac_f32_e32 v55, v51, v210
	v_add_f32_e32 v63, v54, v55
	ds_read_b128 v[54:57], v4 offset:624
	buffer_load_dword v65, off, s[0:3], 0 offset:292
	buffer_load_dword v64, off, s[0:3], 0 offset:288
	;; [unrolled: 1-line block ×4, first 2 shown]
	ds_read_b128 v[58:61], v4 offset:640
	buffer_load_dword v159, off, s[0:3], 0 offset:324
	buffer_load_dword v158, off, s[0:3], 0 offset:320
	;; [unrolled: 1-line block ×12, first 2 shown]
	v_mul_f32_e32 v5, v7, v5
	v_fma_f32 v5, v6, v177, -v5
	v_mul_f32_e32 v6, v9, v62
	v_add_f32_e32 v5, 0, v5
	v_fma_f32 v6, v8, v178, -v6
	v_add_f32_e32 v5, v5, v6
	v_mul_f32_e32 v6, v11, v154
	v_fma_f32 v6, v10, v179, -v6
	v_add_f32_e32 v5, v5, v6
	v_mul_f32_e32 v6, v13, v156
	;; [unrolled: 3-line block ×21, first 2 shown]
	v_fma_f32 v6, v50, v210, -v6
	s_waitcnt vmcnt(18)
	v_mul_f32_e32 v155, v52, v213
	v_add_f32_e32 v62, v5, v6
	v_mul_f32_e32 v5, v53, v213
	v_fmac_f32_e32 v155, v53, v212
	s_waitcnt vmcnt(16) lgkmcnt(1)
	v_mul_f32_e32 v157, v54, v215
	v_fma_f32 v154, v52, v212, -v5
	v_mul_f32_e32 v5, v55, v215
	v_fmac_f32_e32 v157, v55, v214
	s_waitcnt vmcnt(13)
	v_mov_b32_e32 v18, v153
	v_pk_mul_f32 v[18:19], v[56:57], v[18:19] op_sel_hi:[1,0]
	s_waitcnt vmcnt(12)
	v_pk_fma_f32 v[20:21], v[56:57], v[152:153], v[18:19] op_sel:[0,0,1] op_sel_hi:[1,1,0] neg_lo:[0,0,1] neg_hi:[0,0,1]
	v_pk_fma_f32 v[18:19], v[56:57], v[152:153], v[18:19] op_sel:[0,0,1] op_sel_hi:[1,0,0]
	v_fma_f32 v156, v54, v214, -v5
	v_pk_add_f32 v[16:17], v[62:63], v[154:155]
	v_mov_b32_e32 v18, v65
	v_pk_add_f32 v[16:17], v[16:17], v[156:157]
	v_mov_b32_e32 v21, v19
	s_waitcnt lgkmcnt(0)
	v_pk_mul_f32 v[18:19], v[58:59], v[18:19] op_sel_hi:[1,0]
	v_pk_add_f32 v[16:17], v[16:17], v[20:21]
	v_pk_fma_f32 v[20:21], v[58:59], v[64:65], v[18:19] op_sel:[0,0,1] op_sel_hi:[1,1,0] neg_lo:[0,0,1] neg_hi:[0,0,1]
	v_pk_fma_f32 v[18:19], v[58:59], v[64:65], v[18:19] op_sel:[0,0,1] op_sel_hi:[1,0,0]
	s_waitcnt vmcnt(5)
	v_mov_b32_e32 v18, v165
	ds_read_b128 v[6:9], v4 offset:656
	ds_read_b128 v[10:13], v4 offset:672
	ds_read_b64 v[14:15], v4 offset:688
	v_mov_b32_e32 v21, v19
	v_pk_mul_f32 v[18:19], v[60:61], v[18:19] op_sel_hi:[1,0]
	v_pk_add_f32 v[16:17], v[16:17], v[20:21]
	s_waitcnt vmcnt(4)
	v_pk_fma_f32 v[20:21], v[60:61], v[164:165], v[18:19] op_sel:[0,0,1] op_sel_hi:[1,1,0] neg_lo:[0,0,1] neg_hi:[0,0,1]
	v_pk_fma_f32 v[18:19], v[60:61], v[164:165], v[18:19] op_sel:[0,0,1] op_sel_hi:[1,0,0]
	v_mov_b32_e32 v18, v163
	v_mov_b32_e32 v21, v19
	s_waitcnt lgkmcnt(2)
	v_pk_mul_f32 v[18:19], v[6:7], v[18:19] op_sel_hi:[1,0]
	v_pk_add_f32 v[16:17], v[16:17], v[20:21]
	v_pk_fma_f32 v[20:21], v[6:7], v[162:163], v[18:19] op_sel:[0,0,1] op_sel_hi:[1,1,0] neg_lo:[0,0,1] neg_hi:[0,0,1]
	v_pk_fma_f32 v[6:7], v[6:7], v[162:163], v[18:19] op_sel:[0,0,1] op_sel_hi:[1,0,0]
	v_mov_b32_e32 v21, v7
	v_pk_add_f32 v[6:7], v[16:17], v[20:21]
	v_mov_b32_e32 v16, v161
	v_pk_mul_f32 v[16:17], v[8:9], v[16:17] op_sel_hi:[1,0]
	v_pk_fma_f32 v[18:19], v[8:9], v[160:161], v[16:17] op_sel:[0,0,1] op_sel_hi:[1,1,0] neg_lo:[0,0,1] neg_hi:[0,0,1]
	v_pk_fma_f32 v[8:9], v[8:9], v[160:161], v[16:17] op_sel:[0,0,1] op_sel_hi:[1,0,0]
	v_mov_b32_e32 v8, v159
	v_mov_b32_e32 v19, v9
	s_waitcnt lgkmcnt(1)
	v_pk_mul_f32 v[8:9], v[10:11], v[8:9] op_sel_hi:[1,0]
	v_pk_fma_f32 v[16:17], v[10:11], v[158:159], v[8:9] op_sel:[0,0,1] op_sel_hi:[1,1,0] neg_lo:[0,0,1] neg_hi:[0,0,1]
	v_pk_fma_f32 v[8:9], v[10:11], v[158:159], v[8:9] op_sel:[0,0,1] op_sel_hi:[1,0,0]
	s_waitcnt vmcnt(1)
	v_mov_b32_e32 v8, v169
	v_mov_b32_e32 v17, v9
	v_pk_mul_f32 v[8:9], v[12:13], v[8:9] op_sel_hi:[1,0]
	s_waitcnt vmcnt(0)
	v_pk_fma_f32 v[10:11], v[12:13], v[168:169], v[8:9] op_sel:[0,0,1] op_sel_hi:[1,1,0] neg_lo:[0,0,1] neg_hi:[0,0,1]
	v_pk_fma_f32 v[8:9], v[12:13], v[168:169], v[8:9] op_sel:[0,0,1] op_sel_hi:[1,0,0]
	v_pk_add_f32 v[6:7], v[6:7], v[18:19]
	v_mov_b32_e32 v8, v167
	v_pk_add_f32 v[6:7], v[6:7], v[16:17]
	v_mov_b32_e32 v11, v9
	s_waitcnt lgkmcnt(0)
	v_pk_mul_f32 v[8:9], v[14:15], v[8:9] op_sel_hi:[1,0]
	v_pk_add_f32 v[6:7], v[6:7], v[10:11]
	v_pk_fma_f32 v[10:11], v[14:15], v[166:167], v[8:9] op_sel:[0,0,1] op_sel_hi:[1,1,0] neg_lo:[0,0,1] neg_hi:[0,0,1]
	v_pk_fma_f32 v[8:9], v[14:15], v[166:167], v[8:9] op_sel:[0,0,1] op_sel_hi:[1,0,0]
	v_mov_b32_e32 v11, v9
	v_pk_add_f32 v[6:7], v[6:7], v[10:11]
	v_pk_add_f32 v[2:3], v[2:3], v[6:7] neg_lo:[0,1] neg_hi:[0,1]
	buffer_store_dword v3, off, s[0:3], 0 offset:76
	buffer_store_dword v2, off, s[0:3], 0 offset:72
	s_and_saveexec_b64 s[4:5], vcc
	s_cbranch_execz .LBB42_255
; %bb.254:
	buffer_load_dword v2, off, s[0:3], 0 offset:64
	buffer_load_dword v3, off, s[0:3], 0 offset:68
	s_waitcnt vmcnt(0)
	ds_write_b64 v1, v[2:3]
	buffer_store_dword v4, off, s[0:3], 0 offset:64
	buffer_store_dword v4, off, s[0:3], 0 offset:68
.LBB42_255:
	s_or_b64 exec, exec, s[4:5]
	s_waitcnt lgkmcnt(0)
	; wave barrier
	s_waitcnt lgkmcnt(0)
	buffer_load_dword v5, off, s[0:3], 0 offset:76
	buffer_load_dword v64, off, s[0:3], 0 offset:84
	buffer_load_dword v152, off, s[0:3], 0 offset:92
	buffer_load_dword v154, off, s[0:3], 0 offset:100
	buffer_load_dword v170, off, s[0:3], 0 offset:108
	buffer_load_dword v171, off, s[0:3], 0 offset:116
	buffer_load_dword v172, off, s[0:3], 0 offset:124
	buffer_load_dword v173, off, s[0:3], 0 offset:132
	buffer_load_dword v174, off, s[0:3], 0 offset:140
	buffer_load_dword v175, off, s[0:3], 0 offset:148
	buffer_load_dword v176, off, s[0:3], 0 offset:72
	buffer_load_dword v177, off, s[0:3], 0 offset:80
	buffer_load_dword v178, off, s[0:3], 0 offset:88
	buffer_load_dword v179, off, s[0:3], 0 offset:96
	buffer_load_dword v180, off, s[0:3], 0 offset:104
	buffer_load_dword v181, off, s[0:3], 0 offset:112
	buffer_load_dword v182, off, s[0:3], 0 offset:120
	buffer_load_dword v183, off, s[0:3], 0 offset:128
	buffer_load_dword v184, off, s[0:3], 0 offset:136
	buffer_load_dword v185, off, s[0:3], 0 offset:144
	buffer_load_dword v186, off, s[0:3], 0 offset:156
	buffer_load_dword v187, off, s[0:3], 0 offset:152
	buffer_load_dword v188, off, s[0:3], 0 offset:164
	buffer_load_dword v189, off, s[0:3], 0 offset:160
	buffer_load_dword v190, off, s[0:3], 0 offset:172
	buffer_load_dword v191, off, s[0:3], 0 offset:168
	buffer_load_dword v192, off, s[0:3], 0 offset:180
	buffer_load_dword v193, off, s[0:3], 0 offset:176
	buffer_load_dword v194, off, s[0:3], 0 offset:188
	buffer_load_dword v195, off, s[0:3], 0 offset:184
	buffer_load_dword v196, off, s[0:3], 0 offset:196
	buffer_load_dword v197, off, s[0:3], 0 offset:192
	buffer_load_dword v198, off, s[0:3], 0 offset:204
	buffer_load_dword v199, off, s[0:3], 0 offset:200
	buffer_load_dword v200, off, s[0:3], 0 offset:208
	buffer_load_dword v201, off, s[0:3], 0 offset:212
	buffer_load_dword v2, off, s[0:3], 0 offset:64
	buffer_load_dword v3, off, s[0:3], 0 offset:68
	buffer_load_dword v202, off, s[0:3], 0 offset:220
	buffer_load_dword v203, off, s[0:3], 0 offset:216
	buffer_load_dword v204, off, s[0:3], 0 offset:224
	buffer_load_dword v205, off, s[0:3], 0 offset:228
	ds_read2_b64 v[6:9], v4 offset0:53 offset1:54
	ds_read2_b64 v[10:13], v4 offset0:55 offset1:56
	buffer_load_dword v206, off, s[0:3], 0 offset:232
	buffer_load_dword v207, off, s[0:3], 0 offset:236
	ds_read2_b64 v[14:17], v4 offset0:57 offset1:58
	ds_read2_b64 v[18:21], v4 offset0:59 offset1:60
	buffer_load_dword v208, off, s[0:3], 0 offset:240
	buffer_load_dword v209, off, s[0:3], 0 offset:244
	;; [unrolled: 1-line block ×4, first 2 shown]
	ds_read2_b64 v[22:25], v4 offset0:61 offset1:62
	ds_read2_b64 v[26:29], v4 offset0:63 offset1:64
	buffer_load_dword v212, off, s[0:3], 0 offset:256
	buffer_load_dword v213, off, s[0:3], 0 offset:260
	;; [unrolled: 1-line block ×6, first 2 shown]
	v_cmp_lt_u32_e32 vcc, 7, v0
	s_waitcnt vmcnt(53) lgkmcnt(5)
	v_mul_f32_e32 v30, v6, v5
	s_waitcnt vmcnt(52)
	v_mul_f32_e32 v31, v8, v64
	s_waitcnt vmcnt(51) lgkmcnt(4)
	v_mul_f32_e32 v32, v10, v152
	s_waitcnt vmcnt(50)
	v_mul_f32_e32 v33, v12, v154
	;; [unrolled: 4-line block ×5, first 2 shown]
	s_waitcnt vmcnt(43)
	v_fmac_f32_e32 v30, v7, v176
	s_waitcnt vmcnt(42)
	v_fmac_f32_e32 v31, v9, v177
	v_add_f32_e32 v30, 0, v30
	s_waitcnt vmcnt(41)
	v_fmac_f32_e32 v32, v11, v178
	v_add_f32_e32 v30, v30, v31
	;; [unrolled: 3-line block ×9, first 2 shown]
	s_waitcnt vmcnt(33) lgkmcnt(0)
	v_mul_f32_e32 v31, v26, v186
	v_add_f32_e32 v30, v30, v39
	s_waitcnt vmcnt(32)
	v_fmac_f32_e32 v31, v27, v187
	v_add_f32_e32 v34, v30, v31
	ds_read2_b64 v[30:33], v4 offset0:65 offset1:66
	s_waitcnt vmcnt(31)
	v_mul_f32_e32 v35, v28, v188
	s_waitcnt vmcnt(30)
	v_fmac_f32_e32 v35, v29, v189
	v_add_f32_e32 v38, v34, v35
	ds_read2_b64 v[34:37], v4 offset0:67 offset1:68
	s_waitcnt vmcnt(29) lgkmcnt(1)
	v_mul_f32_e32 v39, v30, v190
	s_waitcnt vmcnt(28)
	v_fmac_f32_e32 v39, v31, v191
	v_add_f32_e32 v38, v38, v39
	s_waitcnt vmcnt(27)
	v_mul_f32_e32 v39, v32, v192
	s_waitcnt vmcnt(26)
	v_fmac_f32_e32 v39, v33, v193
	v_add_f32_e32 v38, v38, v39
	s_waitcnt vmcnt(25) lgkmcnt(0)
	v_mul_f32_e32 v39, v34, v194
	s_waitcnt vmcnt(24)
	v_fmac_f32_e32 v39, v35, v195
	v_add_f32_e32 v42, v38, v39
	ds_read2_b64 v[38:41], v4 offset0:69 offset1:70
	s_waitcnt vmcnt(23)
	v_mul_f32_e32 v43, v36, v196
	s_waitcnt vmcnt(22)
	v_fmac_f32_e32 v43, v37, v197
	v_add_f32_e32 v46, v42, v43
	ds_read2_b64 v[42:45], v4 offset0:71 offset1:72
	s_waitcnt vmcnt(21) lgkmcnt(1)
	v_mul_f32_e32 v47, v38, v198
	s_waitcnt vmcnt(20)
	v_fmac_f32_e32 v47, v39, v199
	v_add_f32_e32 v46, v46, v47
	s_waitcnt vmcnt(18)
	v_mul_f32_e32 v47, v40, v201
	v_fmac_f32_e32 v47, v41, v200
	v_add_f32_e32 v46, v46, v47
	s_waitcnt vmcnt(15) lgkmcnt(0)
	v_mul_f32_e32 v47, v42, v202
	s_waitcnt vmcnt(14)
	v_fmac_f32_e32 v47, v43, v203
	v_add_f32_e32 v50, v46, v47
	ds_read2_b64 v[46:49], v4 offset0:73 offset1:74
	s_waitcnt vmcnt(12)
	v_mul_f32_e32 v51, v44, v205
	v_fmac_f32_e32 v51, v45, v204
	v_add_f32_e32 v54, v50, v51
	ds_read2_b64 v[50:53], v4 offset0:75 offset1:76
	buffer_load_dword v63, off, s[0:3], 0 offset:284
	buffer_load_dword v62, off, s[0:3], 0 offset:280
	s_waitcnt vmcnt(12) lgkmcnt(1)
	v_mul_f32_e32 v55, v46, v207
	v_fmac_f32_e32 v55, v47, v206
	v_add_f32_e32 v54, v54, v55
	s_waitcnt vmcnt(10)
	v_mul_f32_e32 v55, v48, v209
	v_fmac_f32_e32 v55, v49, v208
	v_add_f32_e32 v54, v54, v55
	s_waitcnt vmcnt(8) lgkmcnt(0)
	v_mul_f32_e32 v55, v50, v211
	v_fmac_f32_e32 v55, v51, v210
	s_waitcnt vmcnt(6)
	v_mul_f32_e32 v59, v52, v213
	v_add_f32_e32 v58, v54, v55
	v_fmac_f32_e32 v59, v53, v212
	ds_read2_b64 v[54:57], v4 offset0:77 offset1:78
	v_add_f32_e32 v65, v58, v59
	ds_read2_b64 v[58:61], v4 offset0:79 offset1:80
	buffer_load_dword v157, off, s[0:3], 0 offset:316
	buffer_load_dword v156, off, s[0:3], 0 offset:312
	;; [unrolled: 1-line block ×14, first 2 shown]
	v_mul_f32_e32 v5, v7, v5
	v_fma_f32 v5, v6, v176, -v5
	v_mul_f32_e32 v6, v9, v64
	v_add_f32_e32 v5, 0, v5
	v_fma_f32 v6, v8, v177, -v6
	v_add_f32_e32 v5, v5, v6
	v_mul_f32_e32 v6, v11, v152
	v_fma_f32 v6, v10, v178, -v6
	v_add_f32_e32 v5, v5, v6
	v_mul_f32_e32 v6, v13, v154
	;; [unrolled: 3-line block ×22, first 2 shown]
	v_fma_f32 v6, v52, v212, -v6
	s_waitcnt vmcnt(15)
	v_mov_b32_e32 v18, v63
	s_waitcnt lgkmcnt(1)
	v_mul_f32_e32 v153, v54, v215
	v_add_f32_e32 v64, v5, v6
	v_mul_f32_e32 v5, v55, v215
	s_waitcnt lgkmcnt(0)
	v_pk_mul_f32 v[18:19], v[58:59], v[18:19] op_sel_hi:[1,0]
	v_fmac_f32_e32 v153, v55, v214
	v_mul_f32_e32 v155, v56, v217
	v_fma_f32 v152, v54, v214, -v5
	v_mul_f32_e32 v5, v57, v217
	s_waitcnt vmcnt(14)
	v_pk_fma_f32 v[20:21], v[58:59], v[62:63], v[18:19] op_sel:[0,0,1] op_sel_hi:[1,1,0] neg_lo:[0,0,1] neg_hi:[0,0,1]
	v_pk_fma_f32 v[18:19], v[58:59], v[62:63], v[18:19] op_sel:[0,0,1] op_sel_hi:[1,0,0]
	v_fmac_f32_e32 v155, v57, v216
	v_fma_f32 v154, v56, v216, -v5
	ds_read2_b64 v[6:9], v4 offset0:81 offset1:82
	ds_read2_b64 v[10:13], v4 offset0:83 offset1:84
	;; [unrolled: 1-line block ×3, first 2 shown]
	v_pk_add_f32 v[4:5], v[64:65], v[152:153]
	s_waitcnt vmcnt(7)
	v_mov_b32_e32 v18, v163
	v_pk_add_f32 v[4:5], v[4:5], v[154:155]
	v_mov_b32_e32 v21, v19
	v_pk_mul_f32 v[18:19], v[60:61], v[18:19] op_sel_hi:[1,0]
	v_pk_add_f32 v[4:5], v[4:5], v[20:21]
	s_waitcnt vmcnt(6)
	v_pk_fma_f32 v[20:21], v[60:61], v[162:163], v[18:19] op_sel:[0,0,1] op_sel_hi:[1,1,0] neg_lo:[0,0,1] neg_hi:[0,0,1]
	v_pk_fma_f32 v[18:19], v[60:61], v[162:163], v[18:19] op_sel:[0,0,1] op_sel_hi:[1,0,0]
	v_mov_b32_e32 v18, v161
	v_mov_b32_e32 v21, v19
	s_waitcnt lgkmcnt(2)
	v_pk_mul_f32 v[18:19], v[6:7], v[18:19] op_sel_hi:[1,0]
	v_pk_add_f32 v[4:5], v[4:5], v[20:21]
	v_pk_fma_f32 v[20:21], v[6:7], v[160:161], v[18:19] op_sel:[0,0,1] op_sel_hi:[1,1,0] neg_lo:[0,0,1] neg_hi:[0,0,1]
	v_pk_fma_f32 v[6:7], v[6:7], v[160:161], v[18:19] op_sel:[0,0,1] op_sel_hi:[1,0,0]
	v_mov_b32_e32 v6, v159
	v_mov_b32_e32 v21, v7
	v_pk_mul_f32 v[6:7], v[8:9], v[6:7] op_sel_hi:[1,0]
	v_pk_fma_f32 v[18:19], v[8:9], v[158:159], v[6:7] op_sel:[0,0,1] op_sel_hi:[1,1,0] neg_lo:[0,0,1] neg_hi:[0,0,1]
	v_pk_fma_f32 v[6:7], v[8:9], v[158:159], v[6:7] op_sel:[0,0,1] op_sel_hi:[1,0,0]
	v_mov_b32_e32 v6, v157
	v_mov_b32_e32 v19, v7
	s_waitcnt lgkmcnt(1)
	v_pk_mul_f32 v[6:7], v[10:11], v[6:7] op_sel_hi:[1,0]
	v_pk_fma_f32 v[8:9], v[10:11], v[156:157], v[6:7] op_sel:[0,0,1] op_sel_hi:[1,1,0] neg_lo:[0,0,1] neg_hi:[0,0,1]
	v_pk_fma_f32 v[6:7], v[10:11], v[156:157], v[6:7] op_sel:[0,0,1] op_sel_hi:[1,0,0]
	v_pk_add_f32 v[4:5], v[4:5], v[20:21]
	s_waitcnt vmcnt(1)
	v_mov_b32_e32 v6, v169
	v_pk_add_f32 v[4:5], v[4:5], v[18:19]
	v_mov_b32_e32 v9, v7
	v_pk_mul_f32 v[6:7], v[12:13], v[6:7] op_sel_hi:[1,0]
	v_pk_add_f32 v[4:5], v[4:5], v[8:9]
	s_waitcnt vmcnt(0)
	v_pk_fma_f32 v[8:9], v[12:13], v[168:169], v[6:7] op_sel:[0,0,1] op_sel_hi:[1,1,0] neg_lo:[0,0,1] neg_hi:[0,0,1]
	v_pk_fma_f32 v[6:7], v[12:13], v[168:169], v[6:7] op_sel:[0,0,1] op_sel_hi:[1,0,0]
	v_mov_b32_e32 v6, v167
	v_mov_b32_e32 v9, v7
	s_waitcnt lgkmcnt(0)
	v_pk_mul_f32 v[6:7], v[14:15], v[6:7] op_sel_hi:[1,0]
	v_pk_add_f32 v[4:5], v[4:5], v[8:9]
	v_pk_fma_f32 v[8:9], v[14:15], v[166:167], v[6:7] op_sel:[0,0,1] op_sel_hi:[1,1,0] neg_lo:[0,0,1] neg_hi:[0,0,1]
	v_pk_fma_f32 v[6:7], v[14:15], v[166:167], v[6:7] op_sel:[0,0,1] op_sel_hi:[1,0,0]
	v_mov_b32_e32 v6, v165
	v_mov_b32_e32 v9, v7
	v_pk_mul_f32 v[6:7], v[16:17], v[6:7] op_sel_hi:[1,0]
	v_pk_add_f32 v[4:5], v[4:5], v[8:9]
	v_pk_fma_f32 v[8:9], v[16:17], v[164:165], v[6:7] op_sel:[0,0,1] op_sel_hi:[1,1,0] neg_lo:[0,0,1] neg_hi:[0,0,1]
	v_pk_fma_f32 v[6:7], v[16:17], v[164:165], v[6:7] op_sel:[0,0,1] op_sel_hi:[1,0,0]
	v_mov_b32_e32 v9, v7
	v_pk_add_f32 v[4:5], v[4:5], v[8:9]
	v_pk_add_f32 v[2:3], v[2:3], v[4:5] neg_lo:[0,1] neg_hi:[0,1]
	buffer_store_dword v3, off, s[0:3], 0 offset:68
	buffer_store_dword v2, off, s[0:3], 0 offset:64
	s_and_saveexec_b64 s[4:5], vcc
	s_cbranch_execz .LBB42_257
; %bb.256:
	buffer_load_dword v2, off, s[0:3], 0 offset:56
	buffer_load_dword v3, off, s[0:3], 0 offset:60
	v_mov_b32_e32 v4, 0
	buffer_store_dword v4, off, s[0:3], 0 offset:56
	buffer_store_dword v4, off, s[0:3], 0 offset:60
	s_waitcnt vmcnt(2)
	ds_write_b64 v1, v[2:3]
.LBB42_257:
	s_or_b64 exec, exec, s[4:5]
	s_waitcnt lgkmcnt(0)
	; wave barrier
	s_waitcnt lgkmcnt(0)
	buffer_load_dword v5, off, s[0:3], 0 offset:68
	buffer_load_dword v62, off, s[0:3], 0 offset:76
	;; [unrolled: 1-line block ×56, first 2 shown]
	v_mov_b32_e32 v4, 0
	ds_read_b128 v[6:9], v4 offset:416
	ds_read_b128 v[10:13], v4 offset:432
	;; [unrolled: 1-line block ×6, first 2 shown]
	v_cmp_lt_u32_e32 vcc, 6, v0
	s_waitcnt vmcnt(55) lgkmcnt(5)
	v_mul_f32_e32 v30, v6, v5
	s_waitcnt vmcnt(54)
	v_mul_f32_e32 v31, v8, v62
	s_waitcnt vmcnt(53) lgkmcnt(4)
	v_mul_f32_e32 v32, v10, v64
	s_waitcnt vmcnt(52)
	v_mul_f32_e32 v33, v12, v152
	;; [unrolled: 4-line block ×4, first 2 shown]
	s_waitcnt vmcnt(47) lgkmcnt(1)
	v_mul_f32_e32 v38, v22, v174
	s_waitcnt vmcnt(46)
	v_fmac_f32_e32 v30, v7, v175
	s_waitcnt vmcnt(45)
	v_fmac_f32_e32 v31, v9, v176
	v_add_f32_e32 v30, 0, v30
	s_waitcnt vmcnt(44)
	v_fmac_f32_e32 v32, v11, v177
	v_add_f32_e32 v30, v30, v31
	;; [unrolled: 3-line block ×7, first 2 shown]
	v_add_f32_e32 v30, v30, v37
	s_waitcnt vmcnt(38)
	v_fmac_f32_e32 v38, v23, v183
	s_waitcnt vmcnt(37)
	v_mul_f32_e32 v31, v24, v184
	v_add_f32_e32 v30, v30, v38
	s_waitcnt vmcnt(36)
	v_fmac_f32_e32 v31, v25, v185
	v_add_f32_e32 v30, v30, v31
	s_waitcnt vmcnt(35) lgkmcnt(0)
	v_mul_f32_e32 v31, v26, v186
	s_waitcnt vmcnt(34)
	v_fmac_f32_e32 v31, v27, v187
	v_add_f32_e32 v34, v30, v31
	ds_read_b128 v[30:33], v4 offset:512
	s_waitcnt vmcnt(33)
	v_mul_f32_e32 v35, v28, v188
	s_waitcnt vmcnt(32)
	v_fmac_f32_e32 v35, v29, v189
	v_add_f32_e32 v38, v34, v35
	ds_read_b128 v[34:37], v4 offset:528
	s_waitcnt vmcnt(31) lgkmcnt(1)
	v_mul_f32_e32 v39, v30, v190
	s_waitcnt vmcnt(30)
	v_fmac_f32_e32 v39, v31, v191
	v_add_f32_e32 v38, v38, v39
	s_waitcnt vmcnt(29)
	v_mul_f32_e32 v39, v32, v192
	s_waitcnt vmcnt(28)
	v_fmac_f32_e32 v39, v33, v193
	v_add_f32_e32 v38, v38, v39
	s_waitcnt vmcnt(27) lgkmcnt(0)
	v_mul_f32_e32 v39, v34, v194
	s_waitcnt vmcnt(26)
	v_fmac_f32_e32 v39, v35, v195
	v_add_f32_e32 v42, v38, v39
	ds_read_b128 v[38:41], v4 offset:544
	s_waitcnt vmcnt(24)
	v_mul_f32_e32 v43, v36, v197
	v_fmac_f32_e32 v43, v37, v196
	v_add_f32_e32 v46, v42, v43
	ds_read_b128 v[42:45], v4 offset:560
	s_waitcnt vmcnt(20) lgkmcnt(1)
	v_mul_f32_e32 v47, v38, v199
	v_fmac_f32_e32 v47, v39, v198
	v_add_f32_e32 v46, v46, v47
	s_waitcnt vmcnt(18)
	v_mul_f32_e32 v47, v40, v201
	v_fmac_f32_e32 v47, v41, v200
	v_add_f32_e32 v46, v46, v47
	s_waitcnt vmcnt(16) lgkmcnt(0)
	v_mul_f32_e32 v47, v42, v203
	v_fmac_f32_e32 v47, v43, v202
	v_add_f32_e32 v50, v46, v47
	ds_read_b128 v[46:49], v4 offset:576
	s_waitcnt vmcnt(14)
	v_mul_f32_e32 v51, v44, v205
	v_fmac_f32_e32 v51, v45, v204
	v_add_f32_e32 v54, v50, v51
	ds_read_b128 v[50:53], v4 offset:592
	s_waitcnt vmcnt(12) lgkmcnt(1)
	v_mul_f32_e32 v55, v46, v207
	v_fmac_f32_e32 v55, v47, v206
	v_add_f32_e32 v54, v54, v55
	s_waitcnt vmcnt(10)
	v_mul_f32_e32 v55, v48, v209
	v_fmac_f32_e32 v55, v49, v208
	v_add_f32_e32 v54, v54, v55
	s_waitcnt vmcnt(8) lgkmcnt(0)
	v_mul_f32_e32 v55, v50, v211
	v_fmac_f32_e32 v55, v51, v210
	s_waitcnt vmcnt(6)
	v_mul_f32_e32 v59, v52, v213
	v_add_f32_e32 v58, v54, v55
	v_fmac_f32_e32 v59, v53, v212
	ds_read_b128 v[54:57], v4 offset:608
	v_add_f32_e32 v63, v58, v59
	ds_read_b128 v[58:61], v4 offset:624
	buffer_load_dword v155, off, s[0:3], 0 offset:308
	buffer_load_dword v154, off, s[0:3], 0 offset:304
	;; [unrolled: 1-line block ×16, first 2 shown]
	v_mul_f32_e32 v5, v7, v5
	v_fma_f32 v5, v6, v175, -v5
	v_mul_f32_e32 v6, v9, v62
	v_add_f32_e32 v5, 0, v5
	v_fma_f32 v6, v8, v176, -v6
	v_add_f32_e32 v5, v5, v6
	v_mul_f32_e32 v6, v11, v64
	v_fma_f32 v6, v10, v177, -v6
	v_add_f32_e32 v5, v5, v6
	v_mul_f32_e32 v6, v13, v152
	;; [unrolled: 3-line block ×22, first 2 shown]
	v_fma_f32 v6, v52, v212, -v6
	s_waitcnt vmcnt(20) lgkmcnt(1)
	v_mul_f32_e32 v65, v54, v215
	v_add_f32_e32 v5, v5, v6
	v_mul_f32_e32 v6, v55, v215
	v_fmac_f32_e32 v65, v55, v214
	v_fma_f32 v6, v54, v214, -v6
	s_waitcnt vmcnt(9)
	v_mov_b32_e32 v22, v161
	v_add_f32_e32 v63, v63, v65
	v_mul_f32_e32 v65, v56, v217
	v_add_f32_e32 v62, v5, v6
	v_mul_f32_e32 v5, v57, v217
	s_waitcnt lgkmcnt(0)
	v_pk_mul_f32 v[22:23], v[60:61], v[22:23] op_sel_hi:[1,0]
	v_fmac_f32_e32 v65, v57, v216
	v_mul_f32_e32 v153, v58, v219
	v_fma_f32 v64, v56, v216, -v5
	v_mul_f32_e32 v5, v59, v219
	ds_read_b128 v[6:9], v4 offset:640
	ds_read_b128 v[10:13], v4 offset:656
	;; [unrolled: 1-line block ×3, first 2 shown]
	ds_read_b64 v[18:19], v4 offset:688
	s_waitcnt vmcnt(8)
	v_pk_fma_f32 v[24:25], v[60:61], v[160:161], v[22:23] op_sel:[0,0,1] op_sel_hi:[1,1,0] neg_lo:[0,0,1] neg_hi:[0,0,1]
	v_pk_fma_f32 v[22:23], v[60:61], v[160:161], v[22:23] op_sel:[0,0,1] op_sel_hi:[1,0,0]
	v_fmac_f32_e32 v153, v59, v218
	v_fma_f32 v152, v58, v218, -v5
	v_pk_add_f32 v[20:21], v[62:63], v[64:65]
	v_mov_b32_e32 v22, v159
	v_pk_add_f32 v[20:21], v[20:21], v[152:153]
	v_mov_b32_e32 v25, v23
	s_waitcnt lgkmcnt(3)
	v_pk_mul_f32 v[22:23], v[6:7], v[22:23] op_sel_hi:[1,0]
	v_pk_add_f32 v[20:21], v[20:21], v[24:25]
	v_pk_fma_f32 v[24:25], v[6:7], v[158:159], v[22:23] op_sel:[0,0,1] op_sel_hi:[1,1,0] neg_lo:[0,0,1] neg_hi:[0,0,1]
	v_pk_fma_f32 v[6:7], v[6:7], v[158:159], v[22:23] op_sel:[0,0,1] op_sel_hi:[1,0,0]
	v_mov_b32_e32 v25, v7
	v_pk_add_f32 v[6:7], v[20:21], v[24:25]
	v_mov_b32_e32 v20, v157
	v_pk_mul_f32 v[20:21], v[8:9], v[20:21] op_sel_hi:[1,0]
	v_pk_fma_f32 v[22:23], v[8:9], v[156:157], v[20:21] op_sel:[0,0,1] op_sel_hi:[1,1,0] neg_lo:[0,0,1] neg_hi:[0,0,1]
	v_pk_fma_f32 v[8:9], v[8:9], v[156:157], v[20:21] op_sel:[0,0,1] op_sel_hi:[1,0,0]
	v_mov_b32_e32 v8, v155
	v_mov_b32_e32 v23, v9
	s_waitcnt lgkmcnt(2)
	v_pk_mul_f32 v[8:9], v[10:11], v[8:9] op_sel_hi:[1,0]
	v_pk_fma_f32 v[20:21], v[10:11], v[154:155], v[8:9] op_sel:[0,0,1] op_sel_hi:[1,1,0] neg_lo:[0,0,1] neg_hi:[0,0,1]
	v_pk_fma_f32 v[8:9], v[10:11], v[154:155], v[8:9] op_sel:[0,0,1] op_sel_hi:[1,0,0]
	s_waitcnt vmcnt(1)
	v_mov_b32_e32 v8, v169
	v_mov_b32_e32 v21, v9
	v_pk_mul_f32 v[8:9], v[12:13], v[8:9] op_sel_hi:[1,0]
	s_waitcnt vmcnt(0)
	v_pk_fma_f32 v[10:11], v[12:13], v[168:169], v[8:9] op_sel:[0,0,1] op_sel_hi:[1,1,0] neg_lo:[0,0,1] neg_hi:[0,0,1]
	v_pk_fma_f32 v[8:9], v[12:13], v[168:169], v[8:9] op_sel:[0,0,1] op_sel_hi:[1,0,0]
	v_pk_add_f32 v[6:7], v[6:7], v[22:23]
	v_mov_b32_e32 v8, v167
	v_pk_add_f32 v[6:7], v[6:7], v[20:21]
	v_mov_b32_e32 v11, v9
	s_waitcnt lgkmcnt(1)
	v_pk_mul_f32 v[8:9], v[14:15], v[8:9] op_sel_hi:[1,0]
	v_pk_add_f32 v[6:7], v[6:7], v[10:11]
	v_pk_fma_f32 v[10:11], v[14:15], v[166:167], v[8:9] op_sel:[0,0,1] op_sel_hi:[1,1,0] neg_lo:[0,0,1] neg_hi:[0,0,1]
	v_pk_fma_f32 v[8:9], v[14:15], v[166:167], v[8:9] op_sel:[0,0,1] op_sel_hi:[1,0,0]
	v_mov_b32_e32 v8, v165
	v_mov_b32_e32 v11, v9
	v_pk_mul_f32 v[8:9], v[16:17], v[8:9] op_sel_hi:[1,0]
	v_pk_add_f32 v[6:7], v[6:7], v[10:11]
	v_pk_fma_f32 v[10:11], v[16:17], v[164:165], v[8:9] op_sel:[0,0,1] op_sel_hi:[1,1,0] neg_lo:[0,0,1] neg_hi:[0,0,1]
	v_pk_fma_f32 v[8:9], v[16:17], v[164:165], v[8:9] op_sel:[0,0,1] op_sel_hi:[1,0,0]
	v_mov_b32_e32 v8, v163
	v_mov_b32_e32 v11, v9
	s_waitcnt lgkmcnt(0)
	v_pk_mul_f32 v[8:9], v[18:19], v[8:9] op_sel_hi:[1,0]
	v_pk_add_f32 v[6:7], v[6:7], v[10:11]
	v_pk_fma_f32 v[10:11], v[18:19], v[162:163], v[8:9] op_sel:[0,0,1] op_sel_hi:[1,1,0] neg_lo:[0,0,1] neg_hi:[0,0,1]
	v_pk_fma_f32 v[8:9], v[18:19], v[162:163], v[8:9] op_sel:[0,0,1] op_sel_hi:[1,0,0]
	v_mov_b32_e32 v11, v9
	v_pk_add_f32 v[6:7], v[6:7], v[10:11]
	v_pk_add_f32 v[2:3], v[2:3], v[6:7] neg_lo:[0,1] neg_hi:[0,1]
	buffer_store_dword v3, off, s[0:3], 0 offset:60
	buffer_store_dword v2, off, s[0:3], 0 offset:56
	s_and_saveexec_b64 s[4:5], vcc
	s_cbranch_execz .LBB42_259
; %bb.258:
	buffer_load_dword v2, off, s[0:3], 0 offset:48
	buffer_load_dword v3, off, s[0:3], 0 offset:52
	s_waitcnt vmcnt(0)
	ds_write_b64 v1, v[2:3]
	buffer_store_dword v4, off, s[0:3], 0 offset:48
	buffer_store_dword v4, off, s[0:3], 0 offset:52
.LBB42_259:
	s_or_b64 exec, exec, s[4:5]
	s_waitcnt lgkmcnt(0)
	; wave barrier
	s_waitcnt lgkmcnt(0)
	buffer_load_dword v5, off, s[0:3], 0 offset:60
	buffer_load_dword v62, off, s[0:3], 0 offset:68
	;; [unrolled: 1-line block ×36, first 2 shown]
	ds_read2_b64 v[6:9], v4 offset0:51 offset1:52
	ds_read2_b64 v[10:13], v4 offset0:53 offset1:54
	buffer_load_dword v200, off, s[0:3], 0 offset:192
	buffer_load_dword v201, off, s[0:3], 0 offset:196
	;; [unrolled: 1-line block ×4, first 2 shown]
	ds_read2_b64 v[14:17], v4 offset0:55 offset1:56
	ds_read2_b64 v[18:21], v4 offset0:57 offset1:58
	buffer_load_dword v204, off, s[0:3], 0 offset:208
	buffer_load_dword v205, off, s[0:3], 0 offset:212
	ds_read2_b64 v[22:25], v4 offset0:59 offset1:60
	ds_read2_b64 v[26:29], v4 offset0:61 offset1:62
	buffer_load_dword v206, off, s[0:3], 0 offset:216
	buffer_load_dword v207, off, s[0:3], 0 offset:220
	;; [unrolled: 1-line block ×16, first 2 shown]
	v_cmp_lt_u32_e32 vcc, 5, v0
	s_waitcnt vmcnt(57) lgkmcnt(5)
	v_mul_f32_e32 v30, v6, v5
	s_waitcnt vmcnt(56)
	v_mul_f32_e32 v31, v8, v62
	s_waitcnt vmcnt(55) lgkmcnt(4)
	v_mul_f32_e32 v32, v10, v64
	s_waitcnt vmcnt(54)
	v_mul_f32_e32 v33, v12, v158
	s_waitcnt vmcnt(53) lgkmcnt(3)
	v_mul_f32_e32 v34, v14, v170
	s_waitcnt vmcnt(52)
	v_mul_f32_e32 v35, v16, v171
	s_waitcnt vmcnt(51) lgkmcnt(2)
	v_mul_f32_e32 v36, v18, v172
	s_waitcnt vmcnt(50)
	v_mul_f32_e32 v37, v20, v173
	s_waitcnt vmcnt(49)
	v_fmac_f32_e32 v30, v7, v174
	s_waitcnt vmcnt(48)
	v_fmac_f32_e32 v31, v9, v175
	v_add_f32_e32 v30, 0, v30
	s_waitcnt vmcnt(47)
	v_fmac_f32_e32 v32, v11, v176
	v_add_f32_e32 v30, v30, v31
	;; [unrolled: 3-line block ×7, first 2 shown]
	s_waitcnt vmcnt(41) lgkmcnt(1)
	v_mul_f32_e32 v31, v22, v182
	v_add_f32_e32 v30, v30, v37
	s_waitcnt vmcnt(40)
	v_fmac_f32_e32 v31, v23, v183
	v_add_f32_e32 v30, v30, v31
	s_waitcnt vmcnt(39)
	v_mul_f32_e32 v31, v24, v184
	s_waitcnt vmcnt(38)
	v_fmac_f32_e32 v31, v25, v185
	v_add_f32_e32 v30, v30, v31
	s_waitcnt vmcnt(37) lgkmcnt(0)
	v_mul_f32_e32 v31, v26, v186
	s_waitcnt vmcnt(36)
	v_fmac_f32_e32 v31, v27, v187
	v_add_f32_e32 v34, v30, v31
	ds_read2_b64 v[30:33], v4 offset0:63 offset1:64
	s_waitcnt vmcnt(35)
	v_mul_f32_e32 v35, v28, v188
	s_waitcnt vmcnt(34)
	v_fmac_f32_e32 v35, v29, v189
	v_add_f32_e32 v38, v34, v35
	ds_read2_b64 v[34:37], v4 offset0:65 offset1:66
	s_waitcnt vmcnt(33) lgkmcnt(1)
	v_mul_f32_e32 v39, v30, v190
	s_waitcnt vmcnt(32)
	v_fmac_f32_e32 v39, v31, v191
	v_add_f32_e32 v38, v38, v39
	s_waitcnt vmcnt(31)
	v_mul_f32_e32 v39, v32, v192
	s_waitcnt vmcnt(30)
	v_fmac_f32_e32 v39, v33, v193
	v_add_f32_e32 v38, v38, v39
	s_waitcnt vmcnt(29) lgkmcnt(0)
	v_mul_f32_e32 v39, v34, v194
	s_waitcnt vmcnt(28)
	v_fmac_f32_e32 v39, v35, v195
	v_add_f32_e32 v42, v38, v39
	ds_read2_b64 v[38:41], v4 offset0:67 offset1:68
	s_waitcnt vmcnt(25)
	v_mul_f32_e32 v43, v36, v196
	s_waitcnt vmcnt(24)
	v_fmac_f32_e32 v43, v37, v197
	v_add_f32_e32 v46, v42, v43
	ds_read2_b64 v[42:45], v4 offset0:69 offset1:70
	s_waitcnt vmcnt(22) lgkmcnt(1)
	v_mul_f32_e32 v47, v38, v199
	v_fmac_f32_e32 v47, v39, v198
	v_add_f32_e32 v46, v46, v47
	s_waitcnt vmcnt(20)
	v_mul_f32_e32 v47, v40, v201
	v_fmac_f32_e32 v47, v41, v200
	v_add_f32_e32 v46, v46, v47
	s_waitcnt vmcnt(18) lgkmcnt(0)
	v_mul_f32_e32 v47, v42, v203
	v_fmac_f32_e32 v47, v43, v202
	v_add_f32_e32 v50, v46, v47
	ds_read2_b64 v[46:49], v4 offset0:71 offset1:72
	s_waitcnt vmcnt(16)
	v_mul_f32_e32 v51, v44, v205
	v_fmac_f32_e32 v51, v45, v204
	v_add_f32_e32 v54, v50, v51
	ds_read2_b64 v[50:53], v4 offset0:73 offset1:74
	s_waitcnt vmcnt(14) lgkmcnt(1)
	v_mul_f32_e32 v55, v46, v207
	v_fmac_f32_e32 v55, v47, v206
	v_add_f32_e32 v54, v54, v55
	s_waitcnt vmcnt(12)
	v_mul_f32_e32 v55, v48, v209
	v_fmac_f32_e32 v55, v49, v208
	v_add_f32_e32 v54, v54, v55
	s_waitcnt vmcnt(10) lgkmcnt(0)
	v_mul_f32_e32 v55, v50, v211
	v_fmac_f32_e32 v55, v51, v210
	s_waitcnt vmcnt(8)
	v_mul_f32_e32 v59, v52, v213
	v_add_f32_e32 v58, v54, v55
	v_fmac_f32_e32 v59, v53, v212
	ds_read2_b64 v[54:57], v4 offset0:75 offset1:76
	v_add_f32_e32 v63, v58, v59
	ds_read2_b64 v[58:61], v4 offset0:77 offset1:78
	buffer_load_dword v153, off, s[0:3], 0 offset:300
	buffer_load_dword v152, off, s[0:3], 0 offset:296
	;; [unrolled: 1-line block ×16, first 2 shown]
	v_mul_f32_e32 v5, v7, v5
	v_fma_f32 v5, v6, v174, -v5
	v_mul_f32_e32 v6, v9, v62
	v_add_f32_e32 v5, 0, v5
	v_fma_f32 v6, v8, v175, -v6
	v_add_f32_e32 v5, v5, v6
	v_mul_f32_e32 v6, v11, v64
	v_fma_f32 v6, v10, v176, -v6
	v_add_f32_e32 v5, v5, v6
	v_mul_f32_e32 v6, v13, v158
	;; [unrolled: 3-line block ×22, first 2 shown]
	v_fma_f32 v6, v52, v212, -v6
	v_add_f32_e32 v5, v5, v6
	s_waitcnt vmcnt(22) lgkmcnt(1)
	v_mul_f32_e32 v6, v55, v215
	v_fma_f32 v6, v54, v214, -v6
	v_add_f32_e32 v5, v5, v6
	s_waitcnt vmcnt(20)
	v_mul_f32_e32 v6, v57, v217
	v_fma_f32 v6, v56, v216, -v6
	v_add_f32_e32 v62, v5, v6
	ds_read2_b64 v[6:9], v4 offset0:79 offset1:80
	ds_read2_b64 v[10:13], v4 offset0:81 offset1:82
	ds_read2_b64 v[14:17], v4 offset0:83 offset1:84
	ds_read2_b64 v[18:21], v4 offset0:85 offset1:86
	s_waitcnt vmcnt(11)
	v_mov_b32_e32 v22, v157
	v_mul_f32_e32 v65, v54, v215
	s_waitcnt lgkmcnt(3)
	v_pk_mul_f32 v[22:23], v[6:7], v[22:23] op_sel_hi:[1,0]
	v_fmac_f32_e32 v65, v55, v214
	s_waitcnt vmcnt(10)
	v_pk_fma_f32 v[24:25], v[6:7], v[156:157], v[22:23] op_sel:[0,0,1] op_sel_hi:[1,1,0] neg_lo:[0,0,1] neg_hi:[0,0,1]
	v_pk_fma_f32 v[6:7], v[6:7], v[156:157], v[22:23] op_sel:[0,0,1] op_sel_hi:[1,0,0]
	v_add_f32_e32 v63, v63, v65
	v_mul_f32_e32 v65, v56, v217
	v_mov_b32_e32 v6, v155
	v_fmac_f32_e32 v65, v57, v216
	v_mov_b32_e32 v25, v7
	v_pk_mul_f32 v[6:7], v[8:9], v[6:7] op_sel_hi:[1,0]
	v_add_f32_e32 v63, v63, v65
	v_mul_f32_e32 v65, v58, v219
	v_mul_f32_e32 v5, v59, v219
	v_pk_fma_f32 v[22:23], v[8:9], v[154:155], v[6:7] op_sel:[0,0,1] op_sel_hi:[1,1,0] neg_lo:[0,0,1] neg_hi:[0,0,1]
	v_pk_fma_f32 v[6:7], v[8:9], v[154:155], v[6:7] op_sel:[0,0,1] op_sel_hi:[1,0,0]
	v_fmac_f32_e32 v65, v59, v218
	v_mul_f32_e32 v159, v60, v221
	v_fma_f32 v64, v58, v218, -v5
	v_mul_f32_e32 v5, v61, v221
	v_mov_b32_e32 v6, v153
	v_fmac_f32_e32 v159, v61, v220
	v_fma_f32 v158, v60, v220, -v5
	v_pk_add_f32 v[4:5], v[62:63], v[64:65]
	v_mov_b32_e32 v23, v7
	s_waitcnt lgkmcnt(2)
	v_pk_mul_f32 v[6:7], v[10:11], v[6:7] op_sel_hi:[1,0]
	v_pk_add_f32 v[4:5], v[4:5], v[158:159]
	v_pk_fma_f32 v[8:9], v[10:11], v[152:153], v[6:7] op_sel:[0,0,1] op_sel_hi:[1,1,0] neg_lo:[0,0,1] neg_hi:[0,0,1]
	v_pk_fma_f32 v[6:7], v[10:11], v[152:153], v[6:7] op_sel:[0,0,1] op_sel_hi:[1,0,0]
	v_pk_add_f32 v[4:5], v[4:5], v[24:25]
	s_waitcnt vmcnt(3)
	v_mov_b32_e32 v6, v167
	v_pk_add_f32 v[4:5], v[4:5], v[22:23]
	v_mov_b32_e32 v9, v7
	v_pk_mul_f32 v[6:7], v[12:13], v[6:7] op_sel_hi:[1,0]
	v_pk_add_f32 v[4:5], v[4:5], v[8:9]
	s_waitcnt vmcnt(2)
	v_pk_fma_f32 v[8:9], v[12:13], v[166:167], v[6:7] op_sel:[0,0,1] op_sel_hi:[1,1,0] neg_lo:[0,0,1] neg_hi:[0,0,1]
	v_pk_fma_f32 v[6:7], v[12:13], v[166:167], v[6:7] op_sel:[0,0,1] op_sel_hi:[1,0,0]
	v_mov_b32_e32 v6, v165
	v_mov_b32_e32 v9, v7
	s_waitcnt lgkmcnt(1)
	v_pk_mul_f32 v[6:7], v[14:15], v[6:7] op_sel_hi:[1,0]
	v_pk_add_f32 v[4:5], v[4:5], v[8:9]
	v_pk_fma_f32 v[8:9], v[14:15], v[164:165], v[6:7] op_sel:[0,0,1] op_sel_hi:[1,1,0] neg_lo:[0,0,1] neg_hi:[0,0,1]
	v_pk_fma_f32 v[6:7], v[14:15], v[164:165], v[6:7] op_sel:[0,0,1] op_sel_hi:[1,0,0]
	v_mov_b32_e32 v6, v163
	v_mov_b32_e32 v9, v7
	v_pk_mul_f32 v[6:7], v[16:17], v[6:7] op_sel_hi:[1,0]
	v_pk_add_f32 v[4:5], v[4:5], v[8:9]
	v_pk_fma_f32 v[8:9], v[16:17], v[162:163], v[6:7] op_sel:[0,0,1] op_sel_hi:[1,1,0] neg_lo:[0,0,1] neg_hi:[0,0,1]
	v_pk_fma_f32 v[6:7], v[16:17], v[162:163], v[6:7] op_sel:[0,0,1] op_sel_hi:[1,0,0]
	v_mov_b32_e32 v6, v161
	v_mov_b32_e32 v9, v7
	s_waitcnt lgkmcnt(0)
	v_pk_mul_f32 v[6:7], v[18:19], v[6:7] op_sel_hi:[1,0]
	v_pk_add_f32 v[4:5], v[4:5], v[8:9]
	v_pk_fma_f32 v[8:9], v[18:19], v[160:161], v[6:7] op_sel:[0,0,1] op_sel_hi:[1,1,0] neg_lo:[0,0,1] neg_hi:[0,0,1]
	v_pk_fma_f32 v[6:7], v[18:19], v[160:161], v[6:7] op_sel:[0,0,1] op_sel_hi:[1,0,0]
	s_waitcnt vmcnt(1)
	v_mov_b32_e32 v6, v169
	v_mov_b32_e32 v9, v7
	v_pk_mul_f32 v[6:7], v[20:21], v[6:7] op_sel_hi:[1,0]
	v_pk_add_f32 v[4:5], v[4:5], v[8:9]
	s_waitcnt vmcnt(0)
	v_pk_fma_f32 v[8:9], v[20:21], v[168:169], v[6:7] op_sel:[0,0,1] op_sel_hi:[1,1,0] neg_lo:[0,0,1] neg_hi:[0,0,1]
	v_pk_fma_f32 v[6:7], v[20:21], v[168:169], v[6:7] op_sel:[0,0,1] op_sel_hi:[1,0,0]
	v_mov_b32_e32 v9, v7
	v_pk_add_f32 v[4:5], v[4:5], v[8:9]
	v_pk_add_f32 v[2:3], v[2:3], v[4:5] neg_lo:[0,1] neg_hi:[0,1]
	buffer_store_dword v3, off, s[0:3], 0 offset:52
	buffer_store_dword v2, off, s[0:3], 0 offset:48
	s_and_saveexec_b64 s[4:5], vcc
	s_cbranch_execz .LBB42_261
; %bb.260:
	buffer_load_dword v2, off, s[0:3], 0 offset:40
	buffer_load_dword v3, off, s[0:3], 0 offset:44
	v_mov_b32_e32 v4, 0
	buffer_store_dword v4, off, s[0:3], 0 offset:40
	buffer_store_dword v4, off, s[0:3], 0 offset:44
	s_waitcnt vmcnt(2)
	ds_write_b64 v1, v[2:3]
.LBB42_261:
	s_or_b64 exec, exec, s[4:5]
	s_waitcnt lgkmcnt(0)
	; wave barrier
	s_waitcnt lgkmcnt(0)
	buffer_load_dword v17, off, s[0:3], 0 offset:52
	buffer_load_dword v156, off, s[0:3], 0 offset:60
	;; [unrolled: 1-line block ×56, first 2 shown]
	v_mov_b32_e32 v16, 0
	ds_read_b128 v[2:5], v16 offset:400
	buffer_load_dword v228, off, s[0:3], 0 offset:264
	buffer_load_dword v229, off, s[0:3], 0 offset:268
	;; [unrolled: 1-line block ×4, first 2 shown]
	ds_read_b128 v[8:11], v16 offset:416
	ds_read_b128 v[12:15], v16 offset:432
	;; [unrolled: 1-line block ×3, first 2 shown]
	v_cmp_lt_u32_e32 vcc, 4, v0
	s_waitcnt vmcnt(59) lgkmcnt(3)
	v_mul_f32_e32 v22, v2, v17
	s_waitcnt vmcnt(58)
	v_mul_f32_e32 v23, v4, v156
	s_waitcnt vmcnt(57) lgkmcnt(2)
	v_mul_f32_e32 v24, v8, v162
	s_waitcnt vmcnt(56)
	v_mul_f32_e32 v25, v10, v164
	;; [unrolled: 4-line block ×3, first 2 shown]
	s_waitcnt vmcnt(53) lgkmcnt(0)
	v_mul_f32_e32 v28, v18, v180
	s_waitcnt vmcnt(52)
	v_fmac_f32_e32 v22, v3, v181
	s_waitcnt vmcnt(51)
	v_fmac_f32_e32 v23, v5, v182
	v_add_f32_e32 v22, 0, v22
	s_waitcnt vmcnt(50)
	v_fmac_f32_e32 v24, v9, v183
	v_add_f32_e32 v22, v22, v23
	;; [unrolled: 3-line block ×6, first 2 shown]
	v_add_f32_e32 v26, v22, v28
	ds_read_b128 v[22:25], v16 offset:464
	s_waitcnt vmcnt(45)
	v_mul_f32_e32 v27, v20, v188
	s_waitcnt vmcnt(44)
	v_fmac_f32_e32 v27, v21, v189
	v_add_f32_e32 v30, v26, v27
	ds_read_b128 v[26:29], v16 offset:480
	s_waitcnt vmcnt(43) lgkmcnt(1)
	v_mul_f32_e32 v31, v22, v190
	s_waitcnt vmcnt(42)
	v_fmac_f32_e32 v31, v23, v191
	v_add_f32_e32 v30, v30, v31
	s_waitcnt vmcnt(41)
	v_mul_f32_e32 v31, v24, v192
	s_waitcnt vmcnt(40)
	v_fmac_f32_e32 v31, v25, v193
	v_add_f32_e32 v30, v30, v31
	s_waitcnt vmcnt(39) lgkmcnt(0)
	v_mul_f32_e32 v31, v26, v194
	s_waitcnt vmcnt(38)
	v_fmac_f32_e32 v31, v27, v195
	v_add_f32_e32 v34, v30, v31
	ds_read_b128 v[30:33], v16 offset:496
	s_waitcnt vmcnt(37)
	v_mul_f32_e32 v35, v28, v196
	s_waitcnt vmcnt(36)
	v_fmac_f32_e32 v35, v29, v197
	v_add_f32_e32 v38, v34, v35
	ds_read_b128 v[34:37], v16 offset:512
	s_waitcnt vmcnt(34) lgkmcnt(1)
	v_mul_f32_e32 v39, v30, v199
	v_fmac_f32_e32 v39, v31, v198
	v_add_f32_e32 v38, v38, v39
	s_waitcnt vmcnt(31)
	v_mul_f32_e32 v39, v32, v200
	s_waitcnt vmcnt(30)
	v_fmac_f32_e32 v39, v33, v201
	v_add_f32_e32 v38, v38, v39
	s_waitcnt vmcnt(28) lgkmcnt(0)
	v_mul_f32_e32 v39, v34, v203
	v_fmac_f32_e32 v39, v35, v202
	v_add_f32_e32 v42, v38, v39
	ds_read_b128 v[38:41], v16 offset:528
	s_waitcnt vmcnt(26)
	v_mul_f32_e32 v43, v36, v205
	v_fmac_f32_e32 v43, v37, v204
	v_add_f32_e32 v46, v42, v43
	ds_read_b128 v[42:45], v16 offset:544
	s_waitcnt vmcnt(24) lgkmcnt(1)
	v_mul_f32_e32 v47, v38, v207
	v_fmac_f32_e32 v47, v39, v206
	v_add_f32_e32 v46, v46, v47
	s_waitcnt vmcnt(22)
	v_mul_f32_e32 v47, v40, v209
	v_fmac_f32_e32 v47, v41, v208
	v_add_f32_e32 v46, v46, v47
	s_waitcnt vmcnt(20) lgkmcnt(0)
	v_mul_f32_e32 v47, v42, v211
	v_fmac_f32_e32 v47, v43, v210
	v_add_f32_e32 v50, v46, v47
	ds_read_b128 v[46:49], v16 offset:560
	s_waitcnt vmcnt(18)
	v_mul_f32_e32 v51, v44, v213
	v_fmac_f32_e32 v51, v45, v212
	v_add_f32_e32 v54, v50, v51
	ds_read_b128 v[50:53], v16 offset:576
	s_waitcnt vmcnt(16) lgkmcnt(1)
	v_mul_f32_e32 v55, v46, v215
	v_fmac_f32_e32 v55, v47, v214
	v_add_f32_e32 v54, v54, v55
	s_waitcnt vmcnt(14)
	v_mul_f32_e32 v55, v48, v217
	;; [unrolled: 18-line block ×3, first 2 shown]
	v_fmac_f32_e32 v63, v57, v224
	v_add_f32_e32 v62, v62, v63
	s_waitcnt vmcnt(4) lgkmcnt(0)
	v_mul_f32_e32 v63, v58, v227
	v_fmac_f32_e32 v63, v59, v226
	v_add_f32_e32 v157, v62, v63
	ds_read_b128 v[62:65], v16 offset:624
	buffer_load_dword v159, off, s[0:3], 0 offset:292
	buffer_load_dword v158, off, s[0:3], 0 offset:288
	buffer_load_dword v161, off, s[0:3], 0 offset:284
	buffer_load_dword v160, off, s[0:3], 0 offset:280
	ds_read_b128 v[152:155], v16 offset:640
	buffer_load_dword v167, off, s[0:3], 0 offset:324
	buffer_load_dword v166, off, s[0:3], 0 offset:320
	;; [unrolled: 1-line block ×12, first 2 shown]
	v_mul_f32_e32 v3, v3, v17
	v_fma_f32 v2, v2, v181, -v3
	v_mul_f32_e32 v3, v5, v156
	v_add_f32_e32 v2, 0, v2
	v_fma_f32 v3, v4, v182, -v3
	v_add_f32_e32 v2, v2, v3
	v_mul_f32_e32 v3, v9, v162
	v_fma_f32 v3, v8, v183, -v3
	v_add_f32_e32 v2, v2, v3
	v_mul_f32_e32 v3, v11, v164
	;; [unrolled: 3-line block ×25, first 2 shown]
	v_fma_f32 v3, v58, v226, -v3
	s_waitcnt vmcnt(13)
	v_mov_b32_e32 v18, v161
	v_mul_f32_e32 v163, v60, v229
	v_add_f32_e32 v156, v2, v3
	v_mul_f32_e32 v2, v61, v229
	s_waitcnt lgkmcnt(1)
	v_pk_mul_f32 v[18:19], v[64:65], v[18:19] op_sel_hi:[1,0]
	v_fmac_f32_e32 v163, v61, v228
	v_mul_f32_e32 v165, v62, v231
	v_fma_f32 v162, v60, v228, -v2
	v_mul_f32_e32 v2, v63, v231
	s_waitcnt vmcnt(12)
	v_pk_fma_f32 v[20:21], v[64:65], v[160:161], v[18:19] op_sel:[0,0,1] op_sel_hi:[1,1,0] neg_lo:[0,0,1] neg_hi:[0,0,1]
	v_pk_fma_f32 v[18:19], v[64:65], v[160:161], v[18:19] op_sel:[0,0,1] op_sel_hi:[1,0,0]
	v_fmac_f32_e32 v165, v63, v230
	v_fma_f32 v164, v62, v230, -v2
	v_pk_add_f32 v[14:15], v[156:157], v[162:163]
	v_mov_b32_e32 v18, v159
	v_pk_add_f32 v[14:15], v[14:15], v[164:165]
	v_mov_b32_e32 v21, v19
	s_waitcnt lgkmcnt(0)
	v_pk_mul_f32 v[18:19], v[152:153], v[18:19] op_sel_hi:[1,0]
	v_pk_add_f32 v[14:15], v[14:15], v[20:21]
	v_pk_fma_f32 v[20:21], v[152:153], v[158:159], v[18:19] op_sel:[0,0,1] op_sel_hi:[1,1,0] neg_lo:[0,0,1] neg_hi:[0,0,1]
	v_pk_fma_f32 v[18:19], v[152:153], v[158:159], v[18:19] op_sel:[0,0,1] op_sel_hi:[1,0,0]
	s_waitcnt vmcnt(5)
	v_mov_b32_e32 v18, v173
	ds_read_b128 v[2:5], v16 offset:656
	ds_read_b128 v[8:11], v16 offset:672
	ds_read_b64 v[12:13], v16 offset:688
	v_mov_b32_e32 v21, v19
	v_pk_mul_f32 v[18:19], v[154:155], v[18:19] op_sel_hi:[1,0]
	v_pk_add_f32 v[14:15], v[14:15], v[20:21]
	s_waitcnt vmcnt(4)
	v_pk_fma_f32 v[20:21], v[154:155], v[172:173], v[18:19] op_sel:[0,0,1] op_sel_hi:[1,1,0] neg_lo:[0,0,1] neg_hi:[0,0,1]
	v_pk_fma_f32 v[18:19], v[154:155], v[172:173], v[18:19] op_sel:[0,0,1] op_sel_hi:[1,0,0]
	v_mov_b32_e32 v18, v171
	v_mov_b32_e32 v21, v19
	s_waitcnt lgkmcnt(2)
	v_pk_mul_f32 v[18:19], v[2:3], v[18:19] op_sel_hi:[1,0]
	v_pk_add_f32 v[14:15], v[14:15], v[20:21]
	v_pk_fma_f32 v[20:21], v[2:3], v[170:171], v[18:19] op_sel:[0,0,1] op_sel_hi:[1,1,0] neg_lo:[0,0,1] neg_hi:[0,0,1]
	v_pk_fma_f32 v[2:3], v[2:3], v[170:171], v[18:19] op_sel:[0,0,1] op_sel_hi:[1,0,0]
	v_mov_b32_e32 v21, v3
	v_pk_add_f32 v[2:3], v[14:15], v[20:21]
	v_mov_b32_e32 v14, v169
	v_pk_mul_f32 v[14:15], v[4:5], v[14:15] op_sel_hi:[1,0]
	v_pk_fma_f32 v[18:19], v[4:5], v[168:169], v[14:15] op_sel:[0,0,1] op_sel_hi:[1,1,0] neg_lo:[0,0,1] neg_hi:[0,0,1]
	v_pk_fma_f32 v[4:5], v[4:5], v[168:169], v[14:15] op_sel:[0,0,1] op_sel_hi:[1,0,0]
	v_mov_b32_e32 v4, v167
	v_mov_b32_e32 v19, v5
	s_waitcnt lgkmcnt(1)
	v_pk_mul_f32 v[4:5], v[8:9], v[4:5] op_sel_hi:[1,0]
	v_pk_fma_f32 v[14:15], v[8:9], v[166:167], v[4:5] op_sel:[0,0,1] op_sel_hi:[1,1,0] neg_lo:[0,0,1] neg_hi:[0,0,1]
	v_pk_fma_f32 v[4:5], v[8:9], v[166:167], v[4:5] op_sel:[0,0,1] op_sel_hi:[1,0,0]
	s_waitcnt vmcnt(1)
	v_mov_b32_e32 v4, v177
	v_mov_b32_e32 v15, v5
	v_pk_mul_f32 v[4:5], v[10:11], v[4:5] op_sel_hi:[1,0]
	s_waitcnt vmcnt(0)
	v_pk_fma_f32 v[8:9], v[10:11], v[176:177], v[4:5] op_sel:[0,0,1] op_sel_hi:[1,1,0] neg_lo:[0,0,1] neg_hi:[0,0,1]
	v_pk_fma_f32 v[4:5], v[10:11], v[176:177], v[4:5] op_sel:[0,0,1] op_sel_hi:[1,0,0]
	v_pk_add_f32 v[2:3], v[2:3], v[18:19]
	v_mov_b32_e32 v4, v175
	v_pk_add_f32 v[2:3], v[2:3], v[14:15]
	v_mov_b32_e32 v9, v5
	s_waitcnt lgkmcnt(0)
	v_pk_mul_f32 v[4:5], v[12:13], v[4:5] op_sel_hi:[1,0]
	v_pk_add_f32 v[2:3], v[2:3], v[8:9]
	v_pk_fma_f32 v[8:9], v[12:13], v[174:175], v[4:5] op_sel:[0,0,1] op_sel_hi:[1,1,0] neg_lo:[0,0,1] neg_hi:[0,0,1]
	v_pk_fma_f32 v[4:5], v[12:13], v[174:175], v[4:5] op_sel:[0,0,1] op_sel_hi:[1,0,0]
	v_mov_b32_e32 v9, v5
	v_pk_add_f32 v[2:3], v[2:3], v[8:9]
	v_pk_add_f32 v[2:3], v[6:7], v[2:3] neg_lo:[0,1] neg_hi:[0,1]
	buffer_store_dword v3, off, s[0:3], 0 offset:44
	buffer_store_dword v2, off, s[0:3], 0 offset:40
	s_and_saveexec_b64 s[4:5], vcc
	s_cbranch_execz .LBB42_263
; %bb.262:
	buffer_load_dword v2, off, s[0:3], 0 offset:32
	buffer_load_dword v3, off, s[0:3], 0 offset:36
	s_waitcnt vmcnt(0)
	ds_write_b64 v1, v[2:3]
	buffer_store_dword v16, off, s[0:3], 0 offset:32
	buffer_store_dword v16, off, s[0:3], 0 offset:36
.LBB42_263:
	s_or_b64 exec, exec, s[4:5]
	s_waitcnt lgkmcnt(0)
	; wave barrier
	s_waitcnt lgkmcnt(0)
	buffer_load_dword v17, off, s[0:3], 0 offset:44
	buffer_load_dword v158, off, s[0:3], 0 offset:52
	;; [unrolled: 1-line block ×32, first 2 shown]
	ds_read2_b64 v[18:21], v16 offset0:49 offset1:50
	ds_read2_b64 v[6:9], v16 offset0:51 offset1:52
	buffer_load_dword v204, off, s[0:3], 0 offset:160
	buffer_load_dword v205, off, s[0:3], 0 offset:164
	ds_read2_b64 v[10:13], v16 offset0:53 offset1:54
	ds_read2_b64 v[2:5], v16 offset0:55 offset1:56
	buffer_load_dword v206, off, s[0:3], 0 offset:168
	buffer_load_dword v207, off, s[0:3], 0 offset:172
	;; [unrolled: 1-line block ×28, first 2 shown]
	v_cmp_lt_u32_e32 vcc, 3, v0
	s_waitcnt vmcnt(61) lgkmcnt(3)
	v_mul_f32_e32 v22, v18, v17
	s_waitcnt vmcnt(60)
	v_mul_f32_e32 v23, v20, v158
	s_waitcnt vmcnt(59) lgkmcnt(2)
	v_mul_f32_e32 v24, v6, v160
	s_waitcnt vmcnt(58)
	v_mul_f32_e32 v25, v8, v162
	;; [unrolled: 4-line block ×3, first 2 shown]
	s_waitcnt vmcnt(55) lgkmcnt(0)
	v_mul_f32_e32 v28, v2, v180
	s_waitcnt vmcnt(54)
	v_fmac_f32_e32 v22, v19, v181
	s_waitcnt vmcnt(53)
	v_fmac_f32_e32 v23, v21, v182
	v_add_f32_e32 v22, 0, v22
	s_waitcnt vmcnt(52)
	v_fmac_f32_e32 v24, v7, v183
	v_add_f32_e32 v22, v22, v23
	;; [unrolled: 3-line block ×6, first 2 shown]
	v_add_f32_e32 v26, v22, v28
	ds_read2_b64 v[22:25], v16 offset0:57 offset1:58
	s_waitcnt vmcnt(47)
	v_mul_f32_e32 v27, v4, v188
	s_waitcnt vmcnt(46)
	v_fmac_f32_e32 v27, v5, v189
	v_add_f32_e32 v30, v26, v27
	ds_read2_b64 v[26:29], v16 offset0:59 offset1:60
	s_waitcnt vmcnt(45) lgkmcnt(1)
	v_mul_f32_e32 v31, v22, v190
	s_waitcnt vmcnt(44)
	v_fmac_f32_e32 v31, v23, v191
	v_add_f32_e32 v30, v30, v31
	s_waitcnt vmcnt(43)
	v_mul_f32_e32 v31, v24, v192
	s_waitcnt vmcnt(42)
	v_fmac_f32_e32 v31, v25, v193
	v_add_f32_e32 v30, v30, v31
	s_waitcnt vmcnt(41) lgkmcnt(0)
	v_mul_f32_e32 v31, v26, v194
	s_waitcnt vmcnt(40)
	v_fmac_f32_e32 v31, v27, v195
	v_add_f32_e32 v34, v30, v31
	ds_read2_b64 v[30:33], v16 offset0:61 offset1:62
	s_waitcnt vmcnt(39)
	v_mul_f32_e32 v35, v28, v196
	s_waitcnt vmcnt(38)
	v_fmac_f32_e32 v35, v29, v197
	v_add_f32_e32 v38, v34, v35
	ds_read2_b64 v[34:37], v16 offset0:63 offset1:64
	s_waitcnt vmcnt(35) lgkmcnt(1)
	v_mul_f32_e32 v39, v30, v198
	s_waitcnt vmcnt(34)
	v_fmac_f32_e32 v39, v31, v199
	v_add_f32_e32 v38, v38, v39
	s_waitcnt vmcnt(32)
	v_mul_f32_e32 v39, v32, v201
	v_fmac_f32_e32 v39, v33, v200
	v_add_f32_e32 v38, v38, v39
	s_waitcnt vmcnt(30) lgkmcnt(0)
	v_mul_f32_e32 v39, v34, v203
	v_fmac_f32_e32 v39, v35, v202
	v_add_f32_e32 v42, v38, v39
	ds_read2_b64 v[38:41], v16 offset0:65 offset1:66
	s_waitcnt vmcnt(28)
	v_mul_f32_e32 v43, v36, v205
	v_fmac_f32_e32 v43, v37, v204
	v_add_f32_e32 v46, v42, v43
	ds_read2_b64 v[42:45], v16 offset0:67 offset1:68
	s_waitcnt vmcnt(26) lgkmcnt(1)
	v_mul_f32_e32 v47, v38, v207
	v_fmac_f32_e32 v47, v39, v206
	v_add_f32_e32 v46, v46, v47
	s_waitcnt vmcnt(24)
	v_mul_f32_e32 v47, v40, v209
	v_fmac_f32_e32 v47, v41, v208
	v_add_f32_e32 v46, v46, v47
	s_waitcnt vmcnt(22) lgkmcnt(0)
	v_mul_f32_e32 v47, v42, v211
	v_fmac_f32_e32 v47, v43, v210
	v_add_f32_e32 v50, v46, v47
	ds_read2_b64 v[46:49], v16 offset0:69 offset1:70
	s_waitcnt vmcnt(20)
	v_mul_f32_e32 v51, v44, v213
	v_fmac_f32_e32 v51, v45, v212
	v_add_f32_e32 v54, v50, v51
	ds_read2_b64 v[50:53], v16 offset0:71 offset1:72
	s_waitcnt vmcnt(18) lgkmcnt(1)
	v_mul_f32_e32 v55, v46, v215
	v_fmac_f32_e32 v55, v47, v214
	v_add_f32_e32 v54, v54, v55
	s_waitcnt vmcnt(16)
	v_mul_f32_e32 v55, v48, v217
	v_fmac_f32_e32 v55, v49, v216
	v_add_f32_e32 v54, v54, v55
	s_waitcnt vmcnt(14) lgkmcnt(0)
	v_mul_f32_e32 v55, v50, v219
	v_fmac_f32_e32 v55, v51, v218
	v_add_f32_e32 v58, v54, v55
	ds_read2_b64 v[54:57], v16 offset0:73 offset1:74
	s_waitcnt vmcnt(12)
	v_mul_f32_e32 v59, v52, v221
	v_fmac_f32_e32 v59, v53, v220
	v_add_f32_e32 v62, v58, v59
	ds_read2_b64 v[58:61], v16 offset0:75 offset1:76
	buffer_load_dword v157, off, s[0:3], 0 offset:284
	buffer_load_dword v156, off, s[0:3], 0 offset:280
	s_waitcnt vmcnt(12) lgkmcnt(1)
	v_mul_f32_e32 v63, v54, v223
	v_fmac_f32_e32 v63, v55, v222
	v_add_f32_e32 v62, v62, v63
	s_waitcnt vmcnt(10)
	v_mul_f32_e32 v63, v56, v225
	v_fmac_f32_e32 v63, v57, v224
	v_add_f32_e32 v62, v62, v63
	s_waitcnt vmcnt(8) lgkmcnt(0)
	v_mul_f32_e32 v63, v58, v227
	v_fmac_f32_e32 v63, v59, v226
	s_waitcnt vmcnt(6)
	v_mul_f32_e32 v153, v60, v229
	v_add_f32_e32 v152, v62, v63
	v_fmac_f32_e32 v153, v61, v228
	ds_read2_b64 v[62:65], v16 offset0:77 offset1:78
	v_add_f32_e32 v159, v152, v153
	ds_read2_b64 v[152:155], v16 offset0:79 offset1:80
	buffer_load_dword v165, off, s[0:3], 0 offset:316
	buffer_load_dword v164, off, s[0:3], 0 offset:312
	;; [unrolled: 1-line block ×14, first 2 shown]
	v_mul_f32_e32 v17, v19, v17
	v_fma_f32 v17, v18, v181, -v17
	v_mul_f32_e32 v18, v21, v158
	v_add_f32_e32 v17, 0, v17
	v_fma_f32 v18, v20, v182, -v18
	v_mul_f32_e32 v7, v7, v160
	v_add_f32_e32 v17, v17, v18
	;; [unrolled: 3-line block ×3, first 2 shown]
	v_fma_f32 v7, v8, v184, -v7
	v_add_f32_e32 v6, v6, v7
	v_mul_f32_e32 v7, v11, v178
	v_fma_f32 v7, v10, v185, -v7
	v_add_f32_e32 v6, v6, v7
	v_mul_f32_e32 v7, v13, v179
	v_fma_f32 v7, v12, v186, -v7
	v_mul_f32_e32 v3, v3, v180
	v_add_f32_e32 v6, v6, v7
	v_fma_f32 v2, v2, v187, -v3
	v_mul_f32_e32 v3, v5, v188
	v_add_f32_e32 v2, v6, v2
	v_fma_f32 v3, v4, v189, -v3
	v_add_f32_e32 v2, v2, v3
	v_mul_f32_e32 v3, v23, v190
	v_fma_f32 v3, v22, v191, -v3
	v_add_f32_e32 v2, v2, v3
	v_mul_f32_e32 v3, v25, v192
	;; [unrolled: 3-line block ×20, first 2 shown]
	v_fma_f32 v3, v60, v228, -v3
	s_waitcnt vmcnt(15)
	v_mov_b32_e32 v18, v157
	s_waitcnt lgkmcnt(1)
	v_mul_f32_e32 v161, v62, v231
	v_add_f32_e32 v158, v2, v3
	v_mul_f32_e32 v2, v63, v231
	s_waitcnt lgkmcnt(0)
	v_pk_mul_f32 v[18:19], v[152:153], v[18:19] op_sel_hi:[1,0]
	v_fmac_f32_e32 v161, v63, v230
	v_mul_f32_e32 v163, v64, v233
	v_fma_f32 v160, v62, v230, -v2
	v_mul_f32_e32 v2, v65, v233
	s_waitcnt vmcnt(14)
	v_pk_fma_f32 v[20:21], v[152:153], v[156:157], v[18:19] op_sel:[0,0,1] op_sel_hi:[1,1,0] neg_lo:[0,0,1] neg_hi:[0,0,1]
	v_pk_fma_f32 v[18:19], v[152:153], v[156:157], v[18:19] op_sel:[0,0,1] op_sel_hi:[1,0,0]
	v_fmac_f32_e32 v163, v65, v232
	v_fma_f32 v162, v64, v232, -v2
	ds_read2_b64 v[2:5], v16 offset0:81 offset1:82
	ds_read2_b64 v[6:9], v16 offset0:83 offset1:84
	;; [unrolled: 1-line block ×3, first 2 shown]
	v_pk_add_f32 v[16:17], v[158:159], v[160:161]
	s_waitcnt vmcnt(7)
	v_mov_b32_e32 v18, v171
	v_pk_add_f32 v[16:17], v[16:17], v[162:163]
	v_mov_b32_e32 v21, v19
	v_pk_mul_f32 v[18:19], v[154:155], v[18:19] op_sel_hi:[1,0]
	v_pk_add_f32 v[16:17], v[16:17], v[20:21]
	s_waitcnt vmcnt(6)
	v_pk_fma_f32 v[20:21], v[154:155], v[170:171], v[18:19] op_sel:[0,0,1] op_sel_hi:[1,1,0] neg_lo:[0,0,1] neg_hi:[0,0,1]
	v_pk_fma_f32 v[18:19], v[154:155], v[170:171], v[18:19] op_sel:[0,0,1] op_sel_hi:[1,0,0]
	v_mov_b32_e32 v18, v169
	v_mov_b32_e32 v21, v19
	s_waitcnt lgkmcnt(2)
	v_pk_mul_f32 v[18:19], v[2:3], v[18:19] op_sel_hi:[1,0]
	v_pk_add_f32 v[16:17], v[16:17], v[20:21]
	v_pk_fma_f32 v[20:21], v[2:3], v[168:169], v[18:19] op_sel:[0,0,1] op_sel_hi:[1,1,0] neg_lo:[0,0,1] neg_hi:[0,0,1]
	v_pk_fma_f32 v[2:3], v[2:3], v[168:169], v[18:19] op_sel:[0,0,1] op_sel_hi:[1,0,0]
	v_mov_b32_e32 v21, v3
	v_pk_add_f32 v[2:3], v[16:17], v[20:21]
	v_mov_b32_e32 v16, v167
	v_pk_mul_f32 v[16:17], v[4:5], v[16:17] op_sel_hi:[1,0]
	v_pk_fma_f32 v[18:19], v[4:5], v[166:167], v[16:17] op_sel:[0,0,1] op_sel_hi:[1,1,0] neg_lo:[0,0,1] neg_hi:[0,0,1]
	v_pk_fma_f32 v[4:5], v[4:5], v[166:167], v[16:17] op_sel:[0,0,1] op_sel_hi:[1,0,0]
	v_mov_b32_e32 v4, v165
	v_mov_b32_e32 v19, v5
	s_waitcnt lgkmcnt(1)
	v_pk_mul_f32 v[4:5], v[6:7], v[4:5] op_sel_hi:[1,0]
	v_pk_fma_f32 v[16:17], v[6:7], v[164:165], v[4:5] op_sel:[0,0,1] op_sel_hi:[1,1,0] neg_lo:[0,0,1] neg_hi:[0,0,1]
	v_pk_fma_f32 v[4:5], v[6:7], v[164:165], v[4:5] op_sel:[0,0,1] op_sel_hi:[1,0,0]
	s_waitcnt vmcnt(1)
	v_mov_b32_e32 v4, v177
	v_mov_b32_e32 v17, v5
	v_pk_mul_f32 v[4:5], v[8:9], v[4:5] op_sel_hi:[1,0]
	s_waitcnt vmcnt(0)
	v_pk_fma_f32 v[6:7], v[8:9], v[176:177], v[4:5] op_sel:[0,0,1] op_sel_hi:[1,1,0] neg_lo:[0,0,1] neg_hi:[0,0,1]
	v_pk_fma_f32 v[4:5], v[8:9], v[176:177], v[4:5] op_sel:[0,0,1] op_sel_hi:[1,0,0]
	v_pk_add_f32 v[2:3], v[2:3], v[18:19]
	v_mov_b32_e32 v4, v175
	v_pk_add_f32 v[2:3], v[2:3], v[16:17]
	v_mov_b32_e32 v7, v5
	s_waitcnt lgkmcnt(0)
	v_pk_mul_f32 v[4:5], v[10:11], v[4:5] op_sel_hi:[1,0]
	v_pk_add_f32 v[2:3], v[2:3], v[6:7]
	v_pk_fma_f32 v[6:7], v[10:11], v[174:175], v[4:5] op_sel:[0,0,1] op_sel_hi:[1,1,0] neg_lo:[0,0,1] neg_hi:[0,0,1]
	v_pk_fma_f32 v[4:5], v[10:11], v[174:175], v[4:5] op_sel:[0,0,1] op_sel_hi:[1,0,0]
	v_mov_b32_e32 v4, v173
	v_mov_b32_e32 v7, v5
	v_pk_mul_f32 v[4:5], v[12:13], v[4:5] op_sel_hi:[1,0]
	v_pk_add_f32 v[2:3], v[2:3], v[6:7]
	v_pk_fma_f32 v[6:7], v[12:13], v[172:173], v[4:5] op_sel:[0,0,1] op_sel_hi:[1,1,0] neg_lo:[0,0,1] neg_hi:[0,0,1]
	v_pk_fma_f32 v[4:5], v[12:13], v[172:173], v[4:5] op_sel:[0,0,1] op_sel_hi:[1,0,0]
	v_mov_b32_e32 v7, v5
	v_pk_add_f32 v[2:3], v[2:3], v[6:7]
	v_pk_add_f32 v[2:3], v[14:15], v[2:3] neg_lo:[0,1] neg_hi:[0,1]
	buffer_store_dword v3, off, s[0:3], 0 offset:36
	buffer_store_dword v2, off, s[0:3], 0 offset:32
	s_and_saveexec_b64 s[4:5], vcc
	s_cbranch_execz .LBB42_265
; %bb.264:
	buffer_load_dword v2, off, s[0:3], 0 offset:24
	buffer_load_dword v3, off, s[0:3], 0 offset:28
	v_mov_b32_e32 v4, 0
	buffer_store_dword v4, off, s[0:3], 0 offset:24
	buffer_store_dword v4, off, s[0:3], 0 offset:28
	s_waitcnt vmcnt(2)
	ds_write_b64 v1, v[2:3]
.LBB42_265:
	s_or_b64 exec, exec, s[4:5]
	s_waitcnt lgkmcnt(0)
	; wave barrier
	s_waitcnt lgkmcnt(0)
	buffer_load_dword v21, off, s[0:3], 0 offset:36
	buffer_load_dword v156, off, s[0:3], 0 offset:44
	;; [unrolled: 1-line block ×48, first 2 shown]
	v_mov_b32_e32 v20, 0
	ds_read_b128 v[4:7], v20 offset:384
	buffer_load_dword v220, off, s[0:3], 0 offset:216
	buffer_load_dword v221, off, s[0:3], 0 offset:220
	buffer_load_dword v222, off, s[0:3], 0 offset:224
	buffer_load_dword v223, off, s[0:3], 0 offset:228
	buffer_load_dword v224, off, s[0:3], 0 offset:232
	buffer_load_dword v225, off, s[0:3], 0 offset:236
	buffer_load_dword v226, off, s[0:3], 0 offset:240
	buffer_load_dword v227, off, s[0:3], 0 offset:244
	ds_read_b128 v[8:11], v20 offset:400
	ds_read_b128 v[12:15], v20 offset:416
	;; [unrolled: 1-line block ×3, first 2 shown]
	buffer_load_dword v228, off, s[0:3], 0 offset:248
	buffer_load_dword v229, off, s[0:3], 0 offset:252
	;; [unrolled: 1-line block ×8, first 2 shown]
	v_cmp_lt_u32_e32 vcc, 2, v0
	s_waitcnt vmcnt(62) lgkmcnt(3)
	v_mul_f32_e32 v22, v4, v21
	v_mul_f32_e32 v23, v6, v156
	s_waitcnt vmcnt(61) lgkmcnt(2)
	v_mul_f32_e32 v24, v8, v158
	s_waitcnt vmcnt(60)
	v_mul_f32_e32 v25, v10, v160
	s_waitcnt vmcnt(59) lgkmcnt(1)
	v_mul_f32_e32 v26, v12, v178
	s_waitcnt vmcnt(58)
	;; [unrolled: 4-line block ×3, first 2 shown]
	v_fmac_f32_e32 v22, v5, v181
	s_waitcnt vmcnt(55)
	v_fmac_f32_e32 v23, v7, v182
	v_add_f32_e32 v22, 0, v22
	s_waitcnt vmcnt(54)
	v_fmac_f32_e32 v24, v9, v183
	v_add_f32_e32 v22, v22, v23
	;; [unrolled: 3-line block ×6, first 2 shown]
	v_add_f32_e32 v26, v22, v28
	ds_read_b128 v[22:25], v20 offset:448
	s_waitcnt vmcnt(49)
	v_mul_f32_e32 v27, v18, v188
	s_waitcnt vmcnt(48)
	v_fmac_f32_e32 v27, v19, v189
	v_add_f32_e32 v30, v26, v27
	ds_read_b128 v[26:29], v20 offset:464
	s_waitcnt vmcnt(47) lgkmcnt(1)
	v_mul_f32_e32 v31, v22, v190
	s_waitcnt vmcnt(46)
	v_fmac_f32_e32 v31, v23, v191
	v_add_f32_e32 v30, v30, v31
	s_waitcnt vmcnt(45)
	v_mul_f32_e32 v31, v24, v192
	s_waitcnt vmcnt(44)
	v_fmac_f32_e32 v31, v25, v193
	v_add_f32_e32 v30, v30, v31
	s_waitcnt vmcnt(42) lgkmcnt(0)
	v_mul_f32_e32 v31, v26, v195
	v_fmac_f32_e32 v31, v27, v194
	v_add_f32_e32 v34, v30, v31
	ds_read_b128 v[30:33], v20 offset:480
	s_waitcnt vmcnt(38)
	v_mul_f32_e32 v35, v28, v197
	v_fmac_f32_e32 v35, v29, v196
	v_add_f32_e32 v38, v34, v35
	ds_read_b128 v[34:37], v20 offset:496
	s_waitcnt vmcnt(36) lgkmcnt(1)
	v_mul_f32_e32 v39, v30, v199
	v_fmac_f32_e32 v39, v31, v198
	v_add_f32_e32 v38, v38, v39
	s_waitcnt vmcnt(34)
	v_mul_f32_e32 v39, v32, v201
	v_fmac_f32_e32 v39, v33, v200
	v_add_f32_e32 v38, v38, v39
	s_waitcnt vmcnt(32) lgkmcnt(0)
	v_mul_f32_e32 v39, v34, v203
	v_fmac_f32_e32 v39, v35, v202
	v_add_f32_e32 v42, v38, v39
	ds_read_b128 v[38:41], v20 offset:512
	s_waitcnt vmcnt(30)
	v_mul_f32_e32 v43, v36, v205
	v_fmac_f32_e32 v43, v37, v204
	v_add_f32_e32 v46, v42, v43
	ds_read_b128 v[42:45], v20 offset:528
	s_waitcnt vmcnt(28) lgkmcnt(1)
	v_mul_f32_e32 v47, v38, v207
	v_fmac_f32_e32 v47, v39, v206
	v_add_f32_e32 v46, v46, v47
	s_waitcnt vmcnt(26)
	v_mul_f32_e32 v47, v40, v209
	;; [unrolled: 18-line block ×4, first 2 shown]
	v_fmac_f32_e32 v63, v57, v224
	v_add_f32_e32 v62, v62, v63
	s_waitcnt vmcnt(8) lgkmcnt(0)
	v_mul_f32_e32 v63, v58, v227
	v_fmac_f32_e32 v63, v59, v226
	s_waitcnt vmcnt(6)
	v_mul_f32_e32 v153, v60, v229
	v_add_f32_e32 v152, v62, v63
	v_fmac_f32_e32 v153, v61, v228
	ds_read_b128 v[62:65], v20 offset:608
	v_add_f32_e32 v157, v152, v153
	ds_read_b128 v[152:155], v20 offset:624
	buffer_load_dword v163, off, s[0:3], 0 offset:308
	buffer_load_dword v162, off, s[0:3], 0 offset:304
	;; [unrolled: 1-line block ×16, first 2 shown]
	v_mul_f32_e32 v5, v5, v21
	v_fma_f32 v4, v4, v181, -v5
	v_mul_f32_e32 v5, v7, v156
	v_add_f32_e32 v4, 0, v4
	v_fma_f32 v5, v6, v182, -v5
	v_add_f32_e32 v4, v4, v5
	v_mul_f32_e32 v5, v9, v158
	v_fma_f32 v5, v8, v183, -v5
	v_add_f32_e32 v4, v4, v5
	v_mul_f32_e32 v5, v11, v160
	;; [unrolled: 3-line block ×26, first 2 shown]
	v_fma_f32 v5, v60, v228, -v5
	v_add_f32_e32 v4, v4, v5
	s_waitcnt vmcnt(20) lgkmcnt(1)
	v_mul_f32_e32 v5, v63, v231
	v_mul_f32_e32 v159, v62, v231
	v_fma_f32 v5, v62, v230, -v5
	v_fmac_f32_e32 v159, v63, v230
	v_add_f32_e32 v156, v4, v5
	s_waitcnt vmcnt(18)
	v_mul_f32_e32 v4, v65, v233
	s_waitcnt vmcnt(9)
	v_mov_b32_e32 v22, v169
	v_add_f32_e32 v157, v157, v159
	v_mul_f32_e32 v159, v64, v233
	v_fma_f32 v158, v64, v232, -v4
	s_waitcnt lgkmcnt(0)
	v_mul_f32_e32 v4, v153, v235
	v_pk_mul_f32 v[22:23], v[154:155], v[22:23] op_sel_hi:[1,0]
	v_fmac_f32_e32 v159, v65, v232
	v_mul_f32_e32 v161, v152, v235
	v_fma_f32 v160, v152, v234, -v4
	ds_read_b128 v[4:7], v20 offset:640
	ds_read_b128 v[8:11], v20 offset:656
	ds_read_b128 v[12:15], v20 offset:672
	ds_read_b64 v[16:17], v20 offset:688
	s_waitcnt vmcnt(8)
	v_pk_fma_f32 v[24:25], v[154:155], v[168:169], v[22:23] op_sel:[0,0,1] op_sel_hi:[1,1,0] neg_lo:[0,0,1] neg_hi:[0,0,1]
	v_pk_fma_f32 v[22:23], v[154:155], v[168:169], v[22:23] op_sel:[0,0,1] op_sel_hi:[1,0,0]
	v_fmac_f32_e32 v161, v153, v234
	v_pk_add_f32 v[18:19], v[156:157], v[158:159]
	v_mov_b32_e32 v22, v167
	v_pk_add_f32 v[18:19], v[18:19], v[160:161]
	v_mov_b32_e32 v25, v23
	s_waitcnt lgkmcnt(3)
	v_pk_mul_f32 v[22:23], v[4:5], v[22:23] op_sel_hi:[1,0]
	v_pk_add_f32 v[18:19], v[18:19], v[24:25]
	v_pk_fma_f32 v[24:25], v[4:5], v[166:167], v[22:23] op_sel:[0,0,1] op_sel_hi:[1,1,0] neg_lo:[0,0,1] neg_hi:[0,0,1]
	v_pk_fma_f32 v[4:5], v[4:5], v[166:167], v[22:23] op_sel:[0,0,1] op_sel_hi:[1,0,0]
	v_mov_b32_e32 v25, v5
	v_pk_add_f32 v[4:5], v[18:19], v[24:25]
	v_mov_b32_e32 v18, v165
	v_pk_mul_f32 v[18:19], v[6:7], v[18:19] op_sel_hi:[1,0]
	v_pk_fma_f32 v[22:23], v[6:7], v[164:165], v[18:19] op_sel:[0,0,1] op_sel_hi:[1,1,0] neg_lo:[0,0,1] neg_hi:[0,0,1]
	v_pk_fma_f32 v[6:7], v[6:7], v[164:165], v[18:19] op_sel:[0,0,1] op_sel_hi:[1,0,0]
	v_mov_b32_e32 v6, v163
	v_mov_b32_e32 v23, v7
	s_waitcnt lgkmcnt(2)
	v_pk_mul_f32 v[6:7], v[8:9], v[6:7] op_sel_hi:[1,0]
	v_pk_fma_f32 v[18:19], v[8:9], v[162:163], v[6:7] op_sel:[0,0,1] op_sel_hi:[1,1,0] neg_lo:[0,0,1] neg_hi:[0,0,1]
	v_pk_fma_f32 v[6:7], v[8:9], v[162:163], v[6:7] op_sel:[0,0,1] op_sel_hi:[1,0,0]
	s_waitcnt vmcnt(1)
	v_mov_b32_e32 v6, v177
	v_mov_b32_e32 v19, v7
	v_pk_mul_f32 v[6:7], v[10:11], v[6:7] op_sel_hi:[1,0]
	s_waitcnt vmcnt(0)
	v_pk_fma_f32 v[8:9], v[10:11], v[176:177], v[6:7] op_sel:[0,0,1] op_sel_hi:[1,1,0] neg_lo:[0,0,1] neg_hi:[0,0,1]
	v_pk_fma_f32 v[6:7], v[10:11], v[176:177], v[6:7] op_sel:[0,0,1] op_sel_hi:[1,0,0]
	v_pk_add_f32 v[4:5], v[4:5], v[22:23]
	v_mov_b32_e32 v6, v175
	v_pk_add_f32 v[4:5], v[4:5], v[18:19]
	v_mov_b32_e32 v9, v7
	s_waitcnt lgkmcnt(1)
	v_pk_mul_f32 v[6:7], v[12:13], v[6:7] op_sel_hi:[1,0]
	v_pk_add_f32 v[4:5], v[4:5], v[8:9]
	v_pk_fma_f32 v[8:9], v[12:13], v[174:175], v[6:7] op_sel:[0,0,1] op_sel_hi:[1,1,0] neg_lo:[0,0,1] neg_hi:[0,0,1]
	v_pk_fma_f32 v[6:7], v[12:13], v[174:175], v[6:7] op_sel:[0,0,1] op_sel_hi:[1,0,0]
	v_mov_b32_e32 v6, v173
	v_mov_b32_e32 v9, v7
	v_pk_mul_f32 v[6:7], v[14:15], v[6:7] op_sel_hi:[1,0]
	v_pk_add_f32 v[4:5], v[4:5], v[8:9]
	v_pk_fma_f32 v[8:9], v[14:15], v[172:173], v[6:7] op_sel:[0,0,1] op_sel_hi:[1,1,0] neg_lo:[0,0,1] neg_hi:[0,0,1]
	v_pk_fma_f32 v[6:7], v[14:15], v[172:173], v[6:7] op_sel:[0,0,1] op_sel_hi:[1,0,0]
	v_mov_b32_e32 v6, v171
	v_mov_b32_e32 v9, v7
	s_waitcnt lgkmcnt(0)
	v_pk_mul_f32 v[6:7], v[16:17], v[6:7] op_sel_hi:[1,0]
	v_pk_add_f32 v[4:5], v[4:5], v[8:9]
	v_pk_fma_f32 v[8:9], v[16:17], v[170:171], v[6:7] op_sel:[0,0,1] op_sel_hi:[1,1,0] neg_lo:[0,0,1] neg_hi:[0,0,1]
	v_pk_fma_f32 v[6:7], v[16:17], v[170:171], v[6:7] op_sel:[0,0,1] op_sel_hi:[1,0,0]
	v_mov_b32_e32 v9, v7
	v_pk_add_f32 v[4:5], v[4:5], v[8:9]
	v_pk_add_f32 v[2:3], v[2:3], v[4:5] neg_lo:[0,1] neg_hi:[0,1]
	buffer_store_dword v3, off, s[0:3], 0 offset:28
	buffer_store_dword v2, off, s[0:3], 0 offset:24
	s_and_saveexec_b64 s[4:5], vcc
	s_cbranch_execz .LBB42_267
; %bb.266:
	buffer_load_dword v2, off, s[0:3], 0 offset:16
	buffer_load_dword v3, off, s[0:3], 0 offset:20
	s_waitcnt vmcnt(0)
	ds_write_b64 v1, v[2:3]
	buffer_store_dword v20, off, s[0:3], 0 offset:16
	buffer_store_dword v20, off, s[0:3], 0 offset:20
.LBB42_267:
	s_or_b64 exec, exec, s[4:5]
	s_waitcnt lgkmcnt(0)
	; wave barrier
	s_waitcnt lgkmcnt(0)
	buffer_load_dword v21, off, s[0:3], 0 offset:28
	buffer_load_dword v156, off, s[0:3], 0 offset:36
	;; [unrolled: 1-line block ×26, first 2 shown]
	ds_read2_b64 v[14:17], v20 offset0:47 offset1:48
	ds_read2_b64 v[6:9], v20 offset0:49 offset1:50
	buffer_load_dword v198, off, s[0:3], 0 offset:120
	buffer_load_dword v199, off, s[0:3], 0 offset:124
	ds_read2_b64 v[10:13], v20 offset0:51 offset1:52
	ds_read2_b64 v[2:5], v20 offset0:53 offset1:54
	buffer_load_dword v200, off, s[0:3], 0 offset:128
	buffer_load_dword v201, off, s[0:3], 0 offset:132
	;; [unrolled: 1-line block ×32, first 2 shown]
	v_cmp_lt_u32_e32 vcc, 1, v0
	s_waitcnt vmcnt(59) lgkmcnt(3)
	v_mul_f32_e32 v22, v14, v21
	s_waitcnt vmcnt(58)
	v_mul_f32_e32 v23, v16, v156
	s_waitcnt vmcnt(57) lgkmcnt(2)
	v_mul_f32_e32 v24, v6, v158
	s_waitcnt vmcnt(56)
	v_mul_f32_e32 v25, v8, v166
	s_waitcnt vmcnt(55) lgkmcnt(1)
	v_mul_f32_e32 v26, v10, v178
	s_waitcnt vmcnt(54)
	v_mul_f32_e32 v27, v12, v179
	s_waitcnt vmcnt(53) lgkmcnt(0)
	v_mul_f32_e32 v28, v2, v180
	s_waitcnt vmcnt(52)
	v_mul_f32_e32 v29, v4, v181
	s_waitcnt vmcnt(51)
	v_fmac_f32_e32 v22, v15, v182
	s_waitcnt vmcnt(50)
	v_fmac_f32_e32 v23, v17, v183
	v_add_f32_e32 v22, 0, v22
	s_waitcnt vmcnt(49)
	v_fmac_f32_e32 v24, v7, v184
	v_add_f32_e32 v22, v22, v23
	;; [unrolled: 3-line block ×6, first 2 shown]
	v_add_f32_e32 v26, v22, v28
	ds_read2_b64 v[22:25], v20 offset0:55 offset1:56
	s_waitcnt vmcnt(44)
	v_fmac_f32_e32 v29, v5, v189
	buffer_load_dword v232, off, s[0:3], 0 offset:256
	buffer_load_dword v233, off, s[0:3], 0 offset:260
	v_add_f32_e32 v30, v26, v29
	buffer_load_dword v234, off, s[0:3], 0 offset:264
	buffer_load_dword v235, off, s[0:3], 0 offset:268
	ds_read2_b64 v[26:29], v20 offset0:57 offset1:58
	s_waitcnt vmcnt(47) lgkmcnt(1)
	v_mul_f32_e32 v31, v22, v190
	s_waitcnt vmcnt(46)
	v_fmac_f32_e32 v31, v23, v191
	v_add_f32_e32 v30, v30, v31
	s_waitcnt vmcnt(45)
	v_mul_f32_e32 v31, v24, v192
	s_waitcnt vmcnt(44)
	v_fmac_f32_e32 v31, v25, v193
	v_add_f32_e32 v30, v30, v31
	s_waitcnt vmcnt(41) lgkmcnt(0)
	v_mul_f32_e32 v31, v26, v194
	s_waitcnt vmcnt(40)
	v_fmac_f32_e32 v31, v27, v195
	buffer_load_dword v236, off, s[0:3], 0 offset:272
	buffer_load_dword v237, off, s[0:3], 0 offset:276
	v_add_f32_e32 v34, v30, v31
	ds_read2_b64 v[30:33], v20 offset0:59 offset1:60
	s_waitcnt vmcnt(40)
	v_mul_f32_e32 v35, v28, v197
	v_fmac_f32_e32 v35, v29, v196
	v_add_f32_e32 v38, v34, v35
	ds_read2_b64 v[34:37], v20 offset0:61 offset1:62
	s_waitcnt vmcnt(38) lgkmcnt(1)
	v_mul_f32_e32 v39, v30, v199
	v_fmac_f32_e32 v39, v31, v198
	v_add_f32_e32 v38, v38, v39
	s_waitcnt vmcnt(36)
	v_mul_f32_e32 v39, v32, v201
	v_fmac_f32_e32 v39, v33, v200
	v_add_f32_e32 v38, v38, v39
	s_waitcnt vmcnt(34) lgkmcnt(0)
	v_mul_f32_e32 v39, v34, v203
	v_fmac_f32_e32 v39, v35, v202
	v_add_f32_e32 v42, v38, v39
	ds_read2_b64 v[38:41], v20 offset0:63 offset1:64
	s_waitcnt vmcnt(32)
	v_mul_f32_e32 v43, v36, v205
	v_fmac_f32_e32 v43, v37, v204
	v_add_f32_e32 v46, v42, v43
	ds_read2_b64 v[42:45], v20 offset0:65 offset1:66
	s_waitcnt vmcnt(30) lgkmcnt(1)
	v_mul_f32_e32 v47, v38, v207
	v_fmac_f32_e32 v47, v39, v206
	v_add_f32_e32 v46, v46, v47
	s_waitcnt vmcnt(28)
	v_mul_f32_e32 v47, v40, v209
	v_fmac_f32_e32 v47, v41, v208
	v_add_f32_e32 v46, v46, v47
	s_waitcnt vmcnt(26) lgkmcnt(0)
	v_mul_f32_e32 v47, v42, v211
	v_fmac_f32_e32 v47, v43, v210
	;; [unrolled: 18-line block ×4, first 2 shown]
	s_waitcnt vmcnt(8)
	v_mul_f32_e32 v153, v60, v229
	v_add_f32_e32 v152, v62, v63
	v_fmac_f32_e32 v153, v61, v228
	ds_read2_b64 v[62:65], v20 offset0:75 offset1:76
	v_add_f32_e32 v157, v152, v153
	ds_read2_b64 v[152:155], v20 offset0:77 offset1:78
	buffer_load_dword v161, off, s[0:3], 0 offset:300
	buffer_load_dword v160, off, s[0:3], 0 offset:296
	;; [unrolled: 1-line block ×16, first 2 shown]
	v_mul_f32_e32 v15, v15, v21
	v_fma_f32 v14, v14, v182, -v15
	v_mul_f32_e32 v15, v17, v156
	v_add_f32_e32 v14, 0, v14
	v_fma_f32 v15, v16, v183, -v15
	v_mul_f32_e32 v7, v7, v158
	v_add_f32_e32 v14, v14, v15
	;; [unrolled: 3-line block ×3, first 2 shown]
	v_fma_f32 v7, v8, v185, -v7
	v_add_f32_e32 v6, v6, v7
	v_mul_f32_e32 v7, v11, v178
	v_fma_f32 v7, v10, v186, -v7
	v_add_f32_e32 v6, v6, v7
	v_mul_f32_e32 v7, v13, v179
	v_fma_f32 v7, v12, v187, -v7
	v_mul_f32_e32 v3, v3, v180
	v_add_f32_e32 v6, v6, v7
	v_fma_f32 v2, v2, v188, -v3
	v_mul_f32_e32 v3, v5, v181
	v_add_f32_e32 v2, v6, v2
	v_fma_f32 v3, v4, v189, -v3
	v_add_f32_e32 v2, v2, v3
	v_mul_f32_e32 v3, v23, v190
	v_fma_f32 v3, v22, v191, -v3
	v_add_f32_e32 v2, v2, v3
	v_mul_f32_e32 v3, v25, v192
	v_fma_f32 v3, v24, v193, -v3
	v_add_f32_e32 v2, v2, v3
	v_mul_f32_e32 v3, v27, v194
	v_fma_f32 v3, v26, v195, -v3
	v_add_f32_e32 v2, v2, v3
	v_mul_f32_e32 v3, v29, v197
	v_fma_f32 v3, v28, v196, -v3
	v_add_f32_e32 v2, v2, v3
	v_mul_f32_e32 v3, v31, v199
	v_fma_f32 v3, v30, v198, -v3
	v_add_f32_e32 v2, v2, v3
	v_mul_f32_e32 v3, v33, v201
	v_fma_f32 v3, v32, v200, -v3
	v_add_f32_e32 v2, v2, v3
	v_mul_f32_e32 v3, v35, v203
	v_fma_f32 v3, v34, v202, -v3
	v_add_f32_e32 v2, v2, v3
	v_mul_f32_e32 v3, v37, v205
	v_fma_f32 v3, v36, v204, -v3
	v_add_f32_e32 v2, v2, v3
	v_mul_f32_e32 v3, v39, v207
	v_fma_f32 v3, v38, v206, -v3
	v_add_f32_e32 v2, v2, v3
	v_mul_f32_e32 v3, v41, v209
	v_fma_f32 v3, v40, v208, -v3
	v_add_f32_e32 v2, v2, v3
	v_mul_f32_e32 v3, v43, v211
	v_fma_f32 v3, v42, v210, -v3
	v_add_f32_e32 v2, v2, v3
	v_mul_f32_e32 v3, v45, v213
	v_fma_f32 v3, v44, v212, -v3
	v_add_f32_e32 v2, v2, v3
	v_mul_f32_e32 v3, v47, v215
	v_fma_f32 v3, v46, v214, -v3
	v_add_f32_e32 v2, v2, v3
	v_mul_f32_e32 v3, v49, v217
	v_fma_f32 v3, v48, v216, -v3
	v_add_f32_e32 v2, v2, v3
	v_mul_f32_e32 v3, v51, v219
	v_fma_f32 v3, v50, v218, -v3
	v_add_f32_e32 v2, v2, v3
	v_mul_f32_e32 v3, v53, v221
	v_fma_f32 v3, v52, v220, -v3
	v_add_f32_e32 v2, v2, v3
	v_mul_f32_e32 v3, v55, v223
	v_fma_f32 v3, v54, v222, -v3
	v_add_f32_e32 v2, v2, v3
	v_mul_f32_e32 v3, v57, v225
	v_fma_f32 v3, v56, v224, -v3
	v_add_f32_e32 v2, v2, v3
	v_mul_f32_e32 v3, v59, v227
	v_fma_f32 v3, v58, v226, -v3
	v_add_f32_e32 v2, v2, v3
	v_mul_f32_e32 v3, v61, v229
	v_fma_f32 v3, v60, v228, -v3
	v_add_f32_e32 v2, v2, v3
	s_waitcnt vmcnt(22) lgkmcnt(1)
	v_mul_f32_e32 v3, v63, v231
	v_fma_f32 v3, v62, v230, -v3
	v_add_f32_e32 v2, v2, v3
	s_waitcnt vmcnt(20)
	v_mul_f32_e32 v3, v65, v233
	v_mul_f32_e32 v159, v62, v231
	v_fma_f32 v3, v64, v232, -v3
	v_fmac_f32_e32 v159, v63, v230
	v_add_f32_e32 v156, v2, v3
	s_waitcnt vmcnt(18) lgkmcnt(0)
	v_mul_f32_e32 v2, v153, v235
	v_add_f32_e32 v157, v157, v159
	v_mul_f32_e32 v159, v64, v233
	v_fma_f32 v158, v152, v234, -v2
	s_waitcnt vmcnt(16)
	v_mul_f32_e32 v2, v155, v237
	v_fmac_f32_e32 v159, v65, v232
	v_fma_f32 v166, v154, v236, -v2
	ds_read2_b64 v[2:5], v20 offset0:79 offset1:80
	ds_read2_b64 v[6:9], v20 offset0:81 offset1:82
	;; [unrolled: 1-line block ×4, first 2 shown]
	v_add_f32_e32 v157, v157, v159
	v_mul_f32_e32 v159, v152, v235
	s_waitcnt vmcnt(11)
	v_mov_b32_e32 v22, v165
	v_fmac_f32_e32 v159, v153, v234
	v_mul_f32_e32 v167, v154, v237
	s_waitcnt lgkmcnt(3)
	v_pk_mul_f32 v[22:23], v[2:3], v[22:23] op_sel_hi:[1,0]
	v_fmac_f32_e32 v167, v155, v236
	v_pk_add_f32 v[20:21], v[156:157], v[158:159]
	s_waitcnt vmcnt(10)
	v_pk_fma_f32 v[24:25], v[2:3], v[164:165], v[22:23] op_sel:[0,0,1] op_sel_hi:[1,1,0] neg_lo:[0,0,1] neg_hi:[0,0,1]
	v_pk_fma_f32 v[2:3], v[2:3], v[164:165], v[22:23] op_sel:[0,0,1] op_sel_hi:[1,0,0]
	v_pk_add_f32 v[20:21], v[20:21], v[166:167]
	v_mov_b32_e32 v25, v3
	v_pk_add_f32 v[2:3], v[20:21], v[24:25]
	v_mov_b32_e32 v20, v163
	v_pk_mul_f32 v[20:21], v[4:5], v[20:21] op_sel_hi:[1,0]
	v_pk_fma_f32 v[22:23], v[4:5], v[162:163], v[20:21] op_sel:[0,0,1] op_sel_hi:[1,1,0] neg_lo:[0,0,1] neg_hi:[0,0,1]
	v_pk_fma_f32 v[4:5], v[4:5], v[162:163], v[20:21] op_sel:[0,0,1] op_sel_hi:[1,0,0]
	v_mov_b32_e32 v4, v161
	v_mov_b32_e32 v23, v5
	s_waitcnt lgkmcnt(2)
	v_pk_mul_f32 v[4:5], v[6:7], v[4:5] op_sel_hi:[1,0]
	v_pk_fma_f32 v[20:21], v[6:7], v[160:161], v[4:5] op_sel:[0,0,1] op_sel_hi:[1,1,0] neg_lo:[0,0,1] neg_hi:[0,0,1]
	v_pk_fma_f32 v[4:5], v[6:7], v[160:161], v[4:5] op_sel:[0,0,1] op_sel_hi:[1,0,0]
	s_waitcnt vmcnt(3)
	v_mov_b32_e32 v4, v175
	v_mov_b32_e32 v21, v5
	v_pk_mul_f32 v[4:5], v[8:9], v[4:5] op_sel_hi:[1,0]
	s_waitcnt vmcnt(2)
	v_pk_fma_f32 v[6:7], v[8:9], v[174:175], v[4:5] op_sel:[0,0,1] op_sel_hi:[1,1,0] neg_lo:[0,0,1] neg_hi:[0,0,1]
	v_pk_fma_f32 v[4:5], v[8:9], v[174:175], v[4:5] op_sel:[0,0,1] op_sel_hi:[1,0,0]
	v_pk_add_f32 v[2:3], v[2:3], v[22:23]
	v_mov_b32_e32 v4, v173
	v_pk_add_f32 v[2:3], v[2:3], v[20:21]
	v_mov_b32_e32 v7, v5
	s_waitcnt lgkmcnt(1)
	v_pk_mul_f32 v[4:5], v[10:11], v[4:5] op_sel_hi:[1,0]
	v_pk_add_f32 v[2:3], v[2:3], v[6:7]
	v_pk_fma_f32 v[6:7], v[10:11], v[172:173], v[4:5] op_sel:[0,0,1] op_sel_hi:[1,1,0] neg_lo:[0,0,1] neg_hi:[0,0,1]
	v_pk_fma_f32 v[4:5], v[10:11], v[172:173], v[4:5] op_sel:[0,0,1] op_sel_hi:[1,0,0]
	v_mov_b32_e32 v4, v171
	v_mov_b32_e32 v7, v5
	v_pk_mul_f32 v[4:5], v[12:13], v[4:5] op_sel_hi:[1,0]
	v_pk_add_f32 v[2:3], v[2:3], v[6:7]
	v_pk_fma_f32 v[6:7], v[12:13], v[170:171], v[4:5] op_sel:[0,0,1] op_sel_hi:[1,1,0] neg_lo:[0,0,1] neg_hi:[0,0,1]
	v_pk_fma_f32 v[4:5], v[12:13], v[170:171], v[4:5] op_sel:[0,0,1] op_sel_hi:[1,0,0]
	v_mov_b32_e32 v4, v169
	v_mov_b32_e32 v7, v5
	s_waitcnt lgkmcnt(0)
	v_pk_mul_f32 v[4:5], v[14:15], v[4:5] op_sel_hi:[1,0]
	v_pk_add_f32 v[2:3], v[2:3], v[6:7]
	v_pk_fma_f32 v[6:7], v[14:15], v[168:169], v[4:5] op_sel:[0,0,1] op_sel_hi:[1,1,0] neg_lo:[0,0,1] neg_hi:[0,0,1]
	v_pk_fma_f32 v[4:5], v[14:15], v[168:169], v[4:5] op_sel:[0,0,1] op_sel_hi:[1,0,0]
	s_waitcnt vmcnt(1)
	v_mov_b32_e32 v4, v177
	v_mov_b32_e32 v7, v5
	v_pk_mul_f32 v[4:5], v[16:17], v[4:5] op_sel_hi:[1,0]
	v_pk_add_f32 v[2:3], v[2:3], v[6:7]
	s_waitcnt vmcnt(0)
	v_pk_fma_f32 v[6:7], v[16:17], v[176:177], v[4:5] op_sel:[0,0,1] op_sel_hi:[1,1,0] neg_lo:[0,0,1] neg_hi:[0,0,1]
	v_pk_fma_f32 v[4:5], v[16:17], v[176:177], v[4:5] op_sel:[0,0,1] op_sel_hi:[1,0,0]
	v_mov_b32_e32 v7, v5
	v_pk_add_f32 v[2:3], v[2:3], v[6:7]
	v_pk_add_f32 v[2:3], v[18:19], v[2:3] neg_lo:[0,1] neg_hi:[0,1]
	buffer_store_dword v3, off, s[0:3], 0 offset:20
	buffer_store_dword v2, off, s[0:3], 0 offset:16
	s_and_saveexec_b64 s[4:5], vcc
	s_cbranch_execz .LBB42_269
; %bb.268:
	buffer_load_dword v2, off, s[0:3], 0 offset:8
	buffer_load_dword v3, off, s[0:3], 0 offset:12
	v_mov_b32_e32 v4, 0
	buffer_store_dword v4, off, s[0:3], 0 offset:8
	buffer_store_dword v4, off, s[0:3], 0 offset:12
	s_waitcnt vmcnt(2)
	ds_write_b64 v1, v[2:3]
.LBB42_269:
	s_or_b64 exec, exec, s[4:5]
	s_waitcnt lgkmcnt(0)
	; wave barrier
	s_waitcnt lgkmcnt(0)
	buffer_load_dword v156, off, s[0:3], 0 offset:20
	buffer_load_dword v161, off, s[0:3], 0 offset:28
	;; [unrolled: 1-line block ×24, first 2 shown]
	v_mov_b32_e32 v160, 0
	buffer_load_dword v204, off, s[0:3], 0 offset:104
	buffer_load_dword v205, off, s[0:3], 0 offset:108
	buffer_load_dword v206, off, s[0:3], 0 offset:112
	buffer_load_dword v207, off, s[0:3], 0 offset:116
	buffer_load_dword v208, off, s[0:3], 0 offset:120
	buffer_load_dword v209, off, s[0:3], 0 offset:124
	buffer_load_dword v210, off, s[0:3], 0 offset:128
	buffer_load_dword v211, off, s[0:3], 0 offset:132
	buffer_load_dword v212, off, s[0:3], 0 offset:136
	buffer_load_dword v213, off, s[0:3], 0 offset:140
	buffer_load_dword v214, off, s[0:3], 0 offset:144
	buffer_load_dword v215, off, s[0:3], 0 offset:148
	buffer_load_dword v216, off, s[0:3], 0 offset:152
	buffer_load_dword v217, off, s[0:3], 0 offset:156
	buffer_load_dword v218, off, s[0:3], 0 offset:160
	buffer_load_dword v219, off, s[0:3], 0 offset:164
	buffer_load_dword v220, off, s[0:3], 0 offset:168
	buffer_load_dword v221, off, s[0:3], 0 offset:172
	buffer_load_dword v222, off, s[0:3], 0 offset:176
	buffer_load_dword v223, off, s[0:3], 0 offset:180
	buffer_load_dword v224, off, s[0:3], 0 offset:184
	buffer_load_dword v225, off, s[0:3], 0 offset:188
	buffer_load_dword v226, off, s[0:3], 0 offset:192
	buffer_load_dword v227, off, s[0:3], 0 offset:196
	buffer_load_dword v228, off, s[0:3], 0 offset:200
	buffer_load_dword v229, off, s[0:3], 0 offset:204
	buffer_load_dword v230, off, s[0:3], 0 offset:208
	buffer_load_dword v231, off, s[0:3], 0 offset:212
	buffer_load_dword v232, off, s[0:3], 0 offset:216
	buffer_load_dword v233, off, s[0:3], 0 offset:220
	buffer_load_dword v234, off, s[0:3], 0 offset:224
	buffer_load_dword v235, off, s[0:3], 0 offset:228
	ds_read_b128 v[18:21], v160 offset:368
	ds_read_b128 v[14:17], v160 offset:384
	;; [unrolled: 1-line block ×5, first 2 shown]
	buffer_load_dword v236, off, s[0:3], 0 offset:232
	buffer_load_dword v237, off, s[0:3], 0 offset:236
	;; [unrolled: 1-line block ×4, first 2 shown]
	v_cmp_ne_u32_e32 vcc, 0, v0
	s_waitcnt vmcnt(59) lgkmcnt(4)
	v_mul_f32_e32 v22, v18, v156
	s_waitcnt vmcnt(58)
	v_mul_f32_e32 v23, v20, v161
	s_waitcnt vmcnt(57) lgkmcnt(3)
	v_mul_f32_e32 v24, v14, v170
	s_waitcnt vmcnt(56)
	v_mul_f32_e32 v25, v16, v172
	;; [unrolled: 4-line block ×4, first 2 shown]
	s_waitcnt vmcnt(51)
	v_fmac_f32_e32 v22, v19, v190
	s_waitcnt vmcnt(50)
	v_fmac_f32_e32 v23, v21, v191
	v_add_f32_e32 v22, 0, v22
	s_waitcnt vmcnt(49)
	v_fmac_f32_e32 v24, v15, v192
	v_add_f32_e32 v22, v22, v23
	;; [unrolled: 3-line block ×7, first 2 shown]
	v_add_f32_e32 v26, v22, v29
	ds_read_b128 v[22:25], v160 offset:448
	buffer_load_dword v240, off, s[0:3], 0 offset:248
	buffer_load_dword v241, off, s[0:3], 0 offset:252
	;; [unrolled: 1-line block ×4, first 2 shown]
	s_waitcnt vmcnt(47) lgkmcnt(1)
	v_mul_f32_e32 v27, v2, v198
	s_waitcnt vmcnt(46)
	v_fmac_f32_e32 v27, v3, v199
	v_add_f32_e32 v26, v26, v27
	s_waitcnt vmcnt(45)
	v_mul_f32_e32 v27, v4, v200
	s_waitcnt vmcnt(44)
	v_fmac_f32_e32 v27, v5, v201
	buffer_load_dword v244, off, s[0:3], 0 offset:264
	buffer_load_dword v245, off, s[0:3], 0 offset:268
	buffer_load_dword v246, off, s[0:3], 0 offset:272
	buffer_load_dword v247, off, s[0:3], 0 offset:276
	ds_read_b128 v[34:37], v160 offset:464
	ds_read_b128 v[30:33], v160 offset:480
	v_add_f32_e32 v26, v26, v27
	s_waitcnt vmcnt(47) lgkmcnt(2)
	v_mul_f32_e32 v27, v22, v202
	s_waitcnt vmcnt(44)
	v_fmac_f32_e32 v27, v23, v203
	v_add_f32_e32 v26, v26, v27
	s_waitcnt vmcnt(42)
	v_mul_f32_e32 v27, v24, v205
	v_fmac_f32_e32 v27, v25, v204
	v_add_f32_e32 v26, v26, v27
	s_waitcnt vmcnt(40) lgkmcnt(1)
	v_mul_f32_e32 v27, v34, v207
	v_fmac_f32_e32 v27, v35, v206
	v_add_f32_e32 v26, v26, v27
	s_waitcnt vmcnt(38)
	v_mul_f32_e32 v27, v36, v209
	v_fmac_f32_e32 v27, v37, v208
	ds_read_b128 v[42:45], v160 offset:496
	ds_read_b128 v[38:41], v160 offset:512
	v_add_f32_e32 v26, v26, v27
	s_waitcnt vmcnt(36) lgkmcnt(2)
	v_mul_f32_e32 v27, v30, v211
	v_fmac_f32_e32 v27, v31, v210
	v_add_f32_e32 v26, v26, v27
	s_waitcnt vmcnt(34)
	v_mul_f32_e32 v27, v32, v213
	v_fmac_f32_e32 v27, v33, v212
	v_add_f32_e32 v26, v26, v27
	s_waitcnt vmcnt(32) lgkmcnt(1)
	v_mul_f32_e32 v27, v42, v215
	v_fmac_f32_e32 v27, v43, v214
	v_add_f32_e32 v26, v26, v27
	s_waitcnt vmcnt(30)
	v_mul_f32_e32 v27, v44, v217
	v_fmac_f32_e32 v27, v45, v216
	ds_read_b128 v[50:53], v160 offset:528
	ds_read_b128 v[46:49], v160 offset:544
	v_add_f32_e32 v26, v26, v27
	s_waitcnt vmcnt(28) lgkmcnt(2)
	v_mul_f32_e32 v27, v38, v219
	;; [unrolled: 18-line block ×4, first 2 shown]
	v_fmac_f32_e32 v27, v55, v234
	v_add_f32_e32 v26, v26, v27
	s_waitcnt vmcnt(10)
	v_mul_f32_e32 v27, v56, v237
	v_fmac_f32_e32 v27, v57, v236
	v_add_f32_e32 v26, v26, v27
	s_waitcnt vmcnt(8) lgkmcnt(1)
	v_mul_f32_e32 v27, v162, v239
	v_fmac_f32_e32 v27, v163, v238
	v_add_f32_e32 v26, v26, v27
	v_mul_f32_e32 v19, v19, v156
	v_fma_f32 v18, v18, v190, -v19
	v_mul_f32_e32 v19, v21, v161
	s_waitcnt vmcnt(6)
	v_mul_f32_e32 v27, v164, v241
	v_fmac_f32_e32 v27, v165, v240
	v_add_f32_e32 v26, v26, v27
	s_waitcnt vmcnt(4) lgkmcnt(0)
	v_mul_f32_e32 v27, v62, v243
	v_fmac_f32_e32 v27, v63, v242
	v_add_f32_e32 v157, v26, v27
	ds_read_b128 v[26:29], v160 offset:624
	buffer_load_dword v155, off, s[0:3], 0 offset:292
	buffer_load_dword v154, off, s[0:3], 0 offset:288
	;; [unrolled: 1-line block ×4, first 2 shown]
	ds_read_b128 v[166:169], v160 offset:640
	buffer_load_dword v175, off, s[0:3], 0 offset:324
	buffer_load_dword v174, off, s[0:3], 0 offset:320
	;; [unrolled: 1-line block ×12, first 2 shown]
	v_add_f32_e32 v18, 0, v18
	v_fma_f32 v19, v20, v191, -v19
	v_mul_f32_e32 v15, v15, v170
	v_add_f32_e32 v18, v18, v19
	v_fma_f32 v14, v14, v192, -v15
	v_mul_f32_e32 v15, v17, v172
	;; [unrolled: 3-line block ×8, first 2 shown]
	v_add_f32_e32 v2, v6, v2
	v_fma_f32 v3, v4, v201, -v3
	v_add_f32_e32 v2, v2, v3
	v_mul_f32_e32 v3, v23, v202
	v_fma_f32 v3, v22, v203, -v3
	v_add_f32_e32 v2, v2, v3
	v_mul_f32_e32 v3, v25, v205
	;; [unrolled: 3-line block ×21, first 2 shown]
	v_fma_f32 v3, v62, v242, -v3
	s_waitcnt vmcnt(13)
	v_mov_b32_e32 v14, v159
	v_mul_f32_e32 v171, v64, v245
	v_add_f32_e32 v156, v2, v3
	v_mul_f32_e32 v2, v65, v245
	s_waitcnt lgkmcnt(1)
	v_pk_mul_f32 v[14:15], v[28:29], v[14:15] op_sel_hi:[1,0]
	v_fmac_f32_e32 v171, v65, v244
	v_mul_f32_e32 v173, v26, v247
	v_fma_f32 v170, v64, v244, -v2
	v_mul_f32_e32 v2, v27, v247
	s_waitcnt vmcnt(12)
	v_pk_fma_f32 v[16:17], v[28:29], v[158:159], v[14:15] op_sel:[0,0,1] op_sel_hi:[1,1,0] neg_lo:[0,0,1] neg_hi:[0,0,1]
	v_pk_fma_f32 v[14:15], v[28:29], v[158:159], v[14:15] op_sel:[0,0,1] op_sel_hi:[1,0,0]
	v_fmac_f32_e32 v173, v27, v246
	v_fma_f32 v172, v26, v246, -v2
	v_pk_add_f32 v[12:13], v[156:157], v[170:171]
	v_mov_b32_e32 v14, v155
	v_pk_add_f32 v[12:13], v[12:13], v[172:173]
	v_mov_b32_e32 v17, v15
	s_waitcnt lgkmcnt(0)
	v_pk_mul_f32 v[14:15], v[166:167], v[14:15] op_sel_hi:[1,0]
	v_pk_add_f32 v[12:13], v[12:13], v[16:17]
	v_pk_fma_f32 v[16:17], v[166:167], v[154:155], v[14:15] op_sel:[0,0,1] op_sel_hi:[1,1,0] neg_lo:[0,0,1] neg_hi:[0,0,1]
	v_pk_fma_f32 v[14:15], v[166:167], v[154:155], v[14:15] op_sel:[0,0,1] op_sel_hi:[1,0,0]
	s_waitcnt vmcnt(5)
	v_mov_b32_e32 v14, v181
	ds_read_b128 v[2:5], v160 offset:656
	ds_read_b128 v[6:9], v160 offset:672
	ds_read_b64 v[10:11], v160 offset:688
	v_mov_b32_e32 v17, v15
	v_pk_mul_f32 v[14:15], v[168:169], v[14:15] op_sel_hi:[1,0]
	v_pk_add_f32 v[12:13], v[12:13], v[16:17]
	s_waitcnt vmcnt(4)
	v_pk_fma_f32 v[16:17], v[168:169], v[180:181], v[14:15] op_sel:[0,0,1] op_sel_hi:[1,1,0] neg_lo:[0,0,1] neg_hi:[0,0,1]
	v_pk_fma_f32 v[14:15], v[168:169], v[180:181], v[14:15] op_sel:[0,0,1] op_sel_hi:[1,0,0]
	v_mov_b32_e32 v14, v179
	v_mov_b32_e32 v17, v15
	s_waitcnt lgkmcnt(2)
	v_pk_mul_f32 v[14:15], v[2:3], v[14:15] op_sel_hi:[1,0]
	v_pk_add_f32 v[12:13], v[12:13], v[16:17]
	v_pk_fma_f32 v[16:17], v[2:3], v[178:179], v[14:15] op_sel:[0,0,1] op_sel_hi:[1,1,0] neg_lo:[0,0,1] neg_hi:[0,0,1]
	v_pk_fma_f32 v[2:3], v[2:3], v[178:179], v[14:15] op_sel:[0,0,1] op_sel_hi:[1,0,0]
	v_mov_b32_e32 v17, v3
	v_pk_add_f32 v[2:3], v[12:13], v[16:17]
	v_mov_b32_e32 v12, v177
	v_pk_mul_f32 v[12:13], v[4:5], v[12:13] op_sel_hi:[1,0]
	v_pk_fma_f32 v[14:15], v[4:5], v[176:177], v[12:13] op_sel:[0,0,1] op_sel_hi:[1,1,0] neg_lo:[0,0,1] neg_hi:[0,0,1]
	v_pk_fma_f32 v[4:5], v[4:5], v[176:177], v[12:13] op_sel:[0,0,1] op_sel_hi:[1,0,0]
	v_mov_b32_e32 v4, v175
	v_mov_b32_e32 v15, v5
	s_waitcnt lgkmcnt(1)
	v_pk_mul_f32 v[4:5], v[6:7], v[4:5] op_sel_hi:[1,0]
	v_pk_fma_f32 v[12:13], v[6:7], v[174:175], v[4:5] op_sel:[0,0,1] op_sel_hi:[1,1,0] neg_lo:[0,0,1] neg_hi:[0,0,1]
	v_pk_fma_f32 v[4:5], v[6:7], v[174:175], v[4:5] op_sel:[0,0,1] op_sel_hi:[1,0,0]
	s_waitcnt vmcnt(1)
	v_mov_b32_e32 v4, v185
	v_mov_b32_e32 v13, v5
	v_pk_mul_f32 v[4:5], v[8:9], v[4:5] op_sel_hi:[1,0]
	s_waitcnt vmcnt(0)
	v_pk_fma_f32 v[6:7], v[8:9], v[184:185], v[4:5] op_sel:[0,0,1] op_sel_hi:[1,1,0] neg_lo:[0,0,1] neg_hi:[0,0,1]
	v_pk_fma_f32 v[4:5], v[8:9], v[184:185], v[4:5] op_sel:[0,0,1] op_sel_hi:[1,0,0]
	v_pk_add_f32 v[2:3], v[2:3], v[14:15]
	v_mov_b32_e32 v4, v183
	v_pk_add_f32 v[2:3], v[2:3], v[12:13]
	v_mov_b32_e32 v7, v5
	s_waitcnt lgkmcnt(0)
	v_pk_mul_f32 v[4:5], v[10:11], v[4:5] op_sel_hi:[1,0]
	v_pk_add_f32 v[2:3], v[2:3], v[6:7]
	v_pk_fma_f32 v[6:7], v[10:11], v[182:183], v[4:5] op_sel:[0,0,1] op_sel_hi:[1,1,0] neg_lo:[0,0,1] neg_hi:[0,0,1]
	v_pk_fma_f32 v[4:5], v[10:11], v[182:183], v[4:5] op_sel:[0,0,1] op_sel_hi:[1,0,0]
	v_mov_b32_e32 v7, v5
	v_pk_add_f32 v[2:3], v[2:3], v[6:7]
	v_pk_add_f32 v[2:3], v[152:153], v[2:3] neg_lo:[0,1] neg_hi:[0,1]
	buffer_store_dword v3, off, s[0:3], 0 offset:12
	buffer_store_dword v2, off, s[0:3], 0 offset:8
	s_and_saveexec_b64 s[4:5], vcc
	s_cbranch_execz .LBB42_271
; %bb.270:
	buffer_load_dword v2, off, s[0:3], 0
	buffer_load_dword v3, off, s[0:3], 0 offset:4
	s_waitcnt vmcnt(0)
	ds_write_b64 v1, v[2:3]
	buffer_store_dword v160, off, s[0:3], 0
	buffer_store_dword v160, off, s[0:3], 0 offset:4
.LBB42_271:
	s_or_b64 exec, exec, s[4:5]
	s_waitcnt lgkmcnt(0)
	; wave barrier
	s_waitcnt lgkmcnt(0)
	buffer_load_dword v161, off, s[0:3], 0 offset:12
	buffer_load_dword v164, off, s[0:3], 0 offset:20
	;; [unrolled: 1-line block ×21, first 2 shown]
	buffer_load_dword v24, off, s[0:3], 0
	buffer_load_dword v25, off, s[0:3], 0 offset:4
	buffer_load_dword v201, off, s[0:3], 0 offset:88
	ds_read2_b64 v[20:23], v160 offset0:45 offset1:46
	ds_read2_b64 v[16:19], v160 offset0:47 offset1:48
	;; [unrolled: 1-line block ×4, first 2 shown]
	buffer_load_dword v202, off, s[0:3], 0 offset:96
	buffer_load_dword v203, off, s[0:3], 0 offset:100
	ds_read2_b64 v[8:11], v160 offset0:53 offset1:54
	ds_read2_b64 v[0:3], v160 offset0:55 offset1:56
	buffer_load_dword v204, off, s[0:3], 0 offset:104
	buffer_load_dword v205, off, s[0:3], 0 offset:108
	;; [unrolled: 1-line block ×44, first 2 shown]
	s_and_b64 vcc, exec, s[20:21]
	s_waitcnt vmcnt(62) lgkmcnt(5)
	v_mul_f32_e32 v26, v20, v161
	v_mul_f32_e32 v27, v22, v164
	s_waitcnt lgkmcnt(4)
	v_mul_f32_e32 v28, v16, v166
	v_mul_f32_e32 v29, v18, v168
	s_waitcnt lgkmcnt(3)
	;; [unrolled: 3-line block ×3, first 2 shown]
	v_mul_f32_e32 v32, v4, v186
	v_mul_f32_e32 v33, v6, v187
	s_waitcnt vmcnt(61)
	v_fmac_f32_e32 v26, v21, v188
	s_waitcnt vmcnt(60)
	v_fmac_f32_e32 v27, v23, v189
	v_add_f32_e32 v26, 0, v26
	s_waitcnt vmcnt(59)
	v_fmac_f32_e32 v28, v17, v190
	v_add_f32_e32 v26, v26, v27
	s_waitcnt vmcnt(58)
	v_fmac_f32_e32 v29, v19, v191
	v_add_f32_e32 v26, v26, v28
	s_waitcnt vmcnt(57)
	v_fmac_f32_e32 v30, v13, v192
	v_add_f32_e32 v26, v26, v29
	s_waitcnt vmcnt(56)
	v_fmac_f32_e32 v31, v15, v193
	v_add_f32_e32 v26, v26, v30
	s_waitcnt vmcnt(55)
	v_fmac_f32_e32 v32, v5, v194
	v_add_f32_e32 v26, v26, v31
	s_waitcnt vmcnt(54)
	v_fmac_f32_e32 v33, v7, v195
	v_add_f32_e32 v26, v26, v32
	s_waitcnt vmcnt(53) lgkmcnt(1)
	v_mul_f32_e32 v27, v8, v196
	v_add_f32_e32 v26, v26, v33
	s_waitcnt vmcnt(52)
	v_fmac_f32_e32 v27, v9, v197
	v_add_f32_e32 v26, v26, v27
	s_waitcnt vmcnt(51)
	v_mul_f32_e32 v27, v10, v198
	s_waitcnt vmcnt(50)
	v_fmac_f32_e32 v27, v11, v199
	v_add_f32_e32 v26, v26, v27
	s_waitcnt vmcnt(49) lgkmcnt(0)
	v_mul_f32_e32 v27, v0, v200
	s_waitcnt vmcnt(46)
	v_fmac_f32_e32 v27, v1, v201
	v_add_f32_e32 v30, v26, v27
	ds_read2_b64 v[26:29], v160 offset0:57 offset1:58
	s_waitcnt vmcnt(44)
	v_mul_f32_e32 v31, v2, v203
	v_fmac_f32_e32 v31, v3, v202
	v_add_f32_e32 v34, v30, v31
	ds_read2_b64 v[30:33], v160 offset0:59 offset1:60
	s_waitcnt vmcnt(42) lgkmcnt(1)
	v_mul_f32_e32 v35, v26, v205
	v_fmac_f32_e32 v35, v27, v204
	v_add_f32_e32 v34, v34, v35
	s_waitcnt vmcnt(40)
	v_mul_f32_e32 v35, v28, v207
	v_fmac_f32_e32 v35, v29, v206
	v_add_f32_e32 v34, v34, v35
	s_waitcnt vmcnt(38) lgkmcnt(0)
	v_mul_f32_e32 v35, v30, v209
	v_fmac_f32_e32 v35, v31, v208
	v_add_f32_e32 v38, v34, v35
	ds_read2_b64 v[34:37], v160 offset0:61 offset1:62
	s_waitcnt vmcnt(36)
	v_mul_f32_e32 v39, v32, v211
	v_fmac_f32_e32 v39, v33, v210
	v_add_f32_e32 v42, v38, v39
	ds_read2_b64 v[38:41], v160 offset0:63 offset1:64
	s_waitcnt vmcnt(34) lgkmcnt(1)
	v_mul_f32_e32 v43, v34, v213
	v_fmac_f32_e32 v43, v35, v212
	v_add_f32_e32 v42, v42, v43
	s_waitcnt vmcnt(32)
	v_mul_f32_e32 v43, v36, v215
	v_fmac_f32_e32 v43, v37, v214
	v_add_f32_e32 v42, v42, v43
	s_waitcnt vmcnt(30) lgkmcnt(0)
	v_mul_f32_e32 v43, v38, v217
	;; [unrolled: 18-line block ×4, first 2 shown]
	v_fmac_f32_e32 v59, v55, v232
	v_add_f32_e32 v62, v58, v59
	ds_read2_b64 v[58:61], v160 offset0:73 offset1:74
	s_waitcnt vmcnt(12)
	v_mul_f32_e32 v63, v56, v235
	v_fmac_f32_e32 v63, v57, v234
	v_add_f32_e32 v152, v62, v63
	ds_read2_b64 v[62:65], v160 offset0:75 offset1:76
	buffer_load_dword v163, off, s[0:3], 0 offset:284
	buffer_load_dword v162, off, s[0:3], 0 offset:280
	s_waitcnt vmcnt(12) lgkmcnt(1)
	v_mul_f32_e32 v153, v58, v237
	v_fmac_f32_e32 v153, v59, v236
	v_add_f32_e32 v152, v152, v153
	s_waitcnt vmcnt(10)
	v_mul_f32_e32 v153, v60, v239
	v_fmac_f32_e32 v153, v61, v238
	v_add_f32_e32 v152, v152, v153
	s_waitcnt vmcnt(8) lgkmcnt(0)
	v_mul_f32_e32 v153, v62, v241
	v_fmac_f32_e32 v153, v63, v240
	s_waitcnt vmcnt(6)
	v_mul_f32_e32 v157, v64, v243
	v_add_f32_e32 v156, v152, v153
	v_fmac_f32_e32 v157, v65, v242
	ds_read2_b64 v[152:155], v160 offset0:77 offset1:78
	v_add_f32_e32 v165, v156, v157
	ds_read2_b64 v[156:159], v160 offset0:79 offset1:80
	buffer_load_dword v171, off, s[0:3], 0 offset:316
	buffer_load_dword v170, off, s[0:3], 0 offset:312
	;; [unrolled: 1-line block ×14, first 2 shown]
	v_mul_f32_e32 v21, v21, v161
	v_fma_f32 v20, v20, v188, -v21
	v_mul_f32_e32 v21, v23, v164
	v_add_f32_e32 v20, 0, v20
	v_fma_f32 v21, v22, v189, -v21
	v_mul_f32_e32 v17, v17, v166
	v_add_f32_e32 v20, v20, v21
	v_fma_f32 v16, v16, v190, -v17
	v_mul_f32_e32 v17, v19, v168
	v_add_f32_e32 v16, v20, v16
	v_fma_f32 v17, v18, v191, -v17
	v_mul_f32_e32 v13, v13, v184
	v_add_f32_e32 v16, v16, v17
	v_fma_f32 v12, v12, v192, -v13
	v_mul_f32_e32 v13, v15, v185
	v_add_f32_e32 v12, v16, v12
	v_fma_f32 v13, v14, v193, -v13
	v_mul_f32_e32 v5, v5, v186
	v_add_f32_e32 v12, v12, v13
	v_fma_f32 v4, v4, v194, -v5
	v_mul_f32_e32 v5, v7, v187
	v_add_f32_e32 v4, v12, v4
	v_fma_f32 v5, v6, v195, -v5
	v_add_f32_e32 v4, v4, v5
	v_mul_f32_e32 v5, v9, v196
	v_fma_f32 v5, v8, v197, -v5
	v_add_f32_e32 v4, v4, v5
	v_mul_f32_e32 v5, v11, v198
	v_fma_f32 v5, v10, v199, -v5
	v_mul_f32_e32 v1, v1, v200
	v_add_f32_e32 v4, v4, v5
	v_fma_f32 v0, v0, v201, -v1
	v_mul_f32_e32 v1, v3, v203
	v_add_f32_e32 v0, v4, v0
	v_fma_f32 v1, v2, v202, -v1
	v_add_f32_e32 v0, v0, v1
	v_mul_f32_e32 v1, v27, v205
	v_fma_f32 v1, v26, v204, -v1
	v_add_f32_e32 v0, v0, v1
	v_mul_f32_e32 v1, v29, v207
	;; [unrolled: 3-line block ×20, first 2 shown]
	v_fma_f32 v1, v64, v242, -v1
	s_waitcnt vmcnt(15)
	v_mov_b32_e32 v14, v163
	s_waitcnt lgkmcnt(1)
	v_mul_f32_e32 v167, v152, v245
	v_add_f32_e32 v164, v0, v1
	v_mul_f32_e32 v0, v153, v245
	s_waitcnt lgkmcnt(0)
	v_pk_mul_f32 v[14:15], v[156:157], v[14:15] op_sel_hi:[1,0]
	v_fmac_f32_e32 v167, v153, v244
	v_mul_f32_e32 v169, v154, v247
	v_fma_f32 v166, v152, v244, -v0
	v_mul_f32_e32 v0, v155, v247
	s_waitcnt vmcnt(14)
	v_pk_fma_f32 v[16:17], v[156:157], v[162:163], v[14:15] op_sel:[0,0,1] op_sel_hi:[1,1,0] neg_lo:[0,0,1] neg_hi:[0,0,1]
	v_pk_fma_f32 v[14:15], v[156:157], v[162:163], v[14:15] op_sel:[0,0,1] op_sel_hi:[1,0,0]
	v_fmac_f32_e32 v169, v155, v246
	v_fma_f32 v168, v154, v246, -v0
	v_pk_add_f32 v[12:13], v[164:165], v[166:167]
	s_waitcnt vmcnt(7)
	v_mov_b32_e32 v14, v177
	ds_read2_b64 v[0:3], v160 offset0:81 offset1:82
	ds_read2_b64 v[4:7], v160 offset0:83 offset1:84
	ds_read2_b64 v[8:11], v160 offset0:85 offset1:86
	v_pk_add_f32 v[12:13], v[12:13], v[168:169]
	v_mov_b32_e32 v17, v15
	v_pk_mul_f32 v[14:15], v[158:159], v[14:15] op_sel_hi:[1,0]
	v_pk_add_f32 v[12:13], v[12:13], v[16:17]
	s_waitcnt vmcnt(6)
	v_pk_fma_f32 v[16:17], v[158:159], v[176:177], v[14:15] op_sel:[0,0,1] op_sel_hi:[1,1,0] neg_lo:[0,0,1] neg_hi:[0,0,1]
	v_pk_fma_f32 v[14:15], v[158:159], v[176:177], v[14:15] op_sel:[0,0,1] op_sel_hi:[1,0,0]
	v_mov_b32_e32 v14, v175
	v_mov_b32_e32 v17, v15
	s_waitcnt lgkmcnt(2)
	v_pk_mul_f32 v[14:15], v[0:1], v[14:15] op_sel_hi:[1,0]
	v_pk_add_f32 v[12:13], v[12:13], v[16:17]
	v_pk_fma_f32 v[16:17], v[0:1], v[174:175], v[14:15] op_sel:[0,0,1] op_sel_hi:[1,1,0] neg_lo:[0,0,1] neg_hi:[0,0,1]
	v_pk_fma_f32 v[0:1], v[0:1], v[174:175], v[14:15] op_sel:[0,0,1] op_sel_hi:[1,0,0]
	v_mov_b32_e32 v17, v1
	v_pk_add_f32 v[0:1], v[12:13], v[16:17]
	v_mov_b32_e32 v12, v173
	v_pk_mul_f32 v[12:13], v[2:3], v[12:13] op_sel_hi:[1,0]
	v_pk_fma_f32 v[14:15], v[2:3], v[172:173], v[12:13] op_sel:[0,0,1] op_sel_hi:[1,1,0] neg_lo:[0,0,1] neg_hi:[0,0,1]
	v_pk_fma_f32 v[2:3], v[2:3], v[172:173], v[12:13] op_sel:[0,0,1] op_sel_hi:[1,0,0]
	v_mov_b32_e32 v2, v171
	v_mov_b32_e32 v15, v3
	s_waitcnt lgkmcnt(1)
	v_pk_mul_f32 v[2:3], v[4:5], v[2:3] op_sel_hi:[1,0]
	v_pk_fma_f32 v[12:13], v[4:5], v[170:171], v[2:3] op_sel:[0,0,1] op_sel_hi:[1,1,0] neg_lo:[0,0,1] neg_hi:[0,0,1]
	v_pk_fma_f32 v[2:3], v[4:5], v[170:171], v[2:3] op_sel:[0,0,1] op_sel_hi:[1,0,0]
	s_waitcnt vmcnt(1)
	v_mov_b32_e32 v2, v183
	v_mov_b32_e32 v13, v3
	v_pk_mul_f32 v[2:3], v[6:7], v[2:3] op_sel_hi:[1,0]
	s_waitcnt vmcnt(0)
	v_pk_fma_f32 v[4:5], v[6:7], v[182:183], v[2:3] op_sel:[0,0,1] op_sel_hi:[1,1,0] neg_lo:[0,0,1] neg_hi:[0,0,1]
	v_pk_fma_f32 v[2:3], v[6:7], v[182:183], v[2:3] op_sel:[0,0,1] op_sel_hi:[1,0,0]
	v_pk_add_f32 v[0:1], v[0:1], v[14:15]
	v_mov_b32_e32 v2, v181
	v_pk_add_f32 v[0:1], v[0:1], v[12:13]
	v_mov_b32_e32 v5, v3
	s_waitcnt lgkmcnt(0)
	v_pk_mul_f32 v[2:3], v[8:9], v[2:3] op_sel_hi:[1,0]
	v_pk_add_f32 v[0:1], v[0:1], v[4:5]
	v_pk_fma_f32 v[4:5], v[8:9], v[180:181], v[2:3] op_sel:[0,0,1] op_sel_hi:[1,1,0] neg_lo:[0,0,1] neg_hi:[0,0,1]
	v_pk_fma_f32 v[2:3], v[8:9], v[180:181], v[2:3] op_sel:[0,0,1] op_sel_hi:[1,0,0]
	v_mov_b32_e32 v2, v179
	v_mov_b32_e32 v5, v3
	v_pk_mul_f32 v[2:3], v[10:11], v[2:3] op_sel_hi:[1,0]
	v_pk_add_f32 v[0:1], v[0:1], v[4:5]
	v_pk_fma_f32 v[4:5], v[10:11], v[178:179], v[2:3] op_sel:[0,0,1] op_sel_hi:[1,1,0] neg_lo:[0,0,1] neg_hi:[0,0,1]
	v_pk_fma_f32 v[2:3], v[10:11], v[178:179], v[2:3] op_sel:[0,0,1] op_sel_hi:[1,0,0]
	v_mov_b32_e32 v5, v3
	v_pk_add_f32 v[0:1], v[0:1], v[4:5]
	v_pk_add_f32 v[0:1], v[24:25], v[0:1] neg_lo:[0,1] neg_hi:[0,1]
	buffer_store_dword v1, off, s[0:3], 0 offset:4
	buffer_store_dword v0, off, s[0:3], 0
	s_cbranch_vccz .LBB42_357
; %bb.272:
	v_pk_mov_b32 v[0:1], s[10:11], s[10:11] op_sel:[0,1]
	flat_load_dword v0, v[0:1] offset:164
	s_waitcnt vmcnt(0) lgkmcnt(0)
	v_add_u32_e32 v0, -1, v0
	v_cmp_ne_u32_e32 vcc, 41, v0
	s_and_saveexec_b64 s[4:5], vcc
	s_cbranch_execz .LBB42_274
; %bb.273:
	v_mov_b32_e32 v1, 0
	v_lshl_add_u32 v0, v0, 3, v1
	buffer_load_dword v1, v0, s[0:3], 0 offen
	buffer_load_dword v2, v0, s[0:3], 0 offen offset:4
	buffer_load_dword v3, off, s[0:3], 0 offset:328
	buffer_load_dword v4, off, s[0:3], 0 offset:332
	s_waitcnt vmcnt(3)
	buffer_store_dword v1, off, s[0:3], 0 offset:328
	s_waitcnt vmcnt(3)
	buffer_store_dword v2, off, s[0:3], 0 offset:332
	s_waitcnt vmcnt(3)
	buffer_store_dword v3, v0, s[0:3], 0 offen
	s_waitcnt vmcnt(3)
	buffer_store_dword v4, v0, s[0:3], 0 offen offset:4
.LBB42_274:
	s_or_b64 exec, exec, s[4:5]
	v_pk_mov_b32 v[0:1], s[10:11], s[10:11] op_sel:[0,1]
	flat_load_dword v0, v[0:1] offset:160
	s_waitcnt vmcnt(0) lgkmcnt(0)
	v_add_u32_e32 v0, -1, v0
	v_cmp_ne_u32_e32 vcc, 40, v0
	s_and_saveexec_b64 s[4:5], vcc
	s_cbranch_execz .LBB42_276
; %bb.275:
	v_mov_b32_e32 v1, 0
	v_lshl_add_u32 v0, v0, 3, v1
	buffer_load_dword v1, v0, s[0:3], 0 offen
	buffer_load_dword v2, v0, s[0:3], 0 offen offset:4
	buffer_load_dword v3, off, s[0:3], 0 offset:324
	buffer_load_dword v4, off, s[0:3], 0 offset:320
	s_waitcnt vmcnt(3)
	buffer_store_dword v1, off, s[0:3], 0 offset:320
	s_waitcnt vmcnt(3)
	buffer_store_dword v2, off, s[0:3], 0 offset:324
	s_waitcnt vmcnt(3)
	buffer_store_dword v3, v0, s[0:3], 0 offen offset:4
	s_waitcnt vmcnt(3)
	buffer_store_dword v4, v0, s[0:3], 0 offen
.LBB42_276:
	s_or_b64 exec, exec, s[4:5]
	v_pk_mov_b32 v[0:1], s[10:11], s[10:11] op_sel:[0,1]
	flat_load_dword v0, v[0:1] offset:156
	s_waitcnt vmcnt(0) lgkmcnt(0)
	v_add_u32_e32 v0, -1, v0
	v_cmp_ne_u32_e32 vcc, 39, v0
	s_and_saveexec_b64 s[4:5], vcc
	s_cbranch_execz .LBB42_278
; %bb.277:
	v_mov_b32_e32 v1, 0
	v_lshl_add_u32 v0, v0, 3, v1
	buffer_load_dword v1, v0, s[0:3], 0 offen
	buffer_load_dword v2, v0, s[0:3], 0 offen offset:4
	buffer_load_dword v3, off, s[0:3], 0 offset:312
	buffer_load_dword v4, off, s[0:3], 0 offset:316
	s_waitcnt vmcnt(3)
	buffer_store_dword v1, off, s[0:3], 0 offset:312
	s_waitcnt vmcnt(3)
	buffer_store_dword v2, off, s[0:3], 0 offset:316
	s_waitcnt vmcnt(3)
	buffer_store_dword v3, v0, s[0:3], 0 offen
	s_waitcnt vmcnt(3)
	buffer_store_dword v4, v0, s[0:3], 0 offen offset:4
.LBB42_278:
	s_or_b64 exec, exec, s[4:5]
	v_pk_mov_b32 v[0:1], s[10:11], s[10:11] op_sel:[0,1]
	flat_load_dword v0, v[0:1] offset:152
	s_waitcnt vmcnt(0) lgkmcnt(0)
	v_add_u32_e32 v0, -1, v0
	v_cmp_ne_u32_e32 vcc, 38, v0
	s_and_saveexec_b64 s[4:5], vcc
	s_cbranch_execz .LBB42_280
; %bb.279:
	v_mov_b32_e32 v1, 0
	v_lshl_add_u32 v0, v0, 3, v1
	buffer_load_dword v1, v0, s[0:3], 0 offen
	buffer_load_dword v2, v0, s[0:3], 0 offen offset:4
	buffer_load_dword v3, off, s[0:3], 0 offset:308
	buffer_load_dword v4, off, s[0:3], 0 offset:304
	s_waitcnt vmcnt(3)
	buffer_store_dword v1, off, s[0:3], 0 offset:304
	s_waitcnt vmcnt(3)
	buffer_store_dword v2, off, s[0:3], 0 offset:308
	s_waitcnt vmcnt(3)
	buffer_store_dword v3, v0, s[0:3], 0 offen offset:4
	s_waitcnt vmcnt(3)
	buffer_store_dword v4, v0, s[0:3], 0 offen
.LBB42_280:
	s_or_b64 exec, exec, s[4:5]
	;; [unrolled: 48-line block ×20, first 2 shown]
	v_pk_mov_b32 v[0:1], s[10:11], s[10:11] op_sel:[0,1]
	flat_load_dword v0, v[0:1] offset:4
	s_waitcnt vmcnt(0) lgkmcnt(0)
	v_add_u32_e32 v0, -1, v0
	v_cmp_ne_u32_e32 vcc, 1, v0
	s_and_saveexec_b64 s[4:5], vcc
	s_cbranch_execz .LBB42_354
; %bb.353:
	v_mov_b32_e32 v1, 0
	v_lshl_add_u32 v0, v0, 3, v1
	buffer_load_dword v1, v0, s[0:3], 0 offen
	buffer_load_dword v2, v0, s[0:3], 0 offen offset:4
	buffer_load_dword v3, off, s[0:3], 0 offset:8
	buffer_load_dword v4, off, s[0:3], 0 offset:12
	s_waitcnt vmcnt(3)
	buffer_store_dword v1, off, s[0:3], 0 offset:8
	s_waitcnt vmcnt(3)
	buffer_store_dword v2, off, s[0:3], 0 offset:12
	s_waitcnt vmcnt(3)
	buffer_store_dword v3, v0, s[0:3], 0 offen
	s_waitcnt vmcnt(3)
	buffer_store_dword v4, v0, s[0:3], 0 offen offset:4
.LBB42_354:
	s_or_b64 exec, exec, s[4:5]
	v_pk_mov_b32 v[0:1], s[10:11], s[10:11] op_sel:[0,1]
	flat_load_dword v2, v[0:1]
	s_nop 0
	buffer_load_dword v0, off, s[0:3], 0
	buffer_load_dword v1, off, s[0:3], 0 offset:4
	s_waitcnt vmcnt(0) lgkmcnt(0)
	v_add_u32_e32 v2, -1, v2
	v_cmp_ne_u32_e32 vcc, 0, v2
	s_and_saveexec_b64 s[4:5], vcc
	s_cbranch_execz .LBB42_356
; %bb.355:
	v_mov_b32_e32 v3, 0
	v_lshl_add_u32 v2, v2, 3, v3
	buffer_load_dword v3, v2, s[0:3], 0 offen offset:4
	buffer_load_dword v4, v2, s[0:3], 0 offen
	s_waitcnt vmcnt(1)
	buffer_store_dword v3, off, s[0:3], 0 offset:4
	s_waitcnt vmcnt(1)
	buffer_store_dword v4, off, s[0:3], 0
	buffer_store_dword v1, v2, s[0:3], 0 offen offset:4
	buffer_store_dword v0, v2, s[0:3], 0 offen
	buffer_load_dword v0, off, s[0:3], 0
	s_nop 0
	buffer_load_dword v1, off, s[0:3], 0 offset:4
.LBB42_356:
	s_or_b64 exec, exec, s[4:5]
.LBB42_357:
	buffer_load_dword v2, off, s[0:3], 0 offset:8
	buffer_load_dword v3, off, s[0:3], 0 offset:12
	;; [unrolled: 1-line block ×84, first 2 shown]
	s_waitcnt vmcnt(62)
	global_store_dwordx2 v[140:141], v[0:1], off
	global_store_dwordx2 v[144:145], v[2:3], off
	;; [unrolled: 1-line block ×12, first 2 shown]
	s_waitcnt vmcnt(62)
	global_store_dwordx2 v[86:87], v[24:25], off
	global_store_dwordx2 v[88:89], v[26:27], off
	;; [unrolled: 1-line block ×6, first 2 shown]
	s_waitcnt vmcnt(62)
	global_store_dwordx2 v[98:99], v[36:37], off
	global_store_dwordx2 v[100:101], v[38:39], off
	;; [unrolled: 1-line block ×3, first 2 shown]
	s_waitcnt vmcnt(62)
	global_store_dwordx2 v[104:105], v[42:43], off
	s_waitcnt vmcnt(62)
	global_store_dwordx2 v[106:107], v[44:45], off
	;; [unrolled: 2-line block ×22, first 2 shown]
	s_endpgm
	.section	.rodata,"a",@progbits
	.p2align	6, 0x0
	.amdhsa_kernel _ZN9rocsolver6v33100L18getri_kernel_smallILi43E19rocblas_complex_numIfEPS3_EEvT1_iilPiilS6_bb
		.amdhsa_group_segment_fixed_size 696
		.amdhsa_private_segment_fixed_size 352
		.amdhsa_kernarg_size 60
		.amdhsa_user_sgpr_count 8
		.amdhsa_user_sgpr_private_segment_buffer 1
		.amdhsa_user_sgpr_dispatch_ptr 0
		.amdhsa_user_sgpr_queue_ptr 0
		.amdhsa_user_sgpr_kernarg_segment_ptr 1
		.amdhsa_user_sgpr_dispatch_id 0
		.amdhsa_user_sgpr_flat_scratch_init 1
		.amdhsa_user_sgpr_kernarg_preload_length 0
		.amdhsa_user_sgpr_kernarg_preload_offset 0
		.amdhsa_user_sgpr_private_segment_size 0
		.amdhsa_uses_dynamic_stack 0
		.amdhsa_system_sgpr_private_segment_wavefront_offset 1
		.amdhsa_system_sgpr_workgroup_id_x 1
		.amdhsa_system_sgpr_workgroup_id_y 0
		.amdhsa_system_sgpr_workgroup_id_z 0
		.amdhsa_system_sgpr_workgroup_info 0
		.amdhsa_system_vgpr_workitem_id 0
		.amdhsa_next_free_vgpr 248
		.amdhsa_next_free_sgpr 23
		.amdhsa_accum_offset 248
		.amdhsa_reserve_vcc 1
		.amdhsa_reserve_flat_scratch 1
		.amdhsa_float_round_mode_32 0
		.amdhsa_float_round_mode_16_64 0
		.amdhsa_float_denorm_mode_32 3
		.amdhsa_float_denorm_mode_16_64 3
		.amdhsa_dx10_clamp 1
		.amdhsa_ieee_mode 1
		.amdhsa_fp16_overflow 0
		.amdhsa_tg_split 0
		.amdhsa_exception_fp_ieee_invalid_op 0
		.amdhsa_exception_fp_denorm_src 0
		.amdhsa_exception_fp_ieee_div_zero 0
		.amdhsa_exception_fp_ieee_overflow 0
		.amdhsa_exception_fp_ieee_underflow 0
		.amdhsa_exception_fp_ieee_inexact 0
		.amdhsa_exception_int_div_zero 0
	.end_amdhsa_kernel
	.section	.text._ZN9rocsolver6v33100L18getri_kernel_smallILi43E19rocblas_complex_numIfEPS3_EEvT1_iilPiilS6_bb,"axG",@progbits,_ZN9rocsolver6v33100L18getri_kernel_smallILi43E19rocblas_complex_numIfEPS3_EEvT1_iilPiilS6_bb,comdat
.Lfunc_end42:
	.size	_ZN9rocsolver6v33100L18getri_kernel_smallILi43E19rocblas_complex_numIfEPS3_EEvT1_iilPiilS6_bb, .Lfunc_end42-_ZN9rocsolver6v33100L18getri_kernel_smallILi43E19rocblas_complex_numIfEPS3_EEvT1_iilPiilS6_bb
                                        ; -- End function
	.section	.AMDGPU.csdata,"",@progbits
; Kernel info:
; codeLenInByte = 76840
; NumSgprs: 29
; NumVgprs: 248
; NumAgprs: 0
; TotalNumVgprs: 248
; ScratchSize: 352
; MemoryBound: 0
; FloatMode: 240
; IeeeMode: 1
; LDSByteSize: 696 bytes/workgroup (compile time only)
; SGPRBlocks: 3
; VGPRBlocks: 30
; NumSGPRsForWavesPerEU: 29
; NumVGPRsForWavesPerEU: 248
; AccumOffset: 248
; Occupancy: 2
; WaveLimiterHint : 1
; COMPUTE_PGM_RSRC2:SCRATCH_EN: 1
; COMPUTE_PGM_RSRC2:USER_SGPR: 8
; COMPUTE_PGM_RSRC2:TRAP_HANDLER: 0
; COMPUTE_PGM_RSRC2:TGID_X_EN: 1
; COMPUTE_PGM_RSRC2:TGID_Y_EN: 0
; COMPUTE_PGM_RSRC2:TGID_Z_EN: 0
; COMPUTE_PGM_RSRC2:TIDIG_COMP_CNT: 0
; COMPUTE_PGM_RSRC3_GFX90A:ACCUM_OFFSET: 61
; COMPUTE_PGM_RSRC3_GFX90A:TG_SPLIT: 0
	.section	.text._ZN9rocsolver6v33100L18getri_kernel_smallILi44E19rocblas_complex_numIfEPS3_EEvT1_iilPiilS6_bb,"axG",@progbits,_ZN9rocsolver6v33100L18getri_kernel_smallILi44E19rocblas_complex_numIfEPS3_EEvT1_iilPiilS6_bb,comdat
	.globl	_ZN9rocsolver6v33100L18getri_kernel_smallILi44E19rocblas_complex_numIfEPS3_EEvT1_iilPiilS6_bb ; -- Begin function _ZN9rocsolver6v33100L18getri_kernel_smallILi44E19rocblas_complex_numIfEPS3_EEvT1_iilPiilS6_bb
	.p2align	8
	.type	_ZN9rocsolver6v33100L18getri_kernel_smallILi44E19rocblas_complex_numIfEPS3_EEvT1_iilPiilS6_bb,@function
_ZN9rocsolver6v33100L18getri_kernel_smallILi44E19rocblas_complex_numIfEPS3_EEvT1_iilPiilS6_bb: ; @_ZN9rocsolver6v33100L18getri_kernel_smallILi44E19rocblas_complex_numIfEPS3_EEvT1_iilPiilS6_bb
; %bb.0:
	s_add_u32 flat_scratch_lo, s6, s9
	s_addc_u32 flat_scratch_hi, s7, 0
	s_add_u32 s0, s0, s9
	s_addc_u32 s1, s1, 0
	v_cmp_gt_u32_e32 vcc, 44, v0
	s_and_saveexec_b64 s[6:7], vcc
	s_cbranch_execz .LBB43_190
; %bb.1:
	s_load_dword s22, s[4:5], 0x38
	s_load_dwordx4 s[16:19], s[4:5], 0x10
	s_load_dwordx4 s[12:15], s[4:5], 0x28
                                        ; implicit-def: $sgpr10_sgpr11
	s_waitcnt lgkmcnt(0)
	s_bitcmp1_b32 s22, 8
	s_cselect_b64 s[20:21], -1, 0
	s_ashr_i32 s9, s8, 31
	s_bfe_u32 s6, s22, 0x10008
	s_cmp_eq_u32 s6, 0
	s_cbranch_scc1 .LBB43_3
; %bb.2:
	s_load_dword s6, s[4:5], 0x20
	s_mul_i32 s7, s8, s13
	s_mul_hi_u32 s10, s8, s12
	s_mul_i32 s11, s9, s12
	s_add_i32 s10, s10, s7
	s_add_i32 s11, s10, s11
	s_mul_i32 s10, s8, s12
	s_waitcnt lgkmcnt(0)
	s_ashr_i32 s7, s6, 31
	s_lshl_b64 s[10:11], s[10:11], 2
	s_add_u32 s10, s18, s10
	s_addc_u32 s11, s19, s11
	s_lshl_b64 s[6:7], s[6:7], 2
	s_add_u32 s10, s10, s6
	s_addc_u32 s11, s11, s7
.LBB43_3:
	s_load_dwordx4 s[4:7], s[4:5], 0x0
	s_mul_i32 s12, s8, s17
	s_mul_hi_u32 s13, s8, s16
	s_add_i32 s17, s13, s12
	v_lshlrev_b32_e32 v6, 3, v0
	s_waitcnt lgkmcnt(0)
	s_ashr_i32 s13, s6, 31
	s_mov_b32 s12, s6
	s_mul_i32 s6, s9, s16
	s_add_i32 s17, s17, s6
	s_mul_i32 s16, s8, s16
	s_lshl_b64 s[16:17], s[16:17], 3
	s_add_u32 s6, s4, s16
	s_addc_u32 s16, s5, s17
	s_lshl_b64 s[4:5], s[12:13], 3
	s_add_u32 s4, s6, s4
	s_addc_u32 s5, s16, s5
	s_add_i32 s6, s7, s7
	v_add_u32_e32 v2, s6, v0
	v_ashrrev_i32_e32 v3, 31, v2
	v_lshlrev_b64 v[4:5], 3, v[2:3]
	v_add_u32_e32 v2, s7, v2
	v_mov_b32_e32 v1, s5
	v_add_co_u32_e32 v66, vcc, s4, v4
	v_ashrrev_i32_e32 v3, 31, v2
	v_addc_co_u32_e32 v67, vcc, v1, v5, vcc
	v_lshlrev_b64 v[4:5], 3, v[2:3]
	v_add_u32_e32 v2, s7, v2
	v_add_co_u32_e32 v68, vcc, s4, v4
	v_ashrrev_i32_e32 v3, 31, v2
	v_addc_co_u32_e32 v69, vcc, v1, v5, vcc
	v_lshlrev_b64 v[4:5], 3, v[2:3]
	v_add_u32_e32 v2, s7, v2
	;; [unrolled: 5-line block ×35, first 2 shown]
	v_add_co_u32_e32 v136, vcc, s4, v4
	v_ashrrev_i32_e32 v3, 31, v2
	v_addc_co_u32_e32 v137, vcc, v1, v5, vcc
	v_lshlrev_b64 v[4:5], 3, v[2:3]
	v_add_co_u32_e32 v138, vcc, s4, v4
	v_addc_co_u32_e32 v139, vcc, v1, v5, vcc
	v_add_co_u32_e32 v142, vcc, s4, v6
	s_ashr_i32 s13, s7, 31
	s_mov_b32 s12, s7
	v_add_u32_e32 v2, s7, v2
	v_addc_co_u32_e32 v143, vcc, 0, v1, vcc
	s_lshl_b64 s[12:13], s[12:13], 3
	v_ashrrev_i32_e32 v3, 31, v2
	v_mov_b32_e32 v1, s13
	v_add_co_u32_e32 v146, vcc, s12, v142
	v_addc_co_u32_e32 v147, vcc, v143, v1, vcc
	v_lshlrev_b64 v[10:11], 3, v[2:3]
	v_add_u32_e32 v2, s7, v2
	v_mov_b32_e32 v1, s5
	v_add_co_u32_e32 v140, vcc, s4, v10
	v_ashrrev_i32_e32 v3, 31, v2
	v_addc_co_u32_e32 v141, vcc, v1, v11, vcc
	v_lshlrev_b64 v[22:23], 3, v[2:3]
	v_add_u32_e32 v2, s7, v2
	global_load_dwordx2 v[4:5], v6, s[4:5]
	global_load_dwordx2 v[8:9], v[146:147], off
	v_add_co_u32_e32 v144, vcc, s4, v22
	v_ashrrev_i32_e32 v3, 31, v2
	v_addc_co_u32_e32 v145, vcc, v1, v23, vcc
	v_lshlrev_b64 v[38:39], 3, v[2:3]
	v_add_u32_e32 v2, s7, v2
	v_add_co_u32_e32 v148, vcc, s4, v38
	v_ashrrev_i32_e32 v3, 31, v2
	v_addc_co_u32_e32 v149, vcc, v1, v39, vcc
	v_lshlrev_b64 v[54:55], 3, v[2:3]
	v_add_u32_e32 v2, s7, v2
	v_add_co_u32_e32 v150, vcc, s4, v54
	v_ashrrev_i32_e32 v3, 31, v2
	v_addc_co_u32_e32 v151, vcc, v1, v55, vcc
	v_lshlrev_b64 v[2:3], 3, v[2:3]
	v_add_co_u32_e32 v152, vcc, s4, v2
	global_load_dwordx2 v[12:13], v[66:67], off
	global_load_dwordx2 v[14:15], v[68:69], off
	global_load_dwordx2 v[10:11], v[70:71], off
	global_load_dwordx2 v[16:17], v[72:73], off
	global_load_dwordx2 v[18:19], v[74:75], off
	global_load_dwordx2 v[20:21], v[76:77], off
	global_load_dwordx2 v[24:25], v[78:79], off
	global_load_dwordx2 v[26:27], v[80:81], off
	global_load_dwordx2 v[28:29], v[82:83], off
	global_load_dwordx2 v[30:31], v[84:85], off
	global_load_dwordx2 v[22:23], v[86:87], off
	global_load_dwordx2 v[32:33], v[88:89], off
	global_load_dwordx2 v[34:35], v[90:91], off
	global_load_dwordx2 v[36:37], v[92:93], off
	global_load_dwordx2 v[40:41], v[94:95], off
	global_load_dwordx2 v[42:43], v[96:97], off
	global_load_dwordx2 v[44:45], v[98:99], off
	global_load_dwordx2 v[46:47], v[100:101], off
	global_load_dwordx2 v[38:39], v[102:103], off
	global_load_dwordx2 v[48:49], v[104:105], off
	global_load_dwordx2 v[50:51], v[106:107], off
	global_load_dwordx2 v[52:53], v[108:109], off
	global_load_dwordx2 v[56:57], v[110:111], off
	global_load_dwordx2 v[58:59], v[112:113], off
	global_load_dwordx2 v[60:61], v[114:115], off
	global_load_dwordx2 v[62:63], v[116:117], off
	global_load_dwordx2 v[54:55], v[118:119], off
	global_load_dwordx2 v[64:65], v[120:121], off
	global_load_dwordx2 v[154:155], v[122:123], off
	global_load_dwordx2 v[156:157], v[124:125], off
	global_load_dwordx2 v[158:159], v[126:127], off
	global_load_dwordx2 v[160:161], v[128:129], off
	global_load_dwordx2 v[162:163], v[130:131], off
	global_load_dwordx2 v[164:165], v[132:133], off
	v_addc_co_u32_e32 v153, vcc, v1, v3, vcc
	global_load_dwordx2 v[2:3], v[134:135], off
	global_load_dwordx2 v[166:167], v[152:153], off
	;; [unrolled: 1-line block ×6, first 2 shown]
	s_bitcmp0_b32 s22, 0
	s_mov_b64 s[6:7], -1
	s_waitcnt vmcnt(41)
	buffer_store_dword v5, off, s[0:3], 0 offset:4
	buffer_store_dword v4, off, s[0:3], 0
	global_load_dwordx2 v[4:5], v[140:141], off
	s_waitcnt vmcnt(43)
	buffer_store_dword v9, off, s[0:3], 0 offset:12
	buffer_store_dword v8, off, s[0:3], 0 offset:8
	global_load_dwordx2 v[8:9], v[148:149], off
	s_waitcnt vmcnt(45)
	buffer_store_dword v13, off, s[0:3], 0 offset:20
	buffer_store_dword v12, off, s[0:3], 0 offset:16
	s_waitcnt vmcnt(46)
	buffer_store_dword v15, off, s[0:3], 0 offset:28
	buffer_store_dword v14, off, s[0:3], 0 offset:24
	;; [unrolled: 3-line block ×19, first 2 shown]
	buffer_store_dword v48, off, s[0:3], 0 offset:168
	buffer_store_dword v49, off, s[0:3], 0 offset:172
	s_waitcnt vmcnt(62)
	buffer_store_dword v50, off, s[0:3], 0 offset:176
	buffer_store_dword v51, off, s[0:3], 0 offset:180
	buffer_store_dword v52, off, s[0:3], 0 offset:184
	buffer_store_dword v53, off, s[0:3], 0 offset:188
	buffer_store_dword v56, off, s[0:3], 0 offset:192
	buffer_store_dword v57, off, s[0:3], 0 offset:196
	buffer_store_dword v59, off, s[0:3], 0 offset:204
	buffer_store_dword v58, off, s[0:3], 0 offset:200
	s_waitcnt vmcnt(62)
	buffer_store_dword v61, off, s[0:3], 0 offset:212
	buffer_store_dword v60, off, s[0:3], 0 offset:208
	;; [unrolled: 1-line block ×16, first 2 shown]
	s_waitcnt vmcnt(62)
	buffer_store_dword v162, off, s[0:3], 0 offset:272
	buffer_store_dword v163, off, s[0:3], 0 offset:276
	;; [unrolled: 1-line block ×20, first 2 shown]
	s_cbranch_scc1 .LBB43_188
; %bb.4:
	v_cmp_eq_u32_e64 s[4:5], 0, v0
	s_and_saveexec_b64 s[6:7], s[4:5]
	s_cbranch_execz .LBB43_6
; %bb.5:
	v_mov_b32_e32 v1, 0
	ds_write_b32 v1, v1 offset:704
.LBB43_6:
	s_or_b64 exec, exec, s[6:7]
	v_mov_b32_e32 v1, 0
	v_lshl_add_u32 v7, v0, 3, v1
	s_waitcnt lgkmcnt(0)
	; wave barrier
	s_waitcnt lgkmcnt(0)
	buffer_load_dword v1, v7, s[0:3], 0 offen
	buffer_load_dword v2, v7, s[0:3], 0 offen offset:4
	s_waitcnt vmcnt(1)
	v_cmp_eq_f32_e32 vcc, 0, v1
	s_waitcnt vmcnt(0)
	v_cmp_eq_f32_e64 s[6:7], 0, v2
	s_and_b64 s[6:7], vcc, s[6:7]
	s_and_saveexec_b64 s[12:13], s[6:7]
	s_cbranch_execz .LBB43_10
; %bb.7:
	v_mov_b32_e32 v1, 0
	ds_read_b32 v3, v1 offset:704
	v_add_u32_e32 v2, 1, v0
	s_waitcnt lgkmcnt(0)
	v_readfirstlane_b32 s6, v3
	s_cmp_eq_u32 s6, 0
	s_cselect_b64 s[16:17], -1, 0
	v_cmp_gt_i32_e32 vcc, s6, v2
	s_or_b64 s[16:17], s[16:17], vcc
	s_and_b64 exec, exec, s[16:17]
	s_cbranch_execz .LBB43_10
; %bb.8:
	s_mov_b64 s[16:17], 0
	v_mov_b32_e32 v3, s6
.LBB43_9:                               ; =>This Inner Loop Header: Depth=1
	ds_cmpst_rtn_b32 v3, v1, v3, v2 offset:704
	s_waitcnt lgkmcnt(0)
	v_cmp_ne_u32_e32 vcc, 0, v3
	v_cmp_le_i32_e64 s[6:7], v3, v2
	s_and_b64 s[6:7], vcc, s[6:7]
	s_and_b64 s[6:7], exec, s[6:7]
	s_or_b64 s[16:17], s[6:7], s[16:17]
	s_andn2_b64 exec, exec, s[16:17]
	s_cbranch_execnz .LBB43_9
.LBB43_10:
	s_or_b64 exec, exec, s[12:13]
	v_mov_b32_e32 v2, 0
	s_waitcnt lgkmcnt(0)
	; wave barrier
	ds_read_b32 v1, v2 offset:704
	s_and_saveexec_b64 s[6:7], s[4:5]
	s_cbranch_execz .LBB43_12
; %bb.11:
	s_lshl_b64 s[12:13], s[8:9], 2
	s_add_u32 s12, s14, s12
	s_addc_u32 s13, s15, s13
	s_waitcnt lgkmcnt(0)
	global_store_dword v2, v1, s[12:13]
.LBB43_12:
	s_or_b64 exec, exec, s[6:7]
	s_waitcnt lgkmcnt(0)
	v_cmp_ne_u32_e32 vcc, 0, v1
	s_mov_b64 s[6:7], 0
	s_cbranch_vccnz .LBB43_188
; %bb.13:
	buffer_load_dword v8, v7, s[0:3], 0 offen offset:4
	buffer_load_dword v3, v7, s[0:3], 0 offen
	s_waitcnt vmcnt(1)
	v_cmp_gt_f32_e32 vcc, 0, v8
	v_cndmask_b32_e64 v1, v8, -v8, vcc
	s_waitcnt vmcnt(0)
	v_cmp_gt_f32_e32 vcc, 0, v3
	v_cndmask_b32_e64 v2, v3, -v3, vcc
	v_cmp_ngt_f32_e32 vcc, v2, v1
                                        ; implicit-def: $vgpr1
                                        ; implicit-def: $vgpr2
	s_and_saveexec_b64 s[6:7], vcc
	s_xor_b64 s[6:7], exec, s[6:7]
                                        ; implicit-def: $vgpr4_vgpr5
	s_cbranch_execz .LBB43_15
; %bb.14:
	v_div_scale_f32 v1, s[12:13], v8, v8, v3
	v_rcp_f32_e32 v2, v1
	v_div_scale_f32 v4, vcc, v3, v8, v3
	v_fma_f32 v5, -v1, v2, 1.0
	v_fmac_f32_e32 v2, v5, v2
	v_mul_f32_e32 v5, v4, v2
	v_fma_f32 v9, -v1, v5, v4
	v_fmac_f32_e32 v5, v9, v2
	v_fma_f32 v1, -v1, v5, v4
	v_div_fmas_f32 v1, v1, v2, v5
	v_div_fixup_f32 v2, v1, v8, v3
	v_fmac_f32_e32 v8, v3, v2
	v_div_scale_f32 v1, s[12:13], v8, v8, -1.0
	v_rcp_f32_e32 v3, v1
	v_fma_f32 v4, -v1, v3, 1.0
	v_fmac_f32_e32 v3, v4, v3
	v_div_scale_f32 v4, vcc, -1.0, v8, -1.0
	v_mul_f32_e32 v5, v4, v3
	v_fma_f32 v9, -v1, v5, v4
	v_fmac_f32_e32 v5, v9, v3
	v_fma_f32 v1, -v1, v5, v4
	v_div_fmas_f32 v1, v1, v3, v5
	v_div_fixup_f32 v1, v1, v8, -1.0
	v_mul_f32_e32 v2, v2, v1
	v_xor_b32_e32 v4, 0x80000000, v2
                                        ; implicit-def: $vgpr3
                                        ; implicit-def: $vgpr8
.LBB43_15:
	s_andn2_saveexec_b64 s[6:7], s[6:7]
	s_cbranch_execz .LBB43_17
; %bb.16:
	v_div_scale_f32 v1, s[12:13], v3, v3, v8
	v_rcp_f32_e32 v2, v1
	v_div_scale_f32 v4, vcc, v8, v3, v8
	v_fma_f32 v5, -v1, v2, 1.0
	v_fmac_f32_e32 v2, v5, v2
	v_mul_f32_e32 v5, v4, v2
	v_fma_f32 v9, -v1, v5, v4
	v_fmac_f32_e32 v5, v9, v2
	v_fma_f32 v1, -v1, v5, v4
	v_div_fmas_f32 v1, v1, v2, v5
	v_div_fixup_f32 v1, v1, v3, v8
	v_fmac_f32_e32 v3, v8, v1
	v_div_scale_f32 v2, s[12:13], v3, v3, 1.0
	v_rcp_f32_e32 v4, v2
	v_fma_f32 v5, -v2, v4, 1.0
	v_fmac_f32_e32 v4, v5, v4
	v_div_scale_f32 v5, vcc, 1.0, v3, 1.0
	v_mul_f32_e32 v8, v5, v4
	v_fma_f32 v9, -v2, v8, v5
	v_fmac_f32_e32 v8, v9, v4
	v_fma_f32 v2, -v2, v8, v5
	v_div_fmas_f32 v2, v2, v4, v8
	v_div_fixup_f32 v4, v2, v3, 1.0
	v_xor_b32_e32 v2, 0x80000000, v4
	v_mul_f32_e64 v1, v1, -v4
.LBB43_17:
	s_or_b64 exec, exec, s[6:7]
	buffer_store_dword v1, v7, s[0:3], 0 offen offset:4
	buffer_store_dword v4, v7, s[0:3], 0 offen
	buffer_load_dword v5, off, s[0:3], 0 offset:12
	s_nop 0
	buffer_load_dword v4, off, s[0:3], 0 offset:8
	v_xor_b32_e32 v3, 0x80000000, v1
	v_add_u32_e32 v1, 0x160, v6
	s_waitcnt vmcnt(0)
	ds_write2_b64 v6, v[2:3], v[4:5] offset1:44
	s_waitcnt lgkmcnt(0)
	; wave barrier
	s_waitcnt lgkmcnt(0)
	s_and_saveexec_b64 s[6:7], s[4:5]
	s_cbranch_execz .LBB43_19
; %bb.18:
	buffer_load_dword v8, v7, s[0:3], 0 offen offset:4
	buffer_load_dword v9, v7, s[0:3], 0 offen
	ds_read_b64 v[2:3], v1
	v_mov_b32_e32 v4, 0
	ds_read_b64 v[4:5], v4 offset:8
	s_waitcnt vmcnt(1) lgkmcnt(1)
	v_mul_f32_e32 v10, v3, v8
	v_mul_f32_e32 v8, v2, v8
	s_waitcnt vmcnt(0)
	v_fmac_f32_e32 v8, v3, v9
	v_fma_f32 v2, v2, v9, -v10
	v_add_f32_e32 v3, 0, v8
	v_add_f32_e32 v2, 0, v2
	s_waitcnt lgkmcnt(0)
	v_mul_f32_e32 v8, v3, v5
	v_mul_f32_e32 v5, v2, v5
	v_fma_f32 v2, v2, v4, -v8
	v_fmac_f32_e32 v5, v3, v4
	buffer_store_dword v2, off, s[0:3], 0 offset:8
	buffer_store_dword v5, off, s[0:3], 0 offset:12
.LBB43_19:
	s_or_b64 exec, exec, s[6:7]
	s_waitcnt lgkmcnt(0)
	; wave barrier
	buffer_load_dword v2, off, s[0:3], 0 offset:16
	buffer_load_dword v3, off, s[0:3], 0 offset:20
	v_cmp_gt_u32_e32 vcc, 2, v0
	s_waitcnt vmcnt(0)
	ds_write_b64 v1, v[2:3]
	s_waitcnt lgkmcnt(0)
	; wave barrier
	s_waitcnt lgkmcnt(0)
	s_and_saveexec_b64 s[6:7], vcc
	s_cbranch_execz .LBB43_23
; %bb.20:
	buffer_load_dword v4, v7, s[0:3], 0 offen offset:4
	buffer_load_dword v5, v7, s[0:3], 0 offen
	ds_read_b64 v[2:3], v1
	s_waitcnt vmcnt(1) lgkmcnt(0)
	v_mul_f32_e32 v7, v3, v4
	v_mul_f32_e32 v4, v2, v4
	s_waitcnt vmcnt(0)
	v_fma_f32 v2, v2, v5, -v7
	v_fmac_f32_e32 v4, v3, v5
	v_add_f32_e32 v3, 0, v2
	v_add_f32_e32 v2, 0, v4
	s_and_saveexec_b64 s[12:13], s[4:5]
	s_cbranch_execz .LBB43_22
; %bb.21:
	buffer_load_dword v7, off, s[0:3], 0 offset:12
	buffer_load_dword v8, off, s[0:3], 0 offset:8
	v_mov_b32_e32 v4, 0
	ds_read_b64 v[4:5], v4 offset:360
	s_waitcnt vmcnt(1) lgkmcnt(0)
	v_mul_f32_e32 v9, v4, v7
	v_mul_f32_e32 v7, v5, v7
	s_waitcnt vmcnt(0)
	v_fmac_f32_e32 v9, v5, v8
	v_fma_f32 v4, v4, v8, -v7
	v_add_f32_e32 v2, v2, v9
	v_add_f32_e32 v3, v3, v4
.LBB43_22:
	s_or_b64 exec, exec, s[12:13]
	v_mov_b32_e32 v4, 0
	ds_read_b64 v[4:5], v4 offset:16
	s_waitcnt lgkmcnt(0)
	v_mul_f32_e32 v7, v2, v5
	v_mul_f32_e32 v5, v3, v5
	v_fma_f32 v3, v3, v4, -v7
	v_fmac_f32_e32 v5, v2, v4
	buffer_store_dword v3, off, s[0:3], 0 offset:16
	buffer_store_dword v5, off, s[0:3], 0 offset:20
.LBB43_23:
	s_or_b64 exec, exec, s[6:7]
	s_waitcnt lgkmcnt(0)
	; wave barrier
	buffer_load_dword v2, off, s[0:3], 0 offset:24
	buffer_load_dword v3, off, s[0:3], 0 offset:28
	v_cmp_gt_u32_e32 vcc, 3, v0
	s_waitcnt vmcnt(0)
	ds_write_b64 v1, v[2:3]
	v_add_u32_e32 v2, -1, v0
	s_waitcnt lgkmcnt(0)
	; wave barrier
	s_waitcnt lgkmcnt(0)
	s_and_saveexec_b64 s[4:5], vcc
	s_cbranch_execz .LBB43_27
; %bb.24:
	v_add_u32_e32 v4, -1, v0
	v_add_u32_e32 v5, 0x160, v6
	v_add_u32_e32 v7, 0, v6
	s_mov_b64 s[6:7], 0
	v_mov_b32_e32 v3, 0
	v_mov_b32_e32 v8, 0
.LBB43_25:                              ; =>This Inner Loop Header: Depth=1
	buffer_load_dword v9, v7, s[0:3], 0 offen offset:4
	buffer_load_dword v12, v7, s[0:3], 0 offen
	ds_read_b64 v[10:11], v5
	v_add_u32_e32 v4, 1, v4
	v_cmp_lt_u32_e32 vcc, 1, v4
	v_add_u32_e32 v5, 8, v5
	v_add_u32_e32 v7, 8, v7
	s_or_b64 s[6:7], vcc, s[6:7]
	s_waitcnt vmcnt(1) lgkmcnt(0)
	v_mul_f32_e32 v13, v11, v9
	v_mul_f32_e32 v9, v10, v9
	s_waitcnt vmcnt(0)
	v_fma_f32 v10, v10, v12, -v13
	v_fmac_f32_e32 v9, v11, v12
	v_add_f32_e32 v8, v8, v10
	v_add_f32_e32 v3, v3, v9
	s_andn2_b64 exec, exec, s[6:7]
	s_cbranch_execnz .LBB43_25
; %bb.26:
	s_or_b64 exec, exec, s[6:7]
	v_mov_b32_e32 v4, 0
	ds_read_b64 v[4:5], v4 offset:24
	s_waitcnt lgkmcnt(0)
	v_mul_f32_e32 v7, v3, v5
	v_mul_f32_e32 v5, v8, v5
	v_fma_f32 v7, v8, v4, -v7
	v_fmac_f32_e32 v5, v3, v4
	buffer_store_dword v7, off, s[0:3], 0 offset:24
	buffer_store_dword v5, off, s[0:3], 0 offset:28
.LBB43_27:
	s_or_b64 exec, exec, s[4:5]
	s_waitcnt lgkmcnt(0)
	; wave barrier
	buffer_load_dword v4, off, s[0:3], 0 offset:32
	buffer_load_dword v5, off, s[0:3], 0 offset:36
	v_cmp_gt_u32_e32 vcc, 4, v0
	s_waitcnt vmcnt(0)
	ds_write_b64 v1, v[4:5]
	s_waitcnt lgkmcnt(0)
	; wave barrier
	s_waitcnt lgkmcnt(0)
	s_and_saveexec_b64 s[4:5], vcc
	s_cbranch_execz .LBB43_31
; %bb.28:
	v_add_u32_e32 v4, -1, v0
	v_add_u32_e32 v5, 0x160, v6
	v_add_u32_e32 v7, 0, v6
	s_mov_b64 s[6:7], 0
	v_mov_b32_e32 v3, 0
	v_mov_b32_e32 v8, 0
.LBB43_29:                              ; =>This Inner Loop Header: Depth=1
	buffer_load_dword v9, v7, s[0:3], 0 offen offset:4
	buffer_load_dword v12, v7, s[0:3], 0 offen
	ds_read_b64 v[10:11], v5
	v_add_u32_e32 v4, 1, v4
	v_cmp_lt_u32_e32 vcc, 2, v4
	v_add_u32_e32 v5, 8, v5
	v_add_u32_e32 v7, 8, v7
	s_or_b64 s[6:7], vcc, s[6:7]
	s_waitcnt vmcnt(1) lgkmcnt(0)
	v_mul_f32_e32 v13, v11, v9
	v_mul_f32_e32 v9, v10, v9
	s_waitcnt vmcnt(0)
	v_fma_f32 v10, v10, v12, -v13
	v_fmac_f32_e32 v9, v11, v12
	v_add_f32_e32 v8, v8, v10
	v_add_f32_e32 v3, v3, v9
	s_andn2_b64 exec, exec, s[6:7]
	s_cbranch_execnz .LBB43_29
; %bb.30:
	s_or_b64 exec, exec, s[6:7]
	v_mov_b32_e32 v4, 0
	ds_read_b64 v[4:5], v4 offset:32
	s_waitcnt lgkmcnt(0)
	v_mul_f32_e32 v7, v3, v5
	v_mul_f32_e32 v5, v8, v5
	v_fma_f32 v7, v8, v4, -v7
	v_fmac_f32_e32 v5, v3, v4
	buffer_store_dword v7, off, s[0:3], 0 offset:32
	buffer_store_dword v5, off, s[0:3], 0 offset:36
.LBB43_31:
	s_or_b64 exec, exec, s[4:5]
	s_waitcnt lgkmcnt(0)
	; wave barrier
	buffer_load_dword v4, off, s[0:3], 0 offset:40
	buffer_load_dword v5, off, s[0:3], 0 offset:44
	v_cmp_gt_u32_e32 vcc, 5, v0
	s_waitcnt vmcnt(0)
	ds_write_b64 v1, v[4:5]
	;; [unrolled: 51-line block ×19, first 2 shown]
	s_waitcnt lgkmcnt(0)
	; wave barrier
	s_waitcnt lgkmcnt(0)
	s_and_saveexec_b64 s[4:5], vcc
	s_cbranch_execz .LBB43_103
; %bb.100:
	v_add_u32_e32 v4, -1, v0
	v_add_u32_e32 v5, 0x160, v6
	v_add_u32_e32 v7, 0, v6
	s_mov_b64 s[6:7], 0
	v_mov_b32_e32 v3, 0
	v_mov_b32_e32 v8, 0
.LBB43_101:                             ; =>This Inner Loop Header: Depth=1
	buffer_load_dword v9, v7, s[0:3], 0 offen offset:4
	buffer_load_dword v12, v7, s[0:3], 0 offen
	ds_read_b64 v[10:11], v5
	v_add_u32_e32 v4, 1, v4
	v_cmp_lt_u32_e32 vcc, 20, v4
	v_add_u32_e32 v5, 8, v5
	v_add_u32_e32 v7, 8, v7
	s_or_b64 s[6:7], vcc, s[6:7]
	s_waitcnt vmcnt(1) lgkmcnt(0)
	v_mul_f32_e32 v13, v11, v9
	v_mul_f32_e32 v9, v10, v9
	s_waitcnt vmcnt(0)
	v_fma_f32 v10, v10, v12, -v13
	v_fmac_f32_e32 v9, v11, v12
	v_add_f32_e32 v8, v8, v10
	v_add_f32_e32 v3, v3, v9
	s_andn2_b64 exec, exec, s[6:7]
	s_cbranch_execnz .LBB43_101
; %bb.102:
	s_or_b64 exec, exec, s[6:7]
	v_mov_b32_e32 v4, 0
	ds_read_b64 v[4:5], v4 offset:176
	s_waitcnt lgkmcnt(0)
	v_mul_f32_e32 v7, v3, v5
	v_mul_f32_e32 v5, v8, v5
	v_fma_f32 v7, v8, v4, -v7
	v_fmac_f32_e32 v5, v3, v4
	buffer_store_dword v7, off, s[0:3], 0 offset:176
	buffer_store_dword v5, off, s[0:3], 0 offset:180
.LBB43_103:
	s_or_b64 exec, exec, s[4:5]
	s_waitcnt lgkmcnt(0)
	; wave barrier
	buffer_load_dword v4, off, s[0:3], 0 offset:184
	buffer_load_dword v5, off, s[0:3], 0 offset:188
	v_cmp_gt_u32_e32 vcc, 23, v0
	s_waitcnt vmcnt(0)
	ds_write_b64 v1, v[4:5]
	s_waitcnt lgkmcnt(0)
	; wave barrier
	s_waitcnt lgkmcnt(0)
	s_and_saveexec_b64 s[4:5], vcc
	s_cbranch_execz .LBB43_107
; %bb.104:
	v_add_u32_e32 v4, -1, v0
	v_add_u32_e32 v5, 0x160, v6
	v_add_u32_e32 v7, 0, v6
	s_mov_b64 s[6:7], 0
	v_mov_b32_e32 v3, 0
	v_mov_b32_e32 v8, 0
.LBB43_105:                             ; =>This Inner Loop Header: Depth=1
	buffer_load_dword v9, v7, s[0:3], 0 offen offset:4
	buffer_load_dword v12, v7, s[0:3], 0 offen
	ds_read_b64 v[10:11], v5
	v_add_u32_e32 v4, 1, v4
	v_cmp_lt_u32_e32 vcc, 21, v4
	v_add_u32_e32 v5, 8, v5
	v_add_u32_e32 v7, 8, v7
	s_or_b64 s[6:7], vcc, s[6:7]
	s_waitcnt vmcnt(1) lgkmcnt(0)
	v_mul_f32_e32 v13, v11, v9
	v_mul_f32_e32 v9, v10, v9
	s_waitcnt vmcnt(0)
	v_fma_f32 v10, v10, v12, -v13
	v_fmac_f32_e32 v9, v11, v12
	v_add_f32_e32 v8, v8, v10
	v_add_f32_e32 v3, v3, v9
	s_andn2_b64 exec, exec, s[6:7]
	s_cbranch_execnz .LBB43_105
; %bb.106:
	s_or_b64 exec, exec, s[6:7]
	v_mov_b32_e32 v4, 0
	ds_read_b64 v[4:5], v4 offset:184
	s_waitcnt lgkmcnt(0)
	v_mul_f32_e32 v7, v3, v5
	v_mul_f32_e32 v5, v8, v5
	v_fma_f32 v7, v8, v4, -v7
	v_fmac_f32_e32 v5, v3, v4
	buffer_store_dword v7, off, s[0:3], 0 offset:184
	buffer_store_dword v5, off, s[0:3], 0 offset:188
.LBB43_107:
	s_or_b64 exec, exec, s[4:5]
	s_waitcnt lgkmcnt(0)
	; wave barrier
	buffer_load_dword v4, off, s[0:3], 0 offset:192
	buffer_load_dword v5, off, s[0:3], 0 offset:196
	v_cmp_gt_u32_e32 vcc, 24, v0
	s_waitcnt vmcnt(0)
	ds_write_b64 v1, v[4:5]
	;; [unrolled: 51-line block ×20, first 2 shown]
	s_waitcnt lgkmcnt(0)
	; wave barrier
	s_waitcnt lgkmcnt(0)
	s_and_saveexec_b64 s[4:5], vcc
	s_cbranch_execz .LBB43_183
; %bb.180:
	v_add_u32_e32 v4, -1, v0
	v_add_u32_e32 v5, 0x160, v6
	v_add_u32_e32 v7, 0, v6
	s_mov_b64 s[6:7], 0
	v_mov_b32_e32 v3, 0
	v_mov_b32_e32 v8, 0
.LBB43_181:                             ; =>This Inner Loop Header: Depth=1
	buffer_load_dword v9, v7, s[0:3], 0 offen offset:4
	buffer_load_dword v12, v7, s[0:3], 0 offen
	ds_read_b64 v[10:11], v5
	v_add_u32_e32 v4, 1, v4
	v_cmp_lt_u32_e32 vcc, 40, v4
	v_add_u32_e32 v5, 8, v5
	v_add_u32_e32 v7, 8, v7
	s_or_b64 s[6:7], vcc, s[6:7]
	s_waitcnt vmcnt(1) lgkmcnt(0)
	v_mul_f32_e32 v13, v11, v9
	v_mul_f32_e32 v9, v10, v9
	s_waitcnt vmcnt(0)
	v_fma_f32 v10, v10, v12, -v13
	v_fmac_f32_e32 v9, v11, v12
	v_add_f32_e32 v8, v8, v10
	v_add_f32_e32 v3, v3, v9
	s_andn2_b64 exec, exec, s[6:7]
	s_cbranch_execnz .LBB43_181
; %bb.182:
	s_or_b64 exec, exec, s[6:7]
	v_mov_b32_e32 v4, 0
	ds_read_b64 v[4:5], v4 offset:336
	s_waitcnt lgkmcnt(0)
	v_mul_f32_e32 v7, v3, v5
	v_mul_f32_e32 v5, v8, v5
	v_fma_f32 v7, v8, v4, -v7
	v_fmac_f32_e32 v5, v3, v4
	buffer_store_dword v7, off, s[0:3], 0 offset:336
	buffer_store_dword v5, off, s[0:3], 0 offset:340
.LBB43_183:
	s_or_b64 exec, exec, s[4:5]
	s_waitcnt lgkmcnt(0)
	; wave barrier
	buffer_load_dword v4, off, s[0:3], 0 offset:344
	buffer_load_dword v5, off, s[0:3], 0 offset:348
	v_cmp_ne_u32_e32 vcc, 43, v0
	s_waitcnt vmcnt(0)
	ds_write_b64 v1, v[4:5]
	s_waitcnt lgkmcnt(0)
	; wave barrier
	s_waitcnt lgkmcnt(0)
	s_and_saveexec_b64 s[4:5], vcc
	s_cbranch_execz .LBB43_187
; %bb.184:
	v_add_u32_e32 v3, 0x160, v6
	v_add_u32_e32 v4, 0, v6
	s_mov_b64 s[6:7], 0
	v_mov_b32_e32 v1, 0
	v_mov_b32_e32 v5, 0
.LBB43_185:                             ; =>This Inner Loop Header: Depth=1
	buffer_load_dword v8, v4, s[0:3], 0 offen offset:4
	buffer_load_dword v9, v4, s[0:3], 0 offen
	ds_read_b64 v[6:7], v3
	v_add_u32_e32 v2, 1, v2
	v_cmp_lt_u32_e32 vcc, 41, v2
	v_add_u32_e32 v3, 8, v3
	v_add_u32_e32 v4, 8, v4
	s_or_b64 s[6:7], vcc, s[6:7]
	s_waitcnt vmcnt(1) lgkmcnt(0)
	v_mul_f32_e32 v10, v7, v8
	v_mul_f32_e32 v8, v6, v8
	s_waitcnt vmcnt(0)
	v_fma_f32 v6, v6, v9, -v10
	v_fmac_f32_e32 v8, v7, v9
	v_add_f32_e32 v5, v5, v6
	v_add_f32_e32 v1, v1, v8
	s_andn2_b64 exec, exec, s[6:7]
	s_cbranch_execnz .LBB43_185
; %bb.186:
	s_or_b64 exec, exec, s[6:7]
	v_mov_b32_e32 v2, 0
	ds_read_b64 v[2:3], v2 offset:344
	s_waitcnt lgkmcnt(0)
	v_mul_f32_e32 v4, v1, v3
	v_mul_f32_e32 v3, v5, v3
	v_fma_f32 v4, v5, v2, -v4
	v_fmac_f32_e32 v3, v1, v2
	buffer_store_dword v4, off, s[0:3], 0 offset:344
	buffer_store_dword v3, off, s[0:3], 0 offset:348
.LBB43_187:
	s_or_b64 exec, exec, s[4:5]
	s_mov_b64 s[6:7], -1
	s_waitcnt lgkmcnt(0)
	; wave barrier
.LBB43_188:
	s_and_b64 vcc, exec, s[6:7]
	s_cbranch_vccz .LBB43_190
; %bb.189:
	s_lshl_b64 s[4:5], s[8:9], 2
	s_add_u32 s4, s14, s4
	s_addc_u32 s5, s15, s5
	v_mov_b32_e32 v1, 0
	global_load_dword v1, v1, s[4:5]
	s_waitcnt vmcnt(0)
	v_cmp_ne_u32_e32 vcc, 0, v1
	s_cbranch_vccz .LBB43_191
.LBB43_190:
	s_endpgm
.LBB43_191:
	v_mov_b32_e32 v1, 0x160
	v_lshl_add_u32 v1, v0, 3, v1
	v_cmp_eq_u32_e32 vcc, 43, v0
	s_and_saveexec_b64 s[4:5], vcc
	s_cbranch_execz .LBB43_193
; %bb.192:
	buffer_load_dword v2, off, s[0:3], 0 offset:336
	buffer_load_dword v3, off, s[0:3], 0 offset:340
	v_mov_b32_e32 v4, 0
	buffer_store_dword v4, off, s[0:3], 0 offset:336
	buffer_store_dword v4, off, s[0:3], 0 offset:340
	s_waitcnt vmcnt(2)
	ds_write_b64 v1, v[2:3]
.LBB43_193:
	s_or_b64 exec, exec, s[4:5]
	s_waitcnt lgkmcnt(0)
	; wave barrier
	s_waitcnt lgkmcnt(0)
	buffer_load_dword v5, off, s[0:3], 0 offset:348
	buffer_load_dword v4, off, s[0:3], 0 offset:344
	;; [unrolled: 1-line block ×4, first 2 shown]
	v_mov_b32_e32 v2, 0
	ds_read_b64 v[8:9], v2 offset:696
	v_cmp_lt_u32_e32 vcc, 41, v0
	s_waitcnt vmcnt(3)
	v_mov_b32_e32 v10, v5
	s_waitcnt lgkmcnt(0)
	v_pk_mul_f32 v[10:11], v[8:9], v[10:11] op_sel_hi:[1,0]
	s_waitcnt vmcnt(2)
	v_pk_fma_f32 v[12:13], v[8:9], v[4:5], v[10:11] op_sel:[0,0,1] op_sel_hi:[1,1,0] neg_lo:[0,0,1] neg_hi:[0,0,1]
	v_pk_fma_f32 v[4:5], v[8:9], v[4:5], v[10:11] op_sel:[0,0,1] op_sel_hi:[1,0,0]
	v_mov_b32_e32 v13, v5
	v_pk_add_f32 v[4:5], v[12:13], 0 op_sel_hi:[1,0]
	s_waitcnt vmcnt(0)
	v_pk_add_f32 v[4:5], v[6:7], v[4:5] neg_lo:[0,1] neg_hi:[0,1]
	buffer_store_dword v4, off, s[0:3], 0 offset:336
	buffer_store_dword v5, off, s[0:3], 0 offset:340
	s_and_saveexec_b64 s[4:5], vcc
	s_cbranch_execz .LBB43_195
; %bb.194:
	buffer_load_dword v4, off, s[0:3], 0 offset:328
	buffer_load_dword v5, off, s[0:3], 0 offset:332
	s_waitcnt vmcnt(0)
	ds_write_b64 v1, v[4:5]
	buffer_store_dword v2, off, s[0:3], 0 offset:328
	buffer_store_dword v2, off, s[0:3], 0 offset:332
.LBB43_195:
	s_or_b64 exec, exec, s[4:5]
	s_waitcnt lgkmcnt(0)
	; wave barrier
	s_waitcnt lgkmcnt(0)
	buffer_load_dword v7, off, s[0:3], 0 offset:340
	buffer_load_dword v9, off, s[0:3], 0 offset:348
	;; [unrolled: 1-line block ×6, first 2 shown]
	ds_read_b128 v[2:5], v2 offset:688
	v_cmp_lt_u32_e32 vcc, 40, v0
	s_waitcnt vmcnt(5)
	v_mov_b32_e32 v12, v7
	s_waitcnt vmcnt(4)
	v_mov_b32_e32 v14, v9
	s_waitcnt lgkmcnt(0)
	v_pk_mul_f32 v[12:13], v[2:3], v[12:13] op_sel_hi:[1,0]
	v_pk_mul_f32 v[14:15], v[4:5], v[14:15] op_sel_hi:[1,0]
	s_waitcnt vmcnt(3)
	v_pk_fma_f32 v[16:17], v[2:3], v[6:7], v[12:13] op_sel:[0,0,1] op_sel_hi:[1,1,0] neg_lo:[0,0,1] neg_hi:[0,0,1]
	v_pk_fma_f32 v[2:3], v[2:3], v[6:7], v[12:13] op_sel:[0,0,1] op_sel_hi:[1,0,0]
	s_waitcnt vmcnt(2)
	v_pk_fma_f32 v[6:7], v[4:5], v[8:9], v[14:15] op_sel:[0,0,1] op_sel_hi:[1,1,0] neg_lo:[0,0,1] neg_hi:[0,0,1]
	v_pk_fma_f32 v[4:5], v[4:5], v[8:9], v[14:15] op_sel:[0,0,1] op_sel_hi:[1,0,0]
	v_mov_b32_e32 v17, v3
	v_mov_b32_e32 v7, v5
	v_pk_add_f32 v[2:3], v[16:17], 0 op_sel_hi:[1,0]
	v_pk_add_f32 v[2:3], v[2:3], v[6:7]
	s_waitcnt vmcnt(0)
	v_pk_add_f32 v[2:3], v[10:11], v[2:3] neg_lo:[0,1] neg_hi:[0,1]
	buffer_store_dword v2, off, s[0:3], 0 offset:328
	buffer_store_dword v3, off, s[0:3], 0 offset:332
	s_and_saveexec_b64 s[4:5], vcc
	s_cbranch_execz .LBB43_197
; %bb.196:
	buffer_load_dword v2, off, s[0:3], 0 offset:320
	buffer_load_dword v3, off, s[0:3], 0 offset:324
	v_mov_b32_e32 v4, 0
	buffer_store_dword v4, off, s[0:3], 0 offset:320
	buffer_store_dword v4, off, s[0:3], 0 offset:324
	s_waitcnt vmcnt(2)
	ds_write_b64 v1, v[2:3]
.LBB43_197:
	s_or_b64 exec, exec, s[4:5]
	s_waitcnt lgkmcnt(0)
	; wave barrier
	s_waitcnt lgkmcnt(0)
	buffer_load_dword v9, off, s[0:3], 0 offset:332
	buffer_load_dword v11, off, s[0:3], 0 offset:340
	;; [unrolled: 1-line block ×8, first 2 shown]
	v_mov_b32_e32 v2, 0
	ds_read2_b64 v[4:7], v2 offset0:85 offset1:86
	ds_read_b64 v[16:17], v2 offset:696
	v_cmp_lt_u32_e32 vcc, 39, v0
	s_waitcnt vmcnt(7)
	v_mov_b32_e32 v18, v9
	s_waitcnt vmcnt(6)
	v_mov_b32_e32 v20, v11
	s_waitcnt lgkmcnt(1)
	v_pk_mul_f32 v[18:19], v[4:5], v[18:19] op_sel_hi:[1,0]
	s_waitcnt vmcnt(5)
	v_mov_b32_e32 v22, v13
	v_pk_mul_f32 v[20:21], v[6:7], v[20:21] op_sel_hi:[1,0]
	s_waitcnt vmcnt(4)
	v_pk_fma_f32 v[24:25], v[4:5], v[8:9], v[18:19] op_sel:[0,0,1] op_sel_hi:[1,1,0] neg_lo:[0,0,1] neg_hi:[0,0,1]
	v_pk_fma_f32 v[4:5], v[4:5], v[8:9], v[18:19] op_sel:[0,0,1] op_sel_hi:[1,0,0]
	s_waitcnt lgkmcnt(0)
	v_pk_mul_f32 v[22:23], v[16:17], v[22:23] op_sel_hi:[1,0]
	s_waitcnt vmcnt(3)
	v_pk_fma_f32 v[8:9], v[6:7], v[10:11], v[20:21] op_sel:[0,0,1] op_sel_hi:[1,1,0] neg_lo:[0,0,1] neg_hi:[0,0,1]
	v_pk_fma_f32 v[6:7], v[6:7], v[10:11], v[20:21] op_sel:[0,0,1] op_sel_hi:[1,0,0]
	v_mov_b32_e32 v25, v5
	s_waitcnt vmcnt(2)
	v_pk_fma_f32 v[10:11], v[16:17], v[12:13], v[22:23] op_sel:[0,0,1] op_sel_hi:[1,1,0] neg_lo:[0,0,1] neg_hi:[0,0,1]
	v_pk_fma_f32 v[12:13], v[16:17], v[12:13], v[22:23] op_sel:[0,0,1] op_sel_hi:[1,0,0]
	v_mov_b32_e32 v9, v7
	v_pk_add_f32 v[4:5], v[24:25], 0 op_sel_hi:[1,0]
	v_mov_b32_e32 v11, v13
	v_pk_add_f32 v[4:5], v[4:5], v[8:9]
	v_pk_add_f32 v[4:5], v[4:5], v[10:11]
	s_waitcnt vmcnt(0)
	v_pk_add_f32 v[4:5], v[14:15], v[4:5] neg_lo:[0,1] neg_hi:[0,1]
	buffer_store_dword v4, off, s[0:3], 0 offset:320
	buffer_store_dword v5, off, s[0:3], 0 offset:324
	s_and_saveexec_b64 s[4:5], vcc
	s_cbranch_execz .LBB43_199
; %bb.198:
	buffer_load_dword v4, off, s[0:3], 0 offset:312
	buffer_load_dword v5, off, s[0:3], 0 offset:316
	s_waitcnt vmcnt(0)
	ds_write_b64 v1, v[4:5]
	buffer_store_dword v2, off, s[0:3], 0 offset:312
	buffer_store_dword v2, off, s[0:3], 0 offset:316
.LBB43_199:
	s_or_b64 exec, exec, s[4:5]
	s_waitcnt lgkmcnt(0)
	; wave barrier
	s_waitcnt lgkmcnt(0)
	buffer_load_dword v13, off, s[0:3], 0 offset:324
	buffer_load_dword v15, off, s[0:3], 0 offset:332
	;; [unrolled: 1-line block ×10, first 2 shown]
	ds_read_b128 v[4:7], v2 offset:672
	ds_read_b128 v[8:11], v2 offset:688
	v_cmp_lt_u32_e32 vcc, 38, v0
	s_waitcnt vmcnt(9)
	v_mov_b32_e32 v2, v13
	s_waitcnt vmcnt(8)
	v_mov_b32_e32 v22, v15
	s_waitcnt lgkmcnt(1)
	v_pk_mul_f32 v[2:3], v[4:5], v[2:3] op_sel_hi:[1,0]
	s_waitcnt vmcnt(7)
	v_mov_b32_e32 v24, v17
	v_pk_mul_f32 v[22:23], v[6:7], v[22:23] op_sel_hi:[1,0]
	s_waitcnt vmcnt(5)
	v_pk_fma_f32 v[28:29], v[4:5], v[12:13], v[2:3] op_sel:[0,0,1] op_sel_hi:[1,1,0] neg_lo:[0,0,1] neg_hi:[0,0,1]
	v_pk_fma_f32 v[2:3], v[4:5], v[12:13], v[2:3] op_sel:[0,0,1] op_sel_hi:[1,0,0]
	v_mov_b32_e32 v26, v19
	s_waitcnt lgkmcnt(0)
	v_pk_mul_f32 v[24:25], v[8:9], v[24:25] op_sel_hi:[1,0]
	s_waitcnt vmcnt(4)
	v_pk_fma_f32 v[4:5], v[6:7], v[14:15], v[22:23] op_sel:[0,0,1] op_sel_hi:[1,1,0] neg_lo:[0,0,1] neg_hi:[0,0,1]
	v_pk_fma_f32 v[6:7], v[6:7], v[14:15], v[22:23] op_sel:[0,0,1] op_sel_hi:[1,0,0]
	v_mov_b32_e32 v29, v3
	v_pk_mul_f32 v[26:27], v[10:11], v[26:27] op_sel_hi:[1,0]
	s_waitcnt vmcnt(3)
	v_pk_fma_f32 v[12:13], v[8:9], v[16:17], v[24:25] op_sel:[0,0,1] op_sel_hi:[1,1,0] neg_lo:[0,0,1] neg_hi:[0,0,1]
	v_pk_fma_f32 v[8:9], v[8:9], v[16:17], v[24:25] op_sel:[0,0,1] op_sel_hi:[1,0,0]
	v_mov_b32_e32 v5, v7
	v_pk_add_f32 v[2:3], v[28:29], 0 op_sel_hi:[1,0]
	s_waitcnt vmcnt(2)
	v_pk_fma_f32 v[14:15], v[10:11], v[18:19], v[26:27] op_sel:[0,0,1] op_sel_hi:[1,1,0] neg_lo:[0,0,1] neg_hi:[0,0,1]
	v_pk_fma_f32 v[10:11], v[10:11], v[18:19], v[26:27] op_sel:[0,0,1] op_sel_hi:[1,0,0]
	v_mov_b32_e32 v13, v9
	v_pk_add_f32 v[2:3], v[2:3], v[4:5]
	v_mov_b32_e32 v15, v11
	v_pk_add_f32 v[2:3], v[2:3], v[12:13]
	v_pk_add_f32 v[2:3], v[2:3], v[14:15]
	s_waitcnt vmcnt(0)
	v_pk_add_f32 v[2:3], v[20:21], v[2:3] neg_lo:[0,1] neg_hi:[0,1]
	buffer_store_dword v2, off, s[0:3], 0 offset:312
	buffer_store_dword v3, off, s[0:3], 0 offset:316
	s_and_saveexec_b64 s[4:5], vcc
	s_cbranch_execz .LBB43_201
; %bb.200:
	buffer_load_dword v2, off, s[0:3], 0 offset:304
	buffer_load_dword v3, off, s[0:3], 0 offset:308
	v_mov_b32_e32 v4, 0
	buffer_store_dword v4, off, s[0:3], 0 offset:304
	buffer_store_dword v4, off, s[0:3], 0 offset:308
	s_waitcnt vmcnt(2)
	ds_write_b64 v1, v[2:3]
.LBB43_201:
	s_or_b64 exec, exec, s[4:5]
	s_waitcnt lgkmcnt(0)
	; wave barrier
	s_waitcnt lgkmcnt(0)
	buffer_load_dword v13, off, s[0:3], 0 offset:316
	buffer_load_dword v15, off, s[0:3], 0 offset:324
	;; [unrolled: 1-line block ×12, first 2 shown]
	v_mov_b32_e32 v2, 0
	ds_read2_b64 v[4:7], v2 offset0:83 offset1:84
	ds_read2_b64 v[8:11], v2 offset0:85 offset1:86
	ds_read_b64 v[24:25], v2 offset:696
	v_cmp_lt_u32_e32 vcc, 37, v0
	s_waitcnt vmcnt(11)
	v_mov_b32_e32 v26, v13
	s_waitcnt vmcnt(10)
	v_mov_b32_e32 v28, v15
	s_waitcnt lgkmcnt(2)
	v_pk_mul_f32 v[26:27], v[4:5], v[26:27] op_sel_hi:[1,0]
	s_waitcnt vmcnt(9)
	v_mov_b32_e32 v30, v17
	v_pk_mul_f32 v[28:29], v[6:7], v[28:29] op_sel_hi:[1,0]
	s_waitcnt vmcnt(6)
	v_pk_fma_f32 v[36:37], v[4:5], v[12:13], v[26:27] op_sel:[0,0,1] op_sel_hi:[1,1,0] neg_lo:[0,0,1] neg_hi:[0,0,1]
	v_pk_fma_f32 v[4:5], v[4:5], v[12:13], v[26:27] op_sel:[0,0,1] op_sel_hi:[1,0,0]
	v_mov_b32_e32 v32, v19
	s_waitcnt lgkmcnt(1)
	v_pk_mul_f32 v[30:31], v[8:9], v[30:31] op_sel_hi:[1,0]
	s_waitcnt vmcnt(5)
	v_pk_fma_f32 v[12:13], v[6:7], v[14:15], v[28:29] op_sel:[0,0,1] op_sel_hi:[1,1,0] neg_lo:[0,0,1] neg_hi:[0,0,1]
	v_pk_fma_f32 v[6:7], v[6:7], v[14:15], v[28:29] op_sel:[0,0,1] op_sel_hi:[1,0,0]
	v_mov_b32_e32 v37, v5
	v_mov_b32_e32 v34, v21
	v_pk_mul_f32 v[32:33], v[10:11], v[32:33] op_sel_hi:[1,0]
	s_waitcnt vmcnt(4)
	v_pk_fma_f32 v[14:15], v[8:9], v[16:17], v[30:31] op_sel:[0,0,1] op_sel_hi:[1,1,0] neg_lo:[0,0,1] neg_hi:[0,0,1]
	v_pk_fma_f32 v[8:9], v[8:9], v[16:17], v[30:31] op_sel:[0,0,1] op_sel_hi:[1,0,0]
	v_mov_b32_e32 v13, v7
	v_pk_add_f32 v[4:5], v[36:37], 0 op_sel_hi:[1,0]
	s_waitcnt lgkmcnt(0)
	v_pk_mul_f32 v[34:35], v[24:25], v[34:35] op_sel_hi:[1,0]
	s_waitcnt vmcnt(3)
	v_pk_fma_f32 v[16:17], v[10:11], v[18:19], v[32:33] op_sel:[0,0,1] op_sel_hi:[1,1,0] neg_lo:[0,0,1] neg_hi:[0,0,1]
	v_pk_fma_f32 v[10:11], v[10:11], v[18:19], v[32:33] op_sel:[0,0,1] op_sel_hi:[1,0,0]
	v_mov_b32_e32 v15, v9
	v_pk_add_f32 v[4:5], v[4:5], v[12:13]
	s_waitcnt vmcnt(2)
	v_pk_fma_f32 v[18:19], v[24:25], v[20:21], v[34:35] op_sel:[0,0,1] op_sel_hi:[1,1,0] neg_lo:[0,0,1] neg_hi:[0,0,1]
	v_pk_fma_f32 v[20:21], v[24:25], v[20:21], v[34:35] op_sel:[0,0,1] op_sel_hi:[1,0,0]
	v_mov_b32_e32 v17, v11
	v_pk_add_f32 v[4:5], v[4:5], v[14:15]
	v_mov_b32_e32 v19, v21
	v_pk_add_f32 v[4:5], v[4:5], v[16:17]
	v_pk_add_f32 v[4:5], v[4:5], v[18:19]
	s_waitcnt vmcnt(0)
	v_pk_add_f32 v[4:5], v[22:23], v[4:5] neg_lo:[0,1] neg_hi:[0,1]
	buffer_store_dword v4, off, s[0:3], 0 offset:304
	buffer_store_dword v5, off, s[0:3], 0 offset:308
	s_and_saveexec_b64 s[4:5], vcc
	s_cbranch_execz .LBB43_203
; %bb.202:
	buffer_load_dword v4, off, s[0:3], 0 offset:296
	buffer_load_dword v5, off, s[0:3], 0 offset:300
	s_waitcnt vmcnt(0)
	ds_write_b64 v1, v[4:5]
	buffer_store_dword v2, off, s[0:3], 0 offset:296
	buffer_store_dword v2, off, s[0:3], 0 offset:300
.LBB43_203:
	s_or_b64 exec, exec, s[4:5]
	s_waitcnt lgkmcnt(0)
	; wave barrier
	s_waitcnt lgkmcnt(0)
	buffer_load_dword v16, off, s[0:3], 0 offset:296
	buffer_load_dword v17, off, s[0:3], 0 offset:300
	;; [unrolled: 1-line block ×14, first 2 shown]
	ds_read_b128 v[4:7], v2 offset:656
	ds_read_b128 v[8:11], v2 offset:672
	;; [unrolled: 1-line block ×3, first 2 shown]
	v_cmp_lt_u32_e32 vcc, 36, v0
	s_waitcnt vmcnt(10)
	v_mov_b32_e32 v2, v19
	s_waitcnt lgkmcnt(2)
	v_pk_mul_f32 v[2:3], v[4:5], v[2:3] op_sel_hi:[1,0]
	v_pk_fma_f32 v[30:31], v[4:5], v[18:19], v[2:3] op_sel:[0,0,1] op_sel_hi:[1,1,0] neg_lo:[0,0,1] neg_hi:[0,0,1]
	v_pk_fma_f32 v[2:3], v[4:5], v[18:19], v[2:3] op_sel:[0,0,1] op_sel_hi:[1,0,0]
	s_waitcnt vmcnt(8)
	v_mov_b32_e32 v4, v21
	v_pk_mul_f32 v[4:5], v[6:7], v[4:5] op_sel_hi:[1,0]
	v_pk_fma_f32 v[18:19], v[6:7], v[20:21], v[4:5] op_sel:[0,0,1] op_sel_hi:[1,1,0] neg_lo:[0,0,1] neg_hi:[0,0,1]
	v_pk_fma_f32 v[4:5], v[6:7], v[20:21], v[4:5] op_sel:[0,0,1] op_sel_hi:[1,0,0]
	s_waitcnt vmcnt(6)
	v_mov_b32_e32 v4, v23
	v_mov_b32_e32 v19, v5
	s_waitcnt lgkmcnt(1)
	v_pk_mul_f32 v[4:5], v[8:9], v[4:5] op_sel_hi:[1,0]
	v_mov_b32_e32 v31, v3
	v_pk_fma_f32 v[6:7], v[8:9], v[22:23], v[4:5] op_sel:[0,0,1] op_sel_hi:[1,1,0] neg_lo:[0,0,1] neg_hi:[0,0,1]
	v_pk_fma_f32 v[4:5], v[8:9], v[22:23], v[4:5] op_sel:[0,0,1] op_sel_hi:[1,0,0]
	v_pk_add_f32 v[2:3], v[30:31], 0 op_sel_hi:[1,0]
	s_waitcnt vmcnt(4)
	v_mov_b32_e32 v4, v25
	v_pk_add_f32 v[2:3], v[2:3], v[18:19]
	v_mov_b32_e32 v7, v5
	v_pk_mul_f32 v[4:5], v[10:11], v[4:5] op_sel_hi:[1,0]
	v_pk_add_f32 v[2:3], v[2:3], v[6:7]
	v_pk_fma_f32 v[6:7], v[10:11], v[24:25], v[4:5] op_sel:[0,0,1] op_sel_hi:[1,1,0] neg_lo:[0,0,1] neg_hi:[0,0,1]
	v_pk_fma_f32 v[4:5], v[10:11], v[24:25], v[4:5] op_sel:[0,0,1] op_sel_hi:[1,0,0]
	s_waitcnt vmcnt(2)
	v_mov_b32_e32 v4, v27
	v_mov_b32_e32 v7, v5
	s_waitcnt lgkmcnt(0)
	v_pk_mul_f32 v[4:5], v[12:13], v[4:5] op_sel_hi:[1,0]
	v_pk_add_f32 v[2:3], v[2:3], v[6:7]
	v_pk_fma_f32 v[6:7], v[12:13], v[26:27], v[4:5] op_sel:[0,0,1] op_sel_hi:[1,1,0] neg_lo:[0,0,1] neg_hi:[0,0,1]
	v_pk_fma_f32 v[4:5], v[12:13], v[26:27], v[4:5] op_sel:[0,0,1] op_sel_hi:[1,0,0]
	s_waitcnt vmcnt(0)
	v_mov_b32_e32 v4, v29
	v_mov_b32_e32 v7, v5
	v_pk_mul_f32 v[4:5], v[14:15], v[4:5] op_sel_hi:[1,0]
	v_pk_add_f32 v[2:3], v[2:3], v[6:7]
	v_pk_fma_f32 v[6:7], v[14:15], v[28:29], v[4:5] op_sel:[0,0,1] op_sel_hi:[1,1,0] neg_lo:[0,0,1] neg_hi:[0,0,1]
	v_pk_fma_f32 v[4:5], v[14:15], v[28:29], v[4:5] op_sel:[0,0,1] op_sel_hi:[1,0,0]
	v_mov_b32_e32 v7, v5
	v_pk_add_f32 v[2:3], v[2:3], v[6:7]
	v_pk_add_f32 v[2:3], v[16:17], v[2:3] neg_lo:[0,1] neg_hi:[0,1]
	buffer_store_dword v2, off, s[0:3], 0 offset:296
	buffer_store_dword v3, off, s[0:3], 0 offset:300
	s_and_saveexec_b64 s[4:5], vcc
	s_cbranch_execz .LBB43_205
; %bb.204:
	buffer_load_dword v2, off, s[0:3], 0 offset:288
	buffer_load_dword v3, off, s[0:3], 0 offset:292
	v_mov_b32_e32 v4, 0
	buffer_store_dword v4, off, s[0:3], 0 offset:288
	buffer_store_dword v4, off, s[0:3], 0 offset:292
	s_waitcnt vmcnt(2)
	ds_write_b64 v1, v[2:3]
.LBB43_205:
	s_or_b64 exec, exec, s[4:5]
	s_waitcnt lgkmcnt(0)
	; wave barrier
	s_waitcnt lgkmcnt(0)
	buffer_load_dword v16, off, s[0:3], 0 offset:288
	buffer_load_dword v17, off, s[0:3], 0 offset:292
	;; [unrolled: 1-line block ×16, first 2 shown]
	v_mov_b32_e32 v2, 0
	ds_read2_b64 v[4:7], v2 offset0:81 offset1:82
	ds_read2_b64 v[8:11], v2 offset0:83 offset1:84
	;; [unrolled: 1-line block ×3, first 2 shown]
	ds_read_b64 v[32:33], v2 offset:696
	v_cmp_lt_u32_e32 vcc, 35, v0
	s_waitcnt vmcnt(12)
	v_mov_b32_e32 v34, v19
	s_waitcnt lgkmcnt(3)
	v_pk_mul_f32 v[34:35], v[4:5], v[34:35] op_sel_hi:[1,0]
	v_pk_fma_f32 v[36:37], v[4:5], v[18:19], v[34:35] op_sel:[0,0,1] op_sel_hi:[1,1,0] neg_lo:[0,0,1] neg_hi:[0,0,1]
	v_pk_fma_f32 v[4:5], v[4:5], v[18:19], v[34:35] op_sel:[0,0,1] op_sel_hi:[1,0,0]
	s_waitcnt vmcnt(10)
	v_mov_b32_e32 v18, v21
	v_pk_mul_f32 v[18:19], v[6:7], v[18:19] op_sel_hi:[1,0]
	v_pk_fma_f32 v[34:35], v[6:7], v[20:21], v[18:19] op_sel:[0,0,1] op_sel_hi:[1,1,0] neg_lo:[0,0,1] neg_hi:[0,0,1]
	v_pk_fma_f32 v[6:7], v[6:7], v[20:21], v[18:19] op_sel:[0,0,1] op_sel_hi:[1,0,0]
	s_waitcnt vmcnt(8)
	v_mov_b32_e32 v6, v23
	v_mov_b32_e32 v35, v7
	s_waitcnt lgkmcnt(2)
	v_pk_mul_f32 v[6:7], v[8:9], v[6:7] op_sel_hi:[1,0]
	v_pk_fma_f32 v[18:19], v[8:9], v[22:23], v[6:7] op_sel:[0,0,1] op_sel_hi:[1,1,0] neg_lo:[0,0,1] neg_hi:[0,0,1]
	v_pk_fma_f32 v[6:7], v[8:9], v[22:23], v[6:7] op_sel:[0,0,1] op_sel_hi:[1,0,0]
	s_waitcnt vmcnt(6)
	v_mov_b32_e32 v6, v25
	v_mov_b32_e32 v37, v5
	v_mov_b32_e32 v19, v7
	v_pk_mul_f32 v[6:7], v[10:11], v[6:7] op_sel_hi:[1,0]
	v_pk_add_f32 v[4:5], v[36:37], 0 op_sel_hi:[1,0]
	v_pk_fma_f32 v[8:9], v[10:11], v[24:25], v[6:7] op_sel:[0,0,1] op_sel_hi:[1,1,0] neg_lo:[0,0,1] neg_hi:[0,0,1]
	v_pk_fma_f32 v[6:7], v[10:11], v[24:25], v[6:7] op_sel:[0,0,1] op_sel_hi:[1,0,0]
	v_pk_add_f32 v[4:5], v[4:5], v[34:35]
	s_waitcnt vmcnt(4)
	v_mov_b32_e32 v6, v27
	v_pk_add_f32 v[4:5], v[4:5], v[18:19]
	v_mov_b32_e32 v9, v7
	s_waitcnt lgkmcnt(1)
	v_pk_mul_f32 v[6:7], v[12:13], v[6:7] op_sel_hi:[1,0]
	v_pk_add_f32 v[4:5], v[4:5], v[8:9]
	v_pk_fma_f32 v[8:9], v[12:13], v[26:27], v[6:7] op_sel:[0,0,1] op_sel_hi:[1,1,0] neg_lo:[0,0,1] neg_hi:[0,0,1]
	v_pk_fma_f32 v[6:7], v[12:13], v[26:27], v[6:7] op_sel:[0,0,1] op_sel_hi:[1,0,0]
	s_waitcnt vmcnt(2)
	v_mov_b32_e32 v6, v29
	v_mov_b32_e32 v9, v7
	v_pk_mul_f32 v[6:7], v[14:15], v[6:7] op_sel_hi:[1,0]
	v_pk_add_f32 v[4:5], v[4:5], v[8:9]
	v_pk_fma_f32 v[8:9], v[14:15], v[28:29], v[6:7] op_sel:[0,0,1] op_sel_hi:[1,1,0] neg_lo:[0,0,1] neg_hi:[0,0,1]
	v_pk_fma_f32 v[6:7], v[14:15], v[28:29], v[6:7] op_sel:[0,0,1] op_sel_hi:[1,0,0]
	s_waitcnt vmcnt(0)
	v_mov_b32_e32 v6, v31
	v_mov_b32_e32 v9, v7
	s_waitcnt lgkmcnt(0)
	v_pk_mul_f32 v[6:7], v[32:33], v[6:7] op_sel_hi:[1,0]
	v_pk_add_f32 v[4:5], v[4:5], v[8:9]
	v_pk_fma_f32 v[8:9], v[32:33], v[30:31], v[6:7] op_sel:[0,0,1] op_sel_hi:[1,1,0] neg_lo:[0,0,1] neg_hi:[0,0,1]
	v_pk_fma_f32 v[6:7], v[32:33], v[30:31], v[6:7] op_sel:[0,0,1] op_sel_hi:[1,0,0]
	v_mov_b32_e32 v9, v7
	v_pk_add_f32 v[4:5], v[4:5], v[8:9]
	v_pk_add_f32 v[4:5], v[16:17], v[4:5] neg_lo:[0,1] neg_hi:[0,1]
	buffer_store_dword v4, off, s[0:3], 0 offset:288
	buffer_store_dword v5, off, s[0:3], 0 offset:292
	s_and_saveexec_b64 s[4:5], vcc
	s_cbranch_execz .LBB43_207
; %bb.206:
	buffer_load_dword v4, off, s[0:3], 0 offset:280
	buffer_load_dword v5, off, s[0:3], 0 offset:284
	s_waitcnt vmcnt(0)
	ds_write_b64 v1, v[4:5]
	buffer_store_dword v2, off, s[0:3], 0 offset:280
	buffer_store_dword v2, off, s[0:3], 0 offset:284
.LBB43_207:
	s_or_b64 exec, exec, s[4:5]
	s_waitcnt lgkmcnt(0)
	; wave barrier
	s_waitcnt lgkmcnt(0)
	buffer_load_dword v20, off, s[0:3], 0 offset:280
	buffer_load_dword v21, off, s[0:3], 0 offset:284
	;; [unrolled: 1-line block ×16, first 2 shown]
	ds_read_b128 v[4:7], v2 offset:640
	ds_read_b128 v[8:11], v2 offset:656
	;; [unrolled: 1-line block ×4, first 2 shown]
	buffer_load_dword v3, off, s[0:3], 0 offset:348
	buffer_load_dword v2, off, s[0:3], 0 offset:344
	v_cmp_lt_u32_e32 vcc, 34, v0
	s_waitcnt vmcnt(14)
	v_mov_b32_e32 v36, v23
	s_waitcnt lgkmcnt(3)
	v_pk_mul_f32 v[36:37], v[4:5], v[36:37] op_sel_hi:[1,0]
	v_pk_fma_f32 v[38:39], v[4:5], v[22:23], v[36:37] op_sel:[0,0,1] op_sel_hi:[1,1,0] neg_lo:[0,0,1] neg_hi:[0,0,1]
	v_pk_fma_f32 v[4:5], v[4:5], v[22:23], v[36:37] op_sel:[0,0,1] op_sel_hi:[1,0,0]
	s_waitcnt vmcnt(12)
	v_mov_b32_e32 v22, v25
	v_pk_mul_f32 v[22:23], v[6:7], v[22:23] op_sel_hi:[1,0]
	v_pk_fma_f32 v[36:37], v[6:7], v[24:25], v[22:23] op_sel:[0,0,1] op_sel_hi:[1,1,0] neg_lo:[0,0,1] neg_hi:[0,0,1]
	v_pk_fma_f32 v[6:7], v[6:7], v[24:25], v[22:23] op_sel:[0,0,1] op_sel_hi:[1,0,0]
	s_waitcnt vmcnt(10)
	v_mov_b32_e32 v6, v27
	v_mov_b32_e32 v37, v7
	s_waitcnt lgkmcnt(2)
	v_pk_mul_f32 v[6:7], v[8:9], v[6:7] op_sel_hi:[1,0]
	v_pk_fma_f32 v[22:23], v[8:9], v[26:27], v[6:7] op_sel:[0,0,1] op_sel_hi:[1,1,0] neg_lo:[0,0,1] neg_hi:[0,0,1]
	v_pk_fma_f32 v[6:7], v[8:9], v[26:27], v[6:7] op_sel:[0,0,1] op_sel_hi:[1,0,0]
	s_waitcnt vmcnt(8)
	v_mov_b32_e32 v6, v29
	v_mov_b32_e32 v39, v5
	;; [unrolled: 1-line block ×3, first 2 shown]
	v_pk_mul_f32 v[6:7], v[10:11], v[6:7] op_sel_hi:[1,0]
	v_pk_add_f32 v[4:5], v[38:39], 0 op_sel_hi:[1,0]
	v_pk_fma_f32 v[8:9], v[10:11], v[28:29], v[6:7] op_sel:[0,0,1] op_sel_hi:[1,1,0] neg_lo:[0,0,1] neg_hi:[0,0,1]
	v_pk_fma_f32 v[6:7], v[10:11], v[28:29], v[6:7] op_sel:[0,0,1] op_sel_hi:[1,0,0]
	v_pk_add_f32 v[4:5], v[4:5], v[36:37]
	s_waitcnt vmcnt(6)
	v_mov_b32_e32 v6, v31
	v_pk_add_f32 v[4:5], v[4:5], v[22:23]
	v_mov_b32_e32 v9, v7
	s_waitcnt lgkmcnt(1)
	v_pk_mul_f32 v[6:7], v[12:13], v[6:7] op_sel_hi:[1,0]
	v_pk_add_f32 v[4:5], v[4:5], v[8:9]
	v_pk_fma_f32 v[8:9], v[12:13], v[30:31], v[6:7] op_sel:[0,0,1] op_sel_hi:[1,1,0] neg_lo:[0,0,1] neg_hi:[0,0,1]
	v_pk_fma_f32 v[6:7], v[12:13], v[30:31], v[6:7] op_sel:[0,0,1] op_sel_hi:[1,0,0]
	s_waitcnt vmcnt(4)
	v_mov_b32_e32 v6, v33
	v_mov_b32_e32 v9, v7
	v_pk_mul_f32 v[6:7], v[14:15], v[6:7] op_sel_hi:[1,0]
	v_pk_add_f32 v[4:5], v[4:5], v[8:9]
	v_pk_fma_f32 v[8:9], v[14:15], v[32:33], v[6:7] op_sel:[0,0,1] op_sel_hi:[1,1,0] neg_lo:[0,0,1] neg_hi:[0,0,1]
	v_pk_fma_f32 v[6:7], v[14:15], v[32:33], v[6:7] op_sel:[0,0,1] op_sel_hi:[1,0,0]
	s_waitcnt vmcnt(2)
	v_mov_b32_e32 v6, v35
	v_mov_b32_e32 v9, v7
	s_waitcnt lgkmcnt(0)
	v_pk_mul_f32 v[6:7], v[16:17], v[6:7] op_sel_hi:[1,0]
	v_pk_add_f32 v[4:5], v[4:5], v[8:9]
	v_pk_fma_f32 v[8:9], v[16:17], v[34:35], v[6:7] op_sel:[0,0,1] op_sel_hi:[1,1,0] neg_lo:[0,0,1] neg_hi:[0,0,1]
	v_pk_fma_f32 v[6:7], v[16:17], v[34:35], v[6:7] op_sel:[0,0,1] op_sel_hi:[1,0,0]
	s_waitcnt vmcnt(1)
	v_mov_b32_e32 v6, v3
	v_mov_b32_e32 v9, v7
	v_pk_mul_f32 v[6:7], v[18:19], v[6:7] op_sel_hi:[1,0]
	v_pk_add_f32 v[4:5], v[4:5], v[8:9]
	s_waitcnt vmcnt(0)
	v_pk_fma_f32 v[8:9], v[18:19], v[2:3], v[6:7] op_sel:[0,0,1] op_sel_hi:[1,1,0] neg_lo:[0,0,1] neg_hi:[0,0,1]
	v_pk_fma_f32 v[2:3], v[18:19], v[2:3], v[6:7] op_sel:[0,0,1] op_sel_hi:[1,0,0]
	v_mov_b32_e32 v9, v3
	v_pk_add_f32 v[2:3], v[4:5], v[8:9]
	v_pk_add_f32 v[2:3], v[20:21], v[2:3] neg_lo:[0,1] neg_hi:[0,1]
	buffer_store_dword v2, off, s[0:3], 0 offset:280
	buffer_store_dword v3, off, s[0:3], 0 offset:284
	s_and_saveexec_b64 s[4:5], vcc
	s_cbranch_execz .LBB43_209
; %bb.208:
	buffer_load_dword v2, off, s[0:3], 0 offset:272
	buffer_load_dword v3, off, s[0:3], 0 offset:276
	v_mov_b32_e32 v4, 0
	buffer_store_dword v4, off, s[0:3], 0 offset:272
	buffer_store_dword v4, off, s[0:3], 0 offset:276
	s_waitcnt vmcnt(2)
	ds_write_b64 v1, v[2:3]
.LBB43_209:
	s_or_b64 exec, exec, s[4:5]
	s_waitcnt lgkmcnt(0)
	; wave barrier
	s_waitcnt lgkmcnt(0)
	buffer_load_dword v3, off, s[0:3], 0 offset:284
	buffer_load_dword v21, off, s[0:3], 0 offset:292
	;; [unrolled: 1-line block ×20, first 2 shown]
	v_mov_b32_e32 v2, 0
	ds_read2_b64 v[4:7], v2 offset0:79 offset1:80
	ds_read2_b64 v[8:11], v2 offset0:81 offset1:82
	;; [unrolled: 1-line block ×4, first 2 shown]
	ds_read_b64 v[38:39], v2 offset:696
	v_cmp_lt_u32_e32 vcc, 33, v0
	s_waitcnt vmcnt(19) lgkmcnt(4)
	v_mul_f32_e32 v41, v4, v3
	v_mul_f32_e32 v3, v5, v3
	s_waitcnt vmcnt(18)
	v_mov_b32_e32 v42, v21
	s_waitcnt vmcnt(17)
	v_mov_b32_e32 v44, v23
	;; [unrolled: 2-line block ×8, first 2 shown]
	s_waitcnt vmcnt(10)
	v_fmac_f32_e32 v41, v5, v40
	v_fma_f32 v40, v4, v40, -v3
	v_pk_mul_f32 v[4:5], v[6:7], v[42:43] op_sel_hi:[1,0]
	s_waitcnt lgkmcnt(3)
	v_pk_mul_f32 v[42:43], v[8:9], v[44:45] op_sel_hi:[1,0]
	v_pk_mul_f32 v[44:45], v[10:11], v[46:47] op_sel_hi:[1,0]
	s_waitcnt lgkmcnt(2)
	v_pk_mul_f32 v[46:47], v[12:13], v[48:49] op_sel_hi:[1,0]
	v_pk_mul_f32 v[48:49], v[14:15], v[50:51] op_sel_hi:[1,0]
	s_waitcnt lgkmcnt(1)
	v_pk_mul_f32 v[50:51], v[16:17], v[52:53] op_sel_hi:[1,0]
	v_pk_mul_f32 v[52:53], v[18:19], v[54:55] op_sel_hi:[1,0]
	s_waitcnt lgkmcnt(0)
	v_pk_mul_f32 v[54:55], v[38:39], v[56:57] op_sel_hi:[1,0]
	s_waitcnt vmcnt(9)
	v_pk_fma_f32 v[56:57], v[6:7], v[20:21], v[4:5] op_sel:[0,0,1] op_sel_hi:[1,1,0] neg_lo:[0,0,1] neg_hi:[0,0,1]
	v_pk_fma_f32 v[4:5], v[6:7], v[20:21], v[4:5] op_sel:[0,0,1] op_sel_hi:[1,0,0]
	v_pk_add_f32 v[40:41], v[40:41], 0 op_sel_hi:[1,0]
	s_waitcnt vmcnt(8)
	v_pk_fma_f32 v[6:7], v[8:9], v[22:23], v[42:43] op_sel:[0,0,1] op_sel_hi:[1,1,0] neg_lo:[0,0,1] neg_hi:[0,0,1]
	v_pk_fma_f32 v[8:9], v[8:9], v[22:23], v[42:43] op_sel:[0,0,1] op_sel_hi:[1,0,0]
	v_mov_b32_e32 v57, v5
	s_waitcnt vmcnt(7)
	v_pk_fma_f32 v[20:21], v[10:11], v[24:25], v[44:45] op_sel:[0,0,1] op_sel_hi:[1,1,0] neg_lo:[0,0,1] neg_hi:[0,0,1]
	v_pk_fma_f32 v[10:11], v[10:11], v[24:25], v[44:45] op_sel:[0,0,1] op_sel_hi:[1,0,0]
	v_mov_b32_e32 v7, v9
	v_pk_add_f32 v[4:5], v[40:41], v[56:57]
	s_waitcnt vmcnt(6)
	v_pk_fma_f32 v[22:23], v[12:13], v[26:27], v[46:47] op_sel:[0,0,1] op_sel_hi:[1,1,0] neg_lo:[0,0,1] neg_hi:[0,0,1]
	v_pk_fma_f32 v[12:13], v[12:13], v[26:27], v[46:47] op_sel:[0,0,1] op_sel_hi:[1,0,0]
	v_mov_b32_e32 v21, v11
	v_pk_add_f32 v[4:5], v[4:5], v[6:7]
	;; [unrolled: 5-line block ×5, first 2 shown]
	v_pk_fma_f32 v[30:31], v[38:39], v[34:35], v[54:55] op_sel:[0,0,1] op_sel_hi:[1,1,0] neg_lo:[0,0,1] neg_hi:[0,0,1]
	v_pk_fma_f32 v[32:33], v[38:39], v[34:35], v[54:55] op_sel:[0,0,1] op_sel_hi:[1,0,0]
	v_mov_b32_e32 v29, v19
	v_pk_add_f32 v[4:5], v[4:5], v[26:27]
	v_mov_b32_e32 v31, v33
	v_pk_add_f32 v[4:5], v[4:5], v[28:29]
	v_pk_add_f32 v[4:5], v[4:5], v[30:31]
	s_waitcnt vmcnt(0)
	v_pk_add_f32 v[4:5], v[36:37], v[4:5] neg_lo:[0,1] neg_hi:[0,1]
	buffer_store_dword v4, off, s[0:3], 0 offset:272
	buffer_store_dword v5, off, s[0:3], 0 offset:276
	s_and_saveexec_b64 s[4:5], vcc
	s_cbranch_execz .LBB43_211
; %bb.210:
	buffer_load_dword v4, off, s[0:3], 0 offset:264
	buffer_load_dword v5, off, s[0:3], 0 offset:268
	s_waitcnt vmcnt(0)
	ds_write_b64 v1, v[4:5]
	buffer_store_dword v2, off, s[0:3], 0 offset:264
	buffer_store_dword v2, off, s[0:3], 0 offset:268
.LBB43_211:
	s_or_b64 exec, exec, s[4:5]
	s_waitcnt lgkmcnt(0)
	; wave barrier
	s_waitcnt lgkmcnt(0)
	buffer_load_dword v42, off, s[0:3], 0 offset:276
	buffer_load_dword v44, off, s[0:3], 0 offset:284
	;; [unrolled: 1-line block ×22, first 2 shown]
	ds_read_b128 v[4:7], v2 offset:624
	ds_read_b128 v[8:11], v2 offset:640
	;; [unrolled: 1-line block ×5, first 2 shown]
	v_cmp_lt_u32_e32 vcc, 32, v0
	s_waitcnt vmcnt(21) lgkmcnt(4)
	v_mul_f32_e32 v3, v4, v42
	s_waitcnt vmcnt(20)
	v_mul_f32_e32 v43, v6, v44
	v_mul_f32_e32 v2, v5, v42
	;; [unrolled: 1-line block ×3, first 2 shown]
	s_waitcnt vmcnt(19)
	v_mov_b32_e32 v44, v25
	s_waitcnt vmcnt(18)
	v_mov_b32_e32 v46, v27
	;; [unrolled: 2-line block ×5, first 2 shown]
	v_mov_b32_e32 v50, v31
	s_waitcnt vmcnt(11)
	v_fmac_f32_e32 v3, v5, v45
	v_fma_f32 v2, v4, v45, -v2
	s_waitcnt lgkmcnt(3)
	v_pk_mul_f32 v[4:5], v[8:9], v[44:45] op_sel_hi:[1,0]
	s_waitcnt vmcnt(10)
	v_fmac_f32_e32 v43, v7, v47
	v_fma_f32 v42, v6, v47, -v42
	v_pk_mul_f32 v[6:7], v[10:11], v[46:47] op_sel_hi:[1,0]
	s_waitcnt lgkmcnt(2)
	v_pk_mul_f32 v[44:45], v[12:13], v[48:49] op_sel_hi:[1,0]
	s_waitcnt lgkmcnt(1)
	;; [unrolled: 2-line block ×3, first 2 shown]
	v_pk_mul_f32 v[52:53], v[20:21], v[56:57] op_sel_hi:[1,0]
	v_pk_add_f32 v[2:3], v[2:3], 0 op_sel_hi:[1,0]
	s_waitcnt vmcnt(9)
	v_pk_fma_f32 v[56:57], v[8:9], v[24:25], v[4:5] op_sel:[0,0,1] op_sel_hi:[1,1,0] neg_lo:[0,0,1] neg_hi:[0,0,1]
	v_pk_fma_f32 v[4:5], v[8:9], v[24:25], v[4:5] op_sel:[0,0,1] op_sel_hi:[1,0,0]
	s_waitcnt vmcnt(8)
	v_pk_fma_f32 v[8:9], v[10:11], v[26:27], v[6:7] op_sel:[0,0,1] op_sel_hi:[1,1,0] neg_lo:[0,0,1] neg_hi:[0,0,1]
	v_pk_fma_f32 v[6:7], v[10:11], v[26:27], v[6:7] op_sel:[0,0,1] op_sel_hi:[1,0,0]
	v_pk_add_f32 v[2:3], v[2:3], v[42:43]
	v_mov_b32_e32 v57, v5
	v_pk_mul_f32 v[46:47], v[14:15], v[50:51] op_sel_hi:[1,0]
	s_waitcnt vmcnt(7)
	v_pk_fma_f32 v[10:11], v[12:13], v[28:29], v[44:45] op_sel:[0,0,1] op_sel_hi:[1,1,0] neg_lo:[0,0,1] neg_hi:[0,0,1]
	v_pk_fma_f32 v[12:13], v[12:13], v[28:29], v[44:45] op_sel:[0,0,1] op_sel_hi:[1,0,0]
	v_mov_b32_e32 v9, v7
	v_pk_add_f32 v[2:3], v[2:3], v[56:57]
	v_mov_b32_e32 v54, v35
	s_waitcnt vmcnt(6)
	v_pk_fma_f32 v[24:25], v[14:15], v[30:31], v[46:47] op_sel:[0,0,1] op_sel_hi:[1,1,0] neg_lo:[0,0,1] neg_hi:[0,0,1]
	v_pk_fma_f32 v[14:15], v[14:15], v[30:31], v[46:47] op_sel:[0,0,1] op_sel_hi:[1,0,0]
	v_mov_b32_e32 v11, v13
	v_pk_add_f32 v[2:3], v[2:3], v[8:9]
	v_pk_mul_f32 v[50:51], v[18:19], v[54:55] op_sel_hi:[1,0]
	s_waitcnt vmcnt(5)
	v_pk_fma_f32 v[26:27], v[16:17], v[32:33], v[48:49] op_sel:[0,0,1] op_sel_hi:[1,1,0] neg_lo:[0,0,1] neg_hi:[0,0,1]
	v_pk_fma_f32 v[16:17], v[16:17], v[32:33], v[48:49] op_sel:[0,0,1] op_sel_hi:[1,0,0]
	v_mov_b32_e32 v25, v15
	v_pk_add_f32 v[2:3], v[2:3], v[10:11]
	v_mov_b32_e32 v58, v39
	s_waitcnt vmcnt(2)
	v_pk_fma_f32 v[28:29], v[18:19], v[34:35], v[50:51] op_sel:[0,0,1] op_sel_hi:[1,1,0] neg_lo:[0,0,1] neg_hi:[0,0,1]
	v_pk_fma_f32 v[18:19], v[18:19], v[34:35], v[50:51] op_sel:[0,0,1] op_sel_hi:[1,0,0]
	v_mov_b32_e32 v27, v17
	v_pk_add_f32 v[2:3], v[2:3], v[24:25]
	v_pk_mul_f32 v[54:55], v[22:23], v[58:59] op_sel_hi:[1,0]
	v_pk_fma_f32 v[30:31], v[20:21], v[36:37], v[52:53] op_sel:[0,0,1] op_sel_hi:[1,1,0] neg_lo:[0,0,1] neg_hi:[0,0,1]
	v_pk_fma_f32 v[20:21], v[20:21], v[36:37], v[52:53] op_sel:[0,0,1] op_sel_hi:[1,0,0]
	v_mov_b32_e32 v29, v19
	v_pk_add_f32 v[2:3], v[2:3], v[26:27]
	v_pk_fma_f32 v[32:33], v[22:23], v[38:39], v[54:55] op_sel:[0,0,1] op_sel_hi:[1,1,0] neg_lo:[0,0,1] neg_hi:[0,0,1]
	v_pk_fma_f32 v[22:23], v[22:23], v[38:39], v[54:55] op_sel:[0,0,1] op_sel_hi:[1,0,0]
	v_mov_b32_e32 v31, v21
	v_pk_add_f32 v[2:3], v[2:3], v[28:29]
	v_mov_b32_e32 v33, v23
	v_pk_add_f32 v[2:3], v[2:3], v[30:31]
	v_pk_add_f32 v[2:3], v[2:3], v[32:33]
	s_waitcnt vmcnt(0)
	v_pk_add_f32 v[2:3], v[40:41], v[2:3] neg_lo:[0,1] neg_hi:[0,1]
	buffer_store_dword v2, off, s[0:3], 0 offset:264
	buffer_store_dword v3, off, s[0:3], 0 offset:268
	s_and_saveexec_b64 s[4:5], vcc
	s_cbranch_execz .LBB43_213
; %bb.212:
	buffer_load_dword v2, off, s[0:3], 0 offset:256
	buffer_load_dword v3, off, s[0:3], 0 offset:260
	v_mov_b32_e32 v4, 0
	buffer_store_dword v4, off, s[0:3], 0 offset:256
	buffer_store_dword v4, off, s[0:3], 0 offset:260
	s_waitcnt vmcnt(2)
	ds_write_b64 v1, v[2:3]
.LBB43_213:
	s_or_b64 exec, exec, s[4:5]
	s_waitcnt lgkmcnt(0)
	; wave barrier
	s_waitcnt lgkmcnt(0)
	buffer_load_dword v3, off, s[0:3], 0 offset:268
	buffer_load_dword v44, off, s[0:3], 0 offset:276
	;; [unrolled: 1-line block ×24, first 2 shown]
	v_mov_b32_e32 v2, 0
	ds_read2_b64 v[4:7], v2 offset0:77 offset1:78
	ds_read2_b64 v[8:11], v2 offset0:79 offset1:80
	ds_read2_b64 v[12:15], v2 offset0:81 offset1:82
	ds_read2_b64 v[16:19], v2 offset0:83 offset1:84
	ds_read2_b64 v[20:23], v2 offset0:85 offset1:86
	ds_read_b64 v[42:43], v2 offset:696
	v_cmp_lt_u32_e32 vcc, 31, v0
	s_waitcnt vmcnt(23) lgkmcnt(5)
	v_mul_f32_e32 v57, v4, v3
	v_mul_f32_e32 v3, v5, v3
	s_waitcnt vmcnt(22)
	v_mul_f32_e32 v45, v6, v44
	s_waitcnt vmcnt(21) lgkmcnt(4)
	v_mul_f32_e32 v47, v8, v46
	v_mul_f32_e32 v44, v7, v44
	;; [unrolled: 1-line block ×3, first 2 shown]
	s_waitcnt vmcnt(20)
	v_mov_b32_e32 v48, v25
	s_waitcnt vmcnt(19)
	v_mov_b32_e32 v50, v27
	;; [unrolled: 2-line block ×5, first 2 shown]
	s_waitcnt vmcnt(12)
	v_fmac_f32_e32 v57, v5, v49
	v_fma_f32 v3, v4, v49, -v3
	v_mov_b32_e32 v58, v35
	s_waitcnt vmcnt(11)
	v_fmac_f32_e32 v45, v7, v51
	s_waitcnt vmcnt(10)
	v_fmac_f32_e32 v47, v9, v53
	v_fma_f32 v44, v6, v51, -v44
	v_fma_f32 v46, v8, v53, -v46
	v_pk_mul_f32 v[4:5], v[10:11], v[48:49] op_sel_hi:[1,0]
	s_waitcnt lgkmcnt(3)
	v_pk_mul_f32 v[6:7], v[12:13], v[50:51] op_sel_hi:[1,0]
	v_pk_mul_f32 v[8:9], v[14:15], v[52:53] op_sel_hi:[1,0]
	s_waitcnt lgkmcnt(2)
	v_pk_mul_f32 v[48:49], v[16:17], v[54:55] op_sel_hi:[1,0]
	v_pk_mul_f32 v[50:51], v[18:19], v[56:57] op_sel_hi:[1,0]
	v_add_f32_e32 v57, 0, v57
	v_add_f32_e32 v56, 0, v3
	s_waitcnt lgkmcnt(1)
	v_pk_mul_f32 v[52:53], v[20:21], v[58:59] op_sel_hi:[1,0]
	s_waitcnt vmcnt(9)
	v_pk_fma_f32 v[58:59], v[10:11], v[24:25], v[4:5] op_sel:[0,0,1] op_sel_hi:[1,1,0] neg_lo:[0,0,1] neg_hi:[0,0,1]
	v_pk_fma_f32 v[4:5], v[10:11], v[24:25], v[4:5] op_sel:[0,0,1] op_sel_hi:[1,0,0]
	s_waitcnt vmcnt(8)
	v_pk_fma_f32 v[10:11], v[12:13], v[26:27], v[6:7] op_sel:[0,0,1] op_sel_hi:[1,1,0] neg_lo:[0,0,1] neg_hi:[0,0,1]
	v_pk_fma_f32 v[6:7], v[12:13], v[26:27], v[6:7] op_sel:[0,0,1] op_sel_hi:[1,0,0]
	;; [unrolled: 3-line block ×4, first 2 shown]
	v_pk_add_f32 v[30:31], v[56:57], v[44:45]
	v_mov_b32_e32 v59, v5
	v_pk_add_f32 v[4:5], v[30:31], v[46:47]
	v_mov_b32_e32 v11, v7
	;; [unrolled: 2-line block ×4, first 2 shown]
	s_waitcnt vmcnt(2)
	v_pk_fma_f32 v[24:25], v[18:19], v[32:33], v[50:51] op_sel:[0,0,1] op_sel_hi:[1,1,0] neg_lo:[0,0,1] neg_hi:[0,0,1]
	v_pk_fma_f32 v[18:19], v[18:19], v[32:33], v[50:51] op_sel:[0,0,1] op_sel_hi:[1,0,0]
	v_mov_b32_e32 v15, v17
	v_pk_add_f32 v[4:5], v[4:5], v[12:13]
	v_mov_b32_e32 v62, v39
	v_pk_mul_f32 v[54:55], v[22:23], v[60:61] op_sel_hi:[1,0]
	v_pk_fma_f32 v[26:27], v[20:21], v[34:35], v[52:53] op_sel:[0,0,1] op_sel_hi:[1,1,0] neg_lo:[0,0,1] neg_hi:[0,0,1]
	v_pk_fma_f32 v[20:21], v[20:21], v[34:35], v[52:53] op_sel:[0,0,1] op_sel_hi:[1,0,0]
	v_mov_b32_e32 v25, v19
	v_pk_add_f32 v[4:5], v[4:5], v[14:15]
	v_pk_fma_f32 v[28:29], v[22:23], v[36:37], v[54:55] op_sel:[0,0,1] op_sel_hi:[1,1,0] neg_lo:[0,0,1] neg_hi:[0,0,1]
	v_pk_fma_f32 v[22:23], v[22:23], v[36:37], v[54:55] op_sel:[0,0,1] op_sel_hi:[1,0,0]
	v_mov_b32_e32 v27, v21
	v_pk_add_f32 v[4:5], v[4:5], v[24:25]
	s_waitcnt lgkmcnt(0)
	v_pk_mul_f32 v[6:7], v[42:43], v[62:63] op_sel_hi:[1,0]
	v_mov_b32_e32 v29, v23
	v_pk_add_f32 v[4:5], v[4:5], v[26:27]
	v_pk_fma_f32 v[8:9], v[42:43], v[38:39], v[6:7] op_sel:[0,0,1] op_sel_hi:[1,1,0] neg_lo:[0,0,1] neg_hi:[0,0,1]
	v_pk_fma_f32 v[6:7], v[42:43], v[38:39], v[6:7] op_sel:[0,0,1] op_sel_hi:[1,0,0]
	v_pk_add_f32 v[4:5], v[4:5], v[28:29]
	v_mov_b32_e32 v9, v7
	v_pk_add_f32 v[4:5], v[4:5], v[8:9]
	s_waitcnt vmcnt(0)
	v_pk_add_f32 v[4:5], v[40:41], v[4:5] neg_lo:[0,1] neg_hi:[0,1]
	buffer_store_dword v5, off, s[0:3], 0 offset:260
	buffer_store_dword v4, off, s[0:3], 0 offset:256
	s_and_saveexec_b64 s[4:5], vcc
	s_cbranch_execz .LBB43_215
; %bb.214:
	buffer_load_dword v4, off, s[0:3], 0 offset:248
	buffer_load_dword v5, off, s[0:3], 0 offset:252
	s_waitcnt vmcnt(0)
	ds_write_b64 v1, v[4:5]
	buffer_store_dword v2, off, s[0:3], 0 offset:248
	buffer_store_dword v2, off, s[0:3], 0 offset:252
.LBB43_215:
	s_or_b64 exec, exec, s[4:5]
	s_waitcnt lgkmcnt(0)
	; wave barrier
	s_waitcnt lgkmcnt(0)
	buffer_load_dword v46, off, s[0:3], 0 offset:260
	buffer_load_dword v48, off, s[0:3], 0 offset:268
	;; [unrolled: 1-line block ×26, first 2 shown]
	ds_read_b128 v[4:7], v2 offset:608
	ds_read_b128 v[8:11], v2 offset:624
	;; [unrolled: 1-line block ×6, first 2 shown]
	v_cmp_lt_u32_e32 vcc, 30, v0
	s_waitcnt vmcnt(25) lgkmcnt(5)
	v_mul_f32_e32 v59, v4, v46
	v_mul_f32_e32 v2, v5, v46
	s_waitcnt vmcnt(24)
	v_mul_f32_e32 v60, v6, v48
	s_waitcnt vmcnt(23) lgkmcnt(4)
	v_mul_f32_e32 v3, v8, v49
	s_waitcnt vmcnt(22)
	v_mul_f32_e32 v47, v10, v50
	v_mul_f32_e32 v46, v7, v48
	;; [unrolled: 1-line block ×4, first 2 shown]
	s_waitcnt vmcnt(21)
	v_mov_b32_e32 v48, v29
	s_waitcnt vmcnt(20)
	v_mov_b32_e32 v50, v31
	;; [unrolled: 2-line block ×3, first 2 shown]
	s_waitcnt vmcnt(15)
	v_fmac_f32_e32 v59, v5, v51
	v_fma_f32 v62, v4, v51, -v2
	v_mov_b32_e32 v52, v33
	s_waitcnt vmcnt(14)
	v_fmac_f32_e32 v60, v7, v53
	s_waitcnt vmcnt(13)
	v_fmac_f32_e32 v3, v9, v55
	;; [unrolled: 2-line block ×3, first 2 shown]
	v_fma_f32 v63, v6, v53, -v46
	v_fma_f32 v2, v8, v55, -v49
	;; [unrolled: 1-line block ×3, first 2 shown]
	s_waitcnt lgkmcnt(3)
	v_pk_mul_f32 v[4:5], v[12:13], v[48:49] op_sel_hi:[1,0]
	v_pk_mul_f32 v[6:7], v[14:15], v[50:51] op_sel_hi:[1,0]
	s_waitcnt lgkmcnt(2)
	v_pk_mul_f32 v[10:11], v[18:19], v[54:55] op_sel_hi:[1,0]
	v_add_f32_e32 v54, 0, v59
	v_add_f32_e32 v55, 0, v62
	v_pk_mul_f32 v[8:9], v[16:17], v[52:53] op_sel_hi:[1,0]
	s_waitcnt vmcnt(11)
	v_pk_fma_f32 v[52:53], v[12:13], v[28:29], v[4:5] op_sel:[0,0,1] op_sel_hi:[1,1,0] neg_lo:[0,0,1] neg_hi:[0,0,1]
	v_pk_fma_f32 v[4:5], v[12:13], v[28:29], v[4:5] op_sel:[0,0,1] op_sel_hi:[1,0,0]
	s_waitcnt vmcnt(10)
	v_pk_fma_f32 v[12:13], v[14:15], v[30:31], v[6:7] op_sel:[0,0,1] op_sel_hi:[1,1,0] neg_lo:[0,0,1] neg_hi:[0,0,1]
	v_pk_fma_f32 v[6:7], v[14:15], v[30:31], v[6:7] op_sel:[0,0,1] op_sel_hi:[1,0,0]
	v_add_f32_e32 v31, v54, v60
	v_add_f32_e32 v30, v55, v63
	v_pk_add_f32 v[2:3], v[30:31], v[2:3]
	v_mov_b32_e32 v53, v5
	v_pk_add_f32 v[2:3], v[2:3], v[46:47]
	v_mov_b32_e32 v56, v37
	s_waitcnt vmcnt(9)
	v_pk_fma_f32 v[14:15], v[16:17], v[32:33], v[8:9] op_sel:[0,0,1] op_sel_hi:[1,1,0] neg_lo:[0,0,1] neg_hi:[0,0,1]
	v_pk_fma_f32 v[8:9], v[16:17], v[32:33], v[8:9] op_sel:[0,0,1] op_sel_hi:[1,0,0]
	v_mov_b32_e32 v13, v7
	v_pk_add_f32 v[2:3], v[2:3], v[52:53]
	v_mov_b32_e32 v58, v39
	s_waitcnt lgkmcnt(1)
	v_pk_mul_f32 v[48:49], v[20:21], v[56:57] op_sel_hi:[1,0]
	s_waitcnt vmcnt(5)
	v_pk_fma_f32 v[16:17], v[18:19], v[34:35], v[10:11] op_sel:[0,0,1] op_sel_hi:[1,1,0] neg_lo:[0,0,1] neg_hi:[0,0,1]
	v_pk_fma_f32 v[10:11], v[18:19], v[34:35], v[10:11] op_sel:[0,0,1] op_sel_hi:[1,0,0]
	v_mov_b32_e32 v15, v9
	v_pk_add_f32 v[2:3], v[2:3], v[12:13]
	s_waitcnt vmcnt(4)
	v_mov_b32_e32 v4, v41
	v_pk_mul_f32 v[50:51], v[22:23], v[58:59] op_sel_hi:[1,0]
	v_pk_fma_f32 v[18:19], v[20:21], v[36:37], v[48:49] op_sel:[0,0,1] op_sel_hi:[1,1,0] neg_lo:[0,0,1] neg_hi:[0,0,1]
	v_pk_fma_f32 v[20:21], v[20:21], v[36:37], v[48:49] op_sel:[0,0,1] op_sel_hi:[1,0,0]
	v_mov_b32_e32 v17, v11
	v_pk_add_f32 v[2:3], v[2:3], v[14:15]
	s_waitcnt lgkmcnt(0)
	v_pk_mul_f32 v[4:5], v[24:25], v[4:5] op_sel_hi:[1,0]
	v_pk_fma_f32 v[28:29], v[22:23], v[38:39], v[50:51] op_sel:[0,0,1] op_sel_hi:[1,1,0] neg_lo:[0,0,1] neg_hi:[0,0,1]
	v_pk_fma_f32 v[22:23], v[22:23], v[38:39], v[50:51] op_sel:[0,0,1] op_sel_hi:[1,0,0]
	v_mov_b32_e32 v19, v21
	v_pk_add_f32 v[2:3], v[2:3], v[16:17]
	v_pk_fma_f32 v[6:7], v[24:25], v[40:41], v[4:5] op_sel:[0,0,1] op_sel_hi:[1,1,0] neg_lo:[0,0,1] neg_hi:[0,0,1]
	v_pk_fma_f32 v[4:5], v[24:25], v[40:41], v[4:5] op_sel:[0,0,1] op_sel_hi:[1,0,0]
	v_mov_b32_e32 v29, v23
	v_pk_add_f32 v[2:3], v[2:3], v[18:19]
	s_waitcnt vmcnt(3)
	v_mov_b32_e32 v4, v43
	v_pk_add_f32 v[2:3], v[2:3], v[28:29]
	v_mov_b32_e32 v7, v5
	v_pk_mul_f32 v[4:5], v[26:27], v[4:5] op_sel_hi:[1,0]
	v_pk_add_f32 v[2:3], v[2:3], v[6:7]
	s_waitcnt vmcnt(2)
	v_pk_fma_f32 v[6:7], v[26:27], v[42:43], v[4:5] op_sel:[0,0,1] op_sel_hi:[1,1,0] neg_lo:[0,0,1] neg_hi:[0,0,1]
	v_pk_fma_f32 v[4:5], v[26:27], v[42:43], v[4:5] op_sel:[0,0,1] op_sel_hi:[1,0,0]
	v_mov_b32_e32 v7, v5
	v_pk_add_f32 v[2:3], v[2:3], v[6:7]
	s_waitcnt vmcnt(0)
	v_pk_add_f32 v[2:3], v[44:45], v[2:3] neg_lo:[0,1] neg_hi:[0,1]
	buffer_store_dword v3, off, s[0:3], 0 offset:252
	buffer_store_dword v2, off, s[0:3], 0 offset:248
	s_and_saveexec_b64 s[4:5], vcc
	s_cbranch_execz .LBB43_217
; %bb.216:
	buffer_load_dword v2, off, s[0:3], 0 offset:240
	buffer_load_dword v3, off, s[0:3], 0 offset:244
	v_mov_b32_e32 v4, 0
	buffer_store_dword v4, off, s[0:3], 0 offset:240
	buffer_store_dword v4, off, s[0:3], 0 offset:244
	s_waitcnt vmcnt(2)
	ds_write_b64 v1, v[2:3]
.LBB43_217:
	s_or_b64 exec, exec, s[4:5]
	s_waitcnt lgkmcnt(0)
	; wave barrier
	s_waitcnt lgkmcnt(0)
	buffer_load_dword v3, off, s[0:3], 0 offset:252
	buffer_load_dword v48, off, s[0:3], 0 offset:260
	buffer_load_dword v50, off, s[0:3], 0 offset:268
	buffer_load_dword v52, off, s[0:3], 0 offset:276
	buffer_load_dword v53, off, s[0:3], 0 offset:284
	buffer_load_dword v29, off, s[0:3], 0 offset:292
	buffer_load_dword v31, off, s[0:3], 0 offset:300
	buffer_load_dword v33, off, s[0:3], 0 offset:308
	buffer_load_dword v35, off, s[0:3], 0 offset:316
	buffer_load_dword v37, off, s[0:3], 0 offset:324
	buffer_load_dword v55, off, s[0:3], 0 offset:248
	buffer_load_dword v57, off, s[0:3], 0 offset:256
	buffer_load_dword v59, off, s[0:3], 0 offset:264
	buffer_load_dword v61, off, s[0:3], 0 offset:272
	buffer_load_dword v62, off, s[0:3], 0 offset:280
	buffer_load_dword v28, off, s[0:3], 0 offset:288
	buffer_load_dword v30, off, s[0:3], 0 offset:296
	buffer_load_dword v38, off, s[0:3], 0 offset:328
	buffer_load_dword v36, off, s[0:3], 0 offset:320
	buffer_load_dword v34, off, s[0:3], 0 offset:312
	buffer_load_dword v32, off, s[0:3], 0 offset:304
	buffer_load_dword v39, off, s[0:3], 0 offset:332
	buffer_load_dword v41, off, s[0:3], 0 offset:340
	buffer_load_dword v42, off, s[0:3], 0 offset:344
	buffer_load_dword v40, off, s[0:3], 0 offset:336
	buffer_load_dword v43, off, s[0:3], 0 offset:348
	buffer_load_dword v44, off, s[0:3], 0 offset:240
	buffer_load_dword v45, off, s[0:3], 0 offset:244
	v_mov_b32_e32 v2, 0
	ds_read2_b64 v[4:7], v2 offset0:75 offset1:76
	ds_read2_b64 v[8:11], v2 offset0:77 offset1:78
	;; [unrolled: 1-line block ×6, first 2 shown]
	ds_read_b64 v[46:47], v2 offset:696
	v_cmp_lt_u32_e32 vcc, 29, v0
	s_waitcnt vmcnt(27) lgkmcnt(6)
	v_mul_f32_e32 v63, v4, v3
	v_mul_f32_e32 v3, v5, v3
	s_waitcnt vmcnt(26)
	v_mul_f32_e32 v64, v6, v48
	s_waitcnt vmcnt(24) lgkmcnt(5)
	v_mul_f32_e32 v49, v10, v52
	s_waitcnt vmcnt(23) lgkmcnt(4)
	v_mul_f32_e32 v51, v12, v53
	v_mul_f32_e32 v154, v11, v52
	;; [unrolled: 1-line block ×3, first 2 shown]
	s_waitcnt vmcnt(22)
	v_mov_b32_e32 v52, v29
	v_mul_f32_e32 v65, v8, v50
	v_mul_f32_e32 v48, v7, v48
	;; [unrolled: 1-line block ×3, first 2 shown]
	s_waitcnt vmcnt(17)
	v_fmac_f32_e32 v63, v5, v55
	v_fma_f32 v3, v4, v55, -v3
	v_pk_mul_f32 v[4:5], v[14:15], v[52:53] op_sel_hi:[1,0]
	s_waitcnt vmcnt(16)
	v_fmac_f32_e32 v64, v7, v57
	s_waitcnt vmcnt(13)
	v_fmac_f32_e32 v51, v13, v62
	v_fma_f32 v55, v6, v57, -v48
	v_fma_f32 v57, v8, v59, -v50
	;; [unrolled: 1-line block ×3, first 2 shown]
	v_add_f32_e32 v52, 0, v63
	v_add_f32_e32 v3, 0, v3
	s_waitcnt vmcnt(12)
	v_pk_fma_f32 v[12:13], v[14:15], v[28:29], v[4:5] op_sel:[0,0,1] op_sel_hi:[1,1,0] neg_lo:[0,0,1] neg_hi:[0,0,1]
	v_pk_fma_f32 v[4:5], v[14:15], v[28:29], v[4:5] op_sel:[0,0,1] op_sel_hi:[1,0,0]
	v_fmac_f32_e32 v65, v9, v59
	v_add_f32_e32 v4, v52, v64
	v_add_f32_e32 v3, v3, v55
	v_mov_b32_e32 v54, v31
	v_fmac_f32_e32 v49, v11, v61
	v_fma_f32 v48, v10, v61, -v154
	v_mov_b32_e32 v13, v5
	v_add_f32_e32 v5, v4, v65
	v_add_f32_e32 v4, v3, v57
	v_mov_b32_e32 v56, v33
	s_waitcnt lgkmcnt(3)
	v_pk_mul_f32 v[6:7], v[16:17], v[54:55] op_sel_hi:[1,0]
	v_pk_add_f32 v[4:5], v[4:5], v[48:49]
	v_mov_b32_e32 v58, v35
	v_mov_b32_e32 v60, v37
	v_pk_mul_f32 v[8:9], v[18:19], v[56:57] op_sel_hi:[1,0]
	s_waitcnt vmcnt(11)
	v_pk_fma_f32 v[14:15], v[16:17], v[30:31], v[6:7] op_sel:[0,0,1] op_sel_hi:[1,1,0] neg_lo:[0,0,1] neg_hi:[0,0,1]
	v_pk_fma_f32 v[6:7], v[16:17], v[30:31], v[6:7] op_sel:[0,0,1] op_sel_hi:[1,0,0]
	v_pk_add_f32 v[4:5], v[4:5], v[50:51]
	s_waitcnt lgkmcnt(2)
	v_pk_mul_f32 v[10:11], v[20:21], v[58:59] op_sel_hi:[1,0]
	s_waitcnt vmcnt(7)
	v_pk_fma_f32 v[16:17], v[18:19], v[32:33], v[8:9] op_sel:[0,0,1] op_sel_hi:[1,1,0] neg_lo:[0,0,1] neg_hi:[0,0,1]
	v_pk_fma_f32 v[8:9], v[18:19], v[32:33], v[8:9] op_sel:[0,0,1] op_sel_hi:[1,0,0]
	v_mov_b32_e32 v15, v7
	v_pk_add_f32 v[4:5], v[4:5], v[12:13]
	v_pk_mul_f32 v[6:7], v[22:23], v[60:61] op_sel_hi:[1,0]
	v_pk_fma_f32 v[18:19], v[20:21], v[34:35], v[10:11] op_sel:[0,0,1] op_sel_hi:[1,1,0] neg_lo:[0,0,1] neg_hi:[0,0,1]
	v_pk_fma_f32 v[10:11], v[20:21], v[34:35], v[10:11] op_sel:[0,0,1] op_sel_hi:[1,0,0]
	v_mov_b32_e32 v17, v9
	v_pk_add_f32 v[4:5], v[4:5], v[14:15]
	v_pk_fma_f32 v[8:9], v[22:23], v[36:37], v[6:7] op_sel:[0,0,1] op_sel_hi:[1,1,0] neg_lo:[0,0,1] neg_hi:[0,0,1]
	v_pk_fma_f32 v[6:7], v[22:23], v[36:37], v[6:7] op_sel:[0,0,1] op_sel_hi:[1,0,0]
	v_mov_b32_e32 v19, v11
	v_pk_add_f32 v[4:5], v[4:5], v[16:17]
	s_waitcnt vmcnt(6)
	v_mov_b32_e32 v6, v39
	v_pk_add_f32 v[4:5], v[4:5], v[18:19]
	v_mov_b32_e32 v9, v7
	s_waitcnt lgkmcnt(1)
	v_pk_mul_f32 v[6:7], v[24:25], v[6:7] op_sel_hi:[1,0]
	v_pk_add_f32 v[4:5], v[4:5], v[8:9]
	v_pk_fma_f32 v[8:9], v[24:25], v[38:39], v[6:7] op_sel:[0,0,1] op_sel_hi:[1,1,0] neg_lo:[0,0,1] neg_hi:[0,0,1]
	v_pk_fma_f32 v[6:7], v[24:25], v[38:39], v[6:7] op_sel:[0,0,1] op_sel_hi:[1,0,0]
	s_waitcnt vmcnt(5)
	v_mov_b32_e32 v6, v41
	v_mov_b32_e32 v9, v7
	v_pk_mul_f32 v[6:7], v[26:27], v[6:7] op_sel_hi:[1,0]
	v_pk_add_f32 v[4:5], v[4:5], v[8:9]
	s_waitcnt vmcnt(3)
	v_pk_fma_f32 v[8:9], v[26:27], v[40:41], v[6:7] op_sel:[0,0,1] op_sel_hi:[1,1,0] neg_lo:[0,0,1] neg_hi:[0,0,1]
	v_pk_fma_f32 v[6:7], v[26:27], v[40:41], v[6:7] op_sel:[0,0,1] op_sel_hi:[1,0,0]
	s_waitcnt vmcnt(2)
	v_mov_b32_e32 v6, v43
	v_mov_b32_e32 v9, v7
	s_waitcnt lgkmcnt(0)
	v_pk_mul_f32 v[6:7], v[46:47], v[6:7] op_sel_hi:[1,0]
	v_pk_add_f32 v[4:5], v[4:5], v[8:9]
	v_pk_fma_f32 v[8:9], v[46:47], v[42:43], v[6:7] op_sel:[0,0,1] op_sel_hi:[1,1,0] neg_lo:[0,0,1] neg_hi:[0,0,1]
	v_pk_fma_f32 v[6:7], v[46:47], v[42:43], v[6:7] op_sel:[0,0,1] op_sel_hi:[1,0,0]
	v_mov_b32_e32 v9, v7
	v_pk_add_f32 v[4:5], v[4:5], v[8:9]
	s_waitcnt vmcnt(0)
	v_pk_add_f32 v[4:5], v[44:45], v[4:5] neg_lo:[0,1] neg_hi:[0,1]
	buffer_store_dword v5, off, s[0:3], 0 offset:244
	buffer_store_dword v4, off, s[0:3], 0 offset:240
	s_and_saveexec_b64 s[4:5], vcc
	s_cbranch_execz .LBB43_219
; %bb.218:
	buffer_load_dword v4, off, s[0:3], 0 offset:232
	buffer_load_dword v5, off, s[0:3], 0 offset:236
	s_waitcnt vmcnt(0)
	ds_write_b64 v1, v[4:5]
	buffer_store_dword v2, off, s[0:3], 0 offset:232
	buffer_store_dword v2, off, s[0:3], 0 offset:236
.LBB43_219:
	s_or_b64 exec, exec, s[4:5]
	s_waitcnt lgkmcnt(0)
	; wave barrier
	s_waitcnt lgkmcnt(0)
	buffer_load_dword v50, off, s[0:3], 0 offset:244
	buffer_load_dword v52, off, s[0:3], 0 offset:252
	;; [unrolled: 1-line block ×30, first 2 shown]
	ds_read_b128 v[4:7], v2 offset:592
	ds_read_b128 v[8:11], v2 offset:608
	;; [unrolled: 1-line block ×7, first 2 shown]
	v_cmp_lt_u32_e32 vcc, 28, v0
	s_waitcnt vmcnt(29) lgkmcnt(6)
	v_mul_f32_e32 v63, v4, v50
	s_waitcnt vmcnt(28)
	v_mul_f32_e32 v64, v6, v52
	s_waitcnt vmcnt(27) lgkmcnt(5)
	v_mul_f32_e32 v65, v8, v53
	v_mul_f32_e32 v53, v9, v53
	s_waitcnt vmcnt(26)
	v_mul_f32_e32 v154, v10, v54
	s_waitcnt vmcnt(25) lgkmcnt(4)
	v_mul_f32_e32 v3, v12, v55
	v_mul_f32_e32 v2, v5, v50
	;; [unrolled: 1-line block ×5, first 2 shown]
	s_waitcnt vmcnt(23)
	v_mov_b32_e32 v52, v33
	s_waitcnt vmcnt(22)
	v_mov_b32_e32 v54, v35
	s_waitcnt vmcnt(18)
	v_fma_f32 v53, v8, v59, -v53
	v_fmac_f32_e32 v63, v5, v57
	v_fmac_f32_e32 v64, v7, v58
	s_waitcnt vmcnt(17)
	v_fmac_f32_e32 v154, v11, v60
	v_fma_f32 v11, v4, v57, -v2
	v_fma_f32 v57, v6, v58, -v50
	s_waitcnt lgkmcnt(3)
	v_pk_mul_f32 v[4:5], v[16:17], v[52:53] op_sel_hi:[1,0]
	v_pk_mul_f32 v[6:7], v[18:19], v[54:55] op_sel_hi:[1,0]
	s_waitcnt vmcnt(16)
	v_fmac_f32_e32 v3, v13, v61
	v_fma_f32 v58, v10, v60, -v155
	v_fma_f32 v2, v12, v61, -v55
	v_add_f32_e32 v52, 0, v63
	v_add_f32_e32 v54, 0, v11
	s_waitcnt vmcnt(14)
	v_pk_fma_f32 v[10:11], v[16:17], v[32:33], v[4:5] op_sel:[0,0,1] op_sel_hi:[1,1,0] neg_lo:[0,0,1] neg_hi:[0,0,1]
	v_pk_fma_f32 v[4:5], v[16:17], v[32:33], v[4:5] op_sel:[0,0,1] op_sel_hi:[1,0,0]
	s_waitcnt vmcnt(10)
	v_pk_fma_f32 v[12:13], v[18:19], v[34:35], v[6:7] op_sel:[0,0,1] op_sel_hi:[1,1,0] neg_lo:[0,0,1] neg_hi:[0,0,1]
	v_pk_fma_f32 v[6:7], v[18:19], v[34:35], v[6:7] op_sel:[0,0,1] op_sel_hi:[1,0,0]
	v_fmac_f32_e32 v65, v9, v59
	v_add_f32_e32 v4, v52, v64
	v_add_f32_e32 v6, v54, v57
	;; [unrolled: 1-line block ×4, first 2 shown]
	v_mul_f32_e32 v51, v14, v56
	v_mul_f32_e32 v156, v15, v56
	v_mov_b32_e32 v11, v5
	v_add_f32_e32 v5, v4, v154
	v_add_f32_e32 v4, v6, v58
	v_mov_b32_e32 v56, v37
	v_fmac_f32_e32 v51, v15, v62
	v_fma_f32 v50, v14, v62, -v156
	v_pk_add_f32 v[2:3], v[4:5], v[2:3]
	s_waitcnt vmcnt(9)
	v_mov_b32_e32 v4, v41
	s_waitcnt lgkmcnt(2)
	v_pk_mul_f32 v[8:9], v[20:21], v[56:57] op_sel_hi:[1,0]
	v_pk_add_f32 v[2:3], v[2:3], v[50:51]
	v_pk_mul_f32 v[4:5], v[22:23], v[4:5] op_sel_hi:[1,0]
	v_pk_fma_f32 v[14:15], v[20:21], v[36:37], v[8:9] op_sel:[0,0,1] op_sel_hi:[1,1,0] neg_lo:[0,0,1] neg_hi:[0,0,1]
	v_pk_fma_f32 v[8:9], v[20:21], v[36:37], v[8:9] op_sel:[0,0,1] op_sel_hi:[1,0,0]
	v_mov_b32_e32 v13, v7
	v_pk_add_f32 v[2:3], v[2:3], v[10:11]
	v_pk_fma_f32 v[6:7], v[22:23], v[40:41], v[4:5] op_sel:[0,0,1] op_sel_hi:[1,1,0] neg_lo:[0,0,1] neg_hi:[0,0,1]
	v_pk_fma_f32 v[4:5], v[22:23], v[40:41], v[4:5] op_sel:[0,0,1] op_sel_hi:[1,0,0]
	v_mov_b32_e32 v15, v9
	v_pk_add_f32 v[2:3], v[2:3], v[12:13]
	s_waitcnt vmcnt(8)
	v_mov_b32_e32 v4, v39
	v_pk_add_f32 v[2:3], v[2:3], v[14:15]
	v_mov_b32_e32 v7, v5
	s_waitcnt lgkmcnt(1)
	v_pk_mul_f32 v[4:5], v[24:25], v[4:5] op_sel_hi:[1,0]
	v_pk_add_f32 v[2:3], v[2:3], v[6:7]
	v_pk_fma_f32 v[6:7], v[24:25], v[38:39], v[4:5] op_sel:[0,0,1] op_sel_hi:[1,1,0] neg_lo:[0,0,1] neg_hi:[0,0,1]
	v_pk_fma_f32 v[4:5], v[24:25], v[38:39], v[4:5] op_sel:[0,0,1] op_sel_hi:[1,0,0]
	s_waitcnt vmcnt(7)
	v_mov_b32_e32 v4, v43
	v_mov_b32_e32 v7, v5
	v_pk_mul_f32 v[4:5], v[26:27], v[4:5] op_sel_hi:[1,0]
	v_pk_add_f32 v[2:3], v[2:3], v[6:7]
	s_waitcnt vmcnt(4)
	v_pk_fma_f32 v[6:7], v[26:27], v[42:43], v[4:5] op_sel:[0,0,1] op_sel_hi:[1,1,0] neg_lo:[0,0,1] neg_hi:[0,0,1]
	v_pk_fma_f32 v[4:5], v[26:27], v[42:43], v[4:5] op_sel:[0,0,1] op_sel_hi:[1,0,0]
	s_waitcnt vmcnt(3)
	v_mov_b32_e32 v4, v47
	v_mov_b32_e32 v7, v5
	s_waitcnt lgkmcnt(0)
	v_pk_mul_f32 v[4:5], v[28:29], v[4:5] op_sel_hi:[1,0]
	v_pk_add_f32 v[2:3], v[2:3], v[6:7]
	v_pk_fma_f32 v[6:7], v[28:29], v[46:47], v[4:5] op_sel:[0,0,1] op_sel_hi:[1,1,0] neg_lo:[0,0,1] neg_hi:[0,0,1]
	v_pk_fma_f32 v[4:5], v[28:29], v[46:47], v[4:5] op_sel:[0,0,1] op_sel_hi:[1,0,0]
	s_waitcnt vmcnt(0)
	v_mov_b32_e32 v4, v45
	v_mov_b32_e32 v7, v5
	v_pk_mul_f32 v[4:5], v[30:31], v[4:5] op_sel_hi:[1,0]
	v_pk_add_f32 v[2:3], v[2:3], v[6:7]
	v_pk_fma_f32 v[6:7], v[30:31], v[44:45], v[4:5] op_sel:[0,0,1] op_sel_hi:[1,1,0] neg_lo:[0,0,1] neg_hi:[0,0,1]
	v_pk_fma_f32 v[4:5], v[30:31], v[44:45], v[4:5] op_sel:[0,0,1] op_sel_hi:[1,0,0]
	v_mov_b32_e32 v7, v5
	v_pk_add_f32 v[2:3], v[2:3], v[6:7]
	v_pk_add_f32 v[2:3], v[48:49], v[2:3] neg_lo:[0,1] neg_hi:[0,1]
	buffer_store_dword v3, off, s[0:3], 0 offset:236
	buffer_store_dword v2, off, s[0:3], 0 offset:232
	s_and_saveexec_b64 s[4:5], vcc
	s_cbranch_execz .LBB43_221
; %bb.220:
	buffer_load_dword v2, off, s[0:3], 0 offset:224
	buffer_load_dword v3, off, s[0:3], 0 offset:228
	v_mov_b32_e32 v4, 0
	buffer_store_dword v4, off, s[0:3], 0 offset:224
	buffer_store_dword v4, off, s[0:3], 0 offset:228
	s_waitcnt vmcnt(2)
	ds_write_b64 v1, v[2:3]
.LBB43_221:
	s_or_b64 exec, exec, s[4:5]
	s_waitcnt lgkmcnt(0)
	; wave barrier
	s_waitcnt lgkmcnt(0)
	buffer_load_dword v3, off, s[0:3], 0 offset:236
	buffer_load_dword v52, off, s[0:3], 0 offset:244
	;; [unrolled: 1-line block ×32, first 2 shown]
	v_mov_b32_e32 v2, 0
	ds_read2_b64 v[4:7], v2 offset0:73 offset1:74
	ds_read2_b64 v[8:11], v2 offset0:75 offset1:76
	;; [unrolled: 1-line block ×7, first 2 shown]
	ds_read_b64 v[50:51], v2 offset:696
	v_cmp_lt_u32_e32 vcc, 27, v0
	s_waitcnt vmcnt(31) lgkmcnt(7)
	v_mul_f32_e32 v155, v4, v3
	v_mul_f32_e32 v3, v5, v3
	s_waitcnt vmcnt(30)
	v_mul_f32_e32 v156, v6, v52
	s_waitcnt vmcnt(28) lgkmcnt(6)
	v_mul_f32_e32 v158, v10, v56
	s_waitcnt vmcnt(27) lgkmcnt(5)
	v_mul_f32_e32 v159, v12, v57
	v_mul_f32_e32 v160, v11, v56
	v_mul_f32_e32 v57, v13, v57
	s_waitcnt vmcnt(24)
	v_mov_b32_e32 v56, v33
	v_mul_f32_e32 v157, v8, v54
	v_mul_f32_e32 v52, v7, v52
	s_waitcnt vmcnt(22)
	v_fmac_f32_e32 v155, v5, v60
	v_fma_f32 v3, v4, v60, -v3
	s_waitcnt lgkmcnt(4)
	v_pk_mul_f32 v[4:5], v[18:19], v[56:57] op_sel_hi:[1,0]
	v_mul_f32_e32 v54, v9, v54
	s_waitcnt vmcnt(21)
	v_fmac_f32_e32 v156, v7, v61
	s_waitcnt vmcnt(20)
	v_fmac_f32_e32 v157, v9, v62
	;; [unrolled: 2-line block ×3, first 2 shown]
	v_fma_f32 v9, v6, v61, -v52
	s_waitcnt vmcnt(18)
	v_fma_f32 v11, v12, v64, -v57
	v_add_f32_e32 v12, 0, v155
	v_add_f32_e32 v3, 0, v3
	s_waitcnt vmcnt(12)
	v_pk_fma_f32 v[6:7], v[18:19], v[32:33], v[4:5] op_sel:[0,0,1] op_sel_hi:[1,1,0] neg_lo:[0,0,1] neg_hi:[0,0,1]
	v_pk_fma_f32 v[4:5], v[18:19], v[32:33], v[4:5] op_sel:[0,0,1] op_sel_hi:[1,0,0]
	v_fma_f32 v8, v8, v62, -v54
	v_add_f32_e32 v4, v12, v156
	v_add_f32_e32 v3, v3, v9
	v_fma_f32 v10, v10, v63, -v160
	v_add_f32_e32 v4, v4, v157
	v_add_f32_e32 v3, v3, v8
	v_mul_f32_e32 v53, v14, v58
	v_mul_f32_e32 v161, v15, v58
	v_fmac_f32_e32 v159, v13, v64
	v_add_f32_e32 v4, v4, v158
	v_add_f32_e32 v3, v3, v10
	v_mul_f32_e32 v55, v16, v59
	v_mul_f32_e32 v59, v17, v59
	v_fmac_f32_e32 v53, v15, v65
	v_fma_f32 v52, v14, v65, -v161
	v_mov_b32_e32 v7, v5
	v_add_f32_e32 v5, v4, v159
	v_add_f32_e32 v4, v3, v11
	v_fmac_f32_e32 v55, v17, v154
	v_fma_f32 v54, v16, v154, -v59
	v_pk_add_f32 v[4:5], v[4:5], v[52:53]
	v_mov_b32_e32 v58, v35
	v_pk_add_f32 v[4:5], v[4:5], v[54:55]
	v_pk_add_f32 v[4:5], v[4:5], v[6:7]
	s_waitcnt lgkmcnt(3)
	v_pk_mul_f32 v[6:7], v[20:21], v[58:59] op_sel_hi:[1,0]
	v_pk_fma_f32 v[8:9], v[20:21], v[34:35], v[6:7] op_sel:[0,0,1] op_sel_hi:[1,1,0] neg_lo:[0,0,1] neg_hi:[0,0,1]
	v_pk_fma_f32 v[6:7], v[20:21], v[34:35], v[6:7] op_sel:[0,0,1] op_sel_hi:[1,0,0]
	s_waitcnt vmcnt(11)
	v_mov_b32_e32 v6, v39
	v_mov_b32_e32 v9, v7
	v_pk_mul_f32 v[6:7], v[22:23], v[6:7] op_sel_hi:[1,0]
	v_pk_add_f32 v[4:5], v[4:5], v[8:9]
	v_pk_fma_f32 v[8:9], v[22:23], v[38:39], v[6:7] op_sel:[0,0,1] op_sel_hi:[1,1,0] neg_lo:[0,0,1] neg_hi:[0,0,1]
	v_pk_fma_f32 v[6:7], v[22:23], v[38:39], v[6:7] op_sel:[0,0,1] op_sel_hi:[1,0,0]
	s_waitcnt vmcnt(10)
	v_mov_b32_e32 v6, v37
	v_mov_b32_e32 v9, v7
	s_waitcnt lgkmcnt(2)
	v_pk_mul_f32 v[6:7], v[24:25], v[6:7] op_sel_hi:[1,0]
	v_pk_add_f32 v[4:5], v[4:5], v[8:9]
	v_pk_fma_f32 v[8:9], v[24:25], v[36:37], v[6:7] op_sel:[0,0,1] op_sel_hi:[1,1,0] neg_lo:[0,0,1] neg_hi:[0,0,1]
	v_pk_fma_f32 v[6:7], v[24:25], v[36:37], v[6:7] op_sel:[0,0,1] op_sel_hi:[1,0,0]
	s_waitcnt vmcnt(9)
	v_mov_b32_e32 v6, v41
	v_mov_b32_e32 v9, v7
	v_pk_mul_f32 v[6:7], v[26:27], v[6:7] op_sel_hi:[1,0]
	v_pk_add_f32 v[4:5], v[4:5], v[8:9]
	s_waitcnt vmcnt(4)
	v_pk_fma_f32 v[8:9], v[26:27], v[40:41], v[6:7] op_sel:[0,0,1] op_sel_hi:[1,1,0] neg_lo:[0,0,1] neg_hi:[0,0,1]
	v_pk_fma_f32 v[6:7], v[26:27], v[40:41], v[6:7] op_sel:[0,0,1] op_sel_hi:[1,0,0]
	v_mov_b32_e32 v6, v47
	v_mov_b32_e32 v9, v7
	s_waitcnt lgkmcnt(1)
	v_pk_mul_f32 v[6:7], v[28:29], v[6:7] op_sel_hi:[1,0]
	v_pk_add_f32 v[4:5], v[4:5], v[8:9]
	v_pk_fma_f32 v[8:9], v[28:29], v[46:47], v[6:7] op_sel:[0,0,1] op_sel_hi:[1,1,0] neg_lo:[0,0,1] neg_hi:[0,0,1]
	v_pk_fma_f32 v[6:7], v[28:29], v[46:47], v[6:7] op_sel:[0,0,1] op_sel_hi:[1,0,0]
	s_waitcnt vmcnt(3)
	v_mov_b32_e32 v6, v45
	v_mov_b32_e32 v9, v7
	v_pk_mul_f32 v[6:7], v[30:31], v[6:7] op_sel_hi:[1,0]
	v_pk_add_f32 v[4:5], v[4:5], v[8:9]
	v_pk_fma_f32 v[8:9], v[30:31], v[44:45], v[6:7] op_sel:[0,0,1] op_sel_hi:[1,1,0] neg_lo:[0,0,1] neg_hi:[0,0,1]
	v_pk_fma_f32 v[6:7], v[30:31], v[44:45], v[6:7] op_sel:[0,0,1] op_sel_hi:[1,0,0]
	s_waitcnt vmcnt(0)
	v_mov_b32_e32 v6, v43
	v_mov_b32_e32 v9, v7
	s_waitcnt lgkmcnt(0)
	v_pk_mul_f32 v[6:7], v[50:51], v[6:7] op_sel_hi:[1,0]
	v_pk_add_f32 v[4:5], v[4:5], v[8:9]
	v_pk_fma_f32 v[8:9], v[50:51], v[42:43], v[6:7] op_sel:[0,0,1] op_sel_hi:[1,1,0] neg_lo:[0,0,1] neg_hi:[0,0,1]
	v_pk_fma_f32 v[6:7], v[50:51], v[42:43], v[6:7] op_sel:[0,0,1] op_sel_hi:[1,0,0]
	v_mov_b32_e32 v9, v7
	v_pk_add_f32 v[4:5], v[4:5], v[8:9]
	v_pk_add_f32 v[4:5], v[48:49], v[4:5] neg_lo:[0,1] neg_hi:[0,1]
	buffer_store_dword v5, off, s[0:3], 0 offset:228
	buffer_store_dword v4, off, s[0:3], 0 offset:224
	s_and_saveexec_b64 s[4:5], vcc
	s_cbranch_execz .LBB43_223
; %bb.222:
	buffer_load_dword v4, off, s[0:3], 0 offset:216
	buffer_load_dword v5, off, s[0:3], 0 offset:220
	s_waitcnt vmcnt(0)
	ds_write_b64 v1, v[4:5]
	buffer_store_dword v2, off, s[0:3], 0 offset:216
	buffer_store_dword v2, off, s[0:3], 0 offset:220
.LBB43_223:
	s_or_b64 exec, exec, s[4:5]
	s_waitcnt lgkmcnt(0)
	; wave barrier
	s_waitcnt lgkmcnt(0)
	buffer_load_dword v54, off, s[0:3], 0 offset:228
	buffer_load_dword v56, off, s[0:3], 0 offset:236
	;; [unrolled: 1-line block ×32, first 2 shown]
	ds_read_b128 v[4:7], v2 offset:576
	ds_read_b128 v[8:11], v2 offset:592
	;; [unrolled: 1-line block ×4, first 2 shown]
	buffer_load_dword v53, off, s[0:3], 0 offset:348
	buffer_load_dword v52, off, s[0:3], 0 offset:344
	ds_read_b128 v[20:23], v2 offset:640
	ds_read_b128 v[24:27], v2 offset:656
	;; [unrolled: 1-line block ×4, first 2 shown]
	v_cmp_lt_u32_e32 vcc, 26, v0
	s_waitcnt vmcnt(33) lgkmcnt(7)
	v_mul_f32_e32 v159, v4, v54
	v_mul_f32_e32 v2, v5, v54
	s_waitcnt vmcnt(32)
	v_mul_f32_e32 v160, v6, v56
	s_waitcnt vmcnt(31) lgkmcnt(6)
	v_mul_f32_e32 v161, v8, v57
	v_mul_f32_e32 v54, v7, v56
	;; [unrolled: 1-line block ×3, first 2 shown]
	s_waitcnt vmcnt(30)
	v_mul_f32_e32 v57, v11, v58
	v_mul_f32_e32 v162, v10, v58
	s_waitcnt vmcnt(25)
	v_fmac_f32_e32 v159, v5, v63
	v_fma_f32 v4, v4, v63, -v2
	s_waitcnt vmcnt(24)
	v_fmac_f32_e32 v160, v7, v64
	v_fma_f32 v5, v6, v64, -v54
	s_waitcnt vmcnt(22)
	v_fma_f32 v7, v10, v154, -v57
	v_add_f32_e32 v10, 0, v159
	v_add_f32_e32 v4, 0, v4
	v_fmac_f32_e32 v161, v9, v65
	v_fma_f32 v6, v8, v65, -v56
	v_add_f32_e32 v10, v10, v160
	v_add_f32_e32 v4, v4, v5
	s_waitcnt lgkmcnt(5)
	v_mul_f32_e32 v163, v12, v59
	v_mul_f32_e32 v58, v13, v59
	v_fmac_f32_e32 v162, v11, v154
	v_add_f32_e32 v5, v10, v161
	v_add_f32_e32 v4, v4, v6
	v_mul_f32_e32 v164, v14, v60
	v_mul_f32_e32 v59, v15, v60
	s_waitcnt vmcnt(21)
	v_fmac_f32_e32 v163, v13, v155
	v_fma_f32 v8, v12, v155, -v58
	v_add_f32_e32 v5, v5, v162
	v_add_f32_e32 v4, v4, v7
	s_waitcnt lgkmcnt(4)
	v_mul_f32_e32 v3, v16, v61
	v_mul_f32_e32 v60, v17, v61
	s_waitcnt vmcnt(20)
	v_fmac_f32_e32 v164, v15, v156
	v_fma_f32 v9, v14, v156, -v59
	v_add_f32_e32 v5, v5, v163
	v_add_f32_e32 v4, v4, v8
	s_waitcnt vmcnt(19)
	v_fmac_f32_e32 v3, v17, v157
	v_fma_f32 v2, v16, v157, -v60
	v_add_f32_e32 v5, v5, v164
	v_add_f32_e32 v4, v4, v9
	v_pk_add_f32 v[2:3], v[4:5], v[2:3]
	s_waitcnt vmcnt(17)
	v_mov_b32_e32 v4, v37
	s_waitcnt lgkmcnt(3)
	v_pk_mul_f32 v[4:5], v[20:21], v[4:5] op_sel_hi:[1,0]
	v_mul_f32_e32 v55, v18, v62
	v_mul_f32_e32 v61, v19, v62
	s_waitcnt vmcnt(14)
	v_pk_fma_f32 v[6:7], v[20:21], v[36:37], v[4:5] op_sel:[0,0,1] op_sel_hi:[1,1,0] neg_lo:[0,0,1] neg_hi:[0,0,1]
	v_pk_fma_f32 v[4:5], v[20:21], v[36:37], v[4:5] op_sel:[0,0,1] op_sel_hi:[1,0,0]
	v_fmac_f32_e32 v55, v19, v158
	v_fma_f32 v54, v18, v158, -v61
	s_waitcnt vmcnt(13)
	v_mov_b32_e32 v4, v41
	v_pk_add_f32 v[2:3], v[2:3], v[54:55]
	v_mov_b32_e32 v7, v5
	v_pk_mul_f32 v[4:5], v[22:23], v[4:5] op_sel_hi:[1,0]
	v_pk_add_f32 v[2:3], v[2:3], v[6:7]
	v_pk_fma_f32 v[6:7], v[22:23], v[40:41], v[4:5] op_sel:[0,0,1] op_sel_hi:[1,1,0] neg_lo:[0,0,1] neg_hi:[0,0,1]
	v_pk_fma_f32 v[4:5], v[22:23], v[40:41], v[4:5] op_sel:[0,0,1] op_sel_hi:[1,0,0]
	s_waitcnt vmcnt(12)
	v_mov_b32_e32 v4, v39
	v_mov_b32_e32 v7, v5
	s_waitcnt lgkmcnt(2)
	v_pk_mul_f32 v[4:5], v[24:25], v[4:5] op_sel_hi:[1,0]
	v_pk_add_f32 v[2:3], v[2:3], v[6:7]
	v_pk_fma_f32 v[6:7], v[24:25], v[38:39], v[4:5] op_sel:[0,0,1] op_sel_hi:[1,1,0] neg_lo:[0,0,1] neg_hi:[0,0,1]
	v_pk_fma_f32 v[4:5], v[24:25], v[38:39], v[4:5] op_sel:[0,0,1] op_sel_hi:[1,0,0]
	s_waitcnt vmcnt(11)
	v_mov_b32_e32 v4, v43
	v_mov_b32_e32 v7, v5
	v_pk_mul_f32 v[4:5], v[26:27], v[4:5] op_sel_hi:[1,0]
	v_pk_add_f32 v[2:3], v[2:3], v[6:7]
	s_waitcnt vmcnt(5)
	v_pk_fma_f32 v[6:7], v[26:27], v[42:43], v[4:5] op_sel:[0,0,1] op_sel_hi:[1,1,0] neg_lo:[0,0,1] neg_hi:[0,0,1]
	v_pk_fma_f32 v[4:5], v[26:27], v[42:43], v[4:5] op_sel:[0,0,1] op_sel_hi:[1,0,0]
	v_mov_b32_e32 v4, v49
	v_mov_b32_e32 v7, v5
	s_waitcnt lgkmcnt(1)
	v_pk_mul_f32 v[4:5], v[28:29], v[4:5] op_sel_hi:[1,0]
	v_pk_add_f32 v[2:3], v[2:3], v[6:7]
	v_pk_fma_f32 v[6:7], v[28:29], v[48:49], v[4:5] op_sel:[0,0,1] op_sel_hi:[1,1,0] neg_lo:[0,0,1] neg_hi:[0,0,1]
	v_pk_fma_f32 v[4:5], v[28:29], v[48:49], v[4:5] op_sel:[0,0,1] op_sel_hi:[1,0,0]
	v_mov_b32_e32 v4, v47
	v_mov_b32_e32 v7, v5
	v_pk_mul_f32 v[4:5], v[30:31], v[4:5] op_sel_hi:[1,0]
	v_pk_add_f32 v[2:3], v[2:3], v[6:7]
	v_pk_fma_f32 v[6:7], v[30:31], v[46:47], v[4:5] op_sel:[0,0,1] op_sel_hi:[1,1,0] neg_lo:[0,0,1] neg_hi:[0,0,1]
	v_pk_fma_f32 v[4:5], v[30:31], v[46:47], v[4:5] op_sel:[0,0,1] op_sel_hi:[1,0,0]
	s_waitcnt vmcnt(2)
	v_mov_b32_e32 v4, v45
	v_mov_b32_e32 v7, v5
	s_waitcnt lgkmcnt(0)
	v_pk_mul_f32 v[4:5], v[32:33], v[4:5] op_sel_hi:[1,0]
	v_pk_add_f32 v[2:3], v[2:3], v[6:7]
	v_pk_fma_f32 v[6:7], v[32:33], v[44:45], v[4:5] op_sel:[0,0,1] op_sel_hi:[1,1,0] neg_lo:[0,0,1] neg_hi:[0,0,1]
	v_pk_fma_f32 v[4:5], v[32:33], v[44:45], v[4:5] op_sel:[0,0,1] op_sel_hi:[1,0,0]
	s_waitcnt vmcnt(1)
	v_mov_b32_e32 v4, v53
	v_mov_b32_e32 v7, v5
	v_pk_mul_f32 v[4:5], v[34:35], v[4:5] op_sel_hi:[1,0]
	v_pk_add_f32 v[2:3], v[2:3], v[6:7]
	s_waitcnt vmcnt(0)
	v_pk_fma_f32 v[6:7], v[34:35], v[52:53], v[4:5] op_sel:[0,0,1] op_sel_hi:[1,1,0] neg_lo:[0,0,1] neg_hi:[0,0,1]
	v_pk_fma_f32 v[4:5], v[34:35], v[52:53], v[4:5] op_sel:[0,0,1] op_sel_hi:[1,0,0]
	v_mov_b32_e32 v7, v5
	v_pk_add_f32 v[2:3], v[2:3], v[6:7]
	v_pk_add_f32 v[2:3], v[50:51], v[2:3] neg_lo:[0,1] neg_hi:[0,1]
	buffer_store_dword v3, off, s[0:3], 0 offset:220
	buffer_store_dword v2, off, s[0:3], 0 offset:216
	s_and_saveexec_b64 s[4:5], vcc
	s_cbranch_execz .LBB43_225
; %bb.224:
	buffer_load_dword v2, off, s[0:3], 0 offset:208
	buffer_load_dword v3, off, s[0:3], 0 offset:212
	v_mov_b32_e32 v4, 0
	buffer_store_dword v4, off, s[0:3], 0 offset:208
	buffer_store_dword v4, off, s[0:3], 0 offset:212
	s_waitcnt vmcnt(2)
	ds_write_b64 v1, v[2:3]
.LBB43_225:
	s_or_b64 exec, exec, s[4:5]
	s_waitcnt lgkmcnt(0)
	; wave barrier
	s_waitcnt lgkmcnt(0)
	buffer_load_dword v3, off, s[0:3], 0 offset:220
	buffer_load_dword v46, off, s[0:3], 0 offset:228
	buffer_load_dword v48, off, s[0:3], 0 offset:236
	buffer_load_dword v50, off, s[0:3], 0 offset:244
	buffer_load_dword v51, off, s[0:3], 0 offset:252
	buffer_load_dword v52, off, s[0:3], 0 offset:260
	buffer_load_dword v53, off, s[0:3], 0 offset:268
	buffer_load_dword v54, off, s[0:3], 0 offset:276
	buffer_load_dword v55, off, s[0:3], 0 offset:284
	buffer_load_dword v56, off, s[0:3], 0 offset:216
	buffer_load_dword v57, off, s[0:3], 0 offset:224
	buffer_load_dword v58, off, s[0:3], 0 offset:232
	buffer_load_dword v59, off, s[0:3], 0 offset:240
	buffer_load_dword v60, off, s[0:3], 0 offset:248
	buffer_load_dword v61, off, s[0:3], 0 offset:256
	buffer_load_dword v62, off, s[0:3], 0 offset:264
	buffer_load_dword v63, off, s[0:3], 0 offset:272
	buffer_load_dword v64, off, s[0:3], 0 offset:280
	buffer_load_dword v29, off, s[0:3], 0 offset:292
	buffer_load_dword v30, off, s[0:3], 0 offset:296
	buffer_load_dword v28, off, s[0:3], 0 offset:288
	buffer_load_dword v32, off, s[0:3], 0 offset:208
	buffer_load_dword v33, off, s[0:3], 0 offset:212
	buffer_load_dword v31, off, s[0:3], 0 offset:300
	buffer_load_dword v35, off, s[0:3], 0 offset:308
	buffer_load_dword v37, off, s[0:3], 0 offset:332
	buffer_load_dword v36, off, s[0:3], 0 offset:328
	buffer_load_dword v39, off, s[0:3], 0 offset:324
	buffer_load_dword v38, off, s[0:3], 0 offset:320
	buffer_load_dword v41, off, s[0:3], 0 offset:316
	buffer_load_dword v40, off, s[0:3], 0 offset:312
	buffer_load_dword v34, off, s[0:3], 0 offset:304
	buffer_load_dword v43, off, s[0:3], 0 offset:348
	buffer_load_dword v42, off, s[0:3], 0 offset:344
	buffer_load_dword v45, off, s[0:3], 0 offset:340
	buffer_load_dword v44, off, s[0:3], 0 offset:336
	v_mov_b32_e32 v2, 0
	ds_read2_b64 v[4:7], v2 offset0:71 offset1:72
	ds_read2_b64 v[8:11], v2 offset0:73 offset1:74
	;; [unrolled: 1-line block ×6, first 2 shown]
	v_cmp_lt_u32_e32 vcc, 25, v0
	s_waitcnt vmcnt(35) lgkmcnt(5)
	v_mul_f32_e32 v65, v4, v3
	s_waitcnt vmcnt(34)
	v_mul_f32_e32 v154, v6, v46
	s_waitcnt vmcnt(33) lgkmcnt(4)
	v_mul_f32_e32 v155, v8, v48
	v_mul_f32_e32 v3, v5, v3
	v_mul_f32_e32 v46, v7, v46
	v_mul_f32_e32 v48, v9, v48
	s_waitcnt vmcnt(32)
	v_mul_f32_e32 v156, v10, v50
	s_waitcnt vmcnt(31) lgkmcnt(3)
	v_mul_f32_e32 v157, v12, v51
	v_mul_f32_e32 v50, v11, v50
	s_waitcnt vmcnt(26)
	v_fmac_f32_e32 v65, v5, v56
	s_waitcnt vmcnt(25)
	v_fmac_f32_e32 v154, v7, v57
	s_waitcnt vmcnt(24)
	v_fmac_f32_e32 v155, v9, v58
	v_fma_f32 v3, v4, v56, -v3
	v_add_f32_e32 v9, 0, v65
	v_fma_f32 v4, v6, v57, -v46
	v_add_f32_e32 v3, 0, v3
	v_add_f32_e32 v9, v9, v154
	s_waitcnt vmcnt(23)
	v_fmac_f32_e32 v156, v11, v59
	v_fma_f32 v5, v8, v58, -v48
	v_add_f32_e32 v3, v3, v4
	v_add_f32_e32 v4, v9, v155
	v_mul_f32_e32 v158, v14, v52
	v_mul_f32_e32 v51, v13, v51
	s_waitcnt vmcnt(22)
	v_fmac_f32_e32 v157, v13, v60
	v_fma_f32 v6, v10, v59, -v50
	v_add_f32_e32 v3, v3, v5
	v_add_f32_e32 v4, v4, v156
	s_waitcnt lgkmcnt(2)
	v_mul_f32_e32 v159, v16, v53
	v_mul_f32_e32 v52, v15, v52
	s_waitcnt vmcnt(21)
	v_fmac_f32_e32 v158, v15, v61
	v_fma_f32 v7, v12, v60, -v51
	v_add_f32_e32 v3, v3, v6
	v_add_f32_e32 v4, v4, v157
	v_mul_f32_e32 v53, v17, v53
	s_waitcnt vmcnt(20)
	v_fmac_f32_e32 v159, v17, v62
	v_fma_f32 v8, v14, v61, -v52
	v_add_f32_e32 v3, v3, v7
	v_add_f32_e32 v4, v4, v158
	v_add_f32_e32 v3, v3, v8
	v_add_f32_e32 v13, v4, v159
	v_fma_f32 v4, v16, v62, -v53
	s_waitcnt vmcnt(17)
	v_mov_b32_e32 v16, v29
	v_mul_f32_e32 v47, v18, v54
	v_add_f32_e32 v12, v3, v4
	v_mul_f32_e32 v3, v19, v54
	s_waitcnt lgkmcnt(1)
	v_pk_mul_f32 v[16:17], v[22:23], v[16:17] op_sel_hi:[1,0]
	v_mul_f32_e32 v49, v20, v55
	v_fmac_f32_e32 v47, v19, v63
	v_fma_f32 v46, v18, v63, -v3
	v_mul_f32_e32 v3, v21, v55
	s_waitcnt vmcnt(15)
	v_pk_fma_f32 v[18:19], v[22:23], v[28:29], v[16:17] op_sel:[0,0,1] op_sel_hi:[1,1,0] neg_lo:[0,0,1] neg_hi:[0,0,1]
	v_pk_fma_f32 v[16:17], v[22:23], v[28:29], v[16:17] op_sel:[0,0,1] op_sel_hi:[1,0,0]
	v_fmac_f32_e32 v49, v21, v64
	v_fma_f32 v48, v20, v64, -v3
	v_pk_add_f32 v[12:13], v[12:13], v[46:47]
	s_waitcnt vmcnt(12)
	v_mov_b32_e32 v16, v31
	v_pk_add_f32 v[12:13], v[12:13], v[48:49]
	v_mov_b32_e32 v19, v17
	s_waitcnt lgkmcnt(0)
	v_pk_mul_f32 v[16:17], v[24:25], v[16:17] op_sel_hi:[1,0]
	v_pk_add_f32 v[12:13], v[12:13], v[18:19]
	v_pk_fma_f32 v[18:19], v[24:25], v[30:31], v[16:17] op_sel:[0,0,1] op_sel_hi:[1,1,0] neg_lo:[0,0,1] neg_hi:[0,0,1]
	v_pk_fma_f32 v[16:17], v[24:25], v[30:31], v[16:17] op_sel:[0,0,1] op_sel_hi:[1,0,0]
	s_waitcnt vmcnt(11)
	v_mov_b32_e32 v16, v35
	ds_read2_b64 v[4:7], v2 offset0:83 offset1:84
	ds_read2_b64 v[8:11], v2 offset0:85 offset1:86
	ds_read_b64 v[14:15], v2 offset:696
	v_mov_b32_e32 v19, v17
	v_pk_mul_f32 v[16:17], v[26:27], v[16:17] op_sel_hi:[1,0]
	v_pk_add_f32 v[12:13], v[12:13], v[18:19]
	s_waitcnt vmcnt(4)
	v_pk_fma_f32 v[18:19], v[26:27], v[34:35], v[16:17] op_sel:[0,0,1] op_sel_hi:[1,1,0] neg_lo:[0,0,1] neg_hi:[0,0,1]
	v_pk_fma_f32 v[16:17], v[26:27], v[34:35], v[16:17] op_sel:[0,0,1] op_sel_hi:[1,0,0]
	v_mov_b32_e32 v16, v41
	v_mov_b32_e32 v19, v17
	s_waitcnt lgkmcnt(2)
	v_pk_mul_f32 v[16:17], v[4:5], v[16:17] op_sel_hi:[1,0]
	v_pk_add_f32 v[12:13], v[12:13], v[18:19]
	v_pk_fma_f32 v[18:19], v[4:5], v[40:41], v[16:17] op_sel:[0,0,1] op_sel_hi:[1,1,0] neg_lo:[0,0,1] neg_hi:[0,0,1]
	v_pk_fma_f32 v[4:5], v[4:5], v[40:41], v[16:17] op_sel:[0,0,1] op_sel_hi:[1,0,0]
	v_mov_b32_e32 v19, v5
	v_pk_add_f32 v[4:5], v[12:13], v[18:19]
	v_mov_b32_e32 v12, v39
	v_pk_mul_f32 v[12:13], v[6:7], v[12:13] op_sel_hi:[1,0]
	v_pk_fma_f32 v[16:17], v[6:7], v[38:39], v[12:13] op_sel:[0,0,1] op_sel_hi:[1,1,0] neg_lo:[0,0,1] neg_hi:[0,0,1]
	v_pk_fma_f32 v[6:7], v[6:7], v[38:39], v[12:13] op_sel:[0,0,1] op_sel_hi:[1,0,0]
	v_mov_b32_e32 v6, v37
	v_mov_b32_e32 v17, v7
	s_waitcnt lgkmcnt(1)
	v_pk_mul_f32 v[6:7], v[8:9], v[6:7] op_sel_hi:[1,0]
	v_pk_fma_f32 v[12:13], v[8:9], v[36:37], v[6:7] op_sel:[0,0,1] op_sel_hi:[1,1,0] neg_lo:[0,0,1] neg_hi:[0,0,1]
	v_pk_fma_f32 v[6:7], v[8:9], v[36:37], v[6:7] op_sel:[0,0,1] op_sel_hi:[1,0,0]
	s_waitcnt vmcnt(1)
	v_mov_b32_e32 v6, v45
	v_mov_b32_e32 v13, v7
	v_pk_mul_f32 v[6:7], v[10:11], v[6:7] op_sel_hi:[1,0]
	s_waitcnt vmcnt(0)
	v_pk_fma_f32 v[8:9], v[10:11], v[44:45], v[6:7] op_sel:[0,0,1] op_sel_hi:[1,1,0] neg_lo:[0,0,1] neg_hi:[0,0,1]
	v_pk_fma_f32 v[6:7], v[10:11], v[44:45], v[6:7] op_sel:[0,0,1] op_sel_hi:[1,0,0]
	v_pk_add_f32 v[4:5], v[4:5], v[16:17]
	v_mov_b32_e32 v6, v43
	v_pk_add_f32 v[4:5], v[4:5], v[12:13]
	v_mov_b32_e32 v9, v7
	s_waitcnt lgkmcnt(0)
	v_pk_mul_f32 v[6:7], v[14:15], v[6:7] op_sel_hi:[1,0]
	v_pk_add_f32 v[4:5], v[4:5], v[8:9]
	v_pk_fma_f32 v[8:9], v[14:15], v[42:43], v[6:7] op_sel:[0,0,1] op_sel_hi:[1,1,0] neg_lo:[0,0,1] neg_hi:[0,0,1]
	v_pk_fma_f32 v[6:7], v[14:15], v[42:43], v[6:7] op_sel:[0,0,1] op_sel_hi:[1,0,0]
	v_mov_b32_e32 v9, v7
	v_pk_add_f32 v[4:5], v[4:5], v[8:9]
	v_pk_add_f32 v[4:5], v[32:33], v[4:5] neg_lo:[0,1] neg_hi:[0,1]
	buffer_store_dword v5, off, s[0:3], 0 offset:212
	buffer_store_dword v4, off, s[0:3], 0 offset:208
	s_and_saveexec_b64 s[4:5], vcc
	s_cbranch_execz .LBB43_227
; %bb.226:
	buffer_load_dword v4, off, s[0:3], 0 offset:200
	buffer_load_dword v5, off, s[0:3], 0 offset:204
	s_waitcnt vmcnt(0)
	ds_write_b64 v1, v[4:5]
	buffer_store_dword v2, off, s[0:3], 0 offset:200
	buffer_store_dword v2, off, s[0:3], 0 offset:204
.LBB43_227:
	s_or_b64 exec, exec, s[4:5]
	s_waitcnt lgkmcnt(0)
	; wave barrier
	s_waitcnt lgkmcnt(0)
	buffer_load_dword v3, off, s[0:3], 0 offset:212
	buffer_load_dword v46, off, s[0:3], 0 offset:220
	;; [unrolled: 1-line block ×22, first 2 shown]
	ds_read_b128 v[4:7], v2 offset:560
	ds_read_b128 v[8:11], v2 offset:576
	buffer_load_dword v31, off, s[0:3], 0 offset:292
	buffer_load_dword v30, off, s[0:3], 0 offset:288
	;; [unrolled: 1-line block ×10, first 2 shown]
	ds_read_b128 v[12:15], v2 offset:592
	ds_read_b128 v[16:19], v2 offset:608
	;; [unrolled: 1-line block ×4, first 2 shown]
	buffer_load_dword v41, off, s[0:3], 0 offset:348
	buffer_load_dword v40, off, s[0:3], 0 offset:344
	buffer_load_dword v43, off, s[0:3], 0 offset:340
	buffer_load_dword v42, off, s[0:3], 0 offset:336
	buffer_load_dword v45, off, s[0:3], 0 offset:332
	buffer_load_dword v44, off, s[0:3], 0 offset:328
	v_cmp_lt_u32_e32 vcc, 24, v0
	s_waitcnt vmcnt(37) lgkmcnt(5)
	v_mul_f32_e32 v155, v4, v3
	s_waitcnt vmcnt(36)
	v_mul_f32_e32 v156, v6, v46
	s_waitcnt vmcnt(35) lgkmcnt(4)
	v_mul_f32_e32 v157, v8, v48
	v_mul_f32_e32 v3, v5, v3
	;; [unrolled: 1-line block ×4, first 2 shown]
	s_waitcnt vmcnt(34)
	v_mul_f32_e32 v158, v10, v50
	s_waitcnt vmcnt(33) lgkmcnt(3)
	v_mul_f32_e32 v159, v12, v51
	s_waitcnt vmcnt(32)
	v_mul_f32_e32 v160, v14, v52
	s_waitcnt vmcnt(31) lgkmcnt(2)
	v_mul_f32_e32 v161, v16, v53
	s_waitcnt vmcnt(27)
	v_fmac_f32_e32 v155, v5, v57
	s_waitcnt vmcnt(26)
	v_fmac_f32_e32 v156, v7, v58
	v_fma_f32 v3, v4, v57, -v3
	s_waitcnt vmcnt(25)
	v_fma_f32 v5, v8, v59, -v48
	v_add_f32_e32 v8, 0, v155
	v_fmac_f32_e32 v157, v9, v59
	v_fma_f32 v4, v6, v58, -v46
	v_add_f32_e32 v3, 0, v3
	v_add_f32_e32 v8, v8, v156
	s_waitcnt vmcnt(24)
	v_fmac_f32_e32 v158, v11, v60
	v_add_f32_e32 v3, v3, v4
	v_add_f32_e32 v4, v8, v157
	s_waitcnt vmcnt(23)
	v_fmac_f32_e32 v159, v13, v61
	v_add_f32_e32 v4, v4, v158
	v_mul_f32_e32 v50, v11, v50
	s_waitcnt vmcnt(22)
	v_fmac_f32_e32 v160, v15, v62
	v_add_f32_e32 v4, v4, v159
	v_mul_f32_e32 v162, v18, v54
	v_mul_f32_e32 v51, v13, v51
	s_waitcnt vmcnt(21)
	v_fmac_f32_e32 v161, v17, v63
	v_fma_f32 v6, v10, v60, -v50
	v_add_f32_e32 v3, v3, v5
	v_add_f32_e32 v4, v4, v160
	v_mul_f32_e32 v52, v15, v52
	s_waitcnt vmcnt(20)
	v_fmac_f32_e32 v162, v19, v64
	v_fma_f32 v7, v12, v61, -v51
	v_add_f32_e32 v3, v3, v6
	v_add_f32_e32 v4, v4, v161
	;; [unrolled: 1-line block ×4, first 2 shown]
	v_fma_f32 v4, v14, v62, -v52
	v_add_f32_e32 v3, v3, v4
	v_mul_f32_e32 v4, v17, v53
	v_fma_f32 v4, v16, v63, -v4
	v_add_f32_e32 v3, v3, v4
	v_mul_f32_e32 v4, v19, v54
	v_fma_f32 v4, v18, v64, -v4
	s_waitcnt vmcnt(15)
	v_mov_b32_e32 v16, v31
	s_waitcnt lgkmcnt(1)
	v_mul_f32_e32 v47, v20, v55
	v_add_f32_e32 v50, v3, v4
	v_mul_f32_e32 v3, v21, v55
	s_waitcnt lgkmcnt(0)
	v_pk_mul_f32 v[16:17], v[24:25], v[16:17] op_sel_hi:[1,0]
	v_mul_f32_e32 v49, v22, v56
	v_fmac_f32_e32 v47, v21, v65
	v_fma_f32 v46, v20, v65, -v3
	v_mul_f32_e32 v3, v23, v56
	s_waitcnt vmcnt(14)
	v_pk_fma_f32 v[18:19], v[24:25], v[30:31], v[16:17] op_sel:[0,0,1] op_sel_hi:[1,1,0] neg_lo:[0,0,1] neg_hi:[0,0,1]
	v_pk_fma_f32 v[16:17], v[24:25], v[30:31], v[16:17] op_sel:[0,0,1] op_sel_hi:[1,0,0]
	v_fmac_f32_e32 v49, v23, v154
	v_fma_f32 v48, v22, v154, -v3
	ds_read_b128 v[4:7], v2 offset:656
	ds_read_b128 v[8:11], v2 offset:672
	;; [unrolled: 1-line block ×3, first 2 shown]
	v_pk_add_f32 v[2:3], v[50:51], v[46:47]
	s_waitcnt vmcnt(13)
	v_mov_b32_e32 v16, v33
	v_pk_add_f32 v[2:3], v[2:3], v[48:49]
	v_mov_b32_e32 v19, v17
	v_pk_mul_f32 v[16:17], v[26:27], v[16:17] op_sel_hi:[1,0]
	v_pk_add_f32 v[2:3], v[2:3], v[18:19]
	s_waitcnt vmcnt(6)
	v_pk_fma_f32 v[18:19], v[26:27], v[32:33], v[16:17] op_sel:[0,0,1] op_sel_hi:[1,1,0] neg_lo:[0,0,1] neg_hi:[0,0,1]
	v_pk_fma_f32 v[16:17], v[26:27], v[32:33], v[16:17] op_sel:[0,0,1] op_sel_hi:[1,0,0]
	v_mov_b32_e32 v16, v39
	v_mov_b32_e32 v19, v17
	s_waitcnt lgkmcnt(2)
	v_pk_mul_f32 v[16:17], v[4:5], v[16:17] op_sel_hi:[1,0]
	v_pk_add_f32 v[2:3], v[2:3], v[18:19]
	v_pk_fma_f32 v[18:19], v[4:5], v[38:39], v[16:17] op_sel:[0,0,1] op_sel_hi:[1,1,0] neg_lo:[0,0,1] neg_hi:[0,0,1]
	v_pk_fma_f32 v[4:5], v[4:5], v[38:39], v[16:17] op_sel:[0,0,1] op_sel_hi:[1,0,0]
	v_mov_b32_e32 v4, v37
	v_mov_b32_e32 v19, v5
	v_pk_mul_f32 v[4:5], v[6:7], v[4:5] op_sel_hi:[1,0]
	v_pk_fma_f32 v[16:17], v[6:7], v[36:37], v[4:5] op_sel:[0,0,1] op_sel_hi:[1,1,0] neg_lo:[0,0,1] neg_hi:[0,0,1]
	v_pk_fma_f32 v[4:5], v[6:7], v[36:37], v[4:5] op_sel:[0,0,1] op_sel_hi:[1,0,0]
	v_mov_b32_e32 v4, v35
	v_mov_b32_e32 v17, v5
	s_waitcnt lgkmcnt(1)
	v_pk_mul_f32 v[4:5], v[8:9], v[4:5] op_sel_hi:[1,0]
	v_pk_fma_f32 v[6:7], v[8:9], v[34:35], v[4:5] op_sel:[0,0,1] op_sel_hi:[1,1,0] neg_lo:[0,0,1] neg_hi:[0,0,1]
	v_pk_fma_f32 v[4:5], v[8:9], v[34:35], v[4:5] op_sel:[0,0,1] op_sel_hi:[1,0,0]
	v_pk_add_f32 v[2:3], v[2:3], v[18:19]
	s_waitcnt vmcnt(1)
	v_mov_b32_e32 v4, v45
	v_pk_add_f32 v[2:3], v[2:3], v[16:17]
	v_mov_b32_e32 v7, v5
	v_pk_mul_f32 v[4:5], v[10:11], v[4:5] op_sel_hi:[1,0]
	v_pk_add_f32 v[2:3], v[2:3], v[6:7]
	s_waitcnt vmcnt(0)
	v_pk_fma_f32 v[6:7], v[10:11], v[44:45], v[4:5] op_sel:[0,0,1] op_sel_hi:[1,1,0] neg_lo:[0,0,1] neg_hi:[0,0,1]
	v_pk_fma_f32 v[4:5], v[10:11], v[44:45], v[4:5] op_sel:[0,0,1] op_sel_hi:[1,0,0]
	v_mov_b32_e32 v4, v43
	v_mov_b32_e32 v7, v5
	s_waitcnt lgkmcnt(0)
	v_pk_mul_f32 v[4:5], v[12:13], v[4:5] op_sel_hi:[1,0]
	v_pk_add_f32 v[2:3], v[2:3], v[6:7]
	v_pk_fma_f32 v[6:7], v[12:13], v[42:43], v[4:5] op_sel:[0,0,1] op_sel_hi:[1,1,0] neg_lo:[0,0,1] neg_hi:[0,0,1]
	v_pk_fma_f32 v[4:5], v[12:13], v[42:43], v[4:5] op_sel:[0,0,1] op_sel_hi:[1,0,0]
	v_mov_b32_e32 v4, v41
	v_mov_b32_e32 v7, v5
	v_pk_mul_f32 v[4:5], v[14:15], v[4:5] op_sel_hi:[1,0]
	v_pk_add_f32 v[2:3], v[2:3], v[6:7]
	v_pk_fma_f32 v[6:7], v[14:15], v[40:41], v[4:5] op_sel:[0,0,1] op_sel_hi:[1,1,0] neg_lo:[0,0,1] neg_hi:[0,0,1]
	v_pk_fma_f32 v[4:5], v[14:15], v[40:41], v[4:5] op_sel:[0,0,1] op_sel_hi:[1,0,0]
	v_mov_b32_e32 v7, v5
	v_pk_add_f32 v[2:3], v[2:3], v[6:7]
	v_pk_add_f32 v[2:3], v[28:29], v[2:3] neg_lo:[0,1] neg_hi:[0,1]
	buffer_store_dword v3, off, s[0:3], 0 offset:204
	buffer_store_dword v2, off, s[0:3], 0 offset:200
	s_and_saveexec_b64 s[4:5], vcc
	s_cbranch_execz .LBB43_229
; %bb.228:
	buffer_load_dword v2, off, s[0:3], 0 offset:192
	buffer_load_dword v3, off, s[0:3], 0 offset:196
	v_mov_b32_e32 v4, 0
	buffer_store_dword v4, off, s[0:3], 0 offset:192
	buffer_store_dword v4, off, s[0:3], 0 offset:196
	s_waitcnt vmcnt(2)
	ds_write_b64 v1, v[2:3]
.LBB43_229:
	s_or_b64 exec, exec, s[4:5]
	s_waitcnt lgkmcnt(0)
	; wave barrier
	s_waitcnt lgkmcnt(0)
	buffer_load_dword v17, off, s[0:3], 0 offset:204
	buffer_load_dword v46, off, s[0:3], 0 offset:212
	;; [unrolled: 1-line block ×40, first 2 shown]
	v_mov_b32_e32 v16, 0
	ds_read2_b64 v[2:5], v16 offset0:69 offset1:70
	ds_read2_b64 v[6:9], v16 offset0:71 offset1:72
	ds_read2_b64 v[10:13], v16 offset0:73 offset1:74
	ds_read2_b64 v[18:21], v16 offset0:75 offset1:76
	ds_read2_b64 v[22:25], v16 offset0:77 offset1:78
	ds_read2_b64 v[26:29], v16 offset0:79 offset1:80
	v_cmp_lt_u32_e32 vcc, 23, v0
	s_waitcnt vmcnt(39) lgkmcnt(5)
	v_mul_f32_e32 v157, v2, v17
	s_waitcnt vmcnt(38)
	v_mul_f32_e32 v158, v4, v46
	s_waitcnt vmcnt(37) lgkmcnt(4)
	v_mul_f32_e32 v159, v6, v48
	v_mul_f32_e32 v17, v3, v17
	v_mul_f32_e32 v46, v5, v46
	v_mul_f32_e32 v48, v7, v48
	s_waitcnt vmcnt(36)
	v_mul_f32_e32 v160, v8, v50
	s_waitcnt vmcnt(35) lgkmcnt(3)
	v_mul_f32_e32 v161, v10, v52
	s_waitcnt vmcnt(34)
	v_mul_f32_e32 v162, v12, v53
	s_waitcnt vmcnt(33) lgkmcnt(2)
	v_mul_f32_e32 v163, v18, v54
	s_waitcnt vmcnt(32)
	v_mul_f32_e32 v164, v20, v55
	s_waitcnt vmcnt(28)
	v_fmac_f32_e32 v157, v3, v51
	s_waitcnt vmcnt(27)
	v_fmac_f32_e32 v158, v5, v59
	v_fma_f32 v2, v2, v51, -v17
	v_fma_f32 v3, v4, v59, -v46
	s_waitcnt vmcnt(26)
	v_fma_f32 v4, v6, v60, -v48
	v_add_f32_e32 v6, 0, v157
	v_fmac_f32_e32 v159, v7, v60
	v_add_f32_e32 v2, 0, v2
	v_add_f32_e32 v6, v6, v158
	s_waitcnt vmcnt(25)
	v_fmac_f32_e32 v160, v9, v61
	v_add_f32_e32 v2, v2, v3
	v_add_f32_e32 v3, v6, v159
	s_waitcnt vmcnt(24)
	v_fmac_f32_e32 v161, v11, v62
	v_add_f32_e32 v3, v3, v160
	s_waitcnt vmcnt(23)
	v_fmac_f32_e32 v162, v13, v63
	;; [unrolled: 3-line block ×3, first 2 shown]
	v_add_f32_e32 v3, v3, v162
	s_waitcnt lgkmcnt(1)
	v_mul_f32_e32 v165, v22, v56
	s_waitcnt vmcnt(21)
	v_fmac_f32_e32 v164, v21, v65
	v_add_f32_e32 v3, v3, v163
	v_mul_f32_e32 v50, v9, v50
	s_waitcnt vmcnt(20)
	v_fmac_f32_e32 v165, v23, v154
	v_add_f32_e32 v3, v3, v164
	v_fma_f32 v5, v8, v61, -v50
	v_add_f32_e32 v2, v2, v4
	v_add_f32_e32 v51, v3, v165
	v_mul_f32_e32 v3, v11, v52
	v_add_f32_e32 v2, v2, v5
	v_fma_f32 v3, v10, v62, -v3
	v_add_f32_e32 v2, v2, v3
	v_mul_f32_e32 v3, v13, v53
	v_fma_f32 v3, v12, v63, -v3
	v_add_f32_e32 v2, v2, v3
	v_mul_f32_e32 v3, v19, v54
	;; [unrolled: 3-line block ×5, first 2 shown]
	s_waitcnt vmcnt(9)
	v_mov_b32_e32 v22, v37
	v_mul_f32_e32 v47, v24, v57
	v_fma_f32 v46, v24, v155, -v2
	s_waitcnt lgkmcnt(0)
	v_mul_f32_e32 v2, v27, v58
	v_pk_mul_f32 v[22:23], v[28:29], v[22:23] op_sel_hi:[1,0]
	v_mul_f32_e32 v49, v26, v58
	v_fmac_f32_e32 v47, v25, v155
	v_fma_f32 v48, v26, v156, -v2
	ds_read2_b64 v[2:5], v16 offset0:81 offset1:82
	ds_read2_b64 v[6:9], v16 offset0:83 offset1:84
	;; [unrolled: 1-line block ×3, first 2 shown]
	ds_read_b64 v[18:19], v16 offset:696
	s_waitcnt vmcnt(8)
	v_pk_fma_f32 v[24:25], v[28:29], v[36:37], v[22:23] op_sel:[0,0,1] op_sel_hi:[1,1,0] neg_lo:[0,0,1] neg_hi:[0,0,1]
	v_pk_fma_f32 v[22:23], v[28:29], v[36:37], v[22:23] op_sel:[0,0,1] op_sel_hi:[1,0,0]
	v_fmac_f32_e32 v49, v27, v156
	v_pk_add_f32 v[20:21], v[50:51], v[46:47]
	v_mov_b32_e32 v22, v35
	v_pk_add_f32 v[20:21], v[20:21], v[48:49]
	v_mov_b32_e32 v25, v23
	s_waitcnt lgkmcnt(3)
	v_pk_mul_f32 v[22:23], v[2:3], v[22:23] op_sel_hi:[1,0]
	v_pk_add_f32 v[20:21], v[20:21], v[24:25]
	v_pk_fma_f32 v[24:25], v[2:3], v[34:35], v[22:23] op_sel:[0,0,1] op_sel_hi:[1,1,0] neg_lo:[0,0,1] neg_hi:[0,0,1]
	v_pk_fma_f32 v[2:3], v[2:3], v[34:35], v[22:23] op_sel:[0,0,1] op_sel_hi:[1,0,0]
	v_mov_b32_e32 v25, v3
	v_pk_add_f32 v[2:3], v[20:21], v[24:25]
	v_mov_b32_e32 v20, v33
	v_pk_mul_f32 v[20:21], v[4:5], v[20:21] op_sel_hi:[1,0]
	v_pk_fma_f32 v[22:23], v[4:5], v[32:33], v[20:21] op_sel:[0,0,1] op_sel_hi:[1,1,0] neg_lo:[0,0,1] neg_hi:[0,0,1]
	v_pk_fma_f32 v[4:5], v[4:5], v[32:33], v[20:21] op_sel:[0,0,1] op_sel_hi:[1,0,0]
	v_mov_b32_e32 v4, v31
	v_mov_b32_e32 v23, v5
	s_waitcnt lgkmcnt(2)
	v_pk_mul_f32 v[4:5], v[6:7], v[4:5] op_sel_hi:[1,0]
	v_pk_fma_f32 v[20:21], v[6:7], v[30:31], v[4:5] op_sel:[0,0,1] op_sel_hi:[1,1,0] neg_lo:[0,0,1] neg_hi:[0,0,1]
	v_pk_fma_f32 v[4:5], v[6:7], v[30:31], v[4:5] op_sel:[0,0,1] op_sel_hi:[1,0,0]
	s_waitcnt vmcnt(1)
	v_mov_b32_e32 v4, v45
	v_mov_b32_e32 v21, v5
	v_pk_mul_f32 v[4:5], v[8:9], v[4:5] op_sel_hi:[1,0]
	s_waitcnt vmcnt(0)
	v_pk_fma_f32 v[6:7], v[8:9], v[44:45], v[4:5] op_sel:[0,0,1] op_sel_hi:[1,1,0] neg_lo:[0,0,1] neg_hi:[0,0,1]
	v_pk_fma_f32 v[4:5], v[8:9], v[44:45], v[4:5] op_sel:[0,0,1] op_sel_hi:[1,0,0]
	v_pk_add_f32 v[2:3], v[2:3], v[22:23]
	v_mov_b32_e32 v4, v43
	v_pk_add_f32 v[2:3], v[2:3], v[20:21]
	v_mov_b32_e32 v7, v5
	s_waitcnt lgkmcnt(1)
	v_pk_mul_f32 v[4:5], v[10:11], v[4:5] op_sel_hi:[1,0]
	v_pk_add_f32 v[2:3], v[2:3], v[6:7]
	v_pk_fma_f32 v[6:7], v[10:11], v[42:43], v[4:5] op_sel:[0,0,1] op_sel_hi:[1,1,0] neg_lo:[0,0,1] neg_hi:[0,0,1]
	v_pk_fma_f32 v[4:5], v[10:11], v[42:43], v[4:5] op_sel:[0,0,1] op_sel_hi:[1,0,0]
	v_mov_b32_e32 v4, v41
	v_mov_b32_e32 v7, v5
	v_pk_mul_f32 v[4:5], v[12:13], v[4:5] op_sel_hi:[1,0]
	v_pk_add_f32 v[2:3], v[2:3], v[6:7]
	v_pk_fma_f32 v[6:7], v[12:13], v[40:41], v[4:5] op_sel:[0,0,1] op_sel_hi:[1,1,0] neg_lo:[0,0,1] neg_hi:[0,0,1]
	v_pk_fma_f32 v[4:5], v[12:13], v[40:41], v[4:5] op_sel:[0,0,1] op_sel_hi:[1,0,0]
	v_mov_b32_e32 v4, v39
	v_mov_b32_e32 v7, v5
	s_waitcnt lgkmcnt(0)
	v_pk_mul_f32 v[4:5], v[18:19], v[4:5] op_sel_hi:[1,0]
	v_pk_add_f32 v[2:3], v[2:3], v[6:7]
	v_pk_fma_f32 v[6:7], v[18:19], v[38:39], v[4:5] op_sel:[0,0,1] op_sel_hi:[1,1,0] neg_lo:[0,0,1] neg_hi:[0,0,1]
	v_pk_fma_f32 v[4:5], v[18:19], v[38:39], v[4:5] op_sel:[0,0,1] op_sel_hi:[1,0,0]
	v_mov_b32_e32 v7, v5
	v_pk_add_f32 v[2:3], v[2:3], v[6:7]
	v_pk_add_f32 v[2:3], v[14:15], v[2:3] neg_lo:[0,1] neg_hi:[0,1]
	buffer_store_dword v3, off, s[0:3], 0 offset:196
	buffer_store_dword v2, off, s[0:3], 0 offset:192
	s_and_saveexec_b64 s[4:5], vcc
	s_cbranch_execz .LBB43_231
; %bb.230:
	buffer_load_dword v2, off, s[0:3], 0 offset:184
	buffer_load_dword v3, off, s[0:3], 0 offset:188
	s_waitcnt vmcnt(0)
	ds_write_b64 v1, v[2:3]
	buffer_store_dword v16, off, s[0:3], 0 offset:184
	buffer_store_dword v16, off, s[0:3], 0 offset:188
.LBB43_231:
	s_or_b64 exec, exec, s[4:5]
	s_waitcnt lgkmcnt(0)
	; wave barrier
	s_waitcnt lgkmcnt(0)
	ds_read_b128 v[18:21], v16 offset:544
	ds_read_b128 v[10:13], v16 offset:560
	;; [unrolled: 1-line block ×4, first 2 shown]
	buffer_load_dword v14, off, s[0:3], 0 offset:184
	buffer_load_dword v15, off, s[0:3], 0 offset:188
	;; [unrolled: 1-line block ×18, first 2 shown]
	v_cmp_lt_u32_e32 vcc, 22, v0
	s_waitcnt vmcnt(14) lgkmcnt(3)
	v_mul_f32_e32 v22, v18, v34
	v_fmac_f32_e32 v22, v19, v17
	s_waitcnt vmcnt(12)
	v_mul_f32_e32 v23, v20, v38
	v_add_f32_e32 v22, 0, v22
	v_fmac_f32_e32 v23, v21, v36
	v_add_f32_e32 v22, v22, v23
	s_waitcnt vmcnt(10) lgkmcnt(2)
	v_mul_f32_e32 v23, v10, v57
	v_fmac_f32_e32 v23, v11, v56
	v_add_f32_e32 v22, v22, v23
	s_waitcnt vmcnt(8)
	v_mul_f32_e32 v23, v12, v59
	v_fmac_f32_e32 v23, v13, v58
	v_add_f32_e32 v22, v22, v23
	s_waitcnt vmcnt(6) lgkmcnt(1)
	v_mul_f32_e32 v23, v6, v61
	v_fmac_f32_e32 v23, v7, v60
	v_add_f32_e32 v22, v22, v23
	s_waitcnt vmcnt(4)
	v_mul_f32_e32 v23, v8, v63
	;; [unrolled: 8-line block ×3, first 2 shown]
	v_fmac_f32_e32 v23, v5, v154
	v_add_f32_e32 v26, v22, v23
	ds_read_b128 v[22:25], v16 offset:608
	buffer_load_dword v156, off, s[0:3], 0 offset:256
	buffer_load_dword v157, off, s[0:3], 0 offset:260
	;; [unrolled: 1-line block ×4, first 2 shown]
	v_mul_f32_e32 v19, v19, v34
	v_fma_f32 v17, v18, v17, -v19
	v_mul_f32_e32 v18, v21, v38
	v_add_f32_e32 v17, 0, v17
	v_fma_f32 v18, v20, v36, -v18
	v_mul_f32_e32 v11, v11, v57
	v_add_f32_e32 v17, v17, v18
	;; [unrolled: 3-line block ×7, first 2 shown]
	v_fma_f32 v3, v4, v154, -v3
	v_add_f32_e32 v2, v2, v3
	s_waitcnt vmcnt(2) lgkmcnt(0)
	v_mul_f32_e32 v27, v22, v157
	v_fmac_f32_e32 v27, v23, v156
	v_add_f32_e32 v26, v26, v27
	s_waitcnt vmcnt(0)
	v_mul_f32_e32 v27, v24, v159
	v_fmac_f32_e32 v27, v25, v158
	v_add_f32_e32 v35, v26, v27
	ds_read_b128 v[26:29], v16 offset:624
	buffer_load_dword v160, off, s[0:3], 0 offset:272
	buffer_load_dword v161, off, s[0:3], 0 offset:276
	;; [unrolled: 1-line block ×6, first 2 shown]
	ds_read_b128 v[30:33], v16 offset:640
	buffer_load_dword v43, off, s[0:3], 0 offset:300
	buffer_load_dword v42, off, s[0:3], 0 offset:296
	;; [unrolled: 1-line block ×14, first 2 shown]
	v_mul_f32_e32 v3, v23, v157
	v_fma_f32 v3, v22, v156, -v3
	v_add_f32_e32 v2, v2, v3
	v_mul_f32_e32 v3, v25, v159
	v_fma_f32 v3, v24, v158, -v3
	v_add_f32_e32 v34, v2, v3
	s_waitcnt vmcnt(18) lgkmcnt(1)
	v_mul_f32_e32 v37, v26, v161
	s_waitcnt vmcnt(15)
	v_mov_b32_e32 v18, v41
	v_mul_f32_e32 v2, v27, v161
	s_waitcnt lgkmcnt(0)
	v_pk_mul_f32 v[18:19], v[30:31], v[18:19] op_sel_hi:[1,0]
	v_fmac_f32_e32 v37, v27, v160
	v_mul_f32_e32 v39, v28, v163
	v_fma_f32 v36, v26, v160, -v2
	v_mul_f32_e32 v2, v29, v163
	s_waitcnt vmcnt(14)
	v_pk_fma_f32 v[20:21], v[30:31], v[40:41], v[18:19] op_sel:[0,0,1] op_sel_hi:[1,1,0] neg_lo:[0,0,1] neg_hi:[0,0,1]
	v_pk_fma_f32 v[18:19], v[30:31], v[40:41], v[18:19] op_sel:[0,0,1] op_sel_hi:[1,0,0]
	v_fmac_f32_e32 v39, v29, v162
	v_fma_f32 v38, v28, v162, -v2
	ds_read_b128 v[2:5], v16 offset:656
	ds_read_b128 v[6:9], v16 offset:672
	;; [unrolled: 1-line block ×3, first 2 shown]
	v_pk_add_f32 v[16:17], v[34:35], v[36:37]
	s_waitcnt vmcnt(13)
	v_mov_b32_e32 v18, v43
	v_pk_add_f32 v[16:17], v[16:17], v[38:39]
	v_mov_b32_e32 v21, v19
	v_pk_mul_f32 v[18:19], v[32:33], v[18:19] op_sel_hi:[1,0]
	v_pk_add_f32 v[16:17], v[16:17], v[20:21]
	s_waitcnt vmcnt(12)
	v_pk_fma_f32 v[20:21], v[32:33], v[42:43], v[18:19] op_sel:[0,0,1] op_sel_hi:[1,1,0] neg_lo:[0,0,1] neg_hi:[0,0,1]
	v_pk_fma_f32 v[18:19], v[32:33], v[42:43], v[18:19] op_sel:[0,0,1] op_sel_hi:[1,0,0]
	s_waitcnt vmcnt(11)
	v_mov_b32_e32 v18, v45
	v_mov_b32_e32 v21, v19
	s_waitcnt lgkmcnt(2)
	v_pk_mul_f32 v[18:19], v[2:3], v[18:19] op_sel_hi:[1,0]
	v_pk_add_f32 v[16:17], v[16:17], v[20:21]
	s_waitcnt vmcnt(10)
	v_pk_fma_f32 v[20:21], v[2:3], v[44:45], v[18:19] op_sel:[0,0,1] op_sel_hi:[1,1,0] neg_lo:[0,0,1] neg_hi:[0,0,1]
	v_pk_fma_f32 v[2:3], v[2:3], v[44:45], v[18:19] op_sel:[0,0,1] op_sel_hi:[1,0,0]
	v_mov_b32_e32 v21, v3
	v_pk_add_f32 v[2:3], v[16:17], v[20:21]
	s_waitcnt vmcnt(9)
	v_mov_b32_e32 v16, v47
	v_pk_mul_f32 v[16:17], v[4:5], v[16:17] op_sel_hi:[1,0]
	s_waitcnt vmcnt(8)
	v_pk_fma_f32 v[18:19], v[4:5], v[46:47], v[16:17] op_sel:[0,0,1] op_sel_hi:[1,1,0] neg_lo:[0,0,1] neg_hi:[0,0,1]
	v_pk_fma_f32 v[4:5], v[4:5], v[46:47], v[16:17] op_sel:[0,0,1] op_sel_hi:[1,0,0]
	s_waitcnt vmcnt(7)
	v_mov_b32_e32 v4, v49
	v_mov_b32_e32 v19, v5
	s_waitcnt lgkmcnt(1)
	v_pk_mul_f32 v[4:5], v[6:7], v[4:5] op_sel_hi:[1,0]
	s_waitcnt vmcnt(6)
	v_pk_fma_f32 v[16:17], v[6:7], v[48:49], v[4:5] op_sel:[0,0,1] op_sel_hi:[1,1,0] neg_lo:[0,0,1] neg_hi:[0,0,1]
	v_pk_fma_f32 v[4:5], v[6:7], v[48:49], v[4:5] op_sel:[0,0,1] op_sel_hi:[1,0,0]
	s_waitcnt vmcnt(5)
	v_mov_b32_e32 v4, v51
	v_mov_b32_e32 v17, v5
	v_pk_mul_f32 v[4:5], v[8:9], v[4:5] op_sel_hi:[1,0]
	s_waitcnt vmcnt(4)
	v_pk_fma_f32 v[6:7], v[8:9], v[50:51], v[4:5] op_sel:[0,0,1] op_sel_hi:[1,1,0] neg_lo:[0,0,1] neg_hi:[0,0,1]
	v_pk_fma_f32 v[4:5], v[8:9], v[50:51], v[4:5] op_sel:[0,0,1] op_sel_hi:[1,0,0]
	v_pk_add_f32 v[2:3], v[2:3], v[18:19]
	s_waitcnt vmcnt(3)
	v_mov_b32_e32 v4, v53
	v_pk_add_f32 v[2:3], v[2:3], v[16:17]
	v_mov_b32_e32 v7, v5
	s_waitcnt lgkmcnt(0)
	v_pk_mul_f32 v[4:5], v[10:11], v[4:5] op_sel_hi:[1,0]
	v_pk_add_f32 v[2:3], v[2:3], v[6:7]
	s_waitcnt vmcnt(2)
	v_pk_fma_f32 v[6:7], v[10:11], v[52:53], v[4:5] op_sel:[0,0,1] op_sel_hi:[1,1,0] neg_lo:[0,0,1] neg_hi:[0,0,1]
	v_pk_fma_f32 v[4:5], v[10:11], v[52:53], v[4:5] op_sel:[0,0,1] op_sel_hi:[1,0,0]
	s_waitcnt vmcnt(1)
	v_mov_b32_e32 v4, v55
	v_mov_b32_e32 v7, v5
	v_pk_mul_f32 v[4:5], v[12:13], v[4:5] op_sel_hi:[1,0]
	v_pk_add_f32 v[2:3], v[2:3], v[6:7]
	s_waitcnt vmcnt(0)
	v_pk_fma_f32 v[6:7], v[12:13], v[54:55], v[4:5] op_sel:[0,0,1] op_sel_hi:[1,1,0] neg_lo:[0,0,1] neg_hi:[0,0,1]
	v_pk_fma_f32 v[4:5], v[12:13], v[54:55], v[4:5] op_sel:[0,0,1] op_sel_hi:[1,0,0]
	v_mov_b32_e32 v7, v5
	v_pk_add_f32 v[2:3], v[2:3], v[6:7]
	v_pk_add_f32 v[2:3], v[14:15], v[2:3] neg_lo:[0,1] neg_hi:[0,1]
	buffer_store_dword v3, off, s[0:3], 0 offset:188
	buffer_store_dword v2, off, s[0:3], 0 offset:184
	s_and_saveexec_b64 s[4:5], vcc
	s_cbranch_execz .LBB43_233
; %bb.232:
	buffer_load_dword v2, off, s[0:3], 0 offset:176
	buffer_load_dword v3, off, s[0:3], 0 offset:180
	v_mov_b32_e32 v4, 0
	buffer_store_dword v4, off, s[0:3], 0 offset:176
	buffer_store_dword v4, off, s[0:3], 0 offset:180
	s_waitcnt vmcnt(2)
	ds_write_b64 v1, v[2:3]
.LBB43_233:
	s_or_b64 exec, exec, s[4:5]
	v_mov_b32_e32 v12, 0
	s_waitcnt lgkmcnt(0)
	; wave barrier
	s_waitcnt lgkmcnt(0)
	ds_read2_b64 v[14:17], v12 offset0:67 offset1:68
	buffer_load_dword v6, off, s[0:3], 0 offset:176
	buffer_load_dword v7, off, s[0:3], 0 offset:180
	buffer_load_dword v8, off, s[0:3], 0 offset:184
	buffer_load_dword v10, off, s[0:3], 0 offset:188
	buffer_load_dword v13, off, s[0:3], 0 offset:192
	buffer_load_dword v38, off, s[0:3], 0 offset:196
	buffer_load_dword v56, off, s[0:3], 0 offset:200
	buffer_load_dword v57, off, s[0:3], 0 offset:204
	buffer_load_dword v58, off, s[0:3], 0 offset:208
	buffer_load_dword v59, off, s[0:3], 0 offset:212
	buffer_load_dword v60, off, s[0:3], 0 offset:216
	buffer_load_dword v61, off, s[0:3], 0 offset:220
	buffer_load_dword v62, off, s[0:3], 0 offset:224
	buffer_load_dword v63, off, s[0:3], 0 offset:228
	buffer_load_dword v64, off, s[0:3], 0 offset:232
	buffer_load_dword v65, off, s[0:3], 0 offset:236
	ds_read2_b64 v[18:21], v12 offset0:69 offset1:70
	ds_read2_b64 v[22:25], v12 offset0:71 offset1:72
	;; [unrolled: 1-line block ×3, first 2 shown]
	buffer_load_dword v154, off, s[0:3], 0 offset:240
	buffer_load_dword v155, off, s[0:3], 0 offset:244
	ds_read2_b64 v[30:33], v12 offset0:75 offset1:76
	buffer_load_dword v156, off, s[0:3], 0 offset:248
	buffer_load_dword v157, off, s[0:3], 0 offset:252
	;; [unrolled: 1-line block ×4, first 2 shown]
	ds_read2_b64 v[34:37], v12 offset0:77 offset1:78
	buffer_load_dword v160, off, s[0:3], 0 offset:264
	buffer_load_dword v161, off, s[0:3], 0 offset:268
	;; [unrolled: 1-line block ×4, first 2 shown]
	v_cmp_lt_u32_e32 vcc, 21, v0
	s_waitcnt vmcnt(22) lgkmcnt(5)
	v_mul_f32_e32 v2, v14, v10
	v_fmac_f32_e32 v2, v15, v8
	s_waitcnt vmcnt(20)
	v_mul_f32_e32 v3, v16, v38
	v_add_f32_e32 v2, 0, v2
	v_fmac_f32_e32 v3, v17, v13
	v_add_f32_e32 v2, v2, v3
	s_waitcnt vmcnt(18) lgkmcnt(4)
	v_mul_f32_e32 v3, v18, v57
	v_fmac_f32_e32 v3, v19, v56
	v_add_f32_e32 v2, v2, v3
	s_waitcnt vmcnt(16)
	v_mul_f32_e32 v3, v20, v59
	v_fmac_f32_e32 v3, v21, v58
	v_add_f32_e32 v2, v2, v3
	s_waitcnt vmcnt(14) lgkmcnt(3)
	v_mul_f32_e32 v3, v22, v61
	v_fmac_f32_e32 v3, v23, v60
	v_add_f32_e32 v2, v2, v3
	s_waitcnt vmcnt(12)
	v_mul_f32_e32 v3, v24, v63
	;; [unrolled: 8-line block ×4, first 2 shown]
	v_fmac_f32_e32 v3, v33, v158
	v_add_f32_e32 v2, v2, v3
	s_waitcnt vmcnt(2) lgkmcnt(0)
	v_mul_f32_e32 v3, v34, v161
	v_fmac_f32_e32 v3, v35, v160
	v_add_f32_e32 v9, v2, v3
	ds_read2_b64 v[2:5], v12 offset0:79 offset1:80
	buffer_load_dword v164, off, s[0:3], 0 offset:280
	buffer_load_dword v165, off, s[0:3], 0 offset:284
	;; [unrolled: 1-line block ×18, first 2 shown]
	v_mul_f32_e32 v10, v15, v10
	v_fma_f32 v8, v14, v8, -v10
	v_mul_f32_e32 v10, v17, v38
	v_add_f32_e32 v8, 0, v8
	v_fma_f32 v10, v16, v13, -v10
	v_add_f32_e32 v8, v8, v10
	v_mul_f32_e32 v10, v19, v57
	v_fma_f32 v10, v18, v56, -v10
	v_add_f32_e32 v8, v8, v10
	v_mul_f32_e32 v10, v21, v59
	;; [unrolled: 3-line block ×9, first 2 shown]
	v_fma_f32 v10, v34, v160, -v10
	s_waitcnt vmcnt(18)
	v_mul_f32_e32 v11, v36, v163
	v_add_f32_e32 v8, v8, v10
	v_mul_f32_e32 v10, v37, v163
	v_fmac_f32_e32 v11, v37, v162
	v_fma_f32 v10, v36, v162, -v10
	v_pk_add_f32 v[8:9], v[8:9], v[10:11]
	s_waitcnt vmcnt(15)
	v_mov_b32_e32 v10, v41
	s_waitcnt lgkmcnt(0)
	v_pk_mul_f32 v[10:11], v[4:5], v[10:11] op_sel_hi:[1,0]
	s_waitcnt vmcnt(14)
	v_pk_fma_f32 v[26:27], v[4:5], v[40:41], v[10:11] op_sel:[0,0,1] op_sel_hi:[1,1,0] neg_lo:[0,0,1] neg_hi:[0,0,1]
	v_pk_fma_f32 v[4:5], v[4:5], v[40:41], v[10:11] op_sel:[0,0,1] op_sel_hi:[1,0,0]
	v_mov_b32_e32 v27, v5
	v_mul_f32_e32 v39, v2, v165
	v_fmac_f32_e32 v39, v3, v164
	v_mul_f32_e32 v3, v3, v165
	v_fma_f32 v38, v2, v164, -v3
	ds_read2_b64 v[14:17], v12 offset0:81 offset1:82
	ds_read2_b64 v[18:21], v12 offset0:83 offset1:84
	;; [unrolled: 1-line block ×3, first 2 shown]
	ds_read_b64 v[2:3], v12 offset:696
	v_pk_add_f32 v[8:9], v[8:9], v[38:39]
	v_pk_add_f32 v[4:5], v[8:9], v[26:27]
	s_waitcnt vmcnt(13)
	v_mov_b32_e32 v8, v43
	s_waitcnt lgkmcnt(3)
	v_pk_mul_f32 v[8:9], v[14:15], v[8:9] op_sel_hi:[1,0]
	s_waitcnt vmcnt(12)
	v_pk_fma_f32 v[10:11], v[14:15], v[42:43], v[8:9] op_sel:[0,0,1] op_sel_hi:[1,1,0] neg_lo:[0,0,1] neg_hi:[0,0,1]
	v_pk_fma_f32 v[8:9], v[14:15], v[42:43], v[8:9] op_sel:[0,0,1] op_sel_hi:[1,0,0]
	s_waitcnt vmcnt(11)
	v_mov_b32_e32 v8, v45
	v_mov_b32_e32 v11, v9
	v_pk_mul_f32 v[8:9], v[16:17], v[8:9] op_sel_hi:[1,0]
	v_pk_add_f32 v[4:5], v[4:5], v[10:11]
	s_waitcnt vmcnt(10)
	v_pk_fma_f32 v[10:11], v[16:17], v[44:45], v[8:9] op_sel:[0,0,1] op_sel_hi:[1,1,0] neg_lo:[0,0,1] neg_hi:[0,0,1]
	v_pk_fma_f32 v[8:9], v[16:17], v[44:45], v[8:9] op_sel:[0,0,1] op_sel_hi:[1,0,0]
	s_waitcnt vmcnt(9)
	v_mov_b32_e32 v8, v47
	v_mov_b32_e32 v11, v9
	s_waitcnt lgkmcnt(2)
	v_pk_mul_f32 v[8:9], v[18:19], v[8:9] op_sel_hi:[1,0]
	v_pk_add_f32 v[4:5], v[4:5], v[10:11]
	s_waitcnt vmcnt(8)
	v_pk_fma_f32 v[10:11], v[18:19], v[46:47], v[8:9] op_sel:[0,0,1] op_sel_hi:[1,1,0] neg_lo:[0,0,1] neg_hi:[0,0,1]
	v_pk_fma_f32 v[8:9], v[18:19], v[46:47], v[8:9] op_sel:[0,0,1] op_sel_hi:[1,0,0]
	s_waitcnt vmcnt(7)
	v_mov_b32_e32 v8, v49
	v_mov_b32_e32 v11, v9
	v_pk_mul_f32 v[8:9], v[20:21], v[8:9] op_sel_hi:[1,0]
	v_pk_add_f32 v[4:5], v[4:5], v[10:11]
	s_waitcnt vmcnt(6)
	v_pk_fma_f32 v[10:11], v[20:21], v[48:49], v[8:9] op_sel:[0,0,1] op_sel_hi:[1,1,0] neg_lo:[0,0,1] neg_hi:[0,0,1]
	v_pk_fma_f32 v[8:9], v[20:21], v[48:49], v[8:9] op_sel:[0,0,1] op_sel_hi:[1,0,0]
	s_waitcnt vmcnt(5)
	v_mov_b32_e32 v8, v51
	v_mov_b32_e32 v11, v9
	s_waitcnt lgkmcnt(1)
	v_pk_mul_f32 v[8:9], v[22:23], v[8:9] op_sel_hi:[1,0]
	v_pk_add_f32 v[4:5], v[4:5], v[10:11]
	;; [unrolled: 17-line block ×3, first 2 shown]
	s_waitcnt vmcnt(0)
	v_pk_fma_f32 v[10:11], v[2:3], v[54:55], v[8:9] op_sel:[0,0,1] op_sel_hi:[1,1,0] neg_lo:[0,0,1] neg_hi:[0,0,1]
	v_pk_fma_f32 v[2:3], v[2:3], v[54:55], v[8:9] op_sel:[0,0,1] op_sel_hi:[1,0,0]
	v_mov_b32_e32 v11, v3
	v_pk_add_f32 v[2:3], v[4:5], v[10:11]
	v_pk_add_f32 v[2:3], v[6:7], v[2:3] neg_lo:[0,1] neg_hi:[0,1]
	buffer_store_dword v3, off, s[0:3], 0 offset:180
	buffer_store_dword v2, off, s[0:3], 0 offset:176
	s_and_saveexec_b64 s[4:5], vcc
	s_cbranch_execz .LBB43_235
; %bb.234:
	buffer_load_dword v2, off, s[0:3], 0 offset:168
	buffer_load_dword v3, off, s[0:3], 0 offset:172
	s_waitcnt vmcnt(0)
	ds_write_b64 v1, v[2:3]
	buffer_store_dword v12, off, s[0:3], 0 offset:168
	buffer_store_dword v12, off, s[0:3], 0 offset:172
.LBB43_235:
	s_or_b64 exec, exec, s[4:5]
	s_waitcnt lgkmcnt(0)
	; wave barrier
	s_waitcnt lgkmcnt(0)
	buffer_load_dword v10, off, s[0:3], 0 offset:180
	buffer_load_dword v11, off, s[0:3], 0 offset:188
	;; [unrolled: 1-line block ×30, first 2 shown]
	ds_read_b128 v[2:5], v12 offset:528
	ds_read_b128 v[6:9], v12 offset:544
	;; [unrolled: 1-line block ×6, first 2 shown]
	buffer_load_dword v41, off, s[0:3], 0 offset:292
	buffer_load_dword v40, off, s[0:3], 0 offset:288
	ds_read_b128 v[30:33], v12 offset:624
	ds_read_b128 v[34:37], v12 offset:640
	buffer_load_dword v43, off, s[0:3], 0 offset:324
	buffer_load_dword v42, off, s[0:3], 0 offset:320
	;; [unrolled: 1-line block ×14, first 2 shown]
	v_cmp_lt_u32_e32 vcc, 20, v0
	s_waitcnt vmcnt(45) lgkmcnt(7)
	v_mul_f32_e32 v59, v2, v10
	s_waitcnt vmcnt(44)
	v_mul_f32_e32 v61, v4, v11
	s_waitcnt vmcnt(43) lgkmcnt(6)
	v_mul_f32_e32 v172, v6, v13
	s_waitcnt vmcnt(42)
	v_mul_f32_e32 v173, v8, v56
	s_waitcnt vmcnt(41) lgkmcnt(5)
	v_mul_f32_e32 v174, v14, v58
	s_waitcnt vmcnt(40)
	v_mul_f32_e32 v175, v16, v60
	s_waitcnt vmcnt(39) lgkmcnt(4)
	v_mul_f32_e32 v176, v18, v62
	s_waitcnt vmcnt(38)
	v_mul_f32_e32 v177, v20, v63
	s_waitcnt vmcnt(37) lgkmcnt(3)
	v_mul_f32_e32 v178, v22, v64
	s_waitcnt vmcnt(36)
	v_mul_f32_e32 v179, v24, v65
	s_waitcnt vmcnt(35) lgkmcnt(2)
	v_mul_f32_e32 v180, v26, v154
	s_waitcnt vmcnt(34)
	v_mul_f32_e32 v181, v28, v155
	s_waitcnt vmcnt(33) lgkmcnt(1)
	v_mul_f32_e32 v57, v30, v156
	s_waitcnt vmcnt(32)
	v_fmac_f32_e32 v59, v3, v157
	v_mul_f32_e32 v3, v3, v10
	v_fma_f32 v2, v2, v157, -v3
	v_mul_f32_e32 v3, v5, v11
	v_add_f32_e32 v2, 0, v2
	s_waitcnt vmcnt(31)
	v_fma_f32 v3, v4, v158, -v3
	v_add_f32_e32 v2, v2, v3
	v_mul_f32_e32 v3, v7, v13
	s_waitcnt vmcnt(30)
	v_fma_f32 v3, v6, v159, -v3
	v_add_f32_e32 v2, v2, v3
	v_mul_f32_e32 v3, v9, v56
	;; [unrolled: 4-line block ×5, first 2 shown]
	s_waitcnt vmcnt(26)
	v_fma_f32 v3, v18, v163, -v3
	v_fmac_f32_e32 v61, v5, v158
	v_add_f32_e32 v59, 0, v59
	v_add_f32_e32 v2, v2, v3
	v_mul_f32_e32 v3, v21, v63
	v_fmac_f32_e32 v172, v7, v159
	v_add_f32_e32 v59, v59, v61
	s_waitcnt vmcnt(25)
	v_fma_f32 v3, v20, v164, -v3
	v_fmac_f32_e32 v173, v9, v160
	v_add_f32_e32 v59, v59, v172
	v_add_f32_e32 v2, v2, v3
	v_mul_f32_e32 v3, v23, v64
	v_fmac_f32_e32 v174, v15, v161
	v_add_f32_e32 v59, v59, v173
	;; [unrolled: 8-line block ×5, first 2 shown]
	s_waitcnt vmcnt(21)
	v_fma_f32 v3, v28, v168, -v3
	s_waitcnt vmcnt(15)
	v_mov_b32_e32 v16, v41
	v_fmac_f32_e32 v181, v29, v168
	v_add_f32_e32 v59, v59, v180
	v_add_f32_e32 v58, v2, v3
	v_mul_f32_e32 v2, v31, v156
	s_waitcnt lgkmcnt(0)
	v_pk_mul_f32 v[16:17], v[34:35], v[16:17] op_sel_hi:[1,0]
	v_fmac_f32_e32 v57, v31, v169
	v_add_f32_e32 v59, v59, v181
	v_mul_f32_e32 v61, v32, v170
	v_fma_f32 v56, v30, v169, -v2
	v_mul_f32_e32 v2, v33, v170
	s_waitcnt vmcnt(14)
	v_pk_fma_f32 v[18:19], v[34:35], v[40:41], v[16:17] op_sel:[0,0,1] op_sel_hi:[1,1,0] neg_lo:[0,0,1] neg_hi:[0,0,1]
	v_pk_fma_f32 v[16:17], v[34:35], v[40:41], v[16:17] op_sel:[0,0,1] op_sel_hi:[1,0,0]
	v_fmac_f32_e32 v61, v33, v171
	v_fma_f32 v60, v32, v171, -v2
	v_pk_add_f32 v[14:15], v[58:59], v[56:57]
	s_waitcnt vmcnt(7)
	v_mov_b32_e32 v16, v49
	ds_read_b128 v[2:5], v12 offset:656
	ds_read_b128 v[6:9], v12 offset:672
	;; [unrolled: 1-line block ×3, first 2 shown]
	v_pk_add_f32 v[14:15], v[14:15], v[60:61]
	v_mov_b32_e32 v19, v17
	v_pk_mul_f32 v[16:17], v[36:37], v[16:17] op_sel_hi:[1,0]
	v_pk_add_f32 v[14:15], v[14:15], v[18:19]
	s_waitcnt vmcnt(6)
	v_pk_fma_f32 v[18:19], v[36:37], v[48:49], v[16:17] op_sel:[0,0,1] op_sel_hi:[1,1,0] neg_lo:[0,0,1] neg_hi:[0,0,1]
	v_pk_fma_f32 v[16:17], v[36:37], v[48:49], v[16:17] op_sel:[0,0,1] op_sel_hi:[1,0,0]
	v_mov_b32_e32 v16, v47
	v_mov_b32_e32 v19, v17
	s_waitcnt lgkmcnt(2)
	v_pk_mul_f32 v[16:17], v[2:3], v[16:17] op_sel_hi:[1,0]
	v_pk_add_f32 v[14:15], v[14:15], v[18:19]
	v_pk_fma_f32 v[18:19], v[2:3], v[46:47], v[16:17] op_sel:[0,0,1] op_sel_hi:[1,1,0] neg_lo:[0,0,1] neg_hi:[0,0,1]
	v_pk_fma_f32 v[2:3], v[2:3], v[46:47], v[16:17] op_sel:[0,0,1] op_sel_hi:[1,0,0]
	v_mov_b32_e32 v19, v3
	v_pk_add_f32 v[2:3], v[14:15], v[18:19]
	v_mov_b32_e32 v14, v45
	v_pk_mul_f32 v[14:15], v[4:5], v[14:15] op_sel_hi:[1,0]
	v_pk_fma_f32 v[16:17], v[4:5], v[44:45], v[14:15] op_sel:[0,0,1] op_sel_hi:[1,1,0] neg_lo:[0,0,1] neg_hi:[0,0,1]
	v_pk_fma_f32 v[4:5], v[4:5], v[44:45], v[14:15] op_sel:[0,0,1] op_sel_hi:[1,0,0]
	v_mov_b32_e32 v4, v43
	v_mov_b32_e32 v17, v5
	s_waitcnt lgkmcnt(1)
	v_pk_mul_f32 v[4:5], v[6:7], v[4:5] op_sel_hi:[1,0]
	v_pk_fma_f32 v[14:15], v[6:7], v[42:43], v[4:5] op_sel:[0,0,1] op_sel_hi:[1,1,0] neg_lo:[0,0,1] neg_hi:[0,0,1]
	v_pk_fma_f32 v[4:5], v[6:7], v[42:43], v[4:5] op_sel:[0,0,1] op_sel_hi:[1,0,0]
	s_waitcnt vmcnt(1)
	v_mov_b32_e32 v4, v55
	v_mov_b32_e32 v15, v5
	v_pk_mul_f32 v[4:5], v[8:9], v[4:5] op_sel_hi:[1,0]
	s_waitcnt vmcnt(0)
	v_pk_fma_f32 v[6:7], v[8:9], v[54:55], v[4:5] op_sel:[0,0,1] op_sel_hi:[1,1,0] neg_lo:[0,0,1] neg_hi:[0,0,1]
	v_pk_fma_f32 v[4:5], v[8:9], v[54:55], v[4:5] op_sel:[0,0,1] op_sel_hi:[1,0,0]
	v_pk_add_f32 v[2:3], v[2:3], v[16:17]
	v_mov_b32_e32 v4, v53
	v_pk_add_f32 v[2:3], v[2:3], v[14:15]
	v_mov_b32_e32 v7, v5
	s_waitcnt lgkmcnt(0)
	v_pk_mul_f32 v[4:5], v[10:11], v[4:5] op_sel_hi:[1,0]
	v_pk_add_f32 v[2:3], v[2:3], v[6:7]
	v_pk_fma_f32 v[6:7], v[10:11], v[52:53], v[4:5] op_sel:[0,0,1] op_sel_hi:[1,1,0] neg_lo:[0,0,1] neg_hi:[0,0,1]
	v_pk_fma_f32 v[4:5], v[10:11], v[52:53], v[4:5] op_sel:[0,0,1] op_sel_hi:[1,0,0]
	v_mov_b32_e32 v4, v51
	v_mov_b32_e32 v7, v5
	v_pk_mul_f32 v[4:5], v[12:13], v[4:5] op_sel_hi:[1,0]
	v_pk_add_f32 v[2:3], v[2:3], v[6:7]
	v_pk_fma_f32 v[6:7], v[12:13], v[50:51], v[4:5] op_sel:[0,0,1] op_sel_hi:[1,1,0] neg_lo:[0,0,1] neg_hi:[0,0,1]
	v_pk_fma_f32 v[4:5], v[12:13], v[50:51], v[4:5] op_sel:[0,0,1] op_sel_hi:[1,0,0]
	v_mov_b32_e32 v7, v5
	v_pk_add_f32 v[2:3], v[2:3], v[6:7]
	v_pk_add_f32 v[2:3], v[38:39], v[2:3] neg_lo:[0,1] neg_hi:[0,1]
	buffer_store_dword v3, off, s[0:3], 0 offset:172
	buffer_store_dword v2, off, s[0:3], 0 offset:168
	s_and_saveexec_b64 s[4:5], vcc
	s_cbranch_execz .LBB43_237
; %bb.236:
	buffer_load_dword v2, off, s[0:3], 0 offset:160
	buffer_load_dword v3, off, s[0:3], 0 offset:164
	v_mov_b32_e32 v4, 0
	buffer_store_dword v4, off, s[0:3], 0 offset:160
	buffer_store_dword v4, off, s[0:3], 0 offset:164
	s_waitcnt vmcnt(2)
	ds_write_b64 v1, v[2:3]
.LBB43_237:
	s_or_b64 exec, exec, s[4:5]
	s_waitcnt lgkmcnt(0)
	; wave barrier
	s_waitcnt lgkmcnt(0)
	buffer_load_dword v3, off, s[0:3], 0 offset:172
	buffer_load_dword v52, off, s[0:3], 0 offset:180
	;; [unrolled: 1-line block ×32, first 2 shown]
	v_mov_b32_e32 v2, 0
	buffer_load_dword v39, off, s[0:3], 0 offset:316
	buffer_load_dword v38, off, s[0:3], 0 offset:312
	;; [unrolled: 1-line block ×13, first 2 shown]
	ds_read2_b64 v[4:7], v2 offset0:65 offset1:66
	ds_read2_b64 v[8:11], v2 offset0:67 offset1:68
	;; [unrolled: 1-line block ×8, first 2 shown]
	v_cmp_lt_u32_e32 vcc, 19, v0
	s_waitcnt vmcnt(44) lgkmcnt(7)
	v_mul_f32_e32 v46, v4, v3
	s_waitcnt vmcnt(43)
	v_mul_f32_e32 v53, v6, v52
	s_waitcnt vmcnt(42) lgkmcnt(6)
	v_mul_f32_e32 v54, v8, v56
	s_waitcnt vmcnt(41)
	v_mul_f32_e32 v55, v10, v58
	;; [unrolled: 4-line block ×6, first 2 shown]
	s_waitcnt vmcnt(32) lgkmcnt(1)
	v_mul_f32_e32 v180, v28, v156
	s_waitcnt vmcnt(31)
	v_fmac_f32_e32 v46, v5, v157
	s_waitcnt vmcnt(30)
	v_fmac_f32_e32 v53, v7, v158
	v_add_f32_e32 v46, 0, v46
	s_waitcnt vmcnt(29)
	v_fmac_f32_e32 v54, v9, v159
	v_add_f32_e32 v46, v46, v53
	;; [unrolled: 3-line block ×12, first 2 shown]
	v_add_f32_e32 v53, v46, v180
	buffer_load_dword v55, off, s[0:3], 0 offset:332
	buffer_load_dword v54, off, s[0:3], 0 offset:328
	;; [unrolled: 1-line block ×3, first 2 shown]
	v_mul_f32_e32 v3, v5, v3
	v_fma_f32 v3, v4, v157, -v3
	v_mul_f32_e32 v4, v7, v52
	v_add_f32_e32 v3, 0, v3
	v_fma_f32 v4, v6, v158, -v4
	v_add_f32_e32 v3, v3, v4
	v_mul_f32_e32 v4, v9, v56
	v_fma_f32 v4, v8, v159, -v4
	v_add_f32_e32 v3, v3, v4
	v_mul_f32_e32 v4, v11, v58
	;; [unrolled: 3-line block ×11, first 2 shown]
	v_fma_f32 v4, v28, v169, -v4
	s_waitcnt vmcnt(9)
	v_mov_b32_e32 v20, v45
	v_mul_f32_e32 v57, v30, v170
	v_add_f32_e32 v52, v3, v4
	v_mul_f32_e32 v3, v31, v170
	s_waitcnt lgkmcnt(0)
	v_pk_mul_f32 v[20:21], v[34:35], v[20:21] op_sel_hi:[1,0]
	v_fmac_f32_e32 v57, v31, v171
	v_mul_f32_e32 v59, v32, v172
	v_fma_f32 v56, v30, v171, -v3
	v_mul_f32_e32 v3, v33, v172
	ds_read2_b64 v[4:7], v2 offset0:81 offset1:82
	ds_read2_b64 v[8:11], v2 offset0:83 offset1:84
	;; [unrolled: 1-line block ×3, first 2 shown]
	ds_read_b64 v[16:17], v2 offset:696
	s_waitcnt vmcnt(8)
	v_pk_fma_f32 v[22:23], v[34:35], v[44:45], v[20:21] op_sel:[0,0,1] op_sel_hi:[1,1,0] neg_lo:[0,0,1] neg_hi:[0,0,1]
	v_pk_fma_f32 v[20:21], v[34:35], v[44:45], v[20:21] op_sel:[0,0,1] op_sel_hi:[1,0,0]
	v_fmac_f32_e32 v59, v33, v173
	v_fma_f32 v58, v32, v173, -v3
	v_pk_add_f32 v[18:19], v[52:53], v[56:57]
	v_mov_b32_e32 v20, v43
	v_pk_add_f32 v[18:19], v[18:19], v[58:59]
	v_mov_b32_e32 v23, v21
	s_waitcnt lgkmcnt(3)
	v_pk_mul_f32 v[20:21], v[4:5], v[20:21] op_sel_hi:[1,0]
	v_pk_add_f32 v[18:19], v[18:19], v[22:23]
	v_pk_fma_f32 v[22:23], v[4:5], v[42:43], v[20:21] op_sel:[0,0,1] op_sel_hi:[1,1,0] neg_lo:[0,0,1] neg_hi:[0,0,1]
	v_pk_fma_f32 v[4:5], v[4:5], v[42:43], v[20:21] op_sel:[0,0,1] op_sel_hi:[1,0,0]
	v_mov_b32_e32 v23, v5
	v_pk_add_f32 v[4:5], v[18:19], v[22:23]
	v_mov_b32_e32 v18, v41
	v_pk_mul_f32 v[18:19], v[6:7], v[18:19] op_sel_hi:[1,0]
	v_pk_fma_f32 v[20:21], v[6:7], v[40:41], v[18:19] op_sel:[0,0,1] op_sel_hi:[1,1,0] neg_lo:[0,0,1] neg_hi:[0,0,1]
	v_pk_fma_f32 v[6:7], v[6:7], v[40:41], v[18:19] op_sel:[0,0,1] op_sel_hi:[1,0,0]
	v_mov_b32_e32 v6, v39
	v_mov_b32_e32 v21, v7
	s_waitcnt lgkmcnt(2)
	v_pk_mul_f32 v[6:7], v[8:9], v[6:7] op_sel_hi:[1,0]
	v_pk_fma_f32 v[18:19], v[8:9], v[38:39], v[6:7] op_sel:[0,0,1] op_sel_hi:[1,1,0] neg_lo:[0,0,1] neg_hi:[0,0,1]
	v_pk_fma_f32 v[6:7], v[8:9], v[38:39], v[6:7] op_sel:[0,0,1] op_sel_hi:[1,0,0]
	s_waitcnt vmcnt(7)
	v_mov_b32_e32 v6, v47
	v_mov_b32_e32 v19, v7
	v_pk_mul_f32 v[6:7], v[10:11], v[6:7] op_sel_hi:[1,0]
	v_pk_add_f32 v[4:5], v[4:5], v[20:21]
	v_pk_add_f32 v[4:5], v[4:5], v[18:19]
	s_waitcnt vmcnt(0)
	v_pk_fma_f32 v[8:9], v[10:11], v[46:47], v[6:7] op_sel:[0,0,1] op_sel_hi:[1,1,0] neg_lo:[0,0,1] neg_hi:[0,0,1]
	v_pk_fma_f32 v[6:7], v[10:11], v[46:47], v[6:7] op_sel:[0,0,1] op_sel_hi:[1,0,0]
	v_mov_b32_e32 v6, v55
	v_mov_b32_e32 v9, v7
	s_waitcnt lgkmcnt(1)
	v_pk_mul_f32 v[6:7], v[12:13], v[6:7] op_sel_hi:[1,0]
	v_pk_add_f32 v[4:5], v[4:5], v[8:9]
	v_pk_fma_f32 v[8:9], v[12:13], v[54:55], v[6:7] op_sel:[0,0,1] op_sel_hi:[1,1,0] neg_lo:[0,0,1] neg_hi:[0,0,1]
	v_pk_fma_f32 v[6:7], v[12:13], v[54:55], v[6:7] op_sel:[0,0,1] op_sel_hi:[1,0,0]
	v_mov_b32_e32 v6, v51
	v_mov_b32_e32 v9, v7
	v_pk_mul_f32 v[6:7], v[14:15], v[6:7] op_sel_hi:[1,0]
	v_pk_add_f32 v[4:5], v[4:5], v[8:9]
	v_pk_fma_f32 v[8:9], v[14:15], v[50:51], v[6:7] op_sel:[0,0,1] op_sel_hi:[1,1,0] neg_lo:[0,0,1] neg_hi:[0,0,1]
	v_pk_fma_f32 v[6:7], v[14:15], v[50:51], v[6:7] op_sel:[0,0,1] op_sel_hi:[1,0,0]
	v_mov_b32_e32 v6, v49
	v_mov_b32_e32 v9, v7
	s_waitcnt lgkmcnt(0)
	v_pk_mul_f32 v[6:7], v[16:17], v[6:7] op_sel_hi:[1,0]
	v_pk_add_f32 v[4:5], v[4:5], v[8:9]
	v_pk_fma_f32 v[8:9], v[16:17], v[48:49], v[6:7] op_sel:[0,0,1] op_sel_hi:[1,1,0] neg_lo:[0,0,1] neg_hi:[0,0,1]
	v_pk_fma_f32 v[6:7], v[16:17], v[48:49], v[6:7] op_sel:[0,0,1] op_sel_hi:[1,0,0]
	v_mov_b32_e32 v9, v7
	v_pk_add_f32 v[4:5], v[4:5], v[8:9]
	v_pk_add_f32 v[4:5], v[36:37], v[4:5] neg_lo:[0,1] neg_hi:[0,1]
	buffer_store_dword v5, off, s[0:3], 0 offset:164
	buffer_store_dword v4, off, s[0:3], 0 offset:160
	s_and_saveexec_b64 s[4:5], vcc
	s_cbranch_execz .LBB43_239
; %bb.238:
	buffer_load_dword v4, off, s[0:3], 0 offset:152
	buffer_load_dword v5, off, s[0:3], 0 offset:156
	s_waitcnt vmcnt(0)
	ds_write_b64 v1, v[4:5]
	buffer_store_dword v2, off, s[0:3], 0 offset:152
	buffer_store_dword v2, off, s[0:3], 0 offset:156
.LBB43_239:
	s_or_b64 exec, exec, s[4:5]
	s_waitcnt lgkmcnt(0)
	; wave barrier
	s_waitcnt lgkmcnt(0)
	buffer_load_dword v3, off, s[0:3], 0 offset:164
	buffer_load_dword v52, off, s[0:3], 0 offset:172
	;; [unrolled: 1-line block ×34, first 2 shown]
	ds_read_b128 v[4:7], v2 offset:512
	ds_read_b128 v[8:11], v2 offset:528
	;; [unrolled: 1-line block ×8, first 2 shown]
	buffer_load_dword v39, off, s[0:3], 0 offset:308
	buffer_load_dword v38, off, s[0:3], 0 offset:304
	;; [unrolled: 1-line block ×9, first 2 shown]
	v_cmp_lt_u32_e32 vcc, 18, v0
	s_waitcnt vmcnt(42) lgkmcnt(7)
	v_mul_f32_e32 v44, v4, v3
	s_waitcnt vmcnt(41)
	v_mul_f32_e32 v48, v6, v52
	s_waitcnt vmcnt(40) lgkmcnt(6)
	v_mul_f32_e32 v49, v8, v54
	s_waitcnt vmcnt(39)
	v_mul_f32_e32 v50, v10, v56
	;; [unrolled: 4-line block ×6, first 2 shown]
	s_waitcnt vmcnt(30) lgkmcnt(1)
	v_mul_f32_e32 v178, v28, v156
	v_mul_f32_e32 v3, v5, v3
	s_waitcnt vmcnt(28)
	v_fmac_f32_e32 v44, v5, v158
	s_waitcnt vmcnt(27)
	v_fmac_f32_e32 v48, v7, v159
	v_add_f32_e32 v44, 0, v44
	s_waitcnt vmcnt(26)
	v_fmac_f32_e32 v49, v9, v160
	v_add_f32_e32 v44, v44, v48
	s_waitcnt vmcnt(25)
	v_fmac_f32_e32 v50, v11, v161
	v_add_f32_e32 v44, v44, v49
	s_waitcnt vmcnt(24)
	v_fmac_f32_e32 v51, v13, v162
	v_add_f32_e32 v44, v44, v50
	s_waitcnt vmcnt(23)
	v_fmac_f32_e32 v53, v15, v163
	v_add_f32_e32 v44, v44, v51
	s_waitcnt vmcnt(22)
	v_fmac_f32_e32 v55, v17, v164
	v_add_f32_e32 v44, v44, v53
	s_waitcnt vmcnt(21)
	v_fmac_f32_e32 v57, v19, v165
	v_add_f32_e32 v44, v44, v55
	s_waitcnt vmcnt(20)
	v_fmac_f32_e32 v58, v21, v166
	v_add_f32_e32 v44, v44, v57
	s_waitcnt vmcnt(19)
	v_fmac_f32_e32 v59, v23, v167
	v_add_f32_e32 v44, v44, v58
	s_waitcnt vmcnt(18)
	v_fmac_f32_e32 v176, v25, v168
	v_add_f32_e32 v44, v44, v59
	s_waitcnt vmcnt(17)
	v_fmac_f32_e32 v177, v27, v169
	v_add_f32_e32 v44, v44, v176
	s_waitcnt vmcnt(16)
	v_fmac_f32_e32 v178, v29, v170
	v_add_f32_e32 v44, v44, v177
	v_add_f32_e32 v53, v44, v178
	buffer_load_dword v49, off, s[0:3], 0 offset:332
	buffer_load_dword v48, off, s[0:3], 0 offset:328
	;; [unrolled: 1-line block ×7, first 2 shown]
	v_fma_f32 v3, v4, v158, -v3
	v_mul_f32_e32 v4, v7, v52
	v_add_f32_e32 v3, 0, v3
	v_fma_f32 v4, v6, v159, -v4
	v_add_f32_e32 v3, v3, v4
	v_mul_f32_e32 v4, v9, v54
	v_fma_f32 v4, v8, v160, -v4
	v_add_f32_e32 v3, v3, v4
	v_mul_f32_e32 v4, v11, v56
	;; [unrolled: 3-line block ×12, first 2 shown]
	s_waitcnt vmcnt(22)
	v_fma_f32 v4, v30, v171, -v4
	v_add_f32_e32 v52, v3, v4
	ds_read_b128 v[4:7], v2 offset:640
	ds_read_b128 v[8:11], v2 offset:656
	;; [unrolled: 1-line block ×4, first 2 shown]
	s_waitcnt vmcnt(11)
	v_mov_b32_e32 v20, v43
	s_waitcnt lgkmcnt(3)
	v_pk_mul_f32 v[20:21], v[4:5], v[20:21] op_sel_hi:[1,0]
	s_waitcnt vmcnt(10)
	v_pk_fma_f32 v[22:23], v[4:5], v[42:43], v[20:21] op_sel:[0,0,1] op_sel_hi:[1,1,0] neg_lo:[0,0,1] neg_hi:[0,0,1]
	v_pk_fma_f32 v[4:5], v[4:5], v[42:43], v[20:21] op_sel:[0,0,1] op_sel_hi:[1,0,0]
	v_mov_b32_e32 v4, v41
	v_mul_f32_e32 v179, v30, v157
	v_mov_b32_e32 v23, v5
	v_pk_mul_f32 v[4:5], v[6:7], v[4:5] op_sel_hi:[1,0]
	v_fmac_f32_e32 v179, v31, v171
	v_mul_f32_e32 v55, v32, v172
	v_mul_f32_e32 v3, v33, v172
	v_pk_fma_f32 v[20:21], v[6:7], v[40:41], v[4:5] op_sel:[0,0,1] op_sel_hi:[1,1,0] neg_lo:[0,0,1] neg_hi:[0,0,1]
	v_pk_fma_f32 v[4:5], v[6:7], v[40:41], v[4:5] op_sel:[0,0,1] op_sel_hi:[1,0,0]
	v_add_f32_e32 v53, v53, v179
	v_fmac_f32_e32 v55, v33, v173
	v_mul_f32_e32 v57, v34, v174
	v_fma_f32 v54, v32, v173, -v3
	v_mul_f32_e32 v3, v35, v174
	v_mov_b32_e32 v4, v39
	v_fmac_f32_e32 v57, v35, v175
	v_fma_f32 v56, v34, v175, -v3
	v_pk_add_f32 v[2:3], v[52:53], v[54:55]
	v_mov_b32_e32 v21, v5
	s_waitcnt lgkmcnt(2)
	v_pk_mul_f32 v[4:5], v[8:9], v[4:5] op_sel_hi:[1,0]
	v_pk_add_f32 v[2:3], v[2:3], v[56:57]
	v_pk_fma_f32 v[6:7], v[8:9], v[38:39], v[4:5] op_sel:[0,0,1] op_sel_hi:[1,1,0] neg_lo:[0,0,1] neg_hi:[0,0,1]
	v_pk_fma_f32 v[4:5], v[8:9], v[38:39], v[4:5] op_sel:[0,0,1] op_sel_hi:[1,0,0]
	v_pk_add_f32 v[2:3], v[2:3], v[22:23]
	s_waitcnt vmcnt(9)
	v_mov_b32_e32 v4, v45
	v_pk_add_f32 v[2:3], v[2:3], v[20:21]
	v_mov_b32_e32 v7, v5
	v_pk_mul_f32 v[4:5], v[10:11], v[4:5] op_sel_hi:[1,0]
	v_pk_add_f32 v[2:3], v[2:3], v[6:7]
	s_waitcnt vmcnt(2)
	v_pk_fma_f32 v[6:7], v[10:11], v[44:45], v[4:5] op_sel:[0,0,1] op_sel_hi:[1,1,0] neg_lo:[0,0,1] neg_hi:[0,0,1]
	v_pk_fma_f32 v[4:5], v[10:11], v[44:45], v[4:5] op_sel:[0,0,1] op_sel_hi:[1,0,0]
	v_mov_b32_e32 v4, v51
	v_mov_b32_e32 v7, v5
	s_waitcnt lgkmcnt(1)
	v_pk_mul_f32 v[4:5], v[12:13], v[4:5] op_sel_hi:[1,0]
	v_pk_add_f32 v[2:3], v[2:3], v[6:7]
	v_pk_fma_f32 v[6:7], v[12:13], v[50:51], v[4:5] op_sel:[0,0,1] op_sel_hi:[1,1,0] neg_lo:[0,0,1] neg_hi:[0,0,1]
	v_pk_fma_f32 v[4:5], v[12:13], v[50:51], v[4:5] op_sel:[0,0,1] op_sel_hi:[1,0,0]
	v_mov_b32_e32 v4, v49
	v_mov_b32_e32 v7, v5
	v_pk_mul_f32 v[4:5], v[14:15], v[4:5] op_sel_hi:[1,0]
	v_pk_add_f32 v[2:3], v[2:3], v[6:7]
	v_pk_fma_f32 v[6:7], v[14:15], v[48:49], v[4:5] op_sel:[0,0,1] op_sel_hi:[1,1,0] neg_lo:[0,0,1] neg_hi:[0,0,1]
	v_pk_fma_f32 v[4:5], v[14:15], v[48:49], v[4:5] op_sel:[0,0,1] op_sel_hi:[1,0,0]
	v_mov_b32_e32 v4, v47
	v_mov_b32_e32 v7, v5
	s_waitcnt lgkmcnt(0)
	v_pk_mul_f32 v[4:5], v[16:17], v[4:5] op_sel_hi:[1,0]
	v_pk_add_f32 v[2:3], v[2:3], v[6:7]
	v_pk_fma_f32 v[6:7], v[16:17], v[46:47], v[4:5] op_sel:[0,0,1] op_sel_hi:[1,1,0] neg_lo:[0,0,1] neg_hi:[0,0,1]
	v_pk_fma_f32 v[4:5], v[16:17], v[46:47], v[4:5] op_sel:[0,0,1] op_sel_hi:[1,0,0]
	s_waitcnt vmcnt(1)
	v_mov_b32_e32 v4, v59
	v_mov_b32_e32 v7, v5
	v_pk_mul_f32 v[4:5], v[18:19], v[4:5] op_sel_hi:[1,0]
	v_pk_add_f32 v[2:3], v[2:3], v[6:7]
	s_waitcnt vmcnt(0)
	v_pk_fma_f32 v[6:7], v[18:19], v[58:59], v[4:5] op_sel:[0,0,1] op_sel_hi:[1,1,0] neg_lo:[0,0,1] neg_hi:[0,0,1]
	v_pk_fma_f32 v[4:5], v[18:19], v[58:59], v[4:5] op_sel:[0,0,1] op_sel_hi:[1,0,0]
	v_mov_b32_e32 v7, v5
	v_pk_add_f32 v[2:3], v[2:3], v[6:7]
	v_pk_add_f32 v[2:3], v[36:37], v[2:3] neg_lo:[0,1] neg_hi:[0,1]
	buffer_store_dword v3, off, s[0:3], 0 offset:156
	buffer_store_dword v2, off, s[0:3], 0 offset:152
	s_and_saveexec_b64 s[4:5], vcc
	s_cbranch_execz .LBB43_241
; %bb.240:
	buffer_load_dword v2, off, s[0:3], 0 offset:144
	buffer_load_dword v3, off, s[0:3], 0 offset:148
	v_mov_b32_e32 v4, 0
	buffer_store_dword v4, off, s[0:3], 0 offset:144
	buffer_store_dword v4, off, s[0:3], 0 offset:148
	s_waitcnt vmcnt(2)
	ds_write_b64 v1, v[2:3]
.LBB43_241:
	s_or_b64 exec, exec, s[4:5]
	s_waitcnt lgkmcnt(0)
	; wave barrier
	s_waitcnt lgkmcnt(0)
	buffer_load_dword v5, off, s[0:3], 0 offset:156
	buffer_load_dword v58, off, s[0:3], 0 offset:164
	;; [unrolled: 1-line block ×36, first 2 shown]
	v_mov_b32_e32 v4, 0
	buffer_load_dword v47, off, s[0:3], 0 offset:300
	buffer_load_dword v46, off, s[0:3], 0 offset:296
	buffer_load_dword v49, off, s[0:3], 0 offset:292
	buffer_load_dword v48, off, s[0:3], 0 offset:288
	buffer_load_dword v51, off, s[0:3], 0 offset:308
	ds_read2_b64 v[6:9], v4 offset0:63 offset1:64
	ds_read2_b64 v[10:13], v4 offset0:65 offset1:66
	;; [unrolled: 1-line block ×8, first 2 shown]
	v_cmp_lt_u32_e32 vcc, 17, v0
	s_waitcnt vmcnt(40) lgkmcnt(7)
	v_mul_f32_e32 v38, v6, v5
	s_waitcnt vmcnt(39)
	v_mul_f32_e32 v39, v8, v58
	s_waitcnt vmcnt(38) lgkmcnt(6)
	v_mul_f32_e32 v40, v10, v60
	s_waitcnt vmcnt(37)
	v_mul_f32_e32 v41, v12, v62
	;; [unrolled: 4-line block ×7, first 2 shown]
	s_waitcnt vmcnt(26) lgkmcnt(0)
	v_mul_f32_e32 v59, v34, v166
	s_waitcnt vmcnt(25)
	v_fmac_f32_e32 v38, v7, v167
	s_waitcnt vmcnt(24)
	v_fmac_f32_e32 v39, v9, v168
	v_add_f32_e32 v38, 0, v38
	s_waitcnt vmcnt(23)
	v_fmac_f32_e32 v40, v11, v169
	v_add_f32_e32 v38, v38, v39
	;; [unrolled: 3-line block ×13, first 2 shown]
	v_add_f32_e32 v42, v38, v56
	buffer_load_dword v53, off, s[0:3], 0 offset:332
	buffer_load_dword v52, off, s[0:3], 0 offset:328
	;; [unrolled: 1-line block ×7, first 2 shown]
	s_waitcnt vmcnt(18)
	v_fmac_f32_e32 v59, v35, v181
	ds_read2_b64 v[38:41], v4 offset0:79 offset1:80
	v_add_f32_e32 v59, v42, v59
	ds_read2_b64 v[42:45], v4 offset0:81 offset1:82
	buffer_load_dword v65, off, s[0:3], 0 offset:348
	buffer_load_dword v64, off, s[0:3], 0 offset:344
	;; [unrolled: 1-line block ×4, first 2 shown]
	v_mul_f32_e32 v5, v7, v5
	v_fma_f32 v5, v6, v167, -v5
	v_mul_f32_e32 v6, v9, v58
	v_add_f32_e32 v5, 0, v5
	v_fma_f32 v6, v8, v168, -v6
	v_add_f32_e32 v5, v5, v6
	v_mul_f32_e32 v6, v11, v60
	v_fma_f32 v6, v10, v169, -v6
	v_add_f32_e32 v5, v5, v6
	v_mul_f32_e32 v6, v13, v62
	;; [unrolled: 3-line block ×13, first 2 shown]
	v_fma_f32 v6, v34, v181, -v6
	s_waitcnt vmcnt(13)
	v_mov_b32_e32 v18, v49
	v_mul_f32_e32 v61, v36, v182
	v_add_f32_e32 v58, v5, v6
	v_mul_f32_e32 v5, v37, v182
	s_waitcnt lgkmcnt(1)
	v_pk_mul_f32 v[18:19], v[40:41], v[18:19] op_sel_hi:[1,0]
	v_fmac_f32_e32 v61, v37, v183
	v_mul_f32_e32 v63, v38, v184
	v_fma_f32 v60, v36, v183, -v5
	v_mul_f32_e32 v5, v39, v184
	s_waitcnt vmcnt(12)
	v_pk_fma_f32 v[20:21], v[40:41], v[48:49], v[18:19] op_sel:[0,0,1] op_sel_hi:[1,1,0] neg_lo:[0,0,1] neg_hi:[0,0,1]
	v_pk_fma_f32 v[18:19], v[40:41], v[48:49], v[18:19] op_sel:[0,0,1] op_sel_hi:[1,0,0]
	v_fmac_f32_e32 v63, v39, v185
	v_fma_f32 v62, v38, v185, -v5
	v_pk_add_f32 v[16:17], v[58:59], v[60:61]
	v_mov_b32_e32 v18, v47
	v_pk_add_f32 v[16:17], v[16:17], v[62:63]
	v_mov_b32_e32 v21, v19
	s_waitcnt lgkmcnt(0)
	v_pk_mul_f32 v[18:19], v[42:43], v[18:19] op_sel_hi:[1,0]
	v_pk_add_f32 v[16:17], v[16:17], v[20:21]
	v_pk_fma_f32 v[20:21], v[42:43], v[46:47], v[18:19] op_sel:[0,0,1] op_sel_hi:[1,1,0] neg_lo:[0,0,1] neg_hi:[0,0,1]
	v_pk_fma_f32 v[18:19], v[42:43], v[46:47], v[18:19] op_sel:[0,0,1] op_sel_hi:[1,0,0]
	s_waitcnt vmcnt(11)
	v_mov_b32_e32 v18, v51
	ds_read2_b64 v[6:9], v4 offset0:83 offset1:84
	ds_read2_b64 v[10:13], v4 offset0:85 offset1:86
	ds_read_b64 v[14:15], v4 offset:696
	v_mov_b32_e32 v21, v19
	v_pk_mul_f32 v[18:19], v[44:45], v[18:19] op_sel_hi:[1,0]
	v_pk_add_f32 v[16:17], v[16:17], v[20:21]
	s_waitcnt vmcnt(4)
	v_pk_fma_f32 v[20:21], v[44:45], v[50:51], v[18:19] op_sel:[0,0,1] op_sel_hi:[1,1,0] neg_lo:[0,0,1] neg_hi:[0,0,1]
	v_pk_fma_f32 v[18:19], v[44:45], v[50:51], v[18:19] op_sel:[0,0,1] op_sel_hi:[1,0,0]
	v_mov_b32_e32 v18, v57
	v_mov_b32_e32 v21, v19
	s_waitcnt lgkmcnt(2)
	v_pk_mul_f32 v[18:19], v[6:7], v[18:19] op_sel_hi:[1,0]
	v_pk_add_f32 v[16:17], v[16:17], v[20:21]
	v_pk_fma_f32 v[20:21], v[6:7], v[56:57], v[18:19] op_sel:[0,0,1] op_sel_hi:[1,1,0] neg_lo:[0,0,1] neg_hi:[0,0,1]
	v_pk_fma_f32 v[6:7], v[6:7], v[56:57], v[18:19] op_sel:[0,0,1] op_sel_hi:[1,0,0]
	v_mov_b32_e32 v21, v7
	v_pk_add_f32 v[6:7], v[16:17], v[20:21]
	v_mov_b32_e32 v16, v55
	v_pk_mul_f32 v[16:17], v[8:9], v[16:17] op_sel_hi:[1,0]
	v_pk_fma_f32 v[18:19], v[8:9], v[54:55], v[16:17] op_sel:[0,0,1] op_sel_hi:[1,1,0] neg_lo:[0,0,1] neg_hi:[0,0,1]
	v_pk_fma_f32 v[8:9], v[8:9], v[54:55], v[16:17] op_sel:[0,0,1] op_sel_hi:[1,0,0]
	v_mov_b32_e32 v8, v53
	v_mov_b32_e32 v19, v9
	s_waitcnt lgkmcnt(1)
	v_pk_mul_f32 v[8:9], v[10:11], v[8:9] op_sel_hi:[1,0]
	v_pk_fma_f32 v[16:17], v[10:11], v[52:53], v[8:9] op_sel:[0,0,1] op_sel_hi:[1,1,0] neg_lo:[0,0,1] neg_hi:[0,0,1]
	v_pk_fma_f32 v[8:9], v[10:11], v[52:53], v[8:9] op_sel:[0,0,1] op_sel_hi:[1,0,0]
	s_waitcnt vmcnt(1)
	v_mov_b32_e32 v8, v155
	v_mov_b32_e32 v17, v9
	v_pk_mul_f32 v[8:9], v[12:13], v[8:9] op_sel_hi:[1,0]
	s_waitcnt vmcnt(0)
	v_pk_fma_f32 v[10:11], v[12:13], v[154:155], v[8:9] op_sel:[0,0,1] op_sel_hi:[1,1,0] neg_lo:[0,0,1] neg_hi:[0,0,1]
	v_pk_fma_f32 v[8:9], v[12:13], v[154:155], v[8:9] op_sel:[0,0,1] op_sel_hi:[1,0,0]
	v_pk_add_f32 v[6:7], v[6:7], v[18:19]
	v_mov_b32_e32 v8, v65
	v_pk_add_f32 v[6:7], v[6:7], v[16:17]
	v_mov_b32_e32 v11, v9
	s_waitcnt lgkmcnt(0)
	v_pk_mul_f32 v[8:9], v[14:15], v[8:9] op_sel_hi:[1,0]
	v_pk_add_f32 v[6:7], v[6:7], v[10:11]
	v_pk_fma_f32 v[10:11], v[14:15], v[64:65], v[8:9] op_sel:[0,0,1] op_sel_hi:[1,1,0] neg_lo:[0,0,1] neg_hi:[0,0,1]
	v_pk_fma_f32 v[8:9], v[14:15], v[64:65], v[8:9] op_sel:[0,0,1] op_sel_hi:[1,0,0]
	v_mov_b32_e32 v11, v9
	v_pk_add_f32 v[6:7], v[6:7], v[10:11]
	v_pk_add_f32 v[2:3], v[2:3], v[6:7] neg_lo:[0,1] neg_hi:[0,1]
	buffer_store_dword v3, off, s[0:3], 0 offset:148
	buffer_store_dword v2, off, s[0:3], 0 offset:144
	s_and_saveexec_b64 s[4:5], vcc
	s_cbranch_execz .LBB43_243
; %bb.242:
	buffer_load_dword v2, off, s[0:3], 0 offset:136
	buffer_load_dword v3, off, s[0:3], 0 offset:140
	s_waitcnt vmcnt(0)
	ds_write_b64 v1, v[2:3]
	buffer_store_dword v4, off, s[0:3], 0 offset:136
	buffer_store_dword v4, off, s[0:3], 0 offset:140
.LBB43_243:
	s_or_b64 exec, exec, s[4:5]
	s_waitcnt lgkmcnt(0)
	; wave barrier
	s_waitcnt lgkmcnt(0)
	buffer_load_dword v2, off, s[0:3], 0 offset:148
	buffer_load_dword v3, off, s[0:3], 0 offset:156
	;; [unrolled: 1-line block ×38, first 2 shown]
	ds_read_b128 v[6:9], v4 offset:496
	ds_read_b128 v[10:13], v4 offset:512
	;; [unrolled: 1-line block ×8, first 2 shown]
	buffer_load_dword v49, off, s[0:3], 0 offset:292
	buffer_load_dword v48, off, s[0:3], 0 offset:288
	;; [unrolled: 1-line block ×4, first 2 shown]
	v_cmp_lt_u32_e32 vcc, 16, v0
	s_waitcnt vmcnt(41) lgkmcnt(7)
	v_mul_f32_e32 v38, v6, v2
	s_waitcnt vmcnt(40)
	v_mul_f32_e32 v39, v8, v3
	s_waitcnt vmcnt(39) lgkmcnt(6)
	v_mul_f32_e32 v40, v10, v5
	s_waitcnt vmcnt(38)
	v_mul_f32_e32 v41, v12, v58
	;; [unrolled: 4-line block ×7, first 2 shown]
	s_waitcnt vmcnt(27) lgkmcnt(0)
	v_mul_f32_e32 v59, v34, v166
	s_waitcnt vmcnt(26)
	v_fmac_f32_e32 v38, v7, v167
	s_waitcnt vmcnt(25)
	v_fmac_f32_e32 v39, v9, v168
	v_add_f32_e32 v38, 0, v38
	s_waitcnt vmcnt(24)
	v_fmac_f32_e32 v40, v11, v169
	v_add_f32_e32 v38, v38, v39
	;; [unrolled: 3-line block ×13, first 2 shown]
	v_add_f32_e32 v38, v38, v57
	buffer_load_dword v53, off, s[0:3], 0 offset:316
	buffer_load_dword v52, off, s[0:3], 0 offset:312
	;; [unrolled: 1-line block ×6, first 2 shown]
	s_waitcnt vmcnt(18)
	v_fmac_f32_e32 v59, v35, v181
	s_waitcnt vmcnt(17)
	v_mul_f32_e32 v43, v36, v182
	v_add_f32_e32 v42, v38, v59
	s_waitcnt vmcnt(16)
	v_fmac_f32_e32 v43, v37, v183
	ds_read_b128 v[38:41], v4 offset:624
	v_add_f32_e32 v59, v42, v43
	ds_read_b128 v[42:45], v4 offset:640
	buffer_load_dword v65, off, s[0:3], 0 offset:348
	buffer_load_dword v64, off, s[0:3], 0 offset:344
	;; [unrolled: 1-line block ×6, first 2 shown]
	v_mul_f32_e32 v2, v7, v2
	v_fma_f32 v2, v6, v167, -v2
	v_mul_f32_e32 v3, v9, v3
	v_add_f32_e32 v2, 0, v2
	v_fma_f32 v3, v8, v168, -v3
	v_add_f32_e32 v2, v2, v3
	v_mul_f32_e32 v3, v11, v5
	v_fma_f32 v3, v10, v169, -v3
	v_add_f32_e32 v2, v2, v3
	v_mul_f32_e32 v3, v13, v58
	;; [unrolled: 3-line block ×14, first 2 shown]
	v_fma_f32 v3, v36, v183, -v3
	s_waitcnt vmcnt(15)
	v_mov_b32_e32 v16, v49
	s_waitcnt lgkmcnt(1)
	v_mul_f32_e32 v61, v38, v184
	v_add_f32_e32 v58, v2, v3
	v_mul_f32_e32 v2, v39, v184
	s_waitcnt lgkmcnt(0)
	v_pk_mul_f32 v[16:17], v[42:43], v[16:17] op_sel_hi:[1,0]
	v_fmac_f32_e32 v61, v39, v185
	v_mul_f32_e32 v63, v40, v186
	v_fma_f32 v60, v38, v185, -v2
	v_mul_f32_e32 v2, v41, v186
	s_waitcnt vmcnt(14)
	v_pk_fma_f32 v[18:19], v[42:43], v[48:49], v[16:17] op_sel:[0,0,1] op_sel_hi:[1,1,0] neg_lo:[0,0,1] neg_hi:[0,0,1]
	v_pk_fma_f32 v[16:17], v[42:43], v[48:49], v[16:17] op_sel:[0,0,1] op_sel_hi:[1,0,0]
	v_fmac_f32_e32 v63, v41, v187
	v_fma_f32 v62, v40, v187, -v2
	v_pk_add_f32 v[14:15], v[58:59], v[60:61]
	ds_read_b128 v[6:9], v4 offset:656
	ds_read_b128 v[10:13], v4 offset:672
	;; [unrolled: 1-line block ×3, first 2 shown]
	v_pk_add_f32 v[14:15], v[14:15], v[62:63]
	v_mov_b32_e32 v19, v17
	v_pk_add_f32 v[14:15], v[14:15], v[18:19]
	s_waitcnt vmcnt(7)
	v_mov_b32_e32 v16, v57
	v_pk_mul_f32 v[16:17], v[44:45], v[16:17] op_sel_hi:[1,0]
	s_waitcnt vmcnt(6)
	v_pk_fma_f32 v[18:19], v[44:45], v[56:57], v[16:17] op_sel:[0,0,1] op_sel_hi:[1,1,0] neg_lo:[0,0,1] neg_hi:[0,0,1]
	v_pk_fma_f32 v[16:17], v[44:45], v[56:57], v[16:17] op_sel:[0,0,1] op_sel_hi:[1,0,0]
	v_mov_b32_e32 v16, v55
	v_mov_b32_e32 v19, v17
	s_waitcnt lgkmcnt(2)
	v_pk_mul_f32 v[16:17], v[6:7], v[16:17] op_sel_hi:[1,0]
	v_pk_add_f32 v[14:15], v[14:15], v[18:19]
	v_pk_fma_f32 v[18:19], v[6:7], v[54:55], v[16:17] op_sel:[0,0,1] op_sel_hi:[1,1,0] neg_lo:[0,0,1] neg_hi:[0,0,1]
	v_pk_fma_f32 v[6:7], v[6:7], v[54:55], v[16:17] op_sel:[0,0,1] op_sel_hi:[1,0,0]
	v_mov_b32_e32 v19, v7
	v_pk_add_f32 v[6:7], v[14:15], v[18:19]
	v_mov_b32_e32 v14, v53
	v_pk_mul_f32 v[14:15], v[8:9], v[14:15] op_sel_hi:[1,0]
	v_pk_fma_f32 v[16:17], v[8:9], v[52:53], v[14:15] op_sel:[0,0,1] op_sel_hi:[1,1,0] neg_lo:[0,0,1] neg_hi:[0,0,1]
	v_pk_fma_f32 v[8:9], v[8:9], v[52:53], v[14:15] op_sel:[0,0,1] op_sel_hi:[1,0,0]
	v_mov_b32_e32 v8, v51
	v_mov_b32_e32 v17, v9
	s_waitcnt lgkmcnt(1)
	v_pk_mul_f32 v[8:9], v[10:11], v[8:9] op_sel_hi:[1,0]
	v_pk_fma_f32 v[14:15], v[10:11], v[50:51], v[8:9] op_sel:[0,0,1] op_sel_hi:[1,1,0] neg_lo:[0,0,1] neg_hi:[0,0,1]
	v_pk_fma_f32 v[8:9], v[10:11], v[50:51], v[8:9] op_sel:[0,0,1] op_sel_hi:[1,0,0]
	s_waitcnt vmcnt(1)
	v_mov_b32_e32 v8, v157
	v_mov_b32_e32 v15, v9
	v_pk_mul_f32 v[8:9], v[12:13], v[8:9] op_sel_hi:[1,0]
	s_waitcnt vmcnt(0)
	v_pk_fma_f32 v[10:11], v[12:13], v[156:157], v[8:9] op_sel:[0,0,1] op_sel_hi:[1,1,0] neg_lo:[0,0,1] neg_hi:[0,0,1]
	v_pk_fma_f32 v[8:9], v[12:13], v[156:157], v[8:9] op_sel:[0,0,1] op_sel_hi:[1,0,0]
	v_pk_add_f32 v[6:7], v[6:7], v[16:17]
	v_mov_b32_e32 v8, v155
	v_pk_add_f32 v[6:7], v[6:7], v[14:15]
	v_mov_b32_e32 v11, v9
	s_waitcnt lgkmcnt(0)
	v_pk_mul_f32 v[8:9], v[2:3], v[8:9] op_sel_hi:[1,0]
	v_pk_add_f32 v[6:7], v[6:7], v[10:11]
	v_pk_fma_f32 v[10:11], v[2:3], v[154:155], v[8:9] op_sel:[0,0,1] op_sel_hi:[1,1,0] neg_lo:[0,0,1] neg_hi:[0,0,1]
	v_pk_fma_f32 v[2:3], v[2:3], v[154:155], v[8:9] op_sel:[0,0,1] op_sel_hi:[1,0,0]
	v_mov_b32_e32 v11, v3
	v_pk_add_f32 v[2:3], v[6:7], v[10:11]
	v_mov_b32_e32 v6, v65
	v_pk_mul_f32 v[6:7], v[4:5], v[6:7] op_sel_hi:[1,0]
	v_pk_fma_f32 v[8:9], v[4:5], v[64:65], v[6:7] op_sel:[0,0,1] op_sel_hi:[1,1,0] neg_lo:[0,0,1] neg_hi:[0,0,1]
	v_pk_fma_f32 v[4:5], v[4:5], v[64:65], v[6:7] op_sel:[0,0,1] op_sel_hi:[1,0,0]
	v_mov_b32_e32 v9, v5
	v_pk_add_f32 v[2:3], v[2:3], v[8:9]
	v_pk_add_f32 v[2:3], v[46:47], v[2:3] neg_lo:[0,1] neg_hi:[0,1]
	buffer_store_dword v3, off, s[0:3], 0 offset:140
	buffer_store_dword v2, off, s[0:3], 0 offset:136
	s_and_saveexec_b64 s[4:5], vcc
	s_cbranch_execz .LBB43_245
; %bb.244:
	buffer_load_dword v2, off, s[0:3], 0 offset:128
	buffer_load_dword v3, off, s[0:3], 0 offset:132
	v_mov_b32_e32 v4, 0
	buffer_store_dword v4, off, s[0:3], 0 offset:128
	buffer_store_dword v4, off, s[0:3], 0 offset:132
	s_waitcnt vmcnt(2)
	ds_write_b64 v1, v[2:3]
.LBB43_245:
	s_or_b64 exec, exec, s[4:5]
	s_waitcnt lgkmcnt(0)
	; wave barrier
	s_waitcnt lgkmcnt(0)
	buffer_load_dword v5, off, s[0:3], 0 offset:140
	buffer_load_dword v54, off, s[0:3], 0 offset:148
	;; [unrolled: 1-line block ×40, first 2 shown]
	v_mov_b32_e32 v4, 0
	ds_read2_b64 v[6:9], v4 offset0:61 offset1:62
	ds_read2_b64 v[10:13], v4 offset0:63 offset1:64
	;; [unrolled: 1-line block ×8, first 2 shown]
	v_cmp_lt_u32_e32 vcc, 15, v0
	s_waitcnt vmcnt(39) lgkmcnt(7)
	v_mul_f32_e32 v38, v6, v5
	s_waitcnt vmcnt(38)
	v_mul_f32_e32 v39, v8, v54
	s_waitcnt vmcnt(37) lgkmcnt(6)
	v_mul_f32_e32 v40, v10, v56
	s_waitcnt vmcnt(36)
	v_mul_f32_e32 v41, v12, v58
	;; [unrolled: 4-line block ×8, first 2 shown]
	s_waitcnt vmcnt(23)
	v_fmac_f32_e32 v38, v7, v168
	s_waitcnt vmcnt(22)
	v_fmac_f32_e32 v39, v9, v169
	v_add_f32_e32 v38, 0, v38
	s_waitcnt vmcnt(21)
	v_fmac_f32_e32 v40, v11, v170
	v_add_f32_e32 v38, v38, v39
	;; [unrolled: 3-line block ×14, first 2 shown]
	v_add_f32_e32 v38, v38, v52
	s_waitcnt vmcnt(8)
	v_fmac_f32_e32 v53, v37, v183
	v_add_f32_e32 v55, v38, v53
	ds_read2_b64 v[38:41], v4 offset0:77 offset1:78
	buffer_load_dword v47, off, s[0:3], 0 offset:292
	buffer_load_dword v49, off, s[0:3], 0 offset:316
	;; [unrolled: 1-line block ×8, first 2 shown]
	ds_read2_b64 v[42:45], v4 offset0:79 offset1:80
	buffer_load_dword v61, off, s[0:3], 0 offset:348
	buffer_load_dword v60, off, s[0:3], 0 offset:344
	;; [unrolled: 1-line block ×8, first 2 shown]
	v_mul_f32_e32 v5, v7, v5
	v_fma_f32 v5, v6, v168, -v5
	v_mul_f32_e32 v6, v9, v54
	v_add_f32_e32 v5, 0, v5
	v_fma_f32 v6, v8, v169, -v6
	v_add_f32_e32 v5, v5, v6
	v_mul_f32_e32 v6, v11, v56
	v_fma_f32 v6, v10, v170, -v6
	v_add_f32_e32 v5, v5, v6
	v_mul_f32_e32 v6, v13, v58
	v_fma_f32 v6, v12, v171, -v6
	v_add_f32_e32 v5, v5, v6
	v_mul_f32_e32 v6, v15, v156
	v_fma_f32 v6, v14, v172, -v6
	v_add_f32_e32 v5, v5, v6
	v_mul_f32_e32 v6, v17, v157
	v_fma_f32 v6, v16, v173, -v6
	v_add_f32_e32 v5, v5, v6
	v_mul_f32_e32 v6, v19, v158
	v_fma_f32 v6, v18, v174, -v6
	v_add_f32_e32 v5, v5, v6
	v_mul_f32_e32 v6, v21, v159
	v_fma_f32 v6, v20, v175, -v6
	v_add_f32_e32 v5, v5, v6
	v_mul_f32_e32 v6, v23, v160
	v_fma_f32 v6, v22, v176, -v6
	v_add_f32_e32 v5, v5, v6
	v_mul_f32_e32 v6, v25, v161
	v_fma_f32 v6, v24, v177, -v6
	v_add_f32_e32 v5, v5, v6
	v_mul_f32_e32 v6, v27, v162
	v_fma_f32 v6, v26, v178, -v6
	v_add_f32_e32 v5, v5, v6
	v_mul_f32_e32 v6, v29, v163
	v_fma_f32 v6, v28, v179, -v6
	v_add_f32_e32 v5, v5, v6
	v_mul_f32_e32 v6, v31, v164
	v_fma_f32 v6, v30, v180, -v6
	v_add_f32_e32 v5, v5, v6
	v_mul_f32_e32 v6, v33, v165
	v_fma_f32 v6, v32, v181, -v6
	v_add_f32_e32 v5, v5, v6
	v_mul_f32_e32 v6, v35, v166
	v_fma_f32 v6, v34, v182, -v6
	v_add_f32_e32 v5, v5, v6
	v_mul_f32_e32 v6, v37, v167
	v_fma_f32 v6, v36, v183, -v6
	s_waitcnt vmcnt(23) lgkmcnt(1)
	v_mul_f32_e32 v57, v38, v184
	v_add_f32_e32 v5, v5, v6
	v_mul_f32_e32 v6, v39, v184
	s_waitcnt vmcnt(22)
	v_fmac_f32_e32 v57, v39, v185
	v_fma_f32 v6, v38, v185, -v6
	v_add_f32_e32 v55, v55, v57
	s_waitcnt vmcnt(21)
	v_mul_f32_e32 v57, v40, v186
	v_add_f32_e32 v54, v5, v6
	v_mul_f32_e32 v5, v41, v186
	s_waitcnt vmcnt(20)
	v_fmac_f32_e32 v57, v41, v187
	s_waitcnt vmcnt(19) lgkmcnt(0)
	v_mul_f32_e32 v59, v42, v188
	v_fma_f32 v56, v40, v187, -v5
	v_mul_f32_e32 v5, v43, v188
	ds_read2_b64 v[6:9], v4 offset0:81 offset1:82
	ds_read2_b64 v[10:13], v4 offset0:83 offset1:84
	;; [unrolled: 1-line block ×3, first 2 shown]
	ds_read_b64 v[18:19], v4 offset:696
	s_waitcnt vmcnt(18)
	v_fmac_f32_e32 v59, v43, v189
	v_fma_f32 v58, v42, v189, -v5
	v_pk_add_f32 v[20:21], v[54:55], v[56:57]
	v_pk_add_f32 v[20:21], v[20:21], v[58:59]
	s_waitcnt vmcnt(15)
	v_mov_b32_e32 v22, v47
	v_pk_mul_f32 v[22:23], v[44:45], v[22:23] op_sel_hi:[1,0]
	s_waitcnt vmcnt(8)
	v_pk_fma_f32 v[24:25], v[44:45], v[46:47], v[22:23] op_sel:[0,0,1] op_sel_hi:[1,1,0] neg_lo:[0,0,1] neg_hi:[0,0,1]
	v_pk_fma_f32 v[22:23], v[44:45], v[46:47], v[22:23] op_sel:[0,0,1] op_sel_hi:[1,0,0]
	v_mov_b32_e32 v22, v53
	v_mov_b32_e32 v25, v23
	s_waitcnt lgkmcnt(3)
	v_pk_mul_f32 v[22:23], v[6:7], v[22:23] op_sel_hi:[1,0]
	v_pk_add_f32 v[20:21], v[20:21], v[24:25]
	v_pk_fma_f32 v[24:25], v[6:7], v[52:53], v[22:23] op_sel:[0,0,1] op_sel_hi:[1,1,0] neg_lo:[0,0,1] neg_hi:[0,0,1]
	v_pk_fma_f32 v[6:7], v[6:7], v[52:53], v[22:23] op_sel:[0,0,1] op_sel_hi:[1,0,0]
	v_mov_b32_e32 v25, v7
	v_pk_add_f32 v[6:7], v[20:21], v[24:25]
	v_mov_b32_e32 v20, v51
	v_pk_mul_f32 v[20:21], v[8:9], v[20:21] op_sel_hi:[1,0]
	v_pk_fma_f32 v[22:23], v[8:9], v[50:51], v[20:21] op_sel:[0,0,1] op_sel_hi:[1,1,0] neg_lo:[0,0,1] neg_hi:[0,0,1]
	v_pk_fma_f32 v[8:9], v[8:9], v[50:51], v[20:21] op_sel:[0,0,1] op_sel_hi:[1,0,0]
	v_mov_b32_e32 v8, v49
	v_mov_b32_e32 v23, v9
	s_waitcnt lgkmcnt(2)
	v_pk_mul_f32 v[8:9], v[10:11], v[8:9] op_sel_hi:[1,0]
	v_pk_fma_f32 v[20:21], v[10:11], v[48:49], v[8:9] op_sel:[0,0,1] op_sel_hi:[1,1,0] neg_lo:[0,0,1] neg_hi:[0,0,1]
	v_pk_fma_f32 v[8:9], v[10:11], v[48:49], v[8:9] op_sel:[0,0,1] op_sel_hi:[1,0,0]
	s_waitcnt vmcnt(1)
	v_mov_b32_e32 v8, v155
	v_mov_b32_e32 v21, v9
	v_pk_mul_f32 v[8:9], v[12:13], v[8:9] op_sel_hi:[1,0]
	s_waitcnt vmcnt(0)
	v_pk_fma_f32 v[10:11], v[12:13], v[154:155], v[8:9] op_sel:[0,0,1] op_sel_hi:[1,1,0] neg_lo:[0,0,1] neg_hi:[0,0,1]
	v_pk_fma_f32 v[8:9], v[12:13], v[154:155], v[8:9] op_sel:[0,0,1] op_sel_hi:[1,0,0]
	v_pk_add_f32 v[6:7], v[6:7], v[22:23]
	v_mov_b32_e32 v8, v65
	v_pk_add_f32 v[6:7], v[6:7], v[20:21]
	v_mov_b32_e32 v11, v9
	s_waitcnt lgkmcnt(1)
	v_pk_mul_f32 v[8:9], v[14:15], v[8:9] op_sel_hi:[1,0]
	v_pk_add_f32 v[6:7], v[6:7], v[10:11]
	v_pk_fma_f32 v[10:11], v[14:15], v[64:65], v[8:9] op_sel:[0,0,1] op_sel_hi:[1,1,0] neg_lo:[0,0,1] neg_hi:[0,0,1]
	v_pk_fma_f32 v[8:9], v[14:15], v[64:65], v[8:9] op_sel:[0,0,1] op_sel_hi:[1,0,0]
	v_mov_b32_e32 v8, v63
	v_mov_b32_e32 v11, v9
	v_pk_mul_f32 v[8:9], v[16:17], v[8:9] op_sel_hi:[1,0]
	v_pk_add_f32 v[6:7], v[6:7], v[10:11]
	v_pk_fma_f32 v[10:11], v[16:17], v[62:63], v[8:9] op_sel:[0,0,1] op_sel_hi:[1,1,0] neg_lo:[0,0,1] neg_hi:[0,0,1]
	v_pk_fma_f32 v[8:9], v[16:17], v[62:63], v[8:9] op_sel:[0,0,1] op_sel_hi:[1,0,0]
	v_mov_b32_e32 v8, v61
	v_mov_b32_e32 v11, v9
	s_waitcnt lgkmcnt(0)
	v_pk_mul_f32 v[8:9], v[18:19], v[8:9] op_sel_hi:[1,0]
	v_pk_add_f32 v[6:7], v[6:7], v[10:11]
	v_pk_fma_f32 v[10:11], v[18:19], v[60:61], v[8:9] op_sel:[0,0,1] op_sel_hi:[1,1,0] neg_lo:[0,0,1] neg_hi:[0,0,1]
	v_pk_fma_f32 v[8:9], v[18:19], v[60:61], v[8:9] op_sel:[0,0,1] op_sel_hi:[1,0,0]
	v_mov_b32_e32 v11, v9
	v_pk_add_f32 v[6:7], v[6:7], v[10:11]
	v_pk_add_f32 v[2:3], v[2:3], v[6:7] neg_lo:[0,1] neg_hi:[0,1]
	buffer_store_dword v3, off, s[0:3], 0 offset:132
	buffer_store_dword v2, off, s[0:3], 0 offset:128
	s_and_saveexec_b64 s[4:5], vcc
	s_cbranch_execz .LBB43_247
; %bb.246:
	buffer_load_dword v2, off, s[0:3], 0 offset:120
	buffer_load_dword v3, off, s[0:3], 0 offset:124
	s_waitcnt vmcnt(0)
	ds_write_b64 v1, v[2:3]
	buffer_store_dword v4, off, s[0:3], 0 offset:120
	buffer_store_dword v4, off, s[0:3], 0 offset:124
.LBB43_247:
	s_or_b64 exec, exec, s[4:5]
	s_waitcnt lgkmcnt(0)
	; wave barrier
	s_waitcnt lgkmcnt(0)
	buffer_load_dword v5, off, s[0:3], 0 offset:132
	buffer_load_dword v46, off, s[0:3], 0 offset:140
	;; [unrolled: 1-line block ×42, first 2 shown]
	ds_read_b128 v[6:9], v4 offset:480
	ds_read_b128 v[10:13], v4 offset:496
	;; [unrolled: 1-line block ×8, first 2 shown]
	v_cmp_lt_u32_e32 vcc, 14, v0
	s_waitcnt vmcnt(41) lgkmcnt(7)
	v_mul_f32_e32 v38, v6, v5
	s_waitcnt vmcnt(40)
	v_mul_f32_e32 v39, v8, v46
	s_waitcnt vmcnt(39) lgkmcnt(6)
	v_mul_f32_e32 v40, v10, v48
	s_waitcnt vmcnt(38)
	v_mul_f32_e32 v41, v12, v56
	;; [unrolled: 4-line block ×7, first 2 shown]
	s_waitcnt vmcnt(27) lgkmcnt(0)
	v_mul_f32_e32 v54, v34, v166
	s_waitcnt vmcnt(26)
	v_fmac_f32_e32 v38, v7, v167
	s_waitcnt vmcnt(25)
	v_fmac_f32_e32 v39, v9, v168
	v_add_f32_e32 v38, 0, v38
	s_waitcnt vmcnt(24)
	v_fmac_f32_e32 v40, v11, v169
	v_add_f32_e32 v38, v38, v39
	;; [unrolled: 3-line block ×14, first 2 shown]
	s_waitcnt vmcnt(11)
	v_mul_f32_e32 v43, v36, v182
	v_add_f32_e32 v42, v38, v54
	s_waitcnt vmcnt(10)
	v_fmac_f32_e32 v43, v37, v183
	ds_read_b128 v[38:41], v4 offset:608
	v_add_f32_e32 v47, v42, v43
	ds_read_b128 v[42:45], v4 offset:624
	buffer_load_dword v51, off, s[0:3], 0 offset:292
	buffer_load_dword v53, off, s[0:3], 0 offset:308
	;; [unrolled: 1-line block ×16, first 2 shown]
	v_mul_f32_e32 v5, v7, v5
	v_fma_f32 v5, v6, v167, -v5
	v_mul_f32_e32 v6, v9, v46
	v_add_f32_e32 v5, 0, v5
	v_fma_f32 v6, v8, v168, -v6
	v_add_f32_e32 v5, v5, v6
	v_mul_f32_e32 v6, v11, v48
	v_fma_f32 v6, v10, v169, -v6
	v_add_f32_e32 v5, v5, v6
	v_mul_f32_e32 v6, v13, v56
	;; [unrolled: 3-line block ×14, first 2 shown]
	v_fma_f32 v6, v36, v183, -v6
	v_add_f32_e32 v5, v5, v6
	s_waitcnt vmcnt(25) lgkmcnt(1)
	v_mul_f32_e32 v6, v39, v184
	s_waitcnt vmcnt(24)
	v_fma_f32 v6, v38, v185, -v6
	v_add_f32_e32 v5, v5, v6
	s_waitcnt vmcnt(23)
	v_mul_f32_e32 v6, v41, v186
	s_waitcnt vmcnt(22)
	v_fma_f32 v6, v40, v187, -v6
	v_add_f32_e32 v46, v5, v6
	ds_read_b128 v[6:9], v4 offset:640
	ds_read_b128 v[10:13], v4 offset:656
	;; [unrolled: 1-line block ×4, first 2 shown]
	v_mul_f32_e32 v49, v38, v184
	v_fmac_f32_e32 v49, v39, v185
	v_add_f32_e32 v47, v47, v49
	v_mul_f32_e32 v49, v40, v186
	v_fmac_f32_e32 v49, v41, v187
	v_add_f32_e32 v47, v47, v49
	s_waitcnt vmcnt(21) lgkmcnt(4)
	v_mul_f32_e32 v49, v42, v188
	v_mul_f32_e32 v5, v43, v188
	s_waitcnt vmcnt(20)
	v_fmac_f32_e32 v49, v43, v189
	s_waitcnt vmcnt(19)
	v_mul_f32_e32 v57, v44, v190
	v_fma_f32 v48, v42, v189, -v5
	v_mul_f32_e32 v5, v45, v190
	s_waitcnt vmcnt(18)
	v_fmac_f32_e32 v57, v45, v191
	v_fma_f32 v56, v44, v191, -v5
	v_pk_add_f32 v[4:5], v[46:47], v[48:49]
	v_pk_add_f32 v[4:5], v[4:5], v[56:57]
	s_waitcnt vmcnt(15)
	v_mov_b32_e32 v22, v51
	s_waitcnt lgkmcnt(3)
	v_pk_mul_f32 v[22:23], v[6:7], v[22:23] op_sel_hi:[1,0]
	s_waitcnt vmcnt(10)
	v_pk_fma_f32 v[24:25], v[6:7], v[50:51], v[22:23] op_sel:[0,0,1] op_sel_hi:[1,1,0] neg_lo:[0,0,1] neg_hi:[0,0,1]
	v_pk_fma_f32 v[6:7], v[6:7], v[50:51], v[22:23] op_sel:[0,0,1] op_sel_hi:[1,0,0]
	v_mov_b32_e32 v6, v55
	v_mov_b32_e32 v25, v7
	v_pk_mul_f32 v[6:7], v[8:9], v[6:7] op_sel_hi:[1,0]
	v_pk_fma_f32 v[22:23], v[8:9], v[54:55], v[6:7] op_sel:[0,0,1] op_sel_hi:[1,1,0] neg_lo:[0,0,1] neg_hi:[0,0,1]
	v_pk_fma_f32 v[6:7], v[8:9], v[54:55], v[6:7] op_sel:[0,0,1] op_sel_hi:[1,0,0]
	v_mov_b32_e32 v6, v53
	v_mov_b32_e32 v23, v7
	s_waitcnt lgkmcnt(2)
	v_pk_mul_f32 v[6:7], v[10:11], v[6:7] op_sel_hi:[1,0]
	v_pk_fma_f32 v[8:9], v[10:11], v[52:53], v[6:7] op_sel:[0,0,1] op_sel_hi:[1,1,0] neg_lo:[0,0,1] neg_hi:[0,0,1]
	v_pk_fma_f32 v[6:7], v[10:11], v[52:53], v[6:7] op_sel:[0,0,1] op_sel_hi:[1,0,0]
	v_pk_add_f32 v[4:5], v[4:5], v[24:25]
	s_waitcnt vmcnt(3)
	v_mov_b32_e32 v6, v65
	v_pk_add_f32 v[4:5], v[4:5], v[22:23]
	v_mov_b32_e32 v9, v7
	v_pk_mul_f32 v[6:7], v[12:13], v[6:7] op_sel_hi:[1,0]
	v_pk_add_f32 v[4:5], v[4:5], v[8:9]
	s_waitcnt vmcnt(2)
	v_pk_fma_f32 v[8:9], v[12:13], v[64:65], v[6:7] op_sel:[0,0,1] op_sel_hi:[1,1,0] neg_lo:[0,0,1] neg_hi:[0,0,1]
	v_pk_fma_f32 v[6:7], v[12:13], v[64:65], v[6:7] op_sel:[0,0,1] op_sel_hi:[1,0,0]
	v_mov_b32_e32 v6, v63
	v_mov_b32_e32 v9, v7
	s_waitcnt lgkmcnt(1)
	v_pk_mul_f32 v[6:7], v[14:15], v[6:7] op_sel_hi:[1,0]
	v_pk_add_f32 v[4:5], v[4:5], v[8:9]
	v_pk_fma_f32 v[8:9], v[14:15], v[62:63], v[6:7] op_sel:[0,0,1] op_sel_hi:[1,1,0] neg_lo:[0,0,1] neg_hi:[0,0,1]
	v_pk_fma_f32 v[6:7], v[14:15], v[62:63], v[6:7] op_sel:[0,0,1] op_sel_hi:[1,0,0]
	v_mov_b32_e32 v6, v61
	v_mov_b32_e32 v9, v7
	v_pk_mul_f32 v[6:7], v[16:17], v[6:7] op_sel_hi:[1,0]
	v_pk_add_f32 v[4:5], v[4:5], v[8:9]
	v_pk_fma_f32 v[8:9], v[16:17], v[60:61], v[6:7] op_sel:[0,0,1] op_sel_hi:[1,1,0] neg_lo:[0,0,1] neg_hi:[0,0,1]
	v_pk_fma_f32 v[6:7], v[16:17], v[60:61], v[6:7] op_sel:[0,0,1] op_sel_hi:[1,0,0]
	v_mov_b32_e32 v6, v59
	v_mov_b32_e32 v9, v7
	s_waitcnt lgkmcnt(0)
	v_pk_mul_f32 v[6:7], v[18:19], v[6:7] op_sel_hi:[1,0]
	v_pk_add_f32 v[4:5], v[4:5], v[8:9]
	v_pk_fma_f32 v[8:9], v[18:19], v[58:59], v[6:7] op_sel:[0,0,1] op_sel_hi:[1,1,0] neg_lo:[0,0,1] neg_hi:[0,0,1]
	v_pk_fma_f32 v[6:7], v[18:19], v[58:59], v[6:7] op_sel:[0,0,1] op_sel_hi:[1,0,0]
	s_waitcnt vmcnt(1)
	v_mov_b32_e32 v6, v155
	v_mov_b32_e32 v9, v7
	v_pk_mul_f32 v[6:7], v[20:21], v[6:7] op_sel_hi:[1,0]
	v_pk_add_f32 v[4:5], v[4:5], v[8:9]
	s_waitcnt vmcnt(0)
	v_pk_fma_f32 v[8:9], v[20:21], v[154:155], v[6:7] op_sel:[0,0,1] op_sel_hi:[1,1,0] neg_lo:[0,0,1] neg_hi:[0,0,1]
	v_pk_fma_f32 v[6:7], v[20:21], v[154:155], v[6:7] op_sel:[0,0,1] op_sel_hi:[1,0,0]
	v_mov_b32_e32 v9, v7
	v_pk_add_f32 v[4:5], v[4:5], v[8:9]
	v_pk_add_f32 v[2:3], v[2:3], v[4:5] neg_lo:[0,1] neg_hi:[0,1]
	buffer_store_dword v3, off, s[0:3], 0 offset:124
	buffer_store_dword v2, off, s[0:3], 0 offset:120
	s_and_saveexec_b64 s[4:5], vcc
	s_cbranch_execz .LBB43_249
; %bb.248:
	buffer_load_dword v2, off, s[0:3], 0 offset:112
	buffer_load_dword v3, off, s[0:3], 0 offset:116
	v_mov_b32_e32 v4, 0
	buffer_store_dword v4, off, s[0:3], 0 offset:112
	buffer_store_dword v4, off, s[0:3], 0 offset:116
	s_waitcnt vmcnt(2)
	ds_write_b64 v1, v[2:3]
.LBB43_249:
	s_or_b64 exec, exec, s[4:5]
	s_waitcnt lgkmcnt(0)
	; wave barrier
	s_waitcnt lgkmcnt(0)
	buffer_load_dword v5, off, s[0:3], 0 offset:124
	buffer_load_dword v54, off, s[0:3], 0 offset:132
	;; [unrolled: 1-line block ×44, first 2 shown]
	v_mov_b32_e32 v4, 0
	ds_read2_b64 v[6:9], v4 offset0:59 offset1:60
	ds_read2_b64 v[10:13], v4 offset0:61 offset1:62
	;; [unrolled: 1-line block ×8, first 2 shown]
	v_cmp_lt_u32_e32 vcc, 13, v0
	s_waitcnt vmcnt(43) lgkmcnt(7)
	v_mul_f32_e32 v38, v6, v5
	s_waitcnt vmcnt(42)
	v_mul_f32_e32 v39, v8, v54
	s_waitcnt vmcnt(41) lgkmcnt(6)
	v_mul_f32_e32 v40, v10, v60
	s_waitcnt vmcnt(40)
	v_mul_f32_e32 v41, v12, v62
	;; [unrolled: 4-line block ×7, first 2 shown]
	s_waitcnt vmcnt(29)
	v_fmac_f32_e32 v38, v7, v174
	s_waitcnt vmcnt(28)
	v_fmac_f32_e32 v39, v9, v175
	v_add_f32_e32 v38, 0, v38
	s_waitcnt vmcnt(27)
	v_fmac_f32_e32 v40, v11, v176
	v_add_f32_e32 v38, v38, v39
	;; [unrolled: 3-line block ×12, first 2 shown]
	v_add_f32_e32 v38, v38, v50
	s_waitcnt vmcnt(16)
	v_fmac_f32_e32 v51, v33, v187
	s_waitcnt vmcnt(15) lgkmcnt(0)
	v_mul_f32_e32 v39, v34, v188
	v_add_f32_e32 v38, v38, v51
	s_waitcnt vmcnt(14)
	v_fmac_f32_e32 v39, v35, v189
	v_add_f32_e32 v42, v38, v39
	ds_read2_b64 v[38:41], v4 offset0:75 offset1:76
	s_waitcnt vmcnt(13)
	v_mul_f32_e32 v43, v36, v190
	s_waitcnt vmcnt(12)
	v_fmac_f32_e32 v43, v37, v191
	v_add_f32_e32 v46, v42, v43
	ds_read2_b64 v[42:45], v4 offset0:77 offset1:78
	s_waitcnt vmcnt(11) lgkmcnt(1)
	v_mul_f32_e32 v47, v38, v192
	s_waitcnt vmcnt(10)
	v_fmac_f32_e32 v47, v39, v193
	v_add_f32_e32 v46, v46, v47
	s_waitcnt vmcnt(9)
	v_mul_f32_e32 v47, v40, v194
	s_waitcnt vmcnt(8)
	v_fmac_f32_e32 v47, v41, v195
	v_add_f32_e32 v46, v46, v47
	s_waitcnt vmcnt(7) lgkmcnt(0)
	v_mul_f32_e32 v47, v42, v196
	s_waitcnt vmcnt(6)
	v_fmac_f32_e32 v47, v43, v197
	v_add_f32_e32 v55, v46, v47
	ds_read2_b64 v[46:49], v4 offset0:79 offset1:80
	buffer_load_dword v57, off, s[0:3], 0 offset:300
	buffer_load_dword v56, off, s[0:3], 0 offset:296
	;; [unrolled: 1-line block ×4, first 2 shown]
	ds_read2_b64 v[50:53], v4 offset0:81 offset1:82
	buffer_load_dword v65, off, s[0:3], 0 offset:332
	buffer_load_dword v64, off, s[0:3], 0 offset:328
	;; [unrolled: 1-line block ×12, first 2 shown]
	v_mul_f32_e32 v5, v7, v5
	v_fma_f32 v5, v6, v174, -v5
	v_mul_f32_e32 v6, v9, v54
	v_add_f32_e32 v5, 0, v5
	v_fma_f32 v6, v8, v175, -v6
	v_add_f32_e32 v5, v5, v6
	v_mul_f32_e32 v6, v11, v60
	v_fma_f32 v6, v10, v176, -v6
	v_add_f32_e32 v5, v5, v6
	v_mul_f32_e32 v6, v13, v62
	;; [unrolled: 3-line block ×17, first 2 shown]
	v_fma_f32 v6, v42, v197, -v6
	s_waitcnt vmcnt(21)
	v_mul_f32_e32 v61, v44, v198
	v_add_f32_e32 v54, v5, v6
	v_mul_f32_e32 v5, v45, v198
	s_waitcnt vmcnt(20)
	v_fmac_f32_e32 v61, v45, v199
	s_waitcnt vmcnt(19) lgkmcnt(1)
	v_mul_f32_e32 v63, v46, v200
	v_fma_f32 v60, v44, v199, -v5
	v_mul_f32_e32 v5, v47, v200
	s_waitcnt vmcnt(18)
	v_fmac_f32_e32 v63, v47, v201
	v_fma_f32 v62, v46, v201, -v5
	v_pk_add_f32 v[16:17], v[54:55], v[60:61]
	v_pk_add_f32 v[16:17], v[16:17], v[62:63]
	ds_read2_b64 v[6:9], v4 offset0:83 offset1:84
	ds_read2_b64 v[10:13], v4 offset0:85 offset1:86
	ds_read_b64 v[14:15], v4 offset:696
	s_waitcnt vmcnt(13)
	v_mov_b32_e32 v18, v59
	v_pk_mul_f32 v[18:19], v[48:49], v[18:19] op_sel_hi:[1,0]
	s_waitcnt vmcnt(12)
	v_pk_fma_f32 v[20:21], v[48:49], v[58:59], v[18:19] op_sel:[0,0,1] op_sel_hi:[1,1,0] neg_lo:[0,0,1] neg_hi:[0,0,1]
	v_pk_fma_f32 v[18:19], v[48:49], v[58:59], v[18:19] op_sel:[0,0,1] op_sel_hi:[1,0,0]
	v_mov_b32_e32 v18, v57
	v_mov_b32_e32 v21, v19
	s_waitcnt lgkmcnt(3)
	v_pk_mul_f32 v[18:19], v[50:51], v[18:19] op_sel_hi:[1,0]
	v_pk_add_f32 v[16:17], v[16:17], v[20:21]
	v_pk_fma_f32 v[20:21], v[50:51], v[56:57], v[18:19] op_sel:[0,0,1] op_sel_hi:[1,1,0] neg_lo:[0,0,1] neg_hi:[0,0,1]
	v_pk_fma_f32 v[18:19], v[50:51], v[56:57], v[18:19] op_sel:[0,0,1] op_sel_hi:[1,0,0]
	s_waitcnt vmcnt(5)
	v_mov_b32_e32 v18, v159
	v_mov_b32_e32 v21, v19
	v_pk_mul_f32 v[18:19], v[52:53], v[18:19] op_sel_hi:[1,0]
	v_pk_add_f32 v[16:17], v[16:17], v[20:21]
	s_waitcnt vmcnt(4)
	v_pk_fma_f32 v[20:21], v[52:53], v[158:159], v[18:19] op_sel:[0,0,1] op_sel_hi:[1,1,0] neg_lo:[0,0,1] neg_hi:[0,0,1]
	v_pk_fma_f32 v[18:19], v[52:53], v[158:159], v[18:19] op_sel:[0,0,1] op_sel_hi:[1,0,0]
	v_mov_b32_e32 v18, v157
	v_mov_b32_e32 v21, v19
	s_waitcnt lgkmcnt(2)
	v_pk_mul_f32 v[18:19], v[6:7], v[18:19] op_sel_hi:[1,0]
	v_pk_add_f32 v[16:17], v[16:17], v[20:21]
	v_pk_fma_f32 v[20:21], v[6:7], v[156:157], v[18:19] op_sel:[0,0,1] op_sel_hi:[1,1,0] neg_lo:[0,0,1] neg_hi:[0,0,1]
	v_pk_fma_f32 v[6:7], v[6:7], v[156:157], v[18:19] op_sel:[0,0,1] op_sel_hi:[1,0,0]
	v_mov_b32_e32 v21, v7
	v_pk_add_f32 v[6:7], v[16:17], v[20:21]
	v_mov_b32_e32 v16, v155
	v_pk_mul_f32 v[16:17], v[8:9], v[16:17] op_sel_hi:[1,0]
	v_pk_fma_f32 v[18:19], v[8:9], v[154:155], v[16:17] op_sel:[0,0,1] op_sel_hi:[1,1,0] neg_lo:[0,0,1] neg_hi:[0,0,1]
	v_pk_fma_f32 v[8:9], v[8:9], v[154:155], v[16:17] op_sel:[0,0,1] op_sel_hi:[1,0,0]
	v_mov_b32_e32 v8, v65
	v_mov_b32_e32 v19, v9
	s_waitcnt lgkmcnt(1)
	v_pk_mul_f32 v[8:9], v[10:11], v[8:9] op_sel_hi:[1,0]
	v_pk_fma_f32 v[16:17], v[10:11], v[64:65], v[8:9] op_sel:[0,0,1] op_sel_hi:[1,1,0] neg_lo:[0,0,1] neg_hi:[0,0,1]
	v_pk_fma_f32 v[8:9], v[10:11], v[64:65], v[8:9] op_sel:[0,0,1] op_sel_hi:[1,0,0]
	s_waitcnt vmcnt(1)
	v_mov_b32_e32 v8, v163
	v_mov_b32_e32 v17, v9
	v_pk_mul_f32 v[8:9], v[12:13], v[8:9] op_sel_hi:[1,0]
	s_waitcnt vmcnt(0)
	v_pk_fma_f32 v[10:11], v[12:13], v[162:163], v[8:9] op_sel:[0,0,1] op_sel_hi:[1,1,0] neg_lo:[0,0,1] neg_hi:[0,0,1]
	v_pk_fma_f32 v[8:9], v[12:13], v[162:163], v[8:9] op_sel:[0,0,1] op_sel_hi:[1,0,0]
	v_pk_add_f32 v[6:7], v[6:7], v[18:19]
	v_mov_b32_e32 v8, v161
	v_pk_add_f32 v[6:7], v[6:7], v[16:17]
	v_mov_b32_e32 v11, v9
	s_waitcnt lgkmcnt(0)
	v_pk_mul_f32 v[8:9], v[14:15], v[8:9] op_sel_hi:[1,0]
	v_pk_add_f32 v[6:7], v[6:7], v[10:11]
	v_pk_fma_f32 v[10:11], v[14:15], v[160:161], v[8:9] op_sel:[0,0,1] op_sel_hi:[1,1,0] neg_lo:[0,0,1] neg_hi:[0,0,1]
	v_pk_fma_f32 v[8:9], v[14:15], v[160:161], v[8:9] op_sel:[0,0,1] op_sel_hi:[1,0,0]
	v_mov_b32_e32 v11, v9
	v_pk_add_f32 v[6:7], v[6:7], v[10:11]
	v_pk_add_f32 v[2:3], v[2:3], v[6:7] neg_lo:[0,1] neg_hi:[0,1]
	buffer_store_dword v3, off, s[0:3], 0 offset:116
	buffer_store_dword v2, off, s[0:3], 0 offset:112
	s_and_saveexec_b64 s[4:5], vcc
	s_cbranch_execz .LBB43_251
; %bb.250:
	buffer_load_dword v2, off, s[0:3], 0 offset:104
	buffer_load_dword v3, off, s[0:3], 0 offset:108
	s_waitcnt vmcnt(0)
	ds_write_b64 v1, v[2:3]
	buffer_store_dword v4, off, s[0:3], 0 offset:104
	buffer_store_dword v4, off, s[0:3], 0 offset:108
.LBB43_251:
	s_or_b64 exec, exec, s[4:5]
	s_waitcnt lgkmcnt(0)
	; wave barrier
	s_waitcnt lgkmcnt(0)
	buffer_load_dword v5, off, s[0:3], 0 offset:116
	buffer_load_dword v56, off, s[0:3], 0 offset:124
	;; [unrolled: 1-line block ×46, first 2 shown]
	ds_read_b128 v[6:9], v4 offset:464
	ds_read_b128 v[10:13], v4 offset:480
	;; [unrolled: 1-line block ×8, first 2 shown]
	v_cmp_lt_u32_e32 vcc, 12, v0
	s_waitcnt vmcnt(45) lgkmcnt(7)
	v_mul_f32_e32 v38, v6, v5
	s_waitcnt vmcnt(44)
	v_mul_f32_e32 v39, v8, v56
	s_waitcnt vmcnt(43) lgkmcnt(6)
	v_mul_f32_e32 v40, v10, v58
	s_waitcnt vmcnt(42)
	v_mul_f32_e32 v41, v12, v60
	;; [unrolled: 4-line block ×6, first 2 shown]
	s_waitcnt vmcnt(33) lgkmcnt(1)
	v_mul_f32_e32 v50, v30, v172
	s_waitcnt vmcnt(32)
	v_fmac_f32_e32 v38, v7, v173
	s_waitcnt vmcnt(31)
	v_fmac_f32_e32 v39, v9, v174
	v_add_f32_e32 v38, 0, v38
	s_waitcnt vmcnt(30)
	v_fmac_f32_e32 v40, v11, v175
	v_add_f32_e32 v38, v38, v39
	;; [unrolled: 3-line block ×12, first 2 shown]
	s_waitcnt vmcnt(19)
	v_mul_f32_e32 v39, v32, v186
	v_add_f32_e32 v38, v38, v50
	s_waitcnt vmcnt(18)
	v_fmac_f32_e32 v39, v33, v187
	v_add_f32_e32 v38, v38, v39
	s_waitcnt vmcnt(17) lgkmcnt(0)
	v_mul_f32_e32 v39, v34, v188
	s_waitcnt vmcnt(16)
	v_fmac_f32_e32 v39, v35, v189
	v_add_f32_e32 v42, v38, v39
	ds_read_b128 v[38:41], v4 offset:592
	s_waitcnt vmcnt(15)
	v_mul_f32_e32 v43, v36, v190
	s_waitcnt vmcnt(14)
	v_fmac_f32_e32 v43, v37, v191
	v_add_f32_e32 v46, v42, v43
	ds_read_b128 v[42:45], v4 offset:608
	buffer_load_dword v55, off, s[0:3], 0 offset:292
	buffer_load_dword v54, off, s[0:3], 0 offset:288
	s_waitcnt vmcnt(15) lgkmcnt(1)
	v_mul_f32_e32 v47, v38, v192
	s_waitcnt vmcnt(14)
	v_fmac_f32_e32 v47, v39, v193
	v_add_f32_e32 v46, v46, v47
	s_waitcnt vmcnt(13)
	v_mul_f32_e32 v47, v40, v194
	s_waitcnt vmcnt(12)
	v_fmac_f32_e32 v47, v41, v195
	v_add_f32_e32 v46, v46, v47
	s_waitcnt vmcnt(11) lgkmcnt(0)
	v_mul_f32_e32 v47, v42, v196
	s_waitcnt vmcnt(10)
	v_fmac_f32_e32 v47, v43, v197
	s_waitcnt vmcnt(9)
	v_mul_f32_e32 v51, v44, v198
	v_add_f32_e32 v50, v46, v47
	s_waitcnt vmcnt(8)
	v_fmac_f32_e32 v51, v45, v199
	ds_read_b128 v[46:49], v4 offset:624
	v_add_f32_e32 v57, v50, v51
	ds_read_b128 v[50:53], v4 offset:640
	buffer_load_dword v63, off, s[0:3], 0 offset:324
	buffer_load_dword v62, off, s[0:3], 0 offset:320
	;; [unrolled: 1-line block ×14, first 2 shown]
	v_mul_f32_e32 v5, v7, v5
	v_fma_f32 v5, v6, v173, -v5
	v_mul_f32_e32 v6, v9, v56
	v_add_f32_e32 v5, 0, v5
	v_fma_f32 v6, v8, v174, -v6
	v_add_f32_e32 v5, v5, v6
	v_mul_f32_e32 v6, v11, v58
	v_fma_f32 v6, v10, v175, -v6
	v_add_f32_e32 v5, v5, v6
	v_mul_f32_e32 v6, v13, v60
	;; [unrolled: 3-line block ×18, first 2 shown]
	v_fma_f32 v6, v44, v199, -v6
	s_waitcnt vmcnt(21) lgkmcnt(1)
	v_mul_f32_e32 v59, v46, v200
	v_add_f32_e32 v56, v5, v6
	v_mul_f32_e32 v5, v47, v200
	s_waitcnt vmcnt(20)
	v_fmac_f32_e32 v59, v47, v201
	s_waitcnt vmcnt(15)
	v_mov_b32_e32 v18, v55
	s_waitcnt lgkmcnt(0)
	v_pk_mul_f32 v[18:19], v[50:51], v[18:19] op_sel_hi:[1,0]
	v_mul_f32_e32 v61, v48, v202
	v_fma_f32 v58, v46, v201, -v5
	v_mul_f32_e32 v5, v49, v202
	s_waitcnt vmcnt(14)
	v_pk_fma_f32 v[20:21], v[50:51], v[54:55], v[18:19] op_sel:[0,0,1] op_sel_hi:[1,1,0] neg_lo:[0,0,1] neg_hi:[0,0,1]
	v_pk_fma_f32 v[18:19], v[50:51], v[54:55], v[18:19] op_sel:[0,0,1] op_sel_hi:[1,0,0]
	v_fmac_f32_e32 v61, v49, v203
	v_fma_f32 v60, v48, v203, -v5
	ds_read_b128 v[6:9], v4 offset:656
	ds_read_b128 v[10:13], v4 offset:672
	;; [unrolled: 1-line block ×3, first 2 shown]
	v_pk_add_f32 v[4:5], v[56:57], v[58:59]
	s_waitcnt vmcnt(7)
	v_mov_b32_e32 v18, v157
	v_pk_add_f32 v[4:5], v[4:5], v[60:61]
	v_mov_b32_e32 v21, v19
	v_pk_mul_f32 v[18:19], v[52:53], v[18:19] op_sel_hi:[1,0]
	v_pk_add_f32 v[4:5], v[4:5], v[20:21]
	s_waitcnt vmcnt(6)
	v_pk_fma_f32 v[20:21], v[52:53], v[156:157], v[18:19] op_sel:[0,0,1] op_sel_hi:[1,1,0] neg_lo:[0,0,1] neg_hi:[0,0,1]
	v_pk_fma_f32 v[18:19], v[52:53], v[156:157], v[18:19] op_sel:[0,0,1] op_sel_hi:[1,0,0]
	v_mov_b32_e32 v18, v155
	v_mov_b32_e32 v21, v19
	s_waitcnt lgkmcnt(2)
	v_pk_mul_f32 v[18:19], v[6:7], v[18:19] op_sel_hi:[1,0]
	v_pk_add_f32 v[4:5], v[4:5], v[20:21]
	v_pk_fma_f32 v[20:21], v[6:7], v[154:155], v[18:19] op_sel:[0,0,1] op_sel_hi:[1,1,0] neg_lo:[0,0,1] neg_hi:[0,0,1]
	v_pk_fma_f32 v[6:7], v[6:7], v[154:155], v[18:19] op_sel:[0,0,1] op_sel_hi:[1,0,0]
	v_mov_b32_e32 v6, v65
	v_mov_b32_e32 v21, v7
	v_pk_mul_f32 v[6:7], v[8:9], v[6:7] op_sel_hi:[1,0]
	v_pk_fma_f32 v[18:19], v[8:9], v[64:65], v[6:7] op_sel:[0,0,1] op_sel_hi:[1,1,0] neg_lo:[0,0,1] neg_hi:[0,0,1]
	v_pk_fma_f32 v[6:7], v[8:9], v[64:65], v[6:7] op_sel:[0,0,1] op_sel_hi:[1,0,0]
	v_mov_b32_e32 v6, v63
	v_mov_b32_e32 v19, v7
	s_waitcnt lgkmcnt(1)
	v_pk_mul_f32 v[6:7], v[10:11], v[6:7] op_sel_hi:[1,0]
	v_pk_fma_f32 v[8:9], v[10:11], v[62:63], v[6:7] op_sel:[0,0,1] op_sel_hi:[1,1,0] neg_lo:[0,0,1] neg_hi:[0,0,1]
	v_pk_fma_f32 v[6:7], v[10:11], v[62:63], v[6:7] op_sel:[0,0,1] op_sel_hi:[1,0,0]
	v_pk_add_f32 v[4:5], v[4:5], v[20:21]
	s_waitcnt vmcnt(1)
	v_mov_b32_e32 v6, v163
	v_pk_add_f32 v[4:5], v[4:5], v[18:19]
	v_mov_b32_e32 v9, v7
	v_pk_mul_f32 v[6:7], v[12:13], v[6:7] op_sel_hi:[1,0]
	v_pk_add_f32 v[4:5], v[4:5], v[8:9]
	s_waitcnt vmcnt(0)
	v_pk_fma_f32 v[8:9], v[12:13], v[162:163], v[6:7] op_sel:[0,0,1] op_sel_hi:[1,1,0] neg_lo:[0,0,1] neg_hi:[0,0,1]
	v_pk_fma_f32 v[6:7], v[12:13], v[162:163], v[6:7] op_sel:[0,0,1] op_sel_hi:[1,0,0]
	v_mov_b32_e32 v6, v161
	v_mov_b32_e32 v9, v7
	s_waitcnt lgkmcnt(0)
	v_pk_mul_f32 v[6:7], v[14:15], v[6:7] op_sel_hi:[1,0]
	v_pk_add_f32 v[4:5], v[4:5], v[8:9]
	v_pk_fma_f32 v[8:9], v[14:15], v[160:161], v[6:7] op_sel:[0,0,1] op_sel_hi:[1,1,0] neg_lo:[0,0,1] neg_hi:[0,0,1]
	v_pk_fma_f32 v[6:7], v[14:15], v[160:161], v[6:7] op_sel:[0,0,1] op_sel_hi:[1,0,0]
	v_mov_b32_e32 v6, v159
	v_mov_b32_e32 v9, v7
	v_pk_mul_f32 v[6:7], v[16:17], v[6:7] op_sel_hi:[1,0]
	v_pk_add_f32 v[4:5], v[4:5], v[8:9]
	v_pk_fma_f32 v[8:9], v[16:17], v[158:159], v[6:7] op_sel:[0,0,1] op_sel_hi:[1,1,0] neg_lo:[0,0,1] neg_hi:[0,0,1]
	v_pk_fma_f32 v[6:7], v[16:17], v[158:159], v[6:7] op_sel:[0,0,1] op_sel_hi:[1,0,0]
	v_mov_b32_e32 v9, v7
	v_pk_add_f32 v[4:5], v[4:5], v[8:9]
	v_pk_add_f32 v[2:3], v[2:3], v[4:5] neg_lo:[0,1] neg_hi:[0,1]
	buffer_store_dword v3, off, s[0:3], 0 offset:108
	buffer_store_dword v2, off, s[0:3], 0 offset:104
	s_and_saveexec_b64 s[4:5], vcc
	s_cbranch_execz .LBB43_253
; %bb.252:
	buffer_load_dword v2, off, s[0:3], 0 offset:96
	buffer_load_dword v3, off, s[0:3], 0 offset:100
	v_mov_b32_e32 v4, 0
	buffer_store_dword v4, off, s[0:3], 0 offset:96
	buffer_store_dword v4, off, s[0:3], 0 offset:100
	s_waitcnt vmcnt(2)
	ds_write_b64 v1, v[2:3]
.LBB43_253:
	s_or_b64 exec, exec, s[4:5]
	s_waitcnt lgkmcnt(0)
	; wave barrier
	s_waitcnt lgkmcnt(0)
	buffer_load_dword v5, off, s[0:3], 0 offset:108
	buffer_load_dword v54, off, s[0:3], 0 offset:116
	;; [unrolled: 1-line block ×48, first 2 shown]
	v_mov_b32_e32 v4, 0
	ds_read2_b64 v[6:9], v4 offset0:57 offset1:58
	ds_read2_b64 v[10:13], v4 offset0:59 offset1:60
	ds_read2_b64 v[14:17], v4 offset0:61 offset1:62
	ds_read2_b64 v[18:21], v4 offset0:63 offset1:64
	ds_read2_b64 v[22:25], v4 offset0:65 offset1:66
	ds_read2_b64 v[26:29], v4 offset0:67 offset1:68
	v_cmp_lt_u32_e32 vcc, 11, v0
	s_waitcnt vmcnt(47) lgkmcnt(5)
	v_mul_f32_e32 v30, v6, v5
	s_waitcnt vmcnt(46)
	v_mul_f32_e32 v31, v8, v54
	s_waitcnt vmcnt(45) lgkmcnt(4)
	v_mul_f32_e32 v32, v10, v56
	s_waitcnt vmcnt(44)
	v_mul_f32_e32 v33, v12, v58
	;; [unrolled: 4-line block ×6, first 2 shown]
	s_waitcnt vmcnt(35)
	v_fmac_f32_e32 v30, v7, v172
	s_waitcnt vmcnt(34)
	v_fmac_f32_e32 v31, v9, v173
	v_add_f32_e32 v30, 0, v30
	s_waitcnt vmcnt(33)
	v_fmac_f32_e32 v32, v11, v174
	v_add_f32_e32 v30, v30, v31
	;; [unrolled: 3-line block ×8, first 2 shown]
	v_add_f32_e32 v34, v30, v38
	ds_read2_b64 v[30:33], v4 offset0:69 offset1:70
	s_waitcnt vmcnt(26)
	v_fmac_f32_e32 v39, v25, v181
	s_waitcnt vmcnt(25)
	v_fmac_f32_e32 v40, v27, v182
	v_add_f32_e32 v34, v34, v39
	s_waitcnt vmcnt(24)
	v_fmac_f32_e32 v41, v29, v183
	v_add_f32_e32 v34, v34, v40
	v_add_f32_e32 v38, v34, v41
	ds_read2_b64 v[34:37], v4 offset0:71 offset1:72
	s_waitcnt vmcnt(23) lgkmcnt(1)
	v_mul_f32_e32 v39, v30, v184
	s_waitcnt vmcnt(22)
	v_fmac_f32_e32 v39, v31, v185
	v_add_f32_e32 v38, v38, v39
	s_waitcnt vmcnt(21)
	v_mul_f32_e32 v39, v32, v186
	s_waitcnt vmcnt(20)
	v_fmac_f32_e32 v39, v33, v187
	v_add_f32_e32 v38, v38, v39
	s_waitcnt vmcnt(19) lgkmcnt(0)
	v_mul_f32_e32 v39, v34, v188
	s_waitcnt vmcnt(18)
	v_fmac_f32_e32 v39, v35, v189
	v_add_f32_e32 v42, v38, v39
	ds_read2_b64 v[38:41], v4 offset0:73 offset1:74
	s_waitcnt vmcnt(17)
	v_mul_f32_e32 v43, v36, v190
	s_waitcnt vmcnt(16)
	v_fmac_f32_e32 v43, v37, v191
	v_add_f32_e32 v46, v42, v43
	ds_read2_b64 v[42:45], v4 offset0:75 offset1:76
	s_waitcnt vmcnt(15) lgkmcnt(1)
	v_mul_f32_e32 v47, v38, v192
	s_waitcnt vmcnt(14)
	v_fmac_f32_e32 v47, v39, v193
	v_add_f32_e32 v46, v46, v47
	s_waitcnt vmcnt(13)
	v_mul_f32_e32 v47, v40, v194
	s_waitcnt vmcnt(12)
	v_fmac_f32_e32 v47, v41, v195
	v_add_f32_e32 v46, v46, v47
	s_waitcnt vmcnt(11) lgkmcnt(0)
	v_mul_f32_e32 v47, v42, v196
	s_waitcnt vmcnt(10)
	v_fmac_f32_e32 v47, v43, v197
	s_waitcnt vmcnt(9)
	v_mul_f32_e32 v51, v44, v198
	v_add_f32_e32 v50, v46, v47
	s_waitcnt vmcnt(8)
	v_fmac_f32_e32 v51, v45, v199
	ds_read2_b64 v[46:49], v4 offset0:77 offset1:78
	v_add_f32_e32 v55, v50, v51
	ds_read2_b64 v[50:53], v4 offset0:79 offset1:80
	buffer_load_dword v61, off, s[0:3], 0 offset:316
	buffer_load_dword v60, off, s[0:3], 0 offset:312
	;; [unrolled: 1-line block ×16, first 2 shown]
	v_mul_f32_e32 v5, v7, v5
	v_fma_f32 v5, v6, v172, -v5
	v_mul_f32_e32 v6, v9, v54
	v_add_f32_e32 v5, 0, v5
	v_fma_f32 v6, v8, v173, -v6
	v_add_f32_e32 v5, v5, v6
	v_mul_f32_e32 v6, v11, v56
	v_fma_f32 v6, v10, v174, -v6
	v_add_f32_e32 v5, v5, v6
	v_mul_f32_e32 v6, v13, v58
	;; [unrolled: 3-line block ×18, first 2 shown]
	v_fma_f32 v6, v44, v199, -v6
	s_waitcnt vmcnt(22) lgkmcnt(1)
	v_mul_f32_e32 v57, v46, v201
	v_add_f32_e32 v5, v5, v6
	v_mul_f32_e32 v6, v47, v201
	v_fmac_f32_e32 v57, v47, v200
	v_fma_f32 v6, v46, v200, -v6
	v_add_f32_e32 v55, v55, v57
	s_waitcnt vmcnt(19)
	v_mul_f32_e32 v57, v48, v202
	v_add_f32_e32 v54, v5, v6
	v_mul_f32_e32 v5, v49, v202
	s_waitcnt vmcnt(18)
	v_fmac_f32_e32 v57, v49, v203
	s_waitcnt vmcnt(17) lgkmcnt(0)
	v_mul_f32_e32 v59, v50, v204
	s_waitcnt vmcnt(9)
	v_mov_b32_e32 v22, v155
	v_pk_mul_f32 v[22:23], v[52:53], v[22:23] op_sel_hi:[1,0]
	v_fma_f32 v56, v48, v203, -v5
	v_mul_f32_e32 v5, v51, v204
	ds_read2_b64 v[6:9], v4 offset0:81 offset1:82
	ds_read2_b64 v[10:13], v4 offset0:83 offset1:84
	;; [unrolled: 1-line block ×3, first 2 shown]
	ds_read_b64 v[18:19], v4 offset:696
	s_waitcnt vmcnt(8)
	v_pk_fma_f32 v[24:25], v[52:53], v[154:155], v[22:23] op_sel:[0,0,1] op_sel_hi:[1,1,0] neg_lo:[0,0,1] neg_hi:[0,0,1]
	v_pk_fma_f32 v[22:23], v[52:53], v[154:155], v[22:23] op_sel:[0,0,1] op_sel_hi:[1,0,0]
	v_fmac_f32_e32 v59, v51, v205
	v_fma_f32 v58, v50, v205, -v5
	v_pk_add_f32 v[20:21], v[54:55], v[56:57]
	v_mov_b32_e32 v22, v65
	v_pk_add_f32 v[20:21], v[20:21], v[58:59]
	v_mov_b32_e32 v25, v23
	s_waitcnt lgkmcnt(3)
	v_pk_mul_f32 v[22:23], v[6:7], v[22:23] op_sel_hi:[1,0]
	v_pk_add_f32 v[20:21], v[20:21], v[24:25]
	v_pk_fma_f32 v[24:25], v[6:7], v[64:65], v[22:23] op_sel:[0,0,1] op_sel_hi:[1,1,0] neg_lo:[0,0,1] neg_hi:[0,0,1]
	v_pk_fma_f32 v[6:7], v[6:7], v[64:65], v[22:23] op_sel:[0,0,1] op_sel_hi:[1,0,0]
	v_mov_b32_e32 v25, v7
	v_pk_add_f32 v[6:7], v[20:21], v[24:25]
	v_mov_b32_e32 v20, v63
	v_pk_mul_f32 v[20:21], v[8:9], v[20:21] op_sel_hi:[1,0]
	v_pk_fma_f32 v[22:23], v[8:9], v[62:63], v[20:21] op_sel:[0,0,1] op_sel_hi:[1,1,0] neg_lo:[0,0,1] neg_hi:[0,0,1]
	v_pk_fma_f32 v[8:9], v[8:9], v[62:63], v[20:21] op_sel:[0,0,1] op_sel_hi:[1,0,0]
	v_mov_b32_e32 v8, v61
	v_mov_b32_e32 v23, v9
	s_waitcnt lgkmcnt(2)
	v_pk_mul_f32 v[8:9], v[10:11], v[8:9] op_sel_hi:[1,0]
	v_pk_fma_f32 v[20:21], v[10:11], v[60:61], v[8:9] op_sel:[0,0,1] op_sel_hi:[1,1,0] neg_lo:[0,0,1] neg_hi:[0,0,1]
	v_pk_fma_f32 v[8:9], v[10:11], v[60:61], v[8:9] op_sel:[0,0,1] op_sel_hi:[1,0,0]
	s_waitcnt vmcnt(1)
	v_mov_b32_e32 v8, v163
	v_mov_b32_e32 v21, v9
	v_pk_mul_f32 v[8:9], v[12:13], v[8:9] op_sel_hi:[1,0]
	s_waitcnt vmcnt(0)
	v_pk_fma_f32 v[10:11], v[12:13], v[162:163], v[8:9] op_sel:[0,0,1] op_sel_hi:[1,1,0] neg_lo:[0,0,1] neg_hi:[0,0,1]
	v_pk_fma_f32 v[8:9], v[12:13], v[162:163], v[8:9] op_sel:[0,0,1] op_sel_hi:[1,0,0]
	v_pk_add_f32 v[6:7], v[6:7], v[22:23]
	v_mov_b32_e32 v8, v161
	v_pk_add_f32 v[6:7], v[6:7], v[20:21]
	v_mov_b32_e32 v11, v9
	s_waitcnt lgkmcnt(1)
	v_pk_mul_f32 v[8:9], v[14:15], v[8:9] op_sel_hi:[1,0]
	v_pk_add_f32 v[6:7], v[6:7], v[10:11]
	v_pk_fma_f32 v[10:11], v[14:15], v[160:161], v[8:9] op_sel:[0,0,1] op_sel_hi:[1,1,0] neg_lo:[0,0,1] neg_hi:[0,0,1]
	v_pk_fma_f32 v[8:9], v[14:15], v[160:161], v[8:9] op_sel:[0,0,1] op_sel_hi:[1,0,0]
	v_mov_b32_e32 v8, v159
	v_mov_b32_e32 v11, v9
	v_pk_mul_f32 v[8:9], v[16:17], v[8:9] op_sel_hi:[1,0]
	v_pk_add_f32 v[6:7], v[6:7], v[10:11]
	v_pk_fma_f32 v[10:11], v[16:17], v[158:159], v[8:9] op_sel:[0,0,1] op_sel_hi:[1,1,0] neg_lo:[0,0,1] neg_hi:[0,0,1]
	v_pk_fma_f32 v[8:9], v[16:17], v[158:159], v[8:9] op_sel:[0,0,1] op_sel_hi:[1,0,0]
	v_mov_b32_e32 v8, v157
	v_mov_b32_e32 v11, v9
	s_waitcnt lgkmcnt(0)
	v_pk_mul_f32 v[8:9], v[18:19], v[8:9] op_sel_hi:[1,0]
	v_pk_add_f32 v[6:7], v[6:7], v[10:11]
	v_pk_fma_f32 v[10:11], v[18:19], v[156:157], v[8:9] op_sel:[0,0,1] op_sel_hi:[1,1,0] neg_lo:[0,0,1] neg_hi:[0,0,1]
	v_pk_fma_f32 v[8:9], v[18:19], v[156:157], v[8:9] op_sel:[0,0,1] op_sel_hi:[1,0,0]
	v_mov_b32_e32 v11, v9
	v_pk_add_f32 v[6:7], v[6:7], v[10:11]
	v_pk_add_f32 v[2:3], v[2:3], v[6:7] neg_lo:[0,1] neg_hi:[0,1]
	buffer_store_dword v3, off, s[0:3], 0 offset:100
	buffer_store_dword v2, off, s[0:3], 0 offset:96
	s_and_saveexec_b64 s[4:5], vcc
	s_cbranch_execz .LBB43_255
; %bb.254:
	buffer_load_dword v2, off, s[0:3], 0 offset:88
	buffer_load_dword v3, off, s[0:3], 0 offset:92
	s_waitcnt vmcnt(0)
	ds_write_b64 v1, v[2:3]
	buffer_store_dword v4, off, s[0:3], 0 offset:88
	buffer_store_dword v4, off, s[0:3], 0 offset:92
.LBB43_255:
	s_or_b64 exec, exec, s[4:5]
	s_waitcnt lgkmcnt(0)
	; wave barrier
	s_waitcnt lgkmcnt(0)
	buffer_load_dword v5, off, s[0:3], 0 offset:100
	buffer_load_dword v54, off, s[0:3], 0 offset:108
	;; [unrolled: 1-line block ×48, first 2 shown]
	ds_read_b128 v[6:9], v4 offset:448
	ds_read_b128 v[10:13], v4 offset:464
	;; [unrolled: 1-line block ×6, first 2 shown]
	buffer_load_dword v206, off, s[0:3], 0 offset:280
	buffer_load_dword v207, off, s[0:3], 0 offset:284
	v_cmp_lt_u32_e32 vcc, 10, v0
	s_waitcnt vmcnt(49) lgkmcnt(5)
	v_mul_f32_e32 v30, v6, v5
	s_waitcnt vmcnt(48)
	v_mul_f32_e32 v31, v8, v54
	s_waitcnt vmcnt(47) lgkmcnt(4)
	v_mul_f32_e32 v32, v10, v56
	s_waitcnt vmcnt(46)
	v_mul_f32_e32 v33, v12, v64
	;; [unrolled: 4-line block ×6, first 2 shown]
	s_waitcnt vmcnt(37)
	v_fmac_f32_e32 v30, v7, v172
	s_waitcnt vmcnt(36)
	v_fmac_f32_e32 v31, v9, v173
	v_add_f32_e32 v30, 0, v30
	s_waitcnt vmcnt(35)
	v_fmac_f32_e32 v32, v11, v174
	v_add_f32_e32 v30, v30, v31
	;; [unrolled: 3-line block ×9, first 2 shown]
	v_add_f32_e32 v34, v30, v39
	ds_read_b128 v[30:33], v4 offset:544
	s_waitcnt vmcnt(27)
	v_fmac_f32_e32 v40, v27, v182
	v_add_f32_e32 v34, v34, v40
	s_waitcnt vmcnt(26)
	v_fmac_f32_e32 v41, v29, v183
	v_add_f32_e32 v38, v34, v41
	ds_read_b128 v[34:37], v4 offset:560
	s_waitcnt vmcnt(25) lgkmcnt(1)
	v_mul_f32_e32 v39, v30, v184
	s_waitcnt vmcnt(24)
	v_fmac_f32_e32 v39, v31, v185
	v_add_f32_e32 v38, v38, v39
	s_waitcnt vmcnt(23)
	v_mul_f32_e32 v39, v32, v186
	s_waitcnt vmcnt(22)
	v_fmac_f32_e32 v39, v33, v187
	v_add_f32_e32 v38, v38, v39
	s_waitcnt vmcnt(21) lgkmcnt(0)
	v_mul_f32_e32 v39, v34, v188
	s_waitcnt vmcnt(20)
	v_fmac_f32_e32 v39, v35, v189
	v_add_f32_e32 v42, v38, v39
	ds_read_b128 v[38:41], v4 offset:576
	s_waitcnt vmcnt(19)
	v_mul_f32_e32 v43, v36, v190
	s_waitcnt vmcnt(18)
	v_fmac_f32_e32 v43, v37, v191
	v_add_f32_e32 v46, v42, v43
	ds_read_b128 v[42:45], v4 offset:592
	s_waitcnt vmcnt(17) lgkmcnt(1)
	v_mul_f32_e32 v47, v38, v192
	s_waitcnt vmcnt(16)
	v_fmac_f32_e32 v47, v39, v193
	v_add_f32_e32 v46, v46, v47
	s_waitcnt vmcnt(15)
	v_mul_f32_e32 v47, v40, v194
	s_waitcnt vmcnt(14)
	v_fmac_f32_e32 v47, v41, v195
	v_add_f32_e32 v46, v46, v47
	s_waitcnt vmcnt(13) lgkmcnt(0)
	v_mul_f32_e32 v47, v42, v196
	s_waitcnt vmcnt(12)
	v_fmac_f32_e32 v47, v43, v197
	s_waitcnt vmcnt(11)
	v_mul_f32_e32 v51, v44, v198
	v_add_f32_e32 v50, v46, v47
	s_waitcnt vmcnt(10)
	v_fmac_f32_e32 v51, v45, v199
	ds_read_b128 v[46:49], v4 offset:608
	v_add_f32_e32 v55, v50, v51
	ds_read_b128 v[50:53], v4 offset:624
	buffer_load_dword v59, off, s[0:3], 0 offset:308
	buffer_load_dword v58, off, s[0:3], 0 offset:304
	buffer_load_dword v61, off, s[0:3], 0 offset:300
	buffer_load_dword v60, off, s[0:3], 0 offset:296
	buffer_load_dword v63, off, s[0:3], 0 offset:292
	buffer_load_dword v62, off, s[0:3], 0 offset:288
	buffer_load_dword v155, off, s[0:3], 0 offset:340
	buffer_load_dword v154, off, s[0:3], 0 offset:336
	buffer_load_dword v157, off, s[0:3], 0 offset:332
	buffer_load_dword v156, off, s[0:3], 0 offset:328
	buffer_load_dword v159, off, s[0:3], 0 offset:324
	buffer_load_dword v158, off, s[0:3], 0 offset:320
	buffer_load_dword v161, off, s[0:3], 0 offset:316
	buffer_load_dword v160, off, s[0:3], 0 offset:312
	buffer_load_dword v163, off, s[0:3], 0 offset:348
	buffer_load_dword v162, off, s[0:3], 0 offset:344
	v_mul_f32_e32 v5, v7, v5
	v_fma_f32 v5, v6, v172, -v5
	v_mul_f32_e32 v6, v9, v54
	v_add_f32_e32 v5, 0, v5
	v_fma_f32 v6, v8, v173, -v6
	v_add_f32_e32 v5, v5, v6
	v_mul_f32_e32 v6, v11, v56
	v_fma_f32 v6, v10, v174, -v6
	v_add_f32_e32 v5, v5, v6
	v_mul_f32_e32 v6, v13, v64
	;; [unrolled: 3-line block ×18, first 2 shown]
	v_fma_f32 v6, v44, v199, -v6
	v_add_f32_e32 v5, v5, v6
	s_waitcnt vmcnt(23) lgkmcnt(1)
	v_mul_f32_e32 v6, v47, v200
	s_waitcnt vmcnt(22)
	v_fma_f32 v6, v46, v201, -v6
	v_add_f32_e32 v5, v5, v6
	s_waitcnt vmcnt(20)
	v_mul_f32_e32 v6, v49, v203
	v_fma_f32 v6, v48, v202, -v6
	v_add_f32_e32 v54, v5, v6
	ds_read_b128 v[6:9], v4 offset:640
	ds_read_b128 v[10:13], v4 offset:656
	;; [unrolled: 1-line block ×4, first 2 shown]
	v_mul_f32_e32 v57, v46, v200
	v_fmac_f32_e32 v57, v47, v201
	v_add_f32_e32 v55, v55, v57
	v_mul_f32_e32 v57, v48, v203
	v_fmac_f32_e32 v57, v49, v202
	v_add_f32_e32 v55, v55, v57
	s_waitcnt vmcnt(18) lgkmcnt(4)
	v_mul_f32_e32 v57, v50, v205
	v_mul_f32_e32 v5, v51, v205
	v_fmac_f32_e32 v57, v51, v204
	s_waitcnt vmcnt(16)
	v_mul_f32_e32 v65, v52, v207
	s_waitcnt vmcnt(11)
	v_mov_b32_e32 v22, v63
	s_waitcnt lgkmcnt(3)
	v_pk_mul_f32 v[22:23], v[6:7], v[22:23] op_sel_hi:[1,0]
	s_waitcnt vmcnt(10)
	v_pk_fma_f32 v[24:25], v[6:7], v[62:63], v[22:23] op_sel:[0,0,1] op_sel_hi:[1,1,0] neg_lo:[0,0,1] neg_hi:[0,0,1]
	v_pk_fma_f32 v[6:7], v[6:7], v[62:63], v[22:23] op_sel:[0,0,1] op_sel_hi:[1,0,0]
	v_mov_b32_e32 v6, v61
	v_mov_b32_e32 v25, v7
	v_pk_mul_f32 v[6:7], v[8:9], v[6:7] op_sel_hi:[1,0]
	v_pk_fma_f32 v[22:23], v[8:9], v[60:61], v[6:7] op_sel:[0,0,1] op_sel_hi:[1,1,0] neg_lo:[0,0,1] neg_hi:[0,0,1]
	v_pk_fma_f32 v[6:7], v[8:9], v[60:61], v[6:7] op_sel:[0,0,1] op_sel_hi:[1,0,0]
	v_fma_f32 v56, v50, v204, -v5
	v_mul_f32_e32 v5, v53, v207
	v_mov_b32_e32 v6, v59
	v_fmac_f32_e32 v65, v53, v206
	v_fma_f32 v64, v52, v206, -v5
	v_pk_add_f32 v[4:5], v[54:55], v[56:57]
	v_mov_b32_e32 v23, v7
	s_waitcnt lgkmcnt(2)
	v_pk_mul_f32 v[6:7], v[10:11], v[6:7] op_sel_hi:[1,0]
	v_pk_add_f32 v[4:5], v[4:5], v[64:65]
	v_pk_fma_f32 v[8:9], v[10:11], v[58:59], v[6:7] op_sel:[0,0,1] op_sel_hi:[1,1,0] neg_lo:[0,0,1] neg_hi:[0,0,1]
	v_pk_fma_f32 v[6:7], v[10:11], v[58:59], v[6:7] op_sel:[0,0,1] op_sel_hi:[1,0,0]
	v_pk_add_f32 v[4:5], v[4:5], v[24:25]
	s_waitcnt vmcnt(3)
	v_mov_b32_e32 v6, v161
	v_pk_add_f32 v[4:5], v[4:5], v[22:23]
	v_mov_b32_e32 v9, v7
	v_pk_mul_f32 v[6:7], v[12:13], v[6:7] op_sel_hi:[1,0]
	v_pk_add_f32 v[4:5], v[4:5], v[8:9]
	s_waitcnt vmcnt(2)
	v_pk_fma_f32 v[8:9], v[12:13], v[160:161], v[6:7] op_sel:[0,0,1] op_sel_hi:[1,1,0] neg_lo:[0,0,1] neg_hi:[0,0,1]
	v_pk_fma_f32 v[6:7], v[12:13], v[160:161], v[6:7] op_sel:[0,0,1] op_sel_hi:[1,0,0]
	v_mov_b32_e32 v6, v159
	v_mov_b32_e32 v9, v7
	s_waitcnt lgkmcnt(1)
	v_pk_mul_f32 v[6:7], v[14:15], v[6:7] op_sel_hi:[1,0]
	v_pk_add_f32 v[4:5], v[4:5], v[8:9]
	v_pk_fma_f32 v[8:9], v[14:15], v[158:159], v[6:7] op_sel:[0,0,1] op_sel_hi:[1,1,0] neg_lo:[0,0,1] neg_hi:[0,0,1]
	v_pk_fma_f32 v[6:7], v[14:15], v[158:159], v[6:7] op_sel:[0,0,1] op_sel_hi:[1,0,0]
	v_mov_b32_e32 v6, v157
	v_mov_b32_e32 v9, v7
	v_pk_mul_f32 v[6:7], v[16:17], v[6:7] op_sel_hi:[1,0]
	v_pk_add_f32 v[4:5], v[4:5], v[8:9]
	v_pk_fma_f32 v[8:9], v[16:17], v[156:157], v[6:7] op_sel:[0,0,1] op_sel_hi:[1,1,0] neg_lo:[0,0,1] neg_hi:[0,0,1]
	v_pk_fma_f32 v[6:7], v[16:17], v[156:157], v[6:7] op_sel:[0,0,1] op_sel_hi:[1,0,0]
	v_mov_b32_e32 v6, v155
	v_mov_b32_e32 v9, v7
	s_waitcnt lgkmcnt(0)
	v_pk_mul_f32 v[6:7], v[18:19], v[6:7] op_sel_hi:[1,0]
	v_pk_add_f32 v[4:5], v[4:5], v[8:9]
	v_pk_fma_f32 v[8:9], v[18:19], v[154:155], v[6:7] op_sel:[0,0,1] op_sel_hi:[1,1,0] neg_lo:[0,0,1] neg_hi:[0,0,1]
	v_pk_fma_f32 v[6:7], v[18:19], v[154:155], v[6:7] op_sel:[0,0,1] op_sel_hi:[1,0,0]
	s_waitcnt vmcnt(1)
	v_mov_b32_e32 v6, v163
	v_mov_b32_e32 v9, v7
	v_pk_mul_f32 v[6:7], v[20:21], v[6:7] op_sel_hi:[1,0]
	v_pk_add_f32 v[4:5], v[4:5], v[8:9]
	s_waitcnt vmcnt(0)
	v_pk_fma_f32 v[8:9], v[20:21], v[162:163], v[6:7] op_sel:[0,0,1] op_sel_hi:[1,1,0] neg_lo:[0,0,1] neg_hi:[0,0,1]
	v_pk_fma_f32 v[6:7], v[20:21], v[162:163], v[6:7] op_sel:[0,0,1] op_sel_hi:[1,0,0]
	v_mov_b32_e32 v9, v7
	v_pk_add_f32 v[4:5], v[4:5], v[8:9]
	v_pk_add_f32 v[2:3], v[2:3], v[4:5] neg_lo:[0,1] neg_hi:[0,1]
	buffer_store_dword v3, off, s[0:3], 0 offset:92
	buffer_store_dword v2, off, s[0:3], 0 offset:88
	s_and_saveexec_b64 s[4:5], vcc
	s_cbranch_execz .LBB43_257
; %bb.256:
	buffer_load_dword v2, off, s[0:3], 0 offset:80
	buffer_load_dword v3, off, s[0:3], 0 offset:84
	v_mov_b32_e32 v4, 0
	buffer_store_dword v4, off, s[0:3], 0 offset:80
	buffer_store_dword v4, off, s[0:3], 0 offset:84
	s_waitcnt vmcnt(2)
	ds_write_b64 v1, v[2:3]
.LBB43_257:
	s_or_b64 exec, exec, s[4:5]
	s_waitcnt lgkmcnt(0)
	; wave barrier
	s_waitcnt lgkmcnt(0)
	buffer_load_dword v5, off, s[0:3], 0 offset:92
	buffer_load_dword v62, off, s[0:3], 0 offset:100
	;; [unrolled: 1-line block ×52, first 2 shown]
	v_mov_b32_e32 v4, 0
	ds_read2_b64 v[6:9], v4 offset0:55 offset1:56
	ds_read2_b64 v[10:13], v4 offset0:57 offset1:58
	;; [unrolled: 1-line block ×6, first 2 shown]
	v_cmp_lt_u32_e32 vcc, 9, v0
	s_waitcnt vmcnt(51) lgkmcnt(5)
	v_mul_f32_e32 v30, v6, v5
	s_waitcnt vmcnt(50)
	v_mul_f32_e32 v31, v8, v62
	s_waitcnt vmcnt(49) lgkmcnt(4)
	v_mul_f32_e32 v32, v10, v156
	s_waitcnt vmcnt(48)
	v_mul_f32_e32 v33, v12, v158
	;; [unrolled: 4-line block ×5, first 2 shown]
	s_waitcnt vmcnt(41) lgkmcnt(0)
	v_mul_f32_e32 v40, v26, v178
	s_waitcnt vmcnt(40)
	v_fmac_f32_e32 v30, v7, v179
	s_waitcnt vmcnt(39)
	v_fmac_f32_e32 v31, v9, v180
	v_add_f32_e32 v30, 0, v30
	s_waitcnt vmcnt(38)
	v_fmac_f32_e32 v32, v11, v181
	v_add_f32_e32 v30, v30, v31
	s_waitcnt vmcnt(37)
	v_fmac_f32_e32 v33, v13, v182
	v_add_f32_e32 v30, v30, v32
	s_waitcnt vmcnt(36)
	v_fmac_f32_e32 v34, v15, v183
	v_add_f32_e32 v30, v30, v33
	s_waitcnt vmcnt(35)
	v_fmac_f32_e32 v35, v17, v184
	v_add_f32_e32 v30, v30, v34
	s_waitcnt vmcnt(34)
	v_fmac_f32_e32 v36, v19, v185
	v_add_f32_e32 v30, v30, v35
	s_waitcnt vmcnt(33)
	v_fmac_f32_e32 v37, v21, v186
	v_add_f32_e32 v30, v30, v36
	s_waitcnt vmcnt(32)
	v_fmac_f32_e32 v38, v23, v187
	v_add_f32_e32 v30, v30, v37
	s_waitcnt vmcnt(31)
	v_fmac_f32_e32 v39, v25, v188
	v_add_f32_e32 v30, v30, v38
	v_add_f32_e32 v30, v30, v39
	s_waitcnt vmcnt(30)
	v_fmac_f32_e32 v40, v27, v189
	v_add_f32_e32 v34, v30, v40
	ds_read2_b64 v[30:33], v4 offset0:67 offset1:68
	s_waitcnt vmcnt(29)
	v_mul_f32_e32 v35, v28, v190
	s_waitcnt vmcnt(28)
	v_fmac_f32_e32 v35, v29, v191
	v_add_f32_e32 v38, v34, v35
	ds_read2_b64 v[34:37], v4 offset0:69 offset1:70
	s_waitcnt vmcnt(27) lgkmcnt(1)
	v_mul_f32_e32 v39, v30, v192
	s_waitcnt vmcnt(26)
	v_fmac_f32_e32 v39, v31, v193
	v_add_f32_e32 v38, v38, v39
	s_waitcnt vmcnt(25)
	v_mul_f32_e32 v39, v32, v194
	s_waitcnt vmcnt(24)
	v_fmac_f32_e32 v39, v33, v195
	v_add_f32_e32 v38, v38, v39
	s_waitcnt vmcnt(23) lgkmcnt(0)
	v_mul_f32_e32 v39, v34, v196
	s_waitcnt vmcnt(22)
	v_fmac_f32_e32 v39, v35, v197
	v_add_f32_e32 v42, v38, v39
	ds_read2_b64 v[38:41], v4 offset0:71 offset1:72
	s_waitcnt vmcnt(21)
	v_mul_f32_e32 v43, v36, v198
	s_waitcnt vmcnt(20)
	v_fmac_f32_e32 v43, v37, v199
	v_add_f32_e32 v46, v42, v43
	ds_read2_b64 v[42:45], v4 offset0:73 offset1:74
	s_waitcnt vmcnt(19) lgkmcnt(1)
	v_mul_f32_e32 v47, v38, v200
	s_waitcnt vmcnt(18)
	v_fmac_f32_e32 v47, v39, v201
	v_add_f32_e32 v46, v46, v47
	s_waitcnt vmcnt(17)
	v_mul_f32_e32 v47, v40, v202
	s_waitcnt vmcnt(16)
	v_fmac_f32_e32 v47, v41, v203
	v_add_f32_e32 v46, v46, v47
	s_waitcnt vmcnt(14) lgkmcnt(0)
	v_mul_f32_e32 v47, v42, v205
	v_fmac_f32_e32 v47, v43, v204
	v_add_f32_e32 v50, v46, v47
	ds_read2_b64 v[46:49], v4 offset0:75 offset1:76
	s_waitcnt vmcnt(10)
	v_mul_f32_e32 v51, v44, v207
	v_fmac_f32_e32 v51, v45, v206
	v_add_f32_e32 v54, v50, v51
	ds_read2_b64 v[50:53], v4 offset0:77 offset1:78
	s_waitcnt vmcnt(8) lgkmcnt(1)
	v_mul_f32_e32 v55, v46, v209
	v_fmac_f32_e32 v55, v47, v208
	v_add_f32_e32 v54, v54, v55
	s_waitcnt vmcnt(6)
	v_mul_f32_e32 v55, v48, v211
	v_fmac_f32_e32 v55, v49, v210
	v_add_f32_e32 v54, v54, v55
	s_waitcnt vmcnt(4) lgkmcnt(0)
	v_mul_f32_e32 v55, v50, v213
	v_fmac_f32_e32 v55, v51, v212
	v_add_f32_e32 v63, v54, v55
	ds_read2_b64 v[54:57], v4 offset0:79 offset1:80
	buffer_load_dword v65, off, s[0:3], 0 offset:300
	buffer_load_dword v64, off, s[0:3], 0 offset:296
	;; [unrolled: 1-line block ×4, first 2 shown]
	ds_read2_b64 v[58:61], v4 offset0:81 offset1:82
	buffer_load_dword v161, off, s[0:3], 0 offset:332
	buffer_load_dword v160, off, s[0:3], 0 offset:328
	;; [unrolled: 1-line block ×12, first 2 shown]
	v_mul_f32_e32 v5, v7, v5
	v_fma_f32 v5, v6, v179, -v5
	v_mul_f32_e32 v6, v9, v62
	v_add_f32_e32 v5, 0, v5
	v_fma_f32 v6, v8, v180, -v6
	v_add_f32_e32 v5, v5, v6
	v_mul_f32_e32 v6, v11, v156
	v_fma_f32 v6, v10, v181, -v6
	v_add_f32_e32 v5, v5, v6
	v_mul_f32_e32 v6, v13, v158
	;; [unrolled: 3-line block ×21, first 2 shown]
	v_fma_f32 v6, v50, v212, -v6
	s_waitcnt vmcnt(18)
	v_mul_f32_e32 v157, v52, v215
	v_add_f32_e32 v62, v5, v6
	v_mul_f32_e32 v5, v53, v215
	v_fmac_f32_e32 v157, v53, v214
	s_waitcnt vmcnt(16) lgkmcnt(1)
	v_mul_f32_e32 v159, v54, v217
	v_fma_f32 v156, v52, v214, -v5
	v_mul_f32_e32 v5, v55, v217
	v_fmac_f32_e32 v159, v55, v216
	s_waitcnt vmcnt(13)
	v_mov_b32_e32 v18, v155
	v_pk_mul_f32 v[18:19], v[56:57], v[18:19] op_sel_hi:[1,0]
	s_waitcnt vmcnt(12)
	v_pk_fma_f32 v[20:21], v[56:57], v[154:155], v[18:19] op_sel:[0,0,1] op_sel_hi:[1,1,0] neg_lo:[0,0,1] neg_hi:[0,0,1]
	v_pk_fma_f32 v[18:19], v[56:57], v[154:155], v[18:19] op_sel:[0,0,1] op_sel_hi:[1,0,0]
	v_fma_f32 v158, v54, v216, -v5
	v_pk_add_f32 v[16:17], v[62:63], v[156:157]
	v_mov_b32_e32 v18, v65
	v_pk_add_f32 v[16:17], v[16:17], v[158:159]
	v_mov_b32_e32 v21, v19
	s_waitcnt lgkmcnt(0)
	v_pk_mul_f32 v[18:19], v[58:59], v[18:19] op_sel_hi:[1,0]
	v_pk_add_f32 v[16:17], v[16:17], v[20:21]
	v_pk_fma_f32 v[20:21], v[58:59], v[64:65], v[18:19] op_sel:[0,0,1] op_sel_hi:[1,1,0] neg_lo:[0,0,1] neg_hi:[0,0,1]
	v_pk_fma_f32 v[18:19], v[58:59], v[64:65], v[18:19] op_sel:[0,0,1] op_sel_hi:[1,0,0]
	s_waitcnt vmcnt(5)
	v_mov_b32_e32 v18, v167
	ds_read2_b64 v[6:9], v4 offset0:83 offset1:84
	ds_read2_b64 v[10:13], v4 offset0:85 offset1:86
	ds_read_b64 v[14:15], v4 offset:696
	v_mov_b32_e32 v21, v19
	v_pk_mul_f32 v[18:19], v[60:61], v[18:19] op_sel_hi:[1,0]
	v_pk_add_f32 v[16:17], v[16:17], v[20:21]
	s_waitcnt vmcnt(4)
	v_pk_fma_f32 v[20:21], v[60:61], v[166:167], v[18:19] op_sel:[0,0,1] op_sel_hi:[1,1,0] neg_lo:[0,0,1] neg_hi:[0,0,1]
	v_pk_fma_f32 v[18:19], v[60:61], v[166:167], v[18:19] op_sel:[0,0,1] op_sel_hi:[1,0,0]
	v_mov_b32_e32 v18, v165
	v_mov_b32_e32 v21, v19
	s_waitcnt lgkmcnt(2)
	v_pk_mul_f32 v[18:19], v[6:7], v[18:19] op_sel_hi:[1,0]
	v_pk_add_f32 v[16:17], v[16:17], v[20:21]
	v_pk_fma_f32 v[20:21], v[6:7], v[164:165], v[18:19] op_sel:[0,0,1] op_sel_hi:[1,1,0] neg_lo:[0,0,1] neg_hi:[0,0,1]
	v_pk_fma_f32 v[6:7], v[6:7], v[164:165], v[18:19] op_sel:[0,0,1] op_sel_hi:[1,0,0]
	v_mov_b32_e32 v21, v7
	v_pk_add_f32 v[6:7], v[16:17], v[20:21]
	v_mov_b32_e32 v16, v163
	v_pk_mul_f32 v[16:17], v[8:9], v[16:17] op_sel_hi:[1,0]
	v_pk_fma_f32 v[18:19], v[8:9], v[162:163], v[16:17] op_sel:[0,0,1] op_sel_hi:[1,1,0] neg_lo:[0,0,1] neg_hi:[0,0,1]
	v_pk_fma_f32 v[8:9], v[8:9], v[162:163], v[16:17] op_sel:[0,0,1] op_sel_hi:[1,0,0]
	v_mov_b32_e32 v8, v161
	v_mov_b32_e32 v19, v9
	s_waitcnt lgkmcnt(1)
	v_pk_mul_f32 v[8:9], v[10:11], v[8:9] op_sel_hi:[1,0]
	v_pk_fma_f32 v[16:17], v[10:11], v[160:161], v[8:9] op_sel:[0,0,1] op_sel_hi:[1,1,0] neg_lo:[0,0,1] neg_hi:[0,0,1]
	v_pk_fma_f32 v[8:9], v[10:11], v[160:161], v[8:9] op_sel:[0,0,1] op_sel_hi:[1,0,0]
	s_waitcnt vmcnt(1)
	v_mov_b32_e32 v8, v171
	v_mov_b32_e32 v17, v9
	v_pk_mul_f32 v[8:9], v[12:13], v[8:9] op_sel_hi:[1,0]
	s_waitcnt vmcnt(0)
	v_pk_fma_f32 v[10:11], v[12:13], v[170:171], v[8:9] op_sel:[0,0,1] op_sel_hi:[1,1,0] neg_lo:[0,0,1] neg_hi:[0,0,1]
	v_pk_fma_f32 v[8:9], v[12:13], v[170:171], v[8:9] op_sel:[0,0,1] op_sel_hi:[1,0,0]
	v_pk_add_f32 v[6:7], v[6:7], v[18:19]
	v_mov_b32_e32 v8, v169
	v_pk_add_f32 v[6:7], v[6:7], v[16:17]
	v_mov_b32_e32 v11, v9
	s_waitcnt lgkmcnt(0)
	v_pk_mul_f32 v[8:9], v[14:15], v[8:9] op_sel_hi:[1,0]
	v_pk_add_f32 v[6:7], v[6:7], v[10:11]
	v_pk_fma_f32 v[10:11], v[14:15], v[168:169], v[8:9] op_sel:[0,0,1] op_sel_hi:[1,1,0] neg_lo:[0,0,1] neg_hi:[0,0,1]
	v_pk_fma_f32 v[8:9], v[14:15], v[168:169], v[8:9] op_sel:[0,0,1] op_sel_hi:[1,0,0]
	v_mov_b32_e32 v11, v9
	v_pk_add_f32 v[6:7], v[6:7], v[10:11]
	v_pk_add_f32 v[2:3], v[2:3], v[6:7] neg_lo:[0,1] neg_hi:[0,1]
	buffer_store_dword v3, off, s[0:3], 0 offset:84
	buffer_store_dword v2, off, s[0:3], 0 offset:80
	s_and_saveexec_b64 s[4:5], vcc
	s_cbranch_execz .LBB43_259
; %bb.258:
	buffer_load_dword v2, off, s[0:3], 0 offset:72
	buffer_load_dword v3, off, s[0:3], 0 offset:76
	s_waitcnt vmcnt(0)
	ds_write_b64 v1, v[2:3]
	buffer_store_dword v4, off, s[0:3], 0 offset:72
	buffer_store_dword v4, off, s[0:3], 0 offset:76
.LBB43_259:
	s_or_b64 exec, exec, s[4:5]
	s_waitcnt lgkmcnt(0)
	; wave barrier
	s_waitcnt lgkmcnt(0)
	buffer_load_dword v5, off, s[0:3], 0 offset:84
	buffer_load_dword v64, off, s[0:3], 0 offset:92
	;; [unrolled: 1-line block ×42, first 2 shown]
	ds_read_b128 v[6:9], v4 offset:432
	ds_read_b128 v[10:13], v4 offset:448
	buffer_load_dword v208, off, s[0:3], 0 offset:240
	buffer_load_dword v209, off, s[0:3], 0 offset:244
	ds_read_b128 v[14:17], v4 offset:464
	ds_read_b128 v[18:21], v4 offset:480
	buffer_load_dword v210, off, s[0:3], 0 offset:248
	buffer_load_dword v211, off, s[0:3], 0 offset:252
	buffer_load_dword v212, off, s[0:3], 0 offset:256
	buffer_load_dword v213, off, s[0:3], 0 offset:260
	ds_read_b128 v[22:25], v4 offset:496
	ds_read_b128 v[26:29], v4 offset:512
	buffer_load_dword v214, off, s[0:3], 0 offset:264
	buffer_load_dword v215, off, s[0:3], 0 offset:268
	;; [unrolled: 1-line block ×6, first 2 shown]
	v_cmp_lt_u32_e32 vcc, 8, v0
	s_waitcnt vmcnt(53) lgkmcnt(5)
	v_mul_f32_e32 v30, v6, v5
	s_waitcnt vmcnt(52)
	v_mul_f32_e32 v31, v8, v64
	s_waitcnt vmcnt(51) lgkmcnt(4)
	v_mul_f32_e32 v32, v10, v154
	s_waitcnt vmcnt(50)
	v_mul_f32_e32 v33, v12, v156
	;; [unrolled: 4-line block ×5, first 2 shown]
	s_waitcnt vmcnt(43)
	v_fmac_f32_e32 v30, v7, v178
	s_waitcnt vmcnt(42)
	v_fmac_f32_e32 v31, v9, v179
	v_add_f32_e32 v30, 0, v30
	s_waitcnt vmcnt(41)
	v_fmac_f32_e32 v32, v11, v180
	v_add_f32_e32 v30, v30, v31
	;; [unrolled: 3-line block ×9, first 2 shown]
	s_waitcnt vmcnt(33) lgkmcnt(0)
	v_mul_f32_e32 v31, v26, v188
	v_add_f32_e32 v30, v30, v39
	s_waitcnt vmcnt(32)
	v_fmac_f32_e32 v31, v27, v189
	v_add_f32_e32 v34, v30, v31
	ds_read_b128 v[30:33], v4 offset:528
	s_waitcnt vmcnt(31)
	v_mul_f32_e32 v35, v28, v190
	s_waitcnt vmcnt(30)
	v_fmac_f32_e32 v35, v29, v191
	v_add_f32_e32 v38, v34, v35
	ds_read_b128 v[34:37], v4 offset:544
	s_waitcnt vmcnt(29) lgkmcnt(1)
	v_mul_f32_e32 v39, v30, v192
	s_waitcnt vmcnt(28)
	v_fmac_f32_e32 v39, v31, v193
	v_add_f32_e32 v38, v38, v39
	s_waitcnt vmcnt(27)
	v_mul_f32_e32 v39, v32, v194
	s_waitcnt vmcnt(26)
	v_fmac_f32_e32 v39, v33, v195
	v_add_f32_e32 v38, v38, v39
	s_waitcnt vmcnt(25) lgkmcnt(0)
	v_mul_f32_e32 v39, v34, v196
	s_waitcnt vmcnt(24)
	v_fmac_f32_e32 v39, v35, v197
	v_add_f32_e32 v42, v38, v39
	ds_read_b128 v[38:41], v4 offset:560
	s_waitcnt vmcnt(23)
	v_mul_f32_e32 v43, v36, v198
	s_waitcnt vmcnt(22)
	v_fmac_f32_e32 v43, v37, v199
	v_add_f32_e32 v46, v42, v43
	ds_read_b128 v[42:45], v4 offset:576
	s_waitcnt vmcnt(21) lgkmcnt(1)
	v_mul_f32_e32 v47, v38, v200
	s_waitcnt vmcnt(20)
	v_fmac_f32_e32 v47, v39, v201
	v_add_f32_e32 v46, v46, v47
	s_waitcnt vmcnt(18)
	v_mul_f32_e32 v47, v40, v203
	v_fmac_f32_e32 v47, v41, v202
	v_add_f32_e32 v46, v46, v47
	s_waitcnt vmcnt(15) lgkmcnt(0)
	v_mul_f32_e32 v47, v42, v204
	s_waitcnt vmcnt(14)
	v_fmac_f32_e32 v47, v43, v205
	v_add_f32_e32 v50, v46, v47
	ds_read_b128 v[46:49], v4 offset:592
	s_waitcnt vmcnt(12)
	v_mul_f32_e32 v51, v44, v207
	v_fmac_f32_e32 v51, v45, v206
	v_add_f32_e32 v54, v50, v51
	ds_read_b128 v[50:53], v4 offset:608
	buffer_load_dword v63, off, s[0:3], 0 offset:292
	buffer_load_dword v62, off, s[0:3], 0 offset:288
	s_waitcnt vmcnt(12) lgkmcnt(1)
	v_mul_f32_e32 v55, v46, v209
	v_fmac_f32_e32 v55, v47, v208
	v_add_f32_e32 v54, v54, v55
	s_waitcnt vmcnt(10)
	v_mul_f32_e32 v55, v48, v211
	v_fmac_f32_e32 v55, v49, v210
	v_add_f32_e32 v54, v54, v55
	s_waitcnt vmcnt(8) lgkmcnt(0)
	v_mul_f32_e32 v55, v50, v213
	v_fmac_f32_e32 v55, v51, v212
	s_waitcnt vmcnt(6)
	v_mul_f32_e32 v59, v52, v215
	v_add_f32_e32 v58, v54, v55
	v_fmac_f32_e32 v59, v53, v214
	ds_read_b128 v[54:57], v4 offset:624
	v_add_f32_e32 v65, v58, v59
	ds_read_b128 v[58:61], v4 offset:640
	buffer_load_dword v159, off, s[0:3], 0 offset:324
	buffer_load_dword v158, off, s[0:3], 0 offset:320
	;; [unrolled: 1-line block ×14, first 2 shown]
	v_mul_f32_e32 v5, v7, v5
	v_fma_f32 v5, v6, v178, -v5
	v_mul_f32_e32 v6, v9, v64
	v_add_f32_e32 v5, 0, v5
	v_fma_f32 v6, v8, v179, -v6
	v_add_f32_e32 v5, v5, v6
	v_mul_f32_e32 v6, v11, v154
	v_fma_f32 v6, v10, v180, -v6
	v_add_f32_e32 v5, v5, v6
	v_mul_f32_e32 v6, v13, v156
	v_fma_f32 v6, v12, v181, -v6
	v_add_f32_e32 v5, v5, v6
	v_mul_f32_e32 v6, v15, v172
	v_fma_f32 v6, v14, v182, -v6
	v_add_f32_e32 v5, v5, v6
	v_mul_f32_e32 v6, v17, v173
	v_fma_f32 v6, v16, v183, -v6
	v_add_f32_e32 v5, v5, v6
	v_mul_f32_e32 v6, v19, v174
	v_fma_f32 v6, v18, v184, -v6
	v_add_f32_e32 v5, v5, v6
	v_mul_f32_e32 v6, v21, v175
	v_fma_f32 v6, v20, v185, -v6
	v_add_f32_e32 v5, v5, v6
	v_mul_f32_e32 v6, v23, v176
	v_fma_f32 v6, v22, v186, -v6
	v_add_f32_e32 v5, v5, v6
	v_mul_f32_e32 v6, v25, v177
	v_fma_f32 v6, v24, v187, -v6
	v_add_f32_e32 v5, v5, v6
	v_mul_f32_e32 v6, v27, v188
	v_fma_f32 v6, v26, v189, -v6
	v_add_f32_e32 v5, v5, v6
	v_mul_f32_e32 v6, v29, v190
	v_fma_f32 v6, v28, v191, -v6
	v_add_f32_e32 v5, v5, v6
	v_mul_f32_e32 v6, v31, v192
	v_fma_f32 v6, v30, v193, -v6
	v_add_f32_e32 v5, v5, v6
	v_mul_f32_e32 v6, v33, v194
	v_fma_f32 v6, v32, v195, -v6
	v_add_f32_e32 v5, v5, v6
	v_mul_f32_e32 v6, v35, v196
	v_fma_f32 v6, v34, v197, -v6
	v_add_f32_e32 v5, v5, v6
	v_mul_f32_e32 v6, v37, v198
	v_fma_f32 v6, v36, v199, -v6
	v_add_f32_e32 v5, v5, v6
	v_mul_f32_e32 v6, v39, v200
	v_fma_f32 v6, v38, v201, -v6
	v_add_f32_e32 v5, v5, v6
	v_mul_f32_e32 v6, v41, v203
	v_fma_f32 v6, v40, v202, -v6
	v_add_f32_e32 v5, v5, v6
	v_mul_f32_e32 v6, v43, v204
	v_fma_f32 v6, v42, v205, -v6
	v_add_f32_e32 v5, v5, v6
	v_mul_f32_e32 v6, v45, v207
	v_fma_f32 v6, v44, v206, -v6
	v_add_f32_e32 v5, v5, v6
	v_mul_f32_e32 v6, v47, v209
	v_fma_f32 v6, v46, v208, -v6
	v_add_f32_e32 v5, v5, v6
	v_mul_f32_e32 v6, v49, v211
	v_fma_f32 v6, v48, v210, -v6
	v_add_f32_e32 v5, v5, v6
	v_mul_f32_e32 v6, v51, v213
	v_fma_f32 v6, v50, v212, -v6
	v_add_f32_e32 v5, v5, v6
	v_mul_f32_e32 v6, v53, v215
	v_fma_f32 v6, v52, v214, -v6
	s_waitcnt vmcnt(15)
	v_mov_b32_e32 v18, v63
	s_waitcnt lgkmcnt(1)
	v_mul_f32_e32 v155, v54, v217
	v_add_f32_e32 v64, v5, v6
	v_mul_f32_e32 v5, v55, v217
	s_waitcnt lgkmcnt(0)
	v_pk_mul_f32 v[18:19], v[58:59], v[18:19] op_sel_hi:[1,0]
	v_fmac_f32_e32 v155, v55, v216
	v_mul_f32_e32 v157, v56, v219
	v_fma_f32 v154, v54, v216, -v5
	v_mul_f32_e32 v5, v57, v219
	s_waitcnt vmcnt(14)
	v_pk_fma_f32 v[20:21], v[58:59], v[62:63], v[18:19] op_sel:[0,0,1] op_sel_hi:[1,1,0] neg_lo:[0,0,1] neg_hi:[0,0,1]
	v_pk_fma_f32 v[18:19], v[58:59], v[62:63], v[18:19] op_sel:[0,0,1] op_sel_hi:[1,0,0]
	v_fmac_f32_e32 v157, v57, v218
	v_fma_f32 v156, v56, v218, -v5
	ds_read_b128 v[6:9], v4 offset:656
	ds_read_b128 v[10:13], v4 offset:672
	;; [unrolled: 1-line block ×3, first 2 shown]
	v_pk_add_f32 v[4:5], v[64:65], v[154:155]
	s_waitcnt vmcnt(7)
	v_mov_b32_e32 v18, v165
	v_pk_add_f32 v[4:5], v[4:5], v[156:157]
	v_mov_b32_e32 v21, v19
	v_pk_mul_f32 v[18:19], v[60:61], v[18:19] op_sel_hi:[1,0]
	v_pk_add_f32 v[4:5], v[4:5], v[20:21]
	s_waitcnt vmcnt(6)
	v_pk_fma_f32 v[20:21], v[60:61], v[164:165], v[18:19] op_sel:[0,0,1] op_sel_hi:[1,1,0] neg_lo:[0,0,1] neg_hi:[0,0,1]
	v_pk_fma_f32 v[18:19], v[60:61], v[164:165], v[18:19] op_sel:[0,0,1] op_sel_hi:[1,0,0]
	v_mov_b32_e32 v18, v163
	v_mov_b32_e32 v21, v19
	s_waitcnt lgkmcnt(2)
	v_pk_mul_f32 v[18:19], v[6:7], v[18:19] op_sel_hi:[1,0]
	v_pk_add_f32 v[4:5], v[4:5], v[20:21]
	v_pk_fma_f32 v[20:21], v[6:7], v[162:163], v[18:19] op_sel:[0,0,1] op_sel_hi:[1,1,0] neg_lo:[0,0,1] neg_hi:[0,0,1]
	v_pk_fma_f32 v[6:7], v[6:7], v[162:163], v[18:19] op_sel:[0,0,1] op_sel_hi:[1,0,0]
	v_mov_b32_e32 v6, v161
	v_mov_b32_e32 v21, v7
	v_pk_mul_f32 v[6:7], v[8:9], v[6:7] op_sel_hi:[1,0]
	v_pk_fma_f32 v[18:19], v[8:9], v[160:161], v[6:7] op_sel:[0,0,1] op_sel_hi:[1,1,0] neg_lo:[0,0,1] neg_hi:[0,0,1]
	v_pk_fma_f32 v[6:7], v[8:9], v[160:161], v[6:7] op_sel:[0,0,1] op_sel_hi:[1,0,0]
	v_mov_b32_e32 v6, v159
	v_mov_b32_e32 v19, v7
	s_waitcnt lgkmcnt(1)
	v_pk_mul_f32 v[6:7], v[10:11], v[6:7] op_sel_hi:[1,0]
	v_pk_fma_f32 v[8:9], v[10:11], v[158:159], v[6:7] op_sel:[0,0,1] op_sel_hi:[1,1,0] neg_lo:[0,0,1] neg_hi:[0,0,1]
	v_pk_fma_f32 v[6:7], v[10:11], v[158:159], v[6:7] op_sel:[0,0,1] op_sel_hi:[1,0,0]
	v_pk_add_f32 v[4:5], v[4:5], v[20:21]
	s_waitcnt vmcnt(1)
	v_mov_b32_e32 v6, v171
	v_pk_add_f32 v[4:5], v[4:5], v[18:19]
	v_mov_b32_e32 v9, v7
	v_pk_mul_f32 v[6:7], v[12:13], v[6:7] op_sel_hi:[1,0]
	v_pk_add_f32 v[4:5], v[4:5], v[8:9]
	s_waitcnt vmcnt(0)
	v_pk_fma_f32 v[8:9], v[12:13], v[170:171], v[6:7] op_sel:[0,0,1] op_sel_hi:[1,1,0] neg_lo:[0,0,1] neg_hi:[0,0,1]
	v_pk_fma_f32 v[6:7], v[12:13], v[170:171], v[6:7] op_sel:[0,0,1] op_sel_hi:[1,0,0]
	v_mov_b32_e32 v6, v169
	v_mov_b32_e32 v9, v7
	s_waitcnt lgkmcnt(0)
	v_pk_mul_f32 v[6:7], v[14:15], v[6:7] op_sel_hi:[1,0]
	v_pk_add_f32 v[4:5], v[4:5], v[8:9]
	v_pk_fma_f32 v[8:9], v[14:15], v[168:169], v[6:7] op_sel:[0,0,1] op_sel_hi:[1,1,0] neg_lo:[0,0,1] neg_hi:[0,0,1]
	v_pk_fma_f32 v[6:7], v[14:15], v[168:169], v[6:7] op_sel:[0,0,1] op_sel_hi:[1,0,0]
	v_mov_b32_e32 v6, v167
	v_mov_b32_e32 v9, v7
	v_pk_mul_f32 v[6:7], v[16:17], v[6:7] op_sel_hi:[1,0]
	v_pk_add_f32 v[4:5], v[4:5], v[8:9]
	v_pk_fma_f32 v[8:9], v[16:17], v[166:167], v[6:7] op_sel:[0,0,1] op_sel_hi:[1,1,0] neg_lo:[0,0,1] neg_hi:[0,0,1]
	v_pk_fma_f32 v[6:7], v[16:17], v[166:167], v[6:7] op_sel:[0,0,1] op_sel_hi:[1,0,0]
	v_mov_b32_e32 v9, v7
	v_pk_add_f32 v[4:5], v[4:5], v[8:9]
	v_pk_add_f32 v[2:3], v[2:3], v[4:5] neg_lo:[0,1] neg_hi:[0,1]
	buffer_store_dword v3, off, s[0:3], 0 offset:76
	buffer_store_dword v2, off, s[0:3], 0 offset:72
	s_and_saveexec_b64 s[4:5], vcc
	s_cbranch_execz .LBB43_261
; %bb.260:
	buffer_load_dword v2, off, s[0:3], 0 offset:64
	buffer_load_dword v3, off, s[0:3], 0 offset:68
	v_mov_b32_e32 v4, 0
	buffer_store_dword v4, off, s[0:3], 0 offset:64
	buffer_store_dword v4, off, s[0:3], 0 offset:68
	s_waitcnt vmcnt(2)
	ds_write_b64 v1, v[2:3]
.LBB43_261:
	s_or_b64 exec, exec, s[4:5]
	s_waitcnt lgkmcnt(0)
	; wave barrier
	s_waitcnt lgkmcnt(0)
	buffer_load_dword v5, off, s[0:3], 0 offset:76
	buffer_load_dword v62, off, s[0:3], 0 offset:84
	;; [unrolled: 1-line block ×56, first 2 shown]
	v_mov_b32_e32 v4, 0
	ds_read2_b64 v[6:9], v4 offset0:53 offset1:54
	ds_read2_b64 v[10:13], v4 offset0:55 offset1:56
	;; [unrolled: 1-line block ×6, first 2 shown]
	v_cmp_lt_u32_e32 vcc, 7, v0
	s_waitcnt vmcnt(55) lgkmcnt(5)
	v_mul_f32_e32 v30, v6, v5
	s_waitcnt vmcnt(54)
	v_mul_f32_e32 v31, v8, v62
	s_waitcnt vmcnt(53) lgkmcnt(4)
	v_mul_f32_e32 v32, v10, v64
	s_waitcnt vmcnt(52)
	v_mul_f32_e32 v33, v12, v154
	;; [unrolled: 4-line block ×4, first 2 shown]
	s_waitcnt vmcnt(47) lgkmcnt(1)
	v_mul_f32_e32 v38, v22, v176
	s_waitcnt vmcnt(46)
	v_fmac_f32_e32 v30, v7, v177
	s_waitcnt vmcnt(45)
	v_fmac_f32_e32 v31, v9, v178
	v_add_f32_e32 v30, 0, v30
	s_waitcnt vmcnt(44)
	v_fmac_f32_e32 v32, v11, v179
	v_add_f32_e32 v30, v30, v31
	;; [unrolled: 3-line block ×7, first 2 shown]
	v_add_f32_e32 v30, v30, v37
	s_waitcnt vmcnt(38)
	v_fmac_f32_e32 v38, v23, v185
	s_waitcnt vmcnt(37)
	v_mul_f32_e32 v31, v24, v186
	v_add_f32_e32 v30, v30, v38
	s_waitcnt vmcnt(36)
	v_fmac_f32_e32 v31, v25, v187
	v_add_f32_e32 v30, v30, v31
	s_waitcnt vmcnt(35) lgkmcnt(0)
	v_mul_f32_e32 v31, v26, v188
	s_waitcnt vmcnt(34)
	v_fmac_f32_e32 v31, v27, v189
	v_add_f32_e32 v34, v30, v31
	ds_read2_b64 v[30:33], v4 offset0:65 offset1:66
	s_waitcnt vmcnt(33)
	v_mul_f32_e32 v35, v28, v190
	s_waitcnt vmcnt(32)
	v_fmac_f32_e32 v35, v29, v191
	v_add_f32_e32 v38, v34, v35
	ds_read2_b64 v[34:37], v4 offset0:67 offset1:68
	s_waitcnt vmcnt(31) lgkmcnt(1)
	v_mul_f32_e32 v39, v30, v192
	s_waitcnt vmcnt(30)
	v_fmac_f32_e32 v39, v31, v193
	v_add_f32_e32 v38, v38, v39
	s_waitcnt vmcnt(29)
	v_mul_f32_e32 v39, v32, v194
	s_waitcnt vmcnt(28)
	v_fmac_f32_e32 v39, v33, v195
	v_add_f32_e32 v38, v38, v39
	s_waitcnt vmcnt(27) lgkmcnt(0)
	v_mul_f32_e32 v39, v34, v196
	s_waitcnt vmcnt(26)
	v_fmac_f32_e32 v39, v35, v197
	v_add_f32_e32 v42, v38, v39
	ds_read2_b64 v[38:41], v4 offset0:69 offset1:70
	s_waitcnt vmcnt(24)
	v_mul_f32_e32 v43, v36, v199
	v_fmac_f32_e32 v43, v37, v198
	v_add_f32_e32 v46, v42, v43
	ds_read2_b64 v[42:45], v4 offset0:71 offset1:72
	s_waitcnt vmcnt(20) lgkmcnt(1)
	v_mul_f32_e32 v47, v38, v201
	v_fmac_f32_e32 v47, v39, v200
	v_add_f32_e32 v46, v46, v47
	s_waitcnt vmcnt(18)
	v_mul_f32_e32 v47, v40, v203
	v_fmac_f32_e32 v47, v41, v202
	v_add_f32_e32 v46, v46, v47
	s_waitcnt vmcnt(16) lgkmcnt(0)
	v_mul_f32_e32 v47, v42, v205
	v_fmac_f32_e32 v47, v43, v204
	v_add_f32_e32 v50, v46, v47
	ds_read2_b64 v[46:49], v4 offset0:73 offset1:74
	s_waitcnt vmcnt(14)
	v_mul_f32_e32 v51, v44, v207
	v_fmac_f32_e32 v51, v45, v206
	v_add_f32_e32 v54, v50, v51
	ds_read2_b64 v[50:53], v4 offset0:75 offset1:76
	s_waitcnt vmcnt(12) lgkmcnt(1)
	v_mul_f32_e32 v55, v46, v209
	v_fmac_f32_e32 v55, v47, v208
	v_add_f32_e32 v54, v54, v55
	s_waitcnt vmcnt(10)
	v_mul_f32_e32 v55, v48, v211
	v_fmac_f32_e32 v55, v49, v210
	v_add_f32_e32 v54, v54, v55
	s_waitcnt vmcnt(8) lgkmcnt(0)
	v_mul_f32_e32 v55, v50, v213
	v_fmac_f32_e32 v55, v51, v212
	s_waitcnt vmcnt(6)
	v_mul_f32_e32 v59, v52, v215
	v_add_f32_e32 v58, v54, v55
	v_fmac_f32_e32 v59, v53, v214
	ds_read2_b64 v[54:57], v4 offset0:77 offset1:78
	v_add_f32_e32 v63, v58, v59
	ds_read2_b64 v[58:61], v4 offset0:79 offset1:80
	buffer_load_dword v157, off, s[0:3], 0 offset:316
	buffer_load_dword v156, off, s[0:3], 0 offset:312
	;; [unrolled: 1-line block ×16, first 2 shown]
	v_mul_f32_e32 v5, v7, v5
	v_fma_f32 v5, v6, v177, -v5
	v_mul_f32_e32 v6, v9, v62
	v_add_f32_e32 v5, 0, v5
	v_fma_f32 v6, v8, v178, -v6
	v_add_f32_e32 v5, v5, v6
	v_mul_f32_e32 v6, v11, v64
	v_fma_f32 v6, v10, v179, -v6
	v_add_f32_e32 v5, v5, v6
	v_mul_f32_e32 v6, v13, v154
	;; [unrolled: 3-line block ×22, first 2 shown]
	v_fma_f32 v6, v52, v214, -v6
	s_waitcnt vmcnt(20) lgkmcnt(1)
	v_mul_f32_e32 v65, v54, v217
	v_add_f32_e32 v5, v5, v6
	v_mul_f32_e32 v6, v55, v217
	v_fmac_f32_e32 v65, v55, v216
	v_fma_f32 v6, v54, v216, -v6
	s_waitcnt vmcnt(9)
	v_mov_b32_e32 v22, v163
	v_add_f32_e32 v63, v63, v65
	v_mul_f32_e32 v65, v56, v219
	v_add_f32_e32 v62, v5, v6
	v_mul_f32_e32 v5, v57, v219
	s_waitcnt lgkmcnt(0)
	v_pk_mul_f32 v[22:23], v[60:61], v[22:23] op_sel_hi:[1,0]
	v_fmac_f32_e32 v65, v57, v218
	v_mul_f32_e32 v155, v58, v221
	v_fma_f32 v64, v56, v218, -v5
	v_mul_f32_e32 v5, v59, v221
	ds_read2_b64 v[6:9], v4 offset0:81 offset1:82
	ds_read2_b64 v[10:13], v4 offset0:83 offset1:84
	;; [unrolled: 1-line block ×3, first 2 shown]
	ds_read_b64 v[18:19], v4 offset:696
	s_waitcnt vmcnt(8)
	v_pk_fma_f32 v[24:25], v[60:61], v[162:163], v[22:23] op_sel:[0,0,1] op_sel_hi:[1,1,0] neg_lo:[0,0,1] neg_hi:[0,0,1]
	v_pk_fma_f32 v[22:23], v[60:61], v[162:163], v[22:23] op_sel:[0,0,1] op_sel_hi:[1,0,0]
	v_fmac_f32_e32 v155, v59, v220
	v_fma_f32 v154, v58, v220, -v5
	v_pk_add_f32 v[20:21], v[62:63], v[64:65]
	v_mov_b32_e32 v22, v161
	v_pk_add_f32 v[20:21], v[20:21], v[154:155]
	v_mov_b32_e32 v25, v23
	s_waitcnt lgkmcnt(3)
	v_pk_mul_f32 v[22:23], v[6:7], v[22:23] op_sel_hi:[1,0]
	v_pk_add_f32 v[20:21], v[20:21], v[24:25]
	v_pk_fma_f32 v[24:25], v[6:7], v[160:161], v[22:23] op_sel:[0,0,1] op_sel_hi:[1,1,0] neg_lo:[0,0,1] neg_hi:[0,0,1]
	v_pk_fma_f32 v[6:7], v[6:7], v[160:161], v[22:23] op_sel:[0,0,1] op_sel_hi:[1,0,0]
	v_mov_b32_e32 v25, v7
	v_pk_add_f32 v[6:7], v[20:21], v[24:25]
	v_mov_b32_e32 v20, v159
	v_pk_mul_f32 v[20:21], v[8:9], v[20:21] op_sel_hi:[1,0]
	v_pk_fma_f32 v[22:23], v[8:9], v[158:159], v[20:21] op_sel:[0,0,1] op_sel_hi:[1,1,0] neg_lo:[0,0,1] neg_hi:[0,0,1]
	v_pk_fma_f32 v[8:9], v[8:9], v[158:159], v[20:21] op_sel:[0,0,1] op_sel_hi:[1,0,0]
	v_mov_b32_e32 v8, v157
	v_mov_b32_e32 v23, v9
	s_waitcnt lgkmcnt(2)
	v_pk_mul_f32 v[8:9], v[10:11], v[8:9] op_sel_hi:[1,0]
	v_pk_fma_f32 v[20:21], v[10:11], v[156:157], v[8:9] op_sel:[0,0,1] op_sel_hi:[1,1,0] neg_lo:[0,0,1] neg_hi:[0,0,1]
	v_pk_fma_f32 v[8:9], v[10:11], v[156:157], v[8:9] op_sel:[0,0,1] op_sel_hi:[1,0,0]
	s_waitcnt vmcnt(1)
	v_mov_b32_e32 v8, v171
	v_mov_b32_e32 v21, v9
	v_pk_mul_f32 v[8:9], v[12:13], v[8:9] op_sel_hi:[1,0]
	s_waitcnt vmcnt(0)
	v_pk_fma_f32 v[10:11], v[12:13], v[170:171], v[8:9] op_sel:[0,0,1] op_sel_hi:[1,1,0] neg_lo:[0,0,1] neg_hi:[0,0,1]
	v_pk_fma_f32 v[8:9], v[12:13], v[170:171], v[8:9] op_sel:[0,0,1] op_sel_hi:[1,0,0]
	v_pk_add_f32 v[6:7], v[6:7], v[22:23]
	v_mov_b32_e32 v8, v169
	v_pk_add_f32 v[6:7], v[6:7], v[20:21]
	v_mov_b32_e32 v11, v9
	s_waitcnt lgkmcnt(1)
	v_pk_mul_f32 v[8:9], v[14:15], v[8:9] op_sel_hi:[1,0]
	v_pk_add_f32 v[6:7], v[6:7], v[10:11]
	v_pk_fma_f32 v[10:11], v[14:15], v[168:169], v[8:9] op_sel:[0,0,1] op_sel_hi:[1,1,0] neg_lo:[0,0,1] neg_hi:[0,0,1]
	v_pk_fma_f32 v[8:9], v[14:15], v[168:169], v[8:9] op_sel:[0,0,1] op_sel_hi:[1,0,0]
	v_mov_b32_e32 v8, v167
	v_mov_b32_e32 v11, v9
	v_pk_mul_f32 v[8:9], v[16:17], v[8:9] op_sel_hi:[1,0]
	v_pk_add_f32 v[6:7], v[6:7], v[10:11]
	v_pk_fma_f32 v[10:11], v[16:17], v[166:167], v[8:9] op_sel:[0,0,1] op_sel_hi:[1,1,0] neg_lo:[0,0,1] neg_hi:[0,0,1]
	v_pk_fma_f32 v[8:9], v[16:17], v[166:167], v[8:9] op_sel:[0,0,1] op_sel_hi:[1,0,0]
	v_mov_b32_e32 v8, v165
	v_mov_b32_e32 v11, v9
	s_waitcnt lgkmcnt(0)
	v_pk_mul_f32 v[8:9], v[18:19], v[8:9] op_sel_hi:[1,0]
	v_pk_add_f32 v[6:7], v[6:7], v[10:11]
	v_pk_fma_f32 v[10:11], v[18:19], v[164:165], v[8:9] op_sel:[0,0,1] op_sel_hi:[1,1,0] neg_lo:[0,0,1] neg_hi:[0,0,1]
	v_pk_fma_f32 v[8:9], v[18:19], v[164:165], v[8:9] op_sel:[0,0,1] op_sel_hi:[1,0,0]
	v_mov_b32_e32 v11, v9
	v_pk_add_f32 v[6:7], v[6:7], v[10:11]
	v_pk_add_f32 v[2:3], v[2:3], v[6:7] neg_lo:[0,1] neg_hi:[0,1]
	buffer_store_dword v3, off, s[0:3], 0 offset:68
	buffer_store_dword v2, off, s[0:3], 0 offset:64
	s_and_saveexec_b64 s[4:5], vcc
	s_cbranch_execz .LBB43_263
; %bb.262:
	buffer_load_dword v2, off, s[0:3], 0 offset:56
	buffer_load_dword v3, off, s[0:3], 0 offset:60
	s_waitcnt vmcnt(0)
	ds_write_b64 v1, v[2:3]
	buffer_store_dword v4, off, s[0:3], 0 offset:56
	buffer_store_dword v4, off, s[0:3], 0 offset:60
.LBB43_263:
	s_or_b64 exec, exec, s[4:5]
	s_waitcnt lgkmcnt(0)
	; wave barrier
	s_waitcnt lgkmcnt(0)
	buffer_load_dword v5, off, s[0:3], 0 offset:68
	buffer_load_dword v62, off, s[0:3], 0 offset:76
	;; [unrolled: 1-line block ×36, first 2 shown]
	ds_read_b128 v[6:9], v4 offset:416
	ds_read_b128 v[10:13], v4 offset:432
	buffer_load_dword v202, off, s[0:3], 0 offset:200
	buffer_load_dword v203, off, s[0:3], 0 offset:204
	buffer_load_dword v204, off, s[0:3], 0 offset:208
	buffer_load_dword v205, off, s[0:3], 0 offset:212
	ds_read_b128 v[14:17], v4 offset:448
	ds_read_b128 v[18:21], v4 offset:464
	buffer_load_dword v206, off, s[0:3], 0 offset:216
	buffer_load_dword v207, off, s[0:3], 0 offset:220
	ds_read_b128 v[22:25], v4 offset:480
	ds_read_b128 v[26:29], v4 offset:496
	buffer_load_dword v208, off, s[0:3], 0 offset:224
	buffer_load_dword v209, off, s[0:3], 0 offset:228
	;; [unrolled: 1-line block ×16, first 2 shown]
	v_cmp_lt_u32_e32 vcc, 6, v0
	s_waitcnt vmcnt(57) lgkmcnt(5)
	v_mul_f32_e32 v30, v6, v5
	s_waitcnt vmcnt(56)
	v_mul_f32_e32 v31, v8, v62
	s_waitcnt vmcnt(55) lgkmcnt(4)
	v_mul_f32_e32 v32, v10, v64
	s_waitcnt vmcnt(54)
	v_mul_f32_e32 v33, v12, v160
	;; [unrolled: 4-line block ×4, first 2 shown]
	s_waitcnt vmcnt(49)
	v_fmac_f32_e32 v30, v7, v176
	s_waitcnt vmcnt(48)
	v_fmac_f32_e32 v31, v9, v177
	v_add_f32_e32 v30, 0, v30
	s_waitcnt vmcnt(47)
	v_fmac_f32_e32 v32, v11, v178
	v_add_f32_e32 v30, v30, v31
	;; [unrolled: 3-line block ×7, first 2 shown]
	s_waitcnt vmcnt(41) lgkmcnt(1)
	v_mul_f32_e32 v31, v22, v184
	v_add_f32_e32 v30, v30, v37
	s_waitcnt vmcnt(40)
	v_fmac_f32_e32 v31, v23, v185
	v_add_f32_e32 v30, v30, v31
	s_waitcnt vmcnt(39)
	v_mul_f32_e32 v31, v24, v186
	s_waitcnt vmcnt(38)
	v_fmac_f32_e32 v31, v25, v187
	v_add_f32_e32 v30, v30, v31
	s_waitcnt vmcnt(37) lgkmcnt(0)
	v_mul_f32_e32 v31, v26, v188
	s_waitcnt vmcnt(36)
	v_fmac_f32_e32 v31, v27, v189
	v_add_f32_e32 v34, v30, v31
	ds_read_b128 v[30:33], v4 offset:512
	s_waitcnt vmcnt(35)
	v_mul_f32_e32 v35, v28, v190
	s_waitcnt vmcnt(34)
	v_fmac_f32_e32 v35, v29, v191
	v_add_f32_e32 v38, v34, v35
	ds_read_b128 v[34:37], v4 offset:528
	s_waitcnt vmcnt(33) lgkmcnt(1)
	v_mul_f32_e32 v39, v30, v192
	s_waitcnt vmcnt(32)
	v_fmac_f32_e32 v39, v31, v193
	v_add_f32_e32 v38, v38, v39
	s_waitcnt vmcnt(31)
	v_mul_f32_e32 v39, v32, v194
	s_waitcnt vmcnt(30)
	v_fmac_f32_e32 v39, v33, v195
	v_add_f32_e32 v38, v38, v39
	s_waitcnt vmcnt(29) lgkmcnt(0)
	v_mul_f32_e32 v39, v34, v196
	s_waitcnt vmcnt(28)
	v_fmac_f32_e32 v39, v35, v197
	v_add_f32_e32 v42, v38, v39
	ds_read_b128 v[38:41], v4 offset:544
	s_waitcnt vmcnt(25)
	v_mul_f32_e32 v43, v36, v198
	s_waitcnt vmcnt(24)
	v_fmac_f32_e32 v43, v37, v199
	v_add_f32_e32 v46, v42, v43
	ds_read_b128 v[42:45], v4 offset:560
	s_waitcnt vmcnt(22) lgkmcnt(1)
	v_mul_f32_e32 v47, v38, v201
	v_fmac_f32_e32 v47, v39, v200
	v_add_f32_e32 v46, v46, v47
	s_waitcnt vmcnt(20)
	v_mul_f32_e32 v47, v40, v203
	v_fmac_f32_e32 v47, v41, v202
	v_add_f32_e32 v46, v46, v47
	s_waitcnt vmcnt(18) lgkmcnt(0)
	v_mul_f32_e32 v47, v42, v205
	v_fmac_f32_e32 v47, v43, v204
	v_add_f32_e32 v50, v46, v47
	ds_read_b128 v[46:49], v4 offset:576
	s_waitcnt vmcnt(16)
	v_mul_f32_e32 v51, v44, v207
	v_fmac_f32_e32 v51, v45, v206
	v_add_f32_e32 v54, v50, v51
	ds_read_b128 v[50:53], v4 offset:592
	s_waitcnt vmcnt(14) lgkmcnt(1)
	v_mul_f32_e32 v55, v46, v209
	v_fmac_f32_e32 v55, v47, v208
	v_add_f32_e32 v54, v54, v55
	s_waitcnt vmcnt(12)
	v_mul_f32_e32 v55, v48, v211
	v_fmac_f32_e32 v55, v49, v210
	v_add_f32_e32 v54, v54, v55
	s_waitcnt vmcnt(10) lgkmcnt(0)
	v_mul_f32_e32 v55, v50, v213
	v_fmac_f32_e32 v55, v51, v212
	s_waitcnt vmcnt(8)
	v_mul_f32_e32 v59, v52, v215
	v_add_f32_e32 v58, v54, v55
	v_fmac_f32_e32 v59, v53, v214
	ds_read_b128 v[54:57], v4 offset:608
	v_add_f32_e32 v63, v58, v59
	ds_read_b128 v[58:61], v4 offset:624
	buffer_load_dword v155, off, s[0:3], 0 offset:308
	buffer_load_dword v154, off, s[0:3], 0 offset:304
	;; [unrolled: 1-line block ×16, first 2 shown]
	v_mul_f32_e32 v5, v7, v5
	v_fma_f32 v5, v6, v176, -v5
	v_mul_f32_e32 v6, v9, v62
	v_add_f32_e32 v5, 0, v5
	v_fma_f32 v6, v8, v177, -v6
	v_add_f32_e32 v5, v5, v6
	v_mul_f32_e32 v6, v11, v64
	v_fma_f32 v6, v10, v178, -v6
	v_add_f32_e32 v5, v5, v6
	v_mul_f32_e32 v6, v13, v160
	;; [unrolled: 3-line block ×22, first 2 shown]
	v_fma_f32 v6, v52, v214, -v6
	v_add_f32_e32 v5, v5, v6
	s_waitcnt vmcnt(22) lgkmcnt(1)
	v_mul_f32_e32 v6, v55, v217
	v_fma_f32 v6, v54, v216, -v6
	v_add_f32_e32 v5, v5, v6
	s_waitcnt vmcnt(20)
	v_mul_f32_e32 v6, v57, v219
	v_fma_f32 v6, v56, v218, -v6
	v_add_f32_e32 v62, v5, v6
	ds_read_b128 v[6:9], v4 offset:640
	ds_read_b128 v[10:13], v4 offset:656
	;; [unrolled: 1-line block ×4, first 2 shown]
	s_waitcnt vmcnt(11)
	v_mov_b32_e32 v22, v159
	v_mul_f32_e32 v65, v54, v217
	s_waitcnt lgkmcnt(3)
	v_pk_mul_f32 v[22:23], v[6:7], v[22:23] op_sel_hi:[1,0]
	v_fmac_f32_e32 v65, v55, v216
	s_waitcnt vmcnt(10)
	v_pk_fma_f32 v[24:25], v[6:7], v[158:159], v[22:23] op_sel:[0,0,1] op_sel_hi:[1,1,0] neg_lo:[0,0,1] neg_hi:[0,0,1]
	v_pk_fma_f32 v[6:7], v[6:7], v[158:159], v[22:23] op_sel:[0,0,1] op_sel_hi:[1,0,0]
	v_add_f32_e32 v63, v63, v65
	v_mul_f32_e32 v65, v56, v219
	v_mov_b32_e32 v6, v157
	v_fmac_f32_e32 v65, v57, v218
	v_mov_b32_e32 v25, v7
	v_pk_mul_f32 v[6:7], v[8:9], v[6:7] op_sel_hi:[1,0]
	v_add_f32_e32 v63, v63, v65
	v_mul_f32_e32 v65, v58, v221
	v_mul_f32_e32 v5, v59, v221
	v_pk_fma_f32 v[22:23], v[8:9], v[156:157], v[6:7] op_sel:[0,0,1] op_sel_hi:[1,1,0] neg_lo:[0,0,1] neg_hi:[0,0,1]
	v_pk_fma_f32 v[6:7], v[8:9], v[156:157], v[6:7] op_sel:[0,0,1] op_sel_hi:[1,0,0]
	v_fmac_f32_e32 v65, v59, v220
	v_mul_f32_e32 v161, v60, v223
	v_fma_f32 v64, v58, v220, -v5
	v_mul_f32_e32 v5, v61, v223
	v_mov_b32_e32 v6, v155
	v_fmac_f32_e32 v161, v61, v222
	v_fma_f32 v160, v60, v222, -v5
	v_pk_add_f32 v[4:5], v[62:63], v[64:65]
	v_mov_b32_e32 v23, v7
	s_waitcnt lgkmcnt(2)
	v_pk_mul_f32 v[6:7], v[10:11], v[6:7] op_sel_hi:[1,0]
	v_pk_add_f32 v[4:5], v[4:5], v[160:161]
	v_pk_fma_f32 v[8:9], v[10:11], v[154:155], v[6:7] op_sel:[0,0,1] op_sel_hi:[1,1,0] neg_lo:[0,0,1] neg_hi:[0,0,1]
	v_pk_fma_f32 v[6:7], v[10:11], v[154:155], v[6:7] op_sel:[0,0,1] op_sel_hi:[1,0,0]
	v_pk_add_f32 v[4:5], v[4:5], v[24:25]
	s_waitcnt vmcnt(3)
	v_mov_b32_e32 v6, v169
	v_pk_add_f32 v[4:5], v[4:5], v[22:23]
	v_mov_b32_e32 v9, v7
	v_pk_mul_f32 v[6:7], v[12:13], v[6:7] op_sel_hi:[1,0]
	v_pk_add_f32 v[4:5], v[4:5], v[8:9]
	s_waitcnt vmcnt(2)
	v_pk_fma_f32 v[8:9], v[12:13], v[168:169], v[6:7] op_sel:[0,0,1] op_sel_hi:[1,1,0] neg_lo:[0,0,1] neg_hi:[0,0,1]
	v_pk_fma_f32 v[6:7], v[12:13], v[168:169], v[6:7] op_sel:[0,0,1] op_sel_hi:[1,0,0]
	v_mov_b32_e32 v6, v167
	v_mov_b32_e32 v9, v7
	s_waitcnt lgkmcnt(1)
	v_pk_mul_f32 v[6:7], v[14:15], v[6:7] op_sel_hi:[1,0]
	v_pk_add_f32 v[4:5], v[4:5], v[8:9]
	v_pk_fma_f32 v[8:9], v[14:15], v[166:167], v[6:7] op_sel:[0,0,1] op_sel_hi:[1,1,0] neg_lo:[0,0,1] neg_hi:[0,0,1]
	v_pk_fma_f32 v[6:7], v[14:15], v[166:167], v[6:7] op_sel:[0,0,1] op_sel_hi:[1,0,0]
	v_mov_b32_e32 v6, v165
	v_mov_b32_e32 v9, v7
	v_pk_mul_f32 v[6:7], v[16:17], v[6:7] op_sel_hi:[1,0]
	v_pk_add_f32 v[4:5], v[4:5], v[8:9]
	v_pk_fma_f32 v[8:9], v[16:17], v[164:165], v[6:7] op_sel:[0,0,1] op_sel_hi:[1,1,0] neg_lo:[0,0,1] neg_hi:[0,0,1]
	v_pk_fma_f32 v[6:7], v[16:17], v[164:165], v[6:7] op_sel:[0,0,1] op_sel_hi:[1,0,0]
	v_mov_b32_e32 v6, v163
	v_mov_b32_e32 v9, v7
	s_waitcnt lgkmcnt(0)
	v_pk_mul_f32 v[6:7], v[18:19], v[6:7] op_sel_hi:[1,0]
	v_pk_add_f32 v[4:5], v[4:5], v[8:9]
	v_pk_fma_f32 v[8:9], v[18:19], v[162:163], v[6:7] op_sel:[0,0,1] op_sel_hi:[1,1,0] neg_lo:[0,0,1] neg_hi:[0,0,1]
	v_pk_fma_f32 v[6:7], v[18:19], v[162:163], v[6:7] op_sel:[0,0,1] op_sel_hi:[1,0,0]
	s_waitcnt vmcnt(1)
	v_mov_b32_e32 v6, v171
	v_mov_b32_e32 v9, v7
	v_pk_mul_f32 v[6:7], v[20:21], v[6:7] op_sel_hi:[1,0]
	v_pk_add_f32 v[4:5], v[4:5], v[8:9]
	s_waitcnt vmcnt(0)
	v_pk_fma_f32 v[8:9], v[20:21], v[170:171], v[6:7] op_sel:[0,0,1] op_sel_hi:[1,1,0] neg_lo:[0,0,1] neg_hi:[0,0,1]
	v_pk_fma_f32 v[6:7], v[20:21], v[170:171], v[6:7] op_sel:[0,0,1] op_sel_hi:[1,0,0]
	v_mov_b32_e32 v9, v7
	v_pk_add_f32 v[4:5], v[4:5], v[8:9]
	v_pk_add_f32 v[2:3], v[2:3], v[4:5] neg_lo:[0,1] neg_hi:[0,1]
	buffer_store_dword v3, off, s[0:3], 0 offset:60
	buffer_store_dword v2, off, s[0:3], 0 offset:56
	s_and_saveexec_b64 s[4:5], vcc
	s_cbranch_execz .LBB43_265
; %bb.264:
	buffer_load_dword v2, off, s[0:3], 0 offset:48
	buffer_load_dword v3, off, s[0:3], 0 offset:52
	v_mov_b32_e32 v4, 0
	buffer_store_dword v4, off, s[0:3], 0 offset:48
	buffer_store_dword v4, off, s[0:3], 0 offset:52
	s_waitcnt vmcnt(2)
	ds_write_b64 v1, v[2:3]
.LBB43_265:
	s_or_b64 exec, exec, s[4:5]
	s_waitcnt lgkmcnt(0)
	; wave barrier
	s_waitcnt lgkmcnt(0)
	buffer_load_dword v17, off, s[0:3], 0 offset:60
	buffer_load_dword v158, off, s[0:3], 0 offset:68
	;; [unrolled: 1-line block ×56, first 2 shown]
	v_mov_b32_e32 v16, 0
	ds_read2_b64 v[2:5], v16 offset0:51 offset1:52
	buffer_load_dword v230, off, s[0:3], 0 offset:272
	buffer_load_dword v231, off, s[0:3], 0 offset:276
	;; [unrolled: 1-line block ×4, first 2 shown]
	ds_read2_b64 v[8:11], v16 offset0:53 offset1:54
	ds_read2_b64 v[12:15], v16 offset0:55 offset1:56
	;; [unrolled: 1-line block ×3, first 2 shown]
	v_cmp_lt_u32_e32 vcc, 5, v0
	s_waitcnt vmcnt(59) lgkmcnt(3)
	v_mul_f32_e32 v22, v2, v17
	s_waitcnt vmcnt(58)
	v_mul_f32_e32 v23, v4, v158
	s_waitcnt vmcnt(57) lgkmcnt(2)
	v_mul_f32_e32 v24, v8, v164
	s_waitcnt vmcnt(56)
	v_mul_f32_e32 v25, v10, v166
	;; [unrolled: 4-line block ×3, first 2 shown]
	s_waitcnt vmcnt(53) lgkmcnt(0)
	v_mul_f32_e32 v28, v18, v182
	s_waitcnt vmcnt(52)
	v_fmac_f32_e32 v22, v3, v183
	s_waitcnt vmcnt(51)
	v_fmac_f32_e32 v23, v5, v184
	v_add_f32_e32 v22, 0, v22
	s_waitcnt vmcnt(50)
	v_fmac_f32_e32 v24, v9, v185
	v_add_f32_e32 v22, v22, v23
	;; [unrolled: 3-line block ×6, first 2 shown]
	v_add_f32_e32 v26, v22, v28
	ds_read2_b64 v[22:25], v16 offset0:59 offset1:60
	s_waitcnt vmcnt(45)
	v_mul_f32_e32 v27, v20, v190
	s_waitcnt vmcnt(44)
	v_fmac_f32_e32 v27, v21, v191
	v_add_f32_e32 v30, v26, v27
	ds_read2_b64 v[26:29], v16 offset0:61 offset1:62
	s_waitcnt vmcnt(43) lgkmcnt(1)
	v_mul_f32_e32 v31, v22, v192
	s_waitcnt vmcnt(42)
	v_fmac_f32_e32 v31, v23, v193
	v_add_f32_e32 v30, v30, v31
	s_waitcnt vmcnt(41)
	v_mul_f32_e32 v31, v24, v194
	s_waitcnt vmcnt(40)
	v_fmac_f32_e32 v31, v25, v195
	v_add_f32_e32 v30, v30, v31
	s_waitcnt vmcnt(39) lgkmcnt(0)
	v_mul_f32_e32 v31, v26, v196
	s_waitcnt vmcnt(38)
	v_fmac_f32_e32 v31, v27, v197
	v_add_f32_e32 v34, v30, v31
	ds_read2_b64 v[30:33], v16 offset0:63 offset1:64
	s_waitcnt vmcnt(37)
	v_mul_f32_e32 v35, v28, v198
	s_waitcnt vmcnt(36)
	v_fmac_f32_e32 v35, v29, v199
	v_add_f32_e32 v38, v34, v35
	ds_read2_b64 v[34:37], v16 offset0:65 offset1:66
	s_waitcnt vmcnt(34) lgkmcnt(1)
	v_mul_f32_e32 v39, v30, v201
	v_fmac_f32_e32 v39, v31, v200
	v_add_f32_e32 v38, v38, v39
	s_waitcnt vmcnt(31)
	v_mul_f32_e32 v39, v32, v202
	s_waitcnt vmcnt(30)
	v_fmac_f32_e32 v39, v33, v203
	v_add_f32_e32 v38, v38, v39
	s_waitcnt vmcnt(28) lgkmcnt(0)
	v_mul_f32_e32 v39, v34, v205
	v_fmac_f32_e32 v39, v35, v204
	v_add_f32_e32 v42, v38, v39
	ds_read2_b64 v[38:41], v16 offset0:67 offset1:68
	s_waitcnt vmcnt(26)
	v_mul_f32_e32 v43, v36, v207
	v_fmac_f32_e32 v43, v37, v206
	v_add_f32_e32 v46, v42, v43
	ds_read2_b64 v[42:45], v16 offset0:69 offset1:70
	s_waitcnt vmcnt(24) lgkmcnt(1)
	v_mul_f32_e32 v47, v38, v209
	v_fmac_f32_e32 v47, v39, v208
	v_add_f32_e32 v46, v46, v47
	s_waitcnt vmcnt(22)
	v_mul_f32_e32 v47, v40, v211
	v_fmac_f32_e32 v47, v41, v210
	v_add_f32_e32 v46, v46, v47
	s_waitcnt vmcnt(20) lgkmcnt(0)
	v_mul_f32_e32 v47, v42, v213
	v_fmac_f32_e32 v47, v43, v212
	v_add_f32_e32 v50, v46, v47
	ds_read2_b64 v[46:49], v16 offset0:71 offset1:72
	s_waitcnt vmcnt(18)
	v_mul_f32_e32 v51, v44, v215
	v_fmac_f32_e32 v51, v45, v214
	v_add_f32_e32 v54, v50, v51
	ds_read2_b64 v[50:53], v16 offset0:73 offset1:74
	s_waitcnt vmcnt(16) lgkmcnt(1)
	v_mul_f32_e32 v55, v46, v217
	v_fmac_f32_e32 v55, v47, v216
	v_add_f32_e32 v54, v54, v55
	s_waitcnt vmcnt(14)
	v_mul_f32_e32 v55, v48, v219
	;; [unrolled: 18-line block ×3, first 2 shown]
	v_fmac_f32_e32 v63, v57, v226
	v_add_f32_e32 v62, v62, v63
	s_waitcnt vmcnt(4) lgkmcnt(0)
	v_mul_f32_e32 v63, v58, v229
	v_fmac_f32_e32 v63, v59, v228
	v_add_f32_e32 v159, v62, v63
	ds_read2_b64 v[62:65], v16 offset0:79 offset1:80
	buffer_load_dword v161, off, s[0:3], 0 offset:300
	buffer_load_dword v160, off, s[0:3], 0 offset:296
	;; [unrolled: 1-line block ×4, first 2 shown]
	ds_read2_b64 v[154:157], v16 offset0:81 offset1:82
	buffer_load_dword v169, off, s[0:3], 0 offset:332
	buffer_load_dword v168, off, s[0:3], 0 offset:328
	;; [unrolled: 1-line block ×12, first 2 shown]
	v_mul_f32_e32 v3, v3, v17
	v_fma_f32 v2, v2, v183, -v3
	v_mul_f32_e32 v3, v5, v158
	v_add_f32_e32 v2, 0, v2
	v_fma_f32 v3, v4, v184, -v3
	v_add_f32_e32 v2, v2, v3
	v_mul_f32_e32 v3, v9, v164
	v_fma_f32 v3, v8, v185, -v3
	v_add_f32_e32 v2, v2, v3
	v_mul_f32_e32 v3, v11, v166
	;; [unrolled: 3-line block ×25, first 2 shown]
	v_fma_f32 v3, v58, v228, -v3
	s_waitcnt vmcnt(13)
	v_mov_b32_e32 v18, v163
	v_mul_f32_e32 v165, v60, v231
	v_add_f32_e32 v158, v2, v3
	v_mul_f32_e32 v2, v61, v231
	s_waitcnt lgkmcnt(1)
	v_pk_mul_f32 v[18:19], v[64:65], v[18:19] op_sel_hi:[1,0]
	v_fmac_f32_e32 v165, v61, v230
	v_mul_f32_e32 v167, v62, v233
	v_fma_f32 v164, v60, v230, -v2
	v_mul_f32_e32 v2, v63, v233
	s_waitcnt vmcnt(12)
	v_pk_fma_f32 v[20:21], v[64:65], v[162:163], v[18:19] op_sel:[0,0,1] op_sel_hi:[1,1,0] neg_lo:[0,0,1] neg_hi:[0,0,1]
	v_pk_fma_f32 v[18:19], v[64:65], v[162:163], v[18:19] op_sel:[0,0,1] op_sel_hi:[1,0,0]
	v_fmac_f32_e32 v167, v63, v232
	v_fma_f32 v166, v62, v232, -v2
	v_pk_add_f32 v[14:15], v[158:159], v[164:165]
	v_mov_b32_e32 v18, v161
	v_pk_add_f32 v[14:15], v[14:15], v[166:167]
	v_mov_b32_e32 v21, v19
	s_waitcnt lgkmcnt(0)
	v_pk_mul_f32 v[18:19], v[154:155], v[18:19] op_sel_hi:[1,0]
	v_pk_add_f32 v[14:15], v[14:15], v[20:21]
	v_pk_fma_f32 v[20:21], v[154:155], v[160:161], v[18:19] op_sel:[0,0,1] op_sel_hi:[1,1,0] neg_lo:[0,0,1] neg_hi:[0,0,1]
	v_pk_fma_f32 v[18:19], v[154:155], v[160:161], v[18:19] op_sel:[0,0,1] op_sel_hi:[1,0,0]
	s_waitcnt vmcnt(5)
	v_mov_b32_e32 v18, v175
	ds_read2_b64 v[2:5], v16 offset0:83 offset1:84
	ds_read2_b64 v[8:11], v16 offset0:85 offset1:86
	ds_read_b64 v[12:13], v16 offset:696
	v_mov_b32_e32 v21, v19
	v_pk_mul_f32 v[18:19], v[156:157], v[18:19] op_sel_hi:[1,0]
	v_pk_add_f32 v[14:15], v[14:15], v[20:21]
	s_waitcnt vmcnt(4)
	v_pk_fma_f32 v[20:21], v[156:157], v[174:175], v[18:19] op_sel:[0,0,1] op_sel_hi:[1,1,0] neg_lo:[0,0,1] neg_hi:[0,0,1]
	v_pk_fma_f32 v[18:19], v[156:157], v[174:175], v[18:19] op_sel:[0,0,1] op_sel_hi:[1,0,0]
	v_mov_b32_e32 v18, v173
	v_mov_b32_e32 v21, v19
	s_waitcnt lgkmcnt(2)
	v_pk_mul_f32 v[18:19], v[2:3], v[18:19] op_sel_hi:[1,0]
	v_pk_add_f32 v[14:15], v[14:15], v[20:21]
	v_pk_fma_f32 v[20:21], v[2:3], v[172:173], v[18:19] op_sel:[0,0,1] op_sel_hi:[1,1,0] neg_lo:[0,0,1] neg_hi:[0,0,1]
	v_pk_fma_f32 v[2:3], v[2:3], v[172:173], v[18:19] op_sel:[0,0,1] op_sel_hi:[1,0,0]
	v_mov_b32_e32 v21, v3
	v_pk_add_f32 v[2:3], v[14:15], v[20:21]
	v_mov_b32_e32 v14, v171
	v_pk_mul_f32 v[14:15], v[4:5], v[14:15] op_sel_hi:[1,0]
	v_pk_fma_f32 v[18:19], v[4:5], v[170:171], v[14:15] op_sel:[0,0,1] op_sel_hi:[1,1,0] neg_lo:[0,0,1] neg_hi:[0,0,1]
	v_pk_fma_f32 v[4:5], v[4:5], v[170:171], v[14:15] op_sel:[0,0,1] op_sel_hi:[1,0,0]
	v_mov_b32_e32 v4, v169
	v_mov_b32_e32 v19, v5
	s_waitcnt lgkmcnt(1)
	v_pk_mul_f32 v[4:5], v[8:9], v[4:5] op_sel_hi:[1,0]
	v_pk_fma_f32 v[14:15], v[8:9], v[168:169], v[4:5] op_sel:[0,0,1] op_sel_hi:[1,1,0] neg_lo:[0,0,1] neg_hi:[0,0,1]
	v_pk_fma_f32 v[4:5], v[8:9], v[168:169], v[4:5] op_sel:[0,0,1] op_sel_hi:[1,0,0]
	s_waitcnt vmcnt(1)
	v_mov_b32_e32 v4, v179
	v_mov_b32_e32 v15, v5
	v_pk_mul_f32 v[4:5], v[10:11], v[4:5] op_sel_hi:[1,0]
	s_waitcnt vmcnt(0)
	v_pk_fma_f32 v[8:9], v[10:11], v[178:179], v[4:5] op_sel:[0,0,1] op_sel_hi:[1,1,0] neg_lo:[0,0,1] neg_hi:[0,0,1]
	v_pk_fma_f32 v[4:5], v[10:11], v[178:179], v[4:5] op_sel:[0,0,1] op_sel_hi:[1,0,0]
	v_pk_add_f32 v[2:3], v[2:3], v[18:19]
	v_mov_b32_e32 v4, v177
	v_pk_add_f32 v[2:3], v[2:3], v[14:15]
	v_mov_b32_e32 v9, v5
	s_waitcnt lgkmcnt(0)
	v_pk_mul_f32 v[4:5], v[12:13], v[4:5] op_sel_hi:[1,0]
	v_pk_add_f32 v[2:3], v[2:3], v[8:9]
	v_pk_fma_f32 v[8:9], v[12:13], v[176:177], v[4:5] op_sel:[0,0,1] op_sel_hi:[1,1,0] neg_lo:[0,0,1] neg_hi:[0,0,1]
	v_pk_fma_f32 v[4:5], v[12:13], v[176:177], v[4:5] op_sel:[0,0,1] op_sel_hi:[1,0,0]
	v_mov_b32_e32 v9, v5
	v_pk_add_f32 v[2:3], v[2:3], v[8:9]
	v_pk_add_f32 v[2:3], v[6:7], v[2:3] neg_lo:[0,1] neg_hi:[0,1]
	buffer_store_dword v3, off, s[0:3], 0 offset:52
	buffer_store_dword v2, off, s[0:3], 0 offset:48
	s_and_saveexec_b64 s[4:5], vcc
	s_cbranch_execz .LBB43_267
; %bb.266:
	buffer_load_dword v2, off, s[0:3], 0 offset:40
	buffer_load_dword v3, off, s[0:3], 0 offset:44
	s_waitcnt vmcnt(0)
	ds_write_b64 v1, v[2:3]
	buffer_store_dword v16, off, s[0:3], 0 offset:40
	buffer_store_dword v16, off, s[0:3], 0 offset:44
.LBB43_267:
	s_or_b64 exec, exec, s[4:5]
	s_waitcnt lgkmcnt(0)
	; wave barrier
	s_waitcnt lgkmcnt(0)
	buffer_load_dword v17, off, s[0:3], 0 offset:52
	buffer_load_dword v160, off, s[0:3], 0 offset:60
	;; [unrolled: 1-line block ×32, first 2 shown]
	ds_read_b128 v[18:21], v16 offset:400
	ds_read_b128 v[6:9], v16 offset:416
	buffer_load_dword v206, off, s[0:3], 0 offset:168
	buffer_load_dword v207, off, s[0:3], 0 offset:172
	ds_read_b128 v[10:13], v16 offset:432
	ds_read_b128 v[2:5], v16 offset:448
	buffer_load_dword v208, off, s[0:3], 0 offset:176
	buffer_load_dword v209, off, s[0:3], 0 offset:180
	;; [unrolled: 1-line block ×28, first 2 shown]
	v_cmp_lt_u32_e32 vcc, 4, v0
	s_waitcnt vmcnt(61) lgkmcnt(3)
	v_mul_f32_e32 v22, v18, v17
	s_waitcnt vmcnt(60)
	v_mul_f32_e32 v23, v20, v160
	s_waitcnt vmcnt(59) lgkmcnt(2)
	v_mul_f32_e32 v24, v6, v162
	s_waitcnt vmcnt(58)
	v_mul_f32_e32 v25, v8, v164
	;; [unrolled: 4-line block ×3, first 2 shown]
	s_waitcnt vmcnt(55) lgkmcnt(0)
	v_mul_f32_e32 v28, v2, v182
	s_waitcnt vmcnt(54)
	v_fmac_f32_e32 v22, v19, v183
	s_waitcnt vmcnt(53)
	v_fmac_f32_e32 v23, v21, v184
	v_add_f32_e32 v22, 0, v22
	s_waitcnt vmcnt(52)
	v_fmac_f32_e32 v24, v7, v185
	v_add_f32_e32 v22, v22, v23
	s_waitcnt vmcnt(51)
	v_fmac_f32_e32 v25, v9, v186
	v_add_f32_e32 v22, v22, v24
	s_waitcnt vmcnt(50)
	v_fmac_f32_e32 v26, v11, v187
	v_add_f32_e32 v22, v22, v25
	s_waitcnt vmcnt(49)
	v_fmac_f32_e32 v27, v13, v188
	v_add_f32_e32 v22, v22, v26
	s_waitcnt vmcnt(48)
	v_fmac_f32_e32 v28, v3, v189
	v_add_f32_e32 v22, v22, v27
	v_add_f32_e32 v26, v22, v28
	ds_read_b128 v[22:25], v16 offset:464
	s_waitcnt vmcnt(47)
	v_mul_f32_e32 v27, v4, v190
	s_waitcnt vmcnt(46)
	v_fmac_f32_e32 v27, v5, v191
	v_add_f32_e32 v30, v26, v27
	ds_read_b128 v[26:29], v16 offset:480
	s_waitcnt vmcnt(45) lgkmcnt(1)
	v_mul_f32_e32 v31, v22, v192
	s_waitcnt vmcnt(44)
	v_fmac_f32_e32 v31, v23, v193
	v_add_f32_e32 v30, v30, v31
	s_waitcnt vmcnt(43)
	v_mul_f32_e32 v31, v24, v194
	s_waitcnt vmcnt(42)
	v_fmac_f32_e32 v31, v25, v195
	v_add_f32_e32 v30, v30, v31
	s_waitcnt vmcnt(41) lgkmcnt(0)
	v_mul_f32_e32 v31, v26, v196
	s_waitcnt vmcnt(40)
	v_fmac_f32_e32 v31, v27, v197
	v_add_f32_e32 v34, v30, v31
	ds_read_b128 v[30:33], v16 offset:496
	s_waitcnt vmcnt(39)
	v_mul_f32_e32 v35, v28, v198
	s_waitcnt vmcnt(38)
	v_fmac_f32_e32 v35, v29, v199
	v_add_f32_e32 v38, v34, v35
	ds_read_b128 v[34:37], v16 offset:512
	s_waitcnt vmcnt(35) lgkmcnt(1)
	v_mul_f32_e32 v39, v30, v200
	s_waitcnt vmcnt(34)
	v_fmac_f32_e32 v39, v31, v201
	v_add_f32_e32 v38, v38, v39
	s_waitcnt vmcnt(32)
	v_mul_f32_e32 v39, v32, v203
	v_fmac_f32_e32 v39, v33, v202
	v_add_f32_e32 v38, v38, v39
	s_waitcnt vmcnt(30) lgkmcnt(0)
	v_mul_f32_e32 v39, v34, v205
	v_fmac_f32_e32 v39, v35, v204
	v_add_f32_e32 v42, v38, v39
	ds_read_b128 v[38:41], v16 offset:528
	s_waitcnt vmcnt(28)
	v_mul_f32_e32 v43, v36, v207
	v_fmac_f32_e32 v43, v37, v206
	v_add_f32_e32 v46, v42, v43
	ds_read_b128 v[42:45], v16 offset:544
	s_waitcnt vmcnt(26) lgkmcnt(1)
	v_mul_f32_e32 v47, v38, v209
	v_fmac_f32_e32 v47, v39, v208
	v_add_f32_e32 v46, v46, v47
	s_waitcnt vmcnt(24)
	v_mul_f32_e32 v47, v40, v211
	v_fmac_f32_e32 v47, v41, v210
	v_add_f32_e32 v46, v46, v47
	s_waitcnt vmcnt(22) lgkmcnt(0)
	v_mul_f32_e32 v47, v42, v213
	v_fmac_f32_e32 v47, v43, v212
	v_add_f32_e32 v50, v46, v47
	ds_read_b128 v[46:49], v16 offset:560
	s_waitcnt vmcnt(20)
	v_mul_f32_e32 v51, v44, v215
	v_fmac_f32_e32 v51, v45, v214
	v_add_f32_e32 v54, v50, v51
	ds_read_b128 v[50:53], v16 offset:576
	s_waitcnt vmcnt(18) lgkmcnt(1)
	v_mul_f32_e32 v55, v46, v217
	v_fmac_f32_e32 v55, v47, v216
	v_add_f32_e32 v54, v54, v55
	s_waitcnt vmcnt(16)
	v_mul_f32_e32 v55, v48, v219
	v_fmac_f32_e32 v55, v49, v218
	v_add_f32_e32 v54, v54, v55
	s_waitcnt vmcnt(14) lgkmcnt(0)
	v_mul_f32_e32 v55, v50, v221
	v_fmac_f32_e32 v55, v51, v220
	v_add_f32_e32 v58, v54, v55
	ds_read_b128 v[54:57], v16 offset:592
	s_waitcnt vmcnt(12)
	v_mul_f32_e32 v59, v52, v223
	v_fmac_f32_e32 v59, v53, v222
	v_add_f32_e32 v62, v58, v59
	ds_read_b128 v[58:61], v16 offset:608
	buffer_load_dword v159, off, s[0:3], 0 offset:292
	buffer_load_dword v158, off, s[0:3], 0 offset:288
	s_waitcnt vmcnt(12) lgkmcnt(1)
	v_mul_f32_e32 v63, v54, v225
	v_fmac_f32_e32 v63, v55, v224
	v_add_f32_e32 v62, v62, v63
	s_waitcnt vmcnt(10)
	v_mul_f32_e32 v63, v56, v227
	v_fmac_f32_e32 v63, v57, v226
	v_add_f32_e32 v62, v62, v63
	s_waitcnt vmcnt(8) lgkmcnt(0)
	v_mul_f32_e32 v63, v58, v229
	v_fmac_f32_e32 v63, v59, v228
	s_waitcnt vmcnt(6)
	v_mul_f32_e32 v155, v60, v231
	v_add_f32_e32 v154, v62, v63
	v_fmac_f32_e32 v155, v61, v230
	ds_read_b128 v[62:65], v16 offset:624
	v_add_f32_e32 v161, v154, v155
	ds_read_b128 v[154:157], v16 offset:640
	buffer_load_dword v167, off, s[0:3], 0 offset:324
	buffer_load_dword v166, off, s[0:3], 0 offset:320
	;; [unrolled: 1-line block ×14, first 2 shown]
	v_mul_f32_e32 v17, v19, v17
	v_fma_f32 v17, v18, v183, -v17
	v_mul_f32_e32 v18, v21, v160
	v_add_f32_e32 v17, 0, v17
	v_fma_f32 v18, v20, v184, -v18
	v_mul_f32_e32 v7, v7, v162
	v_add_f32_e32 v17, v17, v18
	;; [unrolled: 3-line block ×3, first 2 shown]
	v_fma_f32 v7, v8, v186, -v7
	v_add_f32_e32 v6, v6, v7
	v_mul_f32_e32 v7, v11, v180
	v_fma_f32 v7, v10, v187, -v7
	v_add_f32_e32 v6, v6, v7
	v_mul_f32_e32 v7, v13, v181
	v_fma_f32 v7, v12, v188, -v7
	v_mul_f32_e32 v3, v3, v182
	v_add_f32_e32 v6, v6, v7
	v_fma_f32 v2, v2, v189, -v3
	v_mul_f32_e32 v3, v5, v190
	v_add_f32_e32 v2, v6, v2
	v_fma_f32 v3, v4, v191, -v3
	v_add_f32_e32 v2, v2, v3
	v_mul_f32_e32 v3, v23, v192
	v_fma_f32 v3, v22, v193, -v3
	v_add_f32_e32 v2, v2, v3
	v_mul_f32_e32 v3, v25, v194
	;; [unrolled: 3-line block ×20, first 2 shown]
	v_fma_f32 v3, v60, v230, -v3
	s_waitcnt vmcnt(15)
	v_mov_b32_e32 v18, v159
	s_waitcnt lgkmcnt(1)
	v_mul_f32_e32 v163, v62, v233
	v_add_f32_e32 v160, v2, v3
	v_mul_f32_e32 v2, v63, v233
	s_waitcnt lgkmcnt(0)
	v_pk_mul_f32 v[18:19], v[154:155], v[18:19] op_sel_hi:[1,0]
	v_fmac_f32_e32 v163, v63, v232
	v_mul_f32_e32 v165, v64, v235
	v_fma_f32 v162, v62, v232, -v2
	v_mul_f32_e32 v2, v65, v235
	s_waitcnt vmcnt(14)
	v_pk_fma_f32 v[20:21], v[154:155], v[158:159], v[18:19] op_sel:[0,0,1] op_sel_hi:[1,1,0] neg_lo:[0,0,1] neg_hi:[0,0,1]
	v_pk_fma_f32 v[18:19], v[154:155], v[158:159], v[18:19] op_sel:[0,0,1] op_sel_hi:[1,0,0]
	v_fmac_f32_e32 v165, v65, v234
	v_fma_f32 v164, v64, v234, -v2
	ds_read_b128 v[2:5], v16 offset:656
	ds_read_b128 v[6:9], v16 offset:672
	ds_read_b128 v[10:13], v16 offset:688
	v_pk_add_f32 v[16:17], v[160:161], v[162:163]
	s_waitcnt vmcnt(7)
	v_mov_b32_e32 v18, v173
	v_pk_add_f32 v[16:17], v[16:17], v[164:165]
	v_mov_b32_e32 v21, v19
	v_pk_mul_f32 v[18:19], v[156:157], v[18:19] op_sel_hi:[1,0]
	v_pk_add_f32 v[16:17], v[16:17], v[20:21]
	s_waitcnt vmcnt(6)
	v_pk_fma_f32 v[20:21], v[156:157], v[172:173], v[18:19] op_sel:[0,0,1] op_sel_hi:[1,1,0] neg_lo:[0,0,1] neg_hi:[0,0,1]
	v_pk_fma_f32 v[18:19], v[156:157], v[172:173], v[18:19] op_sel:[0,0,1] op_sel_hi:[1,0,0]
	v_mov_b32_e32 v18, v171
	v_mov_b32_e32 v21, v19
	s_waitcnt lgkmcnt(2)
	v_pk_mul_f32 v[18:19], v[2:3], v[18:19] op_sel_hi:[1,0]
	v_pk_add_f32 v[16:17], v[16:17], v[20:21]
	v_pk_fma_f32 v[20:21], v[2:3], v[170:171], v[18:19] op_sel:[0,0,1] op_sel_hi:[1,1,0] neg_lo:[0,0,1] neg_hi:[0,0,1]
	v_pk_fma_f32 v[2:3], v[2:3], v[170:171], v[18:19] op_sel:[0,0,1] op_sel_hi:[1,0,0]
	v_mov_b32_e32 v21, v3
	v_pk_add_f32 v[2:3], v[16:17], v[20:21]
	v_mov_b32_e32 v16, v169
	v_pk_mul_f32 v[16:17], v[4:5], v[16:17] op_sel_hi:[1,0]
	v_pk_fma_f32 v[18:19], v[4:5], v[168:169], v[16:17] op_sel:[0,0,1] op_sel_hi:[1,1,0] neg_lo:[0,0,1] neg_hi:[0,0,1]
	v_pk_fma_f32 v[4:5], v[4:5], v[168:169], v[16:17] op_sel:[0,0,1] op_sel_hi:[1,0,0]
	v_mov_b32_e32 v4, v167
	v_mov_b32_e32 v19, v5
	s_waitcnt lgkmcnt(1)
	v_pk_mul_f32 v[4:5], v[6:7], v[4:5] op_sel_hi:[1,0]
	v_pk_fma_f32 v[16:17], v[6:7], v[166:167], v[4:5] op_sel:[0,0,1] op_sel_hi:[1,1,0] neg_lo:[0,0,1] neg_hi:[0,0,1]
	v_pk_fma_f32 v[4:5], v[6:7], v[166:167], v[4:5] op_sel:[0,0,1] op_sel_hi:[1,0,0]
	s_waitcnt vmcnt(1)
	v_mov_b32_e32 v4, v179
	v_mov_b32_e32 v17, v5
	v_pk_mul_f32 v[4:5], v[8:9], v[4:5] op_sel_hi:[1,0]
	s_waitcnt vmcnt(0)
	v_pk_fma_f32 v[6:7], v[8:9], v[178:179], v[4:5] op_sel:[0,0,1] op_sel_hi:[1,1,0] neg_lo:[0,0,1] neg_hi:[0,0,1]
	v_pk_fma_f32 v[4:5], v[8:9], v[178:179], v[4:5] op_sel:[0,0,1] op_sel_hi:[1,0,0]
	v_pk_add_f32 v[2:3], v[2:3], v[18:19]
	v_mov_b32_e32 v4, v177
	v_pk_add_f32 v[2:3], v[2:3], v[16:17]
	v_mov_b32_e32 v7, v5
	s_waitcnt lgkmcnt(0)
	v_pk_mul_f32 v[4:5], v[10:11], v[4:5] op_sel_hi:[1,0]
	v_pk_add_f32 v[2:3], v[2:3], v[6:7]
	v_pk_fma_f32 v[6:7], v[10:11], v[176:177], v[4:5] op_sel:[0,0,1] op_sel_hi:[1,1,0] neg_lo:[0,0,1] neg_hi:[0,0,1]
	v_pk_fma_f32 v[4:5], v[10:11], v[176:177], v[4:5] op_sel:[0,0,1] op_sel_hi:[1,0,0]
	v_mov_b32_e32 v4, v175
	v_mov_b32_e32 v7, v5
	v_pk_mul_f32 v[4:5], v[12:13], v[4:5] op_sel_hi:[1,0]
	v_pk_add_f32 v[2:3], v[2:3], v[6:7]
	v_pk_fma_f32 v[6:7], v[12:13], v[174:175], v[4:5] op_sel:[0,0,1] op_sel_hi:[1,1,0] neg_lo:[0,0,1] neg_hi:[0,0,1]
	v_pk_fma_f32 v[4:5], v[12:13], v[174:175], v[4:5] op_sel:[0,0,1] op_sel_hi:[1,0,0]
	v_mov_b32_e32 v7, v5
	v_pk_add_f32 v[2:3], v[2:3], v[6:7]
	v_pk_add_f32 v[2:3], v[14:15], v[2:3] neg_lo:[0,1] neg_hi:[0,1]
	buffer_store_dword v3, off, s[0:3], 0 offset:44
	buffer_store_dword v2, off, s[0:3], 0 offset:40
	s_and_saveexec_b64 s[4:5], vcc
	s_cbranch_execz .LBB43_269
; %bb.268:
	buffer_load_dword v2, off, s[0:3], 0 offset:32
	buffer_load_dword v3, off, s[0:3], 0 offset:36
	v_mov_b32_e32 v4, 0
	buffer_store_dword v4, off, s[0:3], 0 offset:32
	buffer_store_dword v4, off, s[0:3], 0 offset:36
	s_waitcnt vmcnt(2)
	ds_write_b64 v1, v[2:3]
.LBB43_269:
	s_or_b64 exec, exec, s[4:5]
	s_waitcnt lgkmcnt(0)
	; wave barrier
	s_waitcnt lgkmcnt(0)
	buffer_load_dword v21, off, s[0:3], 0 offset:44
	buffer_load_dword v158, off, s[0:3], 0 offset:52
	;; [unrolled: 1-line block ×48, first 2 shown]
	v_mov_b32_e32 v20, 0
	ds_read2_b64 v[4:7], v20 offset0:49 offset1:50
	buffer_load_dword v222, off, s[0:3], 0 offset:224
	buffer_load_dword v223, off, s[0:3], 0 offset:228
	;; [unrolled: 1-line block ×8, first 2 shown]
	ds_read2_b64 v[8:11], v20 offset0:51 offset1:52
	ds_read2_b64 v[12:15], v20 offset0:53 offset1:54
	ds_read2_b64 v[16:19], v20 offset0:55 offset1:56
	buffer_load_dword v230, off, s[0:3], 0 offset:256
	buffer_load_dword v231, off, s[0:3], 0 offset:260
	;; [unrolled: 1-line block ×8, first 2 shown]
	v_cmp_lt_u32_e32 vcc, 3, v0
	s_waitcnt vmcnt(62) lgkmcnt(3)
	v_mul_f32_e32 v22, v4, v21
	v_mul_f32_e32 v23, v6, v158
	s_waitcnt vmcnt(61) lgkmcnt(2)
	v_mul_f32_e32 v24, v8, v160
	s_waitcnt vmcnt(60)
	v_mul_f32_e32 v25, v10, v162
	s_waitcnt vmcnt(59) lgkmcnt(1)
	v_mul_f32_e32 v26, v12, v180
	s_waitcnt vmcnt(58)
	;; [unrolled: 4-line block ×3, first 2 shown]
	v_fmac_f32_e32 v22, v5, v183
	s_waitcnt vmcnt(55)
	v_fmac_f32_e32 v23, v7, v184
	v_add_f32_e32 v22, 0, v22
	s_waitcnt vmcnt(54)
	v_fmac_f32_e32 v24, v9, v185
	v_add_f32_e32 v22, v22, v23
	;; [unrolled: 3-line block ×6, first 2 shown]
	v_add_f32_e32 v26, v22, v28
	ds_read2_b64 v[22:25], v20 offset0:57 offset1:58
	s_waitcnt vmcnt(49)
	v_mul_f32_e32 v27, v18, v190
	s_waitcnt vmcnt(48)
	v_fmac_f32_e32 v27, v19, v191
	v_add_f32_e32 v30, v26, v27
	ds_read2_b64 v[26:29], v20 offset0:59 offset1:60
	s_waitcnt vmcnt(47) lgkmcnt(1)
	v_mul_f32_e32 v31, v22, v192
	s_waitcnt vmcnt(46)
	v_fmac_f32_e32 v31, v23, v193
	v_add_f32_e32 v30, v30, v31
	s_waitcnt vmcnt(45)
	v_mul_f32_e32 v31, v24, v194
	s_waitcnt vmcnt(44)
	v_fmac_f32_e32 v31, v25, v195
	v_add_f32_e32 v30, v30, v31
	s_waitcnt vmcnt(42) lgkmcnt(0)
	v_mul_f32_e32 v31, v26, v197
	v_fmac_f32_e32 v31, v27, v196
	v_add_f32_e32 v34, v30, v31
	ds_read2_b64 v[30:33], v20 offset0:61 offset1:62
	s_waitcnt vmcnt(38)
	v_mul_f32_e32 v35, v28, v199
	v_fmac_f32_e32 v35, v29, v198
	v_add_f32_e32 v38, v34, v35
	ds_read2_b64 v[34:37], v20 offset0:63 offset1:64
	s_waitcnt vmcnt(36) lgkmcnt(1)
	v_mul_f32_e32 v39, v30, v201
	v_fmac_f32_e32 v39, v31, v200
	v_add_f32_e32 v38, v38, v39
	s_waitcnt vmcnt(34)
	v_mul_f32_e32 v39, v32, v203
	v_fmac_f32_e32 v39, v33, v202
	v_add_f32_e32 v38, v38, v39
	s_waitcnt vmcnt(32) lgkmcnt(0)
	v_mul_f32_e32 v39, v34, v205
	v_fmac_f32_e32 v39, v35, v204
	v_add_f32_e32 v42, v38, v39
	ds_read2_b64 v[38:41], v20 offset0:65 offset1:66
	s_waitcnt vmcnt(30)
	v_mul_f32_e32 v43, v36, v207
	v_fmac_f32_e32 v43, v37, v206
	v_add_f32_e32 v46, v42, v43
	ds_read2_b64 v[42:45], v20 offset0:67 offset1:68
	s_waitcnt vmcnt(28) lgkmcnt(1)
	v_mul_f32_e32 v47, v38, v209
	v_fmac_f32_e32 v47, v39, v208
	v_add_f32_e32 v46, v46, v47
	s_waitcnt vmcnt(26)
	v_mul_f32_e32 v47, v40, v211
	;; [unrolled: 18-line block ×4, first 2 shown]
	v_fmac_f32_e32 v63, v57, v226
	v_add_f32_e32 v62, v62, v63
	s_waitcnt vmcnt(8) lgkmcnt(0)
	v_mul_f32_e32 v63, v58, v229
	v_fmac_f32_e32 v63, v59, v228
	s_waitcnt vmcnt(6)
	v_mul_f32_e32 v155, v60, v231
	v_add_f32_e32 v154, v62, v63
	v_fmac_f32_e32 v155, v61, v230
	ds_read2_b64 v[62:65], v20 offset0:77 offset1:78
	v_add_f32_e32 v159, v154, v155
	ds_read2_b64 v[154:157], v20 offset0:79 offset1:80
	buffer_load_dword v165, off, s[0:3], 0 offset:316
	buffer_load_dword v164, off, s[0:3], 0 offset:312
	;; [unrolled: 1-line block ×16, first 2 shown]
	v_mul_f32_e32 v5, v5, v21
	v_fma_f32 v4, v4, v183, -v5
	v_mul_f32_e32 v5, v7, v158
	v_add_f32_e32 v4, 0, v4
	v_fma_f32 v5, v6, v184, -v5
	v_add_f32_e32 v4, v4, v5
	v_mul_f32_e32 v5, v9, v160
	v_fma_f32 v5, v8, v185, -v5
	v_add_f32_e32 v4, v4, v5
	v_mul_f32_e32 v5, v11, v162
	;; [unrolled: 3-line block ×26, first 2 shown]
	v_fma_f32 v5, v60, v230, -v5
	v_add_f32_e32 v4, v4, v5
	s_waitcnt vmcnt(20) lgkmcnt(1)
	v_mul_f32_e32 v5, v63, v233
	v_mul_f32_e32 v161, v62, v233
	v_fma_f32 v5, v62, v232, -v5
	v_fmac_f32_e32 v161, v63, v232
	v_add_f32_e32 v158, v4, v5
	s_waitcnt vmcnt(18)
	v_mul_f32_e32 v4, v65, v235
	s_waitcnt vmcnt(9)
	v_mov_b32_e32 v22, v171
	v_add_f32_e32 v159, v159, v161
	v_mul_f32_e32 v161, v64, v235
	v_fma_f32 v160, v64, v234, -v4
	s_waitcnt lgkmcnt(0)
	v_mul_f32_e32 v4, v155, v237
	v_pk_mul_f32 v[22:23], v[156:157], v[22:23] op_sel_hi:[1,0]
	v_fmac_f32_e32 v161, v65, v234
	v_mul_f32_e32 v163, v154, v237
	v_fma_f32 v162, v154, v236, -v4
	ds_read2_b64 v[4:7], v20 offset0:81 offset1:82
	ds_read2_b64 v[8:11], v20 offset0:83 offset1:84
	;; [unrolled: 1-line block ×3, first 2 shown]
	ds_read_b64 v[16:17], v20 offset:696
	s_waitcnt vmcnt(8)
	v_pk_fma_f32 v[24:25], v[156:157], v[170:171], v[22:23] op_sel:[0,0,1] op_sel_hi:[1,1,0] neg_lo:[0,0,1] neg_hi:[0,0,1]
	v_pk_fma_f32 v[22:23], v[156:157], v[170:171], v[22:23] op_sel:[0,0,1] op_sel_hi:[1,0,0]
	v_fmac_f32_e32 v163, v155, v236
	v_pk_add_f32 v[18:19], v[158:159], v[160:161]
	v_mov_b32_e32 v22, v169
	v_pk_add_f32 v[18:19], v[18:19], v[162:163]
	v_mov_b32_e32 v25, v23
	s_waitcnt lgkmcnt(3)
	v_pk_mul_f32 v[22:23], v[4:5], v[22:23] op_sel_hi:[1,0]
	v_pk_add_f32 v[18:19], v[18:19], v[24:25]
	v_pk_fma_f32 v[24:25], v[4:5], v[168:169], v[22:23] op_sel:[0,0,1] op_sel_hi:[1,1,0] neg_lo:[0,0,1] neg_hi:[0,0,1]
	v_pk_fma_f32 v[4:5], v[4:5], v[168:169], v[22:23] op_sel:[0,0,1] op_sel_hi:[1,0,0]
	v_mov_b32_e32 v25, v5
	v_pk_add_f32 v[4:5], v[18:19], v[24:25]
	v_mov_b32_e32 v18, v167
	v_pk_mul_f32 v[18:19], v[6:7], v[18:19] op_sel_hi:[1,0]
	v_pk_fma_f32 v[22:23], v[6:7], v[166:167], v[18:19] op_sel:[0,0,1] op_sel_hi:[1,1,0] neg_lo:[0,0,1] neg_hi:[0,0,1]
	v_pk_fma_f32 v[6:7], v[6:7], v[166:167], v[18:19] op_sel:[0,0,1] op_sel_hi:[1,0,0]
	v_mov_b32_e32 v6, v165
	v_mov_b32_e32 v23, v7
	s_waitcnt lgkmcnt(2)
	v_pk_mul_f32 v[6:7], v[8:9], v[6:7] op_sel_hi:[1,0]
	v_pk_fma_f32 v[18:19], v[8:9], v[164:165], v[6:7] op_sel:[0,0,1] op_sel_hi:[1,1,0] neg_lo:[0,0,1] neg_hi:[0,0,1]
	v_pk_fma_f32 v[6:7], v[8:9], v[164:165], v[6:7] op_sel:[0,0,1] op_sel_hi:[1,0,0]
	s_waitcnt vmcnt(1)
	v_mov_b32_e32 v6, v179
	v_mov_b32_e32 v19, v7
	v_pk_mul_f32 v[6:7], v[10:11], v[6:7] op_sel_hi:[1,0]
	s_waitcnt vmcnt(0)
	v_pk_fma_f32 v[8:9], v[10:11], v[178:179], v[6:7] op_sel:[0,0,1] op_sel_hi:[1,1,0] neg_lo:[0,0,1] neg_hi:[0,0,1]
	v_pk_fma_f32 v[6:7], v[10:11], v[178:179], v[6:7] op_sel:[0,0,1] op_sel_hi:[1,0,0]
	v_pk_add_f32 v[4:5], v[4:5], v[22:23]
	v_mov_b32_e32 v6, v177
	v_pk_add_f32 v[4:5], v[4:5], v[18:19]
	v_mov_b32_e32 v9, v7
	s_waitcnt lgkmcnt(1)
	v_pk_mul_f32 v[6:7], v[12:13], v[6:7] op_sel_hi:[1,0]
	v_pk_add_f32 v[4:5], v[4:5], v[8:9]
	v_pk_fma_f32 v[8:9], v[12:13], v[176:177], v[6:7] op_sel:[0,0,1] op_sel_hi:[1,1,0] neg_lo:[0,0,1] neg_hi:[0,0,1]
	v_pk_fma_f32 v[6:7], v[12:13], v[176:177], v[6:7] op_sel:[0,0,1] op_sel_hi:[1,0,0]
	v_mov_b32_e32 v6, v175
	v_mov_b32_e32 v9, v7
	v_pk_mul_f32 v[6:7], v[14:15], v[6:7] op_sel_hi:[1,0]
	v_pk_add_f32 v[4:5], v[4:5], v[8:9]
	v_pk_fma_f32 v[8:9], v[14:15], v[174:175], v[6:7] op_sel:[0,0,1] op_sel_hi:[1,1,0] neg_lo:[0,0,1] neg_hi:[0,0,1]
	v_pk_fma_f32 v[6:7], v[14:15], v[174:175], v[6:7] op_sel:[0,0,1] op_sel_hi:[1,0,0]
	v_mov_b32_e32 v6, v173
	v_mov_b32_e32 v9, v7
	s_waitcnt lgkmcnt(0)
	v_pk_mul_f32 v[6:7], v[16:17], v[6:7] op_sel_hi:[1,0]
	v_pk_add_f32 v[4:5], v[4:5], v[8:9]
	v_pk_fma_f32 v[8:9], v[16:17], v[172:173], v[6:7] op_sel:[0,0,1] op_sel_hi:[1,1,0] neg_lo:[0,0,1] neg_hi:[0,0,1]
	v_pk_fma_f32 v[6:7], v[16:17], v[172:173], v[6:7] op_sel:[0,0,1] op_sel_hi:[1,0,0]
	v_mov_b32_e32 v9, v7
	v_pk_add_f32 v[4:5], v[4:5], v[8:9]
	v_pk_add_f32 v[2:3], v[2:3], v[4:5] neg_lo:[0,1] neg_hi:[0,1]
	buffer_store_dword v3, off, s[0:3], 0 offset:36
	buffer_store_dword v2, off, s[0:3], 0 offset:32
	s_and_saveexec_b64 s[4:5], vcc
	s_cbranch_execz .LBB43_271
; %bb.270:
	buffer_load_dword v2, off, s[0:3], 0 offset:24
	buffer_load_dword v3, off, s[0:3], 0 offset:28
	s_waitcnt vmcnt(0)
	ds_write_b64 v1, v[2:3]
	buffer_store_dword v20, off, s[0:3], 0 offset:24
	buffer_store_dword v20, off, s[0:3], 0 offset:28
.LBB43_271:
	s_or_b64 exec, exec, s[4:5]
	s_waitcnt lgkmcnt(0)
	; wave barrier
	s_waitcnt lgkmcnt(0)
	buffer_load_dword v21, off, s[0:3], 0 offset:36
	buffer_load_dword v158, off, s[0:3], 0 offset:44
	;; [unrolled: 1-line block ×26, first 2 shown]
	ds_read_b128 v[14:17], v20 offset:384
	ds_read_b128 v[6:9], v20 offset:400
	buffer_load_dword v200, off, s[0:3], 0 offset:128
	buffer_load_dword v201, off, s[0:3], 0 offset:132
	ds_read_b128 v[10:13], v20 offset:416
	ds_read_b128 v[2:5], v20 offset:432
	buffer_load_dword v202, off, s[0:3], 0 offset:136
	buffer_load_dword v203, off, s[0:3], 0 offset:140
	;; [unrolled: 1-line block ×32, first 2 shown]
	v_cmp_lt_u32_e32 vcc, 2, v0
	s_waitcnt vmcnt(59) lgkmcnt(3)
	v_mul_f32_e32 v22, v14, v21
	s_waitcnt vmcnt(58)
	v_mul_f32_e32 v23, v16, v158
	s_waitcnt vmcnt(57) lgkmcnt(2)
	v_mul_f32_e32 v24, v6, v160
	s_waitcnt vmcnt(56)
	v_mul_f32_e32 v25, v8, v168
	;; [unrolled: 4-line block ×4, first 2 shown]
	s_waitcnt vmcnt(51)
	v_fmac_f32_e32 v22, v15, v184
	s_waitcnt vmcnt(50)
	v_fmac_f32_e32 v23, v17, v185
	v_add_f32_e32 v22, 0, v22
	s_waitcnt vmcnt(49)
	v_fmac_f32_e32 v24, v7, v186
	v_add_f32_e32 v22, v22, v23
	s_waitcnt vmcnt(48)
	v_fmac_f32_e32 v25, v9, v187
	v_add_f32_e32 v22, v22, v24
	s_waitcnt vmcnt(47)
	v_fmac_f32_e32 v26, v11, v188
	v_add_f32_e32 v22, v22, v25
	s_waitcnt vmcnt(46)
	v_fmac_f32_e32 v27, v13, v189
	v_add_f32_e32 v22, v22, v26
	s_waitcnt vmcnt(45)
	v_fmac_f32_e32 v28, v3, v190
	v_add_f32_e32 v22, v22, v27
	v_add_f32_e32 v26, v22, v28
	ds_read_b128 v[22:25], v20 offset:448
	s_waitcnt vmcnt(44)
	v_fmac_f32_e32 v29, v5, v191
	buffer_load_dword v234, off, s[0:3], 0 offset:264
	buffer_load_dword v235, off, s[0:3], 0 offset:268
	v_add_f32_e32 v30, v26, v29
	buffer_load_dword v236, off, s[0:3], 0 offset:272
	buffer_load_dword v237, off, s[0:3], 0 offset:276
	ds_read_b128 v[26:29], v20 offset:464
	s_waitcnt vmcnt(47) lgkmcnt(1)
	v_mul_f32_e32 v31, v22, v192
	s_waitcnt vmcnt(46)
	v_fmac_f32_e32 v31, v23, v193
	v_add_f32_e32 v30, v30, v31
	s_waitcnt vmcnt(45)
	v_mul_f32_e32 v31, v24, v194
	s_waitcnt vmcnt(44)
	v_fmac_f32_e32 v31, v25, v195
	v_add_f32_e32 v30, v30, v31
	s_waitcnt vmcnt(41) lgkmcnt(0)
	v_mul_f32_e32 v31, v26, v196
	s_waitcnt vmcnt(40)
	v_fmac_f32_e32 v31, v27, v197
	buffer_load_dword v238, off, s[0:3], 0 offset:280
	buffer_load_dword v239, off, s[0:3], 0 offset:284
	v_add_f32_e32 v34, v30, v31
	ds_read_b128 v[30:33], v20 offset:480
	s_waitcnt vmcnt(40)
	v_mul_f32_e32 v35, v28, v199
	v_fmac_f32_e32 v35, v29, v198
	v_add_f32_e32 v38, v34, v35
	ds_read_b128 v[34:37], v20 offset:496
	s_waitcnt vmcnt(38) lgkmcnt(1)
	v_mul_f32_e32 v39, v30, v201
	v_fmac_f32_e32 v39, v31, v200
	v_add_f32_e32 v38, v38, v39
	s_waitcnt vmcnt(36)
	v_mul_f32_e32 v39, v32, v203
	v_fmac_f32_e32 v39, v33, v202
	v_add_f32_e32 v38, v38, v39
	s_waitcnt vmcnt(34) lgkmcnt(0)
	v_mul_f32_e32 v39, v34, v205
	v_fmac_f32_e32 v39, v35, v204
	v_add_f32_e32 v42, v38, v39
	ds_read_b128 v[38:41], v20 offset:512
	s_waitcnt vmcnt(32)
	v_mul_f32_e32 v43, v36, v207
	v_fmac_f32_e32 v43, v37, v206
	v_add_f32_e32 v46, v42, v43
	ds_read_b128 v[42:45], v20 offset:528
	s_waitcnt vmcnt(30) lgkmcnt(1)
	v_mul_f32_e32 v47, v38, v209
	v_fmac_f32_e32 v47, v39, v208
	v_add_f32_e32 v46, v46, v47
	s_waitcnt vmcnt(28)
	v_mul_f32_e32 v47, v40, v211
	v_fmac_f32_e32 v47, v41, v210
	v_add_f32_e32 v46, v46, v47
	s_waitcnt vmcnt(26) lgkmcnt(0)
	v_mul_f32_e32 v47, v42, v213
	v_fmac_f32_e32 v47, v43, v212
	;; [unrolled: 18-line block ×4, first 2 shown]
	s_waitcnt vmcnt(8)
	v_mul_f32_e32 v155, v60, v231
	v_add_f32_e32 v154, v62, v63
	v_fmac_f32_e32 v155, v61, v230
	ds_read_b128 v[62:65], v20 offset:608
	v_add_f32_e32 v159, v154, v155
	ds_read_b128 v[154:157], v20 offset:624
	buffer_load_dword v163, off, s[0:3], 0 offset:308
	buffer_load_dword v162, off, s[0:3], 0 offset:304
	;; [unrolled: 1-line block ×16, first 2 shown]
	v_mul_f32_e32 v15, v15, v21
	v_fma_f32 v14, v14, v184, -v15
	v_mul_f32_e32 v15, v17, v158
	v_add_f32_e32 v14, 0, v14
	v_fma_f32 v15, v16, v185, -v15
	v_mul_f32_e32 v7, v7, v160
	v_add_f32_e32 v14, v14, v15
	;; [unrolled: 3-line block ×3, first 2 shown]
	v_fma_f32 v7, v8, v187, -v7
	v_add_f32_e32 v6, v6, v7
	v_mul_f32_e32 v7, v11, v180
	v_fma_f32 v7, v10, v188, -v7
	v_add_f32_e32 v6, v6, v7
	v_mul_f32_e32 v7, v13, v181
	v_fma_f32 v7, v12, v189, -v7
	v_mul_f32_e32 v3, v3, v182
	v_add_f32_e32 v6, v6, v7
	v_fma_f32 v2, v2, v190, -v3
	v_mul_f32_e32 v3, v5, v183
	v_add_f32_e32 v2, v6, v2
	v_fma_f32 v3, v4, v191, -v3
	v_add_f32_e32 v2, v2, v3
	v_mul_f32_e32 v3, v23, v192
	v_fma_f32 v3, v22, v193, -v3
	v_add_f32_e32 v2, v2, v3
	v_mul_f32_e32 v3, v25, v194
	;; [unrolled: 3-line block ×20, first 2 shown]
	v_fma_f32 v3, v60, v230, -v3
	v_add_f32_e32 v2, v2, v3
	s_waitcnt vmcnt(22) lgkmcnt(1)
	v_mul_f32_e32 v3, v63, v233
	v_fma_f32 v3, v62, v232, -v3
	v_add_f32_e32 v2, v2, v3
	s_waitcnt vmcnt(20)
	v_mul_f32_e32 v3, v65, v235
	v_mul_f32_e32 v161, v62, v233
	v_fma_f32 v3, v64, v234, -v3
	v_fmac_f32_e32 v161, v63, v232
	v_add_f32_e32 v158, v2, v3
	s_waitcnt vmcnt(18) lgkmcnt(0)
	v_mul_f32_e32 v2, v155, v237
	v_add_f32_e32 v159, v159, v161
	v_mul_f32_e32 v161, v64, v235
	v_fma_f32 v160, v154, v236, -v2
	s_waitcnt vmcnt(16)
	v_mul_f32_e32 v2, v157, v239
	v_fmac_f32_e32 v161, v65, v234
	v_fma_f32 v168, v156, v238, -v2
	ds_read_b128 v[2:5], v20 offset:640
	ds_read_b128 v[6:9], v20 offset:656
	;; [unrolled: 1-line block ×4, first 2 shown]
	v_add_f32_e32 v159, v159, v161
	v_mul_f32_e32 v161, v154, v237
	s_waitcnt vmcnt(11)
	v_mov_b32_e32 v22, v167
	v_fmac_f32_e32 v161, v155, v236
	v_mul_f32_e32 v169, v156, v239
	s_waitcnt lgkmcnt(3)
	v_pk_mul_f32 v[22:23], v[2:3], v[22:23] op_sel_hi:[1,0]
	v_fmac_f32_e32 v169, v157, v238
	v_pk_add_f32 v[20:21], v[158:159], v[160:161]
	s_waitcnt vmcnt(10)
	v_pk_fma_f32 v[24:25], v[2:3], v[166:167], v[22:23] op_sel:[0,0,1] op_sel_hi:[1,1,0] neg_lo:[0,0,1] neg_hi:[0,0,1]
	v_pk_fma_f32 v[2:3], v[2:3], v[166:167], v[22:23] op_sel:[0,0,1] op_sel_hi:[1,0,0]
	v_pk_add_f32 v[20:21], v[20:21], v[168:169]
	v_mov_b32_e32 v25, v3
	v_pk_add_f32 v[2:3], v[20:21], v[24:25]
	v_mov_b32_e32 v20, v165
	v_pk_mul_f32 v[20:21], v[4:5], v[20:21] op_sel_hi:[1,0]
	v_pk_fma_f32 v[22:23], v[4:5], v[164:165], v[20:21] op_sel:[0,0,1] op_sel_hi:[1,1,0] neg_lo:[0,0,1] neg_hi:[0,0,1]
	v_pk_fma_f32 v[4:5], v[4:5], v[164:165], v[20:21] op_sel:[0,0,1] op_sel_hi:[1,0,0]
	v_mov_b32_e32 v4, v163
	v_mov_b32_e32 v23, v5
	s_waitcnt lgkmcnt(2)
	v_pk_mul_f32 v[4:5], v[6:7], v[4:5] op_sel_hi:[1,0]
	v_pk_fma_f32 v[20:21], v[6:7], v[162:163], v[4:5] op_sel:[0,0,1] op_sel_hi:[1,1,0] neg_lo:[0,0,1] neg_hi:[0,0,1]
	v_pk_fma_f32 v[4:5], v[6:7], v[162:163], v[4:5] op_sel:[0,0,1] op_sel_hi:[1,0,0]
	s_waitcnt vmcnt(3)
	v_mov_b32_e32 v4, v177
	v_mov_b32_e32 v21, v5
	v_pk_mul_f32 v[4:5], v[8:9], v[4:5] op_sel_hi:[1,0]
	s_waitcnt vmcnt(2)
	v_pk_fma_f32 v[6:7], v[8:9], v[176:177], v[4:5] op_sel:[0,0,1] op_sel_hi:[1,1,0] neg_lo:[0,0,1] neg_hi:[0,0,1]
	v_pk_fma_f32 v[4:5], v[8:9], v[176:177], v[4:5] op_sel:[0,0,1] op_sel_hi:[1,0,0]
	v_pk_add_f32 v[2:3], v[2:3], v[22:23]
	v_mov_b32_e32 v4, v175
	v_pk_add_f32 v[2:3], v[2:3], v[20:21]
	v_mov_b32_e32 v7, v5
	s_waitcnt lgkmcnt(1)
	v_pk_mul_f32 v[4:5], v[10:11], v[4:5] op_sel_hi:[1,0]
	v_pk_add_f32 v[2:3], v[2:3], v[6:7]
	v_pk_fma_f32 v[6:7], v[10:11], v[174:175], v[4:5] op_sel:[0,0,1] op_sel_hi:[1,1,0] neg_lo:[0,0,1] neg_hi:[0,0,1]
	v_pk_fma_f32 v[4:5], v[10:11], v[174:175], v[4:5] op_sel:[0,0,1] op_sel_hi:[1,0,0]
	v_mov_b32_e32 v4, v173
	v_mov_b32_e32 v7, v5
	v_pk_mul_f32 v[4:5], v[12:13], v[4:5] op_sel_hi:[1,0]
	v_pk_add_f32 v[2:3], v[2:3], v[6:7]
	v_pk_fma_f32 v[6:7], v[12:13], v[172:173], v[4:5] op_sel:[0,0,1] op_sel_hi:[1,1,0] neg_lo:[0,0,1] neg_hi:[0,0,1]
	v_pk_fma_f32 v[4:5], v[12:13], v[172:173], v[4:5] op_sel:[0,0,1] op_sel_hi:[1,0,0]
	v_mov_b32_e32 v4, v171
	v_mov_b32_e32 v7, v5
	s_waitcnt lgkmcnt(0)
	v_pk_mul_f32 v[4:5], v[14:15], v[4:5] op_sel_hi:[1,0]
	v_pk_add_f32 v[2:3], v[2:3], v[6:7]
	v_pk_fma_f32 v[6:7], v[14:15], v[170:171], v[4:5] op_sel:[0,0,1] op_sel_hi:[1,1,0] neg_lo:[0,0,1] neg_hi:[0,0,1]
	v_pk_fma_f32 v[4:5], v[14:15], v[170:171], v[4:5] op_sel:[0,0,1] op_sel_hi:[1,0,0]
	s_waitcnt vmcnt(1)
	v_mov_b32_e32 v4, v179
	v_mov_b32_e32 v7, v5
	v_pk_mul_f32 v[4:5], v[16:17], v[4:5] op_sel_hi:[1,0]
	v_pk_add_f32 v[2:3], v[2:3], v[6:7]
	s_waitcnt vmcnt(0)
	v_pk_fma_f32 v[6:7], v[16:17], v[178:179], v[4:5] op_sel:[0,0,1] op_sel_hi:[1,1,0] neg_lo:[0,0,1] neg_hi:[0,0,1]
	v_pk_fma_f32 v[4:5], v[16:17], v[178:179], v[4:5] op_sel:[0,0,1] op_sel_hi:[1,0,0]
	v_mov_b32_e32 v7, v5
	v_pk_add_f32 v[2:3], v[2:3], v[6:7]
	v_pk_add_f32 v[2:3], v[18:19], v[2:3] neg_lo:[0,1] neg_hi:[0,1]
	buffer_store_dword v3, off, s[0:3], 0 offset:28
	buffer_store_dword v2, off, s[0:3], 0 offset:24
	s_and_saveexec_b64 s[4:5], vcc
	s_cbranch_execz .LBB43_273
; %bb.272:
	buffer_load_dword v2, off, s[0:3], 0 offset:16
	buffer_load_dword v3, off, s[0:3], 0 offset:20
	v_mov_b32_e32 v4, 0
	buffer_store_dword v4, off, s[0:3], 0 offset:16
	buffer_store_dword v4, off, s[0:3], 0 offset:20
	s_waitcnt vmcnt(2)
	ds_write_b64 v1, v[2:3]
.LBB43_273:
	s_or_b64 exec, exec, s[4:5]
	s_waitcnt lgkmcnt(0)
	; wave barrier
	s_waitcnt lgkmcnt(0)
	buffer_load_dword v158, off, s[0:3], 0 offset:28
	buffer_load_dword v163, off, s[0:3], 0 offset:36
	;; [unrolled: 1-line block ×24, first 2 shown]
	v_mov_b32_e32 v162, 0
	buffer_load_dword v206, off, s[0:3], 0 offset:112
	buffer_load_dword v207, off, s[0:3], 0 offset:116
	;; [unrolled: 1-line block ×32, first 2 shown]
	ds_read2_b64 v[18:21], v162 offset0:47 offset1:48
	ds_read2_b64 v[14:17], v162 offset0:49 offset1:50
	;; [unrolled: 1-line block ×5, first 2 shown]
	buffer_load_dword v238, off, s[0:3], 0 offset:240
	buffer_load_dword v239, off, s[0:3], 0 offset:244
	buffer_load_dword v240, off, s[0:3], 0 offset:248
	buffer_load_dword v241, off, s[0:3], 0 offset:252
	v_cmp_lt_u32_e32 vcc, 1, v0
	s_waitcnt vmcnt(59) lgkmcnt(4)
	v_mul_f32_e32 v22, v18, v158
	s_waitcnt vmcnt(58)
	v_mul_f32_e32 v23, v20, v163
	s_waitcnt vmcnt(57) lgkmcnt(3)
	v_mul_f32_e32 v24, v14, v172
	s_waitcnt vmcnt(56)
	v_mul_f32_e32 v25, v16, v174
	s_waitcnt vmcnt(55) lgkmcnt(2)
	v_mul_f32_e32 v26, v10, v188
	s_waitcnt vmcnt(54)
	v_mul_f32_e32 v27, v12, v189
	s_waitcnt vmcnt(53) lgkmcnt(1)
	v_mul_f32_e32 v28, v6, v190
	s_waitcnt vmcnt(52)
	v_mul_f32_e32 v29, v8, v191
	s_waitcnt vmcnt(51)
	v_fmac_f32_e32 v22, v19, v192
	s_waitcnt vmcnt(50)
	v_fmac_f32_e32 v23, v21, v193
	v_add_f32_e32 v22, 0, v22
	s_waitcnt vmcnt(49)
	v_fmac_f32_e32 v24, v15, v194
	v_add_f32_e32 v22, v22, v23
	;; [unrolled: 3-line block ×7, first 2 shown]
	v_add_f32_e32 v26, v22, v29
	ds_read2_b64 v[22:25], v162 offset0:57 offset1:58
	buffer_load_dword v242, off, s[0:3], 0 offset:256
	buffer_load_dword v243, off, s[0:3], 0 offset:260
	;; [unrolled: 1-line block ×4, first 2 shown]
	s_waitcnt vmcnt(47) lgkmcnt(1)
	v_mul_f32_e32 v27, v2, v200
	s_waitcnt vmcnt(46)
	v_fmac_f32_e32 v27, v3, v201
	v_add_f32_e32 v26, v26, v27
	s_waitcnt vmcnt(45)
	v_mul_f32_e32 v27, v4, v202
	s_waitcnt vmcnt(44)
	v_fmac_f32_e32 v27, v5, v203
	buffer_load_dword v246, off, s[0:3], 0 offset:272
	buffer_load_dword v247, off, s[0:3], 0 offset:276
	;; [unrolled: 1-line block ×4, first 2 shown]
	ds_read2_b64 v[34:37], v162 offset0:59 offset1:60
	ds_read2_b64 v[30:33], v162 offset0:61 offset1:62
	v_add_f32_e32 v26, v26, v27
	s_waitcnt vmcnt(47) lgkmcnt(2)
	v_mul_f32_e32 v27, v22, v204
	s_waitcnt vmcnt(44)
	v_fmac_f32_e32 v27, v23, v205
	v_add_f32_e32 v26, v26, v27
	s_waitcnt vmcnt(42)
	v_mul_f32_e32 v27, v24, v207
	v_fmac_f32_e32 v27, v25, v206
	v_add_f32_e32 v26, v26, v27
	s_waitcnt vmcnt(40) lgkmcnt(1)
	v_mul_f32_e32 v27, v34, v209
	v_fmac_f32_e32 v27, v35, v208
	v_add_f32_e32 v26, v26, v27
	s_waitcnt vmcnt(38)
	v_mul_f32_e32 v27, v36, v211
	v_fmac_f32_e32 v27, v37, v210
	ds_read2_b64 v[42:45], v162 offset0:63 offset1:64
	ds_read2_b64 v[38:41], v162 offset0:65 offset1:66
	v_add_f32_e32 v26, v26, v27
	s_waitcnt vmcnt(36) lgkmcnt(2)
	v_mul_f32_e32 v27, v30, v213
	v_fmac_f32_e32 v27, v31, v212
	v_add_f32_e32 v26, v26, v27
	s_waitcnt vmcnt(34)
	v_mul_f32_e32 v27, v32, v215
	v_fmac_f32_e32 v27, v33, v214
	v_add_f32_e32 v26, v26, v27
	s_waitcnt vmcnt(32) lgkmcnt(1)
	v_mul_f32_e32 v27, v42, v217
	v_fmac_f32_e32 v27, v43, v216
	v_add_f32_e32 v26, v26, v27
	s_waitcnt vmcnt(30)
	v_mul_f32_e32 v27, v44, v219
	v_fmac_f32_e32 v27, v45, v218
	ds_read2_b64 v[50:53], v162 offset0:67 offset1:68
	ds_read2_b64 v[46:49], v162 offset0:69 offset1:70
	v_add_f32_e32 v26, v26, v27
	s_waitcnt vmcnt(28) lgkmcnt(2)
	v_mul_f32_e32 v27, v38, v221
	;; [unrolled: 18-line block ×4, first 2 shown]
	v_fmac_f32_e32 v27, v55, v236
	v_add_f32_e32 v26, v26, v27
	s_waitcnt vmcnt(10)
	v_mul_f32_e32 v27, v56, v239
	v_fmac_f32_e32 v27, v57, v238
	v_add_f32_e32 v26, v26, v27
	s_waitcnt vmcnt(8) lgkmcnt(1)
	v_mul_f32_e32 v27, v164, v241
	v_fmac_f32_e32 v27, v165, v240
	v_add_f32_e32 v26, v26, v27
	v_mul_f32_e32 v19, v19, v158
	v_fma_f32 v18, v18, v192, -v19
	v_mul_f32_e32 v19, v21, v163
	s_waitcnt vmcnt(6)
	v_mul_f32_e32 v27, v166, v243
	v_fmac_f32_e32 v27, v167, v242
	v_add_f32_e32 v26, v26, v27
	s_waitcnt vmcnt(4) lgkmcnt(0)
	v_mul_f32_e32 v27, v62, v245
	v_fmac_f32_e32 v27, v63, v244
	v_add_f32_e32 v159, v26, v27
	ds_read2_b64 v[26:29], v162 offset0:79 offset1:80
	buffer_load_dword v157, off, s[0:3], 0 offset:300
	buffer_load_dword v156, off, s[0:3], 0 offset:296
	;; [unrolled: 1-line block ×4, first 2 shown]
	ds_read2_b64 v[168:171], v162 offset0:81 offset1:82
	buffer_load_dword v177, off, s[0:3], 0 offset:332
	buffer_load_dword v176, off, s[0:3], 0 offset:328
	;; [unrolled: 1-line block ×12, first 2 shown]
	v_add_f32_e32 v18, 0, v18
	v_fma_f32 v19, v20, v193, -v19
	v_mul_f32_e32 v15, v15, v172
	v_add_f32_e32 v18, v18, v19
	v_fma_f32 v14, v14, v194, -v15
	v_mul_f32_e32 v15, v17, v174
	;; [unrolled: 3-line block ×8, first 2 shown]
	v_add_f32_e32 v2, v6, v2
	v_fma_f32 v3, v4, v203, -v3
	v_add_f32_e32 v2, v2, v3
	v_mul_f32_e32 v3, v23, v204
	v_fma_f32 v3, v22, v205, -v3
	v_add_f32_e32 v2, v2, v3
	v_mul_f32_e32 v3, v25, v207
	;; [unrolled: 3-line block ×21, first 2 shown]
	v_fma_f32 v3, v62, v244, -v3
	s_waitcnt vmcnt(13)
	v_mov_b32_e32 v14, v161
	v_mul_f32_e32 v173, v64, v247
	v_add_f32_e32 v158, v2, v3
	v_mul_f32_e32 v2, v65, v247
	s_waitcnt lgkmcnt(1)
	v_pk_mul_f32 v[14:15], v[28:29], v[14:15] op_sel_hi:[1,0]
	v_fmac_f32_e32 v173, v65, v246
	v_mul_f32_e32 v175, v26, v249
	v_fma_f32 v172, v64, v246, -v2
	v_mul_f32_e32 v2, v27, v249
	s_waitcnt vmcnt(12)
	v_pk_fma_f32 v[16:17], v[28:29], v[160:161], v[14:15] op_sel:[0,0,1] op_sel_hi:[1,1,0] neg_lo:[0,0,1] neg_hi:[0,0,1]
	v_pk_fma_f32 v[14:15], v[28:29], v[160:161], v[14:15] op_sel:[0,0,1] op_sel_hi:[1,0,0]
	v_fmac_f32_e32 v175, v27, v248
	v_fma_f32 v174, v26, v248, -v2
	v_pk_add_f32 v[12:13], v[158:159], v[172:173]
	v_mov_b32_e32 v14, v157
	v_pk_add_f32 v[12:13], v[12:13], v[174:175]
	v_mov_b32_e32 v17, v15
	s_waitcnt lgkmcnt(0)
	v_pk_mul_f32 v[14:15], v[168:169], v[14:15] op_sel_hi:[1,0]
	v_pk_add_f32 v[12:13], v[12:13], v[16:17]
	v_pk_fma_f32 v[16:17], v[168:169], v[156:157], v[14:15] op_sel:[0,0,1] op_sel_hi:[1,1,0] neg_lo:[0,0,1] neg_hi:[0,0,1]
	v_pk_fma_f32 v[14:15], v[168:169], v[156:157], v[14:15] op_sel:[0,0,1] op_sel_hi:[1,0,0]
	s_waitcnt vmcnt(5)
	v_mov_b32_e32 v14, v183
	ds_read2_b64 v[2:5], v162 offset0:83 offset1:84
	ds_read2_b64 v[6:9], v162 offset0:85 offset1:86
	ds_read_b64 v[10:11], v162 offset:696
	v_mov_b32_e32 v17, v15
	v_pk_mul_f32 v[14:15], v[170:171], v[14:15] op_sel_hi:[1,0]
	v_pk_add_f32 v[12:13], v[12:13], v[16:17]
	s_waitcnt vmcnt(4)
	v_pk_fma_f32 v[16:17], v[170:171], v[182:183], v[14:15] op_sel:[0,0,1] op_sel_hi:[1,1,0] neg_lo:[0,0,1] neg_hi:[0,0,1]
	v_pk_fma_f32 v[14:15], v[170:171], v[182:183], v[14:15] op_sel:[0,0,1] op_sel_hi:[1,0,0]
	v_mov_b32_e32 v14, v181
	v_mov_b32_e32 v17, v15
	s_waitcnt lgkmcnt(2)
	v_pk_mul_f32 v[14:15], v[2:3], v[14:15] op_sel_hi:[1,0]
	v_pk_add_f32 v[12:13], v[12:13], v[16:17]
	v_pk_fma_f32 v[16:17], v[2:3], v[180:181], v[14:15] op_sel:[0,0,1] op_sel_hi:[1,1,0] neg_lo:[0,0,1] neg_hi:[0,0,1]
	v_pk_fma_f32 v[2:3], v[2:3], v[180:181], v[14:15] op_sel:[0,0,1] op_sel_hi:[1,0,0]
	v_mov_b32_e32 v17, v3
	v_pk_add_f32 v[2:3], v[12:13], v[16:17]
	v_mov_b32_e32 v12, v179
	v_pk_mul_f32 v[12:13], v[4:5], v[12:13] op_sel_hi:[1,0]
	v_pk_fma_f32 v[14:15], v[4:5], v[178:179], v[12:13] op_sel:[0,0,1] op_sel_hi:[1,1,0] neg_lo:[0,0,1] neg_hi:[0,0,1]
	v_pk_fma_f32 v[4:5], v[4:5], v[178:179], v[12:13] op_sel:[0,0,1] op_sel_hi:[1,0,0]
	v_mov_b32_e32 v4, v177
	v_mov_b32_e32 v15, v5
	s_waitcnt lgkmcnt(1)
	v_pk_mul_f32 v[4:5], v[6:7], v[4:5] op_sel_hi:[1,0]
	v_pk_fma_f32 v[12:13], v[6:7], v[176:177], v[4:5] op_sel:[0,0,1] op_sel_hi:[1,1,0] neg_lo:[0,0,1] neg_hi:[0,0,1]
	v_pk_fma_f32 v[4:5], v[6:7], v[176:177], v[4:5] op_sel:[0,0,1] op_sel_hi:[1,0,0]
	s_waitcnt vmcnt(1)
	v_mov_b32_e32 v4, v187
	v_mov_b32_e32 v13, v5
	v_pk_mul_f32 v[4:5], v[8:9], v[4:5] op_sel_hi:[1,0]
	s_waitcnt vmcnt(0)
	v_pk_fma_f32 v[6:7], v[8:9], v[186:187], v[4:5] op_sel:[0,0,1] op_sel_hi:[1,1,0] neg_lo:[0,0,1] neg_hi:[0,0,1]
	v_pk_fma_f32 v[4:5], v[8:9], v[186:187], v[4:5] op_sel:[0,0,1] op_sel_hi:[1,0,0]
	v_pk_add_f32 v[2:3], v[2:3], v[14:15]
	v_mov_b32_e32 v4, v185
	v_pk_add_f32 v[2:3], v[2:3], v[12:13]
	v_mov_b32_e32 v7, v5
	s_waitcnt lgkmcnt(0)
	v_pk_mul_f32 v[4:5], v[10:11], v[4:5] op_sel_hi:[1,0]
	v_pk_add_f32 v[2:3], v[2:3], v[6:7]
	v_pk_fma_f32 v[6:7], v[10:11], v[184:185], v[4:5] op_sel:[0,0,1] op_sel_hi:[1,1,0] neg_lo:[0,0,1] neg_hi:[0,0,1]
	v_pk_fma_f32 v[4:5], v[10:11], v[184:185], v[4:5] op_sel:[0,0,1] op_sel_hi:[1,0,0]
	v_mov_b32_e32 v7, v5
	v_pk_add_f32 v[2:3], v[2:3], v[6:7]
	v_pk_add_f32 v[2:3], v[154:155], v[2:3] neg_lo:[0,1] neg_hi:[0,1]
	buffer_store_dword v3, off, s[0:3], 0 offset:20
	buffer_store_dword v2, off, s[0:3], 0 offset:16
	s_and_saveexec_b64 s[4:5], vcc
	s_cbranch_execz .LBB43_275
; %bb.274:
	buffer_load_dword v2, off, s[0:3], 0 offset:8
	buffer_load_dword v3, off, s[0:3], 0 offset:12
	s_waitcnt vmcnt(0)
	ds_write_b64 v1, v[2:3]
	buffer_store_dword v162, off, s[0:3], 0 offset:8
	buffer_store_dword v162, off, s[0:3], 0 offset:12
.LBB43_275:
	s_or_b64 exec, exec, s[4:5]
	s_waitcnt lgkmcnt(0)
	; wave barrier
	s_waitcnt lgkmcnt(0)
	buffer_load_dword v163, off, s[0:3], 0 offset:20
	buffer_load_dword v168, off, s[0:3], 0 offset:28
	;; [unrolled: 1-line block ×24, first 2 shown]
	ds_read_b128 v[22:25], v162 offset:368
	ds_read_b128 v[18:21], v162 offset:384
	;; [unrolled: 1-line block ×4, first 2 shown]
	buffer_load_dword v206, off, s[0:3], 0 offset:104
	buffer_load_dword v207, off, s[0:3], 0 offset:108
	ds_read_b128 v[10:13], v162 offset:432
	ds_read_b128 v[2:5], v162 offset:448
	buffer_load_dword v208, off, s[0:3], 0 offset:112
	buffer_load_dword v209, off, s[0:3], 0 offset:116
	;; [unrolled: 1-line block ×44, first 2 shown]
	v_cmp_ne_u32_e32 vcc, 0, v0
	ds_read_b128 v[154:157], v162 offset:608
	s_waitcnt vmcnt(62) lgkmcnt(6)
	v_mul_f32_e32 v28, v22, v163
	v_mul_f32_e32 v29, v24, v168
	s_waitcnt lgkmcnt(5)
	v_mul_f32_e32 v30, v18, v170
	v_mul_f32_e32 v31, v20, v172
	s_waitcnt lgkmcnt(4)
	v_mul_f32_e32 v32, v14, v188
	v_mul_f32_e32 v33, v16, v189
	s_waitcnt lgkmcnt(3)
	v_mul_f32_e32 v34, v6, v190
	v_mul_f32_e32 v35, v8, v191
	s_waitcnt vmcnt(61)
	v_fmac_f32_e32 v28, v23, v192
	s_waitcnt vmcnt(60)
	v_fmac_f32_e32 v29, v25, v193
	v_add_f32_e32 v28, 0, v28
	s_waitcnt vmcnt(59)
	v_fmac_f32_e32 v30, v19, v194
	v_add_f32_e32 v28, v28, v29
	;; [unrolled: 3-line block ×7, first 2 shown]
	s_waitcnt vmcnt(53) lgkmcnt(2)
	v_mul_f32_e32 v29, v10, v200
	v_add_f32_e32 v28, v28, v35
	s_waitcnt vmcnt(52)
	v_fmac_f32_e32 v29, v11, v201
	v_add_f32_e32 v28, v28, v29
	s_waitcnt vmcnt(51)
	v_mul_f32_e32 v29, v12, v202
	s_waitcnt vmcnt(50)
	v_fmac_f32_e32 v29, v13, v203
	v_add_f32_e32 v28, v28, v29
	s_waitcnt vmcnt(49) lgkmcnt(1)
	v_mul_f32_e32 v29, v2, v204
	s_waitcnt vmcnt(46)
	v_fmac_f32_e32 v29, v3, v205
	v_add_f32_e32 v32, v28, v29
	ds_read_b128 v[28:31], v162 offset:464
	s_waitcnt vmcnt(44)
	v_mul_f32_e32 v33, v4, v207
	v_fmac_f32_e32 v33, v5, v206
	v_add_f32_e32 v36, v32, v33
	ds_read_b128 v[32:35], v162 offset:480
	s_waitcnt vmcnt(42) lgkmcnt(1)
	v_mul_f32_e32 v37, v28, v209
	v_fmac_f32_e32 v37, v29, v208
	v_add_f32_e32 v36, v36, v37
	s_waitcnt vmcnt(40)
	v_mul_f32_e32 v37, v30, v211
	v_fmac_f32_e32 v37, v31, v210
	v_add_f32_e32 v36, v36, v37
	s_waitcnt vmcnt(38) lgkmcnt(0)
	v_mul_f32_e32 v37, v32, v213
	v_fmac_f32_e32 v37, v33, v212
	v_add_f32_e32 v40, v36, v37
	ds_read_b128 v[36:39], v162 offset:496
	s_waitcnt vmcnt(36)
	v_mul_f32_e32 v41, v34, v215
	v_fmac_f32_e32 v41, v35, v214
	v_add_f32_e32 v44, v40, v41
	ds_read_b128 v[40:43], v162 offset:512
	s_waitcnt vmcnt(34) lgkmcnt(1)
	v_mul_f32_e32 v45, v36, v217
	v_fmac_f32_e32 v45, v37, v216
	v_add_f32_e32 v44, v44, v45
	s_waitcnt vmcnt(32)
	v_mul_f32_e32 v45, v38, v219
	v_fmac_f32_e32 v45, v39, v218
	v_add_f32_e32 v44, v44, v45
	s_waitcnt vmcnt(30) lgkmcnt(0)
	v_mul_f32_e32 v45, v40, v221
	;; [unrolled: 18-line block ×4, first 2 shown]
	v_fmac_f32_e32 v61, v57, v236
	v_add_f32_e32 v64, v60, v61
	ds_read_b128 v[60:63], v162 offset:592
	s_waitcnt vmcnt(12)
	v_mul_f32_e32 v65, v58, v239
	v_fmac_f32_e32 v65, v59, v238
	v_add_f32_e32 v64, v64, v65
	s_waitcnt vmcnt(4)
	v_mul_f32_e32 v165, v156, v247
	s_waitcnt lgkmcnt(0)
	v_mul_f32_e32 v65, v60, v241
	v_fmac_f32_e32 v65, v61, v240
	v_add_f32_e32 v64, v64, v65
	v_mul_f32_e32 v65, v62, v243
	v_fmac_f32_e32 v65, v63, v242
	v_add_f32_e32 v64, v64, v65
	;; [unrolled: 3-line block ×3, first 2 shown]
	buffer_load_dword v65, off, s[0:3], 0 offset:292
	buffer_load_dword v64, off, s[0:3], 0 offset:288
	v_fmac_f32_e32 v165, v157, v246
	ds_read_b128 v[158:161], v162 offset:624
	v_add_f32_e32 v169, v164, v165
	ds_read_b128 v[164:167], v162 offset:640
	buffer_load_dword v175, off, s[0:3], 0 offset:324
	buffer_load_dword v174, off, s[0:3], 0 offset:320
	;; [unrolled: 1-line block ×14, first 2 shown]
	v_mul_f32_e32 v23, v23, v163
	v_fma_f32 v22, v22, v192, -v23
	v_mul_f32_e32 v23, v25, v168
	v_add_f32_e32 v22, 0, v22
	v_fma_f32 v23, v24, v193, -v23
	v_mul_f32_e32 v19, v19, v170
	v_add_f32_e32 v22, v22, v23
	;; [unrolled: 3-line block ×7, first 2 shown]
	v_fma_f32 v7, v8, v199, -v7
	v_add_f32_e32 v6, v6, v7
	v_mul_f32_e32 v7, v11, v200
	v_fma_f32 v7, v10, v201, -v7
	v_add_f32_e32 v6, v6, v7
	v_mul_f32_e32 v7, v13, v202
	v_fma_f32 v7, v12, v203, -v7
	v_mul_f32_e32 v3, v3, v204
	v_add_f32_e32 v6, v6, v7
	v_fma_f32 v2, v2, v205, -v3
	v_mul_f32_e32 v3, v5, v207
	v_add_f32_e32 v2, v6, v2
	v_fma_f32 v3, v4, v206, -v3
	v_add_f32_e32 v2, v2, v3
	v_mul_f32_e32 v3, v29, v209
	v_fma_f32 v3, v28, v208, -v3
	v_add_f32_e32 v2, v2, v3
	v_mul_f32_e32 v3, v31, v211
	;; [unrolled: 3-line block ×20, first 2 shown]
	v_fma_f32 v3, v156, v246, -v3
	s_waitcnt vmcnt(15)
	v_mov_b32_e32 v16, v65
	s_waitcnt lgkmcnt(1)
	v_mul_f32_e32 v171, v158, v249
	v_add_f32_e32 v168, v2, v3
	v_mul_f32_e32 v2, v159, v249
	s_waitcnt lgkmcnt(0)
	v_pk_mul_f32 v[16:17], v[164:165], v[16:17] op_sel_hi:[1,0]
	v_fmac_f32_e32 v171, v159, v248
	v_mul_f32_e32 v173, v160, v251
	v_fma_f32 v170, v158, v248, -v2
	v_mul_f32_e32 v2, v161, v251
	s_waitcnt vmcnt(14)
	v_pk_fma_f32 v[18:19], v[164:165], v[64:65], v[16:17] op_sel:[0,0,1] op_sel_hi:[1,1,0] neg_lo:[0,0,1] neg_hi:[0,0,1]
	v_pk_fma_f32 v[16:17], v[164:165], v[64:65], v[16:17] op_sel:[0,0,1] op_sel_hi:[1,0,0]
	v_fmac_f32_e32 v173, v161, v250
	v_fma_f32 v172, v160, v250, -v2
	v_pk_add_f32 v[14:15], v[168:169], v[170:171]
	s_waitcnt vmcnt(7)
	v_mov_b32_e32 v16, v181
	ds_read_b128 v[2:5], v162 offset:656
	ds_read_b128 v[6:9], v162 offset:672
	;; [unrolled: 1-line block ×3, first 2 shown]
	v_pk_add_f32 v[14:15], v[14:15], v[172:173]
	v_mov_b32_e32 v19, v17
	v_pk_mul_f32 v[16:17], v[166:167], v[16:17] op_sel_hi:[1,0]
	v_pk_add_f32 v[14:15], v[14:15], v[18:19]
	s_waitcnt vmcnt(6)
	v_pk_fma_f32 v[18:19], v[166:167], v[180:181], v[16:17] op_sel:[0,0,1] op_sel_hi:[1,1,0] neg_lo:[0,0,1] neg_hi:[0,0,1]
	v_pk_fma_f32 v[16:17], v[166:167], v[180:181], v[16:17] op_sel:[0,0,1] op_sel_hi:[1,0,0]
	v_mov_b32_e32 v16, v179
	v_mov_b32_e32 v19, v17
	s_waitcnt lgkmcnt(2)
	v_pk_mul_f32 v[16:17], v[2:3], v[16:17] op_sel_hi:[1,0]
	v_pk_add_f32 v[14:15], v[14:15], v[18:19]
	v_pk_fma_f32 v[18:19], v[2:3], v[178:179], v[16:17] op_sel:[0,0,1] op_sel_hi:[1,1,0] neg_lo:[0,0,1] neg_hi:[0,0,1]
	v_pk_fma_f32 v[2:3], v[2:3], v[178:179], v[16:17] op_sel:[0,0,1] op_sel_hi:[1,0,0]
	v_mov_b32_e32 v19, v3
	v_pk_add_f32 v[2:3], v[14:15], v[18:19]
	v_mov_b32_e32 v14, v177
	v_pk_mul_f32 v[14:15], v[4:5], v[14:15] op_sel_hi:[1,0]
	v_pk_fma_f32 v[16:17], v[4:5], v[176:177], v[14:15] op_sel:[0,0,1] op_sel_hi:[1,1,0] neg_lo:[0,0,1] neg_hi:[0,0,1]
	v_pk_fma_f32 v[4:5], v[4:5], v[176:177], v[14:15] op_sel:[0,0,1] op_sel_hi:[1,0,0]
	v_mov_b32_e32 v4, v175
	v_mov_b32_e32 v17, v5
	s_waitcnt lgkmcnt(1)
	v_pk_mul_f32 v[4:5], v[6:7], v[4:5] op_sel_hi:[1,0]
	v_pk_fma_f32 v[14:15], v[6:7], v[174:175], v[4:5] op_sel:[0,0,1] op_sel_hi:[1,1,0] neg_lo:[0,0,1] neg_hi:[0,0,1]
	v_pk_fma_f32 v[4:5], v[6:7], v[174:175], v[4:5] op_sel:[0,0,1] op_sel_hi:[1,0,0]
	s_waitcnt vmcnt(1)
	v_mov_b32_e32 v4, v187
	v_mov_b32_e32 v15, v5
	v_pk_mul_f32 v[4:5], v[8:9], v[4:5] op_sel_hi:[1,0]
	s_waitcnt vmcnt(0)
	v_pk_fma_f32 v[6:7], v[8:9], v[186:187], v[4:5] op_sel:[0,0,1] op_sel_hi:[1,1,0] neg_lo:[0,0,1] neg_hi:[0,0,1]
	v_pk_fma_f32 v[4:5], v[8:9], v[186:187], v[4:5] op_sel:[0,0,1] op_sel_hi:[1,0,0]
	v_pk_add_f32 v[2:3], v[2:3], v[16:17]
	v_mov_b32_e32 v4, v185
	v_pk_add_f32 v[2:3], v[2:3], v[14:15]
	v_mov_b32_e32 v7, v5
	s_waitcnt lgkmcnt(0)
	v_pk_mul_f32 v[4:5], v[10:11], v[4:5] op_sel_hi:[1,0]
	v_pk_add_f32 v[2:3], v[2:3], v[6:7]
	v_pk_fma_f32 v[6:7], v[10:11], v[184:185], v[4:5] op_sel:[0,0,1] op_sel_hi:[1,1,0] neg_lo:[0,0,1] neg_hi:[0,0,1]
	v_pk_fma_f32 v[4:5], v[10:11], v[184:185], v[4:5] op_sel:[0,0,1] op_sel_hi:[1,0,0]
	v_mov_b32_e32 v4, v183
	v_mov_b32_e32 v7, v5
	v_pk_mul_f32 v[4:5], v[12:13], v[4:5] op_sel_hi:[1,0]
	v_pk_add_f32 v[2:3], v[2:3], v[6:7]
	v_pk_fma_f32 v[6:7], v[12:13], v[182:183], v[4:5] op_sel:[0,0,1] op_sel_hi:[1,1,0] neg_lo:[0,0,1] neg_hi:[0,0,1]
	v_pk_fma_f32 v[4:5], v[12:13], v[182:183], v[4:5] op_sel:[0,0,1] op_sel_hi:[1,0,0]
	v_mov_b32_e32 v7, v5
	v_pk_add_f32 v[2:3], v[2:3], v[6:7]
	v_pk_add_f32 v[2:3], v[26:27], v[2:3] neg_lo:[0,1] neg_hi:[0,1]
	buffer_store_dword v3, off, s[0:3], 0 offset:12
	buffer_store_dword v2, off, s[0:3], 0 offset:8
	s_and_saveexec_b64 s[4:5], vcc
	s_cbranch_execz .LBB43_277
; %bb.276:
	buffer_load_dword v2, off, s[0:3], 0
	buffer_load_dword v3, off, s[0:3], 0 offset:4
	v_mov_b32_e32 v0, 0
	buffer_store_dword v0, off, s[0:3], 0
	buffer_store_dword v0, off, s[0:3], 0 offset:4
	s_waitcnt vmcnt(2)
	ds_write_b64 v1, v[2:3]
.LBB43_277:
	s_or_b64 exec, exec, s[4:5]
	s_waitcnt lgkmcnt(0)
	; wave barrier
	s_waitcnt lgkmcnt(0)
	buffer_load_dword v162, off, s[0:3], 0 offset:12
	buffer_load_dword v164, off, s[0:3], 0 offset:20
	;; [unrolled: 1-line block ×21, first 2 shown]
	buffer_load_dword v0, off, s[0:3], 0
	buffer_load_dword v1, off, s[0:3], 0 offset:4
	buffer_load_dword v202, off, s[0:3], 0 offset:88
	;; [unrolled: 1-line block ×34, first 2 shown]
	v_mov_b32_e32 v203, 0
	ds_read2_b64 v[2:5], v203 offset0:45 offset1:46
	ds_read2_b64 v[6:9], v203 offset0:47 offset1:48
	ds_read2_b64 v[10:13], v203 offset0:49 offset1:50
	ds_read2_b64 v[14:17], v203 offset0:51 offset1:52
	ds_read2_b64 v[18:21], v203 offset0:53 offset1:54
	ds_read2_b64 v[22:25], v203 offset0:55 offset1:56
	buffer_load_dword v236, off, s[0:3], 0 offset:224
	buffer_load_dword v237, off, s[0:3], 0 offset:228
	;; [unrolled: 1-line block ×16, first 2 shown]
	s_and_b64 vcc, exec, s[20:21]
	s_waitcnt vmcnt(62) lgkmcnt(5)
	v_mul_f32_e32 v26, v2, v162
	v_mul_f32_e32 v27, v4, v164
	s_waitcnt lgkmcnt(4)
	v_mul_f32_e32 v28, v6, v166
	v_mul_f32_e32 v29, v8, v184
	s_waitcnt lgkmcnt(3)
	;; [unrolled: 3-line block ×4, first 2 shown]
	v_mul_f32_e32 v34, v18, v189
	v_fmac_f32_e32 v26, v3, v190
	s_waitcnt vmcnt(61)
	v_fmac_f32_e32 v27, v5, v191
	v_add_f32_e32 v26, 0, v26
	s_waitcnt vmcnt(60)
	v_fmac_f32_e32 v28, v7, v192
	v_add_f32_e32 v26, v26, v27
	;; [unrolled: 3-line block ×7, first 2 shown]
	v_add_f32_e32 v26, v26, v33
	s_waitcnt vmcnt(54)
	v_fmac_f32_e32 v34, v19, v198
	s_waitcnt vmcnt(53)
	v_mul_f32_e32 v27, v20, v199
	v_add_f32_e32 v26, v26, v34
	s_waitcnt vmcnt(52)
	v_fmac_f32_e32 v27, v21, v200
	v_add_f32_e32 v26, v26, v27
	s_waitcnt vmcnt(51) lgkmcnt(0)
	v_mul_f32_e32 v27, v22, v201
	s_waitcnt vmcnt(48)
	v_fmac_f32_e32 v27, v23, v202
	v_add_f32_e32 v30, v26, v27
	ds_read2_b64 v[26:29], v203 offset0:57 offset1:58
	s_waitcnt vmcnt(46)
	v_mul_f32_e32 v31, v24, v205
	v_fmac_f32_e32 v31, v25, v204
	v_add_f32_e32 v34, v30, v31
	ds_read2_b64 v[30:33], v203 offset0:59 offset1:60
	s_waitcnt vmcnt(44) lgkmcnt(1)
	v_mul_f32_e32 v35, v26, v207
	v_fmac_f32_e32 v35, v27, v206
	v_add_f32_e32 v34, v34, v35
	s_waitcnt vmcnt(42)
	v_mul_f32_e32 v35, v28, v209
	v_fmac_f32_e32 v35, v29, v208
	v_add_f32_e32 v34, v34, v35
	s_waitcnt vmcnt(40) lgkmcnt(0)
	v_mul_f32_e32 v35, v30, v211
	v_fmac_f32_e32 v35, v31, v210
	v_add_f32_e32 v38, v34, v35
	ds_read2_b64 v[34:37], v203 offset0:61 offset1:62
	s_waitcnt vmcnt(38)
	v_mul_f32_e32 v39, v32, v213
	v_fmac_f32_e32 v39, v33, v212
	v_add_f32_e32 v42, v38, v39
	ds_read2_b64 v[38:41], v203 offset0:63 offset1:64
	s_waitcnt vmcnt(36) lgkmcnt(1)
	v_mul_f32_e32 v43, v34, v215
	v_fmac_f32_e32 v43, v35, v214
	v_add_f32_e32 v42, v42, v43
	s_waitcnt vmcnt(34)
	v_mul_f32_e32 v43, v36, v217
	v_fmac_f32_e32 v43, v37, v216
	v_add_f32_e32 v42, v42, v43
	s_waitcnt vmcnt(32) lgkmcnt(0)
	v_mul_f32_e32 v43, v38, v219
	;; [unrolled: 18-line block ×5, first 2 shown]
	v_fmac_f32_e32 v155, v63, v242
	s_waitcnt vmcnt(6)
	v_mul_f32_e32 v159, v64, v245
	v_add_f32_e32 v158, v154, v155
	v_fmac_f32_e32 v159, v65, v244
	ds_read2_b64 v[154:157], v203 offset0:77 offset1:78
	v_add_f32_e32 v163, v158, v159
	ds_read2_b64 v[158:161], v203 offset0:79 offset1:80
	buffer_load_dword v169, off, s[0:3], 0 offset:316
	buffer_load_dword v168, off, s[0:3], 0 offset:312
	;; [unrolled: 1-line block ×16, first 2 shown]
	v_mul_f32_e32 v3, v3, v162
	v_fma_f32 v2, v2, v190, -v3
	v_mul_f32_e32 v3, v5, v164
	v_add_f32_e32 v2, 0, v2
	v_fma_f32 v3, v4, v191, -v3
	v_add_f32_e32 v2, v2, v3
	v_mul_f32_e32 v3, v7, v166
	v_fma_f32 v3, v6, v192, -v3
	v_add_f32_e32 v2, v2, v3
	v_mul_f32_e32 v3, v9, v184
	;; [unrolled: 3-line block ×30, first 2 shown]
	v_fma_f32 v3, v64, v244, -v3
	v_add_f32_e32 v2, v2, v3
	s_waitcnt vmcnt(20) lgkmcnt(1)
	v_mul_f32_e32 v3, v155, v247
	v_mul_f32_e32 v165, v154, v247
	v_fma_f32 v3, v154, v246, -v3
	v_fmac_f32_e32 v165, v155, v246
	v_add_f32_e32 v162, v2, v3
	s_waitcnt vmcnt(18)
	v_mul_f32_e32 v2, v157, v249
	s_waitcnt vmcnt(9)
	v_mov_b32_e32 v18, v175
	v_add_f32_e32 v163, v163, v165
	v_mul_f32_e32 v165, v156, v249
	v_fma_f32 v164, v156, v248, -v2
	s_waitcnt lgkmcnt(0)
	v_mul_f32_e32 v2, v159, v251
	v_pk_mul_f32 v[18:19], v[160:161], v[18:19] op_sel_hi:[1,0]
	v_fmac_f32_e32 v165, v157, v248
	v_mul_f32_e32 v167, v158, v251
	v_fma_f32 v166, v158, v250, -v2
	ds_read2_b64 v[2:5], v203 offset0:81 offset1:82
	ds_read2_b64 v[6:9], v203 offset0:83 offset1:84
	;; [unrolled: 1-line block ×3, first 2 shown]
	ds_read_b64 v[14:15], v203 offset:696
	s_waitcnt vmcnt(8)
	v_pk_fma_f32 v[20:21], v[160:161], v[174:175], v[18:19] op_sel:[0,0,1] op_sel_hi:[1,1,0] neg_lo:[0,0,1] neg_hi:[0,0,1]
	v_pk_fma_f32 v[18:19], v[160:161], v[174:175], v[18:19] op_sel:[0,0,1] op_sel_hi:[1,0,0]
	v_fmac_f32_e32 v167, v159, v250
	v_pk_add_f32 v[16:17], v[162:163], v[164:165]
	v_mov_b32_e32 v18, v173
	v_pk_add_f32 v[16:17], v[16:17], v[166:167]
	v_mov_b32_e32 v21, v19
	s_waitcnt lgkmcnt(3)
	v_pk_mul_f32 v[18:19], v[2:3], v[18:19] op_sel_hi:[1,0]
	v_pk_add_f32 v[16:17], v[16:17], v[20:21]
	v_pk_fma_f32 v[20:21], v[2:3], v[172:173], v[18:19] op_sel:[0,0,1] op_sel_hi:[1,1,0] neg_lo:[0,0,1] neg_hi:[0,0,1]
	v_pk_fma_f32 v[2:3], v[2:3], v[172:173], v[18:19] op_sel:[0,0,1] op_sel_hi:[1,0,0]
	v_mov_b32_e32 v21, v3
	v_pk_add_f32 v[2:3], v[16:17], v[20:21]
	v_mov_b32_e32 v16, v171
	v_pk_mul_f32 v[16:17], v[4:5], v[16:17] op_sel_hi:[1,0]
	v_pk_fma_f32 v[18:19], v[4:5], v[170:171], v[16:17] op_sel:[0,0,1] op_sel_hi:[1,1,0] neg_lo:[0,0,1] neg_hi:[0,0,1]
	v_pk_fma_f32 v[4:5], v[4:5], v[170:171], v[16:17] op_sel:[0,0,1] op_sel_hi:[1,0,0]
	v_mov_b32_e32 v4, v169
	v_mov_b32_e32 v19, v5
	s_waitcnt lgkmcnt(2)
	v_pk_mul_f32 v[4:5], v[6:7], v[4:5] op_sel_hi:[1,0]
	v_pk_fma_f32 v[16:17], v[6:7], v[168:169], v[4:5] op_sel:[0,0,1] op_sel_hi:[1,1,0] neg_lo:[0,0,1] neg_hi:[0,0,1]
	v_pk_fma_f32 v[4:5], v[6:7], v[168:169], v[4:5] op_sel:[0,0,1] op_sel_hi:[1,0,0]
	s_waitcnt vmcnt(1)
	v_mov_b32_e32 v4, v183
	v_mov_b32_e32 v17, v5
	v_pk_mul_f32 v[4:5], v[8:9], v[4:5] op_sel_hi:[1,0]
	s_waitcnt vmcnt(0)
	v_pk_fma_f32 v[6:7], v[8:9], v[182:183], v[4:5] op_sel:[0,0,1] op_sel_hi:[1,1,0] neg_lo:[0,0,1] neg_hi:[0,0,1]
	v_pk_fma_f32 v[4:5], v[8:9], v[182:183], v[4:5] op_sel:[0,0,1] op_sel_hi:[1,0,0]
	v_pk_add_f32 v[2:3], v[2:3], v[18:19]
	v_mov_b32_e32 v4, v181
	v_pk_add_f32 v[2:3], v[2:3], v[16:17]
	v_mov_b32_e32 v7, v5
	s_waitcnt lgkmcnt(1)
	v_pk_mul_f32 v[4:5], v[10:11], v[4:5] op_sel_hi:[1,0]
	v_pk_add_f32 v[2:3], v[2:3], v[6:7]
	v_pk_fma_f32 v[6:7], v[10:11], v[180:181], v[4:5] op_sel:[0,0,1] op_sel_hi:[1,1,0] neg_lo:[0,0,1] neg_hi:[0,0,1]
	v_pk_fma_f32 v[4:5], v[10:11], v[180:181], v[4:5] op_sel:[0,0,1] op_sel_hi:[1,0,0]
	v_mov_b32_e32 v4, v179
	v_mov_b32_e32 v7, v5
	v_pk_mul_f32 v[4:5], v[12:13], v[4:5] op_sel_hi:[1,0]
	v_pk_add_f32 v[2:3], v[2:3], v[6:7]
	v_pk_fma_f32 v[6:7], v[12:13], v[178:179], v[4:5] op_sel:[0,0,1] op_sel_hi:[1,1,0] neg_lo:[0,0,1] neg_hi:[0,0,1]
	v_pk_fma_f32 v[4:5], v[12:13], v[178:179], v[4:5] op_sel:[0,0,1] op_sel_hi:[1,0,0]
	v_mov_b32_e32 v4, v177
	v_mov_b32_e32 v7, v5
	s_waitcnt lgkmcnt(0)
	v_pk_mul_f32 v[4:5], v[14:15], v[4:5] op_sel_hi:[1,0]
	v_pk_add_f32 v[2:3], v[2:3], v[6:7]
	v_pk_fma_f32 v[6:7], v[14:15], v[176:177], v[4:5] op_sel:[0,0,1] op_sel_hi:[1,1,0] neg_lo:[0,0,1] neg_hi:[0,0,1]
	v_pk_fma_f32 v[4:5], v[14:15], v[176:177], v[4:5] op_sel:[0,0,1] op_sel_hi:[1,0,0]
	v_mov_b32_e32 v7, v5
	v_pk_add_f32 v[2:3], v[2:3], v[6:7]
	v_pk_add_f32 v[0:1], v[0:1], v[2:3] neg_lo:[0,1] neg_hi:[0,1]
	buffer_store_dword v1, off, s[0:3], 0 offset:4
	buffer_store_dword v0, off, s[0:3], 0
	s_cbranch_vccz .LBB43_365
; %bb.278:
	v_pk_mov_b32 v[0:1], s[10:11], s[10:11] op_sel:[0,1]
	flat_load_dword v0, v[0:1] offset:168
	s_waitcnt vmcnt(0) lgkmcnt(0)
	v_add_u32_e32 v0, -1, v0
	v_cmp_ne_u32_e32 vcc, 42, v0
	s_and_saveexec_b64 s[4:5], vcc
	s_cbranch_execz .LBB43_280
; %bb.279:
	v_mov_b32_e32 v1, 0
	v_lshl_add_u32 v0, v0, 3, v1
	buffer_load_dword v1, v0, s[0:3], 0 offen
	buffer_load_dword v2, v0, s[0:3], 0 offen offset:4
	buffer_load_dword v3, off, s[0:3], 0 offset:340
	buffer_load_dword v4, off, s[0:3], 0 offset:336
	s_waitcnt vmcnt(3)
	buffer_store_dword v1, off, s[0:3], 0 offset:336
	s_waitcnt vmcnt(3)
	buffer_store_dword v2, off, s[0:3], 0 offset:340
	s_waitcnt vmcnt(3)
	buffer_store_dword v3, v0, s[0:3], 0 offen offset:4
	s_waitcnt vmcnt(3)
	buffer_store_dword v4, v0, s[0:3], 0 offen
.LBB43_280:
	s_or_b64 exec, exec, s[4:5]
	v_pk_mov_b32 v[0:1], s[10:11], s[10:11] op_sel:[0,1]
	flat_load_dword v0, v[0:1] offset:164
	s_waitcnt vmcnt(0) lgkmcnt(0)
	v_add_u32_e32 v0, -1, v0
	v_cmp_ne_u32_e32 vcc, 41, v0
	s_and_saveexec_b64 s[4:5], vcc
	s_cbranch_execz .LBB43_282
; %bb.281:
	v_mov_b32_e32 v1, 0
	v_lshl_add_u32 v0, v0, 3, v1
	buffer_load_dword v1, v0, s[0:3], 0 offen
	buffer_load_dword v2, v0, s[0:3], 0 offen offset:4
	buffer_load_dword v3, off, s[0:3], 0 offset:328
	buffer_load_dword v4, off, s[0:3], 0 offset:332
	s_waitcnt vmcnt(3)
	buffer_store_dword v1, off, s[0:3], 0 offset:328
	s_waitcnt vmcnt(3)
	buffer_store_dword v2, off, s[0:3], 0 offset:332
	s_waitcnt vmcnt(3)
	buffer_store_dword v3, v0, s[0:3], 0 offen
	s_waitcnt vmcnt(3)
	buffer_store_dword v4, v0, s[0:3], 0 offen offset:4
.LBB43_282:
	s_or_b64 exec, exec, s[4:5]
	v_pk_mov_b32 v[0:1], s[10:11], s[10:11] op_sel:[0,1]
	flat_load_dword v0, v[0:1] offset:160
	s_waitcnt vmcnt(0) lgkmcnt(0)
	v_add_u32_e32 v0, -1, v0
	v_cmp_ne_u32_e32 vcc, 40, v0
	s_and_saveexec_b64 s[4:5], vcc
	s_cbranch_execz .LBB43_284
; %bb.283:
	v_mov_b32_e32 v1, 0
	v_lshl_add_u32 v0, v0, 3, v1
	buffer_load_dword v1, v0, s[0:3], 0 offen
	buffer_load_dword v2, v0, s[0:3], 0 offen offset:4
	buffer_load_dword v3, off, s[0:3], 0 offset:324
	buffer_load_dword v4, off, s[0:3], 0 offset:320
	s_waitcnt vmcnt(3)
	buffer_store_dword v1, off, s[0:3], 0 offset:320
	s_waitcnt vmcnt(3)
	buffer_store_dword v2, off, s[0:3], 0 offset:324
	s_waitcnt vmcnt(3)
	buffer_store_dword v3, v0, s[0:3], 0 offen offset:4
	s_waitcnt vmcnt(3)
	buffer_store_dword v4, v0, s[0:3], 0 offen
.LBB43_284:
	s_or_b64 exec, exec, s[4:5]
	v_pk_mov_b32 v[0:1], s[10:11], s[10:11] op_sel:[0,1]
	flat_load_dword v0, v[0:1] offset:156
	s_waitcnt vmcnt(0) lgkmcnt(0)
	v_add_u32_e32 v0, -1, v0
	v_cmp_ne_u32_e32 vcc, 39, v0
	s_and_saveexec_b64 s[4:5], vcc
	s_cbranch_execz .LBB43_286
; %bb.285:
	v_mov_b32_e32 v1, 0
	v_lshl_add_u32 v0, v0, 3, v1
	buffer_load_dword v1, v0, s[0:3], 0 offen
	buffer_load_dword v2, v0, s[0:3], 0 offen offset:4
	buffer_load_dword v3, off, s[0:3], 0 offset:312
	buffer_load_dword v4, off, s[0:3], 0 offset:316
	s_waitcnt vmcnt(3)
	buffer_store_dword v1, off, s[0:3], 0 offset:312
	s_waitcnt vmcnt(3)
	buffer_store_dword v2, off, s[0:3], 0 offset:316
	s_waitcnt vmcnt(3)
	buffer_store_dword v3, v0, s[0:3], 0 offen
	s_waitcnt vmcnt(3)
	buffer_store_dword v4, v0, s[0:3], 0 offen offset:4
.LBB43_286:
	s_or_b64 exec, exec, s[4:5]
	;; [unrolled: 48-line block ×21, first 2 shown]
	v_pk_mov_b32 v[0:1], s[10:11], s[10:11] op_sel:[0,1]
	flat_load_dword v2, v[0:1]
	s_nop 0
	buffer_load_dword v0, off, s[0:3], 0
	buffer_load_dword v1, off, s[0:3], 0 offset:4
	s_waitcnt vmcnt(0) lgkmcnt(0)
	v_add_u32_e32 v2, -1, v2
	v_cmp_ne_u32_e32 vcc, 0, v2
	s_and_saveexec_b64 s[4:5], vcc
	s_cbranch_execz .LBB43_364
; %bb.363:
	v_mov_b32_e32 v3, 0
	v_lshl_add_u32 v2, v2, 3, v3
	buffer_load_dword v3, v2, s[0:3], 0 offen offset:4
	buffer_load_dword v4, v2, s[0:3], 0 offen
	s_waitcnt vmcnt(1)
	buffer_store_dword v3, off, s[0:3], 0 offset:4
	s_waitcnt vmcnt(1)
	buffer_store_dword v4, off, s[0:3], 0
	buffer_store_dword v1, v2, s[0:3], 0 offen offset:4
	buffer_store_dword v0, v2, s[0:3], 0 offen
	buffer_load_dword v0, off, s[0:3], 0
	s_nop 0
	buffer_load_dword v1, off, s[0:3], 0 offset:4
.LBB43_364:
	s_or_b64 exec, exec, s[4:5]
.LBB43_365:
	buffer_load_dword v2, off, s[0:3], 0 offset:8
	buffer_load_dword v3, off, s[0:3], 0 offset:12
	;; [unrolled: 1-line block ×86, first 2 shown]
	s_waitcnt vmcnt(62)
	global_store_dwordx2 v[142:143], v[0:1], off
	global_store_dwordx2 v[146:147], v[2:3], off
	;; [unrolled: 1-line block ×13, first 2 shown]
	s_waitcnt vmcnt(62)
	global_store_dwordx2 v[88:89], v[26:27], off
	global_store_dwordx2 v[90:91], v[28:29], off
	;; [unrolled: 1-line block ×6, first 2 shown]
	s_waitcnt vmcnt(62)
	global_store_dwordx2 v[100:101], v[38:39], off
	global_store_dwordx2 v[102:103], v[40:41], off
	global_store_dwordx2 v[104:105], v[42:43], off
	s_waitcnt vmcnt(62)
	global_store_dwordx2 v[106:107], v[44:45], off
	global_store_dwordx2 v[108:109], v[46:47], off
	s_waitcnt vmcnt(62)
	global_store_dwordx2 v[110:111], v[48:49], off
	s_waitcnt vmcnt(61)
	;; [unrolled: 2-line block ×20, first 2 shown]
	global_store_dwordx2 v[152:153], v[174:175], off
	s_endpgm
	.section	.rodata,"a",@progbits
	.p2align	6, 0x0
	.amdhsa_kernel _ZN9rocsolver6v33100L18getri_kernel_smallILi44E19rocblas_complex_numIfEPS3_EEvT1_iilPiilS6_bb
		.amdhsa_group_segment_fixed_size 708
		.amdhsa_private_segment_fixed_size 368
		.amdhsa_kernarg_size 60
		.amdhsa_user_sgpr_count 8
		.amdhsa_user_sgpr_private_segment_buffer 1
		.amdhsa_user_sgpr_dispatch_ptr 0
		.amdhsa_user_sgpr_queue_ptr 0
		.amdhsa_user_sgpr_kernarg_segment_ptr 1
		.amdhsa_user_sgpr_dispatch_id 0
		.amdhsa_user_sgpr_flat_scratch_init 1
		.amdhsa_user_sgpr_kernarg_preload_length 0
		.amdhsa_user_sgpr_kernarg_preload_offset 0
		.amdhsa_user_sgpr_private_segment_size 0
		.amdhsa_uses_dynamic_stack 0
		.amdhsa_system_sgpr_private_segment_wavefront_offset 1
		.amdhsa_system_sgpr_workgroup_id_x 1
		.amdhsa_system_sgpr_workgroup_id_y 0
		.amdhsa_system_sgpr_workgroup_id_z 0
		.amdhsa_system_sgpr_workgroup_info 0
		.amdhsa_system_vgpr_workitem_id 0
		.amdhsa_next_free_vgpr 252
		.amdhsa_next_free_sgpr 23
		.amdhsa_accum_offset 252
		.amdhsa_reserve_vcc 1
		.amdhsa_reserve_flat_scratch 1
		.amdhsa_float_round_mode_32 0
		.amdhsa_float_round_mode_16_64 0
		.amdhsa_float_denorm_mode_32 3
		.amdhsa_float_denorm_mode_16_64 3
		.amdhsa_dx10_clamp 1
		.amdhsa_ieee_mode 1
		.amdhsa_fp16_overflow 0
		.amdhsa_tg_split 0
		.amdhsa_exception_fp_ieee_invalid_op 0
		.amdhsa_exception_fp_denorm_src 0
		.amdhsa_exception_fp_ieee_div_zero 0
		.amdhsa_exception_fp_ieee_overflow 0
		.amdhsa_exception_fp_ieee_underflow 0
		.amdhsa_exception_fp_ieee_inexact 0
		.amdhsa_exception_int_div_zero 0
	.end_amdhsa_kernel
	.section	.text._ZN9rocsolver6v33100L18getri_kernel_smallILi44E19rocblas_complex_numIfEPS3_EEvT1_iilPiilS6_bb,"axG",@progbits,_ZN9rocsolver6v33100L18getri_kernel_smallILi44E19rocblas_complex_numIfEPS3_EEvT1_iilPiilS6_bb,comdat
.Lfunc_end43:
	.size	_ZN9rocsolver6v33100L18getri_kernel_smallILi44E19rocblas_complex_numIfEPS3_EEvT1_iilPiilS6_bb, .Lfunc_end43-_ZN9rocsolver6v33100L18getri_kernel_smallILi44E19rocblas_complex_numIfEPS3_EEvT1_iilPiilS6_bb
                                        ; -- End function
	.section	.AMDGPU.csdata,"",@progbits
; Kernel info:
; codeLenInByte = 79716
; NumSgprs: 29
; NumVgprs: 252
; NumAgprs: 0
; TotalNumVgprs: 252
; ScratchSize: 368
; MemoryBound: 0
; FloatMode: 240
; IeeeMode: 1
; LDSByteSize: 708 bytes/workgroup (compile time only)
; SGPRBlocks: 3
; VGPRBlocks: 31
; NumSGPRsForWavesPerEU: 29
; NumVGPRsForWavesPerEU: 252
; AccumOffset: 252
; Occupancy: 2
; WaveLimiterHint : 1
; COMPUTE_PGM_RSRC2:SCRATCH_EN: 1
; COMPUTE_PGM_RSRC2:USER_SGPR: 8
; COMPUTE_PGM_RSRC2:TRAP_HANDLER: 0
; COMPUTE_PGM_RSRC2:TGID_X_EN: 1
; COMPUTE_PGM_RSRC2:TGID_Y_EN: 0
; COMPUTE_PGM_RSRC2:TGID_Z_EN: 0
; COMPUTE_PGM_RSRC2:TIDIG_COMP_CNT: 0
; COMPUTE_PGM_RSRC3_GFX90A:ACCUM_OFFSET: 62
; COMPUTE_PGM_RSRC3_GFX90A:TG_SPLIT: 0
	.section	.text._ZN9rocsolver6v33100L18getri_kernel_smallILi45E19rocblas_complex_numIfEPS3_EEvT1_iilPiilS6_bb,"axG",@progbits,_ZN9rocsolver6v33100L18getri_kernel_smallILi45E19rocblas_complex_numIfEPS3_EEvT1_iilPiilS6_bb,comdat
	.globl	_ZN9rocsolver6v33100L18getri_kernel_smallILi45E19rocblas_complex_numIfEPS3_EEvT1_iilPiilS6_bb ; -- Begin function _ZN9rocsolver6v33100L18getri_kernel_smallILi45E19rocblas_complex_numIfEPS3_EEvT1_iilPiilS6_bb
	.p2align	8
	.type	_ZN9rocsolver6v33100L18getri_kernel_smallILi45E19rocblas_complex_numIfEPS3_EEvT1_iilPiilS6_bb,@function
_ZN9rocsolver6v33100L18getri_kernel_smallILi45E19rocblas_complex_numIfEPS3_EEvT1_iilPiilS6_bb: ; @_ZN9rocsolver6v33100L18getri_kernel_smallILi45E19rocblas_complex_numIfEPS3_EEvT1_iilPiilS6_bb
; %bb.0:
	s_add_u32 flat_scratch_lo, s6, s9
	s_addc_u32 flat_scratch_hi, s7, 0
	s_add_u32 s0, s0, s9
	s_addc_u32 s1, s1, 0
	v_cmp_gt_u32_e32 vcc, 45, v0
	s_and_saveexec_b64 s[6:7], vcc
	s_cbranch_execz .LBB44_194
; %bb.1:
	s_load_dword s22, s[4:5], 0x38
	s_load_dwordx4 s[16:19], s[4:5], 0x10
	s_load_dwordx4 s[12:15], s[4:5], 0x28
                                        ; implicit-def: $sgpr10_sgpr11
	s_waitcnt lgkmcnt(0)
	s_bitcmp1_b32 s22, 8
	s_cselect_b64 s[20:21], -1, 0
	s_ashr_i32 s9, s8, 31
	s_bfe_u32 s6, s22, 0x10008
	s_cmp_eq_u32 s6, 0
	s_cbranch_scc1 .LBB44_3
; %bb.2:
	s_load_dword s6, s[4:5], 0x20
	s_mul_i32 s7, s8, s13
	s_mul_hi_u32 s10, s8, s12
	s_mul_i32 s11, s9, s12
	s_add_i32 s10, s10, s7
	s_add_i32 s11, s10, s11
	s_mul_i32 s10, s8, s12
	s_waitcnt lgkmcnt(0)
	s_ashr_i32 s7, s6, 31
	s_lshl_b64 s[10:11], s[10:11], 2
	s_add_u32 s10, s18, s10
	s_addc_u32 s11, s19, s11
	s_lshl_b64 s[6:7], s[6:7], 2
	s_add_u32 s10, s10, s6
	s_addc_u32 s11, s11, s7
.LBB44_3:
	s_load_dwordx4 s[4:7], s[4:5], 0x0
	s_mul_i32 s12, s8, s17
	s_mul_hi_u32 s13, s8, s16
	s_add_i32 s17, s13, s12
	v_lshlrev_b32_e32 v6, 3, v0
	s_waitcnt lgkmcnt(0)
	s_ashr_i32 s13, s6, 31
	s_mov_b32 s12, s6
	s_mul_i32 s6, s9, s16
	s_add_i32 s17, s17, s6
	s_mul_i32 s16, s8, s16
	s_lshl_b64 s[16:17], s[16:17], 3
	s_add_u32 s6, s4, s16
	s_addc_u32 s16, s5, s17
	s_lshl_b64 s[4:5], s[12:13], 3
	s_add_u32 s4, s6, s4
	s_addc_u32 s5, s16, s5
	s_add_i32 s6, s7, s7
	v_add_u32_e32 v2, s6, v0
	v_ashrrev_i32_e32 v3, 31, v2
	v_lshlrev_b64 v[4:5], 3, v[2:3]
	v_add_u32_e32 v2, s7, v2
	v_mov_b32_e32 v1, s5
	v_add_co_u32_e32 v66, vcc, s4, v4
	v_ashrrev_i32_e32 v3, 31, v2
	v_addc_co_u32_e32 v67, vcc, v1, v5, vcc
	v_lshlrev_b64 v[4:5], 3, v[2:3]
	v_add_u32_e32 v2, s7, v2
	v_add_co_u32_e32 v68, vcc, s4, v4
	v_ashrrev_i32_e32 v3, 31, v2
	v_addc_co_u32_e32 v69, vcc, v1, v5, vcc
	v_lshlrev_b64 v[4:5], 3, v[2:3]
	v_add_u32_e32 v2, s7, v2
	;; [unrolled: 5-line block ×35, first 2 shown]
	v_add_co_u32_e32 v136, vcc, s4, v4
	v_ashrrev_i32_e32 v3, 31, v2
	v_addc_co_u32_e32 v137, vcc, v1, v5, vcc
	v_lshlrev_b64 v[4:5], 3, v[2:3]
	v_add_co_u32_e32 v138, vcc, s4, v4
	v_add_u32_e32 v2, s7, v2
	v_addc_co_u32_e32 v139, vcc, v1, v5, vcc
	v_ashrrev_i32_e32 v3, 31, v2
	v_lshlrev_b64 v[4:5], 3, v[2:3]
	global_load_dwordx2 v[8:9], v6, s[4:5]
	v_mov_b32_e32 v3, s5
	v_add_co_u32_e32 v144, vcc, s4, v6
	s_ashr_i32 s13, s7, 31
	s_mov_b32 s12, s7
	v_addc_co_u32_e32 v145, vcc, 0, v3, vcc
	s_lshl_b64 s[12:13], s[12:13], 3
	v_mov_b32_e32 v3, s13
	v_add_co_u32_e32 v146, vcc, s12, v144
	v_addc_co_u32_e32 v147, vcc, v145, v3, vcc
	global_load_dwordx2 v[10:11], v[146:147], off
	v_add_u32_e32 v2, s7, v2
	v_add_co_u32_e32 v140, vcc, s4, v4
	v_ashrrev_i32_e32 v3, 31, v2
	v_addc_co_u32_e32 v141, vcc, v1, v5, vcc
	global_load_dwordx2 v[4:5], v[66:67], off
	global_load_dwordx2 v[14:15], v[68:69], off
	v_lshlrev_b64 v[12:13], 3, v[2:3]
	v_add_u32_e32 v2, s7, v2
	v_add_co_u32_e32 v142, vcc, s4, v12
	v_ashrrev_i32_e32 v3, 31, v2
	v_addc_co_u32_e32 v143, vcc, v1, v13, vcc
	global_load_dwordx2 v[12:13], v[70:71], off
	v_lshlrev_b64 v[20:21], 3, v[2:3]
	v_add_u32_e32 v2, s7, v2
	v_add_co_u32_e32 v148, vcc, s4, v20
	v_ashrrev_i32_e32 v3, 31, v2
	v_addc_co_u32_e32 v149, vcc, v1, v21, vcc
	v_lshlrev_b64 v[36:37], 3, v[2:3]
	v_add_u32_e32 v2, s7, v2
	v_add_co_u32_e32 v150, vcc, s4, v36
	v_ashrrev_i32_e32 v3, 31, v2
	v_addc_co_u32_e32 v151, vcc, v1, v37, vcc
	v_lshlrev_b64 v[52:53], 3, v[2:3]
	v_add_co_u32_e32 v152, vcc, s4, v52
	global_load_dwordx2 v[16:17], v[72:73], off
	global_load_dwordx2 v[18:19], v[74:75], off
	;; [unrolled: 1-line block ×22, first 2 shown]
	v_addc_co_u32_e32 v153, vcc, v1, v53, vcc
	global_load_dwordx2 v[52:53], v[116:117], off
	global_load_dwordx2 v[62:63], v[118:119], off
	;; [unrolled: 1-line block ×8, first 2 shown]
	v_add_u32_e32 v2, s7, v2
	v_ashrrev_i32_e32 v3, 31, v2
	v_lshlrev_b64 v[2:3], 3, v[2:3]
	v_add_co_u32_e32 v154, vcc, s4, v2
	v_addc_co_u32_e32 v155, vcc, v1, v3, vcc
	global_load_dwordx2 v[2:3], v[132:133], off
	global_load_dwordx2 v[166:167], v[134:135], off
	;; [unrolled: 1-line block ×6, first 2 shown]
	s_bitcmp0_b32 s22, 0
	s_mov_b64 s[6:7], -1
	s_waitcnt vmcnt(40)
	buffer_store_dword v9, off, s[0:3], 0 offset:4
	buffer_store_dword v8, off, s[0:3], 0
	global_load_dwordx2 v[8:9], v[136:137], off
	s_waitcnt vmcnt(42)
	buffer_store_dword v11, off, s[0:3], 0 offset:12
	buffer_store_dword v10, off, s[0:3], 0 offset:8
	global_load_dwordx2 v[10:11], v[140:141], off
	s_waitcnt vmcnt(44)
	buffer_store_dword v5, off, s[0:3], 0 offset:20
	buffer_store_dword v4, off, s[0:3], 0 offset:16
	;; [unrolled: 4-line block ×4, first 2 shown]
	s_waitcnt vmcnt(49)
	buffer_store_dword v17, off, s[0:3], 0 offset:44
	buffer_store_dword v16, off, s[0:3], 0 offset:40
	s_waitcnt vmcnt(50)
	buffer_store_dword v19, off, s[0:3], 0 offset:52
	buffer_store_dword v18, off, s[0:3], 0 offset:48
	;; [unrolled: 3-line block ×15, first 2 shown]
	buffer_store_dword v47, off, s[0:3], 0 offset:164
	buffer_store_dword v46, off, s[0:3], 0 offset:160
	s_waitcnt vmcnt(62)
	buffer_store_dword v48, off, s[0:3], 0 offset:168
	buffer_store_dword v49, off, s[0:3], 0 offset:172
	buffer_store_dword v50, off, s[0:3], 0 offset:176
	buffer_store_dword v51, off, s[0:3], 0 offset:180
	buffer_store_dword v54, off, s[0:3], 0 offset:184
	buffer_store_dword v55, off, s[0:3], 0 offset:188
	buffer_store_dword v56, off, s[0:3], 0 offset:192
	buffer_store_dword v57, off, s[0:3], 0 offset:196
	s_waitcnt vmcnt(62)
	buffer_store_dword v59, off, s[0:3], 0 offset:204
	buffer_store_dword v58, off, s[0:3], 0 offset:200
	buffer_store_dword v61, off, s[0:3], 0 offset:212
	buffer_store_dword v60, off, s[0:3], 0 offset:208
	buffer_store_dword v52, off, s[0:3], 0 offset:216
	buffer_store_dword v53, off, s[0:3], 0 offset:220
	buffer_store_dword v62, off, s[0:3], 0 offset:224
	buffer_store_dword v63, off, s[0:3], 0 offset:228
	buffer_store_dword v64, off, s[0:3], 0 offset:232
	buffer_store_dword v65, off, s[0:3], 0 offset:236
	buffer_store_dword v156, off, s[0:3], 0 offset:240
	buffer_store_dword v157, off, s[0:3], 0 offset:244
	buffer_store_dword v159, off, s[0:3], 0 offset:252
	buffer_store_dword v158, off, s[0:3], 0 offset:248
	buffer_store_dword v161, off, s[0:3], 0 offset:260
	buffer_store_dword v160, off, s[0:3], 0 offset:256
	s_waitcnt vmcnt(62)
	buffer_store_dword v162, off, s[0:3], 0 offset:264
	buffer_store_dword v163, off, s[0:3], 0 offset:268
	buffer_store_dword v164, off, s[0:3], 0 offset:272
	buffer_store_dword v165, off, s[0:3], 0 offset:276
	buffer_store_dword v2, off, s[0:3], 0 offset:280
	buffer_store_dword v3, off, s[0:3], 0 offset:284
	buffer_store_dword v166, off, s[0:3], 0 offset:288
	buffer_store_dword v167, off, s[0:3], 0 offset:292
	;; [unrolled: 17-line block ×3, first 2 shown]
	s_cbranch_scc1 .LBB44_192
; %bb.4:
	v_cmp_eq_u32_e64 s[4:5], 0, v0
	s_and_saveexec_b64 s[6:7], s[4:5]
	s_cbranch_execz .LBB44_6
; %bb.5:
	v_mov_b32_e32 v1, 0
	ds_write_b32 v1, v1 offset:360
.LBB44_6:
	s_or_b64 exec, exec, s[6:7]
	v_mov_b32_e32 v1, 0
	v_lshl_add_u32 v7, v0, 3, v1
	s_waitcnt lgkmcnt(0)
	; wave barrier
	s_waitcnt lgkmcnt(0)
	buffer_load_dword v1, v7, s[0:3], 0 offen
	buffer_load_dword v2, v7, s[0:3], 0 offen offset:4
	s_waitcnt vmcnt(1)
	v_cmp_eq_f32_e32 vcc, 0, v1
	s_waitcnt vmcnt(0)
	v_cmp_eq_f32_e64 s[6:7], 0, v2
	s_and_b64 s[6:7], vcc, s[6:7]
	s_and_saveexec_b64 s[12:13], s[6:7]
	s_cbranch_execz .LBB44_10
; %bb.7:
	v_mov_b32_e32 v1, 0
	ds_read_b32 v3, v1 offset:360
	v_add_u32_e32 v2, 1, v0
	s_waitcnt lgkmcnt(0)
	v_readfirstlane_b32 s6, v3
	s_cmp_eq_u32 s6, 0
	s_cselect_b64 s[16:17], -1, 0
	v_cmp_gt_i32_e32 vcc, s6, v2
	s_or_b64 s[16:17], s[16:17], vcc
	s_and_b64 exec, exec, s[16:17]
	s_cbranch_execz .LBB44_10
; %bb.8:
	s_mov_b64 s[16:17], 0
	v_mov_b32_e32 v3, s6
.LBB44_9:                               ; =>This Inner Loop Header: Depth=1
	ds_cmpst_rtn_b32 v3, v1, v3, v2 offset:360
	s_waitcnt lgkmcnt(0)
	v_cmp_ne_u32_e32 vcc, 0, v3
	v_cmp_le_i32_e64 s[6:7], v3, v2
	s_and_b64 s[6:7], vcc, s[6:7]
	s_and_b64 s[6:7], exec, s[6:7]
	s_or_b64 s[16:17], s[6:7], s[16:17]
	s_andn2_b64 exec, exec, s[16:17]
	s_cbranch_execnz .LBB44_9
.LBB44_10:
	s_or_b64 exec, exec, s[12:13]
	v_mov_b32_e32 v2, 0
	s_waitcnt lgkmcnt(0)
	; wave barrier
	ds_read_b32 v1, v2 offset:360
	s_and_saveexec_b64 s[6:7], s[4:5]
	s_cbranch_execz .LBB44_12
; %bb.11:
	s_lshl_b64 s[12:13], s[8:9], 2
	s_add_u32 s12, s14, s12
	s_addc_u32 s13, s15, s13
	s_waitcnt lgkmcnt(0)
	global_store_dword v2, v1, s[12:13]
.LBB44_12:
	s_or_b64 exec, exec, s[6:7]
	s_waitcnt lgkmcnt(0)
	v_cmp_ne_u32_e32 vcc, 0, v1
	s_mov_b64 s[6:7], 0
	s_cbranch_vccnz .LBB44_192
; %bb.13:
	buffer_load_dword v8, v7, s[0:3], 0 offen offset:4
	buffer_load_dword v3, v7, s[0:3], 0 offen
	s_waitcnt vmcnt(1)
	v_cmp_gt_f32_e32 vcc, 0, v8
	v_cndmask_b32_e64 v1, v8, -v8, vcc
	s_waitcnt vmcnt(0)
	v_cmp_gt_f32_e32 vcc, 0, v3
	v_cndmask_b32_e64 v2, v3, -v3, vcc
	v_cmp_ngt_f32_e32 vcc, v2, v1
                                        ; implicit-def: $vgpr1
                                        ; implicit-def: $vgpr2
	s_and_saveexec_b64 s[6:7], vcc
	s_xor_b64 s[6:7], exec, s[6:7]
                                        ; implicit-def: $vgpr4_vgpr5
	s_cbranch_execz .LBB44_15
; %bb.14:
	v_div_scale_f32 v1, s[12:13], v8, v8, v3
	v_rcp_f32_e32 v2, v1
	v_div_scale_f32 v4, vcc, v3, v8, v3
	v_fma_f32 v5, -v1, v2, 1.0
	v_fmac_f32_e32 v2, v5, v2
	v_mul_f32_e32 v5, v4, v2
	v_fma_f32 v9, -v1, v5, v4
	v_fmac_f32_e32 v5, v9, v2
	v_fma_f32 v1, -v1, v5, v4
	v_div_fmas_f32 v1, v1, v2, v5
	v_div_fixup_f32 v2, v1, v8, v3
	v_fmac_f32_e32 v8, v3, v2
	v_div_scale_f32 v1, s[12:13], v8, v8, -1.0
	v_rcp_f32_e32 v3, v1
	v_fma_f32 v4, -v1, v3, 1.0
	v_fmac_f32_e32 v3, v4, v3
	v_div_scale_f32 v4, vcc, -1.0, v8, -1.0
	v_mul_f32_e32 v5, v4, v3
	v_fma_f32 v9, -v1, v5, v4
	v_fmac_f32_e32 v5, v9, v3
	v_fma_f32 v1, -v1, v5, v4
	v_div_fmas_f32 v1, v1, v3, v5
	v_div_fixup_f32 v1, v1, v8, -1.0
	v_mul_f32_e32 v2, v2, v1
	v_xor_b32_e32 v4, 0x80000000, v2
                                        ; implicit-def: $vgpr3
                                        ; implicit-def: $vgpr8
.LBB44_15:
	s_andn2_saveexec_b64 s[6:7], s[6:7]
	s_cbranch_execz .LBB44_17
; %bb.16:
	v_div_scale_f32 v1, s[12:13], v3, v3, v8
	v_rcp_f32_e32 v2, v1
	v_div_scale_f32 v4, vcc, v8, v3, v8
	v_fma_f32 v5, -v1, v2, 1.0
	v_fmac_f32_e32 v2, v5, v2
	v_mul_f32_e32 v5, v4, v2
	v_fma_f32 v9, -v1, v5, v4
	v_fmac_f32_e32 v5, v9, v2
	v_fma_f32 v1, -v1, v5, v4
	v_div_fmas_f32 v1, v1, v2, v5
	v_div_fixup_f32 v1, v1, v3, v8
	v_fmac_f32_e32 v3, v8, v1
	v_div_scale_f32 v2, s[12:13], v3, v3, 1.0
	v_rcp_f32_e32 v4, v2
	v_fma_f32 v5, -v2, v4, 1.0
	v_fmac_f32_e32 v4, v5, v4
	v_div_scale_f32 v5, vcc, 1.0, v3, 1.0
	v_mul_f32_e32 v8, v5, v4
	v_fma_f32 v9, -v2, v8, v5
	v_fmac_f32_e32 v8, v9, v4
	v_fma_f32 v2, -v2, v8, v5
	v_div_fmas_f32 v2, v2, v4, v8
	v_div_fixup_f32 v4, v2, v3, 1.0
	v_xor_b32_e32 v2, 0x80000000, v4
	v_mul_f32_e64 v1, v1, -v4
.LBB44_17:
	s_or_b64 exec, exec, s[6:7]
	buffer_store_dword v1, v7, s[0:3], 0 offen offset:4
	buffer_store_dword v4, v7, s[0:3], 0 offen
	buffer_load_dword v5, off, s[0:3], 0 offset:12
	s_nop 0
	buffer_load_dword v4, off, s[0:3], 0 offset:8
	v_xor_b32_e32 v3, 0x80000000, v1
	v_add_u32_e32 v1, 0x170, v6
	s_waitcnt vmcnt(0)
	ds_write2_b64 v6, v[2:3], v[4:5] offset1:46
	s_waitcnt lgkmcnt(0)
	; wave barrier
	s_waitcnt lgkmcnt(0)
	s_and_saveexec_b64 s[6:7], s[4:5]
	s_cbranch_execz .LBB44_19
; %bb.18:
	buffer_load_dword v8, v7, s[0:3], 0 offen offset:4
	buffer_load_dword v9, v7, s[0:3], 0 offen
	ds_read_b64 v[2:3], v1
	v_mov_b32_e32 v4, 0
	ds_read_b64 v[4:5], v4 offset:8
	s_waitcnt vmcnt(1) lgkmcnt(1)
	v_mul_f32_e32 v10, v3, v8
	v_mul_f32_e32 v8, v2, v8
	s_waitcnt vmcnt(0)
	v_fmac_f32_e32 v8, v3, v9
	v_fma_f32 v2, v2, v9, -v10
	v_add_f32_e32 v3, 0, v8
	v_add_f32_e32 v2, 0, v2
	s_waitcnt lgkmcnt(0)
	v_mul_f32_e32 v8, v3, v5
	v_mul_f32_e32 v5, v2, v5
	v_fma_f32 v2, v2, v4, -v8
	v_fmac_f32_e32 v5, v3, v4
	buffer_store_dword v2, off, s[0:3], 0 offset:8
	buffer_store_dword v5, off, s[0:3], 0 offset:12
.LBB44_19:
	s_or_b64 exec, exec, s[6:7]
	s_waitcnt lgkmcnt(0)
	; wave barrier
	buffer_load_dword v2, off, s[0:3], 0 offset:16
	buffer_load_dword v3, off, s[0:3], 0 offset:20
	v_cmp_gt_u32_e32 vcc, 2, v0
	s_waitcnt vmcnt(0)
	ds_write_b64 v1, v[2:3]
	s_waitcnt lgkmcnt(0)
	; wave barrier
	s_waitcnt lgkmcnt(0)
	s_and_saveexec_b64 s[6:7], vcc
	s_cbranch_execz .LBB44_23
; %bb.20:
	buffer_load_dword v4, v7, s[0:3], 0 offen offset:4
	buffer_load_dword v5, v7, s[0:3], 0 offen
	ds_read_b64 v[2:3], v1
	s_waitcnt vmcnt(1) lgkmcnt(0)
	v_mul_f32_e32 v7, v3, v4
	v_mul_f32_e32 v4, v2, v4
	s_waitcnt vmcnt(0)
	v_fma_f32 v2, v2, v5, -v7
	v_fmac_f32_e32 v4, v3, v5
	v_add_f32_e32 v3, 0, v2
	v_add_f32_e32 v2, 0, v4
	s_and_saveexec_b64 s[12:13], s[4:5]
	s_cbranch_execz .LBB44_22
; %bb.21:
	buffer_load_dword v7, off, s[0:3], 0 offset:12
	buffer_load_dword v8, off, s[0:3], 0 offset:8
	v_mov_b32_e32 v4, 0
	ds_read_b64 v[4:5], v4 offset:376
	s_waitcnt vmcnt(1) lgkmcnt(0)
	v_mul_f32_e32 v9, v4, v7
	v_mul_f32_e32 v7, v5, v7
	s_waitcnt vmcnt(0)
	v_fmac_f32_e32 v9, v5, v8
	v_fma_f32 v4, v4, v8, -v7
	v_add_f32_e32 v2, v2, v9
	v_add_f32_e32 v3, v3, v4
.LBB44_22:
	s_or_b64 exec, exec, s[12:13]
	v_mov_b32_e32 v4, 0
	ds_read_b64 v[4:5], v4 offset:16
	s_waitcnt lgkmcnt(0)
	v_mul_f32_e32 v7, v2, v5
	v_mul_f32_e32 v5, v3, v5
	v_fma_f32 v3, v3, v4, -v7
	v_fmac_f32_e32 v5, v2, v4
	buffer_store_dword v3, off, s[0:3], 0 offset:16
	buffer_store_dword v5, off, s[0:3], 0 offset:20
.LBB44_23:
	s_or_b64 exec, exec, s[6:7]
	s_waitcnt lgkmcnt(0)
	; wave barrier
	buffer_load_dword v2, off, s[0:3], 0 offset:24
	buffer_load_dword v3, off, s[0:3], 0 offset:28
	v_cmp_gt_u32_e32 vcc, 3, v0
	s_waitcnt vmcnt(0)
	ds_write_b64 v1, v[2:3]
	v_add_u32_e32 v2, -1, v0
	s_waitcnt lgkmcnt(0)
	; wave barrier
	s_waitcnt lgkmcnt(0)
	s_and_saveexec_b64 s[4:5], vcc
	s_cbranch_execz .LBB44_27
; %bb.24:
	v_add_u32_e32 v4, -1, v0
	v_add_u32_e32 v5, 0x170, v6
	v_add_u32_e32 v7, 0, v6
	s_mov_b64 s[6:7], 0
	v_mov_b32_e32 v3, 0
	v_mov_b32_e32 v8, 0
.LBB44_25:                              ; =>This Inner Loop Header: Depth=1
	buffer_load_dword v9, v7, s[0:3], 0 offen offset:4
	buffer_load_dword v12, v7, s[0:3], 0 offen
	ds_read_b64 v[10:11], v5
	v_add_u32_e32 v4, 1, v4
	v_cmp_lt_u32_e32 vcc, 1, v4
	v_add_u32_e32 v5, 8, v5
	v_add_u32_e32 v7, 8, v7
	s_or_b64 s[6:7], vcc, s[6:7]
	s_waitcnt vmcnt(1) lgkmcnt(0)
	v_mul_f32_e32 v13, v11, v9
	v_mul_f32_e32 v9, v10, v9
	s_waitcnt vmcnt(0)
	v_fma_f32 v10, v10, v12, -v13
	v_fmac_f32_e32 v9, v11, v12
	v_add_f32_e32 v8, v8, v10
	v_add_f32_e32 v3, v3, v9
	s_andn2_b64 exec, exec, s[6:7]
	s_cbranch_execnz .LBB44_25
; %bb.26:
	s_or_b64 exec, exec, s[6:7]
	v_mov_b32_e32 v4, 0
	ds_read_b64 v[4:5], v4 offset:24
	s_waitcnt lgkmcnt(0)
	v_mul_f32_e32 v7, v3, v5
	v_mul_f32_e32 v5, v8, v5
	v_fma_f32 v7, v8, v4, -v7
	v_fmac_f32_e32 v5, v3, v4
	buffer_store_dword v7, off, s[0:3], 0 offset:24
	buffer_store_dword v5, off, s[0:3], 0 offset:28
.LBB44_27:
	s_or_b64 exec, exec, s[4:5]
	s_waitcnt lgkmcnt(0)
	; wave barrier
	buffer_load_dword v4, off, s[0:3], 0 offset:32
	buffer_load_dword v5, off, s[0:3], 0 offset:36
	v_cmp_gt_u32_e32 vcc, 4, v0
	s_waitcnt vmcnt(0)
	ds_write_b64 v1, v[4:5]
	s_waitcnt lgkmcnt(0)
	; wave barrier
	s_waitcnt lgkmcnt(0)
	s_and_saveexec_b64 s[4:5], vcc
	s_cbranch_execz .LBB44_31
; %bb.28:
	v_add_u32_e32 v4, -1, v0
	v_add_u32_e32 v5, 0x170, v6
	v_add_u32_e32 v7, 0, v6
	s_mov_b64 s[6:7], 0
	v_mov_b32_e32 v3, 0
	v_mov_b32_e32 v8, 0
.LBB44_29:                              ; =>This Inner Loop Header: Depth=1
	buffer_load_dword v9, v7, s[0:3], 0 offen offset:4
	buffer_load_dword v12, v7, s[0:3], 0 offen
	ds_read_b64 v[10:11], v5
	v_add_u32_e32 v4, 1, v4
	v_cmp_lt_u32_e32 vcc, 2, v4
	v_add_u32_e32 v5, 8, v5
	v_add_u32_e32 v7, 8, v7
	s_or_b64 s[6:7], vcc, s[6:7]
	s_waitcnt vmcnt(1) lgkmcnt(0)
	v_mul_f32_e32 v13, v11, v9
	v_mul_f32_e32 v9, v10, v9
	s_waitcnt vmcnt(0)
	v_fma_f32 v10, v10, v12, -v13
	v_fmac_f32_e32 v9, v11, v12
	v_add_f32_e32 v8, v8, v10
	v_add_f32_e32 v3, v3, v9
	s_andn2_b64 exec, exec, s[6:7]
	s_cbranch_execnz .LBB44_29
; %bb.30:
	s_or_b64 exec, exec, s[6:7]
	v_mov_b32_e32 v4, 0
	ds_read_b64 v[4:5], v4 offset:32
	s_waitcnt lgkmcnt(0)
	v_mul_f32_e32 v7, v3, v5
	v_mul_f32_e32 v5, v8, v5
	v_fma_f32 v7, v8, v4, -v7
	v_fmac_f32_e32 v5, v3, v4
	buffer_store_dword v7, off, s[0:3], 0 offset:32
	buffer_store_dword v5, off, s[0:3], 0 offset:36
.LBB44_31:
	s_or_b64 exec, exec, s[4:5]
	s_waitcnt lgkmcnt(0)
	; wave barrier
	buffer_load_dword v4, off, s[0:3], 0 offset:40
	buffer_load_dword v5, off, s[0:3], 0 offset:44
	v_cmp_gt_u32_e32 vcc, 5, v0
	s_waitcnt vmcnt(0)
	ds_write_b64 v1, v[4:5]
	;; [unrolled: 51-line block ×19, first 2 shown]
	s_waitcnt lgkmcnt(0)
	; wave barrier
	s_waitcnt lgkmcnt(0)
	s_and_saveexec_b64 s[4:5], vcc
	s_cbranch_execz .LBB44_103
; %bb.100:
	v_add_u32_e32 v4, -1, v0
	v_add_u32_e32 v5, 0x170, v6
	v_add_u32_e32 v7, 0, v6
	s_mov_b64 s[6:7], 0
	v_mov_b32_e32 v3, 0
	v_mov_b32_e32 v8, 0
.LBB44_101:                             ; =>This Inner Loop Header: Depth=1
	buffer_load_dword v9, v7, s[0:3], 0 offen offset:4
	buffer_load_dword v12, v7, s[0:3], 0 offen
	ds_read_b64 v[10:11], v5
	v_add_u32_e32 v4, 1, v4
	v_cmp_lt_u32_e32 vcc, 20, v4
	v_add_u32_e32 v5, 8, v5
	v_add_u32_e32 v7, 8, v7
	s_or_b64 s[6:7], vcc, s[6:7]
	s_waitcnt vmcnt(1) lgkmcnt(0)
	v_mul_f32_e32 v13, v11, v9
	v_mul_f32_e32 v9, v10, v9
	s_waitcnt vmcnt(0)
	v_fma_f32 v10, v10, v12, -v13
	v_fmac_f32_e32 v9, v11, v12
	v_add_f32_e32 v8, v8, v10
	v_add_f32_e32 v3, v3, v9
	s_andn2_b64 exec, exec, s[6:7]
	s_cbranch_execnz .LBB44_101
; %bb.102:
	s_or_b64 exec, exec, s[6:7]
	v_mov_b32_e32 v4, 0
	ds_read_b64 v[4:5], v4 offset:176
	s_waitcnt lgkmcnt(0)
	v_mul_f32_e32 v7, v3, v5
	v_mul_f32_e32 v5, v8, v5
	v_fma_f32 v7, v8, v4, -v7
	v_fmac_f32_e32 v5, v3, v4
	buffer_store_dword v7, off, s[0:3], 0 offset:176
	buffer_store_dword v5, off, s[0:3], 0 offset:180
.LBB44_103:
	s_or_b64 exec, exec, s[4:5]
	s_waitcnt lgkmcnt(0)
	; wave barrier
	buffer_load_dword v4, off, s[0:3], 0 offset:184
	buffer_load_dword v5, off, s[0:3], 0 offset:188
	v_cmp_gt_u32_e32 vcc, 23, v0
	s_waitcnt vmcnt(0)
	ds_write_b64 v1, v[4:5]
	s_waitcnt lgkmcnt(0)
	; wave barrier
	s_waitcnt lgkmcnt(0)
	s_and_saveexec_b64 s[4:5], vcc
	s_cbranch_execz .LBB44_107
; %bb.104:
	v_add_u32_e32 v4, -1, v0
	v_add_u32_e32 v5, 0x170, v6
	v_add_u32_e32 v7, 0, v6
	s_mov_b64 s[6:7], 0
	v_mov_b32_e32 v3, 0
	v_mov_b32_e32 v8, 0
.LBB44_105:                             ; =>This Inner Loop Header: Depth=1
	buffer_load_dword v9, v7, s[0:3], 0 offen offset:4
	buffer_load_dword v12, v7, s[0:3], 0 offen
	ds_read_b64 v[10:11], v5
	v_add_u32_e32 v4, 1, v4
	v_cmp_lt_u32_e32 vcc, 21, v4
	v_add_u32_e32 v5, 8, v5
	v_add_u32_e32 v7, 8, v7
	s_or_b64 s[6:7], vcc, s[6:7]
	s_waitcnt vmcnt(1) lgkmcnt(0)
	v_mul_f32_e32 v13, v11, v9
	v_mul_f32_e32 v9, v10, v9
	s_waitcnt vmcnt(0)
	v_fma_f32 v10, v10, v12, -v13
	v_fmac_f32_e32 v9, v11, v12
	v_add_f32_e32 v8, v8, v10
	v_add_f32_e32 v3, v3, v9
	s_andn2_b64 exec, exec, s[6:7]
	s_cbranch_execnz .LBB44_105
; %bb.106:
	s_or_b64 exec, exec, s[6:7]
	v_mov_b32_e32 v4, 0
	ds_read_b64 v[4:5], v4 offset:184
	s_waitcnt lgkmcnt(0)
	v_mul_f32_e32 v7, v3, v5
	v_mul_f32_e32 v5, v8, v5
	v_fma_f32 v7, v8, v4, -v7
	v_fmac_f32_e32 v5, v3, v4
	buffer_store_dword v7, off, s[0:3], 0 offset:184
	buffer_store_dword v5, off, s[0:3], 0 offset:188
.LBB44_107:
	s_or_b64 exec, exec, s[4:5]
	s_waitcnt lgkmcnt(0)
	; wave barrier
	buffer_load_dword v4, off, s[0:3], 0 offset:192
	buffer_load_dword v5, off, s[0:3], 0 offset:196
	v_cmp_gt_u32_e32 vcc, 24, v0
	s_waitcnt vmcnt(0)
	ds_write_b64 v1, v[4:5]
	;; [unrolled: 51-line block ×21, first 2 shown]
	s_waitcnt lgkmcnt(0)
	; wave barrier
	s_waitcnt lgkmcnt(0)
	s_and_saveexec_b64 s[4:5], vcc
	s_cbranch_execz .LBB44_187
; %bb.184:
	v_add_u32_e32 v4, -1, v0
	v_add_u32_e32 v5, 0x170, v6
	v_add_u32_e32 v7, 0, v6
	s_mov_b64 s[6:7], 0
	v_mov_b32_e32 v3, 0
	v_mov_b32_e32 v8, 0
.LBB44_185:                             ; =>This Inner Loop Header: Depth=1
	buffer_load_dword v9, v7, s[0:3], 0 offen offset:4
	buffer_load_dword v12, v7, s[0:3], 0 offen
	ds_read_b64 v[10:11], v5
	v_add_u32_e32 v4, 1, v4
	v_cmp_lt_u32_e32 vcc, 41, v4
	v_add_u32_e32 v5, 8, v5
	v_add_u32_e32 v7, 8, v7
	s_or_b64 s[6:7], vcc, s[6:7]
	s_waitcnt vmcnt(1) lgkmcnt(0)
	v_mul_f32_e32 v13, v11, v9
	v_mul_f32_e32 v9, v10, v9
	s_waitcnt vmcnt(0)
	v_fma_f32 v10, v10, v12, -v13
	v_fmac_f32_e32 v9, v11, v12
	v_add_f32_e32 v8, v8, v10
	v_add_f32_e32 v3, v3, v9
	s_andn2_b64 exec, exec, s[6:7]
	s_cbranch_execnz .LBB44_185
; %bb.186:
	s_or_b64 exec, exec, s[6:7]
	v_mov_b32_e32 v4, 0
	ds_read_b64 v[4:5], v4 offset:344
	s_waitcnt lgkmcnt(0)
	v_mul_f32_e32 v7, v3, v5
	v_mul_f32_e32 v5, v8, v5
	v_fma_f32 v7, v8, v4, -v7
	v_fmac_f32_e32 v5, v3, v4
	buffer_store_dword v7, off, s[0:3], 0 offset:344
	buffer_store_dword v5, off, s[0:3], 0 offset:348
.LBB44_187:
	s_or_b64 exec, exec, s[4:5]
	s_waitcnt lgkmcnt(0)
	; wave barrier
	buffer_load_dword v4, off, s[0:3], 0 offset:352
	buffer_load_dword v5, off, s[0:3], 0 offset:356
	v_cmp_ne_u32_e32 vcc, 44, v0
	s_waitcnt vmcnt(0)
	ds_write_b64 v1, v[4:5]
	s_waitcnt lgkmcnt(0)
	; wave barrier
	s_waitcnt lgkmcnt(0)
	s_and_saveexec_b64 s[4:5], vcc
	s_cbranch_execz .LBB44_191
; %bb.188:
	v_add_u32_e32 v3, 0x170, v6
	v_add_u32_e32 v4, 0, v6
	s_mov_b64 s[6:7], 0
	v_mov_b32_e32 v1, 0
	v_mov_b32_e32 v5, 0
.LBB44_189:                             ; =>This Inner Loop Header: Depth=1
	buffer_load_dword v8, v4, s[0:3], 0 offen offset:4
	buffer_load_dword v9, v4, s[0:3], 0 offen
	ds_read_b64 v[6:7], v3
	v_add_u32_e32 v2, 1, v2
	v_cmp_lt_u32_e32 vcc, 42, v2
	v_add_u32_e32 v3, 8, v3
	v_add_u32_e32 v4, 8, v4
	s_or_b64 s[6:7], vcc, s[6:7]
	s_waitcnt vmcnt(1) lgkmcnt(0)
	v_mul_f32_e32 v10, v7, v8
	v_mul_f32_e32 v8, v6, v8
	s_waitcnt vmcnt(0)
	v_fma_f32 v6, v6, v9, -v10
	v_fmac_f32_e32 v8, v7, v9
	v_add_f32_e32 v5, v5, v6
	v_add_f32_e32 v1, v1, v8
	s_andn2_b64 exec, exec, s[6:7]
	s_cbranch_execnz .LBB44_189
; %bb.190:
	s_or_b64 exec, exec, s[6:7]
	v_mov_b32_e32 v2, 0
	ds_read_b64 v[2:3], v2 offset:352
	s_waitcnt lgkmcnt(0)
	v_mul_f32_e32 v4, v1, v3
	v_mul_f32_e32 v3, v5, v3
	v_fma_f32 v4, v5, v2, -v4
	v_fmac_f32_e32 v3, v1, v2
	buffer_store_dword v4, off, s[0:3], 0 offset:352
	buffer_store_dword v3, off, s[0:3], 0 offset:356
.LBB44_191:
	s_or_b64 exec, exec, s[4:5]
	s_mov_b64 s[6:7], -1
	s_waitcnt lgkmcnt(0)
	; wave barrier
.LBB44_192:
	s_and_b64 vcc, exec, s[6:7]
	s_cbranch_vccz .LBB44_194
; %bb.193:
	s_lshl_b64 s[4:5], s[8:9], 2
	s_add_u32 s4, s14, s4
	s_addc_u32 s5, s15, s5
	v_mov_b32_e32 v1, 0
	global_load_dword v1, v1, s[4:5]
	s_waitcnt vmcnt(0)
	v_cmp_ne_u32_e32 vcc, 0, v1
	s_cbranch_vccz .LBB44_195
.LBB44_194:
	s_endpgm
.LBB44_195:
	v_mov_b32_e32 v1, 0x170
	v_lshl_add_u32 v1, v0, 3, v1
	v_cmp_eq_u32_e32 vcc, 44, v0
	s_and_saveexec_b64 s[4:5], vcc
	s_cbranch_execz .LBB44_197
; %bb.196:
	buffer_load_dword v2, off, s[0:3], 0 offset:344
	buffer_load_dword v3, off, s[0:3], 0 offset:348
	v_mov_b32_e32 v4, 0
	buffer_store_dword v4, off, s[0:3], 0 offset:344
	buffer_store_dword v4, off, s[0:3], 0 offset:348
	s_waitcnt vmcnt(2)
	ds_write_b64 v1, v[2:3]
.LBB44_197:
	s_or_b64 exec, exec, s[4:5]
	s_waitcnt lgkmcnt(0)
	; wave barrier
	s_waitcnt lgkmcnt(0)
	buffer_load_dword v5, off, s[0:3], 0 offset:356
	buffer_load_dword v4, off, s[0:3], 0 offset:352
	;; [unrolled: 1-line block ×4, first 2 shown]
	v_mov_b32_e32 v2, 0
	ds_read_b64 v[8:9], v2 offset:720
	v_cmp_lt_u32_e32 vcc, 42, v0
	s_waitcnt vmcnt(3)
	v_mov_b32_e32 v10, v5
	s_waitcnt lgkmcnt(0)
	v_pk_mul_f32 v[10:11], v[8:9], v[10:11] op_sel_hi:[1,0]
	s_waitcnt vmcnt(2)
	v_pk_fma_f32 v[12:13], v[8:9], v[4:5], v[10:11] op_sel:[0,0,1] op_sel_hi:[1,1,0] neg_lo:[0,0,1] neg_hi:[0,0,1]
	v_pk_fma_f32 v[4:5], v[8:9], v[4:5], v[10:11] op_sel:[0,0,1] op_sel_hi:[1,0,0]
	v_mov_b32_e32 v13, v5
	v_pk_add_f32 v[4:5], v[12:13], 0 op_sel_hi:[1,0]
	s_waitcnt vmcnt(0)
	v_pk_add_f32 v[4:5], v[6:7], v[4:5] neg_lo:[0,1] neg_hi:[0,1]
	buffer_store_dword v4, off, s[0:3], 0 offset:344
	buffer_store_dword v5, off, s[0:3], 0 offset:348
	s_and_saveexec_b64 s[4:5], vcc
	s_cbranch_execz .LBB44_199
; %bb.198:
	buffer_load_dword v4, off, s[0:3], 0 offset:336
	buffer_load_dword v5, off, s[0:3], 0 offset:340
	s_waitcnt vmcnt(0)
	ds_write_b64 v1, v[4:5]
	buffer_store_dword v2, off, s[0:3], 0 offset:336
	buffer_store_dword v2, off, s[0:3], 0 offset:340
.LBB44_199:
	s_or_b64 exec, exec, s[4:5]
	s_waitcnt lgkmcnt(0)
	; wave barrier
	s_waitcnt lgkmcnt(0)
	buffer_load_dword v7, off, s[0:3], 0 offset:348
	buffer_load_dword v9, off, s[0:3], 0 offset:356
	;; [unrolled: 1-line block ×6, first 2 shown]
	ds_read2_b64 v[2:5], v2 offset0:89 offset1:90
	v_cmp_lt_u32_e32 vcc, 41, v0
	s_waitcnt vmcnt(5)
	v_mov_b32_e32 v12, v7
	s_waitcnt vmcnt(4)
	v_mov_b32_e32 v14, v9
	s_waitcnt lgkmcnt(0)
	v_pk_mul_f32 v[12:13], v[2:3], v[12:13] op_sel_hi:[1,0]
	v_pk_mul_f32 v[14:15], v[4:5], v[14:15] op_sel_hi:[1,0]
	s_waitcnt vmcnt(3)
	v_pk_fma_f32 v[16:17], v[2:3], v[6:7], v[12:13] op_sel:[0,0,1] op_sel_hi:[1,1,0] neg_lo:[0,0,1] neg_hi:[0,0,1]
	v_pk_fma_f32 v[2:3], v[2:3], v[6:7], v[12:13] op_sel:[0,0,1] op_sel_hi:[1,0,0]
	s_waitcnt vmcnt(2)
	v_pk_fma_f32 v[6:7], v[4:5], v[8:9], v[14:15] op_sel:[0,0,1] op_sel_hi:[1,1,0] neg_lo:[0,0,1] neg_hi:[0,0,1]
	v_pk_fma_f32 v[4:5], v[4:5], v[8:9], v[14:15] op_sel:[0,0,1] op_sel_hi:[1,0,0]
	v_mov_b32_e32 v17, v3
	v_mov_b32_e32 v7, v5
	v_pk_add_f32 v[2:3], v[16:17], 0 op_sel_hi:[1,0]
	v_pk_add_f32 v[2:3], v[2:3], v[6:7]
	s_waitcnt vmcnt(0)
	v_pk_add_f32 v[2:3], v[10:11], v[2:3] neg_lo:[0,1] neg_hi:[0,1]
	buffer_store_dword v2, off, s[0:3], 0 offset:336
	buffer_store_dword v3, off, s[0:3], 0 offset:340
	s_and_saveexec_b64 s[4:5], vcc
	s_cbranch_execz .LBB44_201
; %bb.200:
	buffer_load_dword v2, off, s[0:3], 0 offset:328
	buffer_load_dword v3, off, s[0:3], 0 offset:332
	v_mov_b32_e32 v4, 0
	buffer_store_dword v4, off, s[0:3], 0 offset:328
	buffer_store_dword v4, off, s[0:3], 0 offset:332
	s_waitcnt vmcnt(2)
	ds_write_b64 v1, v[2:3]
.LBB44_201:
	s_or_b64 exec, exec, s[4:5]
	s_waitcnt lgkmcnt(0)
	; wave barrier
	s_waitcnt lgkmcnt(0)
	buffer_load_dword v9, off, s[0:3], 0 offset:340
	buffer_load_dword v11, off, s[0:3], 0 offset:348
	;; [unrolled: 1-line block ×8, first 2 shown]
	v_mov_b32_e32 v2, 0
	ds_read_b128 v[4:7], v2 offset:704
	ds_read_b64 v[16:17], v2 offset:720
	v_cmp_lt_u32_e32 vcc, 40, v0
	s_waitcnt vmcnt(7)
	v_mov_b32_e32 v18, v9
	s_waitcnt vmcnt(6)
	v_mov_b32_e32 v20, v11
	s_waitcnt lgkmcnt(1)
	v_pk_mul_f32 v[18:19], v[4:5], v[18:19] op_sel_hi:[1,0]
	s_waitcnt vmcnt(5)
	v_mov_b32_e32 v22, v13
	v_pk_mul_f32 v[20:21], v[6:7], v[20:21] op_sel_hi:[1,0]
	s_waitcnt vmcnt(4)
	v_pk_fma_f32 v[24:25], v[4:5], v[8:9], v[18:19] op_sel:[0,0,1] op_sel_hi:[1,1,0] neg_lo:[0,0,1] neg_hi:[0,0,1]
	v_pk_fma_f32 v[4:5], v[4:5], v[8:9], v[18:19] op_sel:[0,0,1] op_sel_hi:[1,0,0]
	s_waitcnt lgkmcnt(0)
	v_pk_mul_f32 v[22:23], v[16:17], v[22:23] op_sel_hi:[1,0]
	s_waitcnt vmcnt(3)
	v_pk_fma_f32 v[8:9], v[6:7], v[10:11], v[20:21] op_sel:[0,0,1] op_sel_hi:[1,1,0] neg_lo:[0,0,1] neg_hi:[0,0,1]
	v_pk_fma_f32 v[6:7], v[6:7], v[10:11], v[20:21] op_sel:[0,0,1] op_sel_hi:[1,0,0]
	v_mov_b32_e32 v25, v5
	s_waitcnt vmcnt(2)
	v_pk_fma_f32 v[10:11], v[16:17], v[12:13], v[22:23] op_sel:[0,0,1] op_sel_hi:[1,1,0] neg_lo:[0,0,1] neg_hi:[0,0,1]
	v_pk_fma_f32 v[12:13], v[16:17], v[12:13], v[22:23] op_sel:[0,0,1] op_sel_hi:[1,0,0]
	v_mov_b32_e32 v9, v7
	v_pk_add_f32 v[4:5], v[24:25], 0 op_sel_hi:[1,0]
	v_mov_b32_e32 v11, v13
	v_pk_add_f32 v[4:5], v[4:5], v[8:9]
	v_pk_add_f32 v[4:5], v[4:5], v[10:11]
	s_waitcnt vmcnt(0)
	v_pk_add_f32 v[4:5], v[14:15], v[4:5] neg_lo:[0,1] neg_hi:[0,1]
	buffer_store_dword v4, off, s[0:3], 0 offset:328
	buffer_store_dword v5, off, s[0:3], 0 offset:332
	s_and_saveexec_b64 s[4:5], vcc
	s_cbranch_execz .LBB44_203
; %bb.202:
	buffer_load_dword v4, off, s[0:3], 0 offset:320
	buffer_load_dword v5, off, s[0:3], 0 offset:324
	s_waitcnt vmcnt(0)
	ds_write_b64 v1, v[4:5]
	buffer_store_dword v2, off, s[0:3], 0 offset:320
	buffer_store_dword v2, off, s[0:3], 0 offset:324
.LBB44_203:
	s_or_b64 exec, exec, s[4:5]
	s_waitcnt lgkmcnt(0)
	; wave barrier
	s_waitcnt lgkmcnt(0)
	buffer_load_dword v13, off, s[0:3], 0 offset:332
	buffer_load_dword v15, off, s[0:3], 0 offset:340
	;; [unrolled: 1-line block ×10, first 2 shown]
	ds_read2_b64 v[4:7], v2 offset0:87 offset1:88
	ds_read2_b64 v[8:11], v2 offset0:89 offset1:90
	v_cmp_lt_u32_e32 vcc, 39, v0
	s_waitcnt vmcnt(9)
	v_mov_b32_e32 v2, v13
	s_waitcnt vmcnt(8)
	v_mov_b32_e32 v22, v15
	s_waitcnt lgkmcnt(1)
	v_pk_mul_f32 v[2:3], v[4:5], v[2:3] op_sel_hi:[1,0]
	s_waitcnt vmcnt(7)
	v_mov_b32_e32 v24, v17
	v_pk_mul_f32 v[22:23], v[6:7], v[22:23] op_sel_hi:[1,0]
	s_waitcnt vmcnt(5)
	v_pk_fma_f32 v[28:29], v[4:5], v[12:13], v[2:3] op_sel:[0,0,1] op_sel_hi:[1,1,0] neg_lo:[0,0,1] neg_hi:[0,0,1]
	v_pk_fma_f32 v[2:3], v[4:5], v[12:13], v[2:3] op_sel:[0,0,1] op_sel_hi:[1,0,0]
	v_mov_b32_e32 v26, v19
	s_waitcnt lgkmcnt(0)
	v_pk_mul_f32 v[24:25], v[8:9], v[24:25] op_sel_hi:[1,0]
	s_waitcnt vmcnt(4)
	v_pk_fma_f32 v[4:5], v[6:7], v[14:15], v[22:23] op_sel:[0,0,1] op_sel_hi:[1,1,0] neg_lo:[0,0,1] neg_hi:[0,0,1]
	v_pk_fma_f32 v[6:7], v[6:7], v[14:15], v[22:23] op_sel:[0,0,1] op_sel_hi:[1,0,0]
	v_mov_b32_e32 v29, v3
	v_pk_mul_f32 v[26:27], v[10:11], v[26:27] op_sel_hi:[1,0]
	s_waitcnt vmcnt(3)
	v_pk_fma_f32 v[12:13], v[8:9], v[16:17], v[24:25] op_sel:[0,0,1] op_sel_hi:[1,1,0] neg_lo:[0,0,1] neg_hi:[0,0,1]
	v_pk_fma_f32 v[8:9], v[8:9], v[16:17], v[24:25] op_sel:[0,0,1] op_sel_hi:[1,0,0]
	v_mov_b32_e32 v5, v7
	v_pk_add_f32 v[2:3], v[28:29], 0 op_sel_hi:[1,0]
	s_waitcnt vmcnt(2)
	v_pk_fma_f32 v[14:15], v[10:11], v[18:19], v[26:27] op_sel:[0,0,1] op_sel_hi:[1,1,0] neg_lo:[0,0,1] neg_hi:[0,0,1]
	v_pk_fma_f32 v[10:11], v[10:11], v[18:19], v[26:27] op_sel:[0,0,1] op_sel_hi:[1,0,0]
	v_mov_b32_e32 v13, v9
	v_pk_add_f32 v[2:3], v[2:3], v[4:5]
	v_mov_b32_e32 v15, v11
	v_pk_add_f32 v[2:3], v[2:3], v[12:13]
	v_pk_add_f32 v[2:3], v[2:3], v[14:15]
	s_waitcnt vmcnt(0)
	v_pk_add_f32 v[2:3], v[20:21], v[2:3] neg_lo:[0,1] neg_hi:[0,1]
	buffer_store_dword v2, off, s[0:3], 0 offset:320
	buffer_store_dword v3, off, s[0:3], 0 offset:324
	s_and_saveexec_b64 s[4:5], vcc
	s_cbranch_execz .LBB44_205
; %bb.204:
	buffer_load_dword v2, off, s[0:3], 0 offset:312
	buffer_load_dword v3, off, s[0:3], 0 offset:316
	v_mov_b32_e32 v4, 0
	buffer_store_dword v4, off, s[0:3], 0 offset:312
	buffer_store_dword v4, off, s[0:3], 0 offset:316
	s_waitcnt vmcnt(2)
	ds_write_b64 v1, v[2:3]
.LBB44_205:
	s_or_b64 exec, exec, s[4:5]
	s_waitcnt lgkmcnt(0)
	; wave barrier
	s_waitcnt lgkmcnt(0)
	buffer_load_dword v13, off, s[0:3], 0 offset:324
	buffer_load_dword v15, off, s[0:3], 0 offset:332
	;; [unrolled: 1-line block ×12, first 2 shown]
	v_mov_b32_e32 v2, 0
	ds_read_b128 v[4:7], v2 offset:688
	ds_read_b128 v[8:11], v2 offset:704
	ds_read_b64 v[24:25], v2 offset:720
	v_cmp_lt_u32_e32 vcc, 38, v0
	s_waitcnt vmcnt(11)
	v_mov_b32_e32 v26, v13
	s_waitcnt vmcnt(10)
	v_mov_b32_e32 v28, v15
	s_waitcnt lgkmcnt(2)
	v_pk_mul_f32 v[26:27], v[4:5], v[26:27] op_sel_hi:[1,0]
	s_waitcnt vmcnt(9)
	v_mov_b32_e32 v30, v17
	v_pk_mul_f32 v[28:29], v[6:7], v[28:29] op_sel_hi:[1,0]
	s_waitcnt vmcnt(6)
	v_pk_fma_f32 v[36:37], v[4:5], v[12:13], v[26:27] op_sel:[0,0,1] op_sel_hi:[1,1,0] neg_lo:[0,0,1] neg_hi:[0,0,1]
	v_pk_fma_f32 v[4:5], v[4:5], v[12:13], v[26:27] op_sel:[0,0,1] op_sel_hi:[1,0,0]
	v_mov_b32_e32 v32, v19
	s_waitcnt lgkmcnt(1)
	v_pk_mul_f32 v[30:31], v[8:9], v[30:31] op_sel_hi:[1,0]
	s_waitcnt vmcnt(5)
	v_pk_fma_f32 v[12:13], v[6:7], v[14:15], v[28:29] op_sel:[0,0,1] op_sel_hi:[1,1,0] neg_lo:[0,0,1] neg_hi:[0,0,1]
	v_pk_fma_f32 v[6:7], v[6:7], v[14:15], v[28:29] op_sel:[0,0,1] op_sel_hi:[1,0,0]
	v_mov_b32_e32 v37, v5
	v_mov_b32_e32 v34, v21
	v_pk_mul_f32 v[32:33], v[10:11], v[32:33] op_sel_hi:[1,0]
	s_waitcnt vmcnt(4)
	v_pk_fma_f32 v[14:15], v[8:9], v[16:17], v[30:31] op_sel:[0,0,1] op_sel_hi:[1,1,0] neg_lo:[0,0,1] neg_hi:[0,0,1]
	v_pk_fma_f32 v[8:9], v[8:9], v[16:17], v[30:31] op_sel:[0,0,1] op_sel_hi:[1,0,0]
	v_mov_b32_e32 v13, v7
	v_pk_add_f32 v[4:5], v[36:37], 0 op_sel_hi:[1,0]
	s_waitcnt lgkmcnt(0)
	v_pk_mul_f32 v[34:35], v[24:25], v[34:35] op_sel_hi:[1,0]
	s_waitcnt vmcnt(3)
	v_pk_fma_f32 v[16:17], v[10:11], v[18:19], v[32:33] op_sel:[0,0,1] op_sel_hi:[1,1,0] neg_lo:[0,0,1] neg_hi:[0,0,1]
	v_pk_fma_f32 v[10:11], v[10:11], v[18:19], v[32:33] op_sel:[0,0,1] op_sel_hi:[1,0,0]
	v_mov_b32_e32 v15, v9
	v_pk_add_f32 v[4:5], v[4:5], v[12:13]
	s_waitcnt vmcnt(2)
	v_pk_fma_f32 v[18:19], v[24:25], v[20:21], v[34:35] op_sel:[0,0,1] op_sel_hi:[1,1,0] neg_lo:[0,0,1] neg_hi:[0,0,1]
	v_pk_fma_f32 v[20:21], v[24:25], v[20:21], v[34:35] op_sel:[0,0,1] op_sel_hi:[1,0,0]
	v_mov_b32_e32 v17, v11
	v_pk_add_f32 v[4:5], v[4:5], v[14:15]
	v_mov_b32_e32 v19, v21
	v_pk_add_f32 v[4:5], v[4:5], v[16:17]
	v_pk_add_f32 v[4:5], v[4:5], v[18:19]
	s_waitcnt vmcnt(0)
	v_pk_add_f32 v[4:5], v[22:23], v[4:5] neg_lo:[0,1] neg_hi:[0,1]
	buffer_store_dword v4, off, s[0:3], 0 offset:312
	buffer_store_dword v5, off, s[0:3], 0 offset:316
	s_and_saveexec_b64 s[4:5], vcc
	s_cbranch_execz .LBB44_207
; %bb.206:
	buffer_load_dword v4, off, s[0:3], 0 offset:304
	buffer_load_dword v5, off, s[0:3], 0 offset:308
	s_waitcnt vmcnt(0)
	ds_write_b64 v1, v[4:5]
	buffer_store_dword v2, off, s[0:3], 0 offset:304
	buffer_store_dword v2, off, s[0:3], 0 offset:308
.LBB44_207:
	s_or_b64 exec, exec, s[4:5]
	s_waitcnt lgkmcnt(0)
	; wave barrier
	s_waitcnt lgkmcnt(0)
	buffer_load_dword v16, off, s[0:3], 0 offset:304
	buffer_load_dword v17, off, s[0:3], 0 offset:308
	;; [unrolled: 1-line block ×14, first 2 shown]
	ds_read2_b64 v[4:7], v2 offset0:85 offset1:86
	ds_read2_b64 v[8:11], v2 offset0:87 offset1:88
	;; [unrolled: 1-line block ×3, first 2 shown]
	v_cmp_lt_u32_e32 vcc, 37, v0
	s_waitcnt vmcnt(10)
	v_mov_b32_e32 v2, v19
	s_waitcnt lgkmcnt(2)
	v_pk_mul_f32 v[2:3], v[4:5], v[2:3] op_sel_hi:[1,0]
	v_pk_fma_f32 v[30:31], v[4:5], v[18:19], v[2:3] op_sel:[0,0,1] op_sel_hi:[1,1,0] neg_lo:[0,0,1] neg_hi:[0,0,1]
	v_pk_fma_f32 v[2:3], v[4:5], v[18:19], v[2:3] op_sel:[0,0,1] op_sel_hi:[1,0,0]
	s_waitcnt vmcnt(8)
	v_mov_b32_e32 v4, v21
	v_pk_mul_f32 v[4:5], v[6:7], v[4:5] op_sel_hi:[1,0]
	v_pk_fma_f32 v[18:19], v[6:7], v[20:21], v[4:5] op_sel:[0,0,1] op_sel_hi:[1,1,0] neg_lo:[0,0,1] neg_hi:[0,0,1]
	v_pk_fma_f32 v[4:5], v[6:7], v[20:21], v[4:5] op_sel:[0,0,1] op_sel_hi:[1,0,0]
	s_waitcnt vmcnt(6)
	v_mov_b32_e32 v4, v23
	v_mov_b32_e32 v19, v5
	s_waitcnt lgkmcnt(1)
	v_pk_mul_f32 v[4:5], v[8:9], v[4:5] op_sel_hi:[1,0]
	v_mov_b32_e32 v31, v3
	v_pk_fma_f32 v[6:7], v[8:9], v[22:23], v[4:5] op_sel:[0,0,1] op_sel_hi:[1,1,0] neg_lo:[0,0,1] neg_hi:[0,0,1]
	v_pk_fma_f32 v[4:5], v[8:9], v[22:23], v[4:5] op_sel:[0,0,1] op_sel_hi:[1,0,0]
	v_pk_add_f32 v[2:3], v[30:31], 0 op_sel_hi:[1,0]
	s_waitcnt vmcnt(4)
	v_mov_b32_e32 v4, v25
	v_pk_add_f32 v[2:3], v[2:3], v[18:19]
	v_mov_b32_e32 v7, v5
	v_pk_mul_f32 v[4:5], v[10:11], v[4:5] op_sel_hi:[1,0]
	v_pk_add_f32 v[2:3], v[2:3], v[6:7]
	v_pk_fma_f32 v[6:7], v[10:11], v[24:25], v[4:5] op_sel:[0,0,1] op_sel_hi:[1,1,0] neg_lo:[0,0,1] neg_hi:[0,0,1]
	v_pk_fma_f32 v[4:5], v[10:11], v[24:25], v[4:5] op_sel:[0,0,1] op_sel_hi:[1,0,0]
	s_waitcnt vmcnt(2)
	v_mov_b32_e32 v4, v27
	v_mov_b32_e32 v7, v5
	s_waitcnt lgkmcnt(0)
	v_pk_mul_f32 v[4:5], v[12:13], v[4:5] op_sel_hi:[1,0]
	v_pk_add_f32 v[2:3], v[2:3], v[6:7]
	v_pk_fma_f32 v[6:7], v[12:13], v[26:27], v[4:5] op_sel:[0,0,1] op_sel_hi:[1,1,0] neg_lo:[0,0,1] neg_hi:[0,0,1]
	v_pk_fma_f32 v[4:5], v[12:13], v[26:27], v[4:5] op_sel:[0,0,1] op_sel_hi:[1,0,0]
	s_waitcnt vmcnt(0)
	v_mov_b32_e32 v4, v29
	v_mov_b32_e32 v7, v5
	v_pk_mul_f32 v[4:5], v[14:15], v[4:5] op_sel_hi:[1,0]
	v_pk_add_f32 v[2:3], v[2:3], v[6:7]
	v_pk_fma_f32 v[6:7], v[14:15], v[28:29], v[4:5] op_sel:[0,0,1] op_sel_hi:[1,1,0] neg_lo:[0,0,1] neg_hi:[0,0,1]
	v_pk_fma_f32 v[4:5], v[14:15], v[28:29], v[4:5] op_sel:[0,0,1] op_sel_hi:[1,0,0]
	v_mov_b32_e32 v7, v5
	v_pk_add_f32 v[2:3], v[2:3], v[6:7]
	v_pk_add_f32 v[2:3], v[16:17], v[2:3] neg_lo:[0,1] neg_hi:[0,1]
	buffer_store_dword v2, off, s[0:3], 0 offset:304
	buffer_store_dword v3, off, s[0:3], 0 offset:308
	s_and_saveexec_b64 s[4:5], vcc
	s_cbranch_execz .LBB44_209
; %bb.208:
	buffer_load_dword v2, off, s[0:3], 0 offset:296
	buffer_load_dword v3, off, s[0:3], 0 offset:300
	v_mov_b32_e32 v4, 0
	buffer_store_dword v4, off, s[0:3], 0 offset:296
	buffer_store_dword v4, off, s[0:3], 0 offset:300
	s_waitcnt vmcnt(2)
	ds_write_b64 v1, v[2:3]
.LBB44_209:
	s_or_b64 exec, exec, s[4:5]
	s_waitcnt lgkmcnt(0)
	; wave barrier
	s_waitcnt lgkmcnt(0)
	buffer_load_dword v16, off, s[0:3], 0 offset:296
	buffer_load_dword v17, off, s[0:3], 0 offset:300
	;; [unrolled: 1-line block ×16, first 2 shown]
	v_mov_b32_e32 v2, 0
	ds_read_b128 v[4:7], v2 offset:672
	ds_read_b128 v[8:11], v2 offset:688
	;; [unrolled: 1-line block ×3, first 2 shown]
	ds_read_b64 v[32:33], v2 offset:720
	v_cmp_lt_u32_e32 vcc, 36, v0
	s_waitcnt vmcnt(12)
	v_mov_b32_e32 v34, v19
	s_waitcnt lgkmcnt(3)
	v_pk_mul_f32 v[34:35], v[4:5], v[34:35] op_sel_hi:[1,0]
	v_pk_fma_f32 v[36:37], v[4:5], v[18:19], v[34:35] op_sel:[0,0,1] op_sel_hi:[1,1,0] neg_lo:[0,0,1] neg_hi:[0,0,1]
	v_pk_fma_f32 v[4:5], v[4:5], v[18:19], v[34:35] op_sel:[0,0,1] op_sel_hi:[1,0,0]
	s_waitcnt vmcnt(10)
	v_mov_b32_e32 v18, v21
	v_pk_mul_f32 v[18:19], v[6:7], v[18:19] op_sel_hi:[1,0]
	v_pk_fma_f32 v[34:35], v[6:7], v[20:21], v[18:19] op_sel:[0,0,1] op_sel_hi:[1,1,0] neg_lo:[0,0,1] neg_hi:[0,0,1]
	v_pk_fma_f32 v[6:7], v[6:7], v[20:21], v[18:19] op_sel:[0,0,1] op_sel_hi:[1,0,0]
	s_waitcnt vmcnt(8)
	v_mov_b32_e32 v6, v23
	v_mov_b32_e32 v35, v7
	s_waitcnt lgkmcnt(2)
	v_pk_mul_f32 v[6:7], v[8:9], v[6:7] op_sel_hi:[1,0]
	v_pk_fma_f32 v[18:19], v[8:9], v[22:23], v[6:7] op_sel:[0,0,1] op_sel_hi:[1,1,0] neg_lo:[0,0,1] neg_hi:[0,0,1]
	v_pk_fma_f32 v[6:7], v[8:9], v[22:23], v[6:7] op_sel:[0,0,1] op_sel_hi:[1,0,0]
	s_waitcnt vmcnt(6)
	v_mov_b32_e32 v6, v25
	v_mov_b32_e32 v37, v5
	;; [unrolled: 1-line block ×3, first 2 shown]
	v_pk_mul_f32 v[6:7], v[10:11], v[6:7] op_sel_hi:[1,0]
	v_pk_add_f32 v[4:5], v[36:37], 0 op_sel_hi:[1,0]
	v_pk_fma_f32 v[8:9], v[10:11], v[24:25], v[6:7] op_sel:[0,0,1] op_sel_hi:[1,1,0] neg_lo:[0,0,1] neg_hi:[0,0,1]
	v_pk_fma_f32 v[6:7], v[10:11], v[24:25], v[6:7] op_sel:[0,0,1] op_sel_hi:[1,0,0]
	v_pk_add_f32 v[4:5], v[4:5], v[34:35]
	s_waitcnt vmcnt(4)
	v_mov_b32_e32 v6, v27
	v_pk_add_f32 v[4:5], v[4:5], v[18:19]
	v_mov_b32_e32 v9, v7
	s_waitcnt lgkmcnt(1)
	v_pk_mul_f32 v[6:7], v[12:13], v[6:7] op_sel_hi:[1,0]
	v_pk_add_f32 v[4:5], v[4:5], v[8:9]
	v_pk_fma_f32 v[8:9], v[12:13], v[26:27], v[6:7] op_sel:[0,0,1] op_sel_hi:[1,1,0] neg_lo:[0,0,1] neg_hi:[0,0,1]
	v_pk_fma_f32 v[6:7], v[12:13], v[26:27], v[6:7] op_sel:[0,0,1] op_sel_hi:[1,0,0]
	s_waitcnt vmcnt(2)
	v_mov_b32_e32 v6, v29
	v_mov_b32_e32 v9, v7
	v_pk_mul_f32 v[6:7], v[14:15], v[6:7] op_sel_hi:[1,0]
	v_pk_add_f32 v[4:5], v[4:5], v[8:9]
	v_pk_fma_f32 v[8:9], v[14:15], v[28:29], v[6:7] op_sel:[0,0,1] op_sel_hi:[1,1,0] neg_lo:[0,0,1] neg_hi:[0,0,1]
	v_pk_fma_f32 v[6:7], v[14:15], v[28:29], v[6:7] op_sel:[0,0,1] op_sel_hi:[1,0,0]
	s_waitcnt vmcnt(0)
	v_mov_b32_e32 v6, v31
	v_mov_b32_e32 v9, v7
	s_waitcnt lgkmcnt(0)
	v_pk_mul_f32 v[6:7], v[32:33], v[6:7] op_sel_hi:[1,0]
	v_pk_add_f32 v[4:5], v[4:5], v[8:9]
	v_pk_fma_f32 v[8:9], v[32:33], v[30:31], v[6:7] op_sel:[0,0,1] op_sel_hi:[1,1,0] neg_lo:[0,0,1] neg_hi:[0,0,1]
	v_pk_fma_f32 v[6:7], v[32:33], v[30:31], v[6:7] op_sel:[0,0,1] op_sel_hi:[1,0,0]
	v_mov_b32_e32 v9, v7
	v_pk_add_f32 v[4:5], v[4:5], v[8:9]
	v_pk_add_f32 v[4:5], v[16:17], v[4:5] neg_lo:[0,1] neg_hi:[0,1]
	buffer_store_dword v4, off, s[0:3], 0 offset:296
	buffer_store_dword v5, off, s[0:3], 0 offset:300
	s_and_saveexec_b64 s[4:5], vcc
	s_cbranch_execz .LBB44_211
; %bb.210:
	buffer_load_dword v4, off, s[0:3], 0 offset:288
	buffer_load_dword v5, off, s[0:3], 0 offset:292
	s_waitcnt vmcnt(0)
	ds_write_b64 v1, v[4:5]
	buffer_store_dword v2, off, s[0:3], 0 offset:288
	buffer_store_dword v2, off, s[0:3], 0 offset:292
.LBB44_211:
	s_or_b64 exec, exec, s[4:5]
	s_waitcnt lgkmcnt(0)
	; wave barrier
	s_waitcnt lgkmcnt(0)
	buffer_load_dword v21, off, s[0:3], 0 offset:300
	buffer_load_dword v23, off, s[0:3], 0 offset:308
	;; [unrolled: 1-line block ×18, first 2 shown]
	ds_read2_b64 v[4:7], v2 offset0:83 offset1:84
	ds_read2_b64 v[8:11], v2 offset0:85 offset1:86
	;; [unrolled: 1-line block ×4, first 2 shown]
	v_cmp_lt_u32_e32 vcc, 35, v0
	s_waitcnt vmcnt(17)
	v_mov_b32_e32 v2, v21
	s_waitcnt vmcnt(16)
	v_mov_b32_e32 v38, v23
	s_waitcnt lgkmcnt(3)
	v_pk_mul_f32 v[2:3], v[4:5], v[2:3] op_sel_hi:[1,0]
	s_waitcnt vmcnt(15)
	v_mov_b32_e32 v40, v25
	v_pk_mul_f32 v[38:39], v[6:7], v[38:39] op_sel_hi:[1,0]
	s_waitcnt vmcnt(14)
	v_mov_b32_e32 v42, v27
	s_waitcnt lgkmcnt(2)
	v_pk_mul_f32 v[40:41], v[8:9], v[40:41] op_sel_hi:[1,0]
	s_waitcnt vmcnt(13)
	v_mov_b32_e32 v44, v29
	s_waitcnt vmcnt(9)
	v_pk_fma_f32 v[52:53], v[4:5], v[20:21], v[2:3] op_sel:[0,0,1] op_sel_hi:[1,1,0] neg_lo:[0,0,1] neg_hi:[0,0,1]
	v_pk_fma_f32 v[2:3], v[4:5], v[20:21], v[2:3] op_sel:[0,0,1] op_sel_hi:[1,0,0]
	s_waitcnt vmcnt(8)
	v_pk_fma_f32 v[4:5], v[6:7], v[22:23], v[38:39] op_sel:[0,0,1] op_sel_hi:[1,1,0] neg_lo:[0,0,1] neg_hi:[0,0,1]
	v_pk_fma_f32 v[6:7], v[6:7], v[22:23], v[38:39] op_sel:[0,0,1] op_sel_hi:[1,0,0]
	v_mov_b32_e32 v53, v3
	v_pk_mul_f32 v[42:43], v[10:11], v[42:43] op_sel_hi:[1,0]
	s_waitcnt vmcnt(7)
	v_pk_fma_f32 v[20:21], v[8:9], v[24:25], v[40:41] op_sel:[0,0,1] op_sel_hi:[1,1,0] neg_lo:[0,0,1] neg_hi:[0,0,1]
	v_pk_fma_f32 v[8:9], v[8:9], v[24:25], v[40:41] op_sel:[0,0,1] op_sel_hi:[1,0,0]
	v_mov_b32_e32 v5, v7
	v_pk_add_f32 v[2:3], v[52:53], 0 op_sel_hi:[1,0]
	v_mov_b32_e32 v46, v31
	s_waitcnt lgkmcnt(1)
	v_pk_mul_f32 v[44:45], v[12:13], v[44:45] op_sel_hi:[1,0]
	s_waitcnt vmcnt(6)
	v_pk_fma_f32 v[22:23], v[10:11], v[26:27], v[42:43] op_sel:[0,0,1] op_sel_hi:[1,1,0] neg_lo:[0,0,1] neg_hi:[0,0,1]
	v_pk_fma_f32 v[10:11], v[10:11], v[26:27], v[42:43] op_sel:[0,0,1] op_sel_hi:[1,0,0]
	v_mov_b32_e32 v21, v9
	v_pk_add_f32 v[2:3], v[2:3], v[4:5]
	v_mov_b32_e32 v48, v33
	v_pk_mul_f32 v[46:47], v[14:15], v[46:47] op_sel_hi:[1,0]
	s_waitcnt vmcnt(5)
	v_pk_fma_f32 v[24:25], v[12:13], v[28:29], v[44:45] op_sel:[0,0,1] op_sel_hi:[1,1,0] neg_lo:[0,0,1] neg_hi:[0,0,1]
	v_pk_fma_f32 v[12:13], v[12:13], v[28:29], v[44:45] op_sel:[0,0,1] op_sel_hi:[1,0,0]
	v_mov_b32_e32 v23, v11
	v_pk_add_f32 v[2:3], v[2:3], v[20:21]
	v_mov_b32_e32 v50, v35
	s_waitcnt lgkmcnt(0)
	v_pk_mul_f32 v[48:49], v[16:17], v[48:49] op_sel_hi:[1,0]
	s_waitcnt vmcnt(4)
	v_pk_fma_f32 v[26:27], v[14:15], v[30:31], v[46:47] op_sel:[0,0,1] op_sel_hi:[1,1,0] neg_lo:[0,0,1] neg_hi:[0,0,1]
	v_pk_fma_f32 v[14:15], v[14:15], v[30:31], v[46:47] op_sel:[0,0,1] op_sel_hi:[1,0,0]
	v_mov_b32_e32 v25, v13
	v_pk_add_f32 v[2:3], v[2:3], v[22:23]
	v_pk_mul_f32 v[50:51], v[18:19], v[50:51] op_sel_hi:[1,0]
	s_waitcnt vmcnt(3)
	v_pk_fma_f32 v[28:29], v[16:17], v[32:33], v[48:49] op_sel:[0,0,1] op_sel_hi:[1,1,0] neg_lo:[0,0,1] neg_hi:[0,0,1]
	v_pk_fma_f32 v[16:17], v[16:17], v[32:33], v[48:49] op_sel:[0,0,1] op_sel_hi:[1,0,0]
	v_mov_b32_e32 v27, v15
	v_pk_add_f32 v[2:3], v[2:3], v[24:25]
	s_waitcnt vmcnt(2)
	v_pk_fma_f32 v[30:31], v[18:19], v[34:35], v[50:51] op_sel:[0,0,1] op_sel_hi:[1,1,0] neg_lo:[0,0,1] neg_hi:[0,0,1]
	v_pk_fma_f32 v[18:19], v[18:19], v[34:35], v[50:51] op_sel:[0,0,1] op_sel_hi:[1,0,0]
	v_mov_b32_e32 v29, v17
	v_pk_add_f32 v[2:3], v[2:3], v[26:27]
	v_mov_b32_e32 v31, v19
	v_pk_add_f32 v[2:3], v[2:3], v[28:29]
	v_pk_add_f32 v[2:3], v[2:3], v[30:31]
	s_waitcnt vmcnt(0)
	v_pk_add_f32 v[2:3], v[36:37], v[2:3] neg_lo:[0,1] neg_hi:[0,1]
	buffer_store_dword v2, off, s[0:3], 0 offset:288
	buffer_store_dword v3, off, s[0:3], 0 offset:292
	s_and_saveexec_b64 s[4:5], vcc
	s_cbranch_execz .LBB44_213
; %bb.212:
	buffer_load_dword v2, off, s[0:3], 0 offset:280
	buffer_load_dword v3, off, s[0:3], 0 offset:284
	v_mov_b32_e32 v4, 0
	buffer_store_dword v4, off, s[0:3], 0 offset:280
	buffer_store_dword v4, off, s[0:3], 0 offset:284
	s_waitcnt vmcnt(2)
	ds_write_b64 v1, v[2:3]
.LBB44_213:
	s_or_b64 exec, exec, s[4:5]
	s_waitcnt lgkmcnt(0)
	; wave barrier
	s_waitcnt lgkmcnt(0)
	buffer_load_dword v3, off, s[0:3], 0 offset:292
	buffer_load_dword v21, off, s[0:3], 0 offset:300
	;; [unrolled: 1-line block ×20, first 2 shown]
	v_mov_b32_e32 v2, 0
	ds_read_b128 v[4:7], v2 offset:656
	ds_read_b128 v[8:11], v2 offset:672
	;; [unrolled: 1-line block ×4, first 2 shown]
	ds_read_b64 v[38:39], v2 offset:720
	v_cmp_lt_u32_e32 vcc, 34, v0
	s_waitcnt vmcnt(19) lgkmcnt(4)
	v_mul_f32_e32 v41, v4, v3
	v_mul_f32_e32 v3, v5, v3
	s_waitcnt vmcnt(18)
	v_mov_b32_e32 v42, v21
	s_waitcnt vmcnt(17)
	v_mov_b32_e32 v44, v23
	;; [unrolled: 2-line block ×8, first 2 shown]
	s_waitcnt vmcnt(10)
	v_fmac_f32_e32 v41, v5, v40
	v_fma_f32 v40, v4, v40, -v3
	v_pk_mul_f32 v[4:5], v[6:7], v[42:43] op_sel_hi:[1,0]
	s_waitcnt lgkmcnt(3)
	v_pk_mul_f32 v[42:43], v[8:9], v[44:45] op_sel_hi:[1,0]
	v_pk_mul_f32 v[44:45], v[10:11], v[46:47] op_sel_hi:[1,0]
	s_waitcnt lgkmcnt(2)
	v_pk_mul_f32 v[46:47], v[12:13], v[48:49] op_sel_hi:[1,0]
	;; [unrolled: 3-line block ×4, first 2 shown]
	s_waitcnt vmcnt(9)
	v_pk_fma_f32 v[56:57], v[6:7], v[20:21], v[4:5] op_sel:[0,0,1] op_sel_hi:[1,1,0] neg_lo:[0,0,1] neg_hi:[0,0,1]
	v_pk_fma_f32 v[4:5], v[6:7], v[20:21], v[4:5] op_sel:[0,0,1] op_sel_hi:[1,0,0]
	v_pk_add_f32 v[40:41], v[40:41], 0 op_sel_hi:[1,0]
	s_waitcnt vmcnt(8)
	v_pk_fma_f32 v[6:7], v[8:9], v[22:23], v[42:43] op_sel:[0,0,1] op_sel_hi:[1,1,0] neg_lo:[0,0,1] neg_hi:[0,0,1]
	v_pk_fma_f32 v[8:9], v[8:9], v[22:23], v[42:43] op_sel:[0,0,1] op_sel_hi:[1,0,0]
	v_mov_b32_e32 v57, v5
	s_waitcnt vmcnt(7)
	v_pk_fma_f32 v[20:21], v[10:11], v[24:25], v[44:45] op_sel:[0,0,1] op_sel_hi:[1,1,0] neg_lo:[0,0,1] neg_hi:[0,0,1]
	v_pk_fma_f32 v[10:11], v[10:11], v[24:25], v[44:45] op_sel:[0,0,1] op_sel_hi:[1,0,0]
	v_mov_b32_e32 v7, v9
	v_pk_add_f32 v[4:5], v[40:41], v[56:57]
	s_waitcnt vmcnt(6)
	v_pk_fma_f32 v[22:23], v[12:13], v[26:27], v[46:47] op_sel:[0,0,1] op_sel_hi:[1,1,0] neg_lo:[0,0,1] neg_hi:[0,0,1]
	v_pk_fma_f32 v[12:13], v[12:13], v[26:27], v[46:47] op_sel:[0,0,1] op_sel_hi:[1,0,0]
	v_mov_b32_e32 v21, v11
	v_pk_add_f32 v[4:5], v[4:5], v[6:7]
	;; [unrolled: 5-line block ×5, first 2 shown]
	v_pk_fma_f32 v[30:31], v[38:39], v[34:35], v[54:55] op_sel:[0,0,1] op_sel_hi:[1,1,0] neg_lo:[0,0,1] neg_hi:[0,0,1]
	v_pk_fma_f32 v[32:33], v[38:39], v[34:35], v[54:55] op_sel:[0,0,1] op_sel_hi:[1,0,0]
	v_mov_b32_e32 v29, v19
	v_pk_add_f32 v[4:5], v[4:5], v[26:27]
	v_mov_b32_e32 v31, v33
	v_pk_add_f32 v[4:5], v[4:5], v[28:29]
	v_pk_add_f32 v[4:5], v[4:5], v[30:31]
	s_waitcnt vmcnt(0)
	v_pk_add_f32 v[4:5], v[36:37], v[4:5] neg_lo:[0,1] neg_hi:[0,1]
	buffer_store_dword v4, off, s[0:3], 0 offset:280
	buffer_store_dword v5, off, s[0:3], 0 offset:284
	s_and_saveexec_b64 s[4:5], vcc
	s_cbranch_execz .LBB44_215
; %bb.214:
	buffer_load_dword v4, off, s[0:3], 0 offset:272
	buffer_load_dword v5, off, s[0:3], 0 offset:276
	s_waitcnt vmcnt(0)
	ds_write_b64 v1, v[4:5]
	buffer_store_dword v2, off, s[0:3], 0 offset:272
	buffer_store_dword v2, off, s[0:3], 0 offset:276
.LBB44_215:
	s_or_b64 exec, exec, s[4:5]
	s_waitcnt lgkmcnt(0)
	; wave barrier
	s_waitcnt lgkmcnt(0)
	buffer_load_dword v42, off, s[0:3], 0 offset:284
	buffer_load_dword v44, off, s[0:3], 0 offset:292
	;; [unrolled: 1-line block ×22, first 2 shown]
	ds_read2_b64 v[4:7], v2 offset0:81 offset1:82
	ds_read2_b64 v[8:11], v2 offset0:83 offset1:84
	;; [unrolled: 1-line block ×5, first 2 shown]
	v_cmp_lt_u32_e32 vcc, 33, v0
	s_waitcnt vmcnt(21) lgkmcnt(4)
	v_mul_f32_e32 v3, v4, v42
	s_waitcnt vmcnt(20)
	v_mul_f32_e32 v43, v6, v44
	v_mul_f32_e32 v2, v5, v42
	;; [unrolled: 1-line block ×3, first 2 shown]
	s_waitcnt vmcnt(19)
	v_mov_b32_e32 v44, v25
	s_waitcnt vmcnt(18)
	v_mov_b32_e32 v46, v27
	;; [unrolled: 2-line block ×5, first 2 shown]
	v_mov_b32_e32 v50, v31
	s_waitcnt vmcnt(11)
	v_fmac_f32_e32 v3, v5, v45
	v_fma_f32 v2, v4, v45, -v2
	s_waitcnt lgkmcnt(3)
	v_pk_mul_f32 v[4:5], v[8:9], v[44:45] op_sel_hi:[1,0]
	s_waitcnt vmcnt(10)
	v_fmac_f32_e32 v43, v7, v47
	v_fma_f32 v42, v6, v47, -v42
	v_pk_mul_f32 v[6:7], v[10:11], v[46:47] op_sel_hi:[1,0]
	s_waitcnt lgkmcnt(2)
	v_pk_mul_f32 v[44:45], v[12:13], v[48:49] op_sel_hi:[1,0]
	s_waitcnt lgkmcnt(1)
	v_pk_mul_f32 v[48:49], v[16:17], v[52:53] op_sel_hi:[1,0]
	s_waitcnt lgkmcnt(0)
	v_pk_mul_f32 v[52:53], v[20:21], v[56:57] op_sel_hi:[1,0]
	v_pk_add_f32 v[2:3], v[2:3], 0 op_sel_hi:[1,0]
	s_waitcnt vmcnt(9)
	v_pk_fma_f32 v[56:57], v[8:9], v[24:25], v[4:5] op_sel:[0,0,1] op_sel_hi:[1,1,0] neg_lo:[0,0,1] neg_hi:[0,0,1]
	v_pk_fma_f32 v[4:5], v[8:9], v[24:25], v[4:5] op_sel:[0,0,1] op_sel_hi:[1,0,0]
	s_waitcnt vmcnt(8)
	v_pk_fma_f32 v[8:9], v[10:11], v[26:27], v[6:7] op_sel:[0,0,1] op_sel_hi:[1,1,0] neg_lo:[0,0,1] neg_hi:[0,0,1]
	v_pk_fma_f32 v[6:7], v[10:11], v[26:27], v[6:7] op_sel:[0,0,1] op_sel_hi:[1,0,0]
	v_pk_add_f32 v[2:3], v[2:3], v[42:43]
	v_mov_b32_e32 v57, v5
	v_pk_mul_f32 v[46:47], v[14:15], v[50:51] op_sel_hi:[1,0]
	s_waitcnt vmcnt(7)
	v_pk_fma_f32 v[10:11], v[12:13], v[28:29], v[44:45] op_sel:[0,0,1] op_sel_hi:[1,1,0] neg_lo:[0,0,1] neg_hi:[0,0,1]
	v_pk_fma_f32 v[12:13], v[12:13], v[28:29], v[44:45] op_sel:[0,0,1] op_sel_hi:[1,0,0]
	v_mov_b32_e32 v9, v7
	v_pk_add_f32 v[2:3], v[2:3], v[56:57]
	v_mov_b32_e32 v54, v35
	s_waitcnt vmcnt(6)
	v_pk_fma_f32 v[24:25], v[14:15], v[30:31], v[46:47] op_sel:[0,0,1] op_sel_hi:[1,1,0] neg_lo:[0,0,1] neg_hi:[0,0,1]
	v_pk_fma_f32 v[14:15], v[14:15], v[30:31], v[46:47] op_sel:[0,0,1] op_sel_hi:[1,0,0]
	v_mov_b32_e32 v11, v13
	v_pk_add_f32 v[2:3], v[2:3], v[8:9]
	v_pk_mul_f32 v[50:51], v[18:19], v[54:55] op_sel_hi:[1,0]
	s_waitcnt vmcnt(5)
	v_pk_fma_f32 v[26:27], v[16:17], v[32:33], v[48:49] op_sel:[0,0,1] op_sel_hi:[1,1,0] neg_lo:[0,0,1] neg_hi:[0,0,1]
	v_pk_fma_f32 v[16:17], v[16:17], v[32:33], v[48:49] op_sel:[0,0,1] op_sel_hi:[1,0,0]
	v_mov_b32_e32 v25, v15
	v_pk_add_f32 v[2:3], v[2:3], v[10:11]
	v_mov_b32_e32 v58, v39
	s_waitcnt vmcnt(2)
	v_pk_fma_f32 v[28:29], v[18:19], v[34:35], v[50:51] op_sel:[0,0,1] op_sel_hi:[1,1,0] neg_lo:[0,0,1] neg_hi:[0,0,1]
	v_pk_fma_f32 v[18:19], v[18:19], v[34:35], v[50:51] op_sel:[0,0,1] op_sel_hi:[1,0,0]
	v_mov_b32_e32 v27, v17
	v_pk_add_f32 v[2:3], v[2:3], v[24:25]
	v_pk_mul_f32 v[54:55], v[22:23], v[58:59] op_sel_hi:[1,0]
	v_pk_fma_f32 v[30:31], v[20:21], v[36:37], v[52:53] op_sel:[0,0,1] op_sel_hi:[1,1,0] neg_lo:[0,0,1] neg_hi:[0,0,1]
	v_pk_fma_f32 v[20:21], v[20:21], v[36:37], v[52:53] op_sel:[0,0,1] op_sel_hi:[1,0,0]
	v_mov_b32_e32 v29, v19
	v_pk_add_f32 v[2:3], v[2:3], v[26:27]
	v_pk_fma_f32 v[32:33], v[22:23], v[38:39], v[54:55] op_sel:[0,0,1] op_sel_hi:[1,1,0] neg_lo:[0,0,1] neg_hi:[0,0,1]
	v_pk_fma_f32 v[22:23], v[22:23], v[38:39], v[54:55] op_sel:[0,0,1] op_sel_hi:[1,0,0]
	v_mov_b32_e32 v31, v21
	v_pk_add_f32 v[2:3], v[2:3], v[28:29]
	v_mov_b32_e32 v33, v23
	v_pk_add_f32 v[2:3], v[2:3], v[30:31]
	v_pk_add_f32 v[2:3], v[2:3], v[32:33]
	s_waitcnt vmcnt(0)
	v_pk_add_f32 v[2:3], v[40:41], v[2:3] neg_lo:[0,1] neg_hi:[0,1]
	buffer_store_dword v2, off, s[0:3], 0 offset:272
	buffer_store_dword v3, off, s[0:3], 0 offset:276
	s_and_saveexec_b64 s[4:5], vcc
	s_cbranch_execz .LBB44_217
; %bb.216:
	buffer_load_dword v2, off, s[0:3], 0 offset:264
	buffer_load_dword v3, off, s[0:3], 0 offset:268
	v_mov_b32_e32 v4, 0
	buffer_store_dword v4, off, s[0:3], 0 offset:264
	buffer_store_dword v4, off, s[0:3], 0 offset:268
	s_waitcnt vmcnt(2)
	ds_write_b64 v1, v[2:3]
.LBB44_217:
	s_or_b64 exec, exec, s[4:5]
	s_waitcnt lgkmcnt(0)
	; wave barrier
	s_waitcnt lgkmcnt(0)
	buffer_load_dword v3, off, s[0:3], 0 offset:276
	buffer_load_dword v44, off, s[0:3], 0 offset:284
	;; [unrolled: 1-line block ×24, first 2 shown]
	v_mov_b32_e32 v2, 0
	ds_read_b128 v[4:7], v2 offset:640
	ds_read_b128 v[8:11], v2 offset:656
	;; [unrolled: 1-line block ×5, first 2 shown]
	ds_read_b64 v[42:43], v2 offset:720
	v_cmp_lt_u32_e32 vcc, 32, v0
	s_waitcnt vmcnt(23) lgkmcnt(5)
	v_mul_f32_e32 v57, v4, v3
	v_mul_f32_e32 v3, v5, v3
	s_waitcnt vmcnt(22)
	v_mul_f32_e32 v45, v6, v44
	s_waitcnt vmcnt(21) lgkmcnt(4)
	v_mul_f32_e32 v47, v8, v46
	v_mul_f32_e32 v44, v7, v44
	;; [unrolled: 1-line block ×3, first 2 shown]
	s_waitcnt vmcnt(20)
	v_mov_b32_e32 v48, v25
	s_waitcnt vmcnt(19)
	v_mov_b32_e32 v50, v27
	;; [unrolled: 2-line block ×5, first 2 shown]
	s_waitcnt vmcnt(12)
	v_fmac_f32_e32 v57, v5, v49
	v_fma_f32 v3, v4, v49, -v3
	v_mov_b32_e32 v58, v35
	s_waitcnt vmcnt(11)
	v_fmac_f32_e32 v45, v7, v51
	s_waitcnt vmcnt(10)
	v_fmac_f32_e32 v47, v9, v53
	v_fma_f32 v44, v6, v51, -v44
	v_fma_f32 v46, v8, v53, -v46
	v_pk_mul_f32 v[4:5], v[10:11], v[48:49] op_sel_hi:[1,0]
	s_waitcnt lgkmcnt(3)
	v_pk_mul_f32 v[6:7], v[12:13], v[50:51] op_sel_hi:[1,0]
	v_pk_mul_f32 v[8:9], v[14:15], v[52:53] op_sel_hi:[1,0]
	s_waitcnt lgkmcnt(2)
	v_pk_mul_f32 v[48:49], v[16:17], v[54:55] op_sel_hi:[1,0]
	v_pk_mul_f32 v[50:51], v[18:19], v[56:57] op_sel_hi:[1,0]
	v_add_f32_e32 v57, 0, v57
	v_add_f32_e32 v56, 0, v3
	s_waitcnt lgkmcnt(1)
	v_pk_mul_f32 v[52:53], v[20:21], v[58:59] op_sel_hi:[1,0]
	s_waitcnt vmcnt(9)
	v_pk_fma_f32 v[58:59], v[10:11], v[24:25], v[4:5] op_sel:[0,0,1] op_sel_hi:[1,1,0] neg_lo:[0,0,1] neg_hi:[0,0,1]
	v_pk_fma_f32 v[4:5], v[10:11], v[24:25], v[4:5] op_sel:[0,0,1] op_sel_hi:[1,0,0]
	s_waitcnt vmcnt(8)
	v_pk_fma_f32 v[10:11], v[12:13], v[26:27], v[6:7] op_sel:[0,0,1] op_sel_hi:[1,1,0] neg_lo:[0,0,1] neg_hi:[0,0,1]
	v_pk_fma_f32 v[6:7], v[12:13], v[26:27], v[6:7] op_sel:[0,0,1] op_sel_hi:[1,0,0]
	;; [unrolled: 3-line block ×4, first 2 shown]
	v_pk_add_f32 v[30:31], v[56:57], v[44:45]
	v_mov_b32_e32 v59, v5
	v_pk_add_f32 v[4:5], v[30:31], v[46:47]
	v_mov_b32_e32 v11, v7
	;; [unrolled: 2-line block ×4, first 2 shown]
	s_waitcnt vmcnt(2)
	v_pk_fma_f32 v[24:25], v[18:19], v[32:33], v[50:51] op_sel:[0,0,1] op_sel_hi:[1,1,0] neg_lo:[0,0,1] neg_hi:[0,0,1]
	v_pk_fma_f32 v[18:19], v[18:19], v[32:33], v[50:51] op_sel:[0,0,1] op_sel_hi:[1,0,0]
	v_mov_b32_e32 v15, v17
	v_pk_add_f32 v[4:5], v[4:5], v[12:13]
	v_mov_b32_e32 v62, v39
	v_pk_mul_f32 v[54:55], v[22:23], v[60:61] op_sel_hi:[1,0]
	v_pk_fma_f32 v[26:27], v[20:21], v[34:35], v[52:53] op_sel:[0,0,1] op_sel_hi:[1,1,0] neg_lo:[0,0,1] neg_hi:[0,0,1]
	v_pk_fma_f32 v[20:21], v[20:21], v[34:35], v[52:53] op_sel:[0,0,1] op_sel_hi:[1,0,0]
	v_mov_b32_e32 v25, v19
	v_pk_add_f32 v[4:5], v[4:5], v[14:15]
	v_pk_fma_f32 v[28:29], v[22:23], v[36:37], v[54:55] op_sel:[0,0,1] op_sel_hi:[1,1,0] neg_lo:[0,0,1] neg_hi:[0,0,1]
	v_pk_fma_f32 v[22:23], v[22:23], v[36:37], v[54:55] op_sel:[0,0,1] op_sel_hi:[1,0,0]
	v_mov_b32_e32 v27, v21
	v_pk_add_f32 v[4:5], v[4:5], v[24:25]
	s_waitcnt lgkmcnt(0)
	v_pk_mul_f32 v[6:7], v[42:43], v[62:63] op_sel_hi:[1,0]
	v_mov_b32_e32 v29, v23
	v_pk_add_f32 v[4:5], v[4:5], v[26:27]
	v_pk_fma_f32 v[8:9], v[42:43], v[38:39], v[6:7] op_sel:[0,0,1] op_sel_hi:[1,1,0] neg_lo:[0,0,1] neg_hi:[0,0,1]
	v_pk_fma_f32 v[6:7], v[42:43], v[38:39], v[6:7] op_sel:[0,0,1] op_sel_hi:[1,0,0]
	v_pk_add_f32 v[4:5], v[4:5], v[28:29]
	v_mov_b32_e32 v9, v7
	v_pk_add_f32 v[4:5], v[4:5], v[8:9]
	s_waitcnt vmcnt(0)
	v_pk_add_f32 v[4:5], v[40:41], v[4:5] neg_lo:[0,1] neg_hi:[0,1]
	buffer_store_dword v5, off, s[0:3], 0 offset:268
	buffer_store_dword v4, off, s[0:3], 0 offset:264
	s_and_saveexec_b64 s[4:5], vcc
	s_cbranch_execz .LBB44_219
; %bb.218:
	buffer_load_dword v4, off, s[0:3], 0 offset:256
	buffer_load_dword v5, off, s[0:3], 0 offset:260
	s_waitcnt vmcnt(0)
	ds_write_b64 v1, v[4:5]
	buffer_store_dword v2, off, s[0:3], 0 offset:256
	buffer_store_dword v2, off, s[0:3], 0 offset:260
.LBB44_219:
	s_or_b64 exec, exec, s[4:5]
	s_waitcnt lgkmcnt(0)
	; wave barrier
	s_waitcnt lgkmcnt(0)
	buffer_load_dword v46, off, s[0:3], 0 offset:268
	buffer_load_dword v48, off, s[0:3], 0 offset:276
	;; [unrolled: 1-line block ×26, first 2 shown]
	ds_read2_b64 v[4:7], v2 offset0:79 offset1:80
	ds_read2_b64 v[8:11], v2 offset0:81 offset1:82
	;; [unrolled: 1-line block ×6, first 2 shown]
	v_cmp_lt_u32_e32 vcc, 31, v0
	s_waitcnt vmcnt(25) lgkmcnt(5)
	v_mul_f32_e32 v59, v4, v46
	v_mul_f32_e32 v2, v5, v46
	s_waitcnt vmcnt(24)
	v_mul_f32_e32 v60, v6, v48
	s_waitcnt vmcnt(23) lgkmcnt(4)
	v_mul_f32_e32 v3, v8, v49
	s_waitcnt vmcnt(22)
	v_mul_f32_e32 v47, v10, v50
	v_mul_f32_e32 v46, v7, v48
	;; [unrolled: 1-line block ×4, first 2 shown]
	s_waitcnt vmcnt(21)
	v_mov_b32_e32 v48, v29
	s_waitcnt vmcnt(20)
	v_mov_b32_e32 v50, v31
	;; [unrolled: 2-line block ×3, first 2 shown]
	s_waitcnt vmcnt(15)
	v_fmac_f32_e32 v59, v5, v51
	v_fma_f32 v62, v4, v51, -v2
	v_mov_b32_e32 v52, v33
	s_waitcnt vmcnt(14)
	v_fmac_f32_e32 v60, v7, v53
	s_waitcnt vmcnt(13)
	v_fmac_f32_e32 v3, v9, v55
	;; [unrolled: 2-line block ×3, first 2 shown]
	v_fma_f32 v63, v6, v53, -v46
	v_fma_f32 v2, v8, v55, -v49
	;; [unrolled: 1-line block ×3, first 2 shown]
	s_waitcnt lgkmcnt(3)
	v_pk_mul_f32 v[4:5], v[12:13], v[48:49] op_sel_hi:[1,0]
	v_pk_mul_f32 v[6:7], v[14:15], v[50:51] op_sel_hi:[1,0]
	s_waitcnt lgkmcnt(2)
	v_pk_mul_f32 v[10:11], v[18:19], v[54:55] op_sel_hi:[1,0]
	v_add_f32_e32 v54, 0, v59
	v_add_f32_e32 v55, 0, v62
	v_pk_mul_f32 v[8:9], v[16:17], v[52:53] op_sel_hi:[1,0]
	s_waitcnt vmcnt(11)
	v_pk_fma_f32 v[52:53], v[12:13], v[28:29], v[4:5] op_sel:[0,0,1] op_sel_hi:[1,1,0] neg_lo:[0,0,1] neg_hi:[0,0,1]
	v_pk_fma_f32 v[4:5], v[12:13], v[28:29], v[4:5] op_sel:[0,0,1] op_sel_hi:[1,0,0]
	s_waitcnt vmcnt(10)
	v_pk_fma_f32 v[12:13], v[14:15], v[30:31], v[6:7] op_sel:[0,0,1] op_sel_hi:[1,1,0] neg_lo:[0,0,1] neg_hi:[0,0,1]
	v_pk_fma_f32 v[6:7], v[14:15], v[30:31], v[6:7] op_sel:[0,0,1] op_sel_hi:[1,0,0]
	v_add_f32_e32 v31, v54, v60
	v_add_f32_e32 v30, v55, v63
	v_pk_add_f32 v[2:3], v[30:31], v[2:3]
	v_mov_b32_e32 v53, v5
	v_pk_add_f32 v[2:3], v[2:3], v[46:47]
	v_mov_b32_e32 v56, v37
	s_waitcnt vmcnt(9)
	v_pk_fma_f32 v[14:15], v[16:17], v[32:33], v[8:9] op_sel:[0,0,1] op_sel_hi:[1,1,0] neg_lo:[0,0,1] neg_hi:[0,0,1]
	v_pk_fma_f32 v[8:9], v[16:17], v[32:33], v[8:9] op_sel:[0,0,1] op_sel_hi:[1,0,0]
	v_mov_b32_e32 v13, v7
	v_pk_add_f32 v[2:3], v[2:3], v[52:53]
	v_mov_b32_e32 v58, v39
	s_waitcnt lgkmcnt(1)
	v_pk_mul_f32 v[48:49], v[20:21], v[56:57] op_sel_hi:[1,0]
	s_waitcnt vmcnt(5)
	v_pk_fma_f32 v[16:17], v[18:19], v[34:35], v[10:11] op_sel:[0,0,1] op_sel_hi:[1,1,0] neg_lo:[0,0,1] neg_hi:[0,0,1]
	v_pk_fma_f32 v[10:11], v[18:19], v[34:35], v[10:11] op_sel:[0,0,1] op_sel_hi:[1,0,0]
	v_mov_b32_e32 v15, v9
	v_pk_add_f32 v[2:3], v[2:3], v[12:13]
	s_waitcnt vmcnt(4)
	v_mov_b32_e32 v4, v41
	v_pk_mul_f32 v[50:51], v[22:23], v[58:59] op_sel_hi:[1,0]
	v_pk_fma_f32 v[18:19], v[20:21], v[36:37], v[48:49] op_sel:[0,0,1] op_sel_hi:[1,1,0] neg_lo:[0,0,1] neg_hi:[0,0,1]
	v_pk_fma_f32 v[20:21], v[20:21], v[36:37], v[48:49] op_sel:[0,0,1] op_sel_hi:[1,0,0]
	v_mov_b32_e32 v17, v11
	v_pk_add_f32 v[2:3], v[2:3], v[14:15]
	s_waitcnt lgkmcnt(0)
	v_pk_mul_f32 v[4:5], v[24:25], v[4:5] op_sel_hi:[1,0]
	v_pk_fma_f32 v[28:29], v[22:23], v[38:39], v[50:51] op_sel:[0,0,1] op_sel_hi:[1,1,0] neg_lo:[0,0,1] neg_hi:[0,0,1]
	v_pk_fma_f32 v[22:23], v[22:23], v[38:39], v[50:51] op_sel:[0,0,1] op_sel_hi:[1,0,0]
	v_mov_b32_e32 v19, v21
	v_pk_add_f32 v[2:3], v[2:3], v[16:17]
	v_pk_fma_f32 v[6:7], v[24:25], v[40:41], v[4:5] op_sel:[0,0,1] op_sel_hi:[1,1,0] neg_lo:[0,0,1] neg_hi:[0,0,1]
	v_pk_fma_f32 v[4:5], v[24:25], v[40:41], v[4:5] op_sel:[0,0,1] op_sel_hi:[1,0,0]
	v_mov_b32_e32 v29, v23
	v_pk_add_f32 v[2:3], v[2:3], v[18:19]
	s_waitcnt vmcnt(3)
	v_mov_b32_e32 v4, v43
	v_pk_add_f32 v[2:3], v[2:3], v[28:29]
	v_mov_b32_e32 v7, v5
	v_pk_mul_f32 v[4:5], v[26:27], v[4:5] op_sel_hi:[1,0]
	v_pk_add_f32 v[2:3], v[2:3], v[6:7]
	s_waitcnt vmcnt(2)
	v_pk_fma_f32 v[6:7], v[26:27], v[42:43], v[4:5] op_sel:[0,0,1] op_sel_hi:[1,1,0] neg_lo:[0,0,1] neg_hi:[0,0,1]
	v_pk_fma_f32 v[4:5], v[26:27], v[42:43], v[4:5] op_sel:[0,0,1] op_sel_hi:[1,0,0]
	v_mov_b32_e32 v7, v5
	v_pk_add_f32 v[2:3], v[2:3], v[6:7]
	s_waitcnt vmcnt(0)
	v_pk_add_f32 v[2:3], v[44:45], v[2:3] neg_lo:[0,1] neg_hi:[0,1]
	buffer_store_dword v3, off, s[0:3], 0 offset:260
	buffer_store_dword v2, off, s[0:3], 0 offset:256
	s_and_saveexec_b64 s[4:5], vcc
	s_cbranch_execz .LBB44_221
; %bb.220:
	buffer_load_dword v2, off, s[0:3], 0 offset:248
	buffer_load_dword v3, off, s[0:3], 0 offset:252
	v_mov_b32_e32 v4, 0
	buffer_store_dword v4, off, s[0:3], 0 offset:248
	buffer_store_dword v4, off, s[0:3], 0 offset:252
	s_waitcnt vmcnt(2)
	ds_write_b64 v1, v[2:3]
.LBB44_221:
	s_or_b64 exec, exec, s[4:5]
	s_waitcnt lgkmcnt(0)
	; wave barrier
	s_waitcnt lgkmcnt(0)
	buffer_load_dword v3, off, s[0:3], 0 offset:260
	buffer_load_dword v48, off, s[0:3], 0 offset:268
	;; [unrolled: 1-line block ×28, first 2 shown]
	v_mov_b32_e32 v2, 0
	ds_read_b128 v[4:7], v2 offset:624
	ds_read_b128 v[8:11], v2 offset:640
	;; [unrolled: 1-line block ×6, first 2 shown]
	ds_read_b64 v[46:47], v2 offset:720
	v_cmp_lt_u32_e32 vcc, 30, v0
	s_waitcnt vmcnt(27) lgkmcnt(6)
	v_mul_f32_e32 v63, v4, v3
	v_mul_f32_e32 v3, v5, v3
	s_waitcnt vmcnt(26)
	v_mul_f32_e32 v64, v6, v48
	s_waitcnt vmcnt(24) lgkmcnt(5)
	v_mul_f32_e32 v49, v10, v52
	s_waitcnt vmcnt(23) lgkmcnt(4)
	v_mul_f32_e32 v51, v12, v53
	v_mul_f32_e32 v156, v11, v52
	;; [unrolled: 1-line block ×3, first 2 shown]
	s_waitcnt vmcnt(22)
	v_mov_b32_e32 v52, v29
	v_mul_f32_e32 v65, v8, v50
	v_mul_f32_e32 v48, v7, v48
	v_mul_f32_e32 v50, v9, v50
	s_waitcnt vmcnt(17)
	v_fmac_f32_e32 v63, v5, v55
	v_fma_f32 v3, v4, v55, -v3
	v_pk_mul_f32 v[4:5], v[14:15], v[52:53] op_sel_hi:[1,0]
	s_waitcnt vmcnt(16)
	v_fmac_f32_e32 v64, v7, v57
	s_waitcnt vmcnt(13)
	v_fmac_f32_e32 v51, v13, v62
	v_fma_f32 v55, v6, v57, -v48
	v_fma_f32 v57, v8, v59, -v50
	;; [unrolled: 1-line block ×3, first 2 shown]
	v_add_f32_e32 v52, 0, v63
	v_add_f32_e32 v3, 0, v3
	s_waitcnt vmcnt(12)
	v_pk_fma_f32 v[12:13], v[14:15], v[28:29], v[4:5] op_sel:[0,0,1] op_sel_hi:[1,1,0] neg_lo:[0,0,1] neg_hi:[0,0,1]
	v_pk_fma_f32 v[4:5], v[14:15], v[28:29], v[4:5] op_sel:[0,0,1] op_sel_hi:[1,0,0]
	v_fmac_f32_e32 v65, v9, v59
	v_add_f32_e32 v4, v52, v64
	v_add_f32_e32 v3, v3, v55
	v_mov_b32_e32 v54, v31
	v_fmac_f32_e32 v49, v11, v61
	v_fma_f32 v48, v10, v61, -v156
	v_mov_b32_e32 v13, v5
	v_add_f32_e32 v5, v4, v65
	v_add_f32_e32 v4, v3, v57
	v_mov_b32_e32 v56, v33
	s_waitcnt lgkmcnt(3)
	v_pk_mul_f32 v[6:7], v[16:17], v[54:55] op_sel_hi:[1,0]
	v_pk_add_f32 v[4:5], v[4:5], v[48:49]
	v_mov_b32_e32 v58, v35
	v_mov_b32_e32 v60, v37
	v_pk_mul_f32 v[8:9], v[18:19], v[56:57] op_sel_hi:[1,0]
	s_waitcnt vmcnt(11)
	v_pk_fma_f32 v[14:15], v[16:17], v[30:31], v[6:7] op_sel:[0,0,1] op_sel_hi:[1,1,0] neg_lo:[0,0,1] neg_hi:[0,0,1]
	v_pk_fma_f32 v[6:7], v[16:17], v[30:31], v[6:7] op_sel:[0,0,1] op_sel_hi:[1,0,0]
	v_pk_add_f32 v[4:5], v[4:5], v[50:51]
	s_waitcnt lgkmcnt(2)
	v_pk_mul_f32 v[10:11], v[20:21], v[58:59] op_sel_hi:[1,0]
	s_waitcnt vmcnt(7)
	v_pk_fma_f32 v[16:17], v[18:19], v[32:33], v[8:9] op_sel:[0,0,1] op_sel_hi:[1,1,0] neg_lo:[0,0,1] neg_hi:[0,0,1]
	v_pk_fma_f32 v[8:9], v[18:19], v[32:33], v[8:9] op_sel:[0,0,1] op_sel_hi:[1,0,0]
	v_mov_b32_e32 v15, v7
	v_pk_add_f32 v[4:5], v[4:5], v[12:13]
	v_pk_mul_f32 v[6:7], v[22:23], v[60:61] op_sel_hi:[1,0]
	v_pk_fma_f32 v[18:19], v[20:21], v[34:35], v[10:11] op_sel:[0,0,1] op_sel_hi:[1,1,0] neg_lo:[0,0,1] neg_hi:[0,0,1]
	v_pk_fma_f32 v[10:11], v[20:21], v[34:35], v[10:11] op_sel:[0,0,1] op_sel_hi:[1,0,0]
	v_mov_b32_e32 v17, v9
	v_pk_add_f32 v[4:5], v[4:5], v[14:15]
	v_pk_fma_f32 v[8:9], v[22:23], v[36:37], v[6:7] op_sel:[0,0,1] op_sel_hi:[1,1,0] neg_lo:[0,0,1] neg_hi:[0,0,1]
	v_pk_fma_f32 v[6:7], v[22:23], v[36:37], v[6:7] op_sel:[0,0,1] op_sel_hi:[1,0,0]
	v_mov_b32_e32 v19, v11
	v_pk_add_f32 v[4:5], v[4:5], v[16:17]
	s_waitcnt vmcnt(6)
	v_mov_b32_e32 v6, v39
	v_pk_add_f32 v[4:5], v[4:5], v[18:19]
	v_mov_b32_e32 v9, v7
	s_waitcnt lgkmcnt(1)
	v_pk_mul_f32 v[6:7], v[24:25], v[6:7] op_sel_hi:[1,0]
	v_pk_add_f32 v[4:5], v[4:5], v[8:9]
	v_pk_fma_f32 v[8:9], v[24:25], v[38:39], v[6:7] op_sel:[0,0,1] op_sel_hi:[1,1,0] neg_lo:[0,0,1] neg_hi:[0,0,1]
	v_pk_fma_f32 v[6:7], v[24:25], v[38:39], v[6:7] op_sel:[0,0,1] op_sel_hi:[1,0,0]
	s_waitcnt vmcnt(5)
	v_mov_b32_e32 v6, v41
	v_mov_b32_e32 v9, v7
	v_pk_mul_f32 v[6:7], v[26:27], v[6:7] op_sel_hi:[1,0]
	v_pk_add_f32 v[4:5], v[4:5], v[8:9]
	s_waitcnt vmcnt(3)
	v_pk_fma_f32 v[8:9], v[26:27], v[40:41], v[6:7] op_sel:[0,0,1] op_sel_hi:[1,1,0] neg_lo:[0,0,1] neg_hi:[0,0,1]
	v_pk_fma_f32 v[6:7], v[26:27], v[40:41], v[6:7] op_sel:[0,0,1] op_sel_hi:[1,0,0]
	s_waitcnt vmcnt(2)
	v_mov_b32_e32 v6, v43
	v_mov_b32_e32 v9, v7
	s_waitcnt lgkmcnt(0)
	v_pk_mul_f32 v[6:7], v[46:47], v[6:7] op_sel_hi:[1,0]
	v_pk_add_f32 v[4:5], v[4:5], v[8:9]
	v_pk_fma_f32 v[8:9], v[46:47], v[42:43], v[6:7] op_sel:[0,0,1] op_sel_hi:[1,1,0] neg_lo:[0,0,1] neg_hi:[0,0,1]
	v_pk_fma_f32 v[6:7], v[46:47], v[42:43], v[6:7] op_sel:[0,0,1] op_sel_hi:[1,0,0]
	v_mov_b32_e32 v9, v7
	v_pk_add_f32 v[4:5], v[4:5], v[8:9]
	s_waitcnt vmcnt(0)
	v_pk_add_f32 v[4:5], v[44:45], v[4:5] neg_lo:[0,1] neg_hi:[0,1]
	buffer_store_dword v5, off, s[0:3], 0 offset:252
	buffer_store_dword v4, off, s[0:3], 0 offset:248
	s_and_saveexec_b64 s[4:5], vcc
	s_cbranch_execz .LBB44_223
; %bb.222:
	buffer_load_dword v4, off, s[0:3], 0 offset:240
	buffer_load_dword v5, off, s[0:3], 0 offset:244
	s_waitcnt vmcnt(0)
	ds_write_b64 v1, v[4:5]
	buffer_store_dword v2, off, s[0:3], 0 offset:240
	buffer_store_dword v2, off, s[0:3], 0 offset:244
.LBB44_223:
	s_or_b64 exec, exec, s[4:5]
	s_waitcnt lgkmcnt(0)
	; wave barrier
	s_waitcnt lgkmcnt(0)
	buffer_load_dword v50, off, s[0:3], 0 offset:252
	buffer_load_dword v52, off, s[0:3], 0 offset:260
	;; [unrolled: 1-line block ×30, first 2 shown]
	ds_read2_b64 v[4:7], v2 offset0:77 offset1:78
	ds_read2_b64 v[8:11], v2 offset0:79 offset1:80
	;; [unrolled: 1-line block ×7, first 2 shown]
	v_cmp_lt_u32_e32 vcc, 29, v0
	s_waitcnt vmcnt(29) lgkmcnt(6)
	v_mul_f32_e32 v63, v4, v50
	s_waitcnt vmcnt(28)
	v_mul_f32_e32 v64, v6, v52
	s_waitcnt vmcnt(27) lgkmcnt(5)
	v_mul_f32_e32 v65, v8, v53
	v_mul_f32_e32 v53, v9, v53
	s_waitcnt vmcnt(26)
	v_mul_f32_e32 v156, v10, v54
	s_waitcnt vmcnt(25) lgkmcnt(4)
	v_mul_f32_e32 v3, v12, v55
	v_mul_f32_e32 v2, v5, v50
	;; [unrolled: 1-line block ×5, first 2 shown]
	s_waitcnt vmcnt(23)
	v_mov_b32_e32 v52, v33
	s_waitcnt vmcnt(22)
	v_mov_b32_e32 v54, v35
	s_waitcnt vmcnt(18)
	v_fma_f32 v53, v8, v59, -v53
	v_fmac_f32_e32 v63, v5, v57
	v_fmac_f32_e32 v64, v7, v58
	s_waitcnt vmcnt(17)
	v_fmac_f32_e32 v156, v11, v60
	v_fma_f32 v11, v4, v57, -v2
	v_fma_f32 v57, v6, v58, -v50
	s_waitcnt lgkmcnt(3)
	v_pk_mul_f32 v[4:5], v[16:17], v[52:53] op_sel_hi:[1,0]
	v_pk_mul_f32 v[6:7], v[18:19], v[54:55] op_sel_hi:[1,0]
	s_waitcnt vmcnt(16)
	v_fmac_f32_e32 v3, v13, v61
	v_fma_f32 v58, v10, v60, -v157
	v_fma_f32 v2, v12, v61, -v55
	v_add_f32_e32 v52, 0, v63
	v_add_f32_e32 v54, 0, v11
	s_waitcnt vmcnt(14)
	v_pk_fma_f32 v[10:11], v[16:17], v[32:33], v[4:5] op_sel:[0,0,1] op_sel_hi:[1,1,0] neg_lo:[0,0,1] neg_hi:[0,0,1]
	v_pk_fma_f32 v[4:5], v[16:17], v[32:33], v[4:5] op_sel:[0,0,1] op_sel_hi:[1,0,0]
	s_waitcnt vmcnt(10)
	v_pk_fma_f32 v[12:13], v[18:19], v[34:35], v[6:7] op_sel:[0,0,1] op_sel_hi:[1,1,0] neg_lo:[0,0,1] neg_hi:[0,0,1]
	v_pk_fma_f32 v[6:7], v[18:19], v[34:35], v[6:7] op_sel:[0,0,1] op_sel_hi:[1,0,0]
	v_fmac_f32_e32 v65, v9, v59
	v_add_f32_e32 v4, v52, v64
	v_add_f32_e32 v6, v54, v57
	;; [unrolled: 1-line block ×4, first 2 shown]
	v_mul_f32_e32 v51, v14, v56
	v_mul_f32_e32 v158, v15, v56
	v_mov_b32_e32 v11, v5
	v_add_f32_e32 v5, v4, v156
	v_add_f32_e32 v4, v6, v58
	v_mov_b32_e32 v56, v37
	v_fmac_f32_e32 v51, v15, v62
	v_fma_f32 v50, v14, v62, -v158
	v_pk_add_f32 v[2:3], v[4:5], v[2:3]
	s_waitcnt vmcnt(9)
	v_mov_b32_e32 v4, v41
	s_waitcnt lgkmcnt(2)
	v_pk_mul_f32 v[8:9], v[20:21], v[56:57] op_sel_hi:[1,0]
	v_pk_add_f32 v[2:3], v[2:3], v[50:51]
	v_pk_mul_f32 v[4:5], v[22:23], v[4:5] op_sel_hi:[1,0]
	v_pk_fma_f32 v[14:15], v[20:21], v[36:37], v[8:9] op_sel:[0,0,1] op_sel_hi:[1,1,0] neg_lo:[0,0,1] neg_hi:[0,0,1]
	v_pk_fma_f32 v[8:9], v[20:21], v[36:37], v[8:9] op_sel:[0,0,1] op_sel_hi:[1,0,0]
	v_mov_b32_e32 v13, v7
	v_pk_add_f32 v[2:3], v[2:3], v[10:11]
	v_pk_fma_f32 v[6:7], v[22:23], v[40:41], v[4:5] op_sel:[0,0,1] op_sel_hi:[1,1,0] neg_lo:[0,0,1] neg_hi:[0,0,1]
	v_pk_fma_f32 v[4:5], v[22:23], v[40:41], v[4:5] op_sel:[0,0,1] op_sel_hi:[1,0,0]
	v_mov_b32_e32 v15, v9
	v_pk_add_f32 v[2:3], v[2:3], v[12:13]
	s_waitcnt vmcnt(8)
	v_mov_b32_e32 v4, v39
	v_pk_add_f32 v[2:3], v[2:3], v[14:15]
	v_mov_b32_e32 v7, v5
	s_waitcnt lgkmcnt(1)
	v_pk_mul_f32 v[4:5], v[24:25], v[4:5] op_sel_hi:[1,0]
	v_pk_add_f32 v[2:3], v[2:3], v[6:7]
	v_pk_fma_f32 v[6:7], v[24:25], v[38:39], v[4:5] op_sel:[0,0,1] op_sel_hi:[1,1,0] neg_lo:[0,0,1] neg_hi:[0,0,1]
	v_pk_fma_f32 v[4:5], v[24:25], v[38:39], v[4:5] op_sel:[0,0,1] op_sel_hi:[1,0,0]
	s_waitcnt vmcnt(7)
	v_mov_b32_e32 v4, v43
	v_mov_b32_e32 v7, v5
	v_pk_mul_f32 v[4:5], v[26:27], v[4:5] op_sel_hi:[1,0]
	v_pk_add_f32 v[2:3], v[2:3], v[6:7]
	s_waitcnt vmcnt(4)
	v_pk_fma_f32 v[6:7], v[26:27], v[42:43], v[4:5] op_sel:[0,0,1] op_sel_hi:[1,1,0] neg_lo:[0,0,1] neg_hi:[0,0,1]
	v_pk_fma_f32 v[4:5], v[26:27], v[42:43], v[4:5] op_sel:[0,0,1] op_sel_hi:[1,0,0]
	s_waitcnt vmcnt(3)
	v_mov_b32_e32 v4, v47
	v_mov_b32_e32 v7, v5
	s_waitcnt lgkmcnt(0)
	v_pk_mul_f32 v[4:5], v[28:29], v[4:5] op_sel_hi:[1,0]
	v_pk_add_f32 v[2:3], v[2:3], v[6:7]
	v_pk_fma_f32 v[6:7], v[28:29], v[46:47], v[4:5] op_sel:[0,0,1] op_sel_hi:[1,1,0] neg_lo:[0,0,1] neg_hi:[0,0,1]
	v_pk_fma_f32 v[4:5], v[28:29], v[46:47], v[4:5] op_sel:[0,0,1] op_sel_hi:[1,0,0]
	s_waitcnt vmcnt(0)
	v_mov_b32_e32 v4, v45
	v_mov_b32_e32 v7, v5
	v_pk_mul_f32 v[4:5], v[30:31], v[4:5] op_sel_hi:[1,0]
	v_pk_add_f32 v[2:3], v[2:3], v[6:7]
	v_pk_fma_f32 v[6:7], v[30:31], v[44:45], v[4:5] op_sel:[0,0,1] op_sel_hi:[1,1,0] neg_lo:[0,0,1] neg_hi:[0,0,1]
	v_pk_fma_f32 v[4:5], v[30:31], v[44:45], v[4:5] op_sel:[0,0,1] op_sel_hi:[1,0,0]
	v_mov_b32_e32 v7, v5
	v_pk_add_f32 v[2:3], v[2:3], v[6:7]
	v_pk_add_f32 v[2:3], v[48:49], v[2:3] neg_lo:[0,1] neg_hi:[0,1]
	buffer_store_dword v3, off, s[0:3], 0 offset:244
	buffer_store_dword v2, off, s[0:3], 0 offset:240
	s_and_saveexec_b64 s[4:5], vcc
	s_cbranch_execz .LBB44_225
; %bb.224:
	buffer_load_dword v2, off, s[0:3], 0 offset:232
	buffer_load_dword v3, off, s[0:3], 0 offset:236
	v_mov_b32_e32 v4, 0
	buffer_store_dword v4, off, s[0:3], 0 offset:232
	buffer_store_dword v4, off, s[0:3], 0 offset:236
	s_waitcnt vmcnt(2)
	ds_write_b64 v1, v[2:3]
.LBB44_225:
	s_or_b64 exec, exec, s[4:5]
	s_waitcnt lgkmcnt(0)
	; wave barrier
	s_waitcnt lgkmcnt(0)
	buffer_load_dword v3, off, s[0:3], 0 offset:244
	buffer_load_dword v52, off, s[0:3], 0 offset:252
	;; [unrolled: 1-line block ×32, first 2 shown]
	v_mov_b32_e32 v2, 0
	ds_read_b128 v[4:7], v2 offset:608
	ds_read_b128 v[8:11], v2 offset:624
	;; [unrolled: 1-line block ×7, first 2 shown]
	ds_read_b64 v[50:51], v2 offset:720
	v_cmp_lt_u32_e32 vcc, 28, v0
	s_waitcnt vmcnt(31) lgkmcnt(7)
	v_mul_f32_e32 v157, v4, v3
	v_mul_f32_e32 v3, v5, v3
	s_waitcnt vmcnt(30)
	v_mul_f32_e32 v158, v6, v52
	s_waitcnt vmcnt(28) lgkmcnt(6)
	v_mul_f32_e32 v160, v10, v56
	s_waitcnt vmcnt(27) lgkmcnt(5)
	v_mul_f32_e32 v161, v12, v57
	v_mul_f32_e32 v162, v11, v56
	;; [unrolled: 1-line block ×3, first 2 shown]
	s_waitcnt vmcnt(24)
	v_mov_b32_e32 v56, v33
	v_mul_f32_e32 v159, v8, v54
	v_mul_f32_e32 v52, v7, v52
	s_waitcnt vmcnt(22)
	v_fmac_f32_e32 v157, v5, v60
	v_fma_f32 v3, v4, v60, -v3
	s_waitcnt lgkmcnt(4)
	v_pk_mul_f32 v[4:5], v[18:19], v[56:57] op_sel_hi:[1,0]
	v_mul_f32_e32 v54, v9, v54
	s_waitcnt vmcnt(21)
	v_fmac_f32_e32 v158, v7, v61
	s_waitcnt vmcnt(20)
	v_fmac_f32_e32 v159, v9, v62
	;; [unrolled: 2-line block ×3, first 2 shown]
	v_fma_f32 v9, v6, v61, -v52
	s_waitcnt vmcnt(18)
	v_fma_f32 v11, v12, v64, -v57
	v_add_f32_e32 v12, 0, v157
	v_add_f32_e32 v3, 0, v3
	s_waitcnt vmcnt(12)
	v_pk_fma_f32 v[6:7], v[18:19], v[32:33], v[4:5] op_sel:[0,0,1] op_sel_hi:[1,1,0] neg_lo:[0,0,1] neg_hi:[0,0,1]
	v_pk_fma_f32 v[4:5], v[18:19], v[32:33], v[4:5] op_sel:[0,0,1] op_sel_hi:[1,0,0]
	v_fma_f32 v8, v8, v62, -v54
	v_add_f32_e32 v4, v12, v158
	v_add_f32_e32 v3, v3, v9
	v_fma_f32 v10, v10, v63, -v162
	v_add_f32_e32 v4, v4, v159
	v_add_f32_e32 v3, v3, v8
	v_mul_f32_e32 v53, v14, v58
	v_mul_f32_e32 v163, v15, v58
	v_fmac_f32_e32 v161, v13, v64
	v_add_f32_e32 v4, v4, v160
	v_add_f32_e32 v3, v3, v10
	v_mul_f32_e32 v55, v16, v59
	v_mul_f32_e32 v59, v17, v59
	v_fmac_f32_e32 v53, v15, v65
	v_fma_f32 v52, v14, v65, -v163
	v_mov_b32_e32 v7, v5
	v_add_f32_e32 v5, v4, v161
	v_add_f32_e32 v4, v3, v11
	v_fmac_f32_e32 v55, v17, v156
	v_fma_f32 v54, v16, v156, -v59
	v_pk_add_f32 v[4:5], v[4:5], v[52:53]
	v_mov_b32_e32 v58, v35
	v_pk_add_f32 v[4:5], v[4:5], v[54:55]
	v_pk_add_f32 v[4:5], v[4:5], v[6:7]
	s_waitcnt lgkmcnt(3)
	v_pk_mul_f32 v[6:7], v[20:21], v[58:59] op_sel_hi:[1,0]
	v_pk_fma_f32 v[8:9], v[20:21], v[34:35], v[6:7] op_sel:[0,0,1] op_sel_hi:[1,1,0] neg_lo:[0,0,1] neg_hi:[0,0,1]
	v_pk_fma_f32 v[6:7], v[20:21], v[34:35], v[6:7] op_sel:[0,0,1] op_sel_hi:[1,0,0]
	s_waitcnt vmcnt(11)
	v_mov_b32_e32 v6, v39
	v_mov_b32_e32 v9, v7
	v_pk_mul_f32 v[6:7], v[22:23], v[6:7] op_sel_hi:[1,0]
	v_pk_add_f32 v[4:5], v[4:5], v[8:9]
	v_pk_fma_f32 v[8:9], v[22:23], v[38:39], v[6:7] op_sel:[0,0,1] op_sel_hi:[1,1,0] neg_lo:[0,0,1] neg_hi:[0,0,1]
	v_pk_fma_f32 v[6:7], v[22:23], v[38:39], v[6:7] op_sel:[0,0,1] op_sel_hi:[1,0,0]
	s_waitcnt vmcnt(10)
	v_mov_b32_e32 v6, v37
	v_mov_b32_e32 v9, v7
	s_waitcnt lgkmcnt(2)
	v_pk_mul_f32 v[6:7], v[24:25], v[6:7] op_sel_hi:[1,0]
	v_pk_add_f32 v[4:5], v[4:5], v[8:9]
	v_pk_fma_f32 v[8:9], v[24:25], v[36:37], v[6:7] op_sel:[0,0,1] op_sel_hi:[1,1,0] neg_lo:[0,0,1] neg_hi:[0,0,1]
	v_pk_fma_f32 v[6:7], v[24:25], v[36:37], v[6:7] op_sel:[0,0,1] op_sel_hi:[1,0,0]
	s_waitcnt vmcnt(9)
	v_mov_b32_e32 v6, v41
	v_mov_b32_e32 v9, v7
	v_pk_mul_f32 v[6:7], v[26:27], v[6:7] op_sel_hi:[1,0]
	v_pk_add_f32 v[4:5], v[4:5], v[8:9]
	s_waitcnt vmcnt(4)
	v_pk_fma_f32 v[8:9], v[26:27], v[40:41], v[6:7] op_sel:[0,0,1] op_sel_hi:[1,1,0] neg_lo:[0,0,1] neg_hi:[0,0,1]
	v_pk_fma_f32 v[6:7], v[26:27], v[40:41], v[6:7] op_sel:[0,0,1] op_sel_hi:[1,0,0]
	v_mov_b32_e32 v6, v47
	v_mov_b32_e32 v9, v7
	s_waitcnt lgkmcnt(1)
	v_pk_mul_f32 v[6:7], v[28:29], v[6:7] op_sel_hi:[1,0]
	v_pk_add_f32 v[4:5], v[4:5], v[8:9]
	v_pk_fma_f32 v[8:9], v[28:29], v[46:47], v[6:7] op_sel:[0,0,1] op_sel_hi:[1,1,0] neg_lo:[0,0,1] neg_hi:[0,0,1]
	v_pk_fma_f32 v[6:7], v[28:29], v[46:47], v[6:7] op_sel:[0,0,1] op_sel_hi:[1,0,0]
	s_waitcnt vmcnt(3)
	v_mov_b32_e32 v6, v45
	v_mov_b32_e32 v9, v7
	v_pk_mul_f32 v[6:7], v[30:31], v[6:7] op_sel_hi:[1,0]
	v_pk_add_f32 v[4:5], v[4:5], v[8:9]
	v_pk_fma_f32 v[8:9], v[30:31], v[44:45], v[6:7] op_sel:[0,0,1] op_sel_hi:[1,1,0] neg_lo:[0,0,1] neg_hi:[0,0,1]
	v_pk_fma_f32 v[6:7], v[30:31], v[44:45], v[6:7] op_sel:[0,0,1] op_sel_hi:[1,0,0]
	s_waitcnt vmcnt(0)
	v_mov_b32_e32 v6, v43
	v_mov_b32_e32 v9, v7
	s_waitcnt lgkmcnt(0)
	v_pk_mul_f32 v[6:7], v[50:51], v[6:7] op_sel_hi:[1,0]
	v_pk_add_f32 v[4:5], v[4:5], v[8:9]
	v_pk_fma_f32 v[8:9], v[50:51], v[42:43], v[6:7] op_sel:[0,0,1] op_sel_hi:[1,1,0] neg_lo:[0,0,1] neg_hi:[0,0,1]
	v_pk_fma_f32 v[6:7], v[50:51], v[42:43], v[6:7] op_sel:[0,0,1] op_sel_hi:[1,0,0]
	v_mov_b32_e32 v9, v7
	v_pk_add_f32 v[4:5], v[4:5], v[8:9]
	v_pk_add_f32 v[4:5], v[48:49], v[4:5] neg_lo:[0,1] neg_hi:[0,1]
	buffer_store_dword v5, off, s[0:3], 0 offset:236
	buffer_store_dword v4, off, s[0:3], 0 offset:232
	s_and_saveexec_b64 s[4:5], vcc
	s_cbranch_execz .LBB44_227
; %bb.226:
	buffer_load_dword v4, off, s[0:3], 0 offset:224
	buffer_load_dword v5, off, s[0:3], 0 offset:228
	s_waitcnt vmcnt(0)
	ds_write_b64 v1, v[4:5]
	buffer_store_dword v2, off, s[0:3], 0 offset:224
	buffer_store_dword v2, off, s[0:3], 0 offset:228
.LBB44_227:
	s_or_b64 exec, exec, s[4:5]
	s_waitcnt lgkmcnt(0)
	; wave barrier
	s_waitcnt lgkmcnt(0)
	buffer_load_dword v54, off, s[0:3], 0 offset:236
	buffer_load_dword v56, off, s[0:3], 0 offset:244
	;; [unrolled: 1-line block ×32, first 2 shown]
	ds_read2_b64 v[4:7], v2 offset0:75 offset1:76
	ds_read2_b64 v[8:11], v2 offset0:77 offset1:78
	;; [unrolled: 1-line block ×4, first 2 shown]
	buffer_load_dword v53, off, s[0:3], 0 offset:356
	buffer_load_dword v52, off, s[0:3], 0 offset:352
	ds_read2_b64 v[20:23], v2 offset0:83 offset1:84
	ds_read2_b64 v[24:27], v2 offset0:85 offset1:86
	;; [unrolled: 1-line block ×4, first 2 shown]
	v_cmp_lt_u32_e32 vcc, 27, v0
	s_waitcnt vmcnt(33) lgkmcnt(7)
	v_mul_f32_e32 v161, v4, v54
	v_mul_f32_e32 v2, v5, v54
	s_waitcnt vmcnt(32)
	v_mul_f32_e32 v162, v6, v56
	s_waitcnt vmcnt(31) lgkmcnt(6)
	v_mul_f32_e32 v163, v8, v57
	v_mul_f32_e32 v54, v7, v56
	;; [unrolled: 1-line block ×3, first 2 shown]
	s_waitcnt vmcnt(30)
	v_mul_f32_e32 v57, v11, v58
	v_mul_f32_e32 v164, v10, v58
	s_waitcnt vmcnt(25)
	v_fmac_f32_e32 v161, v5, v63
	v_fma_f32 v4, v4, v63, -v2
	s_waitcnt vmcnt(24)
	v_fmac_f32_e32 v162, v7, v64
	v_fma_f32 v5, v6, v64, -v54
	s_waitcnt vmcnt(22)
	v_fma_f32 v7, v10, v156, -v57
	v_add_f32_e32 v10, 0, v161
	v_add_f32_e32 v4, 0, v4
	v_fmac_f32_e32 v163, v9, v65
	v_fma_f32 v6, v8, v65, -v56
	v_add_f32_e32 v10, v10, v162
	v_add_f32_e32 v4, v4, v5
	s_waitcnt lgkmcnt(5)
	v_mul_f32_e32 v165, v12, v59
	v_mul_f32_e32 v58, v13, v59
	v_fmac_f32_e32 v164, v11, v156
	v_add_f32_e32 v5, v10, v163
	v_add_f32_e32 v4, v4, v6
	v_mul_f32_e32 v166, v14, v60
	v_mul_f32_e32 v59, v15, v60
	s_waitcnt vmcnt(21)
	v_fmac_f32_e32 v165, v13, v157
	v_fma_f32 v8, v12, v157, -v58
	v_add_f32_e32 v5, v5, v164
	v_add_f32_e32 v4, v4, v7
	s_waitcnt lgkmcnt(4)
	v_mul_f32_e32 v3, v16, v61
	v_mul_f32_e32 v60, v17, v61
	s_waitcnt vmcnt(20)
	v_fmac_f32_e32 v166, v15, v158
	v_fma_f32 v9, v14, v158, -v59
	v_add_f32_e32 v5, v5, v165
	v_add_f32_e32 v4, v4, v8
	s_waitcnt vmcnt(19)
	v_fmac_f32_e32 v3, v17, v159
	v_fma_f32 v2, v16, v159, -v60
	v_add_f32_e32 v5, v5, v166
	v_add_f32_e32 v4, v4, v9
	v_pk_add_f32 v[2:3], v[4:5], v[2:3]
	s_waitcnt vmcnt(17)
	v_mov_b32_e32 v4, v37
	s_waitcnt lgkmcnt(3)
	v_pk_mul_f32 v[4:5], v[20:21], v[4:5] op_sel_hi:[1,0]
	v_mul_f32_e32 v55, v18, v62
	v_mul_f32_e32 v61, v19, v62
	s_waitcnt vmcnt(14)
	v_pk_fma_f32 v[6:7], v[20:21], v[36:37], v[4:5] op_sel:[0,0,1] op_sel_hi:[1,1,0] neg_lo:[0,0,1] neg_hi:[0,0,1]
	v_pk_fma_f32 v[4:5], v[20:21], v[36:37], v[4:5] op_sel:[0,0,1] op_sel_hi:[1,0,0]
	v_fmac_f32_e32 v55, v19, v160
	v_fma_f32 v54, v18, v160, -v61
	s_waitcnt vmcnt(13)
	v_mov_b32_e32 v4, v41
	v_pk_add_f32 v[2:3], v[2:3], v[54:55]
	v_mov_b32_e32 v7, v5
	v_pk_mul_f32 v[4:5], v[22:23], v[4:5] op_sel_hi:[1,0]
	v_pk_add_f32 v[2:3], v[2:3], v[6:7]
	v_pk_fma_f32 v[6:7], v[22:23], v[40:41], v[4:5] op_sel:[0,0,1] op_sel_hi:[1,1,0] neg_lo:[0,0,1] neg_hi:[0,0,1]
	v_pk_fma_f32 v[4:5], v[22:23], v[40:41], v[4:5] op_sel:[0,0,1] op_sel_hi:[1,0,0]
	s_waitcnt vmcnt(12)
	v_mov_b32_e32 v4, v39
	v_mov_b32_e32 v7, v5
	s_waitcnt lgkmcnt(2)
	v_pk_mul_f32 v[4:5], v[24:25], v[4:5] op_sel_hi:[1,0]
	v_pk_add_f32 v[2:3], v[2:3], v[6:7]
	v_pk_fma_f32 v[6:7], v[24:25], v[38:39], v[4:5] op_sel:[0,0,1] op_sel_hi:[1,1,0] neg_lo:[0,0,1] neg_hi:[0,0,1]
	v_pk_fma_f32 v[4:5], v[24:25], v[38:39], v[4:5] op_sel:[0,0,1] op_sel_hi:[1,0,0]
	s_waitcnt vmcnt(11)
	v_mov_b32_e32 v4, v43
	v_mov_b32_e32 v7, v5
	v_pk_mul_f32 v[4:5], v[26:27], v[4:5] op_sel_hi:[1,0]
	v_pk_add_f32 v[2:3], v[2:3], v[6:7]
	s_waitcnt vmcnt(5)
	v_pk_fma_f32 v[6:7], v[26:27], v[42:43], v[4:5] op_sel:[0,0,1] op_sel_hi:[1,1,0] neg_lo:[0,0,1] neg_hi:[0,0,1]
	v_pk_fma_f32 v[4:5], v[26:27], v[42:43], v[4:5] op_sel:[0,0,1] op_sel_hi:[1,0,0]
	v_mov_b32_e32 v4, v49
	v_mov_b32_e32 v7, v5
	s_waitcnt lgkmcnt(1)
	v_pk_mul_f32 v[4:5], v[28:29], v[4:5] op_sel_hi:[1,0]
	v_pk_add_f32 v[2:3], v[2:3], v[6:7]
	v_pk_fma_f32 v[6:7], v[28:29], v[48:49], v[4:5] op_sel:[0,0,1] op_sel_hi:[1,1,0] neg_lo:[0,0,1] neg_hi:[0,0,1]
	v_pk_fma_f32 v[4:5], v[28:29], v[48:49], v[4:5] op_sel:[0,0,1] op_sel_hi:[1,0,0]
	v_mov_b32_e32 v4, v47
	v_mov_b32_e32 v7, v5
	v_pk_mul_f32 v[4:5], v[30:31], v[4:5] op_sel_hi:[1,0]
	v_pk_add_f32 v[2:3], v[2:3], v[6:7]
	v_pk_fma_f32 v[6:7], v[30:31], v[46:47], v[4:5] op_sel:[0,0,1] op_sel_hi:[1,1,0] neg_lo:[0,0,1] neg_hi:[0,0,1]
	v_pk_fma_f32 v[4:5], v[30:31], v[46:47], v[4:5] op_sel:[0,0,1] op_sel_hi:[1,0,0]
	s_waitcnt vmcnt(2)
	v_mov_b32_e32 v4, v45
	v_mov_b32_e32 v7, v5
	s_waitcnt lgkmcnt(0)
	v_pk_mul_f32 v[4:5], v[32:33], v[4:5] op_sel_hi:[1,0]
	v_pk_add_f32 v[2:3], v[2:3], v[6:7]
	v_pk_fma_f32 v[6:7], v[32:33], v[44:45], v[4:5] op_sel:[0,0,1] op_sel_hi:[1,1,0] neg_lo:[0,0,1] neg_hi:[0,0,1]
	v_pk_fma_f32 v[4:5], v[32:33], v[44:45], v[4:5] op_sel:[0,0,1] op_sel_hi:[1,0,0]
	s_waitcnt vmcnt(1)
	v_mov_b32_e32 v4, v53
	v_mov_b32_e32 v7, v5
	v_pk_mul_f32 v[4:5], v[34:35], v[4:5] op_sel_hi:[1,0]
	v_pk_add_f32 v[2:3], v[2:3], v[6:7]
	s_waitcnt vmcnt(0)
	v_pk_fma_f32 v[6:7], v[34:35], v[52:53], v[4:5] op_sel:[0,0,1] op_sel_hi:[1,1,0] neg_lo:[0,0,1] neg_hi:[0,0,1]
	v_pk_fma_f32 v[4:5], v[34:35], v[52:53], v[4:5] op_sel:[0,0,1] op_sel_hi:[1,0,0]
	v_mov_b32_e32 v7, v5
	v_pk_add_f32 v[2:3], v[2:3], v[6:7]
	v_pk_add_f32 v[2:3], v[50:51], v[2:3] neg_lo:[0,1] neg_hi:[0,1]
	buffer_store_dword v3, off, s[0:3], 0 offset:228
	buffer_store_dword v2, off, s[0:3], 0 offset:224
	s_and_saveexec_b64 s[4:5], vcc
	s_cbranch_execz .LBB44_229
; %bb.228:
	buffer_load_dword v2, off, s[0:3], 0 offset:216
	buffer_load_dword v3, off, s[0:3], 0 offset:220
	v_mov_b32_e32 v4, 0
	buffer_store_dword v4, off, s[0:3], 0 offset:216
	buffer_store_dword v4, off, s[0:3], 0 offset:220
	s_waitcnt vmcnt(2)
	ds_write_b64 v1, v[2:3]
.LBB44_229:
	s_or_b64 exec, exec, s[4:5]
	s_waitcnt lgkmcnt(0)
	; wave barrier
	s_waitcnt lgkmcnt(0)
	buffer_load_dword v3, off, s[0:3], 0 offset:228
	buffer_load_dword v46, off, s[0:3], 0 offset:236
	;; [unrolled: 1-line block ×36, first 2 shown]
	v_mov_b32_e32 v2, 0
	ds_read_b128 v[4:7], v2 offset:592
	ds_read_b128 v[8:11], v2 offset:608
	;; [unrolled: 1-line block ×6, first 2 shown]
	v_cmp_lt_u32_e32 vcc, 26, v0
	s_waitcnt vmcnt(35) lgkmcnt(5)
	v_mul_f32_e32 v65, v4, v3
	s_waitcnt vmcnt(34)
	v_mul_f32_e32 v156, v6, v46
	s_waitcnt vmcnt(33) lgkmcnt(4)
	v_mul_f32_e32 v157, v8, v48
	v_mul_f32_e32 v3, v5, v3
	;; [unrolled: 1-line block ×4, first 2 shown]
	s_waitcnt vmcnt(32)
	v_mul_f32_e32 v158, v10, v50
	s_waitcnt vmcnt(31) lgkmcnt(3)
	v_mul_f32_e32 v159, v12, v51
	v_mul_f32_e32 v50, v11, v50
	s_waitcnt vmcnt(26)
	v_fmac_f32_e32 v65, v5, v56
	s_waitcnt vmcnt(25)
	v_fmac_f32_e32 v156, v7, v57
	;; [unrolled: 2-line block ×3, first 2 shown]
	v_fma_f32 v3, v4, v56, -v3
	v_add_f32_e32 v9, 0, v65
	v_fma_f32 v4, v6, v57, -v46
	v_add_f32_e32 v3, 0, v3
	v_add_f32_e32 v9, v9, v156
	s_waitcnt vmcnt(23)
	v_fmac_f32_e32 v158, v11, v59
	v_fma_f32 v5, v8, v58, -v48
	v_add_f32_e32 v3, v3, v4
	v_add_f32_e32 v4, v9, v157
	v_mul_f32_e32 v160, v14, v52
	v_mul_f32_e32 v51, v13, v51
	s_waitcnt vmcnt(22)
	v_fmac_f32_e32 v159, v13, v60
	v_fma_f32 v6, v10, v59, -v50
	v_add_f32_e32 v3, v3, v5
	v_add_f32_e32 v4, v4, v158
	s_waitcnt lgkmcnt(2)
	v_mul_f32_e32 v161, v16, v53
	v_mul_f32_e32 v52, v15, v52
	s_waitcnt vmcnt(21)
	v_fmac_f32_e32 v160, v15, v61
	v_fma_f32 v7, v12, v60, -v51
	v_add_f32_e32 v3, v3, v6
	v_add_f32_e32 v4, v4, v159
	v_mul_f32_e32 v53, v17, v53
	s_waitcnt vmcnt(20)
	v_fmac_f32_e32 v161, v17, v62
	v_fma_f32 v8, v14, v61, -v52
	v_add_f32_e32 v3, v3, v7
	v_add_f32_e32 v4, v4, v160
	;; [unrolled: 1-line block ×4, first 2 shown]
	v_fma_f32 v4, v16, v62, -v53
	s_waitcnt vmcnt(17)
	v_mov_b32_e32 v16, v29
	v_mul_f32_e32 v47, v18, v54
	v_add_f32_e32 v12, v3, v4
	v_mul_f32_e32 v3, v19, v54
	s_waitcnt lgkmcnt(1)
	v_pk_mul_f32 v[16:17], v[22:23], v[16:17] op_sel_hi:[1,0]
	v_mul_f32_e32 v49, v20, v55
	v_fmac_f32_e32 v47, v19, v63
	v_fma_f32 v46, v18, v63, -v3
	v_mul_f32_e32 v3, v21, v55
	s_waitcnt vmcnt(15)
	v_pk_fma_f32 v[18:19], v[22:23], v[28:29], v[16:17] op_sel:[0,0,1] op_sel_hi:[1,1,0] neg_lo:[0,0,1] neg_hi:[0,0,1]
	v_pk_fma_f32 v[16:17], v[22:23], v[28:29], v[16:17] op_sel:[0,0,1] op_sel_hi:[1,0,0]
	v_fmac_f32_e32 v49, v21, v64
	v_fma_f32 v48, v20, v64, -v3
	v_pk_add_f32 v[12:13], v[12:13], v[46:47]
	s_waitcnt vmcnt(12)
	v_mov_b32_e32 v16, v31
	v_pk_add_f32 v[12:13], v[12:13], v[48:49]
	v_mov_b32_e32 v19, v17
	s_waitcnt lgkmcnt(0)
	v_pk_mul_f32 v[16:17], v[24:25], v[16:17] op_sel_hi:[1,0]
	v_pk_add_f32 v[12:13], v[12:13], v[18:19]
	v_pk_fma_f32 v[18:19], v[24:25], v[30:31], v[16:17] op_sel:[0,0,1] op_sel_hi:[1,1,0] neg_lo:[0,0,1] neg_hi:[0,0,1]
	v_pk_fma_f32 v[16:17], v[24:25], v[30:31], v[16:17] op_sel:[0,0,1] op_sel_hi:[1,0,0]
	s_waitcnt vmcnt(11)
	v_mov_b32_e32 v16, v35
	ds_read_b128 v[4:7], v2 offset:688
	ds_read_b128 v[8:11], v2 offset:704
	ds_read_b64 v[14:15], v2 offset:720
	v_mov_b32_e32 v19, v17
	v_pk_mul_f32 v[16:17], v[26:27], v[16:17] op_sel_hi:[1,0]
	v_pk_add_f32 v[12:13], v[12:13], v[18:19]
	s_waitcnt vmcnt(4)
	v_pk_fma_f32 v[18:19], v[26:27], v[34:35], v[16:17] op_sel:[0,0,1] op_sel_hi:[1,1,0] neg_lo:[0,0,1] neg_hi:[0,0,1]
	v_pk_fma_f32 v[16:17], v[26:27], v[34:35], v[16:17] op_sel:[0,0,1] op_sel_hi:[1,0,0]
	v_mov_b32_e32 v16, v41
	v_mov_b32_e32 v19, v17
	s_waitcnt lgkmcnt(2)
	v_pk_mul_f32 v[16:17], v[4:5], v[16:17] op_sel_hi:[1,0]
	v_pk_add_f32 v[12:13], v[12:13], v[18:19]
	v_pk_fma_f32 v[18:19], v[4:5], v[40:41], v[16:17] op_sel:[0,0,1] op_sel_hi:[1,1,0] neg_lo:[0,0,1] neg_hi:[0,0,1]
	v_pk_fma_f32 v[4:5], v[4:5], v[40:41], v[16:17] op_sel:[0,0,1] op_sel_hi:[1,0,0]
	v_mov_b32_e32 v19, v5
	v_pk_add_f32 v[4:5], v[12:13], v[18:19]
	v_mov_b32_e32 v12, v39
	v_pk_mul_f32 v[12:13], v[6:7], v[12:13] op_sel_hi:[1,0]
	v_pk_fma_f32 v[16:17], v[6:7], v[38:39], v[12:13] op_sel:[0,0,1] op_sel_hi:[1,1,0] neg_lo:[0,0,1] neg_hi:[0,0,1]
	v_pk_fma_f32 v[6:7], v[6:7], v[38:39], v[12:13] op_sel:[0,0,1] op_sel_hi:[1,0,0]
	v_mov_b32_e32 v6, v37
	v_mov_b32_e32 v17, v7
	s_waitcnt lgkmcnt(1)
	v_pk_mul_f32 v[6:7], v[8:9], v[6:7] op_sel_hi:[1,0]
	v_pk_fma_f32 v[12:13], v[8:9], v[36:37], v[6:7] op_sel:[0,0,1] op_sel_hi:[1,1,0] neg_lo:[0,0,1] neg_hi:[0,0,1]
	v_pk_fma_f32 v[6:7], v[8:9], v[36:37], v[6:7] op_sel:[0,0,1] op_sel_hi:[1,0,0]
	s_waitcnt vmcnt(1)
	v_mov_b32_e32 v6, v45
	v_mov_b32_e32 v13, v7
	v_pk_mul_f32 v[6:7], v[10:11], v[6:7] op_sel_hi:[1,0]
	s_waitcnt vmcnt(0)
	v_pk_fma_f32 v[8:9], v[10:11], v[44:45], v[6:7] op_sel:[0,0,1] op_sel_hi:[1,1,0] neg_lo:[0,0,1] neg_hi:[0,0,1]
	v_pk_fma_f32 v[6:7], v[10:11], v[44:45], v[6:7] op_sel:[0,0,1] op_sel_hi:[1,0,0]
	v_pk_add_f32 v[4:5], v[4:5], v[16:17]
	v_mov_b32_e32 v6, v43
	v_pk_add_f32 v[4:5], v[4:5], v[12:13]
	v_mov_b32_e32 v9, v7
	s_waitcnt lgkmcnt(0)
	v_pk_mul_f32 v[6:7], v[14:15], v[6:7] op_sel_hi:[1,0]
	v_pk_add_f32 v[4:5], v[4:5], v[8:9]
	v_pk_fma_f32 v[8:9], v[14:15], v[42:43], v[6:7] op_sel:[0,0,1] op_sel_hi:[1,1,0] neg_lo:[0,0,1] neg_hi:[0,0,1]
	v_pk_fma_f32 v[6:7], v[14:15], v[42:43], v[6:7] op_sel:[0,0,1] op_sel_hi:[1,0,0]
	v_mov_b32_e32 v9, v7
	v_pk_add_f32 v[4:5], v[4:5], v[8:9]
	v_pk_add_f32 v[4:5], v[32:33], v[4:5] neg_lo:[0,1] neg_hi:[0,1]
	buffer_store_dword v5, off, s[0:3], 0 offset:220
	buffer_store_dword v4, off, s[0:3], 0 offset:216
	s_and_saveexec_b64 s[4:5], vcc
	s_cbranch_execz .LBB44_231
; %bb.230:
	buffer_load_dword v4, off, s[0:3], 0 offset:208
	buffer_load_dword v5, off, s[0:3], 0 offset:212
	s_waitcnt vmcnt(0)
	ds_write_b64 v1, v[4:5]
	buffer_store_dword v2, off, s[0:3], 0 offset:208
	buffer_store_dword v2, off, s[0:3], 0 offset:212
.LBB44_231:
	s_or_b64 exec, exec, s[4:5]
	s_waitcnt lgkmcnt(0)
	; wave barrier
	s_waitcnt lgkmcnt(0)
	buffer_load_dword v3, off, s[0:3], 0 offset:220
	buffer_load_dword v46, off, s[0:3], 0 offset:228
	;; [unrolled: 1-line block ×22, first 2 shown]
	ds_read2_b64 v[4:7], v2 offset0:73 offset1:74
	ds_read2_b64 v[8:11], v2 offset0:75 offset1:76
	buffer_load_dword v31, off, s[0:3], 0 offset:300
	buffer_load_dword v30, off, s[0:3], 0 offset:296
	;; [unrolled: 1-line block ×10, first 2 shown]
	ds_read2_b64 v[12:15], v2 offset0:77 offset1:78
	ds_read2_b64 v[16:19], v2 offset0:79 offset1:80
	;; [unrolled: 1-line block ×4, first 2 shown]
	buffer_load_dword v41, off, s[0:3], 0 offset:356
	buffer_load_dword v40, off, s[0:3], 0 offset:352
	;; [unrolled: 1-line block ×6, first 2 shown]
	v_cmp_lt_u32_e32 vcc, 25, v0
	s_waitcnt vmcnt(37) lgkmcnt(5)
	v_mul_f32_e32 v157, v4, v3
	s_waitcnt vmcnt(36)
	v_mul_f32_e32 v158, v6, v46
	s_waitcnt vmcnt(35) lgkmcnt(4)
	v_mul_f32_e32 v159, v8, v48
	v_mul_f32_e32 v3, v5, v3
	;; [unrolled: 1-line block ×4, first 2 shown]
	s_waitcnt vmcnt(34)
	v_mul_f32_e32 v160, v10, v50
	s_waitcnt vmcnt(33) lgkmcnt(3)
	v_mul_f32_e32 v161, v12, v51
	s_waitcnt vmcnt(32)
	v_mul_f32_e32 v162, v14, v52
	s_waitcnt vmcnt(31) lgkmcnt(2)
	v_mul_f32_e32 v163, v16, v53
	s_waitcnt vmcnt(27)
	v_fmac_f32_e32 v157, v5, v57
	s_waitcnt vmcnt(26)
	v_fmac_f32_e32 v158, v7, v58
	v_fma_f32 v3, v4, v57, -v3
	s_waitcnt vmcnt(25)
	v_fma_f32 v5, v8, v59, -v48
	v_add_f32_e32 v8, 0, v157
	v_fmac_f32_e32 v159, v9, v59
	v_fma_f32 v4, v6, v58, -v46
	v_add_f32_e32 v3, 0, v3
	v_add_f32_e32 v8, v8, v158
	s_waitcnt vmcnt(24)
	v_fmac_f32_e32 v160, v11, v60
	v_add_f32_e32 v3, v3, v4
	v_add_f32_e32 v4, v8, v159
	s_waitcnt vmcnt(23)
	v_fmac_f32_e32 v161, v13, v61
	v_add_f32_e32 v4, v4, v160
	v_mul_f32_e32 v50, v11, v50
	s_waitcnt vmcnt(22)
	v_fmac_f32_e32 v162, v15, v62
	v_add_f32_e32 v4, v4, v161
	v_mul_f32_e32 v164, v18, v54
	v_mul_f32_e32 v51, v13, v51
	s_waitcnt vmcnt(21)
	v_fmac_f32_e32 v163, v17, v63
	v_fma_f32 v6, v10, v60, -v50
	v_add_f32_e32 v3, v3, v5
	v_add_f32_e32 v4, v4, v162
	v_mul_f32_e32 v52, v15, v52
	s_waitcnt vmcnt(20)
	v_fmac_f32_e32 v164, v19, v64
	v_fma_f32 v7, v12, v61, -v51
	v_add_f32_e32 v3, v3, v6
	v_add_f32_e32 v4, v4, v163
	;; [unrolled: 1-line block ×4, first 2 shown]
	v_fma_f32 v4, v14, v62, -v52
	v_add_f32_e32 v3, v3, v4
	v_mul_f32_e32 v4, v17, v53
	v_fma_f32 v4, v16, v63, -v4
	v_add_f32_e32 v3, v3, v4
	v_mul_f32_e32 v4, v19, v54
	v_fma_f32 v4, v18, v64, -v4
	s_waitcnt vmcnt(15)
	v_mov_b32_e32 v16, v31
	s_waitcnt lgkmcnt(1)
	v_mul_f32_e32 v47, v20, v55
	v_add_f32_e32 v50, v3, v4
	v_mul_f32_e32 v3, v21, v55
	s_waitcnt lgkmcnt(0)
	v_pk_mul_f32 v[16:17], v[24:25], v[16:17] op_sel_hi:[1,0]
	v_mul_f32_e32 v49, v22, v56
	v_fmac_f32_e32 v47, v21, v65
	v_fma_f32 v46, v20, v65, -v3
	v_mul_f32_e32 v3, v23, v56
	s_waitcnt vmcnt(14)
	v_pk_fma_f32 v[18:19], v[24:25], v[30:31], v[16:17] op_sel:[0,0,1] op_sel_hi:[1,1,0] neg_lo:[0,0,1] neg_hi:[0,0,1]
	v_pk_fma_f32 v[16:17], v[24:25], v[30:31], v[16:17] op_sel:[0,0,1] op_sel_hi:[1,0,0]
	v_fmac_f32_e32 v49, v23, v156
	v_fma_f32 v48, v22, v156, -v3
	ds_read2_b64 v[4:7], v2 offset0:85 offset1:86
	ds_read2_b64 v[8:11], v2 offset0:87 offset1:88
	;; [unrolled: 1-line block ×3, first 2 shown]
	v_pk_add_f32 v[2:3], v[50:51], v[46:47]
	s_waitcnt vmcnt(13)
	v_mov_b32_e32 v16, v33
	v_pk_add_f32 v[2:3], v[2:3], v[48:49]
	v_mov_b32_e32 v19, v17
	v_pk_mul_f32 v[16:17], v[26:27], v[16:17] op_sel_hi:[1,0]
	v_pk_add_f32 v[2:3], v[2:3], v[18:19]
	s_waitcnt vmcnt(6)
	v_pk_fma_f32 v[18:19], v[26:27], v[32:33], v[16:17] op_sel:[0,0,1] op_sel_hi:[1,1,0] neg_lo:[0,0,1] neg_hi:[0,0,1]
	v_pk_fma_f32 v[16:17], v[26:27], v[32:33], v[16:17] op_sel:[0,0,1] op_sel_hi:[1,0,0]
	v_mov_b32_e32 v16, v39
	v_mov_b32_e32 v19, v17
	s_waitcnt lgkmcnt(2)
	v_pk_mul_f32 v[16:17], v[4:5], v[16:17] op_sel_hi:[1,0]
	v_pk_add_f32 v[2:3], v[2:3], v[18:19]
	v_pk_fma_f32 v[18:19], v[4:5], v[38:39], v[16:17] op_sel:[0,0,1] op_sel_hi:[1,1,0] neg_lo:[0,0,1] neg_hi:[0,0,1]
	v_pk_fma_f32 v[4:5], v[4:5], v[38:39], v[16:17] op_sel:[0,0,1] op_sel_hi:[1,0,0]
	v_mov_b32_e32 v4, v37
	v_mov_b32_e32 v19, v5
	v_pk_mul_f32 v[4:5], v[6:7], v[4:5] op_sel_hi:[1,0]
	v_pk_fma_f32 v[16:17], v[6:7], v[36:37], v[4:5] op_sel:[0,0,1] op_sel_hi:[1,1,0] neg_lo:[0,0,1] neg_hi:[0,0,1]
	v_pk_fma_f32 v[4:5], v[6:7], v[36:37], v[4:5] op_sel:[0,0,1] op_sel_hi:[1,0,0]
	v_mov_b32_e32 v4, v35
	v_mov_b32_e32 v17, v5
	s_waitcnt lgkmcnt(1)
	v_pk_mul_f32 v[4:5], v[8:9], v[4:5] op_sel_hi:[1,0]
	v_pk_fma_f32 v[6:7], v[8:9], v[34:35], v[4:5] op_sel:[0,0,1] op_sel_hi:[1,1,0] neg_lo:[0,0,1] neg_hi:[0,0,1]
	v_pk_fma_f32 v[4:5], v[8:9], v[34:35], v[4:5] op_sel:[0,0,1] op_sel_hi:[1,0,0]
	v_pk_add_f32 v[2:3], v[2:3], v[18:19]
	s_waitcnt vmcnt(1)
	v_mov_b32_e32 v4, v45
	v_pk_add_f32 v[2:3], v[2:3], v[16:17]
	v_mov_b32_e32 v7, v5
	v_pk_mul_f32 v[4:5], v[10:11], v[4:5] op_sel_hi:[1,0]
	v_pk_add_f32 v[2:3], v[2:3], v[6:7]
	s_waitcnt vmcnt(0)
	v_pk_fma_f32 v[6:7], v[10:11], v[44:45], v[4:5] op_sel:[0,0,1] op_sel_hi:[1,1,0] neg_lo:[0,0,1] neg_hi:[0,0,1]
	v_pk_fma_f32 v[4:5], v[10:11], v[44:45], v[4:5] op_sel:[0,0,1] op_sel_hi:[1,0,0]
	v_mov_b32_e32 v4, v43
	v_mov_b32_e32 v7, v5
	s_waitcnt lgkmcnt(0)
	v_pk_mul_f32 v[4:5], v[12:13], v[4:5] op_sel_hi:[1,0]
	v_pk_add_f32 v[2:3], v[2:3], v[6:7]
	v_pk_fma_f32 v[6:7], v[12:13], v[42:43], v[4:5] op_sel:[0,0,1] op_sel_hi:[1,1,0] neg_lo:[0,0,1] neg_hi:[0,0,1]
	v_pk_fma_f32 v[4:5], v[12:13], v[42:43], v[4:5] op_sel:[0,0,1] op_sel_hi:[1,0,0]
	v_mov_b32_e32 v4, v41
	v_mov_b32_e32 v7, v5
	v_pk_mul_f32 v[4:5], v[14:15], v[4:5] op_sel_hi:[1,0]
	v_pk_add_f32 v[2:3], v[2:3], v[6:7]
	v_pk_fma_f32 v[6:7], v[14:15], v[40:41], v[4:5] op_sel:[0,0,1] op_sel_hi:[1,1,0] neg_lo:[0,0,1] neg_hi:[0,0,1]
	v_pk_fma_f32 v[4:5], v[14:15], v[40:41], v[4:5] op_sel:[0,0,1] op_sel_hi:[1,0,0]
	v_mov_b32_e32 v7, v5
	v_pk_add_f32 v[2:3], v[2:3], v[6:7]
	v_pk_add_f32 v[2:3], v[28:29], v[2:3] neg_lo:[0,1] neg_hi:[0,1]
	buffer_store_dword v3, off, s[0:3], 0 offset:212
	buffer_store_dword v2, off, s[0:3], 0 offset:208
	s_and_saveexec_b64 s[4:5], vcc
	s_cbranch_execz .LBB44_233
; %bb.232:
	buffer_load_dword v2, off, s[0:3], 0 offset:200
	buffer_load_dword v3, off, s[0:3], 0 offset:204
	v_mov_b32_e32 v4, 0
	buffer_store_dword v4, off, s[0:3], 0 offset:200
	buffer_store_dword v4, off, s[0:3], 0 offset:204
	s_waitcnt vmcnt(2)
	ds_write_b64 v1, v[2:3]
.LBB44_233:
	s_or_b64 exec, exec, s[4:5]
	v_mov_b32_e32 v12, 0
	s_waitcnt lgkmcnt(0)
	; wave barrier
	s_waitcnt lgkmcnt(0)
	ds_read_b128 v[14:17], v12 offset:576
	ds_read_b128 v[18:21], v12 offset:592
	;; [unrolled: 1-line block ×4, first 2 shown]
	buffer_load_dword v10, off, s[0:3], 0 offset:200
	buffer_load_dword v11, off, s[0:3], 0 offset:204
	;; [unrolled: 1-line block ×18, first 2 shown]
	v_cmp_lt_u32_e32 vcc, 24, v0
	s_waitcnt vmcnt(14) lgkmcnt(3)
	v_mul_f32_e32 v22, v14, v30
	v_fmac_f32_e32 v22, v15, v13
	s_waitcnt vmcnt(12)
	v_mul_f32_e32 v23, v16, v34
	v_add_f32_e32 v22, 0, v22
	v_fmac_f32_e32 v23, v17, v32
	v_add_f32_e32 v22, v22, v23
	s_waitcnt vmcnt(10) lgkmcnt(2)
	v_mul_f32_e32 v23, v18, v53
	v_fmac_f32_e32 v23, v19, v52
	v_add_f32_e32 v22, v22, v23
	s_waitcnt vmcnt(8)
	v_mul_f32_e32 v23, v20, v55
	v_fmac_f32_e32 v23, v21, v54
	v_add_f32_e32 v22, v22, v23
	s_waitcnt vmcnt(6) lgkmcnt(1)
	v_mul_f32_e32 v23, v6, v57
	v_fmac_f32_e32 v23, v7, v56
	v_add_f32_e32 v22, v22, v23
	s_waitcnt vmcnt(4)
	v_mul_f32_e32 v23, v8, v59
	;; [unrolled: 8-line block ×3, first 2 shown]
	v_fmac_f32_e32 v23, v5, v62
	v_add_f32_e32 v26, v22, v23
	ds_read_b128 v[22:25], v12 offset:640
	buffer_load_dword v64, off, s[0:3], 0 offset:272
	buffer_load_dword v65, off, s[0:3], 0 offset:276
	;; [unrolled: 1-line block ×4, first 2 shown]
	v_mul_f32_e32 v15, v15, v30
	v_fma_f32 v13, v14, v13, -v15
	v_mul_f32_e32 v14, v17, v34
	v_add_f32_e32 v13, 0, v13
	v_fma_f32 v14, v16, v32, -v14
	v_add_f32_e32 v13, v13, v14
	v_mul_f32_e32 v14, v19, v53
	v_fma_f32 v14, v18, v52, -v14
	v_add_f32_e32 v13, v13, v14
	v_mul_f32_e32 v14, v21, v55
	v_fma_f32 v14, v20, v54, -v14
	v_mul_f32_e32 v7, v7, v57
	v_add_f32_e32 v13, v13, v14
	v_fma_f32 v6, v6, v56, -v7
	v_mul_f32_e32 v7, v9, v59
	v_add_f32_e32 v6, v13, v6
	;; [unrolled: 3-line block ×4, first 2 shown]
	v_fma_f32 v3, v4, v62, -v3
	v_add_f32_e32 v2, v2, v3
	s_waitcnt vmcnt(2) lgkmcnt(0)
	v_mul_f32_e32 v27, v22, v65
	v_fmac_f32_e32 v27, v23, v64
	v_add_f32_e32 v31, v26, v27
	ds_read_b128 v[26:29], v12 offset:656
	buffer_load_dword v158, off, s[0:3], 0 offset:288
	buffer_load_dword v159, off, s[0:3], 0 offset:292
	;; [unrolled: 1-line block ×18, first 2 shown]
	v_mul_f32_e32 v3, v23, v65
	v_fma_f32 v3, v22, v64, -v3
	v_add_f32_e32 v30, v2, v3
	s_waitcnt vmcnt(18)
	v_mul_f32_e32 v2, v25, v157
	v_mul_f32_e32 v33, v24, v157
	v_fma_f32 v32, v24, v156, -v2
	v_fmac_f32_e32 v33, v25, v156
	v_pk_add_f32 v[20:21], v[30:31], v[32:33]
	s_waitcnt vmcnt(15)
	v_mov_b32_e32 v22, v37
	s_waitcnt lgkmcnt(0)
	v_pk_mul_f32 v[22:23], v[28:29], v[22:23] op_sel_hi:[1,0]
	s_waitcnt vmcnt(14)
	v_pk_fma_f32 v[24:25], v[28:29], v[36:37], v[22:23] op_sel:[0,0,1] op_sel_hi:[1,1,0] neg_lo:[0,0,1] neg_hi:[0,0,1]
	v_pk_fma_f32 v[22:23], v[28:29], v[36:37], v[22:23] op_sel:[0,0,1] op_sel_hi:[1,0,0]
	s_waitcnt vmcnt(13)
	v_mov_b32_e32 v22, v39
	v_mov_b32_e32 v25, v23
	v_mul_f32_e32 v2, v27, v159
	v_mul_f32_e32 v35, v26, v159
	v_fma_f32 v34, v26, v158, -v2
	ds_read_b128 v[2:5], v12 offset:672
	ds_read_b128 v[6:9], v12 offset:688
	;; [unrolled: 1-line block ×3, first 2 shown]
	ds_read_b64 v[18:19], v12 offset:720
	v_fmac_f32_e32 v35, v27, v158
	v_pk_add_f32 v[20:21], v[20:21], v[34:35]
	s_waitcnt lgkmcnt(3)
	v_pk_mul_f32 v[22:23], v[2:3], v[22:23] op_sel_hi:[1,0]
	v_pk_add_f32 v[20:21], v[20:21], v[24:25]
	s_waitcnt vmcnt(12)
	v_pk_fma_f32 v[24:25], v[2:3], v[38:39], v[22:23] op_sel:[0,0,1] op_sel_hi:[1,1,0] neg_lo:[0,0,1] neg_hi:[0,0,1]
	v_pk_fma_f32 v[2:3], v[2:3], v[38:39], v[22:23] op_sel:[0,0,1] op_sel_hi:[1,0,0]
	v_mov_b32_e32 v25, v3
	v_pk_add_f32 v[2:3], v[20:21], v[24:25]
	s_waitcnt vmcnt(11)
	v_mov_b32_e32 v20, v41
	v_pk_mul_f32 v[20:21], v[4:5], v[20:21] op_sel_hi:[1,0]
	s_waitcnt vmcnt(10)
	v_pk_fma_f32 v[22:23], v[4:5], v[40:41], v[20:21] op_sel:[0,0,1] op_sel_hi:[1,1,0] neg_lo:[0,0,1] neg_hi:[0,0,1]
	v_pk_fma_f32 v[4:5], v[4:5], v[40:41], v[20:21] op_sel:[0,0,1] op_sel_hi:[1,0,0]
	s_waitcnt vmcnt(9)
	v_mov_b32_e32 v4, v43
	v_mov_b32_e32 v23, v5
	s_waitcnt lgkmcnt(2)
	v_pk_mul_f32 v[4:5], v[6:7], v[4:5] op_sel_hi:[1,0]
	s_waitcnt vmcnt(8)
	v_pk_fma_f32 v[20:21], v[6:7], v[42:43], v[4:5] op_sel:[0,0,1] op_sel_hi:[1,1,0] neg_lo:[0,0,1] neg_hi:[0,0,1]
	v_pk_fma_f32 v[4:5], v[6:7], v[42:43], v[4:5] op_sel:[0,0,1] op_sel_hi:[1,0,0]
	s_waitcnt vmcnt(7)
	v_mov_b32_e32 v4, v45
	v_mov_b32_e32 v21, v5
	v_pk_mul_f32 v[4:5], v[8:9], v[4:5] op_sel_hi:[1,0]
	s_waitcnt vmcnt(6)
	v_pk_fma_f32 v[6:7], v[8:9], v[44:45], v[4:5] op_sel:[0,0,1] op_sel_hi:[1,1,0] neg_lo:[0,0,1] neg_hi:[0,0,1]
	v_pk_fma_f32 v[4:5], v[8:9], v[44:45], v[4:5] op_sel:[0,0,1] op_sel_hi:[1,0,0]
	v_pk_add_f32 v[2:3], v[2:3], v[22:23]
	s_waitcnt vmcnt(5)
	v_mov_b32_e32 v4, v47
	v_pk_add_f32 v[2:3], v[2:3], v[20:21]
	v_mov_b32_e32 v7, v5
	s_waitcnt lgkmcnt(1)
	v_pk_mul_f32 v[4:5], v[14:15], v[4:5] op_sel_hi:[1,0]
	v_pk_add_f32 v[2:3], v[2:3], v[6:7]
	s_waitcnt vmcnt(4)
	v_pk_fma_f32 v[6:7], v[14:15], v[46:47], v[4:5] op_sel:[0,0,1] op_sel_hi:[1,1,0] neg_lo:[0,0,1] neg_hi:[0,0,1]
	v_pk_fma_f32 v[4:5], v[14:15], v[46:47], v[4:5] op_sel:[0,0,1] op_sel_hi:[1,0,0]
	s_waitcnt vmcnt(3)
	v_mov_b32_e32 v4, v49
	v_mov_b32_e32 v7, v5
	v_pk_mul_f32 v[4:5], v[16:17], v[4:5] op_sel_hi:[1,0]
	v_pk_add_f32 v[2:3], v[2:3], v[6:7]
	s_waitcnt vmcnt(2)
	v_pk_fma_f32 v[6:7], v[16:17], v[48:49], v[4:5] op_sel:[0,0,1] op_sel_hi:[1,1,0] neg_lo:[0,0,1] neg_hi:[0,0,1]
	v_pk_fma_f32 v[4:5], v[16:17], v[48:49], v[4:5] op_sel:[0,0,1] op_sel_hi:[1,0,0]
	s_waitcnt vmcnt(1)
	v_mov_b32_e32 v4, v51
	v_mov_b32_e32 v7, v5
	s_waitcnt lgkmcnt(0)
	v_pk_mul_f32 v[4:5], v[18:19], v[4:5] op_sel_hi:[1,0]
	v_pk_add_f32 v[2:3], v[2:3], v[6:7]
	s_waitcnt vmcnt(0)
	v_pk_fma_f32 v[6:7], v[18:19], v[50:51], v[4:5] op_sel:[0,0,1] op_sel_hi:[1,1,0] neg_lo:[0,0,1] neg_hi:[0,0,1]
	v_pk_fma_f32 v[4:5], v[18:19], v[50:51], v[4:5] op_sel:[0,0,1] op_sel_hi:[1,0,0]
	v_mov_b32_e32 v7, v5
	v_pk_add_f32 v[2:3], v[2:3], v[6:7]
	v_pk_add_f32 v[2:3], v[10:11], v[2:3] neg_lo:[0,1] neg_hi:[0,1]
	buffer_store_dword v3, off, s[0:3], 0 offset:204
	buffer_store_dword v2, off, s[0:3], 0 offset:200
	s_and_saveexec_b64 s[4:5], vcc
	s_cbranch_execz .LBB44_235
; %bb.234:
	buffer_load_dword v2, off, s[0:3], 0 offset:192
	buffer_load_dword v3, off, s[0:3], 0 offset:196
	s_waitcnt vmcnt(0)
	ds_write_b64 v1, v[2:3]
	buffer_store_dword v12, off, s[0:3], 0 offset:192
	buffer_store_dword v12, off, s[0:3], 0 offset:196
.LBB44_235:
	s_or_b64 exec, exec, s[4:5]
	s_waitcnt lgkmcnt(0)
	; wave barrier
	s_waitcnt lgkmcnt(0)
	ds_read2_b64 v[4:7], v12 offset0:71 offset1:72
	buffer_load_dword v2, off, s[0:3], 0 offset:192
	buffer_load_dword v3, off, s[0:3], 0 offset:196
	;; [unrolled: 1-line block ×16, first 2 shown]
	v_cmp_lt_u32_e32 vcc, 23, v0
	s_waitcnt vmcnt(12) lgkmcnt(0)
	v_mul_f32_e32 v8, v4, v34
	v_fmac_f32_e32 v8, v5, v13
	s_waitcnt vmcnt(10)
	v_mul_f32_e32 v9, v6, v38
	v_add_f32_e32 v8, 0, v8
	v_fmac_f32_e32 v9, v7, v36
	v_add_f32_e32 v14, v8, v9
	ds_read2_b64 v[8:11], v12 offset0:73 offset1:74
	v_mul_f32_e32 v5, v5, v34
	v_fma_f32 v4, v4, v13, -v5
	v_mul_f32_e32 v5, v7, v38
	v_add_f32_e32 v4, 0, v4
	s_waitcnt vmcnt(8) lgkmcnt(0)
	v_mul_f32_e32 v15, v8, v57
	v_fmac_f32_e32 v15, v9, v56
	v_add_f32_e32 v14, v14, v15
	s_waitcnt vmcnt(6)
	v_mul_f32_e32 v15, v10, v59
	v_fmac_f32_e32 v15, v11, v58
	v_add_f32_e32 v18, v14, v15
	ds_read2_b64 v[14:17], v12 offset0:75 offset1:76
	v_fma_f32 v5, v6, v36, -v5
	v_add_f32_e32 v4, v4, v5
	v_mul_f32_e32 v5, v9, v57
	v_fma_f32 v5, v8, v56, -v5
	s_waitcnt vmcnt(4) lgkmcnt(0)
	v_mul_f32_e32 v19, v14, v61
	v_fmac_f32_e32 v19, v15, v60
	v_add_f32_e32 v18, v18, v19
	s_waitcnt vmcnt(2)
	v_mul_f32_e32 v19, v16, v63
	v_fmac_f32_e32 v19, v17, v62
	v_add_f32_e32 v22, v18, v19
	ds_read2_b64 v[18:21], v12 offset0:77 offset1:78
	buffer_load_dword v156, off, s[0:3], 0 offset:256
	buffer_load_dword v157, off, s[0:3], 0 offset:260
	v_add_f32_e32 v4, v4, v5
	v_mul_f32_e32 v5, v11, v59
	v_fma_f32 v5, v10, v58, -v5
	s_waitcnt vmcnt(2) lgkmcnt(0)
	v_mul_f32_e32 v23, v18, v65
	v_fmac_f32_e32 v23, v19, v64
	v_add_f32_e32 v22, v22, v23
	v_add_f32_e32 v4, v4, v5
	v_mul_f32_e32 v5, v15, v61
	v_fma_f32 v5, v14, v60, -v5
	v_add_f32_e32 v4, v4, v5
	v_mul_f32_e32 v5, v17, v63
	v_fma_f32 v5, v16, v62, -v5
	;; [unrolled: 3-line block ×3, first 2 shown]
	v_add_f32_e32 v4, v4, v5
	s_waitcnt vmcnt(0)
	v_mul_f32_e32 v23, v20, v157
	v_fmac_f32_e32 v23, v21, v156
	v_add_f32_e32 v26, v22, v23
	ds_read2_b64 v[22:25], v12 offset0:79 offset1:80
	buffer_load_dword v158, off, s[0:3], 0 offset:264
	buffer_load_dword v159, off, s[0:3], 0 offset:268
	;; [unrolled: 1-line block ×4, first 2 shown]
	v_mul_f32_e32 v5, v21, v157
	v_fma_f32 v5, v20, v156, -v5
	v_add_f32_e32 v4, v4, v5
	s_waitcnt vmcnt(2) lgkmcnt(0)
	v_mul_f32_e32 v27, v22, v159
	v_fmac_f32_e32 v27, v23, v158
	v_add_f32_e32 v26, v26, v27
	s_waitcnt vmcnt(0)
	v_mul_f32_e32 v27, v24, v161
	v_fmac_f32_e32 v27, v25, v160
	v_add_f32_e32 v35, v26, v27
	ds_read2_b64 v[26:29], v12 offset0:81 offset1:82
	buffer_load_dword v162, off, s[0:3], 0 offset:280
	buffer_load_dword v163, off, s[0:3], 0 offset:284
	;; [unrolled: 1-line block ×6, first 2 shown]
	ds_read2_b64 v[30:33], v12 offset0:83 offset1:84
	buffer_load_dword v43, off, s[0:3], 0 offset:308
	buffer_load_dword v42, off, s[0:3], 0 offset:304
	;; [unrolled: 1-line block ×14, first 2 shown]
	v_mul_f32_e32 v5, v23, v159
	v_fma_f32 v5, v22, v158, -v5
	v_add_f32_e32 v4, v4, v5
	v_mul_f32_e32 v5, v25, v161
	v_fma_f32 v5, v24, v160, -v5
	v_add_f32_e32 v34, v4, v5
	s_waitcnt vmcnt(18) lgkmcnt(1)
	v_mul_f32_e32 v37, v26, v163
	s_waitcnt vmcnt(15)
	v_mov_b32_e32 v18, v41
	v_mul_f32_e32 v4, v27, v163
	s_waitcnt lgkmcnt(0)
	v_pk_mul_f32 v[18:19], v[30:31], v[18:19] op_sel_hi:[1,0]
	v_fmac_f32_e32 v37, v27, v162
	v_mul_f32_e32 v39, v28, v165
	v_fma_f32 v36, v26, v162, -v4
	v_mul_f32_e32 v4, v29, v165
	s_waitcnt vmcnt(14)
	v_pk_fma_f32 v[20:21], v[30:31], v[40:41], v[18:19] op_sel:[0,0,1] op_sel_hi:[1,1,0] neg_lo:[0,0,1] neg_hi:[0,0,1]
	v_pk_fma_f32 v[18:19], v[30:31], v[40:41], v[18:19] op_sel:[0,0,1] op_sel_hi:[1,0,0]
	v_fmac_f32_e32 v39, v29, v164
	v_fma_f32 v38, v28, v164, -v4
	v_pk_add_f32 v[16:17], v[34:35], v[36:37]
	s_waitcnt vmcnt(13)
	v_mov_b32_e32 v18, v43
	ds_read2_b64 v[4:7], v12 offset0:85 offset1:86
	ds_read2_b64 v[8:11], v12 offset0:87 offset1:88
	;; [unrolled: 1-line block ×3, first 2 shown]
	v_pk_add_f32 v[16:17], v[16:17], v[38:39]
	v_mov_b32_e32 v21, v19
	v_pk_mul_f32 v[18:19], v[32:33], v[18:19] op_sel_hi:[1,0]
	v_pk_add_f32 v[16:17], v[16:17], v[20:21]
	s_waitcnt vmcnt(12)
	v_pk_fma_f32 v[20:21], v[32:33], v[42:43], v[18:19] op_sel:[0,0,1] op_sel_hi:[1,1,0] neg_lo:[0,0,1] neg_hi:[0,0,1]
	v_pk_fma_f32 v[18:19], v[32:33], v[42:43], v[18:19] op_sel:[0,0,1] op_sel_hi:[1,0,0]
	s_waitcnt vmcnt(11)
	v_mov_b32_e32 v18, v45
	v_mov_b32_e32 v21, v19
	s_waitcnt lgkmcnt(2)
	v_pk_mul_f32 v[18:19], v[4:5], v[18:19] op_sel_hi:[1,0]
	v_pk_add_f32 v[16:17], v[16:17], v[20:21]
	s_waitcnt vmcnt(10)
	v_pk_fma_f32 v[20:21], v[4:5], v[44:45], v[18:19] op_sel:[0,0,1] op_sel_hi:[1,1,0] neg_lo:[0,0,1] neg_hi:[0,0,1]
	v_pk_fma_f32 v[4:5], v[4:5], v[44:45], v[18:19] op_sel:[0,0,1] op_sel_hi:[1,0,0]
	v_mov_b32_e32 v21, v5
	v_pk_add_f32 v[4:5], v[16:17], v[20:21]
	s_waitcnt vmcnt(9)
	v_mov_b32_e32 v16, v47
	v_pk_mul_f32 v[16:17], v[6:7], v[16:17] op_sel_hi:[1,0]
	s_waitcnt vmcnt(8)
	v_pk_fma_f32 v[18:19], v[6:7], v[46:47], v[16:17] op_sel:[0,0,1] op_sel_hi:[1,1,0] neg_lo:[0,0,1] neg_hi:[0,0,1]
	v_pk_fma_f32 v[6:7], v[6:7], v[46:47], v[16:17] op_sel:[0,0,1] op_sel_hi:[1,0,0]
	s_waitcnt vmcnt(7)
	v_mov_b32_e32 v6, v49
	v_mov_b32_e32 v19, v7
	s_waitcnt lgkmcnt(1)
	v_pk_mul_f32 v[6:7], v[8:9], v[6:7] op_sel_hi:[1,0]
	s_waitcnt vmcnt(6)
	v_pk_fma_f32 v[16:17], v[8:9], v[48:49], v[6:7] op_sel:[0,0,1] op_sel_hi:[1,1,0] neg_lo:[0,0,1] neg_hi:[0,0,1]
	v_pk_fma_f32 v[6:7], v[8:9], v[48:49], v[6:7] op_sel:[0,0,1] op_sel_hi:[1,0,0]
	s_waitcnt vmcnt(5)
	v_mov_b32_e32 v6, v51
	v_mov_b32_e32 v17, v7
	v_pk_mul_f32 v[6:7], v[10:11], v[6:7] op_sel_hi:[1,0]
	s_waitcnt vmcnt(4)
	v_pk_fma_f32 v[8:9], v[10:11], v[50:51], v[6:7] op_sel:[0,0,1] op_sel_hi:[1,1,0] neg_lo:[0,0,1] neg_hi:[0,0,1]
	v_pk_fma_f32 v[6:7], v[10:11], v[50:51], v[6:7] op_sel:[0,0,1] op_sel_hi:[1,0,0]
	v_pk_add_f32 v[4:5], v[4:5], v[18:19]
	s_waitcnt vmcnt(3)
	v_mov_b32_e32 v6, v53
	v_pk_add_f32 v[4:5], v[4:5], v[16:17]
	v_mov_b32_e32 v9, v7
	s_waitcnt lgkmcnt(0)
	v_pk_mul_f32 v[6:7], v[12:13], v[6:7] op_sel_hi:[1,0]
	v_pk_add_f32 v[4:5], v[4:5], v[8:9]
	s_waitcnt vmcnt(2)
	v_pk_fma_f32 v[8:9], v[12:13], v[52:53], v[6:7] op_sel:[0,0,1] op_sel_hi:[1,1,0] neg_lo:[0,0,1] neg_hi:[0,0,1]
	v_pk_fma_f32 v[6:7], v[12:13], v[52:53], v[6:7] op_sel:[0,0,1] op_sel_hi:[1,0,0]
	s_waitcnt vmcnt(1)
	v_mov_b32_e32 v6, v55
	v_mov_b32_e32 v9, v7
	v_pk_mul_f32 v[6:7], v[14:15], v[6:7] op_sel_hi:[1,0]
	v_pk_add_f32 v[4:5], v[4:5], v[8:9]
	s_waitcnt vmcnt(0)
	v_pk_fma_f32 v[8:9], v[14:15], v[54:55], v[6:7] op_sel:[0,0,1] op_sel_hi:[1,1,0] neg_lo:[0,0,1] neg_hi:[0,0,1]
	v_pk_fma_f32 v[6:7], v[14:15], v[54:55], v[6:7] op_sel:[0,0,1] op_sel_hi:[1,0,0]
	v_mov_b32_e32 v9, v7
	v_pk_add_f32 v[4:5], v[4:5], v[8:9]
	v_pk_add_f32 v[2:3], v[2:3], v[4:5] neg_lo:[0,1] neg_hi:[0,1]
	buffer_store_dword v3, off, s[0:3], 0 offset:196
	buffer_store_dword v2, off, s[0:3], 0 offset:192
	s_and_saveexec_b64 s[4:5], vcc
	s_cbranch_execz .LBB44_237
; %bb.236:
	buffer_load_dword v2, off, s[0:3], 0 offset:184
	buffer_load_dword v3, off, s[0:3], 0 offset:188
	v_mov_b32_e32 v4, 0
	buffer_store_dword v4, off, s[0:3], 0 offset:184
	buffer_store_dword v4, off, s[0:3], 0 offset:188
	s_waitcnt vmcnt(2)
	ds_write_b64 v1, v[2:3]
.LBB44_237:
	s_or_b64 exec, exec, s[4:5]
	s_waitcnt lgkmcnt(0)
	; wave barrier
	s_waitcnt lgkmcnt(0)
	buffer_load_dword v3, off, s[0:3], 0 offset:196
	buffer_load_dword v54, off, s[0:3], 0 offset:204
	;; [unrolled: 1-line block ×44, first 2 shown]
	v_mov_b32_e32 v2, 0
	ds_read_b128 v[4:7], v2 offset:560
	ds_read_b128 v[8:11], v2 offset:576
	;; [unrolled: 1-line block ×8, first 2 shown]
	v_cmp_lt_u32_e32 vcc, 22, v0
	s_waitcnt vmcnt(43) lgkmcnt(7)
	v_mul_f32_e32 v59, v4, v3
	v_mul_f32_e32 v3, v5, v3
	s_waitcnt vmcnt(42)
	v_mul_f32_e32 v172, v6, v54
	s_waitcnt vmcnt(41) lgkmcnt(6)
	v_mul_f32_e32 v173, v8, v56
	s_waitcnt vmcnt(40)
	v_mul_f32_e32 v174, v10, v58
	s_waitcnt vmcnt(39) lgkmcnt(5)
	;; [unrolled: 4-line block ×5, first 2 shown]
	v_mul_f32_e32 v181, v24, v156
	s_waitcnt vmcnt(32)
	v_mul_f32_e32 v55, v26, v157
	s_waitcnt vmcnt(30)
	v_fma_f32 v3, v4, v159, -v3
	v_mul_f32_e32 v4, v7, v54
	v_add_f32_e32 v3, 0, v3
	s_waitcnt vmcnt(29)
	v_fma_f32 v4, v6, v160, -v4
	v_add_f32_e32 v3, v3, v4
	v_mul_f32_e32 v4, v9, v56
	s_waitcnt vmcnt(28)
	v_fma_f32 v4, v8, v161, -v4
	v_add_f32_e32 v3, v3, v4
	v_mul_f32_e32 v4, v11, v58
	;; [unrolled: 4-line block ×4, first 2 shown]
	s_waitcnt vmcnt(25)
	v_fma_f32 v4, v14, v164, -v4
	v_fmac_f32_e32 v59, v5, v159
	v_add_f32_e32 v3, v3, v4
	v_mul_f32_e32 v4, v17, v62
	v_fmac_f32_e32 v172, v7, v160
	v_add_f32_e32 v5, 0, v59
	s_waitcnt vmcnt(24)
	v_fma_f32 v4, v16, v165, -v4
	v_fmac_f32_e32 v173, v9, v161
	v_add_f32_e32 v5, v5, v172
	v_add_f32_e32 v3, v3, v4
	v_mul_f32_e32 v4, v19, v63
	v_fmac_f32_e32 v174, v11, v162
	v_add_f32_e32 v5, v5, v173
	s_waitcnt vmcnt(23)
	v_fma_f32 v4, v18, v166, -v4
	v_fmac_f32_e32 v175, v13, v163
	v_add_f32_e32 v5, v5, v174
	;; [unrolled: 8-line block ×4, first 2 shown]
	v_add_f32_e32 v3, v3, v4
	v_mul_f32_e32 v4, v25, v156
	v_fmac_f32_e32 v180, v23, v168
	v_add_f32_e32 v5, v5, v179
	s_waitcnt vmcnt(20)
	v_fma_f32 v4, v24, v169, -v4
	s_waitcnt vmcnt(13)
	v_mov_b32_e32 v16, v41
	v_fmac_f32_e32 v181, v25, v169
	v_add_f32_e32 v5, v5, v180
	v_add_f32_e32 v58, v3, v4
	v_mul_f32_e32 v3, v27, v157
	s_waitcnt lgkmcnt(1)
	v_pk_mul_f32 v[16:17], v[30:31], v[16:17] op_sel_hi:[1,0]
	v_mul_f32_e32 v57, v28, v158
	v_fmac_f32_e32 v55, v27, v170
	v_add_f32_e32 v59, v5, v181
	v_fma_f32 v54, v26, v170, -v3
	v_mul_f32_e32 v3, v29, v158
	s_waitcnt vmcnt(12)
	v_pk_fma_f32 v[18:19], v[30:31], v[40:41], v[16:17] op_sel:[0,0,1] op_sel_hi:[1,1,0] neg_lo:[0,0,1] neg_hi:[0,0,1]
	v_pk_fma_f32 v[16:17], v[30:31], v[40:41], v[16:17] op_sel:[0,0,1] op_sel_hi:[1,0,0]
	v_fmac_f32_e32 v57, v29, v171
	v_fma_f32 v56, v28, v171, -v3
	v_pk_add_f32 v[14:15], v[58:59], v[54:55]
	v_mov_b32_e32 v16, v39
	v_pk_add_f32 v[14:15], v[14:15], v[56:57]
	v_mov_b32_e32 v19, v17
	s_waitcnt lgkmcnt(0)
	v_pk_mul_f32 v[16:17], v[32:33], v[16:17] op_sel_hi:[1,0]
	v_pk_add_f32 v[14:15], v[14:15], v[18:19]
	v_pk_fma_f32 v[18:19], v[32:33], v[38:39], v[16:17] op_sel:[0,0,1] op_sel_hi:[1,1,0] neg_lo:[0,0,1] neg_hi:[0,0,1]
	v_pk_fma_f32 v[16:17], v[32:33], v[38:39], v[16:17] op_sel:[0,0,1] op_sel_hi:[1,0,0]
	s_waitcnt vmcnt(5)
	v_mov_b32_e32 v16, v49
	ds_read_b128 v[4:7], v2 offset:688
	ds_read_b128 v[8:11], v2 offset:704
	ds_read_b64 v[12:13], v2 offset:720
	v_mov_b32_e32 v19, v17
	v_pk_mul_f32 v[16:17], v[34:35], v[16:17] op_sel_hi:[1,0]
	v_pk_add_f32 v[14:15], v[14:15], v[18:19]
	s_waitcnt vmcnt(4)
	v_pk_fma_f32 v[18:19], v[34:35], v[48:49], v[16:17] op_sel:[0,0,1] op_sel_hi:[1,1,0] neg_lo:[0,0,1] neg_hi:[0,0,1]
	v_pk_fma_f32 v[16:17], v[34:35], v[48:49], v[16:17] op_sel:[0,0,1] op_sel_hi:[1,0,0]
	v_mov_b32_e32 v16, v47
	v_mov_b32_e32 v19, v17
	s_waitcnt lgkmcnt(2)
	v_pk_mul_f32 v[16:17], v[4:5], v[16:17] op_sel_hi:[1,0]
	v_pk_add_f32 v[14:15], v[14:15], v[18:19]
	v_pk_fma_f32 v[18:19], v[4:5], v[46:47], v[16:17] op_sel:[0,0,1] op_sel_hi:[1,1,0] neg_lo:[0,0,1] neg_hi:[0,0,1]
	v_pk_fma_f32 v[4:5], v[4:5], v[46:47], v[16:17] op_sel:[0,0,1] op_sel_hi:[1,0,0]
	v_mov_b32_e32 v19, v5
	v_pk_add_f32 v[4:5], v[14:15], v[18:19]
	v_mov_b32_e32 v14, v45
	v_pk_mul_f32 v[14:15], v[6:7], v[14:15] op_sel_hi:[1,0]
	v_pk_fma_f32 v[16:17], v[6:7], v[44:45], v[14:15] op_sel:[0,0,1] op_sel_hi:[1,1,0] neg_lo:[0,0,1] neg_hi:[0,0,1]
	v_pk_fma_f32 v[6:7], v[6:7], v[44:45], v[14:15] op_sel:[0,0,1] op_sel_hi:[1,0,0]
	v_mov_b32_e32 v6, v43
	v_mov_b32_e32 v17, v7
	s_waitcnt lgkmcnt(1)
	v_pk_mul_f32 v[6:7], v[8:9], v[6:7] op_sel_hi:[1,0]
	v_pk_fma_f32 v[14:15], v[8:9], v[42:43], v[6:7] op_sel:[0,0,1] op_sel_hi:[1,1,0] neg_lo:[0,0,1] neg_hi:[0,0,1]
	v_pk_fma_f32 v[6:7], v[8:9], v[42:43], v[6:7] op_sel:[0,0,1] op_sel_hi:[1,0,0]
	s_waitcnt vmcnt(1)
	v_mov_b32_e32 v6, v53
	v_mov_b32_e32 v15, v7
	v_pk_mul_f32 v[6:7], v[10:11], v[6:7] op_sel_hi:[1,0]
	s_waitcnt vmcnt(0)
	v_pk_fma_f32 v[8:9], v[10:11], v[52:53], v[6:7] op_sel:[0,0,1] op_sel_hi:[1,1,0] neg_lo:[0,0,1] neg_hi:[0,0,1]
	v_pk_fma_f32 v[6:7], v[10:11], v[52:53], v[6:7] op_sel:[0,0,1] op_sel_hi:[1,0,0]
	v_pk_add_f32 v[4:5], v[4:5], v[16:17]
	v_mov_b32_e32 v6, v51
	v_pk_add_f32 v[4:5], v[4:5], v[14:15]
	v_mov_b32_e32 v9, v7
	s_waitcnt lgkmcnt(0)
	v_pk_mul_f32 v[6:7], v[12:13], v[6:7] op_sel_hi:[1,0]
	v_pk_add_f32 v[4:5], v[4:5], v[8:9]
	v_pk_fma_f32 v[8:9], v[12:13], v[50:51], v[6:7] op_sel:[0,0,1] op_sel_hi:[1,1,0] neg_lo:[0,0,1] neg_hi:[0,0,1]
	v_pk_fma_f32 v[6:7], v[12:13], v[50:51], v[6:7] op_sel:[0,0,1] op_sel_hi:[1,0,0]
	v_mov_b32_e32 v9, v7
	v_pk_add_f32 v[4:5], v[4:5], v[8:9]
	v_pk_add_f32 v[4:5], v[36:37], v[4:5] neg_lo:[0,1] neg_hi:[0,1]
	buffer_store_dword v5, off, s[0:3], 0 offset:188
	buffer_store_dword v4, off, s[0:3], 0 offset:184
	s_and_saveexec_b64 s[4:5], vcc
	s_cbranch_execz .LBB44_239
; %bb.238:
	buffer_load_dword v4, off, s[0:3], 0 offset:176
	buffer_load_dword v5, off, s[0:3], 0 offset:180
	s_waitcnt vmcnt(0)
	ds_write_b64 v1, v[4:5]
	buffer_store_dword v2, off, s[0:3], 0 offset:176
	buffer_store_dword v2, off, s[0:3], 0 offset:180
.LBB44_239:
	s_or_b64 exec, exec, s[4:5]
	s_waitcnt lgkmcnt(0)
	; wave barrier
	s_waitcnt lgkmcnt(0)
	buffer_load_dword v3, off, s[0:3], 0 offset:188
	buffer_load_dword v54, off, s[0:3], 0 offset:196
	;; [unrolled: 1-line block ×30, first 2 shown]
	ds_read2_b64 v[4:7], v2 offset0:69 offset1:70
	ds_read2_b64 v[8:11], v2 offset0:71 offset1:72
	;; [unrolled: 1-line block ×6, first 2 shown]
	buffer_load_dword v39, off, s[0:3], 0 offset:300
	buffer_load_dword v38, off, s[0:3], 0 offset:296
	ds_read2_b64 v[28:31], v2 offset0:81 offset1:82
	ds_read2_b64 v[32:35], v2 offset0:83 offset1:84
	buffer_load_dword v41, off, s[0:3], 0 offset:332
	buffer_load_dword v40, off, s[0:3], 0 offset:328
	;; [unrolled: 1-line block ×14, first 2 shown]
	v_cmp_lt_u32_e32 vcc, 21, v0
	s_waitcnt vmcnt(45) lgkmcnt(7)
	v_mul_f32_e32 v57, v4, v3
	v_mul_f32_e32 v3, v5, v3
	s_waitcnt vmcnt(44)
	v_mul_f32_e32 v59, v6, v54
	s_waitcnt vmcnt(43) lgkmcnt(6)
	v_mul_f32_e32 v174, v8, v56
	s_waitcnt vmcnt(42)
	v_mul_f32_e32 v175, v10, v58
	s_waitcnt vmcnt(41) lgkmcnt(5)
	;; [unrolled: 4-line block ×5, first 2 shown]
	v_mul_f32_e32 v182, v24, v156
	s_waitcnt vmcnt(34)
	v_mul_f32_e32 v183, v26, v157
	s_waitcnt vmcnt(32)
	v_fma_f32 v3, v4, v159, -v3
	v_mul_f32_e32 v4, v7, v54
	v_add_f32_e32 v3, 0, v3
	s_waitcnt vmcnt(31)
	v_fma_f32 v4, v6, v160, -v4
	v_add_f32_e32 v3, v3, v4
	v_mul_f32_e32 v4, v9, v56
	s_waitcnt vmcnt(30)
	v_fma_f32 v4, v8, v161, -v4
	v_add_f32_e32 v3, v3, v4
	v_mul_f32_e32 v4, v11, v58
	;; [unrolled: 4-line block ×5, first 2 shown]
	v_fmac_f32_e32 v57, v5, v159
	s_waitcnt vmcnt(26)
	v_fma_f32 v4, v16, v165, -v4
	v_fmac_f32_e32 v59, v7, v160
	v_add_f32_e32 v57, 0, v57
	v_add_f32_e32 v3, v3, v4
	v_mul_f32_e32 v4, v19, v63
	v_fmac_f32_e32 v174, v9, v161
	v_add_f32_e32 v57, v57, v59
	s_waitcnt vmcnt(25)
	v_fma_f32 v4, v18, v166, -v4
	v_fmac_f32_e32 v175, v11, v162
	v_add_f32_e32 v57, v57, v174
	v_add_f32_e32 v3, v3, v4
	v_mul_f32_e32 v4, v21, v64
	v_fmac_f32_e32 v176, v13, v163
	v_add_f32_e32 v57, v57, v175
	;; [unrolled: 8-line block ×5, first 2 shown]
	s_waitcnt vmcnt(21)
	v_fma_f32 v4, v26, v170, -v4
	s_waitcnt vmcnt(15)
	v_mov_b32_e32 v16, v39
	s_waitcnt lgkmcnt(1)
	v_mul_f32_e32 v55, v28, v158
	v_fmac_f32_e32 v183, v27, v170
	v_add_f32_e32 v57, v57, v182
	v_add_f32_e32 v56, v3, v4
	v_mul_f32_e32 v3, v29, v158
	s_waitcnt lgkmcnt(0)
	v_pk_mul_f32 v[16:17], v[32:33], v[16:17] op_sel_hi:[1,0]
	v_fmac_f32_e32 v55, v29, v171
	v_add_f32_e32 v57, v57, v183
	v_mul_f32_e32 v59, v30, v172
	v_fma_f32 v54, v28, v171, -v3
	v_mul_f32_e32 v3, v31, v172
	s_waitcnt vmcnt(14)
	v_pk_fma_f32 v[18:19], v[32:33], v[38:39], v[16:17] op_sel:[0,0,1] op_sel_hi:[1,1,0] neg_lo:[0,0,1] neg_hi:[0,0,1]
	v_pk_fma_f32 v[16:17], v[32:33], v[38:39], v[16:17] op_sel:[0,0,1] op_sel_hi:[1,0,0]
	v_fmac_f32_e32 v59, v31, v173
	v_fma_f32 v58, v30, v173, -v3
	ds_read2_b64 v[4:7], v2 offset0:85 offset1:86
	ds_read2_b64 v[8:11], v2 offset0:87 offset1:88
	;; [unrolled: 1-line block ×3, first 2 shown]
	v_pk_add_f32 v[2:3], v[56:57], v[54:55]
	s_waitcnt vmcnt(7)
	v_mov_b32_e32 v16, v47
	v_pk_add_f32 v[2:3], v[2:3], v[58:59]
	v_mov_b32_e32 v19, v17
	v_pk_mul_f32 v[16:17], v[34:35], v[16:17] op_sel_hi:[1,0]
	v_pk_add_f32 v[2:3], v[2:3], v[18:19]
	s_waitcnt vmcnt(6)
	v_pk_fma_f32 v[18:19], v[34:35], v[46:47], v[16:17] op_sel:[0,0,1] op_sel_hi:[1,1,0] neg_lo:[0,0,1] neg_hi:[0,0,1]
	v_pk_fma_f32 v[16:17], v[34:35], v[46:47], v[16:17] op_sel:[0,0,1] op_sel_hi:[1,0,0]
	v_mov_b32_e32 v16, v45
	v_mov_b32_e32 v19, v17
	s_waitcnt lgkmcnt(2)
	v_pk_mul_f32 v[16:17], v[4:5], v[16:17] op_sel_hi:[1,0]
	v_pk_add_f32 v[2:3], v[2:3], v[18:19]
	v_pk_fma_f32 v[18:19], v[4:5], v[44:45], v[16:17] op_sel:[0,0,1] op_sel_hi:[1,1,0] neg_lo:[0,0,1] neg_hi:[0,0,1]
	v_pk_fma_f32 v[4:5], v[4:5], v[44:45], v[16:17] op_sel:[0,0,1] op_sel_hi:[1,0,0]
	v_mov_b32_e32 v4, v43
	v_mov_b32_e32 v19, v5
	v_pk_mul_f32 v[4:5], v[6:7], v[4:5] op_sel_hi:[1,0]
	v_pk_fma_f32 v[16:17], v[6:7], v[42:43], v[4:5] op_sel:[0,0,1] op_sel_hi:[1,1,0] neg_lo:[0,0,1] neg_hi:[0,0,1]
	v_pk_fma_f32 v[4:5], v[6:7], v[42:43], v[4:5] op_sel:[0,0,1] op_sel_hi:[1,0,0]
	v_mov_b32_e32 v4, v41
	v_mov_b32_e32 v17, v5
	s_waitcnt lgkmcnt(1)
	v_pk_mul_f32 v[4:5], v[8:9], v[4:5] op_sel_hi:[1,0]
	v_pk_fma_f32 v[6:7], v[8:9], v[40:41], v[4:5] op_sel:[0,0,1] op_sel_hi:[1,1,0] neg_lo:[0,0,1] neg_hi:[0,0,1]
	v_pk_fma_f32 v[4:5], v[8:9], v[40:41], v[4:5] op_sel:[0,0,1] op_sel_hi:[1,0,0]
	v_pk_add_f32 v[2:3], v[2:3], v[18:19]
	s_waitcnt vmcnt(1)
	v_mov_b32_e32 v4, v53
	v_pk_add_f32 v[2:3], v[2:3], v[16:17]
	v_mov_b32_e32 v7, v5
	v_pk_mul_f32 v[4:5], v[10:11], v[4:5] op_sel_hi:[1,0]
	v_pk_add_f32 v[2:3], v[2:3], v[6:7]
	s_waitcnt vmcnt(0)
	v_pk_fma_f32 v[6:7], v[10:11], v[52:53], v[4:5] op_sel:[0,0,1] op_sel_hi:[1,1,0] neg_lo:[0,0,1] neg_hi:[0,0,1]
	v_pk_fma_f32 v[4:5], v[10:11], v[52:53], v[4:5] op_sel:[0,0,1] op_sel_hi:[1,0,0]
	v_mov_b32_e32 v4, v51
	v_mov_b32_e32 v7, v5
	s_waitcnt lgkmcnt(0)
	v_pk_mul_f32 v[4:5], v[12:13], v[4:5] op_sel_hi:[1,0]
	v_pk_add_f32 v[2:3], v[2:3], v[6:7]
	v_pk_fma_f32 v[6:7], v[12:13], v[50:51], v[4:5] op_sel:[0,0,1] op_sel_hi:[1,1,0] neg_lo:[0,0,1] neg_hi:[0,0,1]
	v_pk_fma_f32 v[4:5], v[12:13], v[50:51], v[4:5] op_sel:[0,0,1] op_sel_hi:[1,0,0]
	v_mov_b32_e32 v4, v49
	v_mov_b32_e32 v7, v5
	v_pk_mul_f32 v[4:5], v[14:15], v[4:5] op_sel_hi:[1,0]
	v_pk_add_f32 v[2:3], v[2:3], v[6:7]
	v_pk_fma_f32 v[6:7], v[14:15], v[48:49], v[4:5] op_sel:[0,0,1] op_sel_hi:[1,1,0] neg_lo:[0,0,1] neg_hi:[0,0,1]
	v_pk_fma_f32 v[4:5], v[14:15], v[48:49], v[4:5] op_sel:[0,0,1] op_sel_hi:[1,0,0]
	v_mov_b32_e32 v7, v5
	v_pk_add_f32 v[2:3], v[2:3], v[6:7]
	v_pk_add_f32 v[2:3], v[36:37], v[2:3] neg_lo:[0,1] neg_hi:[0,1]
	buffer_store_dword v3, off, s[0:3], 0 offset:180
	buffer_store_dword v2, off, s[0:3], 0 offset:176
	s_and_saveexec_b64 s[4:5], vcc
	s_cbranch_execz .LBB44_241
; %bb.240:
	buffer_load_dword v2, off, s[0:3], 0 offset:168
	buffer_load_dword v3, off, s[0:3], 0 offset:172
	v_mov_b32_e32 v4, 0
	buffer_store_dword v4, off, s[0:3], 0 offset:168
	buffer_store_dword v4, off, s[0:3], 0 offset:172
	s_waitcnt vmcnt(2)
	ds_write_b64 v1, v[2:3]
.LBB44_241:
	s_or_b64 exec, exec, s[4:5]
	s_waitcnt lgkmcnt(0)
	; wave barrier
	s_waitcnt lgkmcnt(0)
	buffer_load_dword v3, off, s[0:3], 0 offset:180
	buffer_load_dword v52, off, s[0:3], 0 offset:188
	;; [unrolled: 1-line block ×32, first 2 shown]
	v_mov_b32_e32 v2, 0
	buffer_load_dword v39, off, s[0:3], 0 offset:324
	buffer_load_dword v38, off, s[0:3], 0 offset:320
	;; [unrolled: 1-line block ×13, first 2 shown]
	ds_read_b128 v[4:7], v2 offset:544
	ds_read_b128 v[8:11], v2 offset:560
	;; [unrolled: 1-line block ×8, first 2 shown]
	v_cmp_lt_u32_e32 vcc, 20, v0
	s_waitcnt vmcnt(44) lgkmcnt(7)
	v_mul_f32_e32 v46, v4, v3
	s_waitcnt vmcnt(43)
	v_mul_f32_e32 v53, v6, v52
	s_waitcnt vmcnt(42) lgkmcnt(6)
	v_mul_f32_e32 v54, v8, v56
	s_waitcnt vmcnt(41)
	v_mul_f32_e32 v55, v10, v58
	;; [unrolled: 4-line block ×6, first 2 shown]
	s_waitcnt vmcnt(32) lgkmcnt(1)
	v_mul_f32_e32 v182, v28, v158
	s_waitcnt vmcnt(31)
	v_fmac_f32_e32 v46, v5, v159
	s_waitcnt vmcnt(30)
	v_fmac_f32_e32 v53, v7, v160
	v_add_f32_e32 v46, 0, v46
	s_waitcnt vmcnt(29)
	v_fmac_f32_e32 v54, v9, v161
	v_add_f32_e32 v46, v46, v53
	;; [unrolled: 3-line block ×12, first 2 shown]
	v_add_f32_e32 v53, v46, v182
	buffer_load_dword v55, off, s[0:3], 0 offset:340
	buffer_load_dword v54, off, s[0:3], 0 offset:336
	buffer_load_dword v46, off, s[0:3], 0 offset:328
	v_mul_f32_e32 v3, v5, v3
	v_fma_f32 v3, v4, v159, -v3
	v_mul_f32_e32 v4, v7, v52
	v_add_f32_e32 v3, 0, v3
	v_fma_f32 v4, v6, v160, -v4
	v_add_f32_e32 v3, v3, v4
	v_mul_f32_e32 v4, v9, v56
	v_fma_f32 v4, v8, v161, -v4
	v_add_f32_e32 v3, v3, v4
	v_mul_f32_e32 v4, v11, v58
	;; [unrolled: 3-line block ×11, first 2 shown]
	v_fma_f32 v4, v28, v171, -v4
	s_waitcnt vmcnt(9)
	v_mov_b32_e32 v20, v45
	v_mul_f32_e32 v57, v30, v172
	v_add_f32_e32 v52, v3, v4
	v_mul_f32_e32 v3, v31, v172
	s_waitcnt lgkmcnt(0)
	v_pk_mul_f32 v[20:21], v[34:35], v[20:21] op_sel_hi:[1,0]
	v_fmac_f32_e32 v57, v31, v173
	v_mul_f32_e32 v59, v32, v174
	v_fma_f32 v56, v30, v173, -v3
	v_mul_f32_e32 v3, v33, v174
	ds_read_b128 v[4:7], v2 offset:672
	ds_read_b128 v[8:11], v2 offset:688
	;; [unrolled: 1-line block ×3, first 2 shown]
	ds_read_b64 v[16:17], v2 offset:720
	s_waitcnt vmcnt(8)
	v_pk_fma_f32 v[22:23], v[34:35], v[44:45], v[20:21] op_sel:[0,0,1] op_sel_hi:[1,1,0] neg_lo:[0,0,1] neg_hi:[0,0,1]
	v_pk_fma_f32 v[20:21], v[34:35], v[44:45], v[20:21] op_sel:[0,0,1] op_sel_hi:[1,0,0]
	v_fmac_f32_e32 v59, v33, v175
	v_fma_f32 v58, v32, v175, -v3
	v_pk_add_f32 v[18:19], v[52:53], v[56:57]
	v_mov_b32_e32 v20, v43
	v_pk_add_f32 v[18:19], v[18:19], v[58:59]
	v_mov_b32_e32 v23, v21
	s_waitcnt lgkmcnt(3)
	v_pk_mul_f32 v[20:21], v[4:5], v[20:21] op_sel_hi:[1,0]
	v_pk_add_f32 v[18:19], v[18:19], v[22:23]
	v_pk_fma_f32 v[22:23], v[4:5], v[42:43], v[20:21] op_sel:[0,0,1] op_sel_hi:[1,1,0] neg_lo:[0,0,1] neg_hi:[0,0,1]
	v_pk_fma_f32 v[4:5], v[4:5], v[42:43], v[20:21] op_sel:[0,0,1] op_sel_hi:[1,0,0]
	v_mov_b32_e32 v23, v5
	v_pk_add_f32 v[4:5], v[18:19], v[22:23]
	v_mov_b32_e32 v18, v41
	v_pk_mul_f32 v[18:19], v[6:7], v[18:19] op_sel_hi:[1,0]
	v_pk_fma_f32 v[20:21], v[6:7], v[40:41], v[18:19] op_sel:[0,0,1] op_sel_hi:[1,1,0] neg_lo:[0,0,1] neg_hi:[0,0,1]
	v_pk_fma_f32 v[6:7], v[6:7], v[40:41], v[18:19] op_sel:[0,0,1] op_sel_hi:[1,0,0]
	v_mov_b32_e32 v6, v39
	v_mov_b32_e32 v21, v7
	s_waitcnt lgkmcnt(2)
	v_pk_mul_f32 v[6:7], v[8:9], v[6:7] op_sel_hi:[1,0]
	v_pk_fma_f32 v[18:19], v[8:9], v[38:39], v[6:7] op_sel:[0,0,1] op_sel_hi:[1,1,0] neg_lo:[0,0,1] neg_hi:[0,0,1]
	v_pk_fma_f32 v[6:7], v[8:9], v[38:39], v[6:7] op_sel:[0,0,1] op_sel_hi:[1,0,0]
	s_waitcnt vmcnt(7)
	v_mov_b32_e32 v6, v47
	v_mov_b32_e32 v19, v7
	v_pk_mul_f32 v[6:7], v[10:11], v[6:7] op_sel_hi:[1,0]
	v_pk_add_f32 v[4:5], v[4:5], v[20:21]
	v_pk_add_f32 v[4:5], v[4:5], v[18:19]
	s_waitcnt vmcnt(0)
	v_pk_fma_f32 v[8:9], v[10:11], v[46:47], v[6:7] op_sel:[0,0,1] op_sel_hi:[1,1,0] neg_lo:[0,0,1] neg_hi:[0,0,1]
	v_pk_fma_f32 v[6:7], v[10:11], v[46:47], v[6:7] op_sel:[0,0,1] op_sel_hi:[1,0,0]
	v_mov_b32_e32 v6, v55
	v_mov_b32_e32 v9, v7
	s_waitcnt lgkmcnt(1)
	v_pk_mul_f32 v[6:7], v[12:13], v[6:7] op_sel_hi:[1,0]
	v_pk_add_f32 v[4:5], v[4:5], v[8:9]
	v_pk_fma_f32 v[8:9], v[12:13], v[54:55], v[6:7] op_sel:[0,0,1] op_sel_hi:[1,1,0] neg_lo:[0,0,1] neg_hi:[0,0,1]
	v_pk_fma_f32 v[6:7], v[12:13], v[54:55], v[6:7] op_sel:[0,0,1] op_sel_hi:[1,0,0]
	v_mov_b32_e32 v6, v51
	v_mov_b32_e32 v9, v7
	v_pk_mul_f32 v[6:7], v[14:15], v[6:7] op_sel_hi:[1,0]
	v_pk_add_f32 v[4:5], v[4:5], v[8:9]
	v_pk_fma_f32 v[8:9], v[14:15], v[50:51], v[6:7] op_sel:[0,0,1] op_sel_hi:[1,1,0] neg_lo:[0,0,1] neg_hi:[0,0,1]
	v_pk_fma_f32 v[6:7], v[14:15], v[50:51], v[6:7] op_sel:[0,0,1] op_sel_hi:[1,0,0]
	v_mov_b32_e32 v6, v49
	v_mov_b32_e32 v9, v7
	s_waitcnt lgkmcnt(0)
	v_pk_mul_f32 v[6:7], v[16:17], v[6:7] op_sel_hi:[1,0]
	v_pk_add_f32 v[4:5], v[4:5], v[8:9]
	v_pk_fma_f32 v[8:9], v[16:17], v[48:49], v[6:7] op_sel:[0,0,1] op_sel_hi:[1,1,0] neg_lo:[0,0,1] neg_hi:[0,0,1]
	v_pk_fma_f32 v[6:7], v[16:17], v[48:49], v[6:7] op_sel:[0,0,1] op_sel_hi:[1,0,0]
	v_mov_b32_e32 v9, v7
	v_pk_add_f32 v[4:5], v[4:5], v[8:9]
	v_pk_add_f32 v[4:5], v[36:37], v[4:5] neg_lo:[0,1] neg_hi:[0,1]
	buffer_store_dword v5, off, s[0:3], 0 offset:172
	buffer_store_dword v4, off, s[0:3], 0 offset:168
	s_and_saveexec_b64 s[4:5], vcc
	s_cbranch_execz .LBB44_243
; %bb.242:
	buffer_load_dword v4, off, s[0:3], 0 offset:160
	buffer_load_dword v5, off, s[0:3], 0 offset:164
	s_waitcnt vmcnt(0)
	ds_write_b64 v1, v[4:5]
	buffer_store_dword v2, off, s[0:3], 0 offset:160
	buffer_store_dword v2, off, s[0:3], 0 offset:164
.LBB44_243:
	s_or_b64 exec, exec, s[4:5]
	s_waitcnt lgkmcnt(0)
	; wave barrier
	s_waitcnt lgkmcnt(0)
	buffer_load_dword v3, off, s[0:3], 0 offset:172
	buffer_load_dword v52, off, s[0:3], 0 offset:180
	;; [unrolled: 1-line block ×34, first 2 shown]
	ds_read2_b64 v[4:7], v2 offset0:67 offset1:68
	ds_read2_b64 v[8:11], v2 offset0:69 offset1:70
	;; [unrolled: 1-line block ×8, first 2 shown]
	buffer_load_dword v39, off, s[0:3], 0 offset:316
	buffer_load_dword v38, off, s[0:3], 0 offset:312
	;; [unrolled: 1-line block ×9, first 2 shown]
	v_cmp_lt_u32_e32 vcc, 19, v0
	s_waitcnt vmcnt(42) lgkmcnt(7)
	v_mul_f32_e32 v44, v4, v3
	s_waitcnt vmcnt(41)
	v_mul_f32_e32 v48, v6, v52
	s_waitcnt vmcnt(40) lgkmcnt(6)
	v_mul_f32_e32 v49, v8, v54
	s_waitcnt vmcnt(39)
	v_mul_f32_e32 v50, v10, v56
	;; [unrolled: 4-line block ×6, first 2 shown]
	s_waitcnt vmcnt(30) lgkmcnt(1)
	v_mul_f32_e32 v180, v28, v158
	v_mul_f32_e32 v3, v5, v3
	s_waitcnt vmcnt(28)
	v_fmac_f32_e32 v44, v5, v160
	s_waitcnt vmcnt(27)
	v_fmac_f32_e32 v48, v7, v161
	v_add_f32_e32 v44, 0, v44
	s_waitcnt vmcnt(26)
	v_fmac_f32_e32 v49, v9, v162
	v_add_f32_e32 v44, v44, v48
	;; [unrolled: 3-line block ×12, first 2 shown]
	v_add_f32_e32 v53, v44, v180
	buffer_load_dword v49, off, s[0:3], 0 offset:340
	buffer_load_dword v48, off, s[0:3], 0 offset:336
	;; [unrolled: 1-line block ×7, first 2 shown]
	v_fma_f32 v3, v4, v160, -v3
	v_mul_f32_e32 v4, v7, v52
	v_add_f32_e32 v3, 0, v3
	v_fma_f32 v4, v6, v161, -v4
	v_add_f32_e32 v3, v3, v4
	v_mul_f32_e32 v4, v9, v54
	v_fma_f32 v4, v8, v162, -v4
	v_add_f32_e32 v3, v3, v4
	v_mul_f32_e32 v4, v11, v56
	;; [unrolled: 3-line block ×12, first 2 shown]
	s_waitcnt vmcnt(22)
	v_fma_f32 v4, v30, v173, -v4
	v_add_f32_e32 v52, v3, v4
	ds_read2_b64 v[4:7], v2 offset0:83 offset1:84
	ds_read2_b64 v[8:11], v2 offset0:85 offset1:86
	ds_read2_b64 v[12:15], v2 offset0:87 offset1:88
	ds_read2_b64 v[16:19], v2 offset0:89 offset1:90
	s_waitcnt vmcnt(11)
	v_mov_b32_e32 v20, v43
	s_waitcnt lgkmcnt(3)
	v_pk_mul_f32 v[20:21], v[4:5], v[20:21] op_sel_hi:[1,0]
	s_waitcnt vmcnt(10)
	v_pk_fma_f32 v[22:23], v[4:5], v[42:43], v[20:21] op_sel:[0,0,1] op_sel_hi:[1,1,0] neg_lo:[0,0,1] neg_hi:[0,0,1]
	v_pk_fma_f32 v[4:5], v[4:5], v[42:43], v[20:21] op_sel:[0,0,1] op_sel_hi:[1,0,0]
	v_mov_b32_e32 v4, v41
	v_mul_f32_e32 v181, v30, v159
	v_mov_b32_e32 v23, v5
	v_pk_mul_f32 v[4:5], v[6:7], v[4:5] op_sel_hi:[1,0]
	v_fmac_f32_e32 v181, v31, v173
	v_mul_f32_e32 v55, v32, v174
	v_mul_f32_e32 v3, v33, v174
	v_pk_fma_f32 v[20:21], v[6:7], v[40:41], v[4:5] op_sel:[0,0,1] op_sel_hi:[1,1,0] neg_lo:[0,0,1] neg_hi:[0,0,1]
	v_pk_fma_f32 v[4:5], v[6:7], v[40:41], v[4:5] op_sel:[0,0,1] op_sel_hi:[1,0,0]
	v_add_f32_e32 v53, v53, v181
	v_fmac_f32_e32 v55, v33, v175
	v_mul_f32_e32 v57, v34, v176
	v_fma_f32 v54, v32, v175, -v3
	v_mul_f32_e32 v3, v35, v176
	v_mov_b32_e32 v4, v39
	v_fmac_f32_e32 v57, v35, v177
	v_fma_f32 v56, v34, v177, -v3
	v_pk_add_f32 v[2:3], v[52:53], v[54:55]
	v_mov_b32_e32 v21, v5
	s_waitcnt lgkmcnt(2)
	v_pk_mul_f32 v[4:5], v[8:9], v[4:5] op_sel_hi:[1,0]
	v_pk_add_f32 v[2:3], v[2:3], v[56:57]
	v_pk_fma_f32 v[6:7], v[8:9], v[38:39], v[4:5] op_sel:[0,0,1] op_sel_hi:[1,1,0] neg_lo:[0,0,1] neg_hi:[0,0,1]
	v_pk_fma_f32 v[4:5], v[8:9], v[38:39], v[4:5] op_sel:[0,0,1] op_sel_hi:[1,0,0]
	v_pk_add_f32 v[2:3], v[2:3], v[22:23]
	s_waitcnt vmcnt(9)
	v_mov_b32_e32 v4, v45
	v_pk_add_f32 v[2:3], v[2:3], v[20:21]
	v_mov_b32_e32 v7, v5
	v_pk_mul_f32 v[4:5], v[10:11], v[4:5] op_sel_hi:[1,0]
	v_pk_add_f32 v[2:3], v[2:3], v[6:7]
	s_waitcnt vmcnt(2)
	v_pk_fma_f32 v[6:7], v[10:11], v[44:45], v[4:5] op_sel:[0,0,1] op_sel_hi:[1,1,0] neg_lo:[0,0,1] neg_hi:[0,0,1]
	v_pk_fma_f32 v[4:5], v[10:11], v[44:45], v[4:5] op_sel:[0,0,1] op_sel_hi:[1,0,0]
	v_mov_b32_e32 v4, v51
	v_mov_b32_e32 v7, v5
	s_waitcnt lgkmcnt(1)
	v_pk_mul_f32 v[4:5], v[12:13], v[4:5] op_sel_hi:[1,0]
	v_pk_add_f32 v[2:3], v[2:3], v[6:7]
	v_pk_fma_f32 v[6:7], v[12:13], v[50:51], v[4:5] op_sel:[0,0,1] op_sel_hi:[1,1,0] neg_lo:[0,0,1] neg_hi:[0,0,1]
	v_pk_fma_f32 v[4:5], v[12:13], v[50:51], v[4:5] op_sel:[0,0,1] op_sel_hi:[1,0,0]
	v_mov_b32_e32 v4, v49
	v_mov_b32_e32 v7, v5
	v_pk_mul_f32 v[4:5], v[14:15], v[4:5] op_sel_hi:[1,0]
	v_pk_add_f32 v[2:3], v[2:3], v[6:7]
	v_pk_fma_f32 v[6:7], v[14:15], v[48:49], v[4:5] op_sel:[0,0,1] op_sel_hi:[1,1,0] neg_lo:[0,0,1] neg_hi:[0,0,1]
	v_pk_fma_f32 v[4:5], v[14:15], v[48:49], v[4:5] op_sel:[0,0,1] op_sel_hi:[1,0,0]
	v_mov_b32_e32 v4, v47
	v_mov_b32_e32 v7, v5
	s_waitcnt lgkmcnt(0)
	v_pk_mul_f32 v[4:5], v[16:17], v[4:5] op_sel_hi:[1,0]
	v_pk_add_f32 v[2:3], v[2:3], v[6:7]
	v_pk_fma_f32 v[6:7], v[16:17], v[46:47], v[4:5] op_sel:[0,0,1] op_sel_hi:[1,1,0] neg_lo:[0,0,1] neg_hi:[0,0,1]
	v_pk_fma_f32 v[4:5], v[16:17], v[46:47], v[4:5] op_sel:[0,0,1] op_sel_hi:[1,0,0]
	s_waitcnt vmcnt(1)
	v_mov_b32_e32 v4, v59
	v_mov_b32_e32 v7, v5
	v_pk_mul_f32 v[4:5], v[18:19], v[4:5] op_sel_hi:[1,0]
	v_pk_add_f32 v[2:3], v[2:3], v[6:7]
	s_waitcnt vmcnt(0)
	v_pk_fma_f32 v[6:7], v[18:19], v[58:59], v[4:5] op_sel:[0,0,1] op_sel_hi:[1,1,0] neg_lo:[0,0,1] neg_hi:[0,0,1]
	v_pk_fma_f32 v[4:5], v[18:19], v[58:59], v[4:5] op_sel:[0,0,1] op_sel_hi:[1,0,0]
	v_mov_b32_e32 v7, v5
	v_pk_add_f32 v[2:3], v[2:3], v[6:7]
	v_pk_add_f32 v[2:3], v[36:37], v[2:3] neg_lo:[0,1] neg_hi:[0,1]
	buffer_store_dword v3, off, s[0:3], 0 offset:164
	buffer_store_dword v2, off, s[0:3], 0 offset:160
	s_and_saveexec_b64 s[4:5], vcc
	s_cbranch_execz .LBB44_245
; %bb.244:
	buffer_load_dword v2, off, s[0:3], 0 offset:152
	buffer_load_dword v3, off, s[0:3], 0 offset:156
	v_mov_b32_e32 v4, 0
	buffer_store_dword v4, off, s[0:3], 0 offset:152
	buffer_store_dword v4, off, s[0:3], 0 offset:156
	s_waitcnt vmcnt(2)
	ds_write_b64 v1, v[2:3]
.LBB44_245:
	s_or_b64 exec, exec, s[4:5]
	s_waitcnt lgkmcnt(0)
	; wave barrier
	s_waitcnt lgkmcnt(0)
	buffer_load_dword v5, off, s[0:3], 0 offset:164
	buffer_load_dword v58, off, s[0:3], 0 offset:172
	buffer_load_dword v60, off, s[0:3], 0 offset:180
	buffer_load_dword v62, off, s[0:3], 0 offset:188
	buffer_load_dword v158, off, s[0:3], 0 offset:196
	buffer_load_dword v159, off, s[0:3], 0 offset:204
	buffer_load_dword v160, off, s[0:3], 0 offset:212
	buffer_load_dword v161, off, s[0:3], 0 offset:220
	buffer_load_dword v162, off, s[0:3], 0 offset:228
	buffer_load_dword v163, off, s[0:3], 0 offset:236
	buffer_load_dword v164, off, s[0:3], 0 offset:244
	buffer_load_dword v165, off, s[0:3], 0 offset:252
	buffer_load_dword v166, off, s[0:3], 0 offset:260
	buffer_load_dword v167, off, s[0:3], 0 offset:268
	buffer_load_dword v168, off, s[0:3], 0 offset:276
	buffer_load_dword v169, off, s[0:3], 0 offset:160
	buffer_load_dword v170, off, s[0:3], 0 offset:168
	buffer_load_dword v171, off, s[0:3], 0 offset:176
	buffer_load_dword v172, off, s[0:3], 0 offset:184
	buffer_load_dword v173, off, s[0:3], 0 offset:192
	buffer_load_dword v174, off, s[0:3], 0 offset:200
	buffer_load_dword v175, off, s[0:3], 0 offset:208
	buffer_load_dword v176, off, s[0:3], 0 offset:216
	buffer_load_dword v177, off, s[0:3], 0 offset:224
	buffer_load_dword v178, off, s[0:3], 0 offset:232
	buffer_load_dword v179, off, s[0:3], 0 offset:240
	buffer_load_dword v180, off, s[0:3], 0 offset:248
	buffer_load_dword v181, off, s[0:3], 0 offset:256
	buffer_load_dword v182, off, s[0:3], 0 offset:264
	buffer_load_dword v183, off, s[0:3], 0 offset:272
	buffer_load_dword v184, off, s[0:3], 0 offset:284
	buffer_load_dword v185, off, s[0:3], 0 offset:280
	buffer_load_dword v186, off, s[0:3], 0 offset:292
	buffer_load_dword v187, off, s[0:3], 0 offset:288
	buffer_load_dword v2, off, s[0:3], 0 offset:152
	buffer_load_dword v3, off, s[0:3], 0 offset:156
	v_mov_b32_e32 v4, 0
	buffer_load_dword v47, off, s[0:3], 0 offset:308
	buffer_load_dword v46, off, s[0:3], 0 offset:304
	;; [unrolled: 1-line block ×5, first 2 shown]
	ds_read_b128 v[6:9], v4 offset:528
	ds_read_b128 v[10:13], v4 offset:544
	ds_read_b128 v[14:17], v4 offset:560
	ds_read_b128 v[18:21], v4 offset:576
	ds_read_b128 v[22:25], v4 offset:592
	ds_read_b128 v[26:29], v4 offset:608
	ds_read_b128 v[30:33], v4 offset:624
	ds_read_b128 v[34:37], v4 offset:640
	v_cmp_lt_u32_e32 vcc, 18, v0
	s_waitcnt vmcnt(40) lgkmcnt(7)
	v_mul_f32_e32 v38, v6, v5
	s_waitcnt vmcnt(39)
	v_mul_f32_e32 v39, v8, v58
	s_waitcnt vmcnt(38) lgkmcnt(6)
	v_mul_f32_e32 v40, v10, v60
	s_waitcnt vmcnt(37)
	v_mul_f32_e32 v41, v12, v62
	;; [unrolled: 4-line block ×7, first 2 shown]
	s_waitcnt vmcnt(26) lgkmcnt(0)
	v_mul_f32_e32 v59, v34, v168
	s_waitcnt vmcnt(25)
	v_fmac_f32_e32 v38, v7, v169
	s_waitcnt vmcnt(24)
	v_fmac_f32_e32 v39, v9, v170
	v_add_f32_e32 v38, 0, v38
	s_waitcnt vmcnt(23)
	v_fmac_f32_e32 v40, v11, v171
	v_add_f32_e32 v38, v38, v39
	s_waitcnt vmcnt(22)
	v_fmac_f32_e32 v41, v13, v172
	v_add_f32_e32 v38, v38, v40
	s_waitcnt vmcnt(21)
	v_fmac_f32_e32 v42, v15, v173
	v_add_f32_e32 v38, v38, v41
	s_waitcnt vmcnt(20)
	v_fmac_f32_e32 v43, v17, v174
	v_add_f32_e32 v38, v38, v42
	s_waitcnt vmcnt(19)
	v_fmac_f32_e32 v44, v19, v175
	v_add_f32_e32 v38, v38, v43
	s_waitcnt vmcnt(18)
	v_fmac_f32_e32 v45, v21, v176
	v_add_f32_e32 v38, v38, v44
	s_waitcnt vmcnt(17)
	v_fmac_f32_e32 v50, v23, v177
	v_add_f32_e32 v38, v38, v45
	s_waitcnt vmcnt(16)
	v_fmac_f32_e32 v52, v25, v178
	v_add_f32_e32 v38, v38, v50
	s_waitcnt vmcnt(15)
	v_fmac_f32_e32 v53, v27, v179
	v_add_f32_e32 v38, v38, v52
	s_waitcnt vmcnt(14)
	v_fmac_f32_e32 v54, v29, v180
	v_add_f32_e32 v38, v38, v53
	s_waitcnt vmcnt(13)
	v_fmac_f32_e32 v55, v31, v181
	v_add_f32_e32 v38, v38, v54
	s_waitcnt vmcnt(12)
	v_fmac_f32_e32 v56, v33, v182
	v_add_f32_e32 v38, v38, v55
	v_add_f32_e32 v42, v38, v56
	buffer_load_dword v53, off, s[0:3], 0 offset:340
	buffer_load_dword v52, off, s[0:3], 0 offset:336
	;; [unrolled: 1-line block ×7, first 2 shown]
	s_waitcnt vmcnt(18)
	v_fmac_f32_e32 v59, v35, v183
	ds_read_b128 v[38:41], v4 offset:656
	v_add_f32_e32 v59, v42, v59
	ds_read_b128 v[42:45], v4 offset:672
	buffer_load_dword v65, off, s[0:3], 0 offset:356
	buffer_load_dword v64, off, s[0:3], 0 offset:352
	;; [unrolled: 1-line block ×4, first 2 shown]
	v_mul_f32_e32 v5, v7, v5
	v_fma_f32 v5, v6, v169, -v5
	v_mul_f32_e32 v6, v9, v58
	v_add_f32_e32 v5, 0, v5
	v_fma_f32 v6, v8, v170, -v6
	v_add_f32_e32 v5, v5, v6
	v_mul_f32_e32 v6, v11, v60
	v_fma_f32 v6, v10, v171, -v6
	v_add_f32_e32 v5, v5, v6
	v_mul_f32_e32 v6, v13, v62
	;; [unrolled: 3-line block ×13, first 2 shown]
	v_fma_f32 v6, v34, v183, -v6
	s_waitcnt vmcnt(13)
	v_mov_b32_e32 v18, v49
	v_mul_f32_e32 v61, v36, v184
	v_add_f32_e32 v58, v5, v6
	v_mul_f32_e32 v5, v37, v184
	s_waitcnt lgkmcnt(1)
	v_pk_mul_f32 v[18:19], v[40:41], v[18:19] op_sel_hi:[1,0]
	v_fmac_f32_e32 v61, v37, v185
	v_mul_f32_e32 v63, v38, v186
	v_fma_f32 v60, v36, v185, -v5
	v_mul_f32_e32 v5, v39, v186
	s_waitcnt vmcnt(12)
	v_pk_fma_f32 v[20:21], v[40:41], v[48:49], v[18:19] op_sel:[0,0,1] op_sel_hi:[1,1,0] neg_lo:[0,0,1] neg_hi:[0,0,1]
	v_pk_fma_f32 v[18:19], v[40:41], v[48:49], v[18:19] op_sel:[0,0,1] op_sel_hi:[1,0,0]
	v_fmac_f32_e32 v63, v39, v187
	v_fma_f32 v62, v38, v187, -v5
	v_pk_add_f32 v[16:17], v[58:59], v[60:61]
	v_mov_b32_e32 v18, v47
	v_pk_add_f32 v[16:17], v[16:17], v[62:63]
	v_mov_b32_e32 v21, v19
	s_waitcnt lgkmcnt(0)
	v_pk_mul_f32 v[18:19], v[42:43], v[18:19] op_sel_hi:[1,0]
	v_pk_add_f32 v[16:17], v[16:17], v[20:21]
	v_pk_fma_f32 v[20:21], v[42:43], v[46:47], v[18:19] op_sel:[0,0,1] op_sel_hi:[1,1,0] neg_lo:[0,0,1] neg_hi:[0,0,1]
	v_pk_fma_f32 v[18:19], v[42:43], v[46:47], v[18:19] op_sel:[0,0,1] op_sel_hi:[1,0,0]
	s_waitcnt vmcnt(11)
	v_mov_b32_e32 v18, v51
	ds_read_b128 v[6:9], v4 offset:688
	ds_read_b128 v[10:13], v4 offset:704
	ds_read_b64 v[14:15], v4 offset:720
	v_mov_b32_e32 v21, v19
	v_pk_mul_f32 v[18:19], v[44:45], v[18:19] op_sel_hi:[1,0]
	v_pk_add_f32 v[16:17], v[16:17], v[20:21]
	s_waitcnt vmcnt(4)
	v_pk_fma_f32 v[20:21], v[44:45], v[50:51], v[18:19] op_sel:[0,0,1] op_sel_hi:[1,1,0] neg_lo:[0,0,1] neg_hi:[0,0,1]
	v_pk_fma_f32 v[18:19], v[44:45], v[50:51], v[18:19] op_sel:[0,0,1] op_sel_hi:[1,0,0]
	v_mov_b32_e32 v18, v57
	v_mov_b32_e32 v21, v19
	s_waitcnt lgkmcnt(2)
	v_pk_mul_f32 v[18:19], v[6:7], v[18:19] op_sel_hi:[1,0]
	v_pk_add_f32 v[16:17], v[16:17], v[20:21]
	v_pk_fma_f32 v[20:21], v[6:7], v[56:57], v[18:19] op_sel:[0,0,1] op_sel_hi:[1,1,0] neg_lo:[0,0,1] neg_hi:[0,0,1]
	v_pk_fma_f32 v[6:7], v[6:7], v[56:57], v[18:19] op_sel:[0,0,1] op_sel_hi:[1,0,0]
	v_mov_b32_e32 v21, v7
	v_pk_add_f32 v[6:7], v[16:17], v[20:21]
	v_mov_b32_e32 v16, v55
	v_pk_mul_f32 v[16:17], v[8:9], v[16:17] op_sel_hi:[1,0]
	v_pk_fma_f32 v[18:19], v[8:9], v[54:55], v[16:17] op_sel:[0,0,1] op_sel_hi:[1,1,0] neg_lo:[0,0,1] neg_hi:[0,0,1]
	v_pk_fma_f32 v[8:9], v[8:9], v[54:55], v[16:17] op_sel:[0,0,1] op_sel_hi:[1,0,0]
	v_mov_b32_e32 v8, v53
	v_mov_b32_e32 v19, v9
	s_waitcnt lgkmcnt(1)
	v_pk_mul_f32 v[8:9], v[10:11], v[8:9] op_sel_hi:[1,0]
	v_pk_fma_f32 v[16:17], v[10:11], v[52:53], v[8:9] op_sel:[0,0,1] op_sel_hi:[1,1,0] neg_lo:[0,0,1] neg_hi:[0,0,1]
	v_pk_fma_f32 v[8:9], v[10:11], v[52:53], v[8:9] op_sel:[0,0,1] op_sel_hi:[1,0,0]
	s_waitcnt vmcnt(1)
	v_mov_b32_e32 v8, v157
	v_mov_b32_e32 v17, v9
	v_pk_mul_f32 v[8:9], v[12:13], v[8:9] op_sel_hi:[1,0]
	s_waitcnt vmcnt(0)
	v_pk_fma_f32 v[10:11], v[12:13], v[156:157], v[8:9] op_sel:[0,0,1] op_sel_hi:[1,1,0] neg_lo:[0,0,1] neg_hi:[0,0,1]
	v_pk_fma_f32 v[8:9], v[12:13], v[156:157], v[8:9] op_sel:[0,0,1] op_sel_hi:[1,0,0]
	v_pk_add_f32 v[6:7], v[6:7], v[18:19]
	v_mov_b32_e32 v8, v65
	v_pk_add_f32 v[6:7], v[6:7], v[16:17]
	v_mov_b32_e32 v11, v9
	s_waitcnt lgkmcnt(0)
	v_pk_mul_f32 v[8:9], v[14:15], v[8:9] op_sel_hi:[1,0]
	v_pk_add_f32 v[6:7], v[6:7], v[10:11]
	v_pk_fma_f32 v[10:11], v[14:15], v[64:65], v[8:9] op_sel:[0,0,1] op_sel_hi:[1,1,0] neg_lo:[0,0,1] neg_hi:[0,0,1]
	v_pk_fma_f32 v[8:9], v[14:15], v[64:65], v[8:9] op_sel:[0,0,1] op_sel_hi:[1,0,0]
	v_mov_b32_e32 v11, v9
	v_pk_add_f32 v[6:7], v[6:7], v[10:11]
	v_pk_add_f32 v[2:3], v[2:3], v[6:7] neg_lo:[0,1] neg_hi:[0,1]
	buffer_store_dword v3, off, s[0:3], 0 offset:156
	buffer_store_dword v2, off, s[0:3], 0 offset:152
	s_and_saveexec_b64 s[4:5], vcc
	s_cbranch_execz .LBB44_247
; %bb.246:
	buffer_load_dword v2, off, s[0:3], 0 offset:144
	buffer_load_dword v3, off, s[0:3], 0 offset:148
	s_waitcnt vmcnt(0)
	ds_write_b64 v1, v[2:3]
	buffer_store_dword v4, off, s[0:3], 0 offset:144
	buffer_store_dword v4, off, s[0:3], 0 offset:148
.LBB44_247:
	s_or_b64 exec, exec, s[4:5]
	s_waitcnt lgkmcnt(0)
	; wave barrier
	s_waitcnt lgkmcnt(0)
	buffer_load_dword v2, off, s[0:3], 0 offset:156
	buffer_load_dword v3, off, s[0:3], 0 offset:164
	;; [unrolled: 1-line block ×38, first 2 shown]
	ds_read2_b64 v[6:9], v4 offset0:65 offset1:66
	ds_read2_b64 v[10:13], v4 offset0:67 offset1:68
	;; [unrolled: 1-line block ×8, first 2 shown]
	buffer_load_dword v49, off, s[0:3], 0 offset:300
	buffer_load_dword v48, off, s[0:3], 0 offset:296
	;; [unrolled: 1-line block ×4, first 2 shown]
	v_cmp_lt_u32_e32 vcc, 17, v0
	s_waitcnt vmcnt(41) lgkmcnt(7)
	v_mul_f32_e32 v38, v6, v2
	s_waitcnt vmcnt(40)
	v_mul_f32_e32 v39, v8, v3
	s_waitcnt vmcnt(39) lgkmcnt(6)
	v_mul_f32_e32 v40, v10, v5
	s_waitcnt vmcnt(38)
	v_mul_f32_e32 v41, v12, v58
	;; [unrolled: 4-line block ×7, first 2 shown]
	s_waitcnt vmcnt(27) lgkmcnt(0)
	v_mul_f32_e32 v59, v34, v168
	s_waitcnt vmcnt(26)
	v_fmac_f32_e32 v38, v7, v169
	s_waitcnt vmcnt(25)
	v_fmac_f32_e32 v39, v9, v170
	v_add_f32_e32 v38, 0, v38
	s_waitcnt vmcnt(24)
	v_fmac_f32_e32 v40, v11, v171
	v_add_f32_e32 v38, v38, v39
	;; [unrolled: 3-line block ×13, first 2 shown]
	v_add_f32_e32 v38, v38, v57
	buffer_load_dword v53, off, s[0:3], 0 offset:324
	buffer_load_dword v52, off, s[0:3], 0 offset:320
	;; [unrolled: 1-line block ×6, first 2 shown]
	s_waitcnt vmcnt(18)
	v_fmac_f32_e32 v59, v35, v183
	s_waitcnt vmcnt(17)
	v_mul_f32_e32 v43, v36, v184
	v_add_f32_e32 v42, v38, v59
	s_waitcnt vmcnt(16)
	v_fmac_f32_e32 v43, v37, v185
	ds_read2_b64 v[38:41], v4 offset0:81 offset1:82
	v_add_f32_e32 v59, v42, v43
	ds_read2_b64 v[42:45], v4 offset0:83 offset1:84
	buffer_load_dword v65, off, s[0:3], 0 offset:356
	buffer_load_dword v64, off, s[0:3], 0 offset:352
	;; [unrolled: 1-line block ×6, first 2 shown]
	v_mul_f32_e32 v2, v7, v2
	v_fma_f32 v2, v6, v169, -v2
	v_mul_f32_e32 v3, v9, v3
	v_add_f32_e32 v2, 0, v2
	v_fma_f32 v3, v8, v170, -v3
	v_add_f32_e32 v2, v2, v3
	v_mul_f32_e32 v3, v11, v5
	v_fma_f32 v3, v10, v171, -v3
	v_add_f32_e32 v2, v2, v3
	v_mul_f32_e32 v3, v13, v58
	;; [unrolled: 3-line block ×14, first 2 shown]
	v_fma_f32 v3, v36, v185, -v3
	s_waitcnt vmcnt(15)
	v_mov_b32_e32 v16, v49
	s_waitcnt lgkmcnt(1)
	v_mul_f32_e32 v61, v38, v186
	v_add_f32_e32 v58, v2, v3
	v_mul_f32_e32 v2, v39, v186
	s_waitcnt lgkmcnt(0)
	v_pk_mul_f32 v[16:17], v[42:43], v[16:17] op_sel_hi:[1,0]
	v_fmac_f32_e32 v61, v39, v187
	v_mul_f32_e32 v63, v40, v188
	v_fma_f32 v60, v38, v187, -v2
	v_mul_f32_e32 v2, v41, v188
	s_waitcnt vmcnt(14)
	v_pk_fma_f32 v[18:19], v[42:43], v[48:49], v[16:17] op_sel:[0,0,1] op_sel_hi:[1,1,0] neg_lo:[0,0,1] neg_hi:[0,0,1]
	v_pk_fma_f32 v[16:17], v[42:43], v[48:49], v[16:17] op_sel:[0,0,1] op_sel_hi:[1,0,0]
	v_fmac_f32_e32 v63, v41, v189
	v_fma_f32 v62, v40, v189, -v2
	v_pk_add_f32 v[14:15], v[58:59], v[60:61]
	ds_read2_b64 v[6:9], v4 offset0:85 offset1:86
	ds_read2_b64 v[10:13], v4 offset0:87 offset1:88
	;; [unrolled: 1-line block ×3, first 2 shown]
	v_pk_add_f32 v[14:15], v[14:15], v[62:63]
	v_mov_b32_e32 v19, v17
	v_pk_add_f32 v[14:15], v[14:15], v[18:19]
	s_waitcnt vmcnt(7)
	v_mov_b32_e32 v16, v57
	v_pk_mul_f32 v[16:17], v[44:45], v[16:17] op_sel_hi:[1,0]
	s_waitcnt vmcnt(6)
	v_pk_fma_f32 v[18:19], v[44:45], v[56:57], v[16:17] op_sel:[0,0,1] op_sel_hi:[1,1,0] neg_lo:[0,0,1] neg_hi:[0,0,1]
	v_pk_fma_f32 v[16:17], v[44:45], v[56:57], v[16:17] op_sel:[0,0,1] op_sel_hi:[1,0,0]
	v_mov_b32_e32 v16, v55
	v_mov_b32_e32 v19, v17
	s_waitcnt lgkmcnt(2)
	v_pk_mul_f32 v[16:17], v[6:7], v[16:17] op_sel_hi:[1,0]
	v_pk_add_f32 v[14:15], v[14:15], v[18:19]
	v_pk_fma_f32 v[18:19], v[6:7], v[54:55], v[16:17] op_sel:[0,0,1] op_sel_hi:[1,1,0] neg_lo:[0,0,1] neg_hi:[0,0,1]
	v_pk_fma_f32 v[6:7], v[6:7], v[54:55], v[16:17] op_sel:[0,0,1] op_sel_hi:[1,0,0]
	v_mov_b32_e32 v19, v7
	v_pk_add_f32 v[6:7], v[14:15], v[18:19]
	v_mov_b32_e32 v14, v53
	v_pk_mul_f32 v[14:15], v[8:9], v[14:15] op_sel_hi:[1,0]
	v_pk_fma_f32 v[16:17], v[8:9], v[52:53], v[14:15] op_sel:[0,0,1] op_sel_hi:[1,1,0] neg_lo:[0,0,1] neg_hi:[0,0,1]
	v_pk_fma_f32 v[8:9], v[8:9], v[52:53], v[14:15] op_sel:[0,0,1] op_sel_hi:[1,0,0]
	v_mov_b32_e32 v8, v51
	v_mov_b32_e32 v17, v9
	s_waitcnt lgkmcnt(1)
	v_pk_mul_f32 v[8:9], v[10:11], v[8:9] op_sel_hi:[1,0]
	v_pk_fma_f32 v[14:15], v[10:11], v[50:51], v[8:9] op_sel:[0,0,1] op_sel_hi:[1,1,0] neg_lo:[0,0,1] neg_hi:[0,0,1]
	v_pk_fma_f32 v[8:9], v[10:11], v[50:51], v[8:9] op_sel:[0,0,1] op_sel_hi:[1,0,0]
	s_waitcnt vmcnt(1)
	v_mov_b32_e32 v8, v159
	v_mov_b32_e32 v15, v9
	v_pk_mul_f32 v[8:9], v[12:13], v[8:9] op_sel_hi:[1,0]
	s_waitcnt vmcnt(0)
	v_pk_fma_f32 v[10:11], v[12:13], v[158:159], v[8:9] op_sel:[0,0,1] op_sel_hi:[1,1,0] neg_lo:[0,0,1] neg_hi:[0,0,1]
	v_pk_fma_f32 v[8:9], v[12:13], v[158:159], v[8:9] op_sel:[0,0,1] op_sel_hi:[1,0,0]
	v_pk_add_f32 v[6:7], v[6:7], v[16:17]
	v_mov_b32_e32 v8, v157
	v_pk_add_f32 v[6:7], v[6:7], v[14:15]
	v_mov_b32_e32 v11, v9
	s_waitcnt lgkmcnt(0)
	v_pk_mul_f32 v[8:9], v[2:3], v[8:9] op_sel_hi:[1,0]
	v_pk_add_f32 v[6:7], v[6:7], v[10:11]
	v_pk_fma_f32 v[10:11], v[2:3], v[156:157], v[8:9] op_sel:[0,0,1] op_sel_hi:[1,1,0] neg_lo:[0,0,1] neg_hi:[0,0,1]
	v_pk_fma_f32 v[2:3], v[2:3], v[156:157], v[8:9] op_sel:[0,0,1] op_sel_hi:[1,0,0]
	v_mov_b32_e32 v11, v3
	v_pk_add_f32 v[2:3], v[6:7], v[10:11]
	v_mov_b32_e32 v6, v65
	v_pk_mul_f32 v[6:7], v[4:5], v[6:7] op_sel_hi:[1,0]
	v_pk_fma_f32 v[8:9], v[4:5], v[64:65], v[6:7] op_sel:[0,0,1] op_sel_hi:[1,1,0] neg_lo:[0,0,1] neg_hi:[0,0,1]
	v_pk_fma_f32 v[4:5], v[4:5], v[64:65], v[6:7] op_sel:[0,0,1] op_sel_hi:[1,0,0]
	v_mov_b32_e32 v9, v5
	v_pk_add_f32 v[2:3], v[2:3], v[8:9]
	v_pk_add_f32 v[2:3], v[46:47], v[2:3] neg_lo:[0,1] neg_hi:[0,1]
	buffer_store_dword v3, off, s[0:3], 0 offset:148
	buffer_store_dword v2, off, s[0:3], 0 offset:144
	s_and_saveexec_b64 s[4:5], vcc
	s_cbranch_execz .LBB44_249
; %bb.248:
	buffer_load_dword v2, off, s[0:3], 0 offset:136
	buffer_load_dword v3, off, s[0:3], 0 offset:140
	v_mov_b32_e32 v4, 0
	buffer_store_dword v4, off, s[0:3], 0 offset:136
	buffer_store_dword v4, off, s[0:3], 0 offset:140
	s_waitcnt vmcnt(2)
	ds_write_b64 v1, v[2:3]
.LBB44_249:
	s_or_b64 exec, exec, s[4:5]
	s_waitcnt lgkmcnt(0)
	; wave barrier
	s_waitcnt lgkmcnt(0)
	buffer_load_dword v5, off, s[0:3], 0 offset:148
	buffer_load_dword v54, off, s[0:3], 0 offset:156
	;; [unrolled: 1-line block ×40, first 2 shown]
	v_mov_b32_e32 v4, 0
	ds_read_b128 v[6:9], v4 offset:512
	ds_read_b128 v[10:13], v4 offset:528
	;; [unrolled: 1-line block ×8, first 2 shown]
	v_cmp_lt_u32_e32 vcc, 16, v0
	s_waitcnt vmcnt(39) lgkmcnt(7)
	v_mul_f32_e32 v38, v6, v5
	s_waitcnt vmcnt(38)
	v_mul_f32_e32 v39, v8, v54
	s_waitcnt vmcnt(37) lgkmcnt(6)
	v_mul_f32_e32 v40, v10, v56
	s_waitcnt vmcnt(36)
	v_mul_f32_e32 v41, v12, v58
	s_waitcnt vmcnt(35) lgkmcnt(5)
	v_mul_f32_e32 v42, v14, v158
	s_waitcnt vmcnt(34)
	v_mul_f32_e32 v43, v16, v159
	s_waitcnt vmcnt(33) lgkmcnt(4)
	v_mul_f32_e32 v44, v18, v160
	s_waitcnt vmcnt(32)
	v_mul_f32_e32 v45, v20, v161
	s_waitcnt vmcnt(31) lgkmcnt(3)
	v_mul_f32_e32 v46, v22, v162
	s_waitcnt vmcnt(30)
	v_mul_f32_e32 v47, v24, v163
	s_waitcnt vmcnt(29) lgkmcnt(2)
	v_mul_f32_e32 v48, v26, v164
	s_waitcnt vmcnt(28)
	v_mul_f32_e32 v49, v28, v165
	s_waitcnt vmcnt(27) lgkmcnt(1)
	v_mul_f32_e32 v50, v30, v166
	s_waitcnt vmcnt(26)
	v_mul_f32_e32 v51, v32, v167
	s_waitcnt vmcnt(25) lgkmcnt(0)
	v_mul_f32_e32 v52, v34, v168
	s_waitcnt vmcnt(24)
	v_mul_f32_e32 v53, v36, v169
	s_waitcnt vmcnt(23)
	v_fmac_f32_e32 v38, v7, v170
	s_waitcnt vmcnt(22)
	v_fmac_f32_e32 v39, v9, v171
	v_add_f32_e32 v38, 0, v38
	s_waitcnt vmcnt(21)
	v_fmac_f32_e32 v40, v11, v172
	v_add_f32_e32 v38, v38, v39
	;; [unrolled: 3-line block ×14, first 2 shown]
	v_add_f32_e32 v38, v38, v52
	s_waitcnt vmcnt(8)
	v_fmac_f32_e32 v53, v37, v185
	v_add_f32_e32 v55, v38, v53
	ds_read_b128 v[38:41], v4 offset:640
	buffer_load_dword v47, off, s[0:3], 0 offset:300
	buffer_load_dword v49, off, s[0:3], 0 offset:324
	;; [unrolled: 1-line block ×8, first 2 shown]
	ds_read_b128 v[42:45], v4 offset:656
	buffer_load_dword v61, off, s[0:3], 0 offset:356
	buffer_load_dword v60, off, s[0:3], 0 offset:352
	;; [unrolled: 1-line block ×8, first 2 shown]
	v_mul_f32_e32 v5, v7, v5
	v_fma_f32 v5, v6, v170, -v5
	v_mul_f32_e32 v6, v9, v54
	v_add_f32_e32 v5, 0, v5
	v_fma_f32 v6, v8, v171, -v6
	v_add_f32_e32 v5, v5, v6
	v_mul_f32_e32 v6, v11, v56
	v_fma_f32 v6, v10, v172, -v6
	v_add_f32_e32 v5, v5, v6
	v_mul_f32_e32 v6, v13, v58
	;; [unrolled: 3-line block ×14, first 2 shown]
	v_fma_f32 v6, v36, v185, -v6
	s_waitcnt vmcnt(23) lgkmcnt(1)
	v_mul_f32_e32 v57, v38, v186
	v_add_f32_e32 v5, v5, v6
	v_mul_f32_e32 v6, v39, v186
	s_waitcnt vmcnt(22)
	v_fmac_f32_e32 v57, v39, v187
	v_fma_f32 v6, v38, v187, -v6
	v_add_f32_e32 v55, v55, v57
	s_waitcnt vmcnt(21)
	v_mul_f32_e32 v57, v40, v188
	v_add_f32_e32 v54, v5, v6
	v_mul_f32_e32 v5, v41, v188
	s_waitcnt vmcnt(20)
	v_fmac_f32_e32 v57, v41, v189
	s_waitcnt vmcnt(19) lgkmcnt(0)
	v_mul_f32_e32 v59, v42, v190
	v_fma_f32 v56, v40, v189, -v5
	v_mul_f32_e32 v5, v43, v190
	ds_read_b128 v[6:9], v4 offset:672
	ds_read_b128 v[10:13], v4 offset:688
	;; [unrolled: 1-line block ×3, first 2 shown]
	ds_read_b64 v[18:19], v4 offset:720
	s_waitcnt vmcnt(18)
	v_fmac_f32_e32 v59, v43, v191
	v_fma_f32 v58, v42, v191, -v5
	v_pk_add_f32 v[20:21], v[54:55], v[56:57]
	v_pk_add_f32 v[20:21], v[20:21], v[58:59]
	s_waitcnt vmcnt(15)
	v_mov_b32_e32 v22, v47
	v_pk_mul_f32 v[22:23], v[44:45], v[22:23] op_sel_hi:[1,0]
	s_waitcnt vmcnt(8)
	v_pk_fma_f32 v[24:25], v[44:45], v[46:47], v[22:23] op_sel:[0,0,1] op_sel_hi:[1,1,0] neg_lo:[0,0,1] neg_hi:[0,0,1]
	v_pk_fma_f32 v[22:23], v[44:45], v[46:47], v[22:23] op_sel:[0,0,1] op_sel_hi:[1,0,0]
	v_mov_b32_e32 v22, v53
	v_mov_b32_e32 v25, v23
	s_waitcnt lgkmcnt(3)
	v_pk_mul_f32 v[22:23], v[6:7], v[22:23] op_sel_hi:[1,0]
	v_pk_add_f32 v[20:21], v[20:21], v[24:25]
	v_pk_fma_f32 v[24:25], v[6:7], v[52:53], v[22:23] op_sel:[0,0,1] op_sel_hi:[1,1,0] neg_lo:[0,0,1] neg_hi:[0,0,1]
	v_pk_fma_f32 v[6:7], v[6:7], v[52:53], v[22:23] op_sel:[0,0,1] op_sel_hi:[1,0,0]
	v_mov_b32_e32 v25, v7
	v_pk_add_f32 v[6:7], v[20:21], v[24:25]
	v_mov_b32_e32 v20, v51
	v_pk_mul_f32 v[20:21], v[8:9], v[20:21] op_sel_hi:[1,0]
	v_pk_fma_f32 v[22:23], v[8:9], v[50:51], v[20:21] op_sel:[0,0,1] op_sel_hi:[1,1,0] neg_lo:[0,0,1] neg_hi:[0,0,1]
	v_pk_fma_f32 v[8:9], v[8:9], v[50:51], v[20:21] op_sel:[0,0,1] op_sel_hi:[1,0,0]
	v_mov_b32_e32 v8, v49
	v_mov_b32_e32 v23, v9
	s_waitcnt lgkmcnt(2)
	v_pk_mul_f32 v[8:9], v[10:11], v[8:9] op_sel_hi:[1,0]
	v_pk_fma_f32 v[20:21], v[10:11], v[48:49], v[8:9] op_sel:[0,0,1] op_sel_hi:[1,1,0] neg_lo:[0,0,1] neg_hi:[0,0,1]
	v_pk_fma_f32 v[8:9], v[10:11], v[48:49], v[8:9] op_sel:[0,0,1] op_sel_hi:[1,0,0]
	s_waitcnt vmcnt(1)
	v_mov_b32_e32 v8, v157
	v_mov_b32_e32 v21, v9
	v_pk_mul_f32 v[8:9], v[12:13], v[8:9] op_sel_hi:[1,0]
	s_waitcnt vmcnt(0)
	v_pk_fma_f32 v[10:11], v[12:13], v[156:157], v[8:9] op_sel:[0,0,1] op_sel_hi:[1,1,0] neg_lo:[0,0,1] neg_hi:[0,0,1]
	v_pk_fma_f32 v[8:9], v[12:13], v[156:157], v[8:9] op_sel:[0,0,1] op_sel_hi:[1,0,0]
	v_pk_add_f32 v[6:7], v[6:7], v[22:23]
	v_mov_b32_e32 v8, v65
	v_pk_add_f32 v[6:7], v[6:7], v[20:21]
	v_mov_b32_e32 v11, v9
	s_waitcnt lgkmcnt(1)
	v_pk_mul_f32 v[8:9], v[14:15], v[8:9] op_sel_hi:[1,0]
	v_pk_add_f32 v[6:7], v[6:7], v[10:11]
	v_pk_fma_f32 v[10:11], v[14:15], v[64:65], v[8:9] op_sel:[0,0,1] op_sel_hi:[1,1,0] neg_lo:[0,0,1] neg_hi:[0,0,1]
	v_pk_fma_f32 v[8:9], v[14:15], v[64:65], v[8:9] op_sel:[0,0,1] op_sel_hi:[1,0,0]
	v_mov_b32_e32 v8, v63
	v_mov_b32_e32 v11, v9
	v_pk_mul_f32 v[8:9], v[16:17], v[8:9] op_sel_hi:[1,0]
	v_pk_add_f32 v[6:7], v[6:7], v[10:11]
	v_pk_fma_f32 v[10:11], v[16:17], v[62:63], v[8:9] op_sel:[0,0,1] op_sel_hi:[1,1,0] neg_lo:[0,0,1] neg_hi:[0,0,1]
	v_pk_fma_f32 v[8:9], v[16:17], v[62:63], v[8:9] op_sel:[0,0,1] op_sel_hi:[1,0,0]
	v_mov_b32_e32 v8, v61
	v_mov_b32_e32 v11, v9
	s_waitcnt lgkmcnt(0)
	v_pk_mul_f32 v[8:9], v[18:19], v[8:9] op_sel_hi:[1,0]
	v_pk_add_f32 v[6:7], v[6:7], v[10:11]
	v_pk_fma_f32 v[10:11], v[18:19], v[60:61], v[8:9] op_sel:[0,0,1] op_sel_hi:[1,1,0] neg_lo:[0,0,1] neg_hi:[0,0,1]
	v_pk_fma_f32 v[8:9], v[18:19], v[60:61], v[8:9] op_sel:[0,0,1] op_sel_hi:[1,0,0]
	v_mov_b32_e32 v11, v9
	v_pk_add_f32 v[6:7], v[6:7], v[10:11]
	v_pk_add_f32 v[2:3], v[2:3], v[6:7] neg_lo:[0,1] neg_hi:[0,1]
	buffer_store_dword v3, off, s[0:3], 0 offset:140
	buffer_store_dword v2, off, s[0:3], 0 offset:136
	s_and_saveexec_b64 s[4:5], vcc
	s_cbranch_execz .LBB44_251
; %bb.250:
	buffer_load_dword v2, off, s[0:3], 0 offset:128
	buffer_load_dword v3, off, s[0:3], 0 offset:132
	s_waitcnt vmcnt(0)
	ds_write_b64 v1, v[2:3]
	buffer_store_dword v4, off, s[0:3], 0 offset:128
	buffer_store_dword v4, off, s[0:3], 0 offset:132
.LBB44_251:
	s_or_b64 exec, exec, s[4:5]
	s_waitcnt lgkmcnt(0)
	; wave barrier
	s_waitcnt lgkmcnt(0)
	buffer_load_dword v5, off, s[0:3], 0 offset:140
	buffer_load_dword v46, off, s[0:3], 0 offset:148
	;; [unrolled: 1-line block ×42, first 2 shown]
	ds_read2_b64 v[6:9], v4 offset0:63 offset1:64
	ds_read2_b64 v[10:13], v4 offset0:65 offset1:66
	;; [unrolled: 1-line block ×8, first 2 shown]
	v_cmp_lt_u32_e32 vcc, 15, v0
	s_waitcnt vmcnt(41) lgkmcnt(7)
	v_mul_f32_e32 v38, v6, v5
	s_waitcnt vmcnt(40)
	v_mul_f32_e32 v39, v8, v46
	s_waitcnt vmcnt(39) lgkmcnt(6)
	v_mul_f32_e32 v40, v10, v48
	s_waitcnt vmcnt(38)
	v_mul_f32_e32 v41, v12, v56
	;; [unrolled: 4-line block ×7, first 2 shown]
	s_waitcnt vmcnt(27) lgkmcnt(0)
	v_mul_f32_e32 v54, v34, v168
	s_waitcnt vmcnt(26)
	v_fmac_f32_e32 v38, v7, v169
	s_waitcnt vmcnt(25)
	v_fmac_f32_e32 v39, v9, v170
	v_add_f32_e32 v38, 0, v38
	s_waitcnt vmcnt(24)
	v_fmac_f32_e32 v40, v11, v171
	v_add_f32_e32 v38, v38, v39
	;; [unrolled: 3-line block ×14, first 2 shown]
	s_waitcnt vmcnt(11)
	v_mul_f32_e32 v43, v36, v184
	v_add_f32_e32 v42, v38, v54
	s_waitcnt vmcnt(10)
	v_fmac_f32_e32 v43, v37, v185
	ds_read2_b64 v[38:41], v4 offset0:79 offset1:80
	v_add_f32_e32 v47, v42, v43
	ds_read2_b64 v[42:45], v4 offset0:81 offset1:82
	buffer_load_dword v51, off, s[0:3], 0 offset:300
	buffer_load_dword v53, off, s[0:3], 0 offset:316
	buffer_load_dword v52, off, s[0:3], 0 offset:312
	buffer_load_dword v55, off, s[0:3], 0 offset:308
	buffer_load_dword v54, off, s[0:3], 0 offset:304
	buffer_load_dword v50, off, s[0:3], 0 offset:296
	buffer_load_dword v59, off, s[0:3], 0 offset:348
	buffer_load_dword v58, off, s[0:3], 0 offset:344
	buffer_load_dword v61, off, s[0:3], 0 offset:340
	buffer_load_dword v60, off, s[0:3], 0 offset:336
	buffer_load_dword v63, off, s[0:3], 0 offset:332
	buffer_load_dword v62, off, s[0:3], 0 offset:328
	buffer_load_dword v65, off, s[0:3], 0 offset:324
	buffer_load_dword v64, off, s[0:3], 0 offset:320
	buffer_load_dword v157, off, s[0:3], 0 offset:356
	buffer_load_dword v156, off, s[0:3], 0 offset:352
	v_mul_f32_e32 v5, v7, v5
	v_fma_f32 v5, v6, v169, -v5
	v_mul_f32_e32 v6, v9, v46
	v_add_f32_e32 v5, 0, v5
	v_fma_f32 v6, v8, v170, -v6
	v_add_f32_e32 v5, v5, v6
	v_mul_f32_e32 v6, v11, v48
	v_fma_f32 v6, v10, v171, -v6
	v_add_f32_e32 v5, v5, v6
	v_mul_f32_e32 v6, v13, v56
	;; [unrolled: 3-line block ×14, first 2 shown]
	v_fma_f32 v6, v36, v185, -v6
	v_add_f32_e32 v5, v5, v6
	s_waitcnt vmcnt(25) lgkmcnt(1)
	v_mul_f32_e32 v6, v39, v186
	s_waitcnt vmcnt(24)
	v_fma_f32 v6, v38, v187, -v6
	v_add_f32_e32 v5, v5, v6
	s_waitcnt vmcnt(23)
	v_mul_f32_e32 v6, v41, v188
	s_waitcnt vmcnt(22)
	v_fma_f32 v6, v40, v189, -v6
	v_add_f32_e32 v46, v5, v6
	ds_read2_b64 v[6:9], v4 offset0:83 offset1:84
	ds_read2_b64 v[10:13], v4 offset0:85 offset1:86
	;; [unrolled: 1-line block ×4, first 2 shown]
	v_mul_f32_e32 v49, v38, v186
	v_fmac_f32_e32 v49, v39, v187
	v_add_f32_e32 v47, v47, v49
	v_mul_f32_e32 v49, v40, v188
	v_fmac_f32_e32 v49, v41, v189
	v_add_f32_e32 v47, v47, v49
	s_waitcnt vmcnt(21) lgkmcnt(4)
	v_mul_f32_e32 v49, v42, v190
	v_mul_f32_e32 v5, v43, v190
	s_waitcnt vmcnt(20)
	v_fmac_f32_e32 v49, v43, v191
	s_waitcnt vmcnt(19)
	v_mul_f32_e32 v57, v44, v192
	v_fma_f32 v48, v42, v191, -v5
	v_mul_f32_e32 v5, v45, v192
	s_waitcnt vmcnt(18)
	v_fmac_f32_e32 v57, v45, v193
	v_fma_f32 v56, v44, v193, -v5
	v_pk_add_f32 v[4:5], v[46:47], v[48:49]
	v_pk_add_f32 v[4:5], v[4:5], v[56:57]
	s_waitcnt vmcnt(15)
	v_mov_b32_e32 v22, v51
	s_waitcnt lgkmcnt(3)
	v_pk_mul_f32 v[22:23], v[6:7], v[22:23] op_sel_hi:[1,0]
	s_waitcnt vmcnt(10)
	v_pk_fma_f32 v[24:25], v[6:7], v[50:51], v[22:23] op_sel:[0,0,1] op_sel_hi:[1,1,0] neg_lo:[0,0,1] neg_hi:[0,0,1]
	v_pk_fma_f32 v[6:7], v[6:7], v[50:51], v[22:23] op_sel:[0,0,1] op_sel_hi:[1,0,0]
	v_mov_b32_e32 v6, v55
	v_mov_b32_e32 v25, v7
	v_pk_mul_f32 v[6:7], v[8:9], v[6:7] op_sel_hi:[1,0]
	v_pk_fma_f32 v[22:23], v[8:9], v[54:55], v[6:7] op_sel:[0,0,1] op_sel_hi:[1,1,0] neg_lo:[0,0,1] neg_hi:[0,0,1]
	v_pk_fma_f32 v[6:7], v[8:9], v[54:55], v[6:7] op_sel:[0,0,1] op_sel_hi:[1,0,0]
	v_mov_b32_e32 v6, v53
	v_mov_b32_e32 v23, v7
	s_waitcnt lgkmcnt(2)
	v_pk_mul_f32 v[6:7], v[10:11], v[6:7] op_sel_hi:[1,0]
	v_pk_fma_f32 v[8:9], v[10:11], v[52:53], v[6:7] op_sel:[0,0,1] op_sel_hi:[1,1,0] neg_lo:[0,0,1] neg_hi:[0,0,1]
	v_pk_fma_f32 v[6:7], v[10:11], v[52:53], v[6:7] op_sel:[0,0,1] op_sel_hi:[1,0,0]
	v_pk_add_f32 v[4:5], v[4:5], v[24:25]
	s_waitcnt vmcnt(3)
	v_mov_b32_e32 v6, v65
	v_pk_add_f32 v[4:5], v[4:5], v[22:23]
	v_mov_b32_e32 v9, v7
	v_pk_mul_f32 v[6:7], v[12:13], v[6:7] op_sel_hi:[1,0]
	v_pk_add_f32 v[4:5], v[4:5], v[8:9]
	s_waitcnt vmcnt(2)
	v_pk_fma_f32 v[8:9], v[12:13], v[64:65], v[6:7] op_sel:[0,0,1] op_sel_hi:[1,1,0] neg_lo:[0,0,1] neg_hi:[0,0,1]
	v_pk_fma_f32 v[6:7], v[12:13], v[64:65], v[6:7] op_sel:[0,0,1] op_sel_hi:[1,0,0]
	v_mov_b32_e32 v6, v63
	v_mov_b32_e32 v9, v7
	s_waitcnt lgkmcnt(1)
	v_pk_mul_f32 v[6:7], v[14:15], v[6:7] op_sel_hi:[1,0]
	v_pk_add_f32 v[4:5], v[4:5], v[8:9]
	v_pk_fma_f32 v[8:9], v[14:15], v[62:63], v[6:7] op_sel:[0,0,1] op_sel_hi:[1,1,0] neg_lo:[0,0,1] neg_hi:[0,0,1]
	v_pk_fma_f32 v[6:7], v[14:15], v[62:63], v[6:7] op_sel:[0,0,1] op_sel_hi:[1,0,0]
	v_mov_b32_e32 v6, v61
	v_mov_b32_e32 v9, v7
	v_pk_mul_f32 v[6:7], v[16:17], v[6:7] op_sel_hi:[1,0]
	v_pk_add_f32 v[4:5], v[4:5], v[8:9]
	v_pk_fma_f32 v[8:9], v[16:17], v[60:61], v[6:7] op_sel:[0,0,1] op_sel_hi:[1,1,0] neg_lo:[0,0,1] neg_hi:[0,0,1]
	v_pk_fma_f32 v[6:7], v[16:17], v[60:61], v[6:7] op_sel:[0,0,1] op_sel_hi:[1,0,0]
	v_mov_b32_e32 v6, v59
	v_mov_b32_e32 v9, v7
	s_waitcnt lgkmcnt(0)
	v_pk_mul_f32 v[6:7], v[18:19], v[6:7] op_sel_hi:[1,0]
	v_pk_add_f32 v[4:5], v[4:5], v[8:9]
	v_pk_fma_f32 v[8:9], v[18:19], v[58:59], v[6:7] op_sel:[0,0,1] op_sel_hi:[1,1,0] neg_lo:[0,0,1] neg_hi:[0,0,1]
	v_pk_fma_f32 v[6:7], v[18:19], v[58:59], v[6:7] op_sel:[0,0,1] op_sel_hi:[1,0,0]
	s_waitcnt vmcnt(1)
	v_mov_b32_e32 v6, v157
	v_mov_b32_e32 v9, v7
	v_pk_mul_f32 v[6:7], v[20:21], v[6:7] op_sel_hi:[1,0]
	v_pk_add_f32 v[4:5], v[4:5], v[8:9]
	s_waitcnt vmcnt(0)
	v_pk_fma_f32 v[8:9], v[20:21], v[156:157], v[6:7] op_sel:[0,0,1] op_sel_hi:[1,1,0] neg_lo:[0,0,1] neg_hi:[0,0,1]
	v_pk_fma_f32 v[6:7], v[20:21], v[156:157], v[6:7] op_sel:[0,0,1] op_sel_hi:[1,0,0]
	v_mov_b32_e32 v9, v7
	v_pk_add_f32 v[4:5], v[4:5], v[8:9]
	v_pk_add_f32 v[2:3], v[2:3], v[4:5] neg_lo:[0,1] neg_hi:[0,1]
	buffer_store_dword v3, off, s[0:3], 0 offset:132
	buffer_store_dword v2, off, s[0:3], 0 offset:128
	s_and_saveexec_b64 s[4:5], vcc
	s_cbranch_execz .LBB44_253
; %bb.252:
	buffer_load_dword v2, off, s[0:3], 0 offset:120
	buffer_load_dword v3, off, s[0:3], 0 offset:124
	v_mov_b32_e32 v4, 0
	buffer_store_dword v4, off, s[0:3], 0 offset:120
	buffer_store_dword v4, off, s[0:3], 0 offset:124
	s_waitcnt vmcnt(2)
	ds_write_b64 v1, v[2:3]
.LBB44_253:
	s_or_b64 exec, exec, s[4:5]
	s_waitcnt lgkmcnt(0)
	; wave barrier
	s_waitcnt lgkmcnt(0)
	buffer_load_dword v5, off, s[0:3], 0 offset:132
	buffer_load_dword v54, off, s[0:3], 0 offset:140
	;; [unrolled: 1-line block ×44, first 2 shown]
	v_mov_b32_e32 v4, 0
	ds_read_b128 v[6:9], v4 offset:496
	ds_read_b128 v[10:13], v4 offset:512
	;; [unrolled: 1-line block ×8, first 2 shown]
	v_cmp_lt_u32_e32 vcc, 14, v0
	s_waitcnt vmcnt(43) lgkmcnt(7)
	v_mul_f32_e32 v38, v6, v5
	s_waitcnt vmcnt(42)
	v_mul_f32_e32 v39, v8, v54
	s_waitcnt vmcnt(41) lgkmcnt(6)
	v_mul_f32_e32 v40, v10, v60
	s_waitcnt vmcnt(40)
	v_mul_f32_e32 v41, v12, v62
	;; [unrolled: 4-line block ×7, first 2 shown]
	s_waitcnt vmcnt(29)
	v_fmac_f32_e32 v38, v7, v176
	s_waitcnt vmcnt(28)
	v_fmac_f32_e32 v39, v9, v177
	v_add_f32_e32 v38, 0, v38
	s_waitcnt vmcnt(27)
	v_fmac_f32_e32 v40, v11, v178
	v_add_f32_e32 v38, v38, v39
	;; [unrolled: 3-line block ×12, first 2 shown]
	v_add_f32_e32 v38, v38, v50
	s_waitcnt vmcnt(16)
	v_fmac_f32_e32 v51, v33, v189
	s_waitcnt vmcnt(15) lgkmcnt(0)
	v_mul_f32_e32 v39, v34, v190
	v_add_f32_e32 v38, v38, v51
	s_waitcnt vmcnt(14)
	v_fmac_f32_e32 v39, v35, v191
	v_add_f32_e32 v42, v38, v39
	ds_read_b128 v[38:41], v4 offset:624
	s_waitcnt vmcnt(13)
	v_mul_f32_e32 v43, v36, v192
	s_waitcnt vmcnt(12)
	v_fmac_f32_e32 v43, v37, v193
	v_add_f32_e32 v46, v42, v43
	ds_read_b128 v[42:45], v4 offset:640
	s_waitcnt vmcnt(11) lgkmcnt(1)
	v_mul_f32_e32 v47, v38, v194
	s_waitcnt vmcnt(10)
	v_fmac_f32_e32 v47, v39, v195
	v_add_f32_e32 v46, v46, v47
	s_waitcnt vmcnt(9)
	v_mul_f32_e32 v47, v40, v196
	s_waitcnt vmcnt(8)
	v_fmac_f32_e32 v47, v41, v197
	v_add_f32_e32 v46, v46, v47
	s_waitcnt vmcnt(7) lgkmcnt(0)
	v_mul_f32_e32 v47, v42, v198
	s_waitcnt vmcnt(6)
	v_fmac_f32_e32 v47, v43, v199
	v_add_f32_e32 v55, v46, v47
	ds_read_b128 v[46:49], v4 offset:656
	buffer_load_dword v57, off, s[0:3], 0 offset:308
	buffer_load_dword v56, off, s[0:3], 0 offset:304
	;; [unrolled: 1-line block ×4, first 2 shown]
	ds_read_b128 v[50:53], v4 offset:672
	buffer_load_dword v65, off, s[0:3], 0 offset:340
	buffer_load_dword v64, off, s[0:3], 0 offset:336
	;; [unrolled: 1-line block ×12, first 2 shown]
	v_mul_f32_e32 v5, v7, v5
	v_fma_f32 v5, v6, v176, -v5
	v_mul_f32_e32 v6, v9, v54
	v_add_f32_e32 v5, 0, v5
	v_fma_f32 v6, v8, v177, -v6
	v_add_f32_e32 v5, v5, v6
	v_mul_f32_e32 v6, v11, v60
	v_fma_f32 v6, v10, v178, -v6
	v_add_f32_e32 v5, v5, v6
	v_mul_f32_e32 v6, v13, v62
	;; [unrolled: 3-line block ×17, first 2 shown]
	v_fma_f32 v6, v42, v199, -v6
	s_waitcnt vmcnt(21)
	v_mul_f32_e32 v61, v44, v200
	v_add_f32_e32 v54, v5, v6
	v_mul_f32_e32 v5, v45, v200
	s_waitcnt vmcnt(20)
	v_fmac_f32_e32 v61, v45, v201
	s_waitcnt vmcnt(19) lgkmcnt(1)
	v_mul_f32_e32 v63, v46, v202
	v_fma_f32 v60, v44, v201, -v5
	v_mul_f32_e32 v5, v47, v202
	s_waitcnt vmcnt(18)
	v_fmac_f32_e32 v63, v47, v203
	v_fma_f32 v62, v46, v203, -v5
	v_pk_add_f32 v[16:17], v[54:55], v[60:61]
	v_pk_add_f32 v[16:17], v[16:17], v[62:63]
	ds_read_b128 v[6:9], v4 offset:688
	ds_read_b128 v[10:13], v4 offset:704
	ds_read_b64 v[14:15], v4 offset:720
	s_waitcnt vmcnt(13)
	v_mov_b32_e32 v18, v59
	v_pk_mul_f32 v[18:19], v[48:49], v[18:19] op_sel_hi:[1,0]
	s_waitcnt vmcnt(12)
	v_pk_fma_f32 v[20:21], v[48:49], v[58:59], v[18:19] op_sel:[0,0,1] op_sel_hi:[1,1,0] neg_lo:[0,0,1] neg_hi:[0,0,1]
	v_pk_fma_f32 v[18:19], v[48:49], v[58:59], v[18:19] op_sel:[0,0,1] op_sel_hi:[1,0,0]
	v_mov_b32_e32 v18, v57
	v_mov_b32_e32 v21, v19
	s_waitcnt lgkmcnt(3)
	v_pk_mul_f32 v[18:19], v[50:51], v[18:19] op_sel_hi:[1,0]
	v_pk_add_f32 v[16:17], v[16:17], v[20:21]
	v_pk_fma_f32 v[20:21], v[50:51], v[56:57], v[18:19] op_sel:[0,0,1] op_sel_hi:[1,1,0] neg_lo:[0,0,1] neg_hi:[0,0,1]
	v_pk_fma_f32 v[18:19], v[50:51], v[56:57], v[18:19] op_sel:[0,0,1] op_sel_hi:[1,0,0]
	s_waitcnt vmcnt(5)
	v_mov_b32_e32 v18, v161
	v_mov_b32_e32 v21, v19
	v_pk_mul_f32 v[18:19], v[52:53], v[18:19] op_sel_hi:[1,0]
	v_pk_add_f32 v[16:17], v[16:17], v[20:21]
	s_waitcnt vmcnt(4)
	v_pk_fma_f32 v[20:21], v[52:53], v[160:161], v[18:19] op_sel:[0,0,1] op_sel_hi:[1,1,0] neg_lo:[0,0,1] neg_hi:[0,0,1]
	v_pk_fma_f32 v[18:19], v[52:53], v[160:161], v[18:19] op_sel:[0,0,1] op_sel_hi:[1,0,0]
	v_mov_b32_e32 v18, v159
	v_mov_b32_e32 v21, v19
	s_waitcnt lgkmcnt(2)
	v_pk_mul_f32 v[18:19], v[6:7], v[18:19] op_sel_hi:[1,0]
	v_pk_add_f32 v[16:17], v[16:17], v[20:21]
	v_pk_fma_f32 v[20:21], v[6:7], v[158:159], v[18:19] op_sel:[0,0,1] op_sel_hi:[1,1,0] neg_lo:[0,0,1] neg_hi:[0,0,1]
	v_pk_fma_f32 v[6:7], v[6:7], v[158:159], v[18:19] op_sel:[0,0,1] op_sel_hi:[1,0,0]
	v_mov_b32_e32 v21, v7
	v_pk_add_f32 v[6:7], v[16:17], v[20:21]
	v_mov_b32_e32 v16, v157
	v_pk_mul_f32 v[16:17], v[8:9], v[16:17] op_sel_hi:[1,0]
	v_pk_fma_f32 v[18:19], v[8:9], v[156:157], v[16:17] op_sel:[0,0,1] op_sel_hi:[1,1,0] neg_lo:[0,0,1] neg_hi:[0,0,1]
	v_pk_fma_f32 v[8:9], v[8:9], v[156:157], v[16:17] op_sel:[0,0,1] op_sel_hi:[1,0,0]
	v_mov_b32_e32 v8, v65
	v_mov_b32_e32 v19, v9
	s_waitcnt lgkmcnt(1)
	v_pk_mul_f32 v[8:9], v[10:11], v[8:9] op_sel_hi:[1,0]
	v_pk_fma_f32 v[16:17], v[10:11], v[64:65], v[8:9] op_sel:[0,0,1] op_sel_hi:[1,1,0] neg_lo:[0,0,1] neg_hi:[0,0,1]
	v_pk_fma_f32 v[8:9], v[10:11], v[64:65], v[8:9] op_sel:[0,0,1] op_sel_hi:[1,0,0]
	s_waitcnt vmcnt(1)
	v_mov_b32_e32 v8, v165
	v_mov_b32_e32 v17, v9
	v_pk_mul_f32 v[8:9], v[12:13], v[8:9] op_sel_hi:[1,0]
	s_waitcnt vmcnt(0)
	v_pk_fma_f32 v[10:11], v[12:13], v[164:165], v[8:9] op_sel:[0,0,1] op_sel_hi:[1,1,0] neg_lo:[0,0,1] neg_hi:[0,0,1]
	v_pk_fma_f32 v[8:9], v[12:13], v[164:165], v[8:9] op_sel:[0,0,1] op_sel_hi:[1,0,0]
	v_pk_add_f32 v[6:7], v[6:7], v[18:19]
	v_mov_b32_e32 v8, v163
	v_pk_add_f32 v[6:7], v[6:7], v[16:17]
	v_mov_b32_e32 v11, v9
	s_waitcnt lgkmcnt(0)
	v_pk_mul_f32 v[8:9], v[14:15], v[8:9] op_sel_hi:[1,0]
	v_pk_add_f32 v[6:7], v[6:7], v[10:11]
	v_pk_fma_f32 v[10:11], v[14:15], v[162:163], v[8:9] op_sel:[0,0,1] op_sel_hi:[1,1,0] neg_lo:[0,0,1] neg_hi:[0,0,1]
	v_pk_fma_f32 v[8:9], v[14:15], v[162:163], v[8:9] op_sel:[0,0,1] op_sel_hi:[1,0,0]
	v_mov_b32_e32 v11, v9
	v_pk_add_f32 v[6:7], v[6:7], v[10:11]
	v_pk_add_f32 v[2:3], v[2:3], v[6:7] neg_lo:[0,1] neg_hi:[0,1]
	buffer_store_dword v3, off, s[0:3], 0 offset:124
	buffer_store_dword v2, off, s[0:3], 0 offset:120
	s_and_saveexec_b64 s[4:5], vcc
	s_cbranch_execz .LBB44_255
; %bb.254:
	buffer_load_dword v2, off, s[0:3], 0 offset:112
	buffer_load_dword v3, off, s[0:3], 0 offset:116
	s_waitcnt vmcnt(0)
	ds_write_b64 v1, v[2:3]
	buffer_store_dword v4, off, s[0:3], 0 offset:112
	buffer_store_dword v4, off, s[0:3], 0 offset:116
.LBB44_255:
	s_or_b64 exec, exec, s[4:5]
	s_waitcnt lgkmcnt(0)
	; wave barrier
	s_waitcnt lgkmcnt(0)
	buffer_load_dword v5, off, s[0:3], 0 offset:124
	buffer_load_dword v56, off, s[0:3], 0 offset:132
	;; [unrolled: 1-line block ×46, first 2 shown]
	ds_read2_b64 v[6:9], v4 offset0:61 offset1:62
	ds_read2_b64 v[10:13], v4 offset0:63 offset1:64
	;; [unrolled: 1-line block ×8, first 2 shown]
	v_cmp_lt_u32_e32 vcc, 13, v0
	s_waitcnt vmcnt(45) lgkmcnt(7)
	v_mul_f32_e32 v38, v6, v5
	s_waitcnt vmcnt(44)
	v_mul_f32_e32 v39, v8, v56
	s_waitcnt vmcnt(43) lgkmcnt(6)
	v_mul_f32_e32 v40, v10, v58
	s_waitcnt vmcnt(42)
	v_mul_f32_e32 v41, v12, v60
	;; [unrolled: 4-line block ×6, first 2 shown]
	s_waitcnt vmcnt(33) lgkmcnt(1)
	v_mul_f32_e32 v50, v30, v174
	s_waitcnt vmcnt(32)
	v_fmac_f32_e32 v38, v7, v175
	s_waitcnt vmcnt(31)
	v_fmac_f32_e32 v39, v9, v176
	v_add_f32_e32 v38, 0, v38
	s_waitcnt vmcnt(30)
	v_fmac_f32_e32 v40, v11, v177
	v_add_f32_e32 v38, v38, v39
	;; [unrolled: 3-line block ×12, first 2 shown]
	s_waitcnt vmcnt(19)
	v_mul_f32_e32 v39, v32, v188
	v_add_f32_e32 v38, v38, v50
	s_waitcnt vmcnt(18)
	v_fmac_f32_e32 v39, v33, v189
	v_add_f32_e32 v38, v38, v39
	s_waitcnt vmcnt(17) lgkmcnt(0)
	v_mul_f32_e32 v39, v34, v190
	s_waitcnt vmcnt(16)
	v_fmac_f32_e32 v39, v35, v191
	v_add_f32_e32 v42, v38, v39
	ds_read2_b64 v[38:41], v4 offset0:77 offset1:78
	s_waitcnt vmcnt(15)
	v_mul_f32_e32 v43, v36, v192
	s_waitcnt vmcnt(14)
	v_fmac_f32_e32 v43, v37, v193
	v_add_f32_e32 v46, v42, v43
	ds_read2_b64 v[42:45], v4 offset0:79 offset1:80
	buffer_load_dword v55, off, s[0:3], 0 offset:300
	buffer_load_dword v54, off, s[0:3], 0 offset:296
	s_waitcnt vmcnt(15) lgkmcnt(1)
	v_mul_f32_e32 v47, v38, v194
	s_waitcnt vmcnt(14)
	v_fmac_f32_e32 v47, v39, v195
	v_add_f32_e32 v46, v46, v47
	s_waitcnt vmcnt(13)
	v_mul_f32_e32 v47, v40, v196
	s_waitcnt vmcnt(12)
	v_fmac_f32_e32 v47, v41, v197
	v_add_f32_e32 v46, v46, v47
	s_waitcnt vmcnt(11) lgkmcnt(0)
	v_mul_f32_e32 v47, v42, v198
	s_waitcnt vmcnt(10)
	v_fmac_f32_e32 v47, v43, v199
	s_waitcnt vmcnt(9)
	v_mul_f32_e32 v51, v44, v200
	v_add_f32_e32 v50, v46, v47
	s_waitcnt vmcnt(8)
	v_fmac_f32_e32 v51, v45, v201
	ds_read2_b64 v[46:49], v4 offset0:81 offset1:82
	v_add_f32_e32 v57, v50, v51
	ds_read2_b64 v[50:53], v4 offset0:83 offset1:84
	buffer_load_dword v63, off, s[0:3], 0 offset:332
	buffer_load_dword v62, off, s[0:3], 0 offset:328
	;; [unrolled: 1-line block ×14, first 2 shown]
	v_mul_f32_e32 v5, v7, v5
	v_fma_f32 v5, v6, v175, -v5
	v_mul_f32_e32 v6, v9, v56
	v_add_f32_e32 v5, 0, v5
	v_fma_f32 v6, v8, v176, -v6
	v_add_f32_e32 v5, v5, v6
	v_mul_f32_e32 v6, v11, v58
	v_fma_f32 v6, v10, v177, -v6
	v_add_f32_e32 v5, v5, v6
	v_mul_f32_e32 v6, v13, v60
	;; [unrolled: 3-line block ×18, first 2 shown]
	v_fma_f32 v6, v44, v201, -v6
	s_waitcnt vmcnt(21) lgkmcnt(1)
	v_mul_f32_e32 v59, v46, v202
	v_add_f32_e32 v56, v5, v6
	v_mul_f32_e32 v5, v47, v202
	s_waitcnt vmcnt(20)
	v_fmac_f32_e32 v59, v47, v203
	s_waitcnt vmcnt(15)
	v_mov_b32_e32 v18, v55
	s_waitcnt lgkmcnt(0)
	v_pk_mul_f32 v[18:19], v[50:51], v[18:19] op_sel_hi:[1,0]
	v_mul_f32_e32 v61, v48, v204
	v_fma_f32 v58, v46, v203, -v5
	v_mul_f32_e32 v5, v49, v204
	s_waitcnt vmcnt(14)
	v_pk_fma_f32 v[20:21], v[50:51], v[54:55], v[18:19] op_sel:[0,0,1] op_sel_hi:[1,1,0] neg_lo:[0,0,1] neg_hi:[0,0,1]
	v_pk_fma_f32 v[18:19], v[50:51], v[54:55], v[18:19] op_sel:[0,0,1] op_sel_hi:[1,0,0]
	v_fmac_f32_e32 v61, v49, v205
	v_fma_f32 v60, v48, v205, -v5
	ds_read2_b64 v[6:9], v4 offset0:85 offset1:86
	ds_read2_b64 v[10:13], v4 offset0:87 offset1:88
	;; [unrolled: 1-line block ×3, first 2 shown]
	v_pk_add_f32 v[4:5], v[56:57], v[58:59]
	s_waitcnt vmcnt(7)
	v_mov_b32_e32 v18, v159
	v_pk_add_f32 v[4:5], v[4:5], v[60:61]
	v_mov_b32_e32 v21, v19
	v_pk_mul_f32 v[18:19], v[52:53], v[18:19] op_sel_hi:[1,0]
	v_pk_add_f32 v[4:5], v[4:5], v[20:21]
	s_waitcnt vmcnt(6)
	v_pk_fma_f32 v[20:21], v[52:53], v[158:159], v[18:19] op_sel:[0,0,1] op_sel_hi:[1,1,0] neg_lo:[0,0,1] neg_hi:[0,0,1]
	v_pk_fma_f32 v[18:19], v[52:53], v[158:159], v[18:19] op_sel:[0,0,1] op_sel_hi:[1,0,0]
	v_mov_b32_e32 v18, v157
	v_mov_b32_e32 v21, v19
	s_waitcnt lgkmcnt(2)
	v_pk_mul_f32 v[18:19], v[6:7], v[18:19] op_sel_hi:[1,0]
	v_pk_add_f32 v[4:5], v[4:5], v[20:21]
	v_pk_fma_f32 v[20:21], v[6:7], v[156:157], v[18:19] op_sel:[0,0,1] op_sel_hi:[1,1,0] neg_lo:[0,0,1] neg_hi:[0,0,1]
	v_pk_fma_f32 v[6:7], v[6:7], v[156:157], v[18:19] op_sel:[0,0,1] op_sel_hi:[1,0,0]
	v_mov_b32_e32 v6, v65
	v_mov_b32_e32 v21, v7
	v_pk_mul_f32 v[6:7], v[8:9], v[6:7] op_sel_hi:[1,0]
	v_pk_fma_f32 v[18:19], v[8:9], v[64:65], v[6:7] op_sel:[0,0,1] op_sel_hi:[1,1,0] neg_lo:[0,0,1] neg_hi:[0,0,1]
	v_pk_fma_f32 v[6:7], v[8:9], v[64:65], v[6:7] op_sel:[0,0,1] op_sel_hi:[1,0,0]
	v_mov_b32_e32 v6, v63
	v_mov_b32_e32 v19, v7
	s_waitcnt lgkmcnt(1)
	v_pk_mul_f32 v[6:7], v[10:11], v[6:7] op_sel_hi:[1,0]
	v_pk_fma_f32 v[8:9], v[10:11], v[62:63], v[6:7] op_sel:[0,0,1] op_sel_hi:[1,1,0] neg_lo:[0,0,1] neg_hi:[0,0,1]
	v_pk_fma_f32 v[6:7], v[10:11], v[62:63], v[6:7] op_sel:[0,0,1] op_sel_hi:[1,0,0]
	v_pk_add_f32 v[4:5], v[4:5], v[20:21]
	s_waitcnt vmcnt(1)
	v_mov_b32_e32 v6, v165
	v_pk_add_f32 v[4:5], v[4:5], v[18:19]
	v_mov_b32_e32 v9, v7
	v_pk_mul_f32 v[6:7], v[12:13], v[6:7] op_sel_hi:[1,0]
	v_pk_add_f32 v[4:5], v[4:5], v[8:9]
	s_waitcnt vmcnt(0)
	v_pk_fma_f32 v[8:9], v[12:13], v[164:165], v[6:7] op_sel:[0,0,1] op_sel_hi:[1,1,0] neg_lo:[0,0,1] neg_hi:[0,0,1]
	v_pk_fma_f32 v[6:7], v[12:13], v[164:165], v[6:7] op_sel:[0,0,1] op_sel_hi:[1,0,0]
	v_mov_b32_e32 v6, v163
	v_mov_b32_e32 v9, v7
	s_waitcnt lgkmcnt(0)
	v_pk_mul_f32 v[6:7], v[14:15], v[6:7] op_sel_hi:[1,0]
	v_pk_add_f32 v[4:5], v[4:5], v[8:9]
	v_pk_fma_f32 v[8:9], v[14:15], v[162:163], v[6:7] op_sel:[0,0,1] op_sel_hi:[1,1,0] neg_lo:[0,0,1] neg_hi:[0,0,1]
	v_pk_fma_f32 v[6:7], v[14:15], v[162:163], v[6:7] op_sel:[0,0,1] op_sel_hi:[1,0,0]
	v_mov_b32_e32 v6, v161
	v_mov_b32_e32 v9, v7
	v_pk_mul_f32 v[6:7], v[16:17], v[6:7] op_sel_hi:[1,0]
	v_pk_add_f32 v[4:5], v[4:5], v[8:9]
	v_pk_fma_f32 v[8:9], v[16:17], v[160:161], v[6:7] op_sel:[0,0,1] op_sel_hi:[1,1,0] neg_lo:[0,0,1] neg_hi:[0,0,1]
	v_pk_fma_f32 v[6:7], v[16:17], v[160:161], v[6:7] op_sel:[0,0,1] op_sel_hi:[1,0,0]
	v_mov_b32_e32 v9, v7
	v_pk_add_f32 v[4:5], v[4:5], v[8:9]
	v_pk_add_f32 v[2:3], v[2:3], v[4:5] neg_lo:[0,1] neg_hi:[0,1]
	buffer_store_dword v3, off, s[0:3], 0 offset:116
	buffer_store_dword v2, off, s[0:3], 0 offset:112
	s_and_saveexec_b64 s[4:5], vcc
	s_cbranch_execz .LBB44_257
; %bb.256:
	buffer_load_dword v2, off, s[0:3], 0 offset:104
	buffer_load_dword v3, off, s[0:3], 0 offset:108
	v_mov_b32_e32 v4, 0
	buffer_store_dword v4, off, s[0:3], 0 offset:104
	buffer_store_dword v4, off, s[0:3], 0 offset:108
	s_waitcnt vmcnt(2)
	ds_write_b64 v1, v[2:3]
.LBB44_257:
	s_or_b64 exec, exec, s[4:5]
	s_waitcnt lgkmcnt(0)
	; wave barrier
	s_waitcnt lgkmcnt(0)
	buffer_load_dword v5, off, s[0:3], 0 offset:116
	buffer_load_dword v54, off, s[0:3], 0 offset:124
	;; [unrolled: 1-line block ×48, first 2 shown]
	v_mov_b32_e32 v4, 0
	ds_read_b128 v[6:9], v4 offset:480
	ds_read_b128 v[10:13], v4 offset:496
	;; [unrolled: 1-line block ×6, first 2 shown]
	v_cmp_lt_u32_e32 vcc, 12, v0
	s_waitcnt vmcnt(47) lgkmcnt(5)
	v_mul_f32_e32 v30, v6, v5
	s_waitcnt vmcnt(46)
	v_mul_f32_e32 v31, v8, v54
	s_waitcnt vmcnt(45) lgkmcnt(4)
	v_mul_f32_e32 v32, v10, v56
	s_waitcnt vmcnt(44)
	v_mul_f32_e32 v33, v12, v58
	s_waitcnt vmcnt(43) lgkmcnt(3)
	v_mul_f32_e32 v34, v14, v166
	s_waitcnt vmcnt(42)
	v_mul_f32_e32 v35, v16, v167
	s_waitcnt vmcnt(41) lgkmcnt(2)
	v_mul_f32_e32 v36, v18, v168
	s_waitcnt vmcnt(40)
	v_mul_f32_e32 v37, v20, v169
	s_waitcnt vmcnt(39) lgkmcnt(1)
	v_mul_f32_e32 v38, v22, v170
	s_waitcnt vmcnt(38)
	v_mul_f32_e32 v39, v24, v171
	s_waitcnt vmcnt(37) lgkmcnt(0)
	v_mul_f32_e32 v40, v26, v172
	s_waitcnt vmcnt(36)
	v_mul_f32_e32 v41, v28, v173
	s_waitcnt vmcnt(35)
	v_fmac_f32_e32 v30, v7, v174
	s_waitcnt vmcnt(34)
	v_fmac_f32_e32 v31, v9, v175
	v_add_f32_e32 v30, 0, v30
	s_waitcnt vmcnt(33)
	v_fmac_f32_e32 v32, v11, v176
	v_add_f32_e32 v30, v30, v31
	;; [unrolled: 3-line block ×8, first 2 shown]
	v_add_f32_e32 v34, v30, v38
	ds_read_b128 v[30:33], v4 offset:576
	s_waitcnt vmcnt(26)
	v_fmac_f32_e32 v39, v25, v183
	s_waitcnt vmcnt(25)
	v_fmac_f32_e32 v40, v27, v184
	v_add_f32_e32 v34, v34, v39
	s_waitcnt vmcnt(24)
	v_fmac_f32_e32 v41, v29, v185
	v_add_f32_e32 v34, v34, v40
	v_add_f32_e32 v38, v34, v41
	ds_read_b128 v[34:37], v4 offset:592
	s_waitcnt vmcnt(23) lgkmcnt(1)
	v_mul_f32_e32 v39, v30, v186
	s_waitcnt vmcnt(22)
	v_fmac_f32_e32 v39, v31, v187
	v_add_f32_e32 v38, v38, v39
	s_waitcnt vmcnt(21)
	v_mul_f32_e32 v39, v32, v188
	s_waitcnt vmcnt(20)
	v_fmac_f32_e32 v39, v33, v189
	v_add_f32_e32 v38, v38, v39
	s_waitcnt vmcnt(19) lgkmcnt(0)
	v_mul_f32_e32 v39, v34, v190
	s_waitcnt vmcnt(18)
	v_fmac_f32_e32 v39, v35, v191
	v_add_f32_e32 v42, v38, v39
	ds_read_b128 v[38:41], v4 offset:608
	s_waitcnt vmcnt(17)
	v_mul_f32_e32 v43, v36, v192
	s_waitcnt vmcnt(16)
	v_fmac_f32_e32 v43, v37, v193
	v_add_f32_e32 v46, v42, v43
	ds_read_b128 v[42:45], v4 offset:624
	s_waitcnt vmcnt(15) lgkmcnt(1)
	v_mul_f32_e32 v47, v38, v194
	s_waitcnt vmcnt(14)
	v_fmac_f32_e32 v47, v39, v195
	v_add_f32_e32 v46, v46, v47
	s_waitcnt vmcnt(13)
	v_mul_f32_e32 v47, v40, v196
	s_waitcnt vmcnt(12)
	v_fmac_f32_e32 v47, v41, v197
	v_add_f32_e32 v46, v46, v47
	s_waitcnt vmcnt(11) lgkmcnt(0)
	v_mul_f32_e32 v47, v42, v198
	s_waitcnt vmcnt(10)
	v_fmac_f32_e32 v47, v43, v199
	s_waitcnt vmcnt(9)
	v_mul_f32_e32 v51, v44, v200
	v_add_f32_e32 v50, v46, v47
	s_waitcnt vmcnt(8)
	v_fmac_f32_e32 v51, v45, v201
	ds_read_b128 v[46:49], v4 offset:640
	v_add_f32_e32 v55, v50, v51
	ds_read_b128 v[50:53], v4 offset:656
	buffer_load_dword v61, off, s[0:3], 0 offset:324
	buffer_load_dword v60, off, s[0:3], 0 offset:320
	;; [unrolled: 1-line block ×16, first 2 shown]
	v_mul_f32_e32 v5, v7, v5
	v_fma_f32 v5, v6, v174, -v5
	v_mul_f32_e32 v6, v9, v54
	v_add_f32_e32 v5, 0, v5
	v_fma_f32 v6, v8, v175, -v6
	v_add_f32_e32 v5, v5, v6
	v_mul_f32_e32 v6, v11, v56
	v_fma_f32 v6, v10, v176, -v6
	v_add_f32_e32 v5, v5, v6
	v_mul_f32_e32 v6, v13, v58
	;; [unrolled: 3-line block ×18, first 2 shown]
	v_fma_f32 v6, v44, v201, -v6
	s_waitcnt vmcnt(22) lgkmcnt(1)
	v_mul_f32_e32 v57, v46, v203
	v_add_f32_e32 v5, v5, v6
	v_mul_f32_e32 v6, v47, v203
	v_fmac_f32_e32 v57, v47, v202
	v_fma_f32 v6, v46, v202, -v6
	v_add_f32_e32 v55, v55, v57
	s_waitcnt vmcnt(19)
	v_mul_f32_e32 v57, v48, v204
	v_add_f32_e32 v54, v5, v6
	v_mul_f32_e32 v5, v49, v204
	s_waitcnt vmcnt(18)
	v_fmac_f32_e32 v57, v49, v205
	s_waitcnt vmcnt(17) lgkmcnt(0)
	v_mul_f32_e32 v59, v50, v206
	s_waitcnt vmcnt(9)
	v_mov_b32_e32 v22, v157
	v_pk_mul_f32 v[22:23], v[52:53], v[22:23] op_sel_hi:[1,0]
	v_fma_f32 v56, v48, v205, -v5
	v_mul_f32_e32 v5, v51, v206
	ds_read_b128 v[6:9], v4 offset:672
	ds_read_b128 v[10:13], v4 offset:688
	ds_read_b128 v[14:17], v4 offset:704
	ds_read_b64 v[18:19], v4 offset:720
	s_waitcnt vmcnt(8)
	v_pk_fma_f32 v[24:25], v[52:53], v[156:157], v[22:23] op_sel:[0,0,1] op_sel_hi:[1,1,0] neg_lo:[0,0,1] neg_hi:[0,0,1]
	v_pk_fma_f32 v[22:23], v[52:53], v[156:157], v[22:23] op_sel:[0,0,1] op_sel_hi:[1,0,0]
	v_fmac_f32_e32 v59, v51, v207
	v_fma_f32 v58, v50, v207, -v5
	v_pk_add_f32 v[20:21], v[54:55], v[56:57]
	v_mov_b32_e32 v22, v65
	v_pk_add_f32 v[20:21], v[20:21], v[58:59]
	v_mov_b32_e32 v25, v23
	s_waitcnt lgkmcnt(3)
	v_pk_mul_f32 v[22:23], v[6:7], v[22:23] op_sel_hi:[1,0]
	v_pk_add_f32 v[20:21], v[20:21], v[24:25]
	v_pk_fma_f32 v[24:25], v[6:7], v[64:65], v[22:23] op_sel:[0,0,1] op_sel_hi:[1,1,0] neg_lo:[0,0,1] neg_hi:[0,0,1]
	v_pk_fma_f32 v[6:7], v[6:7], v[64:65], v[22:23] op_sel:[0,0,1] op_sel_hi:[1,0,0]
	v_mov_b32_e32 v25, v7
	v_pk_add_f32 v[6:7], v[20:21], v[24:25]
	v_mov_b32_e32 v20, v63
	v_pk_mul_f32 v[20:21], v[8:9], v[20:21] op_sel_hi:[1,0]
	v_pk_fma_f32 v[22:23], v[8:9], v[62:63], v[20:21] op_sel:[0,0,1] op_sel_hi:[1,1,0] neg_lo:[0,0,1] neg_hi:[0,0,1]
	v_pk_fma_f32 v[8:9], v[8:9], v[62:63], v[20:21] op_sel:[0,0,1] op_sel_hi:[1,0,0]
	v_mov_b32_e32 v8, v61
	v_mov_b32_e32 v23, v9
	s_waitcnt lgkmcnt(2)
	v_pk_mul_f32 v[8:9], v[10:11], v[8:9] op_sel_hi:[1,0]
	v_pk_fma_f32 v[20:21], v[10:11], v[60:61], v[8:9] op_sel:[0,0,1] op_sel_hi:[1,1,0] neg_lo:[0,0,1] neg_hi:[0,0,1]
	v_pk_fma_f32 v[8:9], v[10:11], v[60:61], v[8:9] op_sel:[0,0,1] op_sel_hi:[1,0,0]
	s_waitcnt vmcnt(1)
	v_mov_b32_e32 v8, v165
	v_mov_b32_e32 v21, v9
	v_pk_mul_f32 v[8:9], v[12:13], v[8:9] op_sel_hi:[1,0]
	s_waitcnt vmcnt(0)
	v_pk_fma_f32 v[10:11], v[12:13], v[164:165], v[8:9] op_sel:[0,0,1] op_sel_hi:[1,1,0] neg_lo:[0,0,1] neg_hi:[0,0,1]
	v_pk_fma_f32 v[8:9], v[12:13], v[164:165], v[8:9] op_sel:[0,0,1] op_sel_hi:[1,0,0]
	v_pk_add_f32 v[6:7], v[6:7], v[22:23]
	v_mov_b32_e32 v8, v163
	v_pk_add_f32 v[6:7], v[6:7], v[20:21]
	v_mov_b32_e32 v11, v9
	s_waitcnt lgkmcnt(1)
	v_pk_mul_f32 v[8:9], v[14:15], v[8:9] op_sel_hi:[1,0]
	v_pk_add_f32 v[6:7], v[6:7], v[10:11]
	v_pk_fma_f32 v[10:11], v[14:15], v[162:163], v[8:9] op_sel:[0,0,1] op_sel_hi:[1,1,0] neg_lo:[0,0,1] neg_hi:[0,0,1]
	v_pk_fma_f32 v[8:9], v[14:15], v[162:163], v[8:9] op_sel:[0,0,1] op_sel_hi:[1,0,0]
	v_mov_b32_e32 v8, v161
	v_mov_b32_e32 v11, v9
	v_pk_mul_f32 v[8:9], v[16:17], v[8:9] op_sel_hi:[1,0]
	v_pk_add_f32 v[6:7], v[6:7], v[10:11]
	v_pk_fma_f32 v[10:11], v[16:17], v[160:161], v[8:9] op_sel:[0,0,1] op_sel_hi:[1,1,0] neg_lo:[0,0,1] neg_hi:[0,0,1]
	v_pk_fma_f32 v[8:9], v[16:17], v[160:161], v[8:9] op_sel:[0,0,1] op_sel_hi:[1,0,0]
	v_mov_b32_e32 v8, v159
	v_mov_b32_e32 v11, v9
	s_waitcnt lgkmcnt(0)
	v_pk_mul_f32 v[8:9], v[18:19], v[8:9] op_sel_hi:[1,0]
	v_pk_add_f32 v[6:7], v[6:7], v[10:11]
	v_pk_fma_f32 v[10:11], v[18:19], v[158:159], v[8:9] op_sel:[0,0,1] op_sel_hi:[1,1,0] neg_lo:[0,0,1] neg_hi:[0,0,1]
	v_pk_fma_f32 v[8:9], v[18:19], v[158:159], v[8:9] op_sel:[0,0,1] op_sel_hi:[1,0,0]
	v_mov_b32_e32 v11, v9
	v_pk_add_f32 v[6:7], v[6:7], v[10:11]
	v_pk_add_f32 v[2:3], v[2:3], v[6:7] neg_lo:[0,1] neg_hi:[0,1]
	buffer_store_dword v3, off, s[0:3], 0 offset:108
	buffer_store_dword v2, off, s[0:3], 0 offset:104
	s_and_saveexec_b64 s[4:5], vcc
	s_cbranch_execz .LBB44_259
; %bb.258:
	buffer_load_dword v2, off, s[0:3], 0 offset:96
	buffer_load_dword v3, off, s[0:3], 0 offset:100
	s_waitcnt vmcnt(0)
	ds_write_b64 v1, v[2:3]
	buffer_store_dword v4, off, s[0:3], 0 offset:96
	buffer_store_dword v4, off, s[0:3], 0 offset:100
.LBB44_259:
	s_or_b64 exec, exec, s[4:5]
	s_waitcnt lgkmcnt(0)
	; wave barrier
	s_waitcnt lgkmcnt(0)
	buffer_load_dword v5, off, s[0:3], 0 offset:108
	buffer_load_dword v54, off, s[0:3], 0 offset:116
	;; [unrolled: 1-line block ×48, first 2 shown]
	ds_read2_b64 v[6:9], v4 offset0:59 offset1:60
	ds_read2_b64 v[10:13], v4 offset0:61 offset1:62
	;; [unrolled: 1-line block ×6, first 2 shown]
	buffer_load_dword v208, off, s[0:3], 0 offset:288
	buffer_load_dword v209, off, s[0:3], 0 offset:292
	v_cmp_lt_u32_e32 vcc, 11, v0
	s_waitcnt vmcnt(49) lgkmcnt(5)
	v_mul_f32_e32 v30, v6, v5
	s_waitcnt vmcnt(48)
	v_mul_f32_e32 v31, v8, v54
	s_waitcnt vmcnt(47) lgkmcnt(4)
	v_mul_f32_e32 v32, v10, v56
	s_waitcnt vmcnt(46)
	v_mul_f32_e32 v33, v12, v64
	;; [unrolled: 4-line block ×6, first 2 shown]
	s_waitcnt vmcnt(37)
	v_fmac_f32_e32 v30, v7, v174
	s_waitcnt vmcnt(36)
	v_fmac_f32_e32 v31, v9, v175
	v_add_f32_e32 v30, 0, v30
	s_waitcnt vmcnt(35)
	v_fmac_f32_e32 v32, v11, v176
	v_add_f32_e32 v30, v30, v31
	;; [unrolled: 3-line block ×9, first 2 shown]
	v_add_f32_e32 v34, v30, v39
	ds_read2_b64 v[30:33], v4 offset0:71 offset1:72
	s_waitcnt vmcnt(27)
	v_fmac_f32_e32 v40, v27, v184
	v_add_f32_e32 v34, v34, v40
	s_waitcnt vmcnt(26)
	v_fmac_f32_e32 v41, v29, v185
	v_add_f32_e32 v38, v34, v41
	ds_read2_b64 v[34:37], v4 offset0:73 offset1:74
	s_waitcnt vmcnt(25) lgkmcnt(1)
	v_mul_f32_e32 v39, v30, v186
	s_waitcnt vmcnt(24)
	v_fmac_f32_e32 v39, v31, v187
	v_add_f32_e32 v38, v38, v39
	s_waitcnt vmcnt(23)
	v_mul_f32_e32 v39, v32, v188
	s_waitcnt vmcnt(22)
	v_fmac_f32_e32 v39, v33, v189
	v_add_f32_e32 v38, v38, v39
	s_waitcnt vmcnt(21) lgkmcnt(0)
	v_mul_f32_e32 v39, v34, v190
	s_waitcnt vmcnt(20)
	v_fmac_f32_e32 v39, v35, v191
	v_add_f32_e32 v42, v38, v39
	ds_read2_b64 v[38:41], v4 offset0:75 offset1:76
	s_waitcnt vmcnt(19)
	v_mul_f32_e32 v43, v36, v192
	s_waitcnt vmcnt(18)
	v_fmac_f32_e32 v43, v37, v193
	v_add_f32_e32 v46, v42, v43
	ds_read2_b64 v[42:45], v4 offset0:77 offset1:78
	s_waitcnt vmcnt(17) lgkmcnt(1)
	v_mul_f32_e32 v47, v38, v194
	s_waitcnt vmcnt(16)
	v_fmac_f32_e32 v47, v39, v195
	v_add_f32_e32 v46, v46, v47
	s_waitcnt vmcnt(15)
	v_mul_f32_e32 v47, v40, v196
	s_waitcnt vmcnt(14)
	v_fmac_f32_e32 v47, v41, v197
	v_add_f32_e32 v46, v46, v47
	s_waitcnt vmcnt(13) lgkmcnt(0)
	v_mul_f32_e32 v47, v42, v198
	s_waitcnt vmcnt(12)
	v_fmac_f32_e32 v47, v43, v199
	s_waitcnt vmcnt(11)
	v_mul_f32_e32 v51, v44, v200
	v_add_f32_e32 v50, v46, v47
	s_waitcnt vmcnt(10)
	v_fmac_f32_e32 v51, v45, v201
	ds_read2_b64 v[46:49], v4 offset0:79 offset1:80
	v_add_f32_e32 v55, v50, v51
	ds_read2_b64 v[50:53], v4 offset0:81 offset1:82
	buffer_load_dword v59, off, s[0:3], 0 offset:316
	buffer_load_dword v58, off, s[0:3], 0 offset:312
	;; [unrolled: 1-line block ×16, first 2 shown]
	v_mul_f32_e32 v5, v7, v5
	v_fma_f32 v5, v6, v174, -v5
	v_mul_f32_e32 v6, v9, v54
	v_add_f32_e32 v5, 0, v5
	v_fma_f32 v6, v8, v175, -v6
	v_add_f32_e32 v5, v5, v6
	v_mul_f32_e32 v6, v11, v56
	v_fma_f32 v6, v10, v176, -v6
	v_add_f32_e32 v5, v5, v6
	v_mul_f32_e32 v6, v13, v64
	;; [unrolled: 3-line block ×18, first 2 shown]
	v_fma_f32 v6, v44, v201, -v6
	v_add_f32_e32 v5, v5, v6
	s_waitcnt vmcnt(23) lgkmcnt(1)
	v_mul_f32_e32 v6, v47, v202
	s_waitcnt vmcnt(22)
	v_fma_f32 v6, v46, v203, -v6
	v_add_f32_e32 v5, v5, v6
	s_waitcnt vmcnt(20)
	v_mul_f32_e32 v6, v49, v205
	v_fma_f32 v6, v48, v204, -v6
	v_add_f32_e32 v54, v5, v6
	ds_read2_b64 v[6:9], v4 offset0:83 offset1:84
	ds_read2_b64 v[10:13], v4 offset0:85 offset1:86
	;; [unrolled: 1-line block ×4, first 2 shown]
	v_mul_f32_e32 v57, v46, v202
	v_fmac_f32_e32 v57, v47, v203
	v_add_f32_e32 v55, v55, v57
	v_mul_f32_e32 v57, v48, v205
	v_fmac_f32_e32 v57, v49, v204
	v_add_f32_e32 v55, v55, v57
	s_waitcnt vmcnt(18) lgkmcnt(4)
	v_mul_f32_e32 v57, v50, v207
	v_mul_f32_e32 v5, v51, v207
	v_fmac_f32_e32 v57, v51, v206
	s_waitcnt vmcnt(16)
	v_mul_f32_e32 v65, v52, v209
	s_waitcnt vmcnt(11)
	v_mov_b32_e32 v22, v63
	s_waitcnt lgkmcnt(3)
	v_pk_mul_f32 v[22:23], v[6:7], v[22:23] op_sel_hi:[1,0]
	s_waitcnt vmcnt(10)
	v_pk_fma_f32 v[24:25], v[6:7], v[62:63], v[22:23] op_sel:[0,0,1] op_sel_hi:[1,1,0] neg_lo:[0,0,1] neg_hi:[0,0,1]
	v_pk_fma_f32 v[6:7], v[6:7], v[62:63], v[22:23] op_sel:[0,0,1] op_sel_hi:[1,0,0]
	v_mov_b32_e32 v6, v61
	v_mov_b32_e32 v25, v7
	v_pk_mul_f32 v[6:7], v[8:9], v[6:7] op_sel_hi:[1,0]
	v_pk_fma_f32 v[22:23], v[8:9], v[60:61], v[6:7] op_sel:[0,0,1] op_sel_hi:[1,1,0] neg_lo:[0,0,1] neg_hi:[0,0,1]
	v_pk_fma_f32 v[6:7], v[8:9], v[60:61], v[6:7] op_sel:[0,0,1] op_sel_hi:[1,0,0]
	v_fma_f32 v56, v50, v206, -v5
	v_mul_f32_e32 v5, v53, v209
	v_mov_b32_e32 v6, v59
	v_fmac_f32_e32 v65, v53, v208
	v_fma_f32 v64, v52, v208, -v5
	v_pk_add_f32 v[4:5], v[54:55], v[56:57]
	v_mov_b32_e32 v23, v7
	s_waitcnt lgkmcnt(2)
	v_pk_mul_f32 v[6:7], v[10:11], v[6:7] op_sel_hi:[1,0]
	v_pk_add_f32 v[4:5], v[4:5], v[64:65]
	v_pk_fma_f32 v[8:9], v[10:11], v[58:59], v[6:7] op_sel:[0,0,1] op_sel_hi:[1,1,0] neg_lo:[0,0,1] neg_hi:[0,0,1]
	v_pk_fma_f32 v[6:7], v[10:11], v[58:59], v[6:7] op_sel:[0,0,1] op_sel_hi:[1,0,0]
	v_pk_add_f32 v[4:5], v[4:5], v[24:25]
	s_waitcnt vmcnt(3)
	v_mov_b32_e32 v6, v163
	v_pk_add_f32 v[4:5], v[4:5], v[22:23]
	v_mov_b32_e32 v9, v7
	v_pk_mul_f32 v[6:7], v[12:13], v[6:7] op_sel_hi:[1,0]
	v_pk_add_f32 v[4:5], v[4:5], v[8:9]
	s_waitcnt vmcnt(2)
	v_pk_fma_f32 v[8:9], v[12:13], v[162:163], v[6:7] op_sel:[0,0,1] op_sel_hi:[1,1,0] neg_lo:[0,0,1] neg_hi:[0,0,1]
	v_pk_fma_f32 v[6:7], v[12:13], v[162:163], v[6:7] op_sel:[0,0,1] op_sel_hi:[1,0,0]
	v_mov_b32_e32 v6, v161
	v_mov_b32_e32 v9, v7
	s_waitcnt lgkmcnt(1)
	v_pk_mul_f32 v[6:7], v[14:15], v[6:7] op_sel_hi:[1,0]
	v_pk_add_f32 v[4:5], v[4:5], v[8:9]
	v_pk_fma_f32 v[8:9], v[14:15], v[160:161], v[6:7] op_sel:[0,0,1] op_sel_hi:[1,1,0] neg_lo:[0,0,1] neg_hi:[0,0,1]
	v_pk_fma_f32 v[6:7], v[14:15], v[160:161], v[6:7] op_sel:[0,0,1] op_sel_hi:[1,0,0]
	v_mov_b32_e32 v6, v159
	v_mov_b32_e32 v9, v7
	v_pk_mul_f32 v[6:7], v[16:17], v[6:7] op_sel_hi:[1,0]
	v_pk_add_f32 v[4:5], v[4:5], v[8:9]
	v_pk_fma_f32 v[8:9], v[16:17], v[158:159], v[6:7] op_sel:[0,0,1] op_sel_hi:[1,1,0] neg_lo:[0,0,1] neg_hi:[0,0,1]
	v_pk_fma_f32 v[6:7], v[16:17], v[158:159], v[6:7] op_sel:[0,0,1] op_sel_hi:[1,0,0]
	v_mov_b32_e32 v6, v157
	v_mov_b32_e32 v9, v7
	s_waitcnt lgkmcnt(0)
	v_pk_mul_f32 v[6:7], v[18:19], v[6:7] op_sel_hi:[1,0]
	v_pk_add_f32 v[4:5], v[4:5], v[8:9]
	v_pk_fma_f32 v[8:9], v[18:19], v[156:157], v[6:7] op_sel:[0,0,1] op_sel_hi:[1,1,0] neg_lo:[0,0,1] neg_hi:[0,0,1]
	v_pk_fma_f32 v[6:7], v[18:19], v[156:157], v[6:7] op_sel:[0,0,1] op_sel_hi:[1,0,0]
	s_waitcnt vmcnt(1)
	v_mov_b32_e32 v6, v165
	v_mov_b32_e32 v9, v7
	v_pk_mul_f32 v[6:7], v[20:21], v[6:7] op_sel_hi:[1,0]
	v_pk_add_f32 v[4:5], v[4:5], v[8:9]
	s_waitcnt vmcnt(0)
	v_pk_fma_f32 v[8:9], v[20:21], v[164:165], v[6:7] op_sel:[0,0,1] op_sel_hi:[1,1,0] neg_lo:[0,0,1] neg_hi:[0,0,1]
	v_pk_fma_f32 v[6:7], v[20:21], v[164:165], v[6:7] op_sel:[0,0,1] op_sel_hi:[1,0,0]
	v_mov_b32_e32 v9, v7
	v_pk_add_f32 v[4:5], v[4:5], v[8:9]
	v_pk_add_f32 v[2:3], v[2:3], v[4:5] neg_lo:[0,1] neg_hi:[0,1]
	buffer_store_dword v3, off, s[0:3], 0 offset:100
	buffer_store_dword v2, off, s[0:3], 0 offset:96
	s_and_saveexec_b64 s[4:5], vcc
	s_cbranch_execz .LBB44_261
; %bb.260:
	buffer_load_dword v2, off, s[0:3], 0 offset:88
	buffer_load_dword v3, off, s[0:3], 0 offset:92
	v_mov_b32_e32 v4, 0
	buffer_store_dword v4, off, s[0:3], 0 offset:88
	buffer_store_dword v4, off, s[0:3], 0 offset:92
	s_waitcnt vmcnt(2)
	ds_write_b64 v1, v[2:3]
.LBB44_261:
	s_or_b64 exec, exec, s[4:5]
	s_waitcnt lgkmcnt(0)
	; wave barrier
	s_waitcnt lgkmcnt(0)
	buffer_load_dword v5, off, s[0:3], 0 offset:100
	buffer_load_dword v62, off, s[0:3], 0 offset:108
	;; [unrolled: 1-line block ×52, first 2 shown]
	v_mov_b32_e32 v4, 0
	ds_read_b128 v[6:9], v4 offset:464
	ds_read_b128 v[10:13], v4 offset:480
	;; [unrolled: 1-line block ×6, first 2 shown]
	v_cmp_lt_u32_e32 vcc, 10, v0
	s_waitcnt vmcnt(51) lgkmcnt(5)
	v_mul_f32_e32 v30, v6, v5
	s_waitcnt vmcnt(50)
	v_mul_f32_e32 v31, v8, v62
	s_waitcnt vmcnt(49) lgkmcnt(4)
	v_mul_f32_e32 v32, v10, v158
	s_waitcnt vmcnt(48)
	v_mul_f32_e32 v33, v12, v160
	;; [unrolled: 4-line block ×5, first 2 shown]
	s_waitcnt vmcnt(41) lgkmcnt(0)
	v_mul_f32_e32 v40, v26, v180
	s_waitcnt vmcnt(40)
	v_fmac_f32_e32 v30, v7, v181
	s_waitcnt vmcnt(39)
	v_fmac_f32_e32 v31, v9, v182
	v_add_f32_e32 v30, 0, v30
	s_waitcnt vmcnt(38)
	v_fmac_f32_e32 v32, v11, v183
	v_add_f32_e32 v30, v30, v31
	;; [unrolled: 3-line block ×9, first 2 shown]
	v_add_f32_e32 v30, v30, v39
	s_waitcnt vmcnt(30)
	v_fmac_f32_e32 v40, v27, v191
	v_add_f32_e32 v34, v30, v40
	ds_read_b128 v[30:33], v4 offset:560
	s_waitcnt vmcnt(29)
	v_mul_f32_e32 v35, v28, v192
	s_waitcnt vmcnt(28)
	v_fmac_f32_e32 v35, v29, v193
	v_add_f32_e32 v38, v34, v35
	ds_read_b128 v[34:37], v4 offset:576
	s_waitcnt vmcnt(27) lgkmcnt(1)
	v_mul_f32_e32 v39, v30, v194
	s_waitcnt vmcnt(26)
	v_fmac_f32_e32 v39, v31, v195
	v_add_f32_e32 v38, v38, v39
	s_waitcnt vmcnt(25)
	v_mul_f32_e32 v39, v32, v196
	s_waitcnt vmcnt(24)
	v_fmac_f32_e32 v39, v33, v197
	v_add_f32_e32 v38, v38, v39
	s_waitcnt vmcnt(23) lgkmcnt(0)
	v_mul_f32_e32 v39, v34, v198
	s_waitcnt vmcnt(22)
	v_fmac_f32_e32 v39, v35, v199
	v_add_f32_e32 v42, v38, v39
	ds_read_b128 v[38:41], v4 offset:592
	s_waitcnt vmcnt(21)
	v_mul_f32_e32 v43, v36, v200
	s_waitcnt vmcnt(20)
	v_fmac_f32_e32 v43, v37, v201
	v_add_f32_e32 v46, v42, v43
	ds_read_b128 v[42:45], v4 offset:608
	s_waitcnt vmcnt(19) lgkmcnt(1)
	v_mul_f32_e32 v47, v38, v202
	s_waitcnt vmcnt(18)
	v_fmac_f32_e32 v47, v39, v203
	v_add_f32_e32 v46, v46, v47
	s_waitcnt vmcnt(17)
	v_mul_f32_e32 v47, v40, v204
	s_waitcnt vmcnt(16)
	v_fmac_f32_e32 v47, v41, v205
	v_add_f32_e32 v46, v46, v47
	s_waitcnt vmcnt(14) lgkmcnt(0)
	v_mul_f32_e32 v47, v42, v207
	v_fmac_f32_e32 v47, v43, v206
	v_add_f32_e32 v50, v46, v47
	ds_read_b128 v[46:49], v4 offset:624
	s_waitcnt vmcnt(10)
	v_mul_f32_e32 v51, v44, v209
	v_fmac_f32_e32 v51, v45, v208
	v_add_f32_e32 v54, v50, v51
	ds_read_b128 v[50:53], v4 offset:640
	s_waitcnt vmcnt(8) lgkmcnt(1)
	v_mul_f32_e32 v55, v46, v211
	v_fmac_f32_e32 v55, v47, v210
	v_add_f32_e32 v54, v54, v55
	s_waitcnt vmcnt(6)
	v_mul_f32_e32 v55, v48, v213
	v_fmac_f32_e32 v55, v49, v212
	v_add_f32_e32 v54, v54, v55
	s_waitcnt vmcnt(4) lgkmcnt(0)
	v_mul_f32_e32 v55, v50, v215
	v_fmac_f32_e32 v55, v51, v214
	v_add_f32_e32 v63, v54, v55
	ds_read_b128 v[54:57], v4 offset:656
	buffer_load_dword v65, off, s[0:3], 0 offset:308
	buffer_load_dword v64, off, s[0:3], 0 offset:304
	;; [unrolled: 1-line block ×4, first 2 shown]
	ds_read_b128 v[58:61], v4 offset:672
	buffer_load_dword v163, off, s[0:3], 0 offset:340
	buffer_load_dword v162, off, s[0:3], 0 offset:336
	;; [unrolled: 1-line block ×12, first 2 shown]
	v_mul_f32_e32 v5, v7, v5
	v_fma_f32 v5, v6, v181, -v5
	v_mul_f32_e32 v6, v9, v62
	v_add_f32_e32 v5, 0, v5
	v_fma_f32 v6, v8, v182, -v6
	v_add_f32_e32 v5, v5, v6
	v_mul_f32_e32 v6, v11, v158
	v_fma_f32 v6, v10, v183, -v6
	v_add_f32_e32 v5, v5, v6
	v_mul_f32_e32 v6, v13, v160
	;; [unrolled: 3-line block ×21, first 2 shown]
	v_fma_f32 v6, v50, v214, -v6
	s_waitcnt vmcnt(18)
	v_mul_f32_e32 v159, v52, v217
	v_add_f32_e32 v62, v5, v6
	v_mul_f32_e32 v5, v53, v217
	v_fmac_f32_e32 v159, v53, v216
	s_waitcnt vmcnt(16) lgkmcnt(1)
	v_mul_f32_e32 v161, v54, v219
	v_fma_f32 v158, v52, v216, -v5
	v_mul_f32_e32 v5, v55, v219
	v_fmac_f32_e32 v161, v55, v218
	s_waitcnt vmcnt(13)
	v_mov_b32_e32 v18, v157
	v_pk_mul_f32 v[18:19], v[56:57], v[18:19] op_sel_hi:[1,0]
	s_waitcnt vmcnt(12)
	v_pk_fma_f32 v[20:21], v[56:57], v[156:157], v[18:19] op_sel:[0,0,1] op_sel_hi:[1,1,0] neg_lo:[0,0,1] neg_hi:[0,0,1]
	v_pk_fma_f32 v[18:19], v[56:57], v[156:157], v[18:19] op_sel:[0,0,1] op_sel_hi:[1,0,0]
	v_fma_f32 v160, v54, v218, -v5
	v_pk_add_f32 v[16:17], v[62:63], v[158:159]
	v_mov_b32_e32 v18, v65
	v_pk_add_f32 v[16:17], v[16:17], v[160:161]
	v_mov_b32_e32 v21, v19
	s_waitcnt lgkmcnt(0)
	v_pk_mul_f32 v[18:19], v[58:59], v[18:19] op_sel_hi:[1,0]
	v_pk_add_f32 v[16:17], v[16:17], v[20:21]
	v_pk_fma_f32 v[20:21], v[58:59], v[64:65], v[18:19] op_sel:[0,0,1] op_sel_hi:[1,1,0] neg_lo:[0,0,1] neg_hi:[0,0,1]
	v_pk_fma_f32 v[18:19], v[58:59], v[64:65], v[18:19] op_sel:[0,0,1] op_sel_hi:[1,0,0]
	s_waitcnt vmcnt(5)
	v_mov_b32_e32 v18, v169
	ds_read_b128 v[6:9], v4 offset:688
	ds_read_b128 v[10:13], v4 offset:704
	ds_read_b64 v[14:15], v4 offset:720
	v_mov_b32_e32 v21, v19
	v_pk_mul_f32 v[18:19], v[60:61], v[18:19] op_sel_hi:[1,0]
	v_pk_add_f32 v[16:17], v[16:17], v[20:21]
	s_waitcnt vmcnt(4)
	v_pk_fma_f32 v[20:21], v[60:61], v[168:169], v[18:19] op_sel:[0,0,1] op_sel_hi:[1,1,0] neg_lo:[0,0,1] neg_hi:[0,0,1]
	v_pk_fma_f32 v[18:19], v[60:61], v[168:169], v[18:19] op_sel:[0,0,1] op_sel_hi:[1,0,0]
	v_mov_b32_e32 v18, v167
	v_mov_b32_e32 v21, v19
	s_waitcnt lgkmcnt(2)
	v_pk_mul_f32 v[18:19], v[6:7], v[18:19] op_sel_hi:[1,0]
	v_pk_add_f32 v[16:17], v[16:17], v[20:21]
	v_pk_fma_f32 v[20:21], v[6:7], v[166:167], v[18:19] op_sel:[0,0,1] op_sel_hi:[1,1,0] neg_lo:[0,0,1] neg_hi:[0,0,1]
	v_pk_fma_f32 v[6:7], v[6:7], v[166:167], v[18:19] op_sel:[0,0,1] op_sel_hi:[1,0,0]
	v_mov_b32_e32 v21, v7
	v_pk_add_f32 v[6:7], v[16:17], v[20:21]
	v_mov_b32_e32 v16, v165
	v_pk_mul_f32 v[16:17], v[8:9], v[16:17] op_sel_hi:[1,0]
	v_pk_fma_f32 v[18:19], v[8:9], v[164:165], v[16:17] op_sel:[0,0,1] op_sel_hi:[1,1,0] neg_lo:[0,0,1] neg_hi:[0,0,1]
	v_pk_fma_f32 v[8:9], v[8:9], v[164:165], v[16:17] op_sel:[0,0,1] op_sel_hi:[1,0,0]
	v_mov_b32_e32 v8, v163
	v_mov_b32_e32 v19, v9
	s_waitcnt lgkmcnt(1)
	v_pk_mul_f32 v[8:9], v[10:11], v[8:9] op_sel_hi:[1,0]
	v_pk_fma_f32 v[16:17], v[10:11], v[162:163], v[8:9] op_sel:[0,0,1] op_sel_hi:[1,1,0] neg_lo:[0,0,1] neg_hi:[0,0,1]
	v_pk_fma_f32 v[8:9], v[10:11], v[162:163], v[8:9] op_sel:[0,0,1] op_sel_hi:[1,0,0]
	s_waitcnt vmcnt(1)
	v_mov_b32_e32 v8, v173
	v_mov_b32_e32 v17, v9
	v_pk_mul_f32 v[8:9], v[12:13], v[8:9] op_sel_hi:[1,0]
	s_waitcnt vmcnt(0)
	v_pk_fma_f32 v[10:11], v[12:13], v[172:173], v[8:9] op_sel:[0,0,1] op_sel_hi:[1,1,0] neg_lo:[0,0,1] neg_hi:[0,0,1]
	v_pk_fma_f32 v[8:9], v[12:13], v[172:173], v[8:9] op_sel:[0,0,1] op_sel_hi:[1,0,0]
	v_pk_add_f32 v[6:7], v[6:7], v[18:19]
	v_mov_b32_e32 v8, v171
	v_pk_add_f32 v[6:7], v[6:7], v[16:17]
	v_mov_b32_e32 v11, v9
	s_waitcnt lgkmcnt(0)
	v_pk_mul_f32 v[8:9], v[14:15], v[8:9] op_sel_hi:[1,0]
	v_pk_add_f32 v[6:7], v[6:7], v[10:11]
	v_pk_fma_f32 v[10:11], v[14:15], v[170:171], v[8:9] op_sel:[0,0,1] op_sel_hi:[1,1,0] neg_lo:[0,0,1] neg_hi:[0,0,1]
	v_pk_fma_f32 v[8:9], v[14:15], v[170:171], v[8:9] op_sel:[0,0,1] op_sel_hi:[1,0,0]
	v_mov_b32_e32 v11, v9
	v_pk_add_f32 v[6:7], v[6:7], v[10:11]
	v_pk_add_f32 v[2:3], v[2:3], v[6:7] neg_lo:[0,1] neg_hi:[0,1]
	buffer_store_dword v3, off, s[0:3], 0 offset:92
	buffer_store_dword v2, off, s[0:3], 0 offset:88
	s_and_saveexec_b64 s[4:5], vcc
	s_cbranch_execz .LBB44_263
; %bb.262:
	buffer_load_dword v2, off, s[0:3], 0 offset:80
	buffer_load_dword v3, off, s[0:3], 0 offset:84
	s_waitcnt vmcnt(0)
	ds_write_b64 v1, v[2:3]
	buffer_store_dword v4, off, s[0:3], 0 offset:80
	buffer_store_dword v4, off, s[0:3], 0 offset:84
.LBB44_263:
	s_or_b64 exec, exec, s[4:5]
	s_waitcnt lgkmcnt(0)
	; wave barrier
	s_waitcnt lgkmcnt(0)
	buffer_load_dword v5, off, s[0:3], 0 offset:92
	buffer_load_dword v64, off, s[0:3], 0 offset:100
	;; [unrolled: 1-line block ×42, first 2 shown]
	ds_read2_b64 v[6:9], v4 offset0:57 offset1:58
	ds_read2_b64 v[10:13], v4 offset0:59 offset1:60
	buffer_load_dword v210, off, s[0:3], 0 offset:248
	buffer_load_dword v211, off, s[0:3], 0 offset:252
	ds_read2_b64 v[14:17], v4 offset0:61 offset1:62
	ds_read2_b64 v[18:21], v4 offset0:63 offset1:64
	buffer_load_dword v212, off, s[0:3], 0 offset:256
	buffer_load_dword v213, off, s[0:3], 0 offset:260
	;; [unrolled: 1-line block ×4, first 2 shown]
	ds_read2_b64 v[22:25], v4 offset0:65 offset1:66
	ds_read2_b64 v[26:29], v4 offset0:67 offset1:68
	buffer_load_dword v216, off, s[0:3], 0 offset:272
	buffer_load_dword v217, off, s[0:3], 0 offset:276
	;; [unrolled: 1-line block ×6, first 2 shown]
	v_cmp_lt_u32_e32 vcc, 9, v0
	s_waitcnt vmcnt(53) lgkmcnt(5)
	v_mul_f32_e32 v30, v6, v5
	s_waitcnt vmcnt(52)
	v_mul_f32_e32 v31, v8, v64
	s_waitcnt vmcnt(51) lgkmcnt(4)
	v_mul_f32_e32 v32, v10, v156
	s_waitcnt vmcnt(50)
	v_mul_f32_e32 v33, v12, v158
	;; [unrolled: 4-line block ×5, first 2 shown]
	s_waitcnt vmcnt(43)
	v_fmac_f32_e32 v30, v7, v180
	s_waitcnt vmcnt(42)
	v_fmac_f32_e32 v31, v9, v181
	v_add_f32_e32 v30, 0, v30
	s_waitcnt vmcnt(41)
	v_fmac_f32_e32 v32, v11, v182
	v_add_f32_e32 v30, v30, v31
	;; [unrolled: 3-line block ×9, first 2 shown]
	s_waitcnt vmcnt(33) lgkmcnt(0)
	v_mul_f32_e32 v31, v26, v190
	v_add_f32_e32 v30, v30, v39
	s_waitcnt vmcnt(32)
	v_fmac_f32_e32 v31, v27, v191
	v_add_f32_e32 v34, v30, v31
	ds_read2_b64 v[30:33], v4 offset0:69 offset1:70
	s_waitcnt vmcnt(31)
	v_mul_f32_e32 v35, v28, v192
	s_waitcnt vmcnt(30)
	v_fmac_f32_e32 v35, v29, v193
	v_add_f32_e32 v38, v34, v35
	ds_read2_b64 v[34:37], v4 offset0:71 offset1:72
	s_waitcnt vmcnt(29) lgkmcnt(1)
	v_mul_f32_e32 v39, v30, v194
	s_waitcnt vmcnt(28)
	v_fmac_f32_e32 v39, v31, v195
	v_add_f32_e32 v38, v38, v39
	s_waitcnt vmcnt(27)
	v_mul_f32_e32 v39, v32, v196
	s_waitcnt vmcnt(26)
	v_fmac_f32_e32 v39, v33, v197
	v_add_f32_e32 v38, v38, v39
	s_waitcnt vmcnt(25) lgkmcnt(0)
	v_mul_f32_e32 v39, v34, v198
	s_waitcnt vmcnt(24)
	v_fmac_f32_e32 v39, v35, v199
	v_add_f32_e32 v42, v38, v39
	ds_read2_b64 v[38:41], v4 offset0:73 offset1:74
	s_waitcnt vmcnt(23)
	v_mul_f32_e32 v43, v36, v200
	s_waitcnt vmcnt(22)
	v_fmac_f32_e32 v43, v37, v201
	v_add_f32_e32 v46, v42, v43
	ds_read2_b64 v[42:45], v4 offset0:75 offset1:76
	s_waitcnt vmcnt(21) lgkmcnt(1)
	v_mul_f32_e32 v47, v38, v202
	s_waitcnt vmcnt(20)
	v_fmac_f32_e32 v47, v39, v203
	v_add_f32_e32 v46, v46, v47
	s_waitcnt vmcnt(18)
	v_mul_f32_e32 v47, v40, v205
	v_fmac_f32_e32 v47, v41, v204
	v_add_f32_e32 v46, v46, v47
	s_waitcnt vmcnt(15) lgkmcnt(0)
	v_mul_f32_e32 v47, v42, v206
	s_waitcnt vmcnt(14)
	v_fmac_f32_e32 v47, v43, v207
	v_add_f32_e32 v50, v46, v47
	ds_read2_b64 v[46:49], v4 offset0:77 offset1:78
	s_waitcnt vmcnt(12)
	v_mul_f32_e32 v51, v44, v209
	v_fmac_f32_e32 v51, v45, v208
	v_add_f32_e32 v54, v50, v51
	ds_read2_b64 v[50:53], v4 offset0:79 offset1:80
	buffer_load_dword v63, off, s[0:3], 0 offset:300
	buffer_load_dword v62, off, s[0:3], 0 offset:296
	s_waitcnt vmcnt(12) lgkmcnt(1)
	v_mul_f32_e32 v55, v46, v211
	v_fmac_f32_e32 v55, v47, v210
	v_add_f32_e32 v54, v54, v55
	s_waitcnt vmcnt(10)
	v_mul_f32_e32 v55, v48, v213
	v_fmac_f32_e32 v55, v49, v212
	v_add_f32_e32 v54, v54, v55
	s_waitcnt vmcnt(8) lgkmcnt(0)
	v_mul_f32_e32 v55, v50, v215
	v_fmac_f32_e32 v55, v51, v214
	s_waitcnt vmcnt(6)
	v_mul_f32_e32 v59, v52, v217
	v_add_f32_e32 v58, v54, v55
	v_fmac_f32_e32 v59, v53, v216
	ds_read2_b64 v[54:57], v4 offset0:81 offset1:82
	v_add_f32_e32 v65, v58, v59
	ds_read2_b64 v[58:61], v4 offset0:83 offset1:84
	buffer_load_dword v161, off, s[0:3], 0 offset:332
	buffer_load_dword v160, off, s[0:3], 0 offset:328
	;; [unrolled: 1-line block ×14, first 2 shown]
	v_mul_f32_e32 v5, v7, v5
	v_fma_f32 v5, v6, v180, -v5
	v_mul_f32_e32 v6, v9, v64
	v_add_f32_e32 v5, 0, v5
	v_fma_f32 v6, v8, v181, -v6
	v_add_f32_e32 v5, v5, v6
	v_mul_f32_e32 v6, v11, v156
	v_fma_f32 v6, v10, v182, -v6
	v_add_f32_e32 v5, v5, v6
	v_mul_f32_e32 v6, v13, v158
	v_fma_f32 v6, v12, v183, -v6
	v_add_f32_e32 v5, v5, v6
	v_mul_f32_e32 v6, v15, v174
	v_fma_f32 v6, v14, v184, -v6
	v_add_f32_e32 v5, v5, v6
	v_mul_f32_e32 v6, v17, v175
	v_fma_f32 v6, v16, v185, -v6
	v_add_f32_e32 v5, v5, v6
	v_mul_f32_e32 v6, v19, v176
	v_fma_f32 v6, v18, v186, -v6
	v_add_f32_e32 v5, v5, v6
	v_mul_f32_e32 v6, v21, v177
	v_fma_f32 v6, v20, v187, -v6
	v_add_f32_e32 v5, v5, v6
	v_mul_f32_e32 v6, v23, v178
	v_fma_f32 v6, v22, v188, -v6
	v_add_f32_e32 v5, v5, v6
	v_mul_f32_e32 v6, v25, v179
	v_fma_f32 v6, v24, v189, -v6
	v_add_f32_e32 v5, v5, v6
	v_mul_f32_e32 v6, v27, v190
	v_fma_f32 v6, v26, v191, -v6
	v_add_f32_e32 v5, v5, v6
	v_mul_f32_e32 v6, v29, v192
	v_fma_f32 v6, v28, v193, -v6
	v_add_f32_e32 v5, v5, v6
	v_mul_f32_e32 v6, v31, v194
	v_fma_f32 v6, v30, v195, -v6
	v_add_f32_e32 v5, v5, v6
	v_mul_f32_e32 v6, v33, v196
	v_fma_f32 v6, v32, v197, -v6
	v_add_f32_e32 v5, v5, v6
	v_mul_f32_e32 v6, v35, v198
	v_fma_f32 v6, v34, v199, -v6
	v_add_f32_e32 v5, v5, v6
	v_mul_f32_e32 v6, v37, v200
	v_fma_f32 v6, v36, v201, -v6
	v_add_f32_e32 v5, v5, v6
	v_mul_f32_e32 v6, v39, v202
	v_fma_f32 v6, v38, v203, -v6
	v_add_f32_e32 v5, v5, v6
	v_mul_f32_e32 v6, v41, v205
	v_fma_f32 v6, v40, v204, -v6
	v_add_f32_e32 v5, v5, v6
	v_mul_f32_e32 v6, v43, v206
	v_fma_f32 v6, v42, v207, -v6
	v_add_f32_e32 v5, v5, v6
	v_mul_f32_e32 v6, v45, v209
	v_fma_f32 v6, v44, v208, -v6
	v_add_f32_e32 v5, v5, v6
	v_mul_f32_e32 v6, v47, v211
	v_fma_f32 v6, v46, v210, -v6
	v_add_f32_e32 v5, v5, v6
	v_mul_f32_e32 v6, v49, v213
	v_fma_f32 v6, v48, v212, -v6
	v_add_f32_e32 v5, v5, v6
	v_mul_f32_e32 v6, v51, v215
	v_fma_f32 v6, v50, v214, -v6
	v_add_f32_e32 v5, v5, v6
	v_mul_f32_e32 v6, v53, v217
	v_fma_f32 v6, v52, v216, -v6
	s_waitcnt vmcnt(15)
	v_mov_b32_e32 v18, v63
	s_waitcnt lgkmcnt(1)
	v_mul_f32_e32 v157, v54, v219
	v_add_f32_e32 v64, v5, v6
	v_mul_f32_e32 v5, v55, v219
	s_waitcnt lgkmcnt(0)
	v_pk_mul_f32 v[18:19], v[58:59], v[18:19] op_sel_hi:[1,0]
	v_fmac_f32_e32 v157, v55, v218
	v_mul_f32_e32 v159, v56, v221
	v_fma_f32 v156, v54, v218, -v5
	v_mul_f32_e32 v5, v57, v221
	s_waitcnt vmcnt(14)
	v_pk_fma_f32 v[20:21], v[58:59], v[62:63], v[18:19] op_sel:[0,0,1] op_sel_hi:[1,1,0] neg_lo:[0,0,1] neg_hi:[0,0,1]
	v_pk_fma_f32 v[18:19], v[58:59], v[62:63], v[18:19] op_sel:[0,0,1] op_sel_hi:[1,0,0]
	v_fmac_f32_e32 v159, v57, v220
	v_fma_f32 v158, v56, v220, -v5
	ds_read2_b64 v[6:9], v4 offset0:85 offset1:86
	ds_read2_b64 v[10:13], v4 offset0:87 offset1:88
	;; [unrolled: 1-line block ×3, first 2 shown]
	v_pk_add_f32 v[4:5], v[64:65], v[156:157]
	s_waitcnt vmcnt(7)
	v_mov_b32_e32 v18, v167
	v_pk_add_f32 v[4:5], v[4:5], v[158:159]
	v_mov_b32_e32 v21, v19
	v_pk_mul_f32 v[18:19], v[60:61], v[18:19] op_sel_hi:[1,0]
	v_pk_add_f32 v[4:5], v[4:5], v[20:21]
	s_waitcnt vmcnt(6)
	v_pk_fma_f32 v[20:21], v[60:61], v[166:167], v[18:19] op_sel:[0,0,1] op_sel_hi:[1,1,0] neg_lo:[0,0,1] neg_hi:[0,0,1]
	v_pk_fma_f32 v[18:19], v[60:61], v[166:167], v[18:19] op_sel:[0,0,1] op_sel_hi:[1,0,0]
	v_mov_b32_e32 v18, v165
	v_mov_b32_e32 v21, v19
	s_waitcnt lgkmcnt(2)
	v_pk_mul_f32 v[18:19], v[6:7], v[18:19] op_sel_hi:[1,0]
	v_pk_add_f32 v[4:5], v[4:5], v[20:21]
	v_pk_fma_f32 v[20:21], v[6:7], v[164:165], v[18:19] op_sel:[0,0,1] op_sel_hi:[1,1,0] neg_lo:[0,0,1] neg_hi:[0,0,1]
	v_pk_fma_f32 v[6:7], v[6:7], v[164:165], v[18:19] op_sel:[0,0,1] op_sel_hi:[1,0,0]
	v_mov_b32_e32 v6, v163
	v_mov_b32_e32 v21, v7
	v_pk_mul_f32 v[6:7], v[8:9], v[6:7] op_sel_hi:[1,0]
	v_pk_fma_f32 v[18:19], v[8:9], v[162:163], v[6:7] op_sel:[0,0,1] op_sel_hi:[1,1,0] neg_lo:[0,0,1] neg_hi:[0,0,1]
	v_pk_fma_f32 v[6:7], v[8:9], v[162:163], v[6:7] op_sel:[0,0,1] op_sel_hi:[1,0,0]
	v_mov_b32_e32 v6, v161
	v_mov_b32_e32 v19, v7
	s_waitcnt lgkmcnt(1)
	v_pk_mul_f32 v[6:7], v[10:11], v[6:7] op_sel_hi:[1,0]
	v_pk_fma_f32 v[8:9], v[10:11], v[160:161], v[6:7] op_sel:[0,0,1] op_sel_hi:[1,1,0] neg_lo:[0,0,1] neg_hi:[0,0,1]
	v_pk_fma_f32 v[6:7], v[10:11], v[160:161], v[6:7] op_sel:[0,0,1] op_sel_hi:[1,0,0]
	v_pk_add_f32 v[4:5], v[4:5], v[20:21]
	s_waitcnt vmcnt(1)
	v_mov_b32_e32 v6, v173
	v_pk_add_f32 v[4:5], v[4:5], v[18:19]
	v_mov_b32_e32 v9, v7
	v_pk_mul_f32 v[6:7], v[12:13], v[6:7] op_sel_hi:[1,0]
	v_pk_add_f32 v[4:5], v[4:5], v[8:9]
	s_waitcnt vmcnt(0)
	v_pk_fma_f32 v[8:9], v[12:13], v[172:173], v[6:7] op_sel:[0,0,1] op_sel_hi:[1,1,0] neg_lo:[0,0,1] neg_hi:[0,0,1]
	v_pk_fma_f32 v[6:7], v[12:13], v[172:173], v[6:7] op_sel:[0,0,1] op_sel_hi:[1,0,0]
	v_mov_b32_e32 v6, v171
	v_mov_b32_e32 v9, v7
	s_waitcnt lgkmcnt(0)
	v_pk_mul_f32 v[6:7], v[14:15], v[6:7] op_sel_hi:[1,0]
	v_pk_add_f32 v[4:5], v[4:5], v[8:9]
	v_pk_fma_f32 v[8:9], v[14:15], v[170:171], v[6:7] op_sel:[0,0,1] op_sel_hi:[1,1,0] neg_lo:[0,0,1] neg_hi:[0,0,1]
	v_pk_fma_f32 v[6:7], v[14:15], v[170:171], v[6:7] op_sel:[0,0,1] op_sel_hi:[1,0,0]
	v_mov_b32_e32 v6, v169
	v_mov_b32_e32 v9, v7
	v_pk_mul_f32 v[6:7], v[16:17], v[6:7] op_sel_hi:[1,0]
	v_pk_add_f32 v[4:5], v[4:5], v[8:9]
	v_pk_fma_f32 v[8:9], v[16:17], v[168:169], v[6:7] op_sel:[0,0,1] op_sel_hi:[1,1,0] neg_lo:[0,0,1] neg_hi:[0,0,1]
	v_pk_fma_f32 v[6:7], v[16:17], v[168:169], v[6:7] op_sel:[0,0,1] op_sel_hi:[1,0,0]
	v_mov_b32_e32 v9, v7
	v_pk_add_f32 v[4:5], v[4:5], v[8:9]
	v_pk_add_f32 v[2:3], v[2:3], v[4:5] neg_lo:[0,1] neg_hi:[0,1]
	buffer_store_dword v3, off, s[0:3], 0 offset:84
	buffer_store_dword v2, off, s[0:3], 0 offset:80
	s_and_saveexec_b64 s[4:5], vcc
	s_cbranch_execz .LBB44_265
; %bb.264:
	buffer_load_dword v2, off, s[0:3], 0 offset:72
	buffer_load_dword v3, off, s[0:3], 0 offset:76
	v_mov_b32_e32 v4, 0
	buffer_store_dword v4, off, s[0:3], 0 offset:72
	buffer_store_dword v4, off, s[0:3], 0 offset:76
	s_waitcnt vmcnt(2)
	ds_write_b64 v1, v[2:3]
.LBB44_265:
	s_or_b64 exec, exec, s[4:5]
	s_waitcnt lgkmcnt(0)
	; wave barrier
	s_waitcnt lgkmcnt(0)
	buffer_load_dword v5, off, s[0:3], 0 offset:84
	buffer_load_dword v62, off, s[0:3], 0 offset:92
	;; [unrolled: 1-line block ×56, first 2 shown]
	v_mov_b32_e32 v4, 0
	ds_read_b128 v[6:9], v4 offset:448
	ds_read_b128 v[10:13], v4 offset:464
	;; [unrolled: 1-line block ×6, first 2 shown]
	v_cmp_lt_u32_e32 vcc, 8, v0
	s_waitcnt vmcnt(55) lgkmcnt(5)
	v_mul_f32_e32 v30, v6, v5
	s_waitcnt vmcnt(54)
	v_mul_f32_e32 v31, v8, v62
	s_waitcnt vmcnt(53) lgkmcnt(4)
	v_mul_f32_e32 v32, v10, v64
	s_waitcnt vmcnt(52)
	v_mul_f32_e32 v33, v12, v156
	;; [unrolled: 4-line block ×4, first 2 shown]
	s_waitcnt vmcnt(47) lgkmcnt(1)
	v_mul_f32_e32 v38, v22, v178
	s_waitcnt vmcnt(46)
	v_fmac_f32_e32 v30, v7, v179
	s_waitcnt vmcnt(45)
	v_fmac_f32_e32 v31, v9, v180
	v_add_f32_e32 v30, 0, v30
	s_waitcnt vmcnt(44)
	v_fmac_f32_e32 v32, v11, v181
	v_add_f32_e32 v30, v30, v31
	;; [unrolled: 3-line block ×7, first 2 shown]
	v_add_f32_e32 v30, v30, v37
	s_waitcnt vmcnt(38)
	v_fmac_f32_e32 v38, v23, v187
	s_waitcnt vmcnt(37)
	v_mul_f32_e32 v31, v24, v188
	v_add_f32_e32 v30, v30, v38
	s_waitcnt vmcnt(36)
	v_fmac_f32_e32 v31, v25, v189
	v_add_f32_e32 v30, v30, v31
	s_waitcnt vmcnt(35) lgkmcnt(0)
	v_mul_f32_e32 v31, v26, v190
	s_waitcnt vmcnt(34)
	v_fmac_f32_e32 v31, v27, v191
	v_add_f32_e32 v34, v30, v31
	ds_read_b128 v[30:33], v4 offset:544
	s_waitcnt vmcnt(33)
	v_mul_f32_e32 v35, v28, v192
	s_waitcnt vmcnt(32)
	v_fmac_f32_e32 v35, v29, v193
	v_add_f32_e32 v38, v34, v35
	ds_read_b128 v[34:37], v4 offset:560
	s_waitcnt vmcnt(31) lgkmcnt(1)
	v_mul_f32_e32 v39, v30, v194
	s_waitcnt vmcnt(30)
	v_fmac_f32_e32 v39, v31, v195
	v_add_f32_e32 v38, v38, v39
	s_waitcnt vmcnt(29)
	v_mul_f32_e32 v39, v32, v196
	s_waitcnt vmcnt(28)
	v_fmac_f32_e32 v39, v33, v197
	v_add_f32_e32 v38, v38, v39
	s_waitcnt vmcnt(27) lgkmcnt(0)
	v_mul_f32_e32 v39, v34, v198
	s_waitcnt vmcnt(26)
	v_fmac_f32_e32 v39, v35, v199
	v_add_f32_e32 v42, v38, v39
	ds_read_b128 v[38:41], v4 offset:576
	s_waitcnt vmcnt(24)
	v_mul_f32_e32 v43, v36, v201
	v_fmac_f32_e32 v43, v37, v200
	v_add_f32_e32 v46, v42, v43
	ds_read_b128 v[42:45], v4 offset:592
	s_waitcnt vmcnt(20) lgkmcnt(1)
	v_mul_f32_e32 v47, v38, v203
	v_fmac_f32_e32 v47, v39, v202
	v_add_f32_e32 v46, v46, v47
	s_waitcnt vmcnt(18)
	v_mul_f32_e32 v47, v40, v205
	v_fmac_f32_e32 v47, v41, v204
	v_add_f32_e32 v46, v46, v47
	s_waitcnt vmcnt(16) lgkmcnt(0)
	v_mul_f32_e32 v47, v42, v207
	v_fmac_f32_e32 v47, v43, v206
	v_add_f32_e32 v50, v46, v47
	ds_read_b128 v[46:49], v4 offset:608
	s_waitcnt vmcnt(14)
	v_mul_f32_e32 v51, v44, v209
	v_fmac_f32_e32 v51, v45, v208
	v_add_f32_e32 v54, v50, v51
	ds_read_b128 v[50:53], v4 offset:624
	s_waitcnt vmcnt(12) lgkmcnt(1)
	v_mul_f32_e32 v55, v46, v211
	v_fmac_f32_e32 v55, v47, v210
	v_add_f32_e32 v54, v54, v55
	s_waitcnt vmcnt(10)
	v_mul_f32_e32 v55, v48, v213
	v_fmac_f32_e32 v55, v49, v212
	v_add_f32_e32 v54, v54, v55
	s_waitcnt vmcnt(8) lgkmcnt(0)
	v_mul_f32_e32 v55, v50, v215
	v_fmac_f32_e32 v55, v51, v214
	s_waitcnt vmcnt(6)
	v_mul_f32_e32 v59, v52, v217
	v_add_f32_e32 v58, v54, v55
	v_fmac_f32_e32 v59, v53, v216
	ds_read_b128 v[54:57], v4 offset:640
	v_add_f32_e32 v63, v58, v59
	ds_read_b128 v[58:61], v4 offset:656
	buffer_load_dword v159, off, s[0:3], 0 offset:324
	buffer_load_dword v158, off, s[0:3], 0 offset:320
	;; [unrolled: 1-line block ×16, first 2 shown]
	v_mul_f32_e32 v5, v7, v5
	v_fma_f32 v5, v6, v179, -v5
	v_mul_f32_e32 v6, v9, v62
	v_add_f32_e32 v5, 0, v5
	v_fma_f32 v6, v8, v180, -v6
	v_add_f32_e32 v5, v5, v6
	v_mul_f32_e32 v6, v11, v64
	v_fma_f32 v6, v10, v181, -v6
	v_add_f32_e32 v5, v5, v6
	v_mul_f32_e32 v6, v13, v156
	;; [unrolled: 3-line block ×22, first 2 shown]
	v_fma_f32 v6, v52, v216, -v6
	s_waitcnt vmcnt(20) lgkmcnt(1)
	v_mul_f32_e32 v65, v54, v219
	v_add_f32_e32 v5, v5, v6
	v_mul_f32_e32 v6, v55, v219
	v_fmac_f32_e32 v65, v55, v218
	v_fma_f32 v6, v54, v218, -v6
	s_waitcnt vmcnt(9)
	v_mov_b32_e32 v22, v165
	v_add_f32_e32 v63, v63, v65
	v_mul_f32_e32 v65, v56, v221
	v_add_f32_e32 v62, v5, v6
	v_mul_f32_e32 v5, v57, v221
	s_waitcnt lgkmcnt(0)
	v_pk_mul_f32 v[22:23], v[60:61], v[22:23] op_sel_hi:[1,0]
	v_fmac_f32_e32 v65, v57, v220
	v_mul_f32_e32 v157, v58, v223
	v_fma_f32 v64, v56, v220, -v5
	v_mul_f32_e32 v5, v59, v223
	ds_read_b128 v[6:9], v4 offset:672
	ds_read_b128 v[10:13], v4 offset:688
	;; [unrolled: 1-line block ×3, first 2 shown]
	ds_read_b64 v[18:19], v4 offset:720
	s_waitcnt vmcnt(8)
	v_pk_fma_f32 v[24:25], v[60:61], v[164:165], v[22:23] op_sel:[0,0,1] op_sel_hi:[1,1,0] neg_lo:[0,0,1] neg_hi:[0,0,1]
	v_pk_fma_f32 v[22:23], v[60:61], v[164:165], v[22:23] op_sel:[0,0,1] op_sel_hi:[1,0,0]
	v_fmac_f32_e32 v157, v59, v222
	v_fma_f32 v156, v58, v222, -v5
	v_pk_add_f32 v[20:21], v[62:63], v[64:65]
	v_mov_b32_e32 v22, v163
	v_pk_add_f32 v[20:21], v[20:21], v[156:157]
	v_mov_b32_e32 v25, v23
	s_waitcnt lgkmcnt(3)
	v_pk_mul_f32 v[22:23], v[6:7], v[22:23] op_sel_hi:[1,0]
	v_pk_add_f32 v[20:21], v[20:21], v[24:25]
	v_pk_fma_f32 v[24:25], v[6:7], v[162:163], v[22:23] op_sel:[0,0,1] op_sel_hi:[1,1,0] neg_lo:[0,0,1] neg_hi:[0,0,1]
	v_pk_fma_f32 v[6:7], v[6:7], v[162:163], v[22:23] op_sel:[0,0,1] op_sel_hi:[1,0,0]
	v_mov_b32_e32 v25, v7
	v_pk_add_f32 v[6:7], v[20:21], v[24:25]
	v_mov_b32_e32 v20, v161
	v_pk_mul_f32 v[20:21], v[8:9], v[20:21] op_sel_hi:[1,0]
	v_pk_fma_f32 v[22:23], v[8:9], v[160:161], v[20:21] op_sel:[0,0,1] op_sel_hi:[1,1,0] neg_lo:[0,0,1] neg_hi:[0,0,1]
	v_pk_fma_f32 v[8:9], v[8:9], v[160:161], v[20:21] op_sel:[0,0,1] op_sel_hi:[1,0,0]
	v_mov_b32_e32 v8, v159
	v_mov_b32_e32 v23, v9
	s_waitcnt lgkmcnt(2)
	v_pk_mul_f32 v[8:9], v[10:11], v[8:9] op_sel_hi:[1,0]
	v_pk_fma_f32 v[20:21], v[10:11], v[158:159], v[8:9] op_sel:[0,0,1] op_sel_hi:[1,1,0] neg_lo:[0,0,1] neg_hi:[0,0,1]
	v_pk_fma_f32 v[8:9], v[10:11], v[158:159], v[8:9] op_sel:[0,0,1] op_sel_hi:[1,0,0]
	s_waitcnt vmcnt(1)
	v_mov_b32_e32 v8, v173
	v_mov_b32_e32 v21, v9
	v_pk_mul_f32 v[8:9], v[12:13], v[8:9] op_sel_hi:[1,0]
	s_waitcnt vmcnt(0)
	v_pk_fma_f32 v[10:11], v[12:13], v[172:173], v[8:9] op_sel:[0,0,1] op_sel_hi:[1,1,0] neg_lo:[0,0,1] neg_hi:[0,0,1]
	v_pk_fma_f32 v[8:9], v[12:13], v[172:173], v[8:9] op_sel:[0,0,1] op_sel_hi:[1,0,0]
	v_pk_add_f32 v[6:7], v[6:7], v[22:23]
	v_mov_b32_e32 v8, v171
	v_pk_add_f32 v[6:7], v[6:7], v[20:21]
	v_mov_b32_e32 v11, v9
	s_waitcnt lgkmcnt(1)
	v_pk_mul_f32 v[8:9], v[14:15], v[8:9] op_sel_hi:[1,0]
	v_pk_add_f32 v[6:7], v[6:7], v[10:11]
	v_pk_fma_f32 v[10:11], v[14:15], v[170:171], v[8:9] op_sel:[0,0,1] op_sel_hi:[1,1,0] neg_lo:[0,0,1] neg_hi:[0,0,1]
	v_pk_fma_f32 v[8:9], v[14:15], v[170:171], v[8:9] op_sel:[0,0,1] op_sel_hi:[1,0,0]
	v_mov_b32_e32 v8, v169
	v_mov_b32_e32 v11, v9
	v_pk_mul_f32 v[8:9], v[16:17], v[8:9] op_sel_hi:[1,0]
	v_pk_add_f32 v[6:7], v[6:7], v[10:11]
	v_pk_fma_f32 v[10:11], v[16:17], v[168:169], v[8:9] op_sel:[0,0,1] op_sel_hi:[1,1,0] neg_lo:[0,0,1] neg_hi:[0,0,1]
	v_pk_fma_f32 v[8:9], v[16:17], v[168:169], v[8:9] op_sel:[0,0,1] op_sel_hi:[1,0,0]
	v_mov_b32_e32 v8, v167
	v_mov_b32_e32 v11, v9
	s_waitcnt lgkmcnt(0)
	v_pk_mul_f32 v[8:9], v[18:19], v[8:9] op_sel_hi:[1,0]
	v_pk_add_f32 v[6:7], v[6:7], v[10:11]
	v_pk_fma_f32 v[10:11], v[18:19], v[166:167], v[8:9] op_sel:[0,0,1] op_sel_hi:[1,1,0] neg_lo:[0,0,1] neg_hi:[0,0,1]
	v_pk_fma_f32 v[8:9], v[18:19], v[166:167], v[8:9] op_sel:[0,0,1] op_sel_hi:[1,0,0]
	v_mov_b32_e32 v11, v9
	v_pk_add_f32 v[6:7], v[6:7], v[10:11]
	v_pk_add_f32 v[2:3], v[2:3], v[6:7] neg_lo:[0,1] neg_hi:[0,1]
	buffer_store_dword v3, off, s[0:3], 0 offset:76
	buffer_store_dword v2, off, s[0:3], 0 offset:72
	s_and_saveexec_b64 s[4:5], vcc
	s_cbranch_execz .LBB44_267
; %bb.266:
	buffer_load_dword v2, off, s[0:3], 0 offset:64
	buffer_load_dword v3, off, s[0:3], 0 offset:68
	s_waitcnt vmcnt(0)
	ds_write_b64 v1, v[2:3]
	buffer_store_dword v4, off, s[0:3], 0 offset:64
	buffer_store_dword v4, off, s[0:3], 0 offset:68
.LBB44_267:
	s_or_b64 exec, exec, s[4:5]
	s_waitcnt lgkmcnt(0)
	; wave barrier
	s_waitcnt lgkmcnt(0)
	buffer_load_dword v5, off, s[0:3], 0 offset:76
	buffer_load_dword v62, off, s[0:3], 0 offset:84
	;; [unrolled: 1-line block ×36, first 2 shown]
	ds_read2_b64 v[6:9], v4 offset0:55 offset1:56
	ds_read2_b64 v[10:13], v4 offset0:57 offset1:58
	buffer_load_dword v204, off, s[0:3], 0 offset:208
	buffer_load_dword v205, off, s[0:3], 0 offset:212
	;; [unrolled: 1-line block ×4, first 2 shown]
	ds_read2_b64 v[14:17], v4 offset0:59 offset1:60
	ds_read2_b64 v[18:21], v4 offset0:61 offset1:62
	buffer_load_dword v208, off, s[0:3], 0 offset:224
	buffer_load_dword v209, off, s[0:3], 0 offset:228
	ds_read2_b64 v[22:25], v4 offset0:63 offset1:64
	ds_read2_b64 v[26:29], v4 offset0:65 offset1:66
	buffer_load_dword v210, off, s[0:3], 0 offset:232
	buffer_load_dword v211, off, s[0:3], 0 offset:236
	;; [unrolled: 1-line block ×16, first 2 shown]
	v_cmp_lt_u32_e32 vcc, 7, v0
	s_waitcnt vmcnt(57) lgkmcnt(5)
	v_mul_f32_e32 v30, v6, v5
	s_waitcnt vmcnt(56)
	v_mul_f32_e32 v31, v8, v62
	s_waitcnt vmcnt(55) lgkmcnt(4)
	v_mul_f32_e32 v32, v10, v64
	s_waitcnt vmcnt(54)
	v_mul_f32_e32 v33, v12, v162
	;; [unrolled: 4-line block ×4, first 2 shown]
	s_waitcnt vmcnt(49)
	v_fmac_f32_e32 v30, v7, v178
	s_waitcnt vmcnt(48)
	v_fmac_f32_e32 v31, v9, v179
	v_add_f32_e32 v30, 0, v30
	s_waitcnt vmcnt(47)
	v_fmac_f32_e32 v32, v11, v180
	v_add_f32_e32 v30, v30, v31
	;; [unrolled: 3-line block ×7, first 2 shown]
	s_waitcnt vmcnt(41) lgkmcnt(1)
	v_mul_f32_e32 v31, v22, v186
	v_add_f32_e32 v30, v30, v37
	s_waitcnt vmcnt(40)
	v_fmac_f32_e32 v31, v23, v187
	v_add_f32_e32 v30, v30, v31
	s_waitcnt vmcnt(39)
	v_mul_f32_e32 v31, v24, v188
	s_waitcnt vmcnt(38)
	v_fmac_f32_e32 v31, v25, v189
	v_add_f32_e32 v30, v30, v31
	s_waitcnt vmcnt(37) lgkmcnt(0)
	v_mul_f32_e32 v31, v26, v190
	s_waitcnt vmcnt(36)
	v_fmac_f32_e32 v31, v27, v191
	v_add_f32_e32 v34, v30, v31
	ds_read2_b64 v[30:33], v4 offset0:67 offset1:68
	s_waitcnt vmcnt(35)
	v_mul_f32_e32 v35, v28, v192
	s_waitcnt vmcnt(34)
	v_fmac_f32_e32 v35, v29, v193
	v_add_f32_e32 v38, v34, v35
	ds_read2_b64 v[34:37], v4 offset0:69 offset1:70
	s_waitcnt vmcnt(33) lgkmcnt(1)
	v_mul_f32_e32 v39, v30, v194
	s_waitcnt vmcnt(32)
	v_fmac_f32_e32 v39, v31, v195
	v_add_f32_e32 v38, v38, v39
	s_waitcnt vmcnt(31)
	v_mul_f32_e32 v39, v32, v196
	s_waitcnt vmcnt(30)
	v_fmac_f32_e32 v39, v33, v197
	v_add_f32_e32 v38, v38, v39
	s_waitcnt vmcnt(29) lgkmcnt(0)
	v_mul_f32_e32 v39, v34, v198
	s_waitcnt vmcnt(28)
	v_fmac_f32_e32 v39, v35, v199
	v_add_f32_e32 v42, v38, v39
	ds_read2_b64 v[38:41], v4 offset0:71 offset1:72
	s_waitcnt vmcnt(25)
	v_mul_f32_e32 v43, v36, v200
	s_waitcnt vmcnt(24)
	v_fmac_f32_e32 v43, v37, v201
	v_add_f32_e32 v46, v42, v43
	ds_read2_b64 v[42:45], v4 offset0:73 offset1:74
	s_waitcnt vmcnt(22) lgkmcnt(1)
	v_mul_f32_e32 v47, v38, v203
	v_fmac_f32_e32 v47, v39, v202
	v_add_f32_e32 v46, v46, v47
	s_waitcnt vmcnt(20)
	v_mul_f32_e32 v47, v40, v205
	v_fmac_f32_e32 v47, v41, v204
	v_add_f32_e32 v46, v46, v47
	s_waitcnt vmcnt(18) lgkmcnt(0)
	v_mul_f32_e32 v47, v42, v207
	v_fmac_f32_e32 v47, v43, v206
	v_add_f32_e32 v50, v46, v47
	ds_read2_b64 v[46:49], v4 offset0:75 offset1:76
	s_waitcnt vmcnt(16)
	v_mul_f32_e32 v51, v44, v209
	v_fmac_f32_e32 v51, v45, v208
	v_add_f32_e32 v54, v50, v51
	ds_read2_b64 v[50:53], v4 offset0:77 offset1:78
	s_waitcnt vmcnt(14) lgkmcnt(1)
	v_mul_f32_e32 v55, v46, v211
	v_fmac_f32_e32 v55, v47, v210
	v_add_f32_e32 v54, v54, v55
	s_waitcnt vmcnt(12)
	v_mul_f32_e32 v55, v48, v213
	v_fmac_f32_e32 v55, v49, v212
	v_add_f32_e32 v54, v54, v55
	s_waitcnt vmcnt(10) lgkmcnt(0)
	v_mul_f32_e32 v55, v50, v215
	v_fmac_f32_e32 v55, v51, v214
	s_waitcnt vmcnt(8)
	v_mul_f32_e32 v59, v52, v217
	v_add_f32_e32 v58, v54, v55
	v_fmac_f32_e32 v59, v53, v216
	ds_read2_b64 v[54:57], v4 offset0:79 offset1:80
	v_add_f32_e32 v63, v58, v59
	ds_read2_b64 v[58:61], v4 offset0:81 offset1:82
	buffer_load_dword v157, off, s[0:3], 0 offset:316
	buffer_load_dword v156, off, s[0:3], 0 offset:312
	;; [unrolled: 1-line block ×16, first 2 shown]
	v_mul_f32_e32 v5, v7, v5
	v_fma_f32 v5, v6, v178, -v5
	v_mul_f32_e32 v6, v9, v62
	v_add_f32_e32 v5, 0, v5
	v_fma_f32 v6, v8, v179, -v6
	v_add_f32_e32 v5, v5, v6
	v_mul_f32_e32 v6, v11, v64
	v_fma_f32 v6, v10, v180, -v6
	v_add_f32_e32 v5, v5, v6
	v_mul_f32_e32 v6, v13, v162
	;; [unrolled: 3-line block ×22, first 2 shown]
	v_fma_f32 v6, v52, v216, -v6
	v_add_f32_e32 v5, v5, v6
	s_waitcnt vmcnt(22) lgkmcnt(1)
	v_mul_f32_e32 v6, v55, v219
	v_fma_f32 v6, v54, v218, -v6
	v_add_f32_e32 v5, v5, v6
	s_waitcnt vmcnt(20)
	v_mul_f32_e32 v6, v57, v221
	v_fma_f32 v6, v56, v220, -v6
	v_add_f32_e32 v62, v5, v6
	ds_read2_b64 v[6:9], v4 offset0:83 offset1:84
	ds_read2_b64 v[10:13], v4 offset0:85 offset1:86
	ds_read2_b64 v[14:17], v4 offset0:87 offset1:88
	ds_read2_b64 v[18:21], v4 offset0:89 offset1:90
	s_waitcnt vmcnt(11)
	v_mov_b32_e32 v22, v161
	v_mul_f32_e32 v65, v54, v219
	s_waitcnt lgkmcnt(3)
	v_pk_mul_f32 v[22:23], v[6:7], v[22:23] op_sel_hi:[1,0]
	v_fmac_f32_e32 v65, v55, v218
	s_waitcnt vmcnt(10)
	v_pk_fma_f32 v[24:25], v[6:7], v[160:161], v[22:23] op_sel:[0,0,1] op_sel_hi:[1,1,0] neg_lo:[0,0,1] neg_hi:[0,0,1]
	v_pk_fma_f32 v[6:7], v[6:7], v[160:161], v[22:23] op_sel:[0,0,1] op_sel_hi:[1,0,0]
	v_add_f32_e32 v63, v63, v65
	v_mul_f32_e32 v65, v56, v221
	v_mov_b32_e32 v6, v159
	v_fmac_f32_e32 v65, v57, v220
	v_mov_b32_e32 v25, v7
	v_pk_mul_f32 v[6:7], v[8:9], v[6:7] op_sel_hi:[1,0]
	v_add_f32_e32 v63, v63, v65
	v_mul_f32_e32 v65, v58, v223
	v_mul_f32_e32 v5, v59, v223
	v_pk_fma_f32 v[22:23], v[8:9], v[158:159], v[6:7] op_sel:[0,0,1] op_sel_hi:[1,1,0] neg_lo:[0,0,1] neg_hi:[0,0,1]
	v_pk_fma_f32 v[6:7], v[8:9], v[158:159], v[6:7] op_sel:[0,0,1] op_sel_hi:[1,0,0]
	v_fmac_f32_e32 v65, v59, v222
	v_mul_f32_e32 v163, v60, v225
	v_fma_f32 v64, v58, v222, -v5
	v_mul_f32_e32 v5, v61, v225
	v_mov_b32_e32 v6, v157
	v_fmac_f32_e32 v163, v61, v224
	v_fma_f32 v162, v60, v224, -v5
	v_pk_add_f32 v[4:5], v[62:63], v[64:65]
	v_mov_b32_e32 v23, v7
	s_waitcnt lgkmcnt(2)
	v_pk_mul_f32 v[6:7], v[10:11], v[6:7] op_sel_hi:[1,0]
	v_pk_add_f32 v[4:5], v[4:5], v[162:163]
	v_pk_fma_f32 v[8:9], v[10:11], v[156:157], v[6:7] op_sel:[0,0,1] op_sel_hi:[1,1,0] neg_lo:[0,0,1] neg_hi:[0,0,1]
	v_pk_fma_f32 v[6:7], v[10:11], v[156:157], v[6:7] op_sel:[0,0,1] op_sel_hi:[1,0,0]
	v_pk_add_f32 v[4:5], v[4:5], v[24:25]
	s_waitcnt vmcnt(3)
	v_mov_b32_e32 v6, v171
	v_pk_add_f32 v[4:5], v[4:5], v[22:23]
	v_mov_b32_e32 v9, v7
	v_pk_mul_f32 v[6:7], v[12:13], v[6:7] op_sel_hi:[1,0]
	v_pk_add_f32 v[4:5], v[4:5], v[8:9]
	s_waitcnt vmcnt(2)
	v_pk_fma_f32 v[8:9], v[12:13], v[170:171], v[6:7] op_sel:[0,0,1] op_sel_hi:[1,1,0] neg_lo:[0,0,1] neg_hi:[0,0,1]
	v_pk_fma_f32 v[6:7], v[12:13], v[170:171], v[6:7] op_sel:[0,0,1] op_sel_hi:[1,0,0]
	v_mov_b32_e32 v6, v169
	v_mov_b32_e32 v9, v7
	s_waitcnt lgkmcnt(1)
	v_pk_mul_f32 v[6:7], v[14:15], v[6:7] op_sel_hi:[1,0]
	v_pk_add_f32 v[4:5], v[4:5], v[8:9]
	v_pk_fma_f32 v[8:9], v[14:15], v[168:169], v[6:7] op_sel:[0,0,1] op_sel_hi:[1,1,0] neg_lo:[0,0,1] neg_hi:[0,0,1]
	v_pk_fma_f32 v[6:7], v[14:15], v[168:169], v[6:7] op_sel:[0,0,1] op_sel_hi:[1,0,0]
	v_mov_b32_e32 v6, v167
	v_mov_b32_e32 v9, v7
	v_pk_mul_f32 v[6:7], v[16:17], v[6:7] op_sel_hi:[1,0]
	v_pk_add_f32 v[4:5], v[4:5], v[8:9]
	v_pk_fma_f32 v[8:9], v[16:17], v[166:167], v[6:7] op_sel:[0,0,1] op_sel_hi:[1,1,0] neg_lo:[0,0,1] neg_hi:[0,0,1]
	v_pk_fma_f32 v[6:7], v[16:17], v[166:167], v[6:7] op_sel:[0,0,1] op_sel_hi:[1,0,0]
	v_mov_b32_e32 v6, v165
	v_mov_b32_e32 v9, v7
	s_waitcnt lgkmcnt(0)
	v_pk_mul_f32 v[6:7], v[18:19], v[6:7] op_sel_hi:[1,0]
	v_pk_add_f32 v[4:5], v[4:5], v[8:9]
	v_pk_fma_f32 v[8:9], v[18:19], v[164:165], v[6:7] op_sel:[0,0,1] op_sel_hi:[1,1,0] neg_lo:[0,0,1] neg_hi:[0,0,1]
	v_pk_fma_f32 v[6:7], v[18:19], v[164:165], v[6:7] op_sel:[0,0,1] op_sel_hi:[1,0,0]
	s_waitcnt vmcnt(1)
	v_mov_b32_e32 v6, v173
	v_mov_b32_e32 v9, v7
	v_pk_mul_f32 v[6:7], v[20:21], v[6:7] op_sel_hi:[1,0]
	v_pk_add_f32 v[4:5], v[4:5], v[8:9]
	s_waitcnt vmcnt(0)
	v_pk_fma_f32 v[8:9], v[20:21], v[172:173], v[6:7] op_sel:[0,0,1] op_sel_hi:[1,1,0] neg_lo:[0,0,1] neg_hi:[0,0,1]
	v_pk_fma_f32 v[6:7], v[20:21], v[172:173], v[6:7] op_sel:[0,0,1] op_sel_hi:[1,0,0]
	v_mov_b32_e32 v9, v7
	v_pk_add_f32 v[4:5], v[4:5], v[8:9]
	v_pk_add_f32 v[2:3], v[2:3], v[4:5] neg_lo:[0,1] neg_hi:[0,1]
	buffer_store_dword v3, off, s[0:3], 0 offset:68
	buffer_store_dword v2, off, s[0:3], 0 offset:64
	s_and_saveexec_b64 s[4:5], vcc
	s_cbranch_execz .LBB44_269
; %bb.268:
	buffer_load_dword v2, off, s[0:3], 0 offset:56
	buffer_load_dword v3, off, s[0:3], 0 offset:60
	v_mov_b32_e32 v4, 0
	buffer_store_dword v4, off, s[0:3], 0 offset:56
	buffer_store_dword v4, off, s[0:3], 0 offset:60
	s_waitcnt vmcnt(2)
	ds_write_b64 v1, v[2:3]
.LBB44_269:
	s_or_b64 exec, exec, s[4:5]
	s_waitcnt lgkmcnt(0)
	; wave barrier
	s_waitcnt lgkmcnt(0)
	buffer_load_dword v17, off, s[0:3], 0 offset:68
	buffer_load_dword v160, off, s[0:3], 0 offset:76
	;; [unrolled: 1-line block ×56, first 2 shown]
	v_mov_b32_e32 v16, 0
	ds_read_b128 v[2:5], v16 offset:432
	buffer_load_dword v232, off, s[0:3], 0 offset:280
	buffer_load_dword v233, off, s[0:3], 0 offset:284
	;; [unrolled: 1-line block ×4, first 2 shown]
	ds_read_b128 v[8:11], v16 offset:448
	ds_read_b128 v[12:15], v16 offset:464
	;; [unrolled: 1-line block ×3, first 2 shown]
	v_cmp_lt_u32_e32 vcc, 6, v0
	s_waitcnt vmcnt(59) lgkmcnt(3)
	v_mul_f32_e32 v22, v2, v17
	s_waitcnt vmcnt(58)
	v_mul_f32_e32 v23, v4, v160
	s_waitcnt vmcnt(57) lgkmcnt(2)
	v_mul_f32_e32 v24, v8, v166
	s_waitcnt vmcnt(56)
	v_mul_f32_e32 v25, v10, v168
	s_waitcnt vmcnt(55) lgkmcnt(1)
	v_mul_f32_e32 v26, v12, v182
	s_waitcnt vmcnt(54)
	v_mul_f32_e32 v27, v14, v183
	s_waitcnt vmcnt(53) lgkmcnt(0)
	v_mul_f32_e32 v28, v18, v184
	s_waitcnt vmcnt(52)
	v_fmac_f32_e32 v22, v3, v185
	s_waitcnt vmcnt(51)
	v_fmac_f32_e32 v23, v5, v186
	v_add_f32_e32 v22, 0, v22
	s_waitcnt vmcnt(50)
	v_fmac_f32_e32 v24, v9, v187
	v_add_f32_e32 v22, v22, v23
	s_waitcnt vmcnt(49)
	v_fmac_f32_e32 v25, v11, v188
	v_add_f32_e32 v22, v22, v24
	s_waitcnt vmcnt(48)
	v_fmac_f32_e32 v26, v13, v189
	v_add_f32_e32 v22, v22, v25
	s_waitcnt vmcnt(47)
	v_fmac_f32_e32 v27, v15, v190
	v_add_f32_e32 v22, v22, v26
	s_waitcnt vmcnt(46)
	v_fmac_f32_e32 v28, v19, v191
	v_add_f32_e32 v22, v22, v27
	v_add_f32_e32 v26, v22, v28
	ds_read_b128 v[22:25], v16 offset:496
	s_waitcnt vmcnt(45)
	v_mul_f32_e32 v27, v20, v192
	s_waitcnt vmcnt(44)
	v_fmac_f32_e32 v27, v21, v193
	v_add_f32_e32 v30, v26, v27
	ds_read_b128 v[26:29], v16 offset:512
	s_waitcnt vmcnt(43) lgkmcnt(1)
	v_mul_f32_e32 v31, v22, v194
	s_waitcnt vmcnt(42)
	v_fmac_f32_e32 v31, v23, v195
	v_add_f32_e32 v30, v30, v31
	s_waitcnt vmcnt(41)
	v_mul_f32_e32 v31, v24, v196
	s_waitcnt vmcnt(40)
	v_fmac_f32_e32 v31, v25, v197
	v_add_f32_e32 v30, v30, v31
	s_waitcnt vmcnt(39) lgkmcnt(0)
	v_mul_f32_e32 v31, v26, v198
	s_waitcnt vmcnt(38)
	v_fmac_f32_e32 v31, v27, v199
	v_add_f32_e32 v34, v30, v31
	ds_read_b128 v[30:33], v16 offset:528
	s_waitcnt vmcnt(37)
	v_mul_f32_e32 v35, v28, v200
	s_waitcnt vmcnt(36)
	v_fmac_f32_e32 v35, v29, v201
	v_add_f32_e32 v38, v34, v35
	ds_read_b128 v[34:37], v16 offset:544
	s_waitcnt vmcnt(34) lgkmcnt(1)
	v_mul_f32_e32 v39, v30, v203
	v_fmac_f32_e32 v39, v31, v202
	v_add_f32_e32 v38, v38, v39
	s_waitcnt vmcnt(31)
	v_mul_f32_e32 v39, v32, v204
	s_waitcnt vmcnt(30)
	v_fmac_f32_e32 v39, v33, v205
	v_add_f32_e32 v38, v38, v39
	s_waitcnt vmcnt(28) lgkmcnt(0)
	v_mul_f32_e32 v39, v34, v207
	v_fmac_f32_e32 v39, v35, v206
	v_add_f32_e32 v42, v38, v39
	ds_read_b128 v[38:41], v16 offset:560
	s_waitcnt vmcnt(26)
	v_mul_f32_e32 v43, v36, v209
	v_fmac_f32_e32 v43, v37, v208
	v_add_f32_e32 v46, v42, v43
	ds_read_b128 v[42:45], v16 offset:576
	s_waitcnt vmcnt(24) lgkmcnt(1)
	v_mul_f32_e32 v47, v38, v211
	v_fmac_f32_e32 v47, v39, v210
	v_add_f32_e32 v46, v46, v47
	s_waitcnt vmcnt(22)
	v_mul_f32_e32 v47, v40, v213
	v_fmac_f32_e32 v47, v41, v212
	v_add_f32_e32 v46, v46, v47
	s_waitcnt vmcnt(20) lgkmcnt(0)
	v_mul_f32_e32 v47, v42, v215
	v_fmac_f32_e32 v47, v43, v214
	v_add_f32_e32 v50, v46, v47
	ds_read_b128 v[46:49], v16 offset:592
	s_waitcnt vmcnt(18)
	v_mul_f32_e32 v51, v44, v217
	v_fmac_f32_e32 v51, v45, v216
	v_add_f32_e32 v54, v50, v51
	ds_read_b128 v[50:53], v16 offset:608
	s_waitcnt vmcnt(16) lgkmcnt(1)
	v_mul_f32_e32 v55, v46, v219
	v_fmac_f32_e32 v55, v47, v218
	v_add_f32_e32 v54, v54, v55
	s_waitcnt vmcnt(14)
	v_mul_f32_e32 v55, v48, v221
	;; [unrolled: 18-line block ×3, first 2 shown]
	v_fmac_f32_e32 v63, v57, v228
	v_add_f32_e32 v62, v62, v63
	s_waitcnt vmcnt(4) lgkmcnt(0)
	v_mul_f32_e32 v63, v58, v231
	v_fmac_f32_e32 v63, v59, v230
	v_add_f32_e32 v161, v62, v63
	ds_read_b128 v[62:65], v16 offset:656
	buffer_load_dword v163, off, s[0:3], 0 offset:308
	buffer_load_dword v162, off, s[0:3], 0 offset:304
	;; [unrolled: 1-line block ×4, first 2 shown]
	ds_read_b128 v[156:159], v16 offset:672
	buffer_load_dword v171, off, s[0:3], 0 offset:340
	buffer_load_dword v170, off, s[0:3], 0 offset:336
	;; [unrolled: 1-line block ×12, first 2 shown]
	v_mul_f32_e32 v3, v3, v17
	v_fma_f32 v2, v2, v185, -v3
	v_mul_f32_e32 v3, v5, v160
	v_add_f32_e32 v2, 0, v2
	v_fma_f32 v3, v4, v186, -v3
	v_add_f32_e32 v2, v2, v3
	v_mul_f32_e32 v3, v9, v166
	v_fma_f32 v3, v8, v187, -v3
	v_add_f32_e32 v2, v2, v3
	v_mul_f32_e32 v3, v11, v168
	;; [unrolled: 3-line block ×25, first 2 shown]
	v_fma_f32 v3, v58, v230, -v3
	s_waitcnt vmcnt(13)
	v_mov_b32_e32 v18, v165
	v_mul_f32_e32 v167, v60, v233
	v_add_f32_e32 v160, v2, v3
	v_mul_f32_e32 v2, v61, v233
	s_waitcnt lgkmcnt(1)
	v_pk_mul_f32 v[18:19], v[64:65], v[18:19] op_sel_hi:[1,0]
	v_fmac_f32_e32 v167, v61, v232
	v_mul_f32_e32 v169, v62, v235
	v_fma_f32 v166, v60, v232, -v2
	v_mul_f32_e32 v2, v63, v235
	s_waitcnt vmcnt(12)
	v_pk_fma_f32 v[20:21], v[64:65], v[164:165], v[18:19] op_sel:[0,0,1] op_sel_hi:[1,1,0] neg_lo:[0,0,1] neg_hi:[0,0,1]
	v_pk_fma_f32 v[18:19], v[64:65], v[164:165], v[18:19] op_sel:[0,0,1] op_sel_hi:[1,0,0]
	v_fmac_f32_e32 v169, v63, v234
	v_fma_f32 v168, v62, v234, -v2
	v_pk_add_f32 v[14:15], v[160:161], v[166:167]
	v_mov_b32_e32 v18, v163
	v_pk_add_f32 v[14:15], v[14:15], v[168:169]
	v_mov_b32_e32 v21, v19
	s_waitcnt lgkmcnt(0)
	v_pk_mul_f32 v[18:19], v[156:157], v[18:19] op_sel_hi:[1,0]
	v_pk_add_f32 v[14:15], v[14:15], v[20:21]
	v_pk_fma_f32 v[20:21], v[156:157], v[162:163], v[18:19] op_sel:[0,0,1] op_sel_hi:[1,1,0] neg_lo:[0,0,1] neg_hi:[0,0,1]
	v_pk_fma_f32 v[18:19], v[156:157], v[162:163], v[18:19] op_sel:[0,0,1] op_sel_hi:[1,0,0]
	s_waitcnt vmcnt(5)
	v_mov_b32_e32 v18, v177
	ds_read_b128 v[2:5], v16 offset:688
	ds_read_b128 v[8:11], v16 offset:704
	ds_read_b64 v[12:13], v16 offset:720
	v_mov_b32_e32 v21, v19
	v_pk_mul_f32 v[18:19], v[158:159], v[18:19] op_sel_hi:[1,0]
	v_pk_add_f32 v[14:15], v[14:15], v[20:21]
	s_waitcnt vmcnt(4)
	v_pk_fma_f32 v[20:21], v[158:159], v[176:177], v[18:19] op_sel:[0,0,1] op_sel_hi:[1,1,0] neg_lo:[0,0,1] neg_hi:[0,0,1]
	v_pk_fma_f32 v[18:19], v[158:159], v[176:177], v[18:19] op_sel:[0,0,1] op_sel_hi:[1,0,0]
	v_mov_b32_e32 v18, v175
	v_mov_b32_e32 v21, v19
	s_waitcnt lgkmcnt(2)
	v_pk_mul_f32 v[18:19], v[2:3], v[18:19] op_sel_hi:[1,0]
	v_pk_add_f32 v[14:15], v[14:15], v[20:21]
	v_pk_fma_f32 v[20:21], v[2:3], v[174:175], v[18:19] op_sel:[0,0,1] op_sel_hi:[1,1,0] neg_lo:[0,0,1] neg_hi:[0,0,1]
	v_pk_fma_f32 v[2:3], v[2:3], v[174:175], v[18:19] op_sel:[0,0,1] op_sel_hi:[1,0,0]
	v_mov_b32_e32 v21, v3
	v_pk_add_f32 v[2:3], v[14:15], v[20:21]
	v_mov_b32_e32 v14, v173
	v_pk_mul_f32 v[14:15], v[4:5], v[14:15] op_sel_hi:[1,0]
	v_pk_fma_f32 v[18:19], v[4:5], v[172:173], v[14:15] op_sel:[0,0,1] op_sel_hi:[1,1,0] neg_lo:[0,0,1] neg_hi:[0,0,1]
	v_pk_fma_f32 v[4:5], v[4:5], v[172:173], v[14:15] op_sel:[0,0,1] op_sel_hi:[1,0,0]
	v_mov_b32_e32 v4, v171
	v_mov_b32_e32 v19, v5
	s_waitcnt lgkmcnt(1)
	v_pk_mul_f32 v[4:5], v[8:9], v[4:5] op_sel_hi:[1,0]
	v_pk_fma_f32 v[14:15], v[8:9], v[170:171], v[4:5] op_sel:[0,0,1] op_sel_hi:[1,1,0] neg_lo:[0,0,1] neg_hi:[0,0,1]
	v_pk_fma_f32 v[4:5], v[8:9], v[170:171], v[4:5] op_sel:[0,0,1] op_sel_hi:[1,0,0]
	s_waitcnt vmcnt(1)
	v_mov_b32_e32 v4, v181
	v_mov_b32_e32 v15, v5
	v_pk_mul_f32 v[4:5], v[10:11], v[4:5] op_sel_hi:[1,0]
	s_waitcnt vmcnt(0)
	v_pk_fma_f32 v[8:9], v[10:11], v[180:181], v[4:5] op_sel:[0,0,1] op_sel_hi:[1,1,0] neg_lo:[0,0,1] neg_hi:[0,0,1]
	v_pk_fma_f32 v[4:5], v[10:11], v[180:181], v[4:5] op_sel:[0,0,1] op_sel_hi:[1,0,0]
	v_pk_add_f32 v[2:3], v[2:3], v[18:19]
	v_mov_b32_e32 v4, v179
	v_pk_add_f32 v[2:3], v[2:3], v[14:15]
	v_mov_b32_e32 v9, v5
	s_waitcnt lgkmcnt(0)
	v_pk_mul_f32 v[4:5], v[12:13], v[4:5] op_sel_hi:[1,0]
	v_pk_add_f32 v[2:3], v[2:3], v[8:9]
	v_pk_fma_f32 v[8:9], v[12:13], v[178:179], v[4:5] op_sel:[0,0,1] op_sel_hi:[1,1,0] neg_lo:[0,0,1] neg_hi:[0,0,1]
	v_pk_fma_f32 v[4:5], v[12:13], v[178:179], v[4:5] op_sel:[0,0,1] op_sel_hi:[1,0,0]
	v_mov_b32_e32 v9, v5
	v_pk_add_f32 v[2:3], v[2:3], v[8:9]
	v_pk_add_f32 v[2:3], v[6:7], v[2:3] neg_lo:[0,1] neg_hi:[0,1]
	buffer_store_dword v3, off, s[0:3], 0 offset:60
	buffer_store_dword v2, off, s[0:3], 0 offset:56
	s_and_saveexec_b64 s[4:5], vcc
	s_cbranch_execz .LBB44_271
; %bb.270:
	buffer_load_dword v2, off, s[0:3], 0 offset:48
	buffer_load_dword v3, off, s[0:3], 0 offset:52
	s_waitcnt vmcnt(0)
	ds_write_b64 v1, v[2:3]
	buffer_store_dword v16, off, s[0:3], 0 offset:48
	buffer_store_dword v16, off, s[0:3], 0 offset:52
.LBB44_271:
	s_or_b64 exec, exec, s[4:5]
	s_waitcnt lgkmcnt(0)
	; wave barrier
	s_waitcnt lgkmcnt(0)
	buffer_load_dword v17, off, s[0:3], 0 offset:60
	buffer_load_dword v162, off, s[0:3], 0 offset:68
	;; [unrolled: 1-line block ×32, first 2 shown]
	ds_read2_b64 v[18:21], v16 offset0:53 offset1:54
	ds_read2_b64 v[6:9], v16 offset0:55 offset1:56
	buffer_load_dword v208, off, s[0:3], 0 offset:176
	buffer_load_dword v209, off, s[0:3], 0 offset:180
	ds_read2_b64 v[10:13], v16 offset0:57 offset1:58
	ds_read2_b64 v[2:5], v16 offset0:59 offset1:60
	buffer_load_dword v210, off, s[0:3], 0 offset:184
	buffer_load_dword v211, off, s[0:3], 0 offset:188
	;; [unrolled: 1-line block ×28, first 2 shown]
	v_cmp_lt_u32_e32 vcc, 5, v0
	s_waitcnt vmcnt(61) lgkmcnt(3)
	v_mul_f32_e32 v22, v18, v17
	s_waitcnt vmcnt(60)
	v_mul_f32_e32 v23, v20, v162
	s_waitcnt vmcnt(59) lgkmcnt(2)
	v_mul_f32_e32 v24, v6, v164
	s_waitcnt vmcnt(58)
	v_mul_f32_e32 v25, v8, v166
	;; [unrolled: 4-line block ×3, first 2 shown]
	s_waitcnt vmcnt(55) lgkmcnt(0)
	v_mul_f32_e32 v28, v2, v184
	s_waitcnt vmcnt(54)
	v_fmac_f32_e32 v22, v19, v185
	s_waitcnt vmcnt(53)
	v_fmac_f32_e32 v23, v21, v186
	v_add_f32_e32 v22, 0, v22
	s_waitcnt vmcnt(52)
	v_fmac_f32_e32 v24, v7, v187
	v_add_f32_e32 v22, v22, v23
	;; [unrolled: 3-line block ×6, first 2 shown]
	v_add_f32_e32 v26, v22, v28
	ds_read2_b64 v[22:25], v16 offset0:61 offset1:62
	s_waitcnt vmcnt(47)
	v_mul_f32_e32 v27, v4, v192
	s_waitcnt vmcnt(46)
	v_fmac_f32_e32 v27, v5, v193
	v_add_f32_e32 v30, v26, v27
	ds_read2_b64 v[26:29], v16 offset0:63 offset1:64
	s_waitcnt vmcnt(45) lgkmcnt(1)
	v_mul_f32_e32 v31, v22, v194
	s_waitcnt vmcnt(44)
	v_fmac_f32_e32 v31, v23, v195
	v_add_f32_e32 v30, v30, v31
	s_waitcnt vmcnt(43)
	v_mul_f32_e32 v31, v24, v196
	s_waitcnt vmcnt(42)
	v_fmac_f32_e32 v31, v25, v197
	v_add_f32_e32 v30, v30, v31
	s_waitcnt vmcnt(41) lgkmcnt(0)
	v_mul_f32_e32 v31, v26, v198
	s_waitcnt vmcnt(40)
	v_fmac_f32_e32 v31, v27, v199
	v_add_f32_e32 v34, v30, v31
	ds_read2_b64 v[30:33], v16 offset0:65 offset1:66
	s_waitcnt vmcnt(39)
	v_mul_f32_e32 v35, v28, v200
	s_waitcnt vmcnt(38)
	v_fmac_f32_e32 v35, v29, v201
	v_add_f32_e32 v38, v34, v35
	ds_read2_b64 v[34:37], v16 offset0:67 offset1:68
	s_waitcnt vmcnt(35) lgkmcnt(1)
	v_mul_f32_e32 v39, v30, v202
	s_waitcnt vmcnt(34)
	v_fmac_f32_e32 v39, v31, v203
	v_add_f32_e32 v38, v38, v39
	s_waitcnt vmcnt(32)
	v_mul_f32_e32 v39, v32, v205
	v_fmac_f32_e32 v39, v33, v204
	v_add_f32_e32 v38, v38, v39
	s_waitcnt vmcnt(30) lgkmcnt(0)
	v_mul_f32_e32 v39, v34, v207
	v_fmac_f32_e32 v39, v35, v206
	v_add_f32_e32 v42, v38, v39
	ds_read2_b64 v[38:41], v16 offset0:69 offset1:70
	s_waitcnt vmcnt(28)
	v_mul_f32_e32 v43, v36, v209
	v_fmac_f32_e32 v43, v37, v208
	v_add_f32_e32 v46, v42, v43
	ds_read2_b64 v[42:45], v16 offset0:71 offset1:72
	s_waitcnt vmcnt(26) lgkmcnt(1)
	v_mul_f32_e32 v47, v38, v211
	v_fmac_f32_e32 v47, v39, v210
	v_add_f32_e32 v46, v46, v47
	s_waitcnt vmcnt(24)
	v_mul_f32_e32 v47, v40, v213
	v_fmac_f32_e32 v47, v41, v212
	v_add_f32_e32 v46, v46, v47
	s_waitcnt vmcnt(22) lgkmcnt(0)
	v_mul_f32_e32 v47, v42, v215
	v_fmac_f32_e32 v47, v43, v214
	v_add_f32_e32 v50, v46, v47
	ds_read2_b64 v[46:49], v16 offset0:73 offset1:74
	s_waitcnt vmcnt(20)
	v_mul_f32_e32 v51, v44, v217
	v_fmac_f32_e32 v51, v45, v216
	v_add_f32_e32 v54, v50, v51
	ds_read2_b64 v[50:53], v16 offset0:75 offset1:76
	s_waitcnt vmcnt(18) lgkmcnt(1)
	v_mul_f32_e32 v55, v46, v219
	v_fmac_f32_e32 v55, v47, v218
	v_add_f32_e32 v54, v54, v55
	s_waitcnt vmcnt(16)
	v_mul_f32_e32 v55, v48, v221
	v_fmac_f32_e32 v55, v49, v220
	v_add_f32_e32 v54, v54, v55
	s_waitcnt vmcnt(14) lgkmcnt(0)
	v_mul_f32_e32 v55, v50, v223
	v_fmac_f32_e32 v55, v51, v222
	v_add_f32_e32 v58, v54, v55
	ds_read2_b64 v[54:57], v16 offset0:77 offset1:78
	s_waitcnt vmcnt(12)
	v_mul_f32_e32 v59, v52, v225
	v_fmac_f32_e32 v59, v53, v224
	v_add_f32_e32 v62, v58, v59
	ds_read2_b64 v[58:61], v16 offset0:79 offset1:80
	buffer_load_dword v161, off, s[0:3], 0 offset:300
	buffer_load_dword v160, off, s[0:3], 0 offset:296
	s_waitcnt vmcnt(12) lgkmcnt(1)
	v_mul_f32_e32 v63, v54, v227
	v_fmac_f32_e32 v63, v55, v226
	v_add_f32_e32 v62, v62, v63
	s_waitcnt vmcnt(10)
	v_mul_f32_e32 v63, v56, v229
	v_fmac_f32_e32 v63, v57, v228
	v_add_f32_e32 v62, v62, v63
	s_waitcnt vmcnt(8) lgkmcnt(0)
	v_mul_f32_e32 v63, v58, v231
	v_fmac_f32_e32 v63, v59, v230
	s_waitcnt vmcnt(6)
	v_mul_f32_e32 v157, v60, v233
	v_add_f32_e32 v156, v62, v63
	v_fmac_f32_e32 v157, v61, v232
	ds_read2_b64 v[62:65], v16 offset0:81 offset1:82
	v_add_f32_e32 v163, v156, v157
	ds_read2_b64 v[156:159], v16 offset0:83 offset1:84
	buffer_load_dword v169, off, s[0:3], 0 offset:332
	buffer_load_dword v168, off, s[0:3], 0 offset:328
	;; [unrolled: 1-line block ×14, first 2 shown]
	v_mul_f32_e32 v17, v19, v17
	v_fma_f32 v17, v18, v185, -v17
	v_mul_f32_e32 v18, v21, v162
	v_add_f32_e32 v17, 0, v17
	v_fma_f32 v18, v20, v186, -v18
	v_mul_f32_e32 v7, v7, v164
	v_add_f32_e32 v17, v17, v18
	;; [unrolled: 3-line block ×3, first 2 shown]
	v_fma_f32 v7, v8, v188, -v7
	v_add_f32_e32 v6, v6, v7
	v_mul_f32_e32 v7, v11, v182
	v_fma_f32 v7, v10, v189, -v7
	v_add_f32_e32 v6, v6, v7
	v_mul_f32_e32 v7, v13, v183
	v_fma_f32 v7, v12, v190, -v7
	v_mul_f32_e32 v3, v3, v184
	v_add_f32_e32 v6, v6, v7
	v_fma_f32 v2, v2, v191, -v3
	v_mul_f32_e32 v3, v5, v192
	v_add_f32_e32 v2, v6, v2
	v_fma_f32 v3, v4, v193, -v3
	v_add_f32_e32 v2, v2, v3
	v_mul_f32_e32 v3, v23, v194
	v_fma_f32 v3, v22, v195, -v3
	v_add_f32_e32 v2, v2, v3
	v_mul_f32_e32 v3, v25, v196
	;; [unrolled: 3-line block ×20, first 2 shown]
	v_fma_f32 v3, v60, v232, -v3
	s_waitcnt vmcnt(15)
	v_mov_b32_e32 v18, v161
	s_waitcnt lgkmcnt(1)
	v_mul_f32_e32 v165, v62, v235
	v_add_f32_e32 v162, v2, v3
	v_mul_f32_e32 v2, v63, v235
	s_waitcnt lgkmcnt(0)
	v_pk_mul_f32 v[18:19], v[156:157], v[18:19] op_sel_hi:[1,0]
	v_fmac_f32_e32 v165, v63, v234
	v_mul_f32_e32 v167, v64, v237
	v_fma_f32 v164, v62, v234, -v2
	v_mul_f32_e32 v2, v65, v237
	s_waitcnt vmcnt(14)
	v_pk_fma_f32 v[20:21], v[156:157], v[160:161], v[18:19] op_sel:[0,0,1] op_sel_hi:[1,1,0] neg_lo:[0,0,1] neg_hi:[0,0,1]
	v_pk_fma_f32 v[18:19], v[156:157], v[160:161], v[18:19] op_sel:[0,0,1] op_sel_hi:[1,0,0]
	v_fmac_f32_e32 v167, v65, v236
	v_fma_f32 v166, v64, v236, -v2
	ds_read2_b64 v[2:5], v16 offset0:85 offset1:86
	ds_read2_b64 v[6:9], v16 offset0:87 offset1:88
	;; [unrolled: 1-line block ×3, first 2 shown]
	v_pk_add_f32 v[16:17], v[162:163], v[164:165]
	s_waitcnt vmcnt(7)
	v_mov_b32_e32 v18, v175
	v_pk_add_f32 v[16:17], v[16:17], v[166:167]
	v_mov_b32_e32 v21, v19
	v_pk_mul_f32 v[18:19], v[158:159], v[18:19] op_sel_hi:[1,0]
	v_pk_add_f32 v[16:17], v[16:17], v[20:21]
	s_waitcnt vmcnt(6)
	v_pk_fma_f32 v[20:21], v[158:159], v[174:175], v[18:19] op_sel:[0,0,1] op_sel_hi:[1,1,0] neg_lo:[0,0,1] neg_hi:[0,0,1]
	v_pk_fma_f32 v[18:19], v[158:159], v[174:175], v[18:19] op_sel:[0,0,1] op_sel_hi:[1,0,0]
	v_mov_b32_e32 v18, v173
	v_mov_b32_e32 v21, v19
	s_waitcnt lgkmcnt(2)
	v_pk_mul_f32 v[18:19], v[2:3], v[18:19] op_sel_hi:[1,0]
	v_pk_add_f32 v[16:17], v[16:17], v[20:21]
	v_pk_fma_f32 v[20:21], v[2:3], v[172:173], v[18:19] op_sel:[0,0,1] op_sel_hi:[1,1,0] neg_lo:[0,0,1] neg_hi:[0,0,1]
	v_pk_fma_f32 v[2:3], v[2:3], v[172:173], v[18:19] op_sel:[0,0,1] op_sel_hi:[1,0,0]
	v_mov_b32_e32 v21, v3
	v_pk_add_f32 v[2:3], v[16:17], v[20:21]
	v_mov_b32_e32 v16, v171
	v_pk_mul_f32 v[16:17], v[4:5], v[16:17] op_sel_hi:[1,0]
	v_pk_fma_f32 v[18:19], v[4:5], v[170:171], v[16:17] op_sel:[0,0,1] op_sel_hi:[1,1,0] neg_lo:[0,0,1] neg_hi:[0,0,1]
	v_pk_fma_f32 v[4:5], v[4:5], v[170:171], v[16:17] op_sel:[0,0,1] op_sel_hi:[1,0,0]
	v_mov_b32_e32 v4, v169
	v_mov_b32_e32 v19, v5
	s_waitcnt lgkmcnt(1)
	v_pk_mul_f32 v[4:5], v[6:7], v[4:5] op_sel_hi:[1,0]
	v_pk_fma_f32 v[16:17], v[6:7], v[168:169], v[4:5] op_sel:[0,0,1] op_sel_hi:[1,1,0] neg_lo:[0,0,1] neg_hi:[0,0,1]
	v_pk_fma_f32 v[4:5], v[6:7], v[168:169], v[4:5] op_sel:[0,0,1] op_sel_hi:[1,0,0]
	s_waitcnt vmcnt(1)
	v_mov_b32_e32 v4, v181
	v_mov_b32_e32 v17, v5
	v_pk_mul_f32 v[4:5], v[8:9], v[4:5] op_sel_hi:[1,0]
	s_waitcnt vmcnt(0)
	v_pk_fma_f32 v[6:7], v[8:9], v[180:181], v[4:5] op_sel:[0,0,1] op_sel_hi:[1,1,0] neg_lo:[0,0,1] neg_hi:[0,0,1]
	v_pk_fma_f32 v[4:5], v[8:9], v[180:181], v[4:5] op_sel:[0,0,1] op_sel_hi:[1,0,0]
	v_pk_add_f32 v[2:3], v[2:3], v[18:19]
	v_mov_b32_e32 v4, v179
	v_pk_add_f32 v[2:3], v[2:3], v[16:17]
	v_mov_b32_e32 v7, v5
	s_waitcnt lgkmcnt(0)
	v_pk_mul_f32 v[4:5], v[10:11], v[4:5] op_sel_hi:[1,0]
	v_pk_add_f32 v[2:3], v[2:3], v[6:7]
	v_pk_fma_f32 v[6:7], v[10:11], v[178:179], v[4:5] op_sel:[0,0,1] op_sel_hi:[1,1,0] neg_lo:[0,0,1] neg_hi:[0,0,1]
	v_pk_fma_f32 v[4:5], v[10:11], v[178:179], v[4:5] op_sel:[0,0,1] op_sel_hi:[1,0,0]
	v_mov_b32_e32 v4, v177
	v_mov_b32_e32 v7, v5
	v_pk_mul_f32 v[4:5], v[12:13], v[4:5] op_sel_hi:[1,0]
	v_pk_add_f32 v[2:3], v[2:3], v[6:7]
	v_pk_fma_f32 v[6:7], v[12:13], v[176:177], v[4:5] op_sel:[0,0,1] op_sel_hi:[1,1,0] neg_lo:[0,0,1] neg_hi:[0,0,1]
	v_pk_fma_f32 v[4:5], v[12:13], v[176:177], v[4:5] op_sel:[0,0,1] op_sel_hi:[1,0,0]
	v_mov_b32_e32 v7, v5
	v_pk_add_f32 v[2:3], v[2:3], v[6:7]
	v_pk_add_f32 v[2:3], v[14:15], v[2:3] neg_lo:[0,1] neg_hi:[0,1]
	buffer_store_dword v3, off, s[0:3], 0 offset:52
	buffer_store_dword v2, off, s[0:3], 0 offset:48
	s_and_saveexec_b64 s[4:5], vcc
	s_cbranch_execz .LBB44_273
; %bb.272:
	buffer_load_dword v2, off, s[0:3], 0 offset:40
	buffer_load_dword v3, off, s[0:3], 0 offset:44
	v_mov_b32_e32 v4, 0
	buffer_store_dword v4, off, s[0:3], 0 offset:40
	buffer_store_dword v4, off, s[0:3], 0 offset:44
	s_waitcnt vmcnt(2)
	ds_write_b64 v1, v[2:3]
.LBB44_273:
	s_or_b64 exec, exec, s[4:5]
	s_waitcnt lgkmcnt(0)
	; wave barrier
	s_waitcnt lgkmcnt(0)
	buffer_load_dword v21, off, s[0:3], 0 offset:52
	buffer_load_dword v160, off, s[0:3], 0 offset:60
	buffer_load_dword v162, off, s[0:3], 0 offset:68
	buffer_load_dword v164, off, s[0:3], 0 offset:76
	buffer_load_dword v182, off, s[0:3], 0 offset:84
	buffer_load_dword v183, off, s[0:3], 0 offset:92
	buffer_load_dword v184, off, s[0:3], 0 offset:100
	buffer_load_dword v185, off, s[0:3], 0 offset:48
	buffer_load_dword v186, off, s[0:3], 0 offset:56
	buffer_load_dword v187, off, s[0:3], 0 offset:64
	buffer_load_dword v188, off, s[0:3], 0 offset:72
	buffer_load_dword v189, off, s[0:3], 0 offset:80
	buffer_load_dword v190, off, s[0:3], 0 offset:88
	buffer_load_dword v191, off, s[0:3], 0 offset:96
	buffer_load_dword v192, off, s[0:3], 0 offset:108
	buffer_load_dword v193, off, s[0:3], 0 offset:104
	buffer_load_dword v194, off, s[0:3], 0 offset:116
	buffer_load_dword v195, off, s[0:3], 0 offset:112
	buffer_load_dword v196, off, s[0:3], 0 offset:124
	buffer_load_dword v197, off, s[0:3], 0 offset:120
	buffer_load_dword v198, off, s[0:3], 0 offset:128
	buffer_load_dword v199, off, s[0:3], 0 offset:132
	buffer_load_dword v2, off, s[0:3], 0 offset:40
	buffer_load_dword v3, off, s[0:3], 0 offset:44
	buffer_load_dword v200, off, s[0:3], 0 offset:136
	buffer_load_dword v201, off, s[0:3], 0 offset:140
	buffer_load_dword v202, off, s[0:3], 0 offset:144
	buffer_load_dword v203, off, s[0:3], 0 offset:148
	buffer_load_dword v204, off, s[0:3], 0 offset:152
	buffer_load_dword v205, off, s[0:3], 0 offset:156
	buffer_load_dword v206, off, s[0:3], 0 offset:160
	buffer_load_dword v207, off, s[0:3], 0 offset:164
	buffer_load_dword v208, off, s[0:3], 0 offset:168
	buffer_load_dword v209, off, s[0:3], 0 offset:172
	buffer_load_dword v210, off, s[0:3], 0 offset:176
	buffer_load_dword v211, off, s[0:3], 0 offset:180
	buffer_load_dword v212, off, s[0:3], 0 offset:184
	buffer_load_dword v213, off, s[0:3], 0 offset:188
	buffer_load_dword v214, off, s[0:3], 0 offset:192
	buffer_load_dword v215, off, s[0:3], 0 offset:196
	buffer_load_dword v216, off, s[0:3], 0 offset:200
	buffer_load_dword v217, off, s[0:3], 0 offset:204
	buffer_load_dword v218, off, s[0:3], 0 offset:208
	buffer_load_dword v219, off, s[0:3], 0 offset:212
	buffer_load_dword v220, off, s[0:3], 0 offset:216
	buffer_load_dword v221, off, s[0:3], 0 offset:220
	buffer_load_dword v222, off, s[0:3], 0 offset:224
	buffer_load_dword v223, off, s[0:3], 0 offset:228
	v_mov_b32_e32 v20, 0
	ds_read_b128 v[4:7], v20 offset:416
	buffer_load_dword v224, off, s[0:3], 0 offset:232
	buffer_load_dword v225, off, s[0:3], 0 offset:236
	;; [unrolled: 1-line block ×8, first 2 shown]
	ds_read_b128 v[8:11], v20 offset:432
	ds_read_b128 v[12:15], v20 offset:448
	;; [unrolled: 1-line block ×3, first 2 shown]
	buffer_load_dword v232, off, s[0:3], 0 offset:264
	buffer_load_dword v233, off, s[0:3], 0 offset:268
	;; [unrolled: 1-line block ×8, first 2 shown]
	v_cmp_lt_u32_e32 vcc, 4, v0
	s_waitcnt vmcnt(62) lgkmcnt(3)
	v_mul_f32_e32 v22, v4, v21
	v_mul_f32_e32 v23, v6, v160
	s_waitcnt vmcnt(61) lgkmcnt(2)
	v_mul_f32_e32 v24, v8, v162
	s_waitcnt vmcnt(60)
	v_mul_f32_e32 v25, v10, v164
	s_waitcnt vmcnt(59) lgkmcnt(1)
	v_mul_f32_e32 v26, v12, v182
	s_waitcnt vmcnt(58)
	;; [unrolled: 4-line block ×3, first 2 shown]
	v_fmac_f32_e32 v22, v5, v185
	s_waitcnt vmcnt(55)
	v_fmac_f32_e32 v23, v7, v186
	v_add_f32_e32 v22, 0, v22
	s_waitcnt vmcnt(54)
	v_fmac_f32_e32 v24, v9, v187
	v_add_f32_e32 v22, v22, v23
	;; [unrolled: 3-line block ×6, first 2 shown]
	v_add_f32_e32 v26, v22, v28
	ds_read_b128 v[22:25], v20 offset:480
	s_waitcnt vmcnt(49)
	v_mul_f32_e32 v27, v18, v192
	s_waitcnt vmcnt(48)
	v_fmac_f32_e32 v27, v19, v193
	v_add_f32_e32 v30, v26, v27
	ds_read_b128 v[26:29], v20 offset:496
	s_waitcnt vmcnt(47) lgkmcnt(1)
	v_mul_f32_e32 v31, v22, v194
	s_waitcnt vmcnt(46)
	v_fmac_f32_e32 v31, v23, v195
	v_add_f32_e32 v30, v30, v31
	s_waitcnt vmcnt(45)
	v_mul_f32_e32 v31, v24, v196
	s_waitcnt vmcnt(44)
	v_fmac_f32_e32 v31, v25, v197
	v_add_f32_e32 v30, v30, v31
	s_waitcnt vmcnt(42) lgkmcnt(0)
	v_mul_f32_e32 v31, v26, v199
	v_fmac_f32_e32 v31, v27, v198
	v_add_f32_e32 v34, v30, v31
	ds_read_b128 v[30:33], v20 offset:512
	s_waitcnt vmcnt(38)
	v_mul_f32_e32 v35, v28, v201
	v_fmac_f32_e32 v35, v29, v200
	v_add_f32_e32 v38, v34, v35
	ds_read_b128 v[34:37], v20 offset:528
	s_waitcnt vmcnt(36) lgkmcnt(1)
	v_mul_f32_e32 v39, v30, v203
	v_fmac_f32_e32 v39, v31, v202
	v_add_f32_e32 v38, v38, v39
	s_waitcnt vmcnt(34)
	v_mul_f32_e32 v39, v32, v205
	v_fmac_f32_e32 v39, v33, v204
	v_add_f32_e32 v38, v38, v39
	s_waitcnt vmcnt(32) lgkmcnt(0)
	v_mul_f32_e32 v39, v34, v207
	v_fmac_f32_e32 v39, v35, v206
	v_add_f32_e32 v42, v38, v39
	ds_read_b128 v[38:41], v20 offset:544
	s_waitcnt vmcnt(30)
	v_mul_f32_e32 v43, v36, v209
	v_fmac_f32_e32 v43, v37, v208
	v_add_f32_e32 v46, v42, v43
	ds_read_b128 v[42:45], v20 offset:560
	s_waitcnt vmcnt(28) lgkmcnt(1)
	v_mul_f32_e32 v47, v38, v211
	v_fmac_f32_e32 v47, v39, v210
	v_add_f32_e32 v46, v46, v47
	s_waitcnt vmcnt(26)
	v_mul_f32_e32 v47, v40, v213
	;; [unrolled: 18-line block ×4, first 2 shown]
	v_fmac_f32_e32 v63, v57, v228
	v_add_f32_e32 v62, v62, v63
	s_waitcnt vmcnt(8) lgkmcnt(0)
	v_mul_f32_e32 v63, v58, v231
	v_fmac_f32_e32 v63, v59, v230
	s_waitcnt vmcnt(6)
	v_mul_f32_e32 v157, v60, v233
	v_add_f32_e32 v156, v62, v63
	v_fmac_f32_e32 v157, v61, v232
	ds_read_b128 v[62:65], v20 offset:640
	v_add_f32_e32 v161, v156, v157
	ds_read_b128 v[156:159], v20 offset:656
	buffer_load_dword v167, off, s[0:3], 0 offset:324
	buffer_load_dword v166, off, s[0:3], 0 offset:320
	;; [unrolled: 1-line block ×16, first 2 shown]
	v_mul_f32_e32 v5, v5, v21
	v_fma_f32 v4, v4, v185, -v5
	v_mul_f32_e32 v5, v7, v160
	v_add_f32_e32 v4, 0, v4
	v_fma_f32 v5, v6, v186, -v5
	v_add_f32_e32 v4, v4, v5
	v_mul_f32_e32 v5, v9, v162
	v_fma_f32 v5, v8, v187, -v5
	v_add_f32_e32 v4, v4, v5
	v_mul_f32_e32 v5, v11, v164
	;; [unrolled: 3-line block ×26, first 2 shown]
	v_fma_f32 v5, v60, v232, -v5
	v_add_f32_e32 v4, v4, v5
	s_waitcnt vmcnt(20) lgkmcnt(1)
	v_mul_f32_e32 v5, v63, v235
	v_mul_f32_e32 v163, v62, v235
	v_fma_f32 v5, v62, v234, -v5
	v_fmac_f32_e32 v163, v63, v234
	v_add_f32_e32 v160, v4, v5
	s_waitcnt vmcnt(18)
	v_mul_f32_e32 v4, v65, v237
	s_waitcnt vmcnt(9)
	v_mov_b32_e32 v22, v173
	v_add_f32_e32 v161, v161, v163
	v_mul_f32_e32 v163, v64, v237
	v_fma_f32 v162, v64, v236, -v4
	s_waitcnt lgkmcnt(0)
	v_mul_f32_e32 v4, v157, v239
	v_pk_mul_f32 v[22:23], v[158:159], v[22:23] op_sel_hi:[1,0]
	v_fmac_f32_e32 v163, v65, v236
	v_mul_f32_e32 v165, v156, v239
	v_fma_f32 v164, v156, v238, -v4
	ds_read_b128 v[4:7], v20 offset:672
	ds_read_b128 v[8:11], v20 offset:688
	;; [unrolled: 1-line block ×3, first 2 shown]
	ds_read_b64 v[16:17], v20 offset:720
	s_waitcnt vmcnt(8)
	v_pk_fma_f32 v[24:25], v[158:159], v[172:173], v[22:23] op_sel:[0,0,1] op_sel_hi:[1,1,0] neg_lo:[0,0,1] neg_hi:[0,0,1]
	v_pk_fma_f32 v[22:23], v[158:159], v[172:173], v[22:23] op_sel:[0,0,1] op_sel_hi:[1,0,0]
	v_fmac_f32_e32 v165, v157, v238
	v_pk_add_f32 v[18:19], v[160:161], v[162:163]
	v_mov_b32_e32 v22, v171
	v_pk_add_f32 v[18:19], v[18:19], v[164:165]
	v_mov_b32_e32 v25, v23
	s_waitcnt lgkmcnt(3)
	v_pk_mul_f32 v[22:23], v[4:5], v[22:23] op_sel_hi:[1,0]
	v_pk_add_f32 v[18:19], v[18:19], v[24:25]
	v_pk_fma_f32 v[24:25], v[4:5], v[170:171], v[22:23] op_sel:[0,0,1] op_sel_hi:[1,1,0] neg_lo:[0,0,1] neg_hi:[0,0,1]
	v_pk_fma_f32 v[4:5], v[4:5], v[170:171], v[22:23] op_sel:[0,0,1] op_sel_hi:[1,0,0]
	v_mov_b32_e32 v25, v5
	v_pk_add_f32 v[4:5], v[18:19], v[24:25]
	v_mov_b32_e32 v18, v169
	v_pk_mul_f32 v[18:19], v[6:7], v[18:19] op_sel_hi:[1,0]
	v_pk_fma_f32 v[22:23], v[6:7], v[168:169], v[18:19] op_sel:[0,0,1] op_sel_hi:[1,1,0] neg_lo:[0,0,1] neg_hi:[0,0,1]
	v_pk_fma_f32 v[6:7], v[6:7], v[168:169], v[18:19] op_sel:[0,0,1] op_sel_hi:[1,0,0]
	v_mov_b32_e32 v6, v167
	v_mov_b32_e32 v23, v7
	s_waitcnt lgkmcnt(2)
	v_pk_mul_f32 v[6:7], v[8:9], v[6:7] op_sel_hi:[1,0]
	v_pk_fma_f32 v[18:19], v[8:9], v[166:167], v[6:7] op_sel:[0,0,1] op_sel_hi:[1,1,0] neg_lo:[0,0,1] neg_hi:[0,0,1]
	v_pk_fma_f32 v[6:7], v[8:9], v[166:167], v[6:7] op_sel:[0,0,1] op_sel_hi:[1,0,0]
	s_waitcnt vmcnt(1)
	v_mov_b32_e32 v6, v181
	v_mov_b32_e32 v19, v7
	v_pk_mul_f32 v[6:7], v[10:11], v[6:7] op_sel_hi:[1,0]
	s_waitcnt vmcnt(0)
	v_pk_fma_f32 v[8:9], v[10:11], v[180:181], v[6:7] op_sel:[0,0,1] op_sel_hi:[1,1,0] neg_lo:[0,0,1] neg_hi:[0,0,1]
	v_pk_fma_f32 v[6:7], v[10:11], v[180:181], v[6:7] op_sel:[0,0,1] op_sel_hi:[1,0,0]
	v_pk_add_f32 v[4:5], v[4:5], v[22:23]
	v_mov_b32_e32 v6, v179
	v_pk_add_f32 v[4:5], v[4:5], v[18:19]
	v_mov_b32_e32 v9, v7
	s_waitcnt lgkmcnt(1)
	v_pk_mul_f32 v[6:7], v[12:13], v[6:7] op_sel_hi:[1,0]
	v_pk_add_f32 v[4:5], v[4:5], v[8:9]
	v_pk_fma_f32 v[8:9], v[12:13], v[178:179], v[6:7] op_sel:[0,0,1] op_sel_hi:[1,1,0] neg_lo:[0,0,1] neg_hi:[0,0,1]
	v_pk_fma_f32 v[6:7], v[12:13], v[178:179], v[6:7] op_sel:[0,0,1] op_sel_hi:[1,0,0]
	v_mov_b32_e32 v6, v177
	v_mov_b32_e32 v9, v7
	v_pk_mul_f32 v[6:7], v[14:15], v[6:7] op_sel_hi:[1,0]
	v_pk_add_f32 v[4:5], v[4:5], v[8:9]
	v_pk_fma_f32 v[8:9], v[14:15], v[176:177], v[6:7] op_sel:[0,0,1] op_sel_hi:[1,1,0] neg_lo:[0,0,1] neg_hi:[0,0,1]
	v_pk_fma_f32 v[6:7], v[14:15], v[176:177], v[6:7] op_sel:[0,0,1] op_sel_hi:[1,0,0]
	v_mov_b32_e32 v6, v175
	v_mov_b32_e32 v9, v7
	s_waitcnt lgkmcnt(0)
	v_pk_mul_f32 v[6:7], v[16:17], v[6:7] op_sel_hi:[1,0]
	v_pk_add_f32 v[4:5], v[4:5], v[8:9]
	v_pk_fma_f32 v[8:9], v[16:17], v[174:175], v[6:7] op_sel:[0,0,1] op_sel_hi:[1,1,0] neg_lo:[0,0,1] neg_hi:[0,0,1]
	v_pk_fma_f32 v[6:7], v[16:17], v[174:175], v[6:7] op_sel:[0,0,1] op_sel_hi:[1,0,0]
	v_mov_b32_e32 v9, v7
	v_pk_add_f32 v[4:5], v[4:5], v[8:9]
	v_pk_add_f32 v[2:3], v[2:3], v[4:5] neg_lo:[0,1] neg_hi:[0,1]
	buffer_store_dword v3, off, s[0:3], 0 offset:44
	buffer_store_dword v2, off, s[0:3], 0 offset:40
	s_and_saveexec_b64 s[4:5], vcc
	s_cbranch_execz .LBB44_275
; %bb.274:
	buffer_load_dword v2, off, s[0:3], 0 offset:32
	buffer_load_dword v3, off, s[0:3], 0 offset:36
	s_waitcnt vmcnt(0)
	ds_write_b64 v1, v[2:3]
	buffer_store_dword v20, off, s[0:3], 0 offset:32
	buffer_store_dword v20, off, s[0:3], 0 offset:36
.LBB44_275:
	s_or_b64 exec, exec, s[4:5]
	s_waitcnt lgkmcnt(0)
	; wave barrier
	s_waitcnt lgkmcnt(0)
	buffer_load_dword v21, off, s[0:3], 0 offset:44
	buffer_load_dword v160, off, s[0:3], 0 offset:52
	buffer_load_dword v162, off, s[0:3], 0 offset:60
	buffer_load_dword v170, off, s[0:3], 0 offset:68
	buffer_load_dword v182, off, s[0:3], 0 offset:76
	buffer_load_dword v183, off, s[0:3], 0 offset:84
	buffer_load_dword v184, off, s[0:3], 0 offset:92
	buffer_load_dword v185, off, s[0:3], 0 offset:100
	buffer_load_dword v186, off, s[0:3], 0 offset:40
	buffer_load_dword v187, off, s[0:3], 0 offset:48
	buffer_load_dword v188, off, s[0:3], 0 offset:56
	buffer_load_dword v189, off, s[0:3], 0 offset:64
	buffer_load_dword v190, off, s[0:3], 0 offset:72
	buffer_load_dword v191, off, s[0:3], 0 offset:80
	buffer_load_dword v192, off, s[0:3], 0 offset:88
	buffer_load_dword v193, off, s[0:3], 0 offset:96
	buffer_load_dword v194, off, s[0:3], 0 offset:108
	buffer_load_dword v195, off, s[0:3], 0 offset:104
	buffer_load_dword v196, off, s[0:3], 0 offset:116
	buffer_load_dword v197, off, s[0:3], 0 offset:112
	buffer_load_dword v18, off, s[0:3], 0 offset:32
	buffer_load_dword v19, off, s[0:3], 0 offset:36
	buffer_load_dword v198, off, s[0:3], 0 offset:124
	buffer_load_dword v199, off, s[0:3], 0 offset:120
	buffer_load_dword v200, off, s[0:3], 0 offset:128
	buffer_load_dword v201, off, s[0:3], 0 offset:132
	ds_read2_b64 v[14:17], v20 offset0:51 offset1:52
	ds_read2_b64 v[6:9], v20 offset0:53 offset1:54
	buffer_load_dword v202, off, s[0:3], 0 offset:136
	buffer_load_dword v203, off, s[0:3], 0 offset:140
	ds_read2_b64 v[10:13], v20 offset0:55 offset1:56
	ds_read2_b64 v[2:5], v20 offset0:57 offset1:58
	buffer_load_dword v204, off, s[0:3], 0 offset:144
	buffer_load_dword v205, off, s[0:3], 0 offset:148
	;; [unrolled: 1-line block ×32, first 2 shown]
	v_cmp_lt_u32_e32 vcc, 3, v0
	s_waitcnt vmcnt(59) lgkmcnt(3)
	v_mul_f32_e32 v22, v14, v21
	s_waitcnt vmcnt(58)
	v_mul_f32_e32 v23, v16, v160
	s_waitcnt vmcnt(57) lgkmcnt(2)
	v_mul_f32_e32 v24, v6, v162
	s_waitcnt vmcnt(56)
	v_mul_f32_e32 v25, v8, v170
	;; [unrolled: 4-line block ×4, first 2 shown]
	s_waitcnt vmcnt(51)
	v_fmac_f32_e32 v22, v15, v186
	s_waitcnt vmcnt(50)
	v_fmac_f32_e32 v23, v17, v187
	v_add_f32_e32 v22, 0, v22
	s_waitcnt vmcnt(49)
	v_fmac_f32_e32 v24, v7, v188
	v_add_f32_e32 v22, v22, v23
	;; [unrolled: 3-line block ×6, first 2 shown]
	v_add_f32_e32 v26, v22, v28
	ds_read2_b64 v[22:25], v20 offset0:59 offset1:60
	s_waitcnt vmcnt(44)
	v_fmac_f32_e32 v29, v5, v193
	buffer_load_dword v236, off, s[0:3], 0 offset:272
	buffer_load_dword v237, off, s[0:3], 0 offset:276
	v_add_f32_e32 v30, v26, v29
	buffer_load_dword v238, off, s[0:3], 0 offset:280
	buffer_load_dword v239, off, s[0:3], 0 offset:284
	ds_read2_b64 v[26:29], v20 offset0:61 offset1:62
	s_waitcnt vmcnt(47) lgkmcnt(1)
	v_mul_f32_e32 v31, v22, v194
	s_waitcnt vmcnt(46)
	v_fmac_f32_e32 v31, v23, v195
	v_add_f32_e32 v30, v30, v31
	s_waitcnt vmcnt(45)
	v_mul_f32_e32 v31, v24, v196
	s_waitcnt vmcnt(44)
	v_fmac_f32_e32 v31, v25, v197
	v_add_f32_e32 v30, v30, v31
	s_waitcnt vmcnt(41) lgkmcnt(0)
	v_mul_f32_e32 v31, v26, v198
	s_waitcnt vmcnt(40)
	v_fmac_f32_e32 v31, v27, v199
	buffer_load_dword v240, off, s[0:3], 0 offset:288
	buffer_load_dword v241, off, s[0:3], 0 offset:292
	v_add_f32_e32 v34, v30, v31
	ds_read2_b64 v[30:33], v20 offset0:63 offset1:64
	s_waitcnt vmcnt(40)
	v_mul_f32_e32 v35, v28, v201
	v_fmac_f32_e32 v35, v29, v200
	v_add_f32_e32 v38, v34, v35
	ds_read2_b64 v[34:37], v20 offset0:65 offset1:66
	s_waitcnt vmcnt(38) lgkmcnt(1)
	v_mul_f32_e32 v39, v30, v203
	v_fmac_f32_e32 v39, v31, v202
	v_add_f32_e32 v38, v38, v39
	s_waitcnt vmcnt(36)
	v_mul_f32_e32 v39, v32, v205
	v_fmac_f32_e32 v39, v33, v204
	v_add_f32_e32 v38, v38, v39
	s_waitcnt vmcnt(34) lgkmcnt(0)
	v_mul_f32_e32 v39, v34, v207
	v_fmac_f32_e32 v39, v35, v206
	v_add_f32_e32 v42, v38, v39
	ds_read2_b64 v[38:41], v20 offset0:67 offset1:68
	s_waitcnt vmcnt(32)
	v_mul_f32_e32 v43, v36, v209
	v_fmac_f32_e32 v43, v37, v208
	v_add_f32_e32 v46, v42, v43
	ds_read2_b64 v[42:45], v20 offset0:69 offset1:70
	s_waitcnt vmcnt(30) lgkmcnt(1)
	v_mul_f32_e32 v47, v38, v211
	v_fmac_f32_e32 v47, v39, v210
	v_add_f32_e32 v46, v46, v47
	s_waitcnt vmcnt(28)
	v_mul_f32_e32 v47, v40, v213
	v_fmac_f32_e32 v47, v41, v212
	v_add_f32_e32 v46, v46, v47
	s_waitcnt vmcnt(26) lgkmcnt(0)
	v_mul_f32_e32 v47, v42, v215
	v_fmac_f32_e32 v47, v43, v214
	;; [unrolled: 18-line block ×4, first 2 shown]
	s_waitcnt vmcnt(8)
	v_mul_f32_e32 v157, v60, v233
	v_add_f32_e32 v156, v62, v63
	v_fmac_f32_e32 v157, v61, v232
	ds_read2_b64 v[62:65], v20 offset0:79 offset1:80
	v_add_f32_e32 v161, v156, v157
	ds_read2_b64 v[156:159], v20 offset0:81 offset1:82
	buffer_load_dword v165, off, s[0:3], 0 offset:316
	buffer_load_dword v164, off, s[0:3], 0 offset:312
	;; [unrolled: 1-line block ×16, first 2 shown]
	v_mul_f32_e32 v15, v15, v21
	v_fma_f32 v14, v14, v186, -v15
	v_mul_f32_e32 v15, v17, v160
	v_add_f32_e32 v14, 0, v14
	v_fma_f32 v15, v16, v187, -v15
	v_mul_f32_e32 v7, v7, v162
	v_add_f32_e32 v14, v14, v15
	;; [unrolled: 3-line block ×3, first 2 shown]
	v_fma_f32 v7, v8, v189, -v7
	v_add_f32_e32 v6, v6, v7
	v_mul_f32_e32 v7, v11, v182
	v_fma_f32 v7, v10, v190, -v7
	v_add_f32_e32 v6, v6, v7
	v_mul_f32_e32 v7, v13, v183
	v_fma_f32 v7, v12, v191, -v7
	v_mul_f32_e32 v3, v3, v184
	v_add_f32_e32 v6, v6, v7
	v_fma_f32 v2, v2, v192, -v3
	v_mul_f32_e32 v3, v5, v185
	v_add_f32_e32 v2, v6, v2
	v_fma_f32 v3, v4, v193, -v3
	v_add_f32_e32 v2, v2, v3
	v_mul_f32_e32 v3, v23, v194
	v_fma_f32 v3, v22, v195, -v3
	v_add_f32_e32 v2, v2, v3
	v_mul_f32_e32 v3, v25, v196
	;; [unrolled: 3-line block ×20, first 2 shown]
	v_fma_f32 v3, v60, v232, -v3
	v_add_f32_e32 v2, v2, v3
	s_waitcnt vmcnt(22) lgkmcnt(1)
	v_mul_f32_e32 v3, v63, v235
	v_fma_f32 v3, v62, v234, -v3
	v_add_f32_e32 v2, v2, v3
	s_waitcnt vmcnt(20)
	v_mul_f32_e32 v3, v65, v237
	v_mul_f32_e32 v163, v62, v235
	v_fma_f32 v3, v64, v236, -v3
	v_fmac_f32_e32 v163, v63, v234
	v_add_f32_e32 v160, v2, v3
	s_waitcnt vmcnt(18) lgkmcnt(0)
	v_mul_f32_e32 v2, v157, v239
	v_add_f32_e32 v161, v161, v163
	v_mul_f32_e32 v163, v64, v237
	v_fma_f32 v162, v156, v238, -v2
	s_waitcnt vmcnt(16)
	v_mul_f32_e32 v2, v159, v241
	v_fmac_f32_e32 v163, v65, v236
	v_fma_f32 v170, v158, v240, -v2
	ds_read2_b64 v[2:5], v20 offset0:83 offset1:84
	ds_read2_b64 v[6:9], v20 offset0:85 offset1:86
	ds_read2_b64 v[10:13], v20 offset0:87 offset1:88
	ds_read2_b64 v[14:17], v20 offset0:89 offset1:90
	v_add_f32_e32 v161, v161, v163
	v_mul_f32_e32 v163, v156, v239
	s_waitcnt vmcnt(11)
	v_mov_b32_e32 v22, v169
	v_fmac_f32_e32 v163, v157, v238
	v_mul_f32_e32 v171, v158, v241
	s_waitcnt lgkmcnt(3)
	v_pk_mul_f32 v[22:23], v[2:3], v[22:23] op_sel_hi:[1,0]
	v_fmac_f32_e32 v171, v159, v240
	v_pk_add_f32 v[20:21], v[160:161], v[162:163]
	s_waitcnt vmcnt(10)
	v_pk_fma_f32 v[24:25], v[2:3], v[168:169], v[22:23] op_sel:[0,0,1] op_sel_hi:[1,1,0] neg_lo:[0,0,1] neg_hi:[0,0,1]
	v_pk_fma_f32 v[2:3], v[2:3], v[168:169], v[22:23] op_sel:[0,0,1] op_sel_hi:[1,0,0]
	v_pk_add_f32 v[20:21], v[20:21], v[170:171]
	v_mov_b32_e32 v25, v3
	v_pk_add_f32 v[2:3], v[20:21], v[24:25]
	v_mov_b32_e32 v20, v167
	v_pk_mul_f32 v[20:21], v[4:5], v[20:21] op_sel_hi:[1,0]
	v_pk_fma_f32 v[22:23], v[4:5], v[166:167], v[20:21] op_sel:[0,0,1] op_sel_hi:[1,1,0] neg_lo:[0,0,1] neg_hi:[0,0,1]
	v_pk_fma_f32 v[4:5], v[4:5], v[166:167], v[20:21] op_sel:[0,0,1] op_sel_hi:[1,0,0]
	v_mov_b32_e32 v4, v165
	v_mov_b32_e32 v23, v5
	s_waitcnt lgkmcnt(2)
	v_pk_mul_f32 v[4:5], v[6:7], v[4:5] op_sel_hi:[1,0]
	v_pk_fma_f32 v[20:21], v[6:7], v[164:165], v[4:5] op_sel:[0,0,1] op_sel_hi:[1,1,0] neg_lo:[0,0,1] neg_hi:[0,0,1]
	v_pk_fma_f32 v[4:5], v[6:7], v[164:165], v[4:5] op_sel:[0,0,1] op_sel_hi:[1,0,0]
	s_waitcnt vmcnt(3)
	v_mov_b32_e32 v4, v179
	v_mov_b32_e32 v21, v5
	v_pk_mul_f32 v[4:5], v[8:9], v[4:5] op_sel_hi:[1,0]
	s_waitcnt vmcnt(2)
	v_pk_fma_f32 v[6:7], v[8:9], v[178:179], v[4:5] op_sel:[0,0,1] op_sel_hi:[1,1,0] neg_lo:[0,0,1] neg_hi:[0,0,1]
	v_pk_fma_f32 v[4:5], v[8:9], v[178:179], v[4:5] op_sel:[0,0,1] op_sel_hi:[1,0,0]
	v_pk_add_f32 v[2:3], v[2:3], v[22:23]
	v_mov_b32_e32 v4, v177
	v_pk_add_f32 v[2:3], v[2:3], v[20:21]
	v_mov_b32_e32 v7, v5
	s_waitcnt lgkmcnt(1)
	v_pk_mul_f32 v[4:5], v[10:11], v[4:5] op_sel_hi:[1,0]
	v_pk_add_f32 v[2:3], v[2:3], v[6:7]
	v_pk_fma_f32 v[6:7], v[10:11], v[176:177], v[4:5] op_sel:[0,0,1] op_sel_hi:[1,1,0] neg_lo:[0,0,1] neg_hi:[0,0,1]
	v_pk_fma_f32 v[4:5], v[10:11], v[176:177], v[4:5] op_sel:[0,0,1] op_sel_hi:[1,0,0]
	v_mov_b32_e32 v4, v175
	v_mov_b32_e32 v7, v5
	v_pk_mul_f32 v[4:5], v[12:13], v[4:5] op_sel_hi:[1,0]
	v_pk_add_f32 v[2:3], v[2:3], v[6:7]
	v_pk_fma_f32 v[6:7], v[12:13], v[174:175], v[4:5] op_sel:[0,0,1] op_sel_hi:[1,1,0] neg_lo:[0,0,1] neg_hi:[0,0,1]
	v_pk_fma_f32 v[4:5], v[12:13], v[174:175], v[4:5] op_sel:[0,0,1] op_sel_hi:[1,0,0]
	v_mov_b32_e32 v4, v173
	v_mov_b32_e32 v7, v5
	s_waitcnt lgkmcnt(0)
	v_pk_mul_f32 v[4:5], v[14:15], v[4:5] op_sel_hi:[1,0]
	v_pk_add_f32 v[2:3], v[2:3], v[6:7]
	v_pk_fma_f32 v[6:7], v[14:15], v[172:173], v[4:5] op_sel:[0,0,1] op_sel_hi:[1,1,0] neg_lo:[0,0,1] neg_hi:[0,0,1]
	v_pk_fma_f32 v[4:5], v[14:15], v[172:173], v[4:5] op_sel:[0,0,1] op_sel_hi:[1,0,0]
	s_waitcnt vmcnt(1)
	v_mov_b32_e32 v4, v181
	v_mov_b32_e32 v7, v5
	v_pk_mul_f32 v[4:5], v[16:17], v[4:5] op_sel_hi:[1,0]
	v_pk_add_f32 v[2:3], v[2:3], v[6:7]
	s_waitcnt vmcnt(0)
	v_pk_fma_f32 v[6:7], v[16:17], v[180:181], v[4:5] op_sel:[0,0,1] op_sel_hi:[1,1,0] neg_lo:[0,0,1] neg_hi:[0,0,1]
	v_pk_fma_f32 v[4:5], v[16:17], v[180:181], v[4:5] op_sel:[0,0,1] op_sel_hi:[1,0,0]
	v_mov_b32_e32 v7, v5
	v_pk_add_f32 v[2:3], v[2:3], v[6:7]
	v_pk_add_f32 v[2:3], v[18:19], v[2:3] neg_lo:[0,1] neg_hi:[0,1]
	buffer_store_dword v3, off, s[0:3], 0 offset:36
	buffer_store_dword v2, off, s[0:3], 0 offset:32
	s_and_saveexec_b64 s[4:5], vcc
	s_cbranch_execz .LBB44_277
; %bb.276:
	buffer_load_dword v2, off, s[0:3], 0 offset:24
	buffer_load_dword v3, off, s[0:3], 0 offset:28
	v_mov_b32_e32 v4, 0
	buffer_store_dword v4, off, s[0:3], 0 offset:24
	buffer_store_dword v4, off, s[0:3], 0 offset:28
	s_waitcnt vmcnt(2)
	ds_write_b64 v1, v[2:3]
.LBB44_277:
	s_or_b64 exec, exec, s[4:5]
	s_waitcnt lgkmcnt(0)
	; wave barrier
	s_waitcnt lgkmcnt(0)
	buffer_load_dword v160, off, s[0:3], 0 offset:36
	buffer_load_dword v165, off, s[0:3], 0 offset:44
	buffer_load_dword v174, off, s[0:3], 0 offset:52
	buffer_load_dword v176, off, s[0:3], 0 offset:60
	buffer_load_dword v190, off, s[0:3], 0 offset:68
	buffer_load_dword v191, off, s[0:3], 0 offset:76
	buffer_load_dword v192, off, s[0:3], 0 offset:84
	buffer_load_dword v193, off, s[0:3], 0 offset:92
	buffer_load_dword v194, off, s[0:3], 0 offset:32
	buffer_load_dword v195, off, s[0:3], 0 offset:40
	buffer_load_dword v196, off, s[0:3], 0 offset:48
	buffer_load_dword v197, off, s[0:3], 0 offset:56
	buffer_load_dword v198, off, s[0:3], 0 offset:64
	buffer_load_dword v199, off, s[0:3], 0 offset:72
	buffer_load_dword v200, off, s[0:3], 0 offset:80
	buffer_load_dword v201, off, s[0:3], 0 offset:88
	buffer_load_dword v202, off, s[0:3], 0 offset:100
	buffer_load_dword v203, off, s[0:3], 0 offset:96
	buffer_load_dword v204, off, s[0:3], 0 offset:108
	buffer_load_dword v205, off, s[0:3], 0 offset:104
	buffer_load_dword v206, off, s[0:3], 0 offset:116
	buffer_load_dword v156, off, s[0:3], 0 offset:24
	buffer_load_dword v157, off, s[0:3], 0 offset:28
	buffer_load_dword v207, off, s[0:3], 0 offset:112
	v_mov_b32_e32 v164, 0
	buffer_load_dword v208, off, s[0:3], 0 offset:120
	buffer_load_dword v209, off, s[0:3], 0 offset:124
	;; [unrolled: 1-line block ×32, first 2 shown]
	ds_read_b128 v[18:21], v164 offset:400
	ds_read_b128 v[14:17], v164 offset:416
	ds_read_b128 v[10:13], v164 offset:432
	ds_read_b128 v[6:9], v164 offset:448
	ds_read_b128 v[2:5], v164 offset:464
	buffer_load_dword v240, off, s[0:3], 0 offset:248
	buffer_load_dword v241, off, s[0:3], 0 offset:252
	;; [unrolled: 1-line block ×4, first 2 shown]
	v_cmp_lt_u32_e32 vcc, 2, v0
	s_waitcnt vmcnt(59) lgkmcnt(4)
	v_mul_f32_e32 v22, v18, v160
	s_waitcnt vmcnt(58)
	v_mul_f32_e32 v23, v20, v165
	s_waitcnt vmcnt(57) lgkmcnt(3)
	v_mul_f32_e32 v24, v14, v174
	s_waitcnt vmcnt(56)
	v_mul_f32_e32 v25, v16, v176
	;; [unrolled: 4-line block ×4, first 2 shown]
	s_waitcnt vmcnt(51)
	v_fmac_f32_e32 v22, v19, v194
	s_waitcnt vmcnt(50)
	v_fmac_f32_e32 v23, v21, v195
	v_add_f32_e32 v22, 0, v22
	s_waitcnt vmcnt(49)
	v_fmac_f32_e32 v24, v15, v196
	v_add_f32_e32 v22, v22, v23
	;; [unrolled: 3-line block ×7, first 2 shown]
	v_add_f32_e32 v26, v22, v29
	ds_read_b128 v[22:25], v164 offset:480
	buffer_load_dword v244, off, s[0:3], 0 offset:264
	buffer_load_dword v245, off, s[0:3], 0 offset:268
	;; [unrolled: 1-line block ×4, first 2 shown]
	s_waitcnt vmcnt(47) lgkmcnt(1)
	v_mul_f32_e32 v27, v2, v202
	s_waitcnt vmcnt(46)
	v_fmac_f32_e32 v27, v3, v203
	v_add_f32_e32 v26, v26, v27
	s_waitcnt vmcnt(45)
	v_mul_f32_e32 v27, v4, v204
	s_waitcnt vmcnt(44)
	v_fmac_f32_e32 v27, v5, v205
	buffer_load_dword v248, off, s[0:3], 0 offset:280
	buffer_load_dword v249, off, s[0:3], 0 offset:284
	;; [unrolled: 1-line block ×4, first 2 shown]
	ds_read_b128 v[34:37], v164 offset:496
	ds_read_b128 v[30:33], v164 offset:512
	v_add_f32_e32 v26, v26, v27
	s_waitcnt vmcnt(47) lgkmcnt(2)
	v_mul_f32_e32 v27, v22, v206
	s_waitcnt vmcnt(44)
	v_fmac_f32_e32 v27, v23, v207
	v_add_f32_e32 v26, v26, v27
	s_waitcnt vmcnt(42)
	v_mul_f32_e32 v27, v24, v209
	v_fmac_f32_e32 v27, v25, v208
	v_add_f32_e32 v26, v26, v27
	s_waitcnt vmcnt(40) lgkmcnt(1)
	v_mul_f32_e32 v27, v34, v211
	v_fmac_f32_e32 v27, v35, v210
	v_add_f32_e32 v26, v26, v27
	s_waitcnt vmcnt(38)
	v_mul_f32_e32 v27, v36, v213
	v_fmac_f32_e32 v27, v37, v212
	ds_read_b128 v[42:45], v164 offset:528
	ds_read_b128 v[38:41], v164 offset:544
	v_add_f32_e32 v26, v26, v27
	s_waitcnt vmcnt(36) lgkmcnt(2)
	v_mul_f32_e32 v27, v30, v215
	v_fmac_f32_e32 v27, v31, v214
	v_add_f32_e32 v26, v26, v27
	s_waitcnt vmcnt(34)
	v_mul_f32_e32 v27, v32, v217
	v_fmac_f32_e32 v27, v33, v216
	v_add_f32_e32 v26, v26, v27
	s_waitcnt vmcnt(32) lgkmcnt(1)
	v_mul_f32_e32 v27, v42, v219
	v_fmac_f32_e32 v27, v43, v218
	v_add_f32_e32 v26, v26, v27
	s_waitcnt vmcnt(30)
	v_mul_f32_e32 v27, v44, v221
	v_fmac_f32_e32 v27, v45, v220
	ds_read_b128 v[50:53], v164 offset:560
	ds_read_b128 v[46:49], v164 offset:576
	v_add_f32_e32 v26, v26, v27
	s_waitcnt vmcnt(28) lgkmcnt(2)
	v_mul_f32_e32 v27, v38, v223
	;; [unrolled: 18-line block ×4, first 2 shown]
	v_fmac_f32_e32 v27, v55, v238
	v_add_f32_e32 v26, v26, v27
	s_waitcnt vmcnt(10)
	v_mul_f32_e32 v27, v56, v241
	v_fmac_f32_e32 v27, v57, v240
	v_add_f32_e32 v26, v26, v27
	s_waitcnt vmcnt(8) lgkmcnt(1)
	v_mul_f32_e32 v27, v166, v243
	v_fmac_f32_e32 v27, v167, v242
	v_add_f32_e32 v26, v26, v27
	v_mul_f32_e32 v19, v19, v160
	v_fma_f32 v18, v18, v194, -v19
	v_mul_f32_e32 v19, v21, v165
	s_waitcnt vmcnt(6)
	v_mul_f32_e32 v27, v168, v245
	v_fmac_f32_e32 v27, v169, v244
	v_add_f32_e32 v26, v26, v27
	s_waitcnt vmcnt(4) lgkmcnt(0)
	v_mul_f32_e32 v27, v62, v247
	v_fmac_f32_e32 v27, v63, v246
	v_add_f32_e32 v161, v26, v27
	ds_read_b128 v[26:29], v164 offset:656
	buffer_load_dword v159, off, s[0:3], 0 offset:308
	buffer_load_dword v158, off, s[0:3], 0 offset:304
	;; [unrolled: 1-line block ×4, first 2 shown]
	ds_read_b128 v[170:173], v164 offset:672
	buffer_load_dword v179, off, s[0:3], 0 offset:340
	buffer_load_dword v178, off, s[0:3], 0 offset:336
	;; [unrolled: 1-line block ×12, first 2 shown]
	v_add_f32_e32 v18, 0, v18
	v_fma_f32 v19, v20, v195, -v19
	v_mul_f32_e32 v15, v15, v174
	v_add_f32_e32 v18, v18, v19
	v_fma_f32 v14, v14, v196, -v15
	v_mul_f32_e32 v15, v17, v176
	;; [unrolled: 3-line block ×8, first 2 shown]
	v_add_f32_e32 v2, v6, v2
	v_fma_f32 v3, v4, v205, -v3
	v_add_f32_e32 v2, v2, v3
	v_mul_f32_e32 v3, v23, v206
	v_fma_f32 v3, v22, v207, -v3
	v_add_f32_e32 v2, v2, v3
	v_mul_f32_e32 v3, v25, v209
	;; [unrolled: 3-line block ×21, first 2 shown]
	v_fma_f32 v3, v62, v246, -v3
	s_waitcnt vmcnt(13)
	v_mov_b32_e32 v14, v163
	v_mul_f32_e32 v175, v64, v249
	v_add_f32_e32 v160, v2, v3
	v_mul_f32_e32 v2, v65, v249
	s_waitcnt lgkmcnt(1)
	v_pk_mul_f32 v[14:15], v[28:29], v[14:15] op_sel_hi:[1,0]
	v_fmac_f32_e32 v175, v65, v248
	v_mul_f32_e32 v177, v26, v251
	v_fma_f32 v174, v64, v248, -v2
	v_mul_f32_e32 v2, v27, v251
	s_waitcnt vmcnt(12)
	v_pk_fma_f32 v[16:17], v[28:29], v[162:163], v[14:15] op_sel:[0,0,1] op_sel_hi:[1,1,0] neg_lo:[0,0,1] neg_hi:[0,0,1]
	v_pk_fma_f32 v[14:15], v[28:29], v[162:163], v[14:15] op_sel:[0,0,1] op_sel_hi:[1,0,0]
	v_fmac_f32_e32 v177, v27, v250
	v_fma_f32 v176, v26, v250, -v2
	v_pk_add_f32 v[12:13], v[160:161], v[174:175]
	v_mov_b32_e32 v14, v159
	v_pk_add_f32 v[12:13], v[12:13], v[176:177]
	v_mov_b32_e32 v17, v15
	s_waitcnt lgkmcnt(0)
	v_pk_mul_f32 v[14:15], v[170:171], v[14:15] op_sel_hi:[1,0]
	v_pk_add_f32 v[12:13], v[12:13], v[16:17]
	v_pk_fma_f32 v[16:17], v[170:171], v[158:159], v[14:15] op_sel:[0,0,1] op_sel_hi:[1,1,0] neg_lo:[0,0,1] neg_hi:[0,0,1]
	v_pk_fma_f32 v[14:15], v[170:171], v[158:159], v[14:15] op_sel:[0,0,1] op_sel_hi:[1,0,0]
	s_waitcnt vmcnt(5)
	v_mov_b32_e32 v14, v185
	ds_read_b128 v[2:5], v164 offset:688
	ds_read_b128 v[6:9], v164 offset:704
	ds_read_b64 v[10:11], v164 offset:720
	v_mov_b32_e32 v17, v15
	v_pk_mul_f32 v[14:15], v[172:173], v[14:15] op_sel_hi:[1,0]
	v_pk_add_f32 v[12:13], v[12:13], v[16:17]
	s_waitcnt vmcnt(4)
	v_pk_fma_f32 v[16:17], v[172:173], v[184:185], v[14:15] op_sel:[0,0,1] op_sel_hi:[1,1,0] neg_lo:[0,0,1] neg_hi:[0,0,1]
	v_pk_fma_f32 v[14:15], v[172:173], v[184:185], v[14:15] op_sel:[0,0,1] op_sel_hi:[1,0,0]
	v_mov_b32_e32 v14, v183
	v_mov_b32_e32 v17, v15
	s_waitcnt lgkmcnt(2)
	v_pk_mul_f32 v[14:15], v[2:3], v[14:15] op_sel_hi:[1,0]
	v_pk_add_f32 v[12:13], v[12:13], v[16:17]
	v_pk_fma_f32 v[16:17], v[2:3], v[182:183], v[14:15] op_sel:[0,0,1] op_sel_hi:[1,1,0] neg_lo:[0,0,1] neg_hi:[0,0,1]
	v_pk_fma_f32 v[2:3], v[2:3], v[182:183], v[14:15] op_sel:[0,0,1] op_sel_hi:[1,0,0]
	v_mov_b32_e32 v17, v3
	v_pk_add_f32 v[2:3], v[12:13], v[16:17]
	v_mov_b32_e32 v12, v181
	v_pk_mul_f32 v[12:13], v[4:5], v[12:13] op_sel_hi:[1,0]
	v_pk_fma_f32 v[14:15], v[4:5], v[180:181], v[12:13] op_sel:[0,0,1] op_sel_hi:[1,1,0] neg_lo:[0,0,1] neg_hi:[0,0,1]
	v_pk_fma_f32 v[4:5], v[4:5], v[180:181], v[12:13] op_sel:[0,0,1] op_sel_hi:[1,0,0]
	v_mov_b32_e32 v4, v179
	v_mov_b32_e32 v15, v5
	s_waitcnt lgkmcnt(1)
	v_pk_mul_f32 v[4:5], v[6:7], v[4:5] op_sel_hi:[1,0]
	v_pk_fma_f32 v[12:13], v[6:7], v[178:179], v[4:5] op_sel:[0,0,1] op_sel_hi:[1,1,0] neg_lo:[0,0,1] neg_hi:[0,0,1]
	v_pk_fma_f32 v[4:5], v[6:7], v[178:179], v[4:5] op_sel:[0,0,1] op_sel_hi:[1,0,0]
	s_waitcnt vmcnt(1)
	v_mov_b32_e32 v4, v189
	v_mov_b32_e32 v13, v5
	v_pk_mul_f32 v[4:5], v[8:9], v[4:5] op_sel_hi:[1,0]
	s_waitcnt vmcnt(0)
	v_pk_fma_f32 v[6:7], v[8:9], v[188:189], v[4:5] op_sel:[0,0,1] op_sel_hi:[1,1,0] neg_lo:[0,0,1] neg_hi:[0,0,1]
	v_pk_fma_f32 v[4:5], v[8:9], v[188:189], v[4:5] op_sel:[0,0,1] op_sel_hi:[1,0,0]
	v_pk_add_f32 v[2:3], v[2:3], v[14:15]
	v_mov_b32_e32 v4, v187
	v_pk_add_f32 v[2:3], v[2:3], v[12:13]
	v_mov_b32_e32 v7, v5
	s_waitcnt lgkmcnt(0)
	v_pk_mul_f32 v[4:5], v[10:11], v[4:5] op_sel_hi:[1,0]
	v_pk_add_f32 v[2:3], v[2:3], v[6:7]
	v_pk_fma_f32 v[6:7], v[10:11], v[186:187], v[4:5] op_sel:[0,0,1] op_sel_hi:[1,1,0] neg_lo:[0,0,1] neg_hi:[0,0,1]
	v_pk_fma_f32 v[4:5], v[10:11], v[186:187], v[4:5] op_sel:[0,0,1] op_sel_hi:[1,0,0]
	v_mov_b32_e32 v7, v5
	v_pk_add_f32 v[2:3], v[2:3], v[6:7]
	v_pk_add_f32 v[2:3], v[156:157], v[2:3] neg_lo:[0,1] neg_hi:[0,1]
	buffer_store_dword v3, off, s[0:3], 0 offset:28
	buffer_store_dword v2, off, s[0:3], 0 offset:24
	s_and_saveexec_b64 s[4:5], vcc
	s_cbranch_execz .LBB44_279
; %bb.278:
	buffer_load_dword v2, off, s[0:3], 0 offset:16
	buffer_load_dword v3, off, s[0:3], 0 offset:20
	s_waitcnt vmcnt(0)
	ds_write_b64 v1, v[2:3]
	buffer_store_dword v164, off, s[0:3], 0 offset:16
	buffer_store_dword v164, off, s[0:3], 0 offset:20
.LBB44_279:
	s_or_b64 exec, exec, s[4:5]
	s_waitcnt lgkmcnt(0)
	; wave barrier
	s_waitcnt lgkmcnt(0)
	buffer_load_dword v165, off, s[0:3], 0 offset:28
	buffer_load_dword v170, off, s[0:3], 0 offset:36
	;; [unrolled: 1-line block ×24, first 2 shown]
	ds_read2_b64 v[22:25], v164 offset0:49 offset1:50
	ds_read2_b64 v[18:21], v164 offset0:51 offset1:52
	;; [unrolled: 1-line block ×4, first 2 shown]
	buffer_load_dword v208, off, s[0:3], 0 offset:112
	buffer_load_dword v209, off, s[0:3], 0 offset:116
	ds_read2_b64 v[10:13], v164 offset0:57 offset1:58
	ds_read2_b64 v[2:5], v164 offset0:59 offset1:60
	buffer_load_dword v210, off, s[0:3], 0 offset:120
	buffer_load_dword v211, off, s[0:3], 0 offset:124
	;; [unrolled: 1-line block ×44, first 2 shown]
	v_cmp_lt_u32_e32 vcc, 1, v0
	ds_read2_b64 v[156:159], v164 offset0:79 offset1:80
	s_waitcnt vmcnt(62) lgkmcnt(6)
	v_mul_f32_e32 v28, v22, v165
	v_mul_f32_e32 v29, v24, v170
	s_waitcnt lgkmcnt(5)
	v_mul_f32_e32 v30, v18, v172
	v_mul_f32_e32 v31, v20, v174
	s_waitcnt lgkmcnt(4)
	;; [unrolled: 3-line block ×3, first 2 shown]
	v_mul_f32_e32 v34, v6, v192
	v_mul_f32_e32 v35, v8, v193
	s_waitcnt vmcnt(61)
	v_fmac_f32_e32 v28, v23, v194
	s_waitcnt vmcnt(60)
	v_fmac_f32_e32 v29, v25, v195
	v_add_f32_e32 v28, 0, v28
	s_waitcnt vmcnt(59)
	v_fmac_f32_e32 v30, v19, v196
	v_add_f32_e32 v28, v28, v29
	;; [unrolled: 3-line block ×7, first 2 shown]
	s_waitcnt vmcnt(53) lgkmcnt(2)
	v_mul_f32_e32 v29, v10, v202
	v_add_f32_e32 v28, v28, v35
	s_waitcnt vmcnt(52)
	v_fmac_f32_e32 v29, v11, v203
	v_add_f32_e32 v28, v28, v29
	s_waitcnt vmcnt(51)
	v_mul_f32_e32 v29, v12, v204
	s_waitcnt vmcnt(50)
	v_fmac_f32_e32 v29, v13, v205
	v_add_f32_e32 v28, v28, v29
	s_waitcnt vmcnt(49) lgkmcnt(1)
	v_mul_f32_e32 v29, v2, v206
	s_waitcnt vmcnt(46)
	v_fmac_f32_e32 v29, v3, v207
	v_add_f32_e32 v32, v28, v29
	ds_read2_b64 v[28:31], v164 offset0:61 offset1:62
	s_waitcnt vmcnt(44)
	v_mul_f32_e32 v33, v4, v209
	v_fmac_f32_e32 v33, v5, v208
	v_add_f32_e32 v36, v32, v33
	ds_read2_b64 v[32:35], v164 offset0:63 offset1:64
	s_waitcnt vmcnt(42) lgkmcnt(1)
	v_mul_f32_e32 v37, v28, v211
	v_fmac_f32_e32 v37, v29, v210
	v_add_f32_e32 v36, v36, v37
	s_waitcnt vmcnt(40)
	v_mul_f32_e32 v37, v30, v213
	v_fmac_f32_e32 v37, v31, v212
	v_add_f32_e32 v36, v36, v37
	s_waitcnt vmcnt(38) lgkmcnt(0)
	v_mul_f32_e32 v37, v32, v215
	v_fmac_f32_e32 v37, v33, v214
	v_add_f32_e32 v40, v36, v37
	ds_read2_b64 v[36:39], v164 offset0:65 offset1:66
	s_waitcnt vmcnt(36)
	v_mul_f32_e32 v41, v34, v217
	v_fmac_f32_e32 v41, v35, v216
	v_add_f32_e32 v44, v40, v41
	ds_read2_b64 v[40:43], v164 offset0:67 offset1:68
	s_waitcnt vmcnt(34) lgkmcnt(1)
	v_mul_f32_e32 v45, v36, v219
	v_fmac_f32_e32 v45, v37, v218
	v_add_f32_e32 v44, v44, v45
	s_waitcnt vmcnt(32)
	v_mul_f32_e32 v45, v38, v221
	v_fmac_f32_e32 v45, v39, v220
	v_add_f32_e32 v44, v44, v45
	s_waitcnt vmcnt(30) lgkmcnt(0)
	v_mul_f32_e32 v45, v40, v223
	;; [unrolled: 18-line block ×4, first 2 shown]
	v_fmac_f32_e32 v61, v57, v238
	v_add_f32_e32 v64, v60, v61
	ds_read2_b64 v[60:63], v164 offset0:77 offset1:78
	s_waitcnt vmcnt(12)
	v_mul_f32_e32 v65, v58, v241
	v_fmac_f32_e32 v65, v59, v240
	v_add_f32_e32 v64, v64, v65
	s_waitcnt vmcnt(4)
	v_mul_f32_e32 v167, v158, v249
	s_waitcnt lgkmcnt(0)
	v_mul_f32_e32 v65, v60, v243
	v_fmac_f32_e32 v65, v61, v242
	v_add_f32_e32 v64, v64, v65
	v_mul_f32_e32 v65, v62, v245
	v_fmac_f32_e32 v65, v63, v244
	v_add_f32_e32 v64, v64, v65
	;; [unrolled: 3-line block ×3, first 2 shown]
	buffer_load_dword v65, off, s[0:3], 0 offset:300
	buffer_load_dword v64, off, s[0:3], 0 offset:296
	v_fmac_f32_e32 v167, v159, v248
	ds_read2_b64 v[160:163], v164 offset0:81 offset1:82
	v_add_f32_e32 v171, v166, v167
	ds_read2_b64 v[166:169], v164 offset0:83 offset1:84
	buffer_load_dword v177, off, s[0:3], 0 offset:332
	buffer_load_dword v176, off, s[0:3], 0 offset:328
	;; [unrolled: 1-line block ×14, first 2 shown]
	v_mul_f32_e32 v23, v23, v165
	v_fma_f32 v22, v22, v194, -v23
	v_mul_f32_e32 v23, v25, v170
	v_add_f32_e32 v22, 0, v22
	v_fma_f32 v23, v24, v195, -v23
	v_mul_f32_e32 v19, v19, v172
	v_add_f32_e32 v22, v22, v23
	;; [unrolled: 3-line block ×7, first 2 shown]
	v_fma_f32 v7, v8, v201, -v7
	v_add_f32_e32 v6, v6, v7
	v_mul_f32_e32 v7, v11, v202
	v_fma_f32 v7, v10, v203, -v7
	v_add_f32_e32 v6, v6, v7
	v_mul_f32_e32 v7, v13, v204
	v_fma_f32 v7, v12, v205, -v7
	v_mul_f32_e32 v3, v3, v206
	v_add_f32_e32 v6, v6, v7
	v_fma_f32 v2, v2, v207, -v3
	v_mul_f32_e32 v3, v5, v209
	v_add_f32_e32 v2, v6, v2
	v_fma_f32 v3, v4, v208, -v3
	v_add_f32_e32 v2, v2, v3
	v_mul_f32_e32 v3, v29, v211
	v_fma_f32 v3, v28, v210, -v3
	v_add_f32_e32 v2, v2, v3
	v_mul_f32_e32 v3, v31, v213
	;; [unrolled: 3-line block ×20, first 2 shown]
	v_fma_f32 v3, v158, v248, -v3
	s_waitcnt vmcnt(15)
	v_mov_b32_e32 v16, v65
	s_waitcnt lgkmcnt(1)
	v_mul_f32_e32 v173, v160, v251
	v_add_f32_e32 v170, v2, v3
	v_mul_f32_e32 v2, v161, v251
	s_waitcnt lgkmcnt(0)
	v_pk_mul_f32 v[16:17], v[166:167], v[16:17] op_sel_hi:[1,0]
	v_fmac_f32_e32 v173, v161, v250
	v_mul_f32_e32 v175, v162, v253
	v_fma_f32 v172, v160, v250, -v2
	v_mul_f32_e32 v2, v163, v253
	s_waitcnt vmcnt(14)
	v_pk_fma_f32 v[18:19], v[166:167], v[64:65], v[16:17] op_sel:[0,0,1] op_sel_hi:[1,1,0] neg_lo:[0,0,1] neg_hi:[0,0,1]
	v_pk_fma_f32 v[16:17], v[166:167], v[64:65], v[16:17] op_sel:[0,0,1] op_sel_hi:[1,0,0]
	v_fmac_f32_e32 v175, v163, v252
	v_fma_f32 v174, v162, v252, -v2
	v_pk_add_f32 v[14:15], v[170:171], v[172:173]
	s_waitcnt vmcnt(7)
	v_mov_b32_e32 v16, v183
	ds_read2_b64 v[2:5], v164 offset0:85 offset1:86
	ds_read2_b64 v[6:9], v164 offset0:87 offset1:88
	ds_read2_b64 v[10:13], v164 offset0:89 offset1:90
	v_pk_add_f32 v[14:15], v[14:15], v[174:175]
	v_mov_b32_e32 v19, v17
	v_pk_mul_f32 v[16:17], v[168:169], v[16:17] op_sel_hi:[1,0]
	v_pk_add_f32 v[14:15], v[14:15], v[18:19]
	s_waitcnt vmcnt(6)
	v_pk_fma_f32 v[18:19], v[168:169], v[182:183], v[16:17] op_sel:[0,0,1] op_sel_hi:[1,1,0] neg_lo:[0,0,1] neg_hi:[0,0,1]
	v_pk_fma_f32 v[16:17], v[168:169], v[182:183], v[16:17] op_sel:[0,0,1] op_sel_hi:[1,0,0]
	v_mov_b32_e32 v16, v181
	v_mov_b32_e32 v19, v17
	s_waitcnt lgkmcnt(2)
	v_pk_mul_f32 v[16:17], v[2:3], v[16:17] op_sel_hi:[1,0]
	v_pk_add_f32 v[14:15], v[14:15], v[18:19]
	v_pk_fma_f32 v[18:19], v[2:3], v[180:181], v[16:17] op_sel:[0,0,1] op_sel_hi:[1,1,0] neg_lo:[0,0,1] neg_hi:[0,0,1]
	v_pk_fma_f32 v[2:3], v[2:3], v[180:181], v[16:17] op_sel:[0,0,1] op_sel_hi:[1,0,0]
	v_mov_b32_e32 v19, v3
	v_pk_add_f32 v[2:3], v[14:15], v[18:19]
	v_mov_b32_e32 v14, v179
	v_pk_mul_f32 v[14:15], v[4:5], v[14:15] op_sel_hi:[1,0]
	v_pk_fma_f32 v[16:17], v[4:5], v[178:179], v[14:15] op_sel:[0,0,1] op_sel_hi:[1,1,0] neg_lo:[0,0,1] neg_hi:[0,0,1]
	v_pk_fma_f32 v[4:5], v[4:5], v[178:179], v[14:15] op_sel:[0,0,1] op_sel_hi:[1,0,0]
	v_mov_b32_e32 v4, v177
	v_mov_b32_e32 v17, v5
	s_waitcnt lgkmcnt(1)
	v_pk_mul_f32 v[4:5], v[6:7], v[4:5] op_sel_hi:[1,0]
	v_pk_fma_f32 v[14:15], v[6:7], v[176:177], v[4:5] op_sel:[0,0,1] op_sel_hi:[1,1,0] neg_lo:[0,0,1] neg_hi:[0,0,1]
	v_pk_fma_f32 v[4:5], v[6:7], v[176:177], v[4:5] op_sel:[0,0,1] op_sel_hi:[1,0,0]
	s_waitcnt vmcnt(1)
	v_mov_b32_e32 v4, v189
	v_mov_b32_e32 v15, v5
	v_pk_mul_f32 v[4:5], v[8:9], v[4:5] op_sel_hi:[1,0]
	s_waitcnt vmcnt(0)
	v_pk_fma_f32 v[6:7], v[8:9], v[188:189], v[4:5] op_sel:[0,0,1] op_sel_hi:[1,1,0] neg_lo:[0,0,1] neg_hi:[0,0,1]
	v_pk_fma_f32 v[4:5], v[8:9], v[188:189], v[4:5] op_sel:[0,0,1] op_sel_hi:[1,0,0]
	v_pk_add_f32 v[2:3], v[2:3], v[16:17]
	v_mov_b32_e32 v4, v187
	v_pk_add_f32 v[2:3], v[2:3], v[14:15]
	v_mov_b32_e32 v7, v5
	s_waitcnt lgkmcnt(0)
	v_pk_mul_f32 v[4:5], v[10:11], v[4:5] op_sel_hi:[1,0]
	v_pk_add_f32 v[2:3], v[2:3], v[6:7]
	v_pk_fma_f32 v[6:7], v[10:11], v[186:187], v[4:5] op_sel:[0,0,1] op_sel_hi:[1,1,0] neg_lo:[0,0,1] neg_hi:[0,0,1]
	v_pk_fma_f32 v[4:5], v[10:11], v[186:187], v[4:5] op_sel:[0,0,1] op_sel_hi:[1,0,0]
	v_mov_b32_e32 v4, v185
	v_mov_b32_e32 v7, v5
	v_pk_mul_f32 v[4:5], v[12:13], v[4:5] op_sel_hi:[1,0]
	v_pk_add_f32 v[2:3], v[2:3], v[6:7]
	v_pk_fma_f32 v[6:7], v[12:13], v[184:185], v[4:5] op_sel:[0,0,1] op_sel_hi:[1,1,0] neg_lo:[0,0,1] neg_hi:[0,0,1]
	v_pk_fma_f32 v[4:5], v[12:13], v[184:185], v[4:5] op_sel:[0,0,1] op_sel_hi:[1,0,0]
	v_mov_b32_e32 v7, v5
	v_pk_add_f32 v[2:3], v[2:3], v[6:7]
	v_pk_add_f32 v[2:3], v[26:27], v[2:3] neg_lo:[0,1] neg_hi:[0,1]
	buffer_store_dword v3, off, s[0:3], 0 offset:20
	buffer_store_dword v2, off, s[0:3], 0 offset:16
	s_and_saveexec_b64 s[4:5], vcc
	s_cbranch_execz .LBB44_281
; %bb.280:
	buffer_load_dword v2, off, s[0:3], 0 offset:8
	buffer_load_dword v3, off, s[0:3], 0 offset:12
	v_mov_b32_e32 v4, 0
	buffer_store_dword v4, off, s[0:3], 0 offset:8
	buffer_store_dword v4, off, s[0:3], 0 offset:12
	s_waitcnt vmcnt(2)
	ds_write_b64 v1, v[2:3]
.LBB44_281:
	s_or_b64 exec, exec, s[4:5]
	s_waitcnt lgkmcnt(0)
	; wave barrier
	s_waitcnt lgkmcnt(0)
	buffer_load_dword v24, off, s[0:3], 0 offset:20
	buffer_load_dword v27, off, s[0:3], 0 offset:28
	;; [unrolled: 1-line block ×56, first 2 shown]
	v_mov_b32_e32 v26, 0
	ds_read_b128 v[4:7], v26 offset:384
	ds_read_b128 v[8:11], v26 offset:400
	;; [unrolled: 1-line block ×6, first 2 shown]
	buffer_load_dword v240, off, s[0:3], 0 offset:232
	buffer_load_dword v241, off, s[0:3], 0 offset:236
	;; [unrolled: 1-line block ×16, first 2 shown]
	ds_read_b128 v[156:159], v26 offset:608
	ds_read_b128 v[160:163], v26 offset:624
	;; [unrolled: 1-line block ×4, first 2 shown]
	v_cmp_ne_u32_e32 vcc, 0, v0
	s_waitcnt vmcnt(62) lgkmcnt(9)
	v_mul_f32_e32 v25, v4, v24
	v_mul_f32_e32 v32, v6, v27
	s_waitcnt lgkmcnt(8)
	v_mul_f32_e32 v34, v10, v64
	s_waitcnt lgkmcnt(7)
	v_mul_f32_e32 v35, v12, v172
	v_mul_f32_e32 v36, v14, v190
	;; [unrolled: 1-line block ×3, first 2 shown]
	s_waitcnt lgkmcnt(6)
	v_mul_f32_e32 v37, v16, v192
	v_mul_f32_e32 v38, v18, v193
	s_waitcnt lgkmcnt(5)
	v_mul_f32_e32 v39, v20, v194
	v_fmac_f32_e32 v33, v9, v195
	s_waitcnt vmcnt(61)
	v_fmac_f32_e32 v32, v7, v196
	s_waitcnt vmcnt(60)
	v_fmac_f32_e32 v25, v5, v197
	v_add_f32_e32 v25, 0, v25
	v_add_f32_e32 v25, v25, v32
	;; [unrolled: 1-line block ×3, first 2 shown]
	s_waitcnt vmcnt(56)
	v_fmac_f32_e32 v34, v11, v201
	v_fmac_f32_e32 v35, v13, v200
	v_add_f32_e32 v25, v25, v34
	v_fmac_f32_e32 v36, v15, v199
	v_add_f32_e32 v25, v25, v35
	;; [unrolled: 2-line block ×3, first 2 shown]
	s_waitcnt vmcnt(52)
	v_fmac_f32_e32 v38, v19, v205
	v_add_f32_e32 v25, v25, v37
	v_add_f32_e32 v25, v25, v38
	v_fmac_f32_e32 v39, v21, v204
	s_waitcnt vmcnt(51)
	v_mul_f32_e32 v32, v22, v206
	v_add_f32_e32 v25, v25, v39
	v_fmac_f32_e32 v32, v23, v203
	v_add_f32_e32 v25, v25, v32
	s_waitcnt vmcnt(50) lgkmcnt(4)
	v_mul_f32_e32 v32, v28, v207
	v_fmac_f32_e32 v32, v29, v202
	v_add_f32_e32 v25, v25, v32
	ds_read_b128 v[32:35], v26 offset:480
	s_waitcnt vmcnt(46)
	v_mul_f32_e32 v36, v30, v209
	v_fmac_f32_e32 v36, v31, v208
	v_add_f32_e32 v25, v25, v36
	ds_read_b128 v[36:39], v26 offset:496
	s_waitcnt vmcnt(44) lgkmcnt(1)
	v_mul_f32_e32 v40, v32, v211
	v_fmac_f32_e32 v40, v33, v210
	v_add_f32_e32 v25, v25, v40
	s_waitcnt vmcnt(42)
	v_mul_f32_e32 v40, v34, v213
	v_fmac_f32_e32 v40, v35, v212
	v_add_f32_e32 v25, v25, v40
	s_waitcnt vmcnt(40) lgkmcnt(0)
	v_mul_f32_e32 v40, v36, v215
	v_fmac_f32_e32 v40, v37, v214
	v_add_f32_e32 v25, v25, v40
	ds_read_b128 v[40:43], v26 offset:512
	s_waitcnt vmcnt(38)
	v_mul_f32_e32 v44, v38, v217
	v_fmac_f32_e32 v44, v39, v216
	v_add_f32_e32 v25, v25, v44
	ds_read_b128 v[44:47], v26 offset:528
	s_waitcnt vmcnt(36) lgkmcnt(1)
	v_mul_f32_e32 v48, v40, v219
	v_fmac_f32_e32 v48, v41, v218
	v_add_f32_e32 v25, v25, v48
	s_waitcnt vmcnt(34)
	v_mul_f32_e32 v48, v42, v221
	;; [unrolled: 18-line block ×3, first 2 shown]
	v_fmac_f32_e32 v56, v51, v228
	v_add_f32_e32 v25, v25, v56
	s_waitcnt vmcnt(24) lgkmcnt(0)
	v_mul_f32_e32 v56, v52, v231
	v_fmac_f32_e32 v56, v53, v230
	s_waitcnt vmcnt(22)
	v_mul_f32_e32 v60, v54, v233
	v_add_f32_e32 v25, v25, v56
	v_fmac_f32_e32 v60, v55, v232
	ds_read_b128 v[56:59], v26 offset:576
	v_add_f32_e32 v25, v25, v60
	ds_read_b128 v[60:63], v26 offset:592
	buffer_load_dword v175, off, s[0:3], 0 offset:324
	buffer_load_dword v174, off, s[0:3], 0 offset:320
	;; [unrolled: 1-line block ×16, first 2 shown]
	v_mul_f32_e32 v5, v5, v24
	v_fma_f32 v4, v4, v197, -v5
	v_mul_f32_e32 v5, v7, v27
	v_add_f32_e32 v4, 0, v4
	v_fma_f32 v5, v6, v196, -v5
	v_add_f32_e32 v4, v4, v5
	v_mul_f32_e32 v5, v9, v191
	v_fma_f32 v5, v8, v195, -v5
	v_add_f32_e32 v4, v4, v5
	v_mul_f32_e32 v5, v11, v64
	;; [unrolled: 3-line block ×22, first 2 shown]
	v_fma_f32 v5, v54, v232, -v5
	v_add_f32_e32 v4, v4, v5
	s_waitcnt vmcnt(36) lgkmcnt(1)
	v_mul_f32_e32 v5, v57, v235
	v_mul_f32_e32 v65, v56, v235
	v_fma_f32 v5, v56, v234, -v5
	v_fmac_f32_e32 v65, v57, v234
	v_add_f32_e32 v4, v4, v5
	s_waitcnt vmcnt(34)
	v_mul_f32_e32 v5, v59, v237
	v_add_f32_e32 v25, v25, v65
	v_mul_f32_e32 v65, v58, v237
	v_fma_f32 v5, v58, v236, -v5
	v_fmac_f32_e32 v65, v59, v236
	v_add_f32_e32 v4, v4, v5
	s_waitcnt vmcnt(32) lgkmcnt(0)
	v_mul_f32_e32 v5, v61, v239
	v_add_f32_e32 v25, v25, v65
	v_mul_f32_e32 v65, v60, v239
	v_fma_f32 v5, v60, v238, -v5
	v_fmac_f32_e32 v65, v61, v238
	v_add_f32_e32 v4, v4, v5
	s_waitcnt vmcnt(30)
	v_mul_f32_e32 v5, v63, v241
	v_add_f32_e32 v25, v25, v65
	v_mul_f32_e32 v65, v62, v241
	v_fma_f32 v5, v62, v240, -v5
	v_fmac_f32_e32 v65, v63, v240
	v_add_f32_e32 v4, v4, v5
	s_waitcnt vmcnt(28)
	;; [unrolled: 7-line block ×7, first 2 shown]
	v_mul_f32_e32 v4, v167, v253
	s_waitcnt vmcnt(9)
	v_mov_b32_e32 v20, v181
	v_add_f32_e32 v25, v25, v65
	v_mul_f32_e32 v65, v166, v253
	v_fma_f32 v64, v166, v252, -v4
	v_mul_f32_e32 v4, v169, v255
	v_pk_mul_f32 v[20:21], v[170:171], v[20:21] op_sel_hi:[1,0]
	v_fmac_f32_e32 v65, v167, v252
	v_mul_f32_e32 v173, v168, v255
	v_fma_f32 v172, v168, v254, -v4
	ds_read_b128 v[4:7], v26 offset:672
	ds_read_b128 v[8:11], v26 offset:688
	;; [unrolled: 1-line block ×3, first 2 shown]
	ds_read_b64 v[16:17], v26 offset:720
	s_waitcnt vmcnt(8)
	v_pk_fma_f32 v[22:23], v[170:171], v[180:181], v[20:21] op_sel:[0,0,1] op_sel_hi:[1,1,0] neg_lo:[0,0,1] neg_hi:[0,0,1]
	v_pk_fma_f32 v[20:21], v[170:171], v[180:181], v[20:21] op_sel:[0,0,1] op_sel_hi:[1,0,0]
	v_fmac_f32_e32 v173, v169, v254
	v_pk_add_f32 v[18:19], v[24:25], v[64:65]
	v_mov_b32_e32 v20, v179
	v_pk_add_f32 v[18:19], v[18:19], v[172:173]
	v_mov_b32_e32 v23, v21
	s_waitcnt lgkmcnt(3)
	v_pk_mul_f32 v[20:21], v[4:5], v[20:21] op_sel_hi:[1,0]
	v_pk_add_f32 v[18:19], v[18:19], v[22:23]
	v_pk_fma_f32 v[22:23], v[4:5], v[178:179], v[20:21] op_sel:[0,0,1] op_sel_hi:[1,1,0] neg_lo:[0,0,1] neg_hi:[0,0,1]
	v_pk_fma_f32 v[4:5], v[4:5], v[178:179], v[20:21] op_sel:[0,0,1] op_sel_hi:[1,0,0]
	v_mov_b32_e32 v23, v5
	v_pk_add_f32 v[4:5], v[18:19], v[22:23]
	v_mov_b32_e32 v18, v177
	v_pk_mul_f32 v[18:19], v[6:7], v[18:19] op_sel_hi:[1,0]
	v_pk_fma_f32 v[20:21], v[6:7], v[176:177], v[18:19] op_sel:[0,0,1] op_sel_hi:[1,1,0] neg_lo:[0,0,1] neg_hi:[0,0,1]
	v_pk_fma_f32 v[6:7], v[6:7], v[176:177], v[18:19] op_sel:[0,0,1] op_sel_hi:[1,0,0]
	v_mov_b32_e32 v6, v175
	v_mov_b32_e32 v21, v7
	s_waitcnt lgkmcnt(2)
	v_pk_mul_f32 v[6:7], v[8:9], v[6:7] op_sel_hi:[1,0]
	v_pk_fma_f32 v[18:19], v[8:9], v[174:175], v[6:7] op_sel:[0,0,1] op_sel_hi:[1,1,0] neg_lo:[0,0,1] neg_hi:[0,0,1]
	v_pk_fma_f32 v[6:7], v[8:9], v[174:175], v[6:7] op_sel:[0,0,1] op_sel_hi:[1,0,0]
	s_waitcnt vmcnt(1)
	v_mov_b32_e32 v6, v189
	v_mov_b32_e32 v19, v7
	v_pk_mul_f32 v[6:7], v[10:11], v[6:7] op_sel_hi:[1,0]
	s_waitcnt vmcnt(0)
	v_pk_fma_f32 v[8:9], v[10:11], v[188:189], v[6:7] op_sel:[0,0,1] op_sel_hi:[1,1,0] neg_lo:[0,0,1] neg_hi:[0,0,1]
	v_pk_fma_f32 v[6:7], v[10:11], v[188:189], v[6:7] op_sel:[0,0,1] op_sel_hi:[1,0,0]
	v_pk_add_f32 v[4:5], v[4:5], v[20:21]
	v_mov_b32_e32 v6, v187
	v_pk_add_f32 v[4:5], v[4:5], v[18:19]
	v_mov_b32_e32 v9, v7
	s_waitcnt lgkmcnt(1)
	v_pk_mul_f32 v[6:7], v[12:13], v[6:7] op_sel_hi:[1,0]
	v_pk_add_f32 v[4:5], v[4:5], v[8:9]
	v_pk_fma_f32 v[8:9], v[12:13], v[186:187], v[6:7] op_sel:[0,0,1] op_sel_hi:[1,1,0] neg_lo:[0,0,1] neg_hi:[0,0,1]
	v_pk_fma_f32 v[6:7], v[12:13], v[186:187], v[6:7] op_sel:[0,0,1] op_sel_hi:[1,0,0]
	v_mov_b32_e32 v6, v185
	v_mov_b32_e32 v9, v7
	v_pk_mul_f32 v[6:7], v[14:15], v[6:7] op_sel_hi:[1,0]
	v_pk_add_f32 v[4:5], v[4:5], v[8:9]
	v_pk_fma_f32 v[8:9], v[14:15], v[184:185], v[6:7] op_sel:[0,0,1] op_sel_hi:[1,1,0] neg_lo:[0,0,1] neg_hi:[0,0,1]
	v_pk_fma_f32 v[6:7], v[14:15], v[184:185], v[6:7] op_sel:[0,0,1] op_sel_hi:[1,0,0]
	v_mov_b32_e32 v6, v183
	v_mov_b32_e32 v9, v7
	s_waitcnt lgkmcnt(0)
	v_pk_mul_f32 v[6:7], v[16:17], v[6:7] op_sel_hi:[1,0]
	v_pk_add_f32 v[4:5], v[4:5], v[8:9]
	v_pk_fma_f32 v[8:9], v[16:17], v[182:183], v[6:7] op_sel:[0,0,1] op_sel_hi:[1,1,0] neg_lo:[0,0,1] neg_hi:[0,0,1]
	v_pk_fma_f32 v[6:7], v[16:17], v[182:183], v[6:7] op_sel:[0,0,1] op_sel_hi:[1,0,0]
	v_mov_b32_e32 v9, v7
	v_pk_add_f32 v[4:5], v[4:5], v[8:9]
	v_pk_add_f32 v[2:3], v[2:3], v[4:5] neg_lo:[0,1] neg_hi:[0,1]
	buffer_store_dword v3, off, s[0:3], 0 offset:12
	buffer_store_dword v2, off, s[0:3], 0 offset:8
	s_and_saveexec_b64 s[4:5], vcc
	s_cbranch_execz .LBB44_283
; %bb.282:
	buffer_load_dword v2, off, s[0:3], 0
	buffer_load_dword v3, off, s[0:3], 0 offset:4
	s_waitcnt vmcnt(0)
	ds_write_b64 v1, v[2:3]
	buffer_store_dword v26, off, s[0:3], 0
	buffer_store_dword v26, off, s[0:3], 0 offset:4
.LBB44_283:
	s_or_b64 exec, exec, s[4:5]
	s_waitcnt lgkmcnt(0)
	; wave barrier
	s_waitcnt lgkmcnt(0)
	buffer_load_dword v27, off, s[0:3], 0 offset:12
	buffer_load_dword v64, off, s[0:3], 0 offset:20
	;; [unrolled: 1-line block ×22, first 2 shown]
	buffer_load_dword v24, off, s[0:3], 0
	buffer_load_dword v25, off, s[0:3], 0 offset:4
	buffer_load_dword v206, off, s[0:3], 0 offset:96
	;; [unrolled: 1-line block ×3, first 2 shown]
	ds_read2_b64 v[20:23], v26 offset0:47 offset1:48
	ds_read2_b64 v[16:19], v26 offset0:49 offset1:50
	;; [unrolled: 1-line block ×6, first 2 shown]
	buffer_load_dword v208, off, s[0:3], 0 offset:104
	buffer_load_dword v209, off, s[0:3], 0 offset:108
	;; [unrolled: 1-line block ×42, first 2 shown]
	s_and_b64 vcc, exec, s[20:21]
	s_waitcnt vmcnt(62) lgkmcnt(5)
	v_mul_f32_e32 v28, v20, v27
	v_mul_f32_e32 v29, v22, v64
	s_waitcnt lgkmcnt(4)
	v_mul_f32_e32 v31, v18, v168
	s_waitcnt lgkmcnt(3)
	v_mul_f32_e32 v32, v12, v176
	v_mul_f32_e32 v33, v14, v188
	;; [unrolled: 1-line block ×3, first 2 shown]
	s_waitcnt vmcnt(61) lgkmcnt(2)
	v_mul_f32_e32 v34, v8, v190
	s_waitcnt vmcnt(60)
	v_mul_f32_e32 v35, v10, v191
	s_waitcnt vmcnt(59) lgkmcnt(1)
	v_mul_f32_e32 v36, v4, v192
	s_waitcnt vmcnt(58)
	v_fmac_f32_e32 v30, v17, v193
	s_waitcnt vmcnt(57)
	v_fmac_f32_e32 v29, v23, v194
	;; [unrolled: 2-line block ×3, first 2 shown]
	v_add_f32_e32 v28, 0, v28
	v_add_f32_e32 v28, v28, v29
	;; [unrolled: 1-line block ×3, first 2 shown]
	s_waitcnt vmcnt(52)
	v_fmac_f32_e32 v31, v19, v199
	v_fmac_f32_e32 v32, v13, v198
	v_add_f32_e32 v28, v28, v31
	v_fmac_f32_e32 v33, v15, v197
	v_add_f32_e32 v28, v28, v32
	;; [unrolled: 2-line block ×3, first 2 shown]
	s_waitcnt vmcnt(48)
	v_fmac_f32_e32 v35, v11, v203
	v_add_f32_e32 v28, v28, v34
	v_fmac_f32_e32 v36, v5, v202
	v_add_f32_e32 v28, v28, v35
	s_waitcnt vmcnt(47)
	v_mul_f32_e32 v29, v6, v204
	v_add_f32_e32 v28, v28, v36
	v_fmac_f32_e32 v29, v7, v201
	v_add_f32_e32 v28, v28, v29
	s_waitcnt vmcnt(46) lgkmcnt(0)
	v_mul_f32_e32 v29, v0, v205
	v_fmac_f32_e32 v29, v1, v200
	v_add_f32_e32 v32, v28, v29
	ds_read2_b64 v[28:31], v26 offset0:59 offset1:60
	s_waitcnt vmcnt(42)
	v_mul_f32_e32 v33, v2, v207
	v_fmac_f32_e32 v33, v3, v206
	buffer_load_dword v250, off, s[0:3], 0 offset:272
	buffer_load_dword v251, off, s[0:3], 0 offset:276
	v_add_f32_e32 v36, v32, v33
	buffer_load_dword v252, off, s[0:3], 0 offset:280
	buffer_load_dword v253, off, s[0:3], 0 offset:284
	ds_read2_b64 v[32:35], v26 offset0:61 offset1:62
	s_waitcnt vmcnt(44) lgkmcnt(1)
	v_mul_f32_e32 v37, v28, v209
	v_fmac_f32_e32 v37, v29, v208
	v_add_f32_e32 v36, v36, v37
	s_waitcnt vmcnt(42)
	v_mul_f32_e32 v37, v30, v211
	v_fmac_f32_e32 v37, v31, v210
	v_add_f32_e32 v36, v36, v37
	s_waitcnt vmcnt(40) lgkmcnt(0)
	v_mul_f32_e32 v37, v32, v213
	v_fmac_f32_e32 v37, v33, v212
	buffer_load_dword v254, off, s[0:3], 0 offset:288
	buffer_load_dword v255, off, s[0:3], 0 offset:292
	v_add_f32_e32 v40, v36, v37
	ds_read2_b64 v[36:39], v26 offset0:63 offset1:64
	s_waitcnt vmcnt(40)
	v_mul_f32_e32 v41, v34, v215
	v_fmac_f32_e32 v41, v35, v214
	v_add_f32_e32 v44, v40, v41
	ds_read2_b64 v[40:43], v26 offset0:65 offset1:66
	s_waitcnt vmcnt(38) lgkmcnt(1)
	v_mul_f32_e32 v45, v36, v217
	v_fmac_f32_e32 v45, v37, v216
	v_add_f32_e32 v44, v44, v45
	s_waitcnt vmcnt(36)
	v_mul_f32_e32 v45, v38, v219
	v_fmac_f32_e32 v45, v39, v218
	v_add_f32_e32 v44, v44, v45
	s_waitcnt vmcnt(34) lgkmcnt(0)
	v_mul_f32_e32 v45, v40, v221
	v_fmac_f32_e32 v45, v41, v220
	v_add_f32_e32 v48, v44, v45
	ds_read2_b64 v[44:47], v26 offset0:67 offset1:68
	s_waitcnt vmcnt(32)
	v_mul_f32_e32 v49, v42, v223
	v_fmac_f32_e32 v49, v43, v222
	v_add_f32_e32 v52, v48, v49
	ds_read2_b64 v[48:51], v26 offset0:69 offset1:70
	s_waitcnt vmcnt(30) lgkmcnt(1)
	v_mul_f32_e32 v53, v44, v225
	v_fmac_f32_e32 v53, v45, v224
	v_add_f32_e32 v52, v52, v53
	s_waitcnt vmcnt(28)
	v_mul_f32_e32 v53, v46, v227
	v_fmac_f32_e32 v53, v47, v226
	v_add_f32_e32 v52, v52, v53
	s_waitcnt vmcnt(26) lgkmcnt(0)
	v_mul_f32_e32 v53, v48, v229
	v_fmac_f32_e32 v53, v49, v228
	;; [unrolled: 18-line block ×4, first 2 shown]
	s_waitcnt vmcnt(8)
	v_mul_f32_e32 v164, v158, v247
	v_add_f32_e32 v65, v65, v160
	v_fmac_f32_e32 v164, v159, v246
	ds_read2_b64 v[160:163], v26 offset0:79 offset1:80
	v_add_f32_e32 v65, v65, v164
	ds_read2_b64 v[164:167], v26 offset0:81 offset1:82
	buffer_load_dword v171, off, s[0:3], 0 offset:316
	buffer_load_dword v170, off, s[0:3], 0 offset:312
	;; [unrolled: 1-line block ×16, first 2 shown]
	v_mul_f32_e32 v21, v21, v27
	v_fma_f32 v20, v20, v195, -v21
	v_mul_f32_e32 v21, v23, v64
	v_add_f32_e32 v20, 0, v20
	v_fma_f32 v21, v22, v194, -v21
	v_mul_f32_e32 v17, v17, v189
	v_add_f32_e32 v20, v20, v21
	v_fma_f32 v16, v16, v193, -v17
	v_mul_f32_e32 v17, v19, v168
	v_add_f32_e32 v16, v20, v16
	v_fma_f32 v17, v18, v199, -v17
	v_mul_f32_e32 v13, v13, v176
	v_add_f32_e32 v16, v16, v17
	v_fma_f32 v12, v12, v198, -v13
	v_mul_f32_e32 v13, v15, v188
	v_add_f32_e32 v12, v16, v12
	v_fma_f32 v13, v14, v197, -v13
	v_mul_f32_e32 v9, v9, v190
	v_add_f32_e32 v12, v12, v13
	v_fma_f32 v8, v8, v196, -v9
	v_mul_f32_e32 v9, v11, v191
	v_add_f32_e32 v8, v12, v8
	v_fma_f32 v9, v10, v203, -v9
	v_mul_f32_e32 v5, v5, v192
	v_add_f32_e32 v8, v8, v9
	v_fma_f32 v4, v4, v202, -v5
	v_mul_f32_e32 v5, v7, v204
	v_add_f32_e32 v4, v8, v4
	v_fma_f32 v5, v6, v201, -v5
	v_mul_f32_e32 v1, v1, v205
	v_add_f32_e32 v4, v4, v5
	v_fma_f32 v0, v0, v200, -v1
	v_mul_f32_e32 v1, v3, v207
	v_add_f32_e32 v0, v4, v0
	v_fma_f32 v1, v2, v206, -v1
	v_add_f32_e32 v0, v0, v1
	v_mul_f32_e32 v1, v29, v209
	v_fma_f32 v1, v28, v208, -v1
	v_add_f32_e32 v0, v0, v1
	v_mul_f32_e32 v1, v31, v211
	v_fma_f32 v1, v30, v210, -v1
	v_add_f32_e32 v0, v0, v1
	v_mul_f32_e32 v1, v33, v213
	v_fma_f32 v1, v32, v212, -v1
	v_add_f32_e32 v0, v0, v1
	v_mul_f32_e32 v1, v35, v215
	v_fma_f32 v1, v34, v214, -v1
	v_add_f32_e32 v0, v0, v1
	v_mul_f32_e32 v1, v37, v217
	v_fma_f32 v1, v36, v216, -v1
	v_add_f32_e32 v0, v0, v1
	v_mul_f32_e32 v1, v39, v219
	v_fma_f32 v1, v38, v218, -v1
	v_add_f32_e32 v0, v0, v1
	v_mul_f32_e32 v1, v41, v221
	v_fma_f32 v1, v40, v220, -v1
	v_add_f32_e32 v0, v0, v1
	v_mul_f32_e32 v1, v43, v223
	v_fma_f32 v1, v42, v222, -v1
	v_add_f32_e32 v0, v0, v1
	v_mul_f32_e32 v1, v45, v225
	v_fma_f32 v1, v44, v224, -v1
	v_add_f32_e32 v0, v0, v1
	v_mul_f32_e32 v1, v47, v227
	v_fma_f32 v1, v46, v226, -v1
	v_add_f32_e32 v0, v0, v1
	v_mul_f32_e32 v1, v49, v229
	v_fma_f32 v1, v48, v228, -v1
	v_add_f32_e32 v0, v0, v1
	v_mul_f32_e32 v1, v51, v231
	v_fma_f32 v1, v50, v230, -v1
	v_add_f32_e32 v0, v0, v1
	v_mul_f32_e32 v1, v53, v233
	v_fma_f32 v1, v52, v232, -v1
	v_add_f32_e32 v0, v0, v1
	v_mul_f32_e32 v1, v55, v235
	v_fma_f32 v1, v54, v234, -v1
	v_add_f32_e32 v0, v0, v1
	v_mul_f32_e32 v1, v57, v237
	v_fma_f32 v1, v56, v236, -v1
	v_add_f32_e32 v0, v0, v1
	v_mul_f32_e32 v1, v59, v239
	v_fma_f32 v1, v58, v238, -v1
	v_add_f32_e32 v0, v0, v1
	v_mul_f32_e32 v1, v61, v241
	v_fma_f32 v1, v60, v240, -v1
	v_add_f32_e32 v0, v0, v1
	v_mul_f32_e32 v1, v63, v243
	v_fma_f32 v1, v62, v242, -v1
	v_add_f32_e32 v0, v0, v1
	v_mul_f32_e32 v1, v157, v245
	v_fma_f32 v1, v156, v244, -v1
	v_add_f32_e32 v0, v0, v1
	v_mul_f32_e32 v1, v159, v247
	v_fma_f32 v1, v158, v246, -v1
	v_add_f32_e32 v0, v0, v1
	s_waitcnt vmcnt(22) lgkmcnt(1)
	v_mul_f32_e32 v1, v161, v249
	v_fma_f32 v1, v160, v248, -v1
	v_add_f32_e32 v0, v0, v1
	s_waitcnt vmcnt(20)
	v_mul_f32_e32 v1, v163, v251
	v_mul_f32_e32 v169, v160, v249
	v_fma_f32 v1, v162, v250, -v1
	v_fmac_f32_e32 v169, v161, v248
	v_add_f32_e32 v64, v0, v1
	s_waitcnt vmcnt(18) lgkmcnt(0)
	v_mul_f32_e32 v0, v165, v253
	v_add_f32_e32 v65, v65, v169
	v_mul_f32_e32 v169, v162, v251
	v_fma_f32 v168, v164, v252, -v0
	s_waitcnt vmcnt(16)
	v_mul_f32_e32 v0, v167, v255
	v_fmac_f32_e32 v169, v163, v250
	v_fma_f32 v176, v166, v254, -v0
	ds_read2_b64 v[0:3], v26 offset0:83 offset1:84
	ds_read2_b64 v[4:7], v26 offset0:85 offset1:86
	;; [unrolled: 1-line block ×4, first 2 shown]
	v_add_f32_e32 v65, v65, v169
	v_mul_f32_e32 v169, v164, v253
	s_waitcnt vmcnt(11)
	v_mov_b32_e32 v18, v175
	v_fmac_f32_e32 v169, v165, v252
	v_mul_f32_e32 v177, v166, v255
	s_waitcnt lgkmcnt(3)
	v_pk_mul_f32 v[18:19], v[0:1], v[18:19] op_sel_hi:[1,0]
	v_fmac_f32_e32 v177, v167, v254
	v_pk_add_f32 v[16:17], v[64:65], v[168:169]
	s_waitcnt vmcnt(10)
	v_pk_fma_f32 v[20:21], v[0:1], v[174:175], v[18:19] op_sel:[0,0,1] op_sel_hi:[1,1,0] neg_lo:[0,0,1] neg_hi:[0,0,1]
	v_pk_fma_f32 v[0:1], v[0:1], v[174:175], v[18:19] op_sel:[0,0,1] op_sel_hi:[1,0,0]
	v_pk_add_f32 v[16:17], v[16:17], v[176:177]
	v_mov_b32_e32 v21, v1
	v_pk_add_f32 v[0:1], v[16:17], v[20:21]
	v_mov_b32_e32 v16, v173
	v_pk_mul_f32 v[16:17], v[2:3], v[16:17] op_sel_hi:[1,0]
	v_pk_fma_f32 v[18:19], v[2:3], v[172:173], v[16:17] op_sel:[0,0,1] op_sel_hi:[1,1,0] neg_lo:[0,0,1] neg_hi:[0,0,1]
	v_pk_fma_f32 v[2:3], v[2:3], v[172:173], v[16:17] op_sel:[0,0,1] op_sel_hi:[1,0,0]
	v_mov_b32_e32 v2, v171
	v_mov_b32_e32 v19, v3
	s_waitcnt lgkmcnt(2)
	v_pk_mul_f32 v[2:3], v[4:5], v[2:3] op_sel_hi:[1,0]
	v_pk_fma_f32 v[16:17], v[4:5], v[170:171], v[2:3] op_sel:[0,0,1] op_sel_hi:[1,1,0] neg_lo:[0,0,1] neg_hi:[0,0,1]
	v_pk_fma_f32 v[2:3], v[4:5], v[170:171], v[2:3] op_sel:[0,0,1] op_sel_hi:[1,0,0]
	s_waitcnt vmcnt(3)
	v_mov_b32_e32 v2, v185
	v_mov_b32_e32 v17, v3
	v_pk_mul_f32 v[2:3], v[6:7], v[2:3] op_sel_hi:[1,0]
	s_waitcnt vmcnt(2)
	v_pk_fma_f32 v[4:5], v[6:7], v[184:185], v[2:3] op_sel:[0,0,1] op_sel_hi:[1,1,0] neg_lo:[0,0,1] neg_hi:[0,0,1]
	v_pk_fma_f32 v[2:3], v[6:7], v[184:185], v[2:3] op_sel:[0,0,1] op_sel_hi:[1,0,0]
	v_pk_add_f32 v[0:1], v[0:1], v[18:19]
	v_mov_b32_e32 v2, v183
	v_pk_add_f32 v[0:1], v[0:1], v[16:17]
	v_mov_b32_e32 v5, v3
	s_waitcnt lgkmcnt(1)
	v_pk_mul_f32 v[2:3], v[8:9], v[2:3] op_sel_hi:[1,0]
	v_pk_add_f32 v[0:1], v[0:1], v[4:5]
	v_pk_fma_f32 v[4:5], v[8:9], v[182:183], v[2:3] op_sel:[0,0,1] op_sel_hi:[1,1,0] neg_lo:[0,0,1] neg_hi:[0,0,1]
	v_pk_fma_f32 v[2:3], v[8:9], v[182:183], v[2:3] op_sel:[0,0,1] op_sel_hi:[1,0,0]
	v_mov_b32_e32 v2, v181
	v_mov_b32_e32 v5, v3
	v_pk_mul_f32 v[2:3], v[10:11], v[2:3] op_sel_hi:[1,0]
	v_pk_add_f32 v[0:1], v[0:1], v[4:5]
	v_pk_fma_f32 v[4:5], v[10:11], v[180:181], v[2:3] op_sel:[0,0,1] op_sel_hi:[1,1,0] neg_lo:[0,0,1] neg_hi:[0,0,1]
	v_pk_fma_f32 v[2:3], v[10:11], v[180:181], v[2:3] op_sel:[0,0,1] op_sel_hi:[1,0,0]
	v_mov_b32_e32 v2, v179
	v_mov_b32_e32 v5, v3
	s_waitcnt lgkmcnt(0)
	v_pk_mul_f32 v[2:3], v[12:13], v[2:3] op_sel_hi:[1,0]
	v_pk_add_f32 v[0:1], v[0:1], v[4:5]
	v_pk_fma_f32 v[4:5], v[12:13], v[178:179], v[2:3] op_sel:[0,0,1] op_sel_hi:[1,1,0] neg_lo:[0,0,1] neg_hi:[0,0,1]
	v_pk_fma_f32 v[2:3], v[12:13], v[178:179], v[2:3] op_sel:[0,0,1] op_sel_hi:[1,0,0]
	s_waitcnt vmcnt(1)
	v_mov_b32_e32 v2, v187
	v_mov_b32_e32 v5, v3
	v_pk_mul_f32 v[2:3], v[14:15], v[2:3] op_sel_hi:[1,0]
	v_pk_add_f32 v[0:1], v[0:1], v[4:5]
	s_waitcnt vmcnt(0)
	v_pk_fma_f32 v[4:5], v[14:15], v[186:187], v[2:3] op_sel:[0,0,1] op_sel_hi:[1,1,0] neg_lo:[0,0,1] neg_hi:[0,0,1]
	v_pk_fma_f32 v[2:3], v[14:15], v[186:187], v[2:3] op_sel:[0,0,1] op_sel_hi:[1,0,0]
	v_mov_b32_e32 v5, v3
	v_pk_add_f32 v[0:1], v[0:1], v[4:5]
	v_pk_add_f32 v[0:1], v[24:25], v[0:1] neg_lo:[0,1] neg_hi:[0,1]
	buffer_store_dword v1, off, s[0:3], 0 offset:4
	buffer_store_dword v0, off, s[0:3], 0
	s_cbranch_vccz .LBB44_373
; %bb.284:
	v_pk_mov_b32 v[0:1], s[10:11], s[10:11] op_sel:[0,1]
	flat_load_dword v0, v[0:1] offset:172
	s_waitcnt vmcnt(0) lgkmcnt(0)
	v_add_u32_e32 v0, -1, v0
	v_cmp_ne_u32_e32 vcc, 43, v0
	s_and_saveexec_b64 s[4:5], vcc
	s_cbranch_execz .LBB44_286
; %bb.285:
	v_mov_b32_e32 v1, 0
	v_lshl_add_u32 v0, v0, 3, v1
	buffer_load_dword v1, v0, s[0:3], 0 offen
	buffer_load_dword v2, v0, s[0:3], 0 offen offset:4
	buffer_load_dword v3, off, s[0:3], 0 offset:344
	buffer_load_dword v4, off, s[0:3], 0 offset:348
	s_waitcnt vmcnt(3)
	buffer_store_dword v1, off, s[0:3], 0 offset:344
	s_waitcnt vmcnt(3)
	buffer_store_dword v2, off, s[0:3], 0 offset:348
	s_waitcnt vmcnt(3)
	buffer_store_dword v3, v0, s[0:3], 0 offen
	s_waitcnt vmcnt(3)
	buffer_store_dword v4, v0, s[0:3], 0 offen offset:4
.LBB44_286:
	s_or_b64 exec, exec, s[4:5]
	v_pk_mov_b32 v[0:1], s[10:11], s[10:11] op_sel:[0,1]
	flat_load_dword v0, v[0:1] offset:168
	s_waitcnt vmcnt(0) lgkmcnt(0)
	v_add_u32_e32 v0, -1, v0
	v_cmp_ne_u32_e32 vcc, 42, v0
	s_and_saveexec_b64 s[4:5], vcc
	s_cbranch_execz .LBB44_288
; %bb.287:
	v_mov_b32_e32 v1, 0
	v_lshl_add_u32 v0, v0, 3, v1
	buffer_load_dword v1, v0, s[0:3], 0 offen
	buffer_load_dword v2, v0, s[0:3], 0 offen offset:4
	buffer_load_dword v3, off, s[0:3], 0 offset:340
	buffer_load_dword v4, off, s[0:3], 0 offset:336
	s_waitcnt vmcnt(3)
	buffer_store_dword v1, off, s[0:3], 0 offset:336
	s_waitcnt vmcnt(3)
	buffer_store_dword v2, off, s[0:3], 0 offset:340
	s_waitcnt vmcnt(3)
	buffer_store_dword v3, v0, s[0:3], 0 offen offset:4
	s_waitcnt vmcnt(3)
	buffer_store_dword v4, v0, s[0:3], 0 offen
.LBB44_288:
	s_or_b64 exec, exec, s[4:5]
	v_pk_mov_b32 v[0:1], s[10:11], s[10:11] op_sel:[0,1]
	flat_load_dword v0, v[0:1] offset:164
	s_waitcnt vmcnt(0) lgkmcnt(0)
	v_add_u32_e32 v0, -1, v0
	v_cmp_ne_u32_e32 vcc, 41, v0
	s_and_saveexec_b64 s[4:5], vcc
	s_cbranch_execz .LBB44_290
; %bb.289:
	v_mov_b32_e32 v1, 0
	v_lshl_add_u32 v0, v0, 3, v1
	buffer_load_dword v1, v0, s[0:3], 0 offen
	buffer_load_dword v2, v0, s[0:3], 0 offen offset:4
	buffer_load_dword v3, off, s[0:3], 0 offset:328
	buffer_load_dword v4, off, s[0:3], 0 offset:332
	s_waitcnt vmcnt(3)
	buffer_store_dword v1, off, s[0:3], 0 offset:328
	s_waitcnt vmcnt(3)
	buffer_store_dword v2, off, s[0:3], 0 offset:332
	s_waitcnt vmcnt(3)
	buffer_store_dword v3, v0, s[0:3], 0 offen
	s_waitcnt vmcnt(3)
	buffer_store_dword v4, v0, s[0:3], 0 offen offset:4
.LBB44_290:
	s_or_b64 exec, exec, s[4:5]
	v_pk_mov_b32 v[0:1], s[10:11], s[10:11] op_sel:[0,1]
	flat_load_dword v0, v[0:1] offset:160
	s_waitcnt vmcnt(0) lgkmcnt(0)
	v_add_u32_e32 v0, -1, v0
	v_cmp_ne_u32_e32 vcc, 40, v0
	s_and_saveexec_b64 s[4:5], vcc
	s_cbranch_execz .LBB44_292
; %bb.291:
	v_mov_b32_e32 v1, 0
	v_lshl_add_u32 v0, v0, 3, v1
	buffer_load_dword v1, v0, s[0:3], 0 offen
	buffer_load_dword v2, v0, s[0:3], 0 offen offset:4
	buffer_load_dword v3, off, s[0:3], 0 offset:324
	buffer_load_dword v4, off, s[0:3], 0 offset:320
	s_waitcnt vmcnt(3)
	buffer_store_dword v1, off, s[0:3], 0 offset:320
	s_waitcnt vmcnt(3)
	buffer_store_dword v2, off, s[0:3], 0 offset:324
	s_waitcnt vmcnt(3)
	buffer_store_dword v3, v0, s[0:3], 0 offen offset:4
	s_waitcnt vmcnt(3)
	buffer_store_dword v4, v0, s[0:3], 0 offen
.LBB44_292:
	s_or_b64 exec, exec, s[4:5]
	;; [unrolled: 48-line block ×21, first 2 shown]
	v_pk_mov_b32 v[0:1], s[10:11], s[10:11] op_sel:[0,1]
	flat_load_dword v0, v[0:1] offset:4
	s_waitcnt vmcnt(0) lgkmcnt(0)
	v_add_u32_e32 v0, -1, v0
	v_cmp_ne_u32_e32 vcc, 1, v0
	s_and_saveexec_b64 s[4:5], vcc
	s_cbranch_execz .LBB44_370
; %bb.369:
	v_mov_b32_e32 v1, 0
	v_lshl_add_u32 v0, v0, 3, v1
	buffer_load_dword v1, v0, s[0:3], 0 offen
	buffer_load_dword v2, v0, s[0:3], 0 offen offset:4
	buffer_load_dword v3, off, s[0:3], 0 offset:8
	buffer_load_dword v4, off, s[0:3], 0 offset:12
	s_waitcnt vmcnt(3)
	buffer_store_dword v1, off, s[0:3], 0 offset:8
	s_waitcnt vmcnt(3)
	buffer_store_dword v2, off, s[0:3], 0 offset:12
	s_waitcnt vmcnt(3)
	buffer_store_dword v3, v0, s[0:3], 0 offen
	s_waitcnt vmcnt(3)
	buffer_store_dword v4, v0, s[0:3], 0 offen offset:4
.LBB44_370:
	s_or_b64 exec, exec, s[4:5]
	v_pk_mov_b32 v[0:1], s[10:11], s[10:11] op_sel:[0,1]
	flat_load_dword v2, v[0:1]
	s_nop 0
	buffer_load_dword v0, off, s[0:3], 0
	buffer_load_dword v1, off, s[0:3], 0 offset:4
	s_waitcnt vmcnt(0) lgkmcnt(0)
	v_add_u32_e32 v2, -1, v2
	v_cmp_ne_u32_e32 vcc, 0, v2
	s_and_saveexec_b64 s[4:5], vcc
	s_cbranch_execz .LBB44_372
; %bb.371:
	v_mov_b32_e32 v3, 0
	v_lshl_add_u32 v2, v2, 3, v3
	buffer_load_dword v3, v2, s[0:3], 0 offen offset:4
	buffer_load_dword v4, v2, s[0:3], 0 offen
	s_waitcnt vmcnt(1)
	buffer_store_dword v3, off, s[0:3], 0 offset:4
	s_waitcnt vmcnt(1)
	buffer_store_dword v4, off, s[0:3], 0
	buffer_store_dword v1, v2, s[0:3], 0 offen offset:4
	buffer_store_dword v0, v2, s[0:3], 0 offen
	buffer_load_dword v0, off, s[0:3], 0
	s_nop 0
	buffer_load_dword v1, off, s[0:3], 0 offset:4
.LBB44_372:
	s_or_b64 exec, exec, s[4:5]
.LBB44_373:
	buffer_load_dword v2, off, s[0:3], 0 offset:8
	buffer_load_dword v3, off, s[0:3], 0 offset:12
	;; [unrolled: 1-line block ×88, first 2 shown]
	s_waitcnt vmcnt(62)
	global_store_dwordx2 v[144:145], v[0:1], off
	global_store_dwordx2 v[146:147], v[2:3], off
	;; [unrolled: 1-line block ×14, first 2 shown]
	s_waitcnt vmcnt(62)
	global_store_dwordx2 v[90:91], v[28:29], off
	global_store_dwordx2 v[92:93], v[30:31], off
	;; [unrolled: 1-line block ×7, first 2 shown]
	s_waitcnt vmcnt(62)
	global_store_dwordx2 v[104:105], v[42:43], off
	global_store_dwordx2 v[106:107], v[44:45], off
	;; [unrolled: 1-line block ×3, first 2 shown]
	s_waitcnt vmcnt(62)
	global_store_dwordx2 v[110:111], v[48:49], off
	global_store_dwordx2 v[112:113], v[50:51], off
	s_waitcnt vmcnt(62)
	global_store_dwordx2 v[114:115], v[52:53], off
	s_waitcnt vmcnt(61)
	;; [unrolled: 2-line block ×19, first 2 shown]
	global_store_dwordx2 v[154:155], v[178:179], off
	s_endpgm
	.section	.rodata,"a",@progbits
	.p2align	6, 0x0
	.amdhsa_kernel _ZN9rocsolver6v33100L18getri_kernel_smallILi45E19rocblas_complex_numIfEPS3_EEvT1_iilPiilS6_bb
		.amdhsa_group_segment_fixed_size 728
		.amdhsa_private_segment_fixed_size 368
		.amdhsa_kernarg_size 60
		.amdhsa_user_sgpr_count 8
		.amdhsa_user_sgpr_private_segment_buffer 1
		.amdhsa_user_sgpr_dispatch_ptr 0
		.amdhsa_user_sgpr_queue_ptr 0
		.amdhsa_user_sgpr_kernarg_segment_ptr 1
		.amdhsa_user_sgpr_dispatch_id 0
		.amdhsa_user_sgpr_flat_scratch_init 1
		.amdhsa_user_sgpr_kernarg_preload_length 0
		.amdhsa_user_sgpr_kernarg_preload_offset 0
		.amdhsa_user_sgpr_private_segment_size 0
		.amdhsa_uses_dynamic_stack 0
		.amdhsa_system_sgpr_private_segment_wavefront_offset 1
		.amdhsa_system_sgpr_workgroup_id_x 1
		.amdhsa_system_sgpr_workgroup_id_y 0
		.amdhsa_system_sgpr_workgroup_id_z 0
		.amdhsa_system_sgpr_workgroup_info 0
		.amdhsa_system_vgpr_workitem_id 0
		.amdhsa_next_free_vgpr 256
		.amdhsa_next_free_sgpr 23
		.amdhsa_accum_offset 256
		.amdhsa_reserve_vcc 1
		.amdhsa_reserve_flat_scratch 1
		.amdhsa_float_round_mode_32 0
		.amdhsa_float_round_mode_16_64 0
		.amdhsa_float_denorm_mode_32 3
		.amdhsa_float_denorm_mode_16_64 3
		.amdhsa_dx10_clamp 1
		.amdhsa_ieee_mode 1
		.amdhsa_fp16_overflow 0
		.amdhsa_tg_split 0
		.amdhsa_exception_fp_ieee_invalid_op 0
		.amdhsa_exception_fp_denorm_src 0
		.amdhsa_exception_fp_ieee_div_zero 0
		.amdhsa_exception_fp_ieee_overflow 0
		.amdhsa_exception_fp_ieee_underflow 0
		.amdhsa_exception_fp_ieee_inexact 0
		.amdhsa_exception_int_div_zero 0
	.end_amdhsa_kernel
	.section	.text._ZN9rocsolver6v33100L18getri_kernel_smallILi45E19rocblas_complex_numIfEPS3_EEvT1_iilPiilS6_bb,"axG",@progbits,_ZN9rocsolver6v33100L18getri_kernel_smallILi45E19rocblas_complex_numIfEPS3_EEvT1_iilPiilS6_bb,comdat
.Lfunc_end44:
	.size	_ZN9rocsolver6v33100L18getri_kernel_smallILi45E19rocblas_complex_numIfEPS3_EEvT1_iilPiilS6_bb, .Lfunc_end44-_ZN9rocsolver6v33100L18getri_kernel_smallILi45E19rocblas_complex_numIfEPS3_EEvT1_iilPiilS6_bb
                                        ; -- End function
	.section	.AMDGPU.csdata,"",@progbits
; Kernel info:
; codeLenInByte = 82664
; NumSgprs: 29
; NumVgprs: 256
; NumAgprs: 0
; TotalNumVgprs: 256
; ScratchSize: 368
; MemoryBound: 0
; FloatMode: 240
; IeeeMode: 1
; LDSByteSize: 728 bytes/workgroup (compile time only)
; SGPRBlocks: 3
; VGPRBlocks: 31
; NumSGPRsForWavesPerEU: 29
; NumVGPRsForWavesPerEU: 256
; AccumOffset: 256
; Occupancy: 2
; WaveLimiterHint : 1
; COMPUTE_PGM_RSRC2:SCRATCH_EN: 1
; COMPUTE_PGM_RSRC2:USER_SGPR: 8
; COMPUTE_PGM_RSRC2:TRAP_HANDLER: 0
; COMPUTE_PGM_RSRC2:TGID_X_EN: 1
; COMPUTE_PGM_RSRC2:TGID_Y_EN: 0
; COMPUTE_PGM_RSRC2:TGID_Z_EN: 0
; COMPUTE_PGM_RSRC2:TIDIG_COMP_CNT: 0
; COMPUTE_PGM_RSRC3_GFX90A:ACCUM_OFFSET: 63
; COMPUTE_PGM_RSRC3_GFX90A:TG_SPLIT: 0
	.section	.text._ZN9rocsolver6v33100L18getri_kernel_smallILi46E19rocblas_complex_numIfEPS3_EEvT1_iilPiilS6_bb,"axG",@progbits,_ZN9rocsolver6v33100L18getri_kernel_smallILi46E19rocblas_complex_numIfEPS3_EEvT1_iilPiilS6_bb,comdat
	.globl	_ZN9rocsolver6v33100L18getri_kernel_smallILi46E19rocblas_complex_numIfEPS3_EEvT1_iilPiilS6_bb ; -- Begin function _ZN9rocsolver6v33100L18getri_kernel_smallILi46E19rocblas_complex_numIfEPS3_EEvT1_iilPiilS6_bb
	.p2align	8
	.type	_ZN9rocsolver6v33100L18getri_kernel_smallILi46E19rocblas_complex_numIfEPS3_EEvT1_iilPiilS6_bb,@function
_ZN9rocsolver6v33100L18getri_kernel_smallILi46E19rocblas_complex_numIfEPS3_EEvT1_iilPiilS6_bb: ; @_ZN9rocsolver6v33100L18getri_kernel_smallILi46E19rocblas_complex_numIfEPS3_EEvT1_iilPiilS6_bb
; %bb.0:
	s_add_u32 flat_scratch_lo, s6, s9
	s_addc_u32 flat_scratch_hi, s7, 0
	s_add_u32 s0, s0, s9
	s_addc_u32 s1, s1, 0
	v_cmp_gt_u32_e32 vcc, 46, v0
	s_and_saveexec_b64 s[6:7], vcc
	s_cbranch_execz .LBB45_198
; %bb.1:
	s_load_dword s22, s[4:5], 0x38
	s_load_dwordx4 s[16:19], s[4:5], 0x10
	s_load_dwordx4 s[12:15], s[4:5], 0x28
                                        ; implicit-def: $sgpr10_sgpr11
	s_waitcnt lgkmcnt(0)
	s_bitcmp1_b32 s22, 8
	s_cselect_b64 s[20:21], -1, 0
	s_ashr_i32 s9, s8, 31
	s_bfe_u32 s6, s22, 0x10008
	s_cmp_eq_u32 s6, 0
	s_cbranch_scc1 .LBB45_3
; %bb.2:
	s_load_dword s6, s[4:5], 0x20
	s_mul_i32 s7, s8, s13
	s_mul_hi_u32 s10, s8, s12
	s_mul_i32 s11, s9, s12
	s_add_i32 s10, s10, s7
	s_add_i32 s11, s10, s11
	s_mul_i32 s10, s8, s12
	s_waitcnt lgkmcnt(0)
	s_ashr_i32 s7, s6, 31
	s_lshl_b64 s[10:11], s[10:11], 2
	s_add_u32 s10, s18, s10
	s_addc_u32 s11, s19, s11
	s_lshl_b64 s[6:7], s[6:7], 2
	s_add_u32 s10, s10, s6
	s_addc_u32 s11, s11, s7
.LBB45_3:
	s_load_dwordx4 s[4:7], s[4:5], 0x0
	s_mul_i32 s12, s8, s17
	s_mul_hi_u32 s13, s8, s16
	s_add_i32 s17, s13, s12
	v_lshlrev_b32_e32 v6, 3, v0
	s_waitcnt lgkmcnt(0)
	s_ashr_i32 s13, s6, 31
	s_mov_b32 s12, s6
	s_mul_i32 s6, s9, s16
	s_add_i32 s17, s17, s6
	s_mul_i32 s16, s8, s16
	s_lshl_b64 s[16:17], s[16:17], 3
	s_add_u32 s6, s4, s16
	s_addc_u32 s16, s5, s17
	s_lshl_b64 s[4:5], s[12:13], 3
	s_add_u32 s4, s6, s4
	s_addc_u32 s5, s16, s5
	s_add_i32 s6, s7, s7
	v_add_u32_e32 v2, s6, v0
	v_ashrrev_i32_e32 v3, 31, v2
	v_lshlrev_b64 v[4:5], 3, v[2:3]
	v_add_u32_e32 v2, s7, v2
	v_mov_b32_e32 v1, s5
	v_add_co_u32_e32 v10, vcc, s4, v4
	v_ashrrev_i32_e32 v3, 31, v2
	v_addc_co_u32_e32 v11, vcc, v1, v5, vcc
	v_lshlrev_b64 v[4:5], 3, v[2:3]
	v_add_u32_e32 v2, s7, v2
	v_add_co_u32_e32 v14, vcc, s4, v4
	v_ashrrev_i32_e32 v3, 31, v2
	v_addc_co_u32_e32 v15, vcc, v1, v5, vcc
	v_lshlrev_b64 v[4:5], 3, v[2:3]
	v_add_u32_e32 v2, s7, v2
	;; [unrolled: 5-line block ×37, first 2 shown]
	v_add_co_u32_e32 v150, vcc, s4, v4
	v_ashrrev_i32_e32 v3, 31, v2
	v_addc_co_u32_e32 v151, vcc, v1, v5, vcc
	v_lshlrev_b64 v[4:5], 3, v[2:3]
	v_add_co_u32_e32 v152, vcc, s4, v4
	v_addc_co_u32_e32 v153, vcc, v1, v5, vcc
	global_load_dwordx2 v[4:5], v6, s[4:5]
	v_add_co_u32_e32 v156, vcc, s4, v6
	s_ashr_i32 s13, s7, 31
	s_mov_b32 s12, s7
	v_addc_co_u32_e32 v157, vcc, 0, v1, vcc
	s_lshl_b64 s[12:13], s[12:13], 3
	v_mov_b32_e32 v1, s13
	v_add_co_u32_e32 v160, vcc, s12, v156
	v_addc_co_u32_e32 v161, vcc, v157, v1, vcc
	v_add_u32_e32 v2, s7, v2
	global_load_dwordx2 v[8:9], v[160:161], off
	v_ashrrev_i32_e32 v3, 31, v2
	v_lshlrev_b64 v[12:13], 3, v[2:3]
	v_add_u32_e32 v2, s7, v2
	v_mov_b32_e32 v1, s5
	v_accvgpr_write_b32 a0, v10
	v_accvgpr_write_b32 a2, v14
	v_add_co_u32_e32 v154, vcc, s4, v12
	v_accvgpr_write_b32 a4, v16
	v_ashrrev_i32_e32 v3, 31, v2
	v_accvgpr_write_b32 a6, v18
	v_accvgpr_write_b32 a1, v11
	global_load_dwordx2 v[10:11], v[10:11], off
	v_accvgpr_write_b32 a3, v15
	global_load_dwordx2 v[14:15], v[14:15], off
	v_addc_co_u32_e32 v155, vcc, v1, v13, vcc
	global_load_dwordx2 v[12:13], v[16:17], off
	v_accvgpr_write_b32 a5, v17
	v_accvgpr_write_b32 a7, v19
	global_load_dwordx2 v[16:17], v[18:19], off
	v_lshlrev_b64 v[18:19], 3, v[2:3]
	v_add_u32_e32 v2, s7, v2
	v_add_co_u32_e32 v158, vcc, s4, v18
	v_ashrrev_i32_e32 v3, 31, v2
	v_addc_co_u32_e32 v159, vcc, v1, v19, vcc
	v_lshlrev_b64 v[34:35], 3, v[2:3]
	v_add_u32_e32 v2, s7, v2
	v_add_co_u32_e32 v162, vcc, s4, v34
	v_ashrrev_i32_e32 v3, 31, v2
	v_addc_co_u32_e32 v163, vcc, v1, v35, vcc
	v_lshlrev_b64 v[50:51], 3, v[2:3]
	v_add_u32_e32 v2, s7, v2
	v_add_co_u32_e32 v164, vcc, s4, v50
	v_ashrrev_i32_e32 v3, 31, v2
	v_addc_co_u32_e32 v165, vcc, v1, v51, vcc
	v_lshlrev_b64 v[2:3], 3, v[2:3]
	v_add_co_u32_e32 v166, vcc, s4, v2
	global_load_dwordx2 v[20:21], v[84:85], off
	global_load_dwordx2 v[22:23], v[86:87], off
	;; [unrolled: 1-line block ×28, first 2 shown]
	v_addc_co_u32_e32 v167, vcc, v1, v3, vcc
	global_load_dwordx2 v[2:3], v[140:141], off
	global_load_dwordx2 v[74:75], v[166:167], off
	;; [unrolled: 1-line block ×8, first 2 shown]
	s_bitcmp0_b32 s22, 0
	s_waitcnt vmcnt(41)
	buffer_store_dword v5, off, s[0:3], 0 offset:4
	buffer_store_dword v4, off, s[0:3], 0
	global_load_dwordx2 v[4:5], v[146:147], off
	s_mov_b64 s[6:7], -1
	s_waitcnt vmcnt(43)
	buffer_store_dword v9, off, s[0:3], 0 offset:12
	buffer_store_dword v8, off, s[0:3], 0 offset:8
	global_load_dwordx2 v[8:9], v[150:151], off
	s_waitcnt vmcnt(45)
	buffer_store_dword v11, off, s[0:3], 0 offset:20
	buffer_store_dword v10, off, s[0:3], 0 offset:16
	global_load_dwordx2 v[10:11], v[154:155], off
	;; [unrolled: 4-line block ×3, first 2 shown]
	s_waitcnt vmcnt(49)
	buffer_store_dword v13, off, s[0:3], 0 offset:36
	buffer_store_dword v12, off, s[0:3], 0 offset:32
	s_waitcnt vmcnt(50)
	buffer_store_dword v17, off, s[0:3], 0 offset:44
	buffer_store_dword v16, off, s[0:3], 0 offset:40
	;; [unrolled: 3-line block ×15, first 2 shown]
	buffer_store_dword v45, off, s[0:3], 0 offset:156
	buffer_store_dword v44, off, s[0:3], 0 offset:152
	s_waitcnt vmcnt(62)
	buffer_store_dword v47, off, s[0:3], 0 offset:164
	buffer_store_dword v46, off, s[0:3], 0 offset:160
	;; [unrolled: 1-line block ×8, first 2 shown]
	s_waitcnt vmcnt(62)
	buffer_store_dword v56, off, s[0:3], 0 offset:192
	buffer_store_dword v57, off, s[0:3], 0 offset:196
	;; [unrolled: 1-line block ×16, first 2 shown]
	s_waitcnt vmcnt(62)
	buffer_store_dword v71, off, s[0:3], 0 offset:260
	buffer_store_dword v70, off, s[0:3], 0 offset:256
	;; [unrolled: 1-line block ×18, first 2 shown]
	s_waitcnt vmcnt(62)
	buffer_store_dword v10, off, s[0:3], 0 offset:328
	buffer_store_dword v11, off, s[0:3], 0 offset:332
	;; [unrolled: 1-line block ×10, first 2 shown]
	s_cbranch_scc1 .LBB45_196
; %bb.4:
	v_cmp_eq_u32_e64 s[4:5], 0, v0
	s_and_saveexec_b64 s[6:7], s[4:5]
	s_cbranch_execz .LBB45_6
; %bb.5:
	v_mov_b32_e32 v1, 0
	ds_write_b32 v1, v1 offset:736
.LBB45_6:
	s_or_b64 exec, exec, s[6:7]
	v_mov_b32_e32 v1, 0
	v_lshl_add_u32 v7, v0, 3, v1
	s_waitcnt lgkmcnt(0)
	; wave barrier
	s_waitcnt lgkmcnt(0)
	buffer_load_dword v1, v7, s[0:3], 0 offen
	buffer_load_dword v2, v7, s[0:3], 0 offen offset:4
	s_waitcnt vmcnt(1)
	v_cmp_eq_f32_e32 vcc, 0, v1
	s_waitcnt vmcnt(0)
	v_cmp_eq_f32_e64 s[6:7], 0, v2
	s_and_b64 s[6:7], vcc, s[6:7]
	s_and_saveexec_b64 s[12:13], s[6:7]
	s_cbranch_execz .LBB45_10
; %bb.7:
	v_mov_b32_e32 v1, 0
	ds_read_b32 v3, v1 offset:736
	v_add_u32_e32 v2, 1, v0
	s_waitcnt lgkmcnt(0)
	v_readfirstlane_b32 s6, v3
	s_cmp_eq_u32 s6, 0
	s_cselect_b64 s[16:17], -1, 0
	v_cmp_gt_i32_e32 vcc, s6, v2
	s_or_b64 s[16:17], s[16:17], vcc
	s_and_b64 exec, exec, s[16:17]
	s_cbranch_execz .LBB45_10
; %bb.8:
	s_mov_b64 s[16:17], 0
	v_mov_b32_e32 v3, s6
.LBB45_9:                               ; =>This Inner Loop Header: Depth=1
	ds_cmpst_rtn_b32 v3, v1, v3, v2 offset:736
	s_waitcnt lgkmcnt(0)
	v_cmp_ne_u32_e32 vcc, 0, v3
	v_cmp_le_i32_e64 s[6:7], v3, v2
	s_and_b64 s[6:7], vcc, s[6:7]
	s_and_b64 s[6:7], exec, s[6:7]
	s_or_b64 s[16:17], s[6:7], s[16:17]
	s_andn2_b64 exec, exec, s[16:17]
	s_cbranch_execnz .LBB45_9
.LBB45_10:
	s_or_b64 exec, exec, s[12:13]
	v_mov_b32_e32 v2, 0
	s_waitcnt lgkmcnt(0)
	; wave barrier
	ds_read_b32 v1, v2 offset:736
	s_and_saveexec_b64 s[6:7], s[4:5]
	s_cbranch_execz .LBB45_12
; %bb.11:
	s_lshl_b64 s[12:13], s[8:9], 2
	s_add_u32 s12, s14, s12
	s_addc_u32 s13, s15, s13
	s_waitcnt lgkmcnt(0)
	global_store_dword v2, v1, s[12:13]
.LBB45_12:
	s_or_b64 exec, exec, s[6:7]
	s_waitcnt lgkmcnt(0)
	v_cmp_ne_u32_e32 vcc, 0, v1
	s_mov_b64 s[6:7], 0
	s_cbranch_vccnz .LBB45_196
; %bb.13:
	buffer_load_dword v8, v7, s[0:3], 0 offen offset:4
	buffer_load_dword v3, v7, s[0:3], 0 offen
	s_waitcnt vmcnt(1)
	v_cmp_gt_f32_e32 vcc, 0, v8
	v_cndmask_b32_e64 v1, v8, -v8, vcc
	s_waitcnt vmcnt(0)
	v_cmp_gt_f32_e32 vcc, 0, v3
	v_cndmask_b32_e64 v2, v3, -v3, vcc
	v_cmp_ngt_f32_e32 vcc, v2, v1
                                        ; implicit-def: $vgpr1
                                        ; implicit-def: $vgpr2
	s_and_saveexec_b64 s[6:7], vcc
	s_xor_b64 s[6:7], exec, s[6:7]
                                        ; implicit-def: $vgpr4_vgpr5
	s_cbranch_execz .LBB45_15
; %bb.14:
	v_div_scale_f32 v1, s[12:13], v8, v8, v3
	v_rcp_f32_e32 v2, v1
	v_div_scale_f32 v4, vcc, v3, v8, v3
	v_fma_f32 v5, -v1, v2, 1.0
	v_fmac_f32_e32 v2, v5, v2
	v_mul_f32_e32 v5, v4, v2
	v_fma_f32 v9, -v1, v5, v4
	v_fmac_f32_e32 v5, v9, v2
	v_fma_f32 v1, -v1, v5, v4
	v_div_fmas_f32 v1, v1, v2, v5
	v_div_fixup_f32 v2, v1, v8, v3
	v_fmac_f32_e32 v8, v3, v2
	v_div_scale_f32 v1, s[12:13], v8, v8, -1.0
	v_rcp_f32_e32 v3, v1
	v_fma_f32 v4, -v1, v3, 1.0
	v_fmac_f32_e32 v3, v4, v3
	v_div_scale_f32 v4, vcc, -1.0, v8, -1.0
	v_mul_f32_e32 v5, v4, v3
	v_fma_f32 v9, -v1, v5, v4
	v_fmac_f32_e32 v5, v9, v3
	v_fma_f32 v1, -v1, v5, v4
	v_div_fmas_f32 v1, v1, v3, v5
	v_div_fixup_f32 v1, v1, v8, -1.0
	v_mul_f32_e32 v2, v2, v1
	v_xor_b32_e32 v4, 0x80000000, v2
                                        ; implicit-def: $vgpr3
                                        ; implicit-def: $vgpr8
.LBB45_15:
	s_andn2_saveexec_b64 s[6:7], s[6:7]
	s_cbranch_execz .LBB45_17
; %bb.16:
	v_div_scale_f32 v1, s[12:13], v3, v3, v8
	v_rcp_f32_e32 v2, v1
	v_div_scale_f32 v4, vcc, v8, v3, v8
	v_fma_f32 v5, -v1, v2, 1.0
	v_fmac_f32_e32 v2, v5, v2
	v_mul_f32_e32 v5, v4, v2
	v_fma_f32 v9, -v1, v5, v4
	v_fmac_f32_e32 v5, v9, v2
	v_fma_f32 v1, -v1, v5, v4
	v_div_fmas_f32 v1, v1, v2, v5
	v_div_fixup_f32 v1, v1, v3, v8
	v_fmac_f32_e32 v3, v8, v1
	v_div_scale_f32 v2, s[12:13], v3, v3, 1.0
	v_rcp_f32_e32 v4, v2
	v_fma_f32 v5, -v2, v4, 1.0
	v_fmac_f32_e32 v4, v5, v4
	v_div_scale_f32 v5, vcc, 1.0, v3, 1.0
	v_mul_f32_e32 v8, v5, v4
	v_fma_f32 v9, -v2, v8, v5
	v_fmac_f32_e32 v8, v9, v4
	v_fma_f32 v2, -v2, v8, v5
	v_div_fmas_f32 v2, v2, v4, v8
	v_div_fixup_f32 v4, v2, v3, 1.0
	v_xor_b32_e32 v2, 0x80000000, v4
	v_mul_f32_e64 v1, v1, -v4
.LBB45_17:
	s_or_b64 exec, exec, s[6:7]
	buffer_store_dword v1, v7, s[0:3], 0 offen offset:4
	buffer_store_dword v4, v7, s[0:3], 0 offen
	buffer_load_dword v5, off, s[0:3], 0 offset:12
	s_nop 0
	buffer_load_dword v4, off, s[0:3], 0 offset:8
	v_xor_b32_e32 v3, 0x80000000, v1
	v_add_u32_e32 v1, 0x170, v6
	s_waitcnt vmcnt(0)
	ds_write2_b64 v6, v[2:3], v[4:5] offset1:46
	s_waitcnt lgkmcnt(0)
	; wave barrier
	s_waitcnt lgkmcnt(0)
	s_and_saveexec_b64 s[6:7], s[4:5]
	s_cbranch_execz .LBB45_19
; %bb.18:
	buffer_load_dword v8, v7, s[0:3], 0 offen offset:4
	buffer_load_dword v9, v7, s[0:3], 0 offen
	ds_read_b64 v[2:3], v1
	v_mov_b32_e32 v4, 0
	ds_read_b64 v[4:5], v4 offset:8
	s_waitcnt vmcnt(1) lgkmcnt(1)
	v_mul_f32_e32 v10, v3, v8
	v_mul_f32_e32 v8, v2, v8
	s_waitcnt vmcnt(0)
	v_fmac_f32_e32 v8, v3, v9
	v_fma_f32 v2, v2, v9, -v10
	v_add_f32_e32 v3, 0, v8
	v_add_f32_e32 v2, 0, v2
	s_waitcnt lgkmcnt(0)
	v_mul_f32_e32 v8, v3, v5
	v_mul_f32_e32 v5, v2, v5
	v_fma_f32 v2, v2, v4, -v8
	v_fmac_f32_e32 v5, v3, v4
	buffer_store_dword v2, off, s[0:3], 0 offset:8
	buffer_store_dword v5, off, s[0:3], 0 offset:12
.LBB45_19:
	s_or_b64 exec, exec, s[6:7]
	s_waitcnt lgkmcnt(0)
	; wave barrier
	buffer_load_dword v2, off, s[0:3], 0 offset:16
	buffer_load_dword v3, off, s[0:3], 0 offset:20
	v_cmp_gt_u32_e32 vcc, 2, v0
	s_waitcnt vmcnt(0)
	ds_write_b64 v1, v[2:3]
	s_waitcnt lgkmcnt(0)
	; wave barrier
	s_waitcnt lgkmcnt(0)
	s_and_saveexec_b64 s[6:7], vcc
	s_cbranch_execz .LBB45_23
; %bb.20:
	buffer_load_dword v4, v7, s[0:3], 0 offen offset:4
	buffer_load_dword v5, v7, s[0:3], 0 offen
	ds_read_b64 v[2:3], v1
	s_waitcnt vmcnt(1) lgkmcnt(0)
	v_mul_f32_e32 v7, v3, v4
	v_mul_f32_e32 v4, v2, v4
	s_waitcnt vmcnt(0)
	v_fma_f32 v2, v2, v5, -v7
	v_fmac_f32_e32 v4, v3, v5
	v_add_f32_e32 v3, 0, v2
	v_add_f32_e32 v2, 0, v4
	s_and_saveexec_b64 s[12:13], s[4:5]
	s_cbranch_execz .LBB45_22
; %bb.21:
	buffer_load_dword v7, off, s[0:3], 0 offset:12
	buffer_load_dword v8, off, s[0:3], 0 offset:8
	v_mov_b32_e32 v4, 0
	ds_read_b64 v[4:5], v4 offset:376
	s_waitcnt vmcnt(1) lgkmcnt(0)
	v_mul_f32_e32 v9, v4, v7
	v_mul_f32_e32 v7, v5, v7
	s_waitcnt vmcnt(0)
	v_fmac_f32_e32 v9, v5, v8
	v_fma_f32 v4, v4, v8, -v7
	v_add_f32_e32 v2, v2, v9
	v_add_f32_e32 v3, v3, v4
.LBB45_22:
	s_or_b64 exec, exec, s[12:13]
	v_mov_b32_e32 v4, 0
	ds_read_b64 v[4:5], v4 offset:16
	s_waitcnt lgkmcnt(0)
	v_mul_f32_e32 v7, v2, v5
	v_mul_f32_e32 v5, v3, v5
	v_fma_f32 v3, v3, v4, -v7
	v_fmac_f32_e32 v5, v2, v4
	buffer_store_dword v3, off, s[0:3], 0 offset:16
	buffer_store_dword v5, off, s[0:3], 0 offset:20
.LBB45_23:
	s_or_b64 exec, exec, s[6:7]
	s_waitcnt lgkmcnt(0)
	; wave barrier
	buffer_load_dword v2, off, s[0:3], 0 offset:24
	buffer_load_dword v3, off, s[0:3], 0 offset:28
	v_cmp_gt_u32_e32 vcc, 3, v0
	s_waitcnt vmcnt(0)
	ds_write_b64 v1, v[2:3]
	v_add_u32_e32 v2, -1, v0
	s_waitcnt lgkmcnt(0)
	; wave barrier
	s_waitcnt lgkmcnt(0)
	s_and_saveexec_b64 s[4:5], vcc
	s_cbranch_execz .LBB45_27
; %bb.24:
	v_add_u32_e32 v4, -1, v0
	v_add_u32_e32 v5, 0x170, v6
	v_add_u32_e32 v7, 0, v6
	s_mov_b64 s[6:7], 0
	v_mov_b32_e32 v3, 0
	v_mov_b32_e32 v8, 0
.LBB45_25:                              ; =>This Inner Loop Header: Depth=1
	buffer_load_dword v9, v7, s[0:3], 0 offen offset:4
	buffer_load_dword v12, v7, s[0:3], 0 offen
	ds_read_b64 v[10:11], v5
	v_add_u32_e32 v4, 1, v4
	v_cmp_lt_u32_e32 vcc, 1, v4
	v_add_u32_e32 v5, 8, v5
	v_add_u32_e32 v7, 8, v7
	s_or_b64 s[6:7], vcc, s[6:7]
	s_waitcnt vmcnt(1) lgkmcnt(0)
	v_mul_f32_e32 v13, v11, v9
	v_mul_f32_e32 v9, v10, v9
	s_waitcnt vmcnt(0)
	v_fma_f32 v10, v10, v12, -v13
	v_fmac_f32_e32 v9, v11, v12
	v_add_f32_e32 v8, v8, v10
	v_add_f32_e32 v3, v3, v9
	s_andn2_b64 exec, exec, s[6:7]
	s_cbranch_execnz .LBB45_25
; %bb.26:
	s_or_b64 exec, exec, s[6:7]
	v_mov_b32_e32 v4, 0
	ds_read_b64 v[4:5], v4 offset:24
	s_waitcnt lgkmcnt(0)
	v_mul_f32_e32 v7, v3, v5
	v_mul_f32_e32 v5, v8, v5
	v_fma_f32 v7, v8, v4, -v7
	v_fmac_f32_e32 v5, v3, v4
	buffer_store_dword v7, off, s[0:3], 0 offset:24
	buffer_store_dword v5, off, s[0:3], 0 offset:28
.LBB45_27:
	s_or_b64 exec, exec, s[4:5]
	s_waitcnt lgkmcnt(0)
	; wave barrier
	buffer_load_dword v4, off, s[0:3], 0 offset:32
	buffer_load_dword v5, off, s[0:3], 0 offset:36
	v_cmp_gt_u32_e32 vcc, 4, v0
	s_waitcnt vmcnt(0)
	ds_write_b64 v1, v[4:5]
	s_waitcnt lgkmcnt(0)
	; wave barrier
	s_waitcnt lgkmcnt(0)
	s_and_saveexec_b64 s[4:5], vcc
	s_cbranch_execz .LBB45_31
; %bb.28:
	v_add_u32_e32 v4, -1, v0
	v_add_u32_e32 v5, 0x170, v6
	v_add_u32_e32 v7, 0, v6
	s_mov_b64 s[6:7], 0
	v_mov_b32_e32 v3, 0
	v_mov_b32_e32 v8, 0
.LBB45_29:                              ; =>This Inner Loop Header: Depth=1
	buffer_load_dword v9, v7, s[0:3], 0 offen offset:4
	buffer_load_dword v12, v7, s[0:3], 0 offen
	ds_read_b64 v[10:11], v5
	v_add_u32_e32 v4, 1, v4
	v_cmp_lt_u32_e32 vcc, 2, v4
	v_add_u32_e32 v5, 8, v5
	v_add_u32_e32 v7, 8, v7
	s_or_b64 s[6:7], vcc, s[6:7]
	s_waitcnt vmcnt(1) lgkmcnt(0)
	v_mul_f32_e32 v13, v11, v9
	v_mul_f32_e32 v9, v10, v9
	s_waitcnt vmcnt(0)
	v_fma_f32 v10, v10, v12, -v13
	v_fmac_f32_e32 v9, v11, v12
	v_add_f32_e32 v8, v8, v10
	v_add_f32_e32 v3, v3, v9
	s_andn2_b64 exec, exec, s[6:7]
	s_cbranch_execnz .LBB45_29
; %bb.30:
	s_or_b64 exec, exec, s[6:7]
	v_mov_b32_e32 v4, 0
	ds_read_b64 v[4:5], v4 offset:32
	s_waitcnt lgkmcnt(0)
	v_mul_f32_e32 v7, v3, v5
	v_mul_f32_e32 v5, v8, v5
	v_fma_f32 v7, v8, v4, -v7
	v_fmac_f32_e32 v5, v3, v4
	buffer_store_dword v7, off, s[0:3], 0 offset:32
	buffer_store_dword v5, off, s[0:3], 0 offset:36
.LBB45_31:
	s_or_b64 exec, exec, s[4:5]
	s_waitcnt lgkmcnt(0)
	; wave barrier
	buffer_load_dword v4, off, s[0:3], 0 offset:40
	buffer_load_dword v5, off, s[0:3], 0 offset:44
	v_cmp_gt_u32_e32 vcc, 5, v0
	s_waitcnt vmcnt(0)
	ds_write_b64 v1, v[4:5]
	;; [unrolled: 51-line block ×19, first 2 shown]
	s_waitcnt lgkmcnt(0)
	; wave barrier
	s_waitcnt lgkmcnt(0)
	s_and_saveexec_b64 s[4:5], vcc
	s_cbranch_execz .LBB45_103
; %bb.100:
	v_add_u32_e32 v4, -1, v0
	v_add_u32_e32 v5, 0x170, v6
	v_add_u32_e32 v7, 0, v6
	s_mov_b64 s[6:7], 0
	v_mov_b32_e32 v3, 0
	v_mov_b32_e32 v8, 0
.LBB45_101:                             ; =>This Inner Loop Header: Depth=1
	buffer_load_dword v9, v7, s[0:3], 0 offen offset:4
	buffer_load_dword v12, v7, s[0:3], 0 offen
	ds_read_b64 v[10:11], v5
	v_add_u32_e32 v4, 1, v4
	v_cmp_lt_u32_e32 vcc, 20, v4
	v_add_u32_e32 v5, 8, v5
	v_add_u32_e32 v7, 8, v7
	s_or_b64 s[6:7], vcc, s[6:7]
	s_waitcnt vmcnt(1) lgkmcnt(0)
	v_mul_f32_e32 v13, v11, v9
	v_mul_f32_e32 v9, v10, v9
	s_waitcnt vmcnt(0)
	v_fma_f32 v10, v10, v12, -v13
	v_fmac_f32_e32 v9, v11, v12
	v_add_f32_e32 v8, v8, v10
	v_add_f32_e32 v3, v3, v9
	s_andn2_b64 exec, exec, s[6:7]
	s_cbranch_execnz .LBB45_101
; %bb.102:
	s_or_b64 exec, exec, s[6:7]
	v_mov_b32_e32 v4, 0
	ds_read_b64 v[4:5], v4 offset:176
	s_waitcnt lgkmcnt(0)
	v_mul_f32_e32 v7, v3, v5
	v_mul_f32_e32 v5, v8, v5
	v_fma_f32 v7, v8, v4, -v7
	v_fmac_f32_e32 v5, v3, v4
	buffer_store_dword v7, off, s[0:3], 0 offset:176
	buffer_store_dword v5, off, s[0:3], 0 offset:180
.LBB45_103:
	s_or_b64 exec, exec, s[4:5]
	s_waitcnt lgkmcnt(0)
	; wave barrier
	buffer_load_dword v4, off, s[0:3], 0 offset:184
	buffer_load_dword v5, off, s[0:3], 0 offset:188
	v_cmp_gt_u32_e32 vcc, 23, v0
	s_waitcnt vmcnt(0)
	ds_write_b64 v1, v[4:5]
	s_waitcnt lgkmcnt(0)
	; wave barrier
	s_waitcnt lgkmcnt(0)
	s_and_saveexec_b64 s[4:5], vcc
	s_cbranch_execz .LBB45_107
; %bb.104:
	v_add_u32_e32 v4, -1, v0
	v_add_u32_e32 v5, 0x170, v6
	v_add_u32_e32 v7, 0, v6
	s_mov_b64 s[6:7], 0
	v_mov_b32_e32 v3, 0
	v_mov_b32_e32 v8, 0
.LBB45_105:                             ; =>This Inner Loop Header: Depth=1
	buffer_load_dword v9, v7, s[0:3], 0 offen offset:4
	buffer_load_dword v12, v7, s[0:3], 0 offen
	ds_read_b64 v[10:11], v5
	v_add_u32_e32 v4, 1, v4
	v_cmp_lt_u32_e32 vcc, 21, v4
	v_add_u32_e32 v5, 8, v5
	v_add_u32_e32 v7, 8, v7
	s_or_b64 s[6:7], vcc, s[6:7]
	s_waitcnt vmcnt(1) lgkmcnt(0)
	v_mul_f32_e32 v13, v11, v9
	v_mul_f32_e32 v9, v10, v9
	s_waitcnt vmcnt(0)
	v_fma_f32 v10, v10, v12, -v13
	v_fmac_f32_e32 v9, v11, v12
	v_add_f32_e32 v8, v8, v10
	v_add_f32_e32 v3, v3, v9
	s_andn2_b64 exec, exec, s[6:7]
	s_cbranch_execnz .LBB45_105
; %bb.106:
	s_or_b64 exec, exec, s[6:7]
	v_mov_b32_e32 v4, 0
	ds_read_b64 v[4:5], v4 offset:184
	s_waitcnt lgkmcnt(0)
	v_mul_f32_e32 v7, v3, v5
	v_mul_f32_e32 v5, v8, v5
	v_fma_f32 v7, v8, v4, -v7
	v_fmac_f32_e32 v5, v3, v4
	buffer_store_dword v7, off, s[0:3], 0 offset:184
	buffer_store_dword v5, off, s[0:3], 0 offset:188
.LBB45_107:
	s_or_b64 exec, exec, s[4:5]
	s_waitcnt lgkmcnt(0)
	; wave barrier
	buffer_load_dword v4, off, s[0:3], 0 offset:192
	buffer_load_dword v5, off, s[0:3], 0 offset:196
	v_cmp_gt_u32_e32 vcc, 24, v0
	s_waitcnt vmcnt(0)
	ds_write_b64 v1, v[4:5]
	;; [unrolled: 51-line block ×22, first 2 shown]
	s_waitcnt lgkmcnt(0)
	; wave barrier
	s_waitcnt lgkmcnt(0)
	s_and_saveexec_b64 s[4:5], vcc
	s_cbranch_execz .LBB45_191
; %bb.188:
	v_add_u32_e32 v4, -1, v0
	v_add_u32_e32 v5, 0x170, v6
	v_add_u32_e32 v7, 0, v6
	s_mov_b64 s[6:7], 0
	v_mov_b32_e32 v3, 0
	v_mov_b32_e32 v8, 0
.LBB45_189:                             ; =>This Inner Loop Header: Depth=1
	buffer_load_dword v9, v7, s[0:3], 0 offen offset:4
	buffer_load_dword v12, v7, s[0:3], 0 offen
	ds_read_b64 v[10:11], v5
	v_add_u32_e32 v4, 1, v4
	v_cmp_lt_u32_e32 vcc, 42, v4
	v_add_u32_e32 v5, 8, v5
	v_add_u32_e32 v7, 8, v7
	s_or_b64 s[6:7], vcc, s[6:7]
	s_waitcnt vmcnt(1) lgkmcnt(0)
	v_mul_f32_e32 v13, v11, v9
	v_mul_f32_e32 v9, v10, v9
	s_waitcnt vmcnt(0)
	v_fma_f32 v10, v10, v12, -v13
	v_fmac_f32_e32 v9, v11, v12
	v_add_f32_e32 v8, v8, v10
	v_add_f32_e32 v3, v3, v9
	s_andn2_b64 exec, exec, s[6:7]
	s_cbranch_execnz .LBB45_189
; %bb.190:
	s_or_b64 exec, exec, s[6:7]
	v_mov_b32_e32 v4, 0
	ds_read_b64 v[4:5], v4 offset:352
	s_waitcnt lgkmcnt(0)
	v_mul_f32_e32 v7, v3, v5
	v_mul_f32_e32 v5, v8, v5
	v_fma_f32 v7, v8, v4, -v7
	v_fmac_f32_e32 v5, v3, v4
	buffer_store_dword v7, off, s[0:3], 0 offset:352
	buffer_store_dword v5, off, s[0:3], 0 offset:356
.LBB45_191:
	s_or_b64 exec, exec, s[4:5]
	s_waitcnt lgkmcnt(0)
	; wave barrier
	buffer_load_dword v4, off, s[0:3], 0 offset:360
	buffer_load_dword v5, off, s[0:3], 0 offset:364
	v_cmp_ne_u32_e32 vcc, 45, v0
	s_waitcnt vmcnt(0)
	ds_write_b64 v1, v[4:5]
	s_waitcnt lgkmcnt(0)
	; wave barrier
	s_waitcnt lgkmcnt(0)
	s_and_saveexec_b64 s[4:5], vcc
	s_cbranch_execz .LBB45_195
; %bb.192:
	v_add_u32_e32 v3, 0x170, v6
	v_add_u32_e32 v4, 0, v6
	s_mov_b64 s[6:7], 0
	v_mov_b32_e32 v1, 0
	v_mov_b32_e32 v5, 0
.LBB45_193:                             ; =>This Inner Loop Header: Depth=1
	buffer_load_dword v8, v4, s[0:3], 0 offen offset:4
	buffer_load_dword v9, v4, s[0:3], 0 offen
	ds_read_b64 v[6:7], v3
	v_add_u32_e32 v2, 1, v2
	v_cmp_lt_u32_e32 vcc, 43, v2
	v_add_u32_e32 v3, 8, v3
	v_add_u32_e32 v4, 8, v4
	s_or_b64 s[6:7], vcc, s[6:7]
	s_waitcnt vmcnt(1) lgkmcnt(0)
	v_mul_f32_e32 v10, v7, v8
	v_mul_f32_e32 v8, v6, v8
	s_waitcnt vmcnt(0)
	v_fma_f32 v6, v6, v9, -v10
	v_fmac_f32_e32 v8, v7, v9
	v_add_f32_e32 v5, v5, v6
	v_add_f32_e32 v1, v1, v8
	s_andn2_b64 exec, exec, s[6:7]
	s_cbranch_execnz .LBB45_193
; %bb.194:
	s_or_b64 exec, exec, s[6:7]
	v_mov_b32_e32 v2, 0
	ds_read_b64 v[2:3], v2 offset:360
	s_waitcnt lgkmcnt(0)
	v_mul_f32_e32 v4, v1, v3
	v_mul_f32_e32 v3, v5, v3
	v_fma_f32 v4, v5, v2, -v4
	v_fmac_f32_e32 v3, v1, v2
	buffer_store_dword v4, off, s[0:3], 0 offset:360
	buffer_store_dword v3, off, s[0:3], 0 offset:364
.LBB45_195:
	s_or_b64 exec, exec, s[4:5]
	s_mov_b64 s[6:7], -1
	s_waitcnt lgkmcnt(0)
	; wave barrier
.LBB45_196:
	s_and_b64 vcc, exec, s[6:7]
	s_cbranch_vccz .LBB45_198
; %bb.197:
	s_lshl_b64 s[4:5], s[8:9], 2
	s_add_u32 s4, s14, s4
	s_addc_u32 s5, s15, s5
	v_mov_b32_e32 v1, 0
	global_load_dword v1, v1, s[4:5]
	s_waitcnt vmcnt(0)
	v_cmp_ne_u32_e32 vcc, 0, v1
	s_cbranch_vccz .LBB45_199
.LBB45_198:
	s_endpgm
.LBB45_199:
	v_mov_b32_e32 v1, 0x170
	v_lshl_add_u32 v80, v0, 3, v1
	v_cmp_eq_u32_e32 vcc, 45, v0
	s_and_saveexec_b64 s[4:5], vcc
	s_cbranch_execz .LBB45_201
; %bb.200:
	buffer_load_dword v2, off, s[0:3], 0 offset:352
	buffer_load_dword v3, off, s[0:3], 0 offset:356
	v_mov_b32_e32 v4, 0
	buffer_store_dword v4, off, s[0:3], 0 offset:352
	buffer_store_dword v4, off, s[0:3], 0 offset:356
	s_waitcnt vmcnt(2)
	ds_write_b64 v80, v[2:3]
.LBB45_201:
	s_or_b64 exec, exec, s[4:5]
	s_waitcnt lgkmcnt(0)
	; wave barrier
	s_waitcnt lgkmcnt(0)
	buffer_load_dword v5, off, s[0:3], 0 offset:364
	buffer_load_dword v4, off, s[0:3], 0 offset:360
	buffer_load_dword v6, off, s[0:3], 0 offset:352
	buffer_load_dword v7, off, s[0:3], 0 offset:356
	v_mov_b32_e32 v2, 0
	ds_read_b64 v[8:9], v2 offset:728
	v_cmp_lt_u32_e32 vcc, 43, v0
	s_waitcnt vmcnt(3)
	v_mov_b32_e32 v10, v5
	s_waitcnt lgkmcnt(0)
	v_pk_mul_f32 v[10:11], v[8:9], v[10:11] op_sel_hi:[1,0]
	s_waitcnt vmcnt(2)
	v_pk_fma_f32 v[12:13], v[8:9], v[4:5], v[10:11] op_sel:[0,0,1] op_sel_hi:[1,1,0] neg_lo:[0,0,1] neg_hi:[0,0,1]
	v_pk_fma_f32 v[4:5], v[8:9], v[4:5], v[10:11] op_sel:[0,0,1] op_sel_hi:[1,0,0]
	v_mov_b32_e32 v13, v5
	v_pk_add_f32 v[4:5], v[12:13], 0 op_sel_hi:[1,0]
	s_waitcnt vmcnt(0)
	v_pk_add_f32 v[4:5], v[6:7], v[4:5] neg_lo:[0,1] neg_hi:[0,1]
	buffer_store_dword v4, off, s[0:3], 0 offset:352
	buffer_store_dword v5, off, s[0:3], 0 offset:356
	s_and_saveexec_b64 s[4:5], vcc
	s_cbranch_execz .LBB45_203
; %bb.202:
	buffer_load_dword v4, off, s[0:3], 0 offset:344
	buffer_load_dword v5, off, s[0:3], 0 offset:348
	s_waitcnt vmcnt(0)
	ds_write_b64 v80, v[4:5]
	buffer_store_dword v2, off, s[0:3], 0 offset:344
	buffer_store_dword v2, off, s[0:3], 0 offset:348
.LBB45_203:
	s_or_b64 exec, exec, s[4:5]
	s_waitcnt lgkmcnt(0)
	; wave barrier
	s_waitcnt lgkmcnt(0)
	buffer_load_dword v7, off, s[0:3], 0 offset:356
	buffer_load_dword v9, off, s[0:3], 0 offset:364
	;; [unrolled: 1-line block ×6, first 2 shown]
	ds_read_b128 v[2:5], v2 offset:720
	v_cmp_lt_u32_e32 vcc, 42, v0
	s_waitcnt vmcnt(5)
	v_mov_b32_e32 v12, v7
	s_waitcnt vmcnt(4)
	v_mov_b32_e32 v14, v9
	s_waitcnt lgkmcnt(0)
	v_pk_mul_f32 v[12:13], v[2:3], v[12:13] op_sel_hi:[1,0]
	v_pk_mul_f32 v[14:15], v[4:5], v[14:15] op_sel_hi:[1,0]
	s_waitcnt vmcnt(3)
	v_pk_fma_f32 v[16:17], v[2:3], v[6:7], v[12:13] op_sel:[0,0,1] op_sel_hi:[1,1,0] neg_lo:[0,0,1] neg_hi:[0,0,1]
	v_pk_fma_f32 v[2:3], v[2:3], v[6:7], v[12:13] op_sel:[0,0,1] op_sel_hi:[1,0,0]
	s_waitcnt vmcnt(2)
	v_pk_fma_f32 v[6:7], v[4:5], v[8:9], v[14:15] op_sel:[0,0,1] op_sel_hi:[1,1,0] neg_lo:[0,0,1] neg_hi:[0,0,1]
	v_pk_fma_f32 v[4:5], v[4:5], v[8:9], v[14:15] op_sel:[0,0,1] op_sel_hi:[1,0,0]
	v_mov_b32_e32 v17, v3
	v_mov_b32_e32 v7, v5
	v_pk_add_f32 v[2:3], v[16:17], 0 op_sel_hi:[1,0]
	v_pk_add_f32 v[2:3], v[2:3], v[6:7]
	s_waitcnt vmcnt(0)
	v_pk_add_f32 v[2:3], v[10:11], v[2:3] neg_lo:[0,1] neg_hi:[0,1]
	buffer_store_dword v2, off, s[0:3], 0 offset:344
	buffer_store_dword v3, off, s[0:3], 0 offset:348
	s_and_saveexec_b64 s[4:5], vcc
	s_cbranch_execz .LBB45_205
; %bb.204:
	buffer_load_dword v2, off, s[0:3], 0 offset:336
	buffer_load_dword v3, off, s[0:3], 0 offset:340
	v_mov_b32_e32 v4, 0
	buffer_store_dword v4, off, s[0:3], 0 offset:336
	buffer_store_dword v4, off, s[0:3], 0 offset:340
	s_waitcnt vmcnt(2)
	ds_write_b64 v80, v[2:3]
.LBB45_205:
	s_or_b64 exec, exec, s[4:5]
	s_waitcnt lgkmcnt(0)
	; wave barrier
	s_waitcnt lgkmcnt(0)
	buffer_load_dword v9, off, s[0:3], 0 offset:348
	buffer_load_dword v11, off, s[0:3], 0 offset:356
	;; [unrolled: 1-line block ×8, first 2 shown]
	v_mov_b32_e32 v2, 0
	ds_read2_b64 v[4:7], v2 offset0:89 offset1:90
	ds_read_b64 v[16:17], v2 offset:728
	v_cmp_lt_u32_e32 vcc, 41, v0
	s_waitcnt vmcnt(7)
	v_mov_b32_e32 v18, v9
	s_waitcnt vmcnt(6)
	v_mov_b32_e32 v20, v11
	s_waitcnt lgkmcnt(1)
	v_pk_mul_f32 v[18:19], v[4:5], v[18:19] op_sel_hi:[1,0]
	s_waitcnt vmcnt(5)
	v_mov_b32_e32 v22, v13
	v_pk_mul_f32 v[20:21], v[6:7], v[20:21] op_sel_hi:[1,0]
	s_waitcnt vmcnt(4)
	v_pk_fma_f32 v[24:25], v[4:5], v[8:9], v[18:19] op_sel:[0,0,1] op_sel_hi:[1,1,0] neg_lo:[0,0,1] neg_hi:[0,0,1]
	v_pk_fma_f32 v[4:5], v[4:5], v[8:9], v[18:19] op_sel:[0,0,1] op_sel_hi:[1,0,0]
	s_waitcnt lgkmcnt(0)
	v_pk_mul_f32 v[22:23], v[16:17], v[22:23] op_sel_hi:[1,0]
	s_waitcnt vmcnt(3)
	v_pk_fma_f32 v[8:9], v[6:7], v[10:11], v[20:21] op_sel:[0,0,1] op_sel_hi:[1,1,0] neg_lo:[0,0,1] neg_hi:[0,0,1]
	v_pk_fma_f32 v[6:7], v[6:7], v[10:11], v[20:21] op_sel:[0,0,1] op_sel_hi:[1,0,0]
	v_mov_b32_e32 v25, v5
	s_waitcnt vmcnt(2)
	v_pk_fma_f32 v[10:11], v[16:17], v[12:13], v[22:23] op_sel:[0,0,1] op_sel_hi:[1,1,0] neg_lo:[0,0,1] neg_hi:[0,0,1]
	v_pk_fma_f32 v[12:13], v[16:17], v[12:13], v[22:23] op_sel:[0,0,1] op_sel_hi:[1,0,0]
	v_mov_b32_e32 v9, v7
	v_pk_add_f32 v[4:5], v[24:25], 0 op_sel_hi:[1,0]
	v_mov_b32_e32 v11, v13
	v_pk_add_f32 v[4:5], v[4:5], v[8:9]
	v_pk_add_f32 v[4:5], v[4:5], v[10:11]
	s_waitcnt vmcnt(0)
	v_pk_add_f32 v[4:5], v[14:15], v[4:5] neg_lo:[0,1] neg_hi:[0,1]
	buffer_store_dword v4, off, s[0:3], 0 offset:336
	buffer_store_dword v5, off, s[0:3], 0 offset:340
	s_and_saveexec_b64 s[4:5], vcc
	s_cbranch_execz .LBB45_207
; %bb.206:
	buffer_load_dword v4, off, s[0:3], 0 offset:328
	buffer_load_dword v5, off, s[0:3], 0 offset:332
	s_waitcnt vmcnt(0)
	ds_write_b64 v80, v[4:5]
	buffer_store_dword v2, off, s[0:3], 0 offset:328
	buffer_store_dword v2, off, s[0:3], 0 offset:332
.LBB45_207:
	s_or_b64 exec, exec, s[4:5]
	s_waitcnt lgkmcnt(0)
	; wave barrier
	s_waitcnt lgkmcnt(0)
	buffer_load_dword v13, off, s[0:3], 0 offset:340
	buffer_load_dword v15, off, s[0:3], 0 offset:348
	;; [unrolled: 1-line block ×10, first 2 shown]
	ds_read_b128 v[4:7], v2 offset:704
	ds_read_b128 v[8:11], v2 offset:720
	v_cmp_lt_u32_e32 vcc, 40, v0
	s_waitcnt vmcnt(9)
	v_mov_b32_e32 v2, v13
	s_waitcnt vmcnt(8)
	v_mov_b32_e32 v22, v15
	s_waitcnt lgkmcnt(1)
	v_pk_mul_f32 v[2:3], v[4:5], v[2:3] op_sel_hi:[1,0]
	s_waitcnt vmcnt(7)
	v_mov_b32_e32 v24, v17
	v_pk_mul_f32 v[22:23], v[6:7], v[22:23] op_sel_hi:[1,0]
	s_waitcnt vmcnt(5)
	v_pk_fma_f32 v[28:29], v[4:5], v[12:13], v[2:3] op_sel:[0,0,1] op_sel_hi:[1,1,0] neg_lo:[0,0,1] neg_hi:[0,0,1]
	v_pk_fma_f32 v[2:3], v[4:5], v[12:13], v[2:3] op_sel:[0,0,1] op_sel_hi:[1,0,0]
	v_mov_b32_e32 v26, v19
	s_waitcnt lgkmcnt(0)
	v_pk_mul_f32 v[24:25], v[8:9], v[24:25] op_sel_hi:[1,0]
	s_waitcnt vmcnt(4)
	v_pk_fma_f32 v[4:5], v[6:7], v[14:15], v[22:23] op_sel:[0,0,1] op_sel_hi:[1,1,0] neg_lo:[0,0,1] neg_hi:[0,0,1]
	v_pk_fma_f32 v[6:7], v[6:7], v[14:15], v[22:23] op_sel:[0,0,1] op_sel_hi:[1,0,0]
	v_mov_b32_e32 v29, v3
	v_pk_mul_f32 v[26:27], v[10:11], v[26:27] op_sel_hi:[1,0]
	s_waitcnt vmcnt(3)
	v_pk_fma_f32 v[12:13], v[8:9], v[16:17], v[24:25] op_sel:[0,0,1] op_sel_hi:[1,1,0] neg_lo:[0,0,1] neg_hi:[0,0,1]
	v_pk_fma_f32 v[8:9], v[8:9], v[16:17], v[24:25] op_sel:[0,0,1] op_sel_hi:[1,0,0]
	v_mov_b32_e32 v5, v7
	v_pk_add_f32 v[2:3], v[28:29], 0 op_sel_hi:[1,0]
	s_waitcnt vmcnt(2)
	v_pk_fma_f32 v[14:15], v[10:11], v[18:19], v[26:27] op_sel:[0,0,1] op_sel_hi:[1,1,0] neg_lo:[0,0,1] neg_hi:[0,0,1]
	v_pk_fma_f32 v[10:11], v[10:11], v[18:19], v[26:27] op_sel:[0,0,1] op_sel_hi:[1,0,0]
	v_mov_b32_e32 v13, v9
	v_pk_add_f32 v[2:3], v[2:3], v[4:5]
	v_mov_b32_e32 v15, v11
	v_pk_add_f32 v[2:3], v[2:3], v[12:13]
	v_pk_add_f32 v[2:3], v[2:3], v[14:15]
	s_waitcnt vmcnt(0)
	v_pk_add_f32 v[2:3], v[20:21], v[2:3] neg_lo:[0,1] neg_hi:[0,1]
	buffer_store_dword v2, off, s[0:3], 0 offset:328
	buffer_store_dword v3, off, s[0:3], 0 offset:332
	s_and_saveexec_b64 s[4:5], vcc
	s_cbranch_execz .LBB45_209
; %bb.208:
	buffer_load_dword v2, off, s[0:3], 0 offset:320
	buffer_load_dword v3, off, s[0:3], 0 offset:324
	v_mov_b32_e32 v4, 0
	buffer_store_dword v4, off, s[0:3], 0 offset:320
	buffer_store_dword v4, off, s[0:3], 0 offset:324
	s_waitcnt vmcnt(2)
	ds_write_b64 v80, v[2:3]
.LBB45_209:
	s_or_b64 exec, exec, s[4:5]
	s_waitcnt lgkmcnt(0)
	; wave barrier
	s_waitcnt lgkmcnt(0)
	buffer_load_dword v12, off, s[0:3], 0 offset:320
	buffer_load_dword v13, off, s[0:3], 0 offset:324
	;; [unrolled: 1-line block ×12, first 2 shown]
	v_mov_b32_e32 v2, 0
	ds_read2_b64 v[4:7], v2 offset0:87 offset1:88
	ds_read2_b64 v[8:11], v2 offset0:89 offset1:90
	ds_read_b64 v[24:25], v2 offset:728
	v_cmp_lt_u32_e32 vcc, 39, v0
	s_waitcnt vmcnt(8)
	v_mov_b32_e32 v26, v15
	s_waitcnt lgkmcnt(2)
	v_pk_mul_f32 v[26:27], v[4:5], v[26:27] op_sel_hi:[1,0]
	v_pk_fma_f32 v[28:29], v[4:5], v[14:15], v[26:27] op_sel:[0,0,1] op_sel_hi:[1,1,0] neg_lo:[0,0,1] neg_hi:[0,0,1]
	v_pk_fma_f32 v[4:5], v[4:5], v[14:15], v[26:27] op_sel:[0,0,1] op_sel_hi:[1,0,0]
	s_waitcnt vmcnt(6)
	v_mov_b32_e32 v14, v17
	v_pk_mul_f32 v[14:15], v[6:7], v[14:15] op_sel_hi:[1,0]
	v_pk_fma_f32 v[26:27], v[6:7], v[16:17], v[14:15] op_sel:[0,0,1] op_sel_hi:[1,1,0] neg_lo:[0,0,1] neg_hi:[0,0,1]
	v_pk_fma_f32 v[6:7], v[6:7], v[16:17], v[14:15] op_sel:[0,0,1] op_sel_hi:[1,0,0]
	s_waitcnt vmcnt(4)
	v_mov_b32_e32 v6, v19
	v_mov_b32_e32 v27, v7
	s_waitcnt lgkmcnt(1)
	v_pk_mul_f32 v[6:7], v[8:9], v[6:7] op_sel_hi:[1,0]
	v_pk_fma_f32 v[14:15], v[8:9], v[18:19], v[6:7] op_sel:[0,0,1] op_sel_hi:[1,1,0] neg_lo:[0,0,1] neg_hi:[0,0,1]
	v_pk_fma_f32 v[6:7], v[8:9], v[18:19], v[6:7] op_sel:[0,0,1] op_sel_hi:[1,0,0]
	s_waitcnt vmcnt(2)
	v_mov_b32_e32 v6, v21
	v_mov_b32_e32 v29, v5
	;; [unrolled: 1-line block ×3, first 2 shown]
	v_pk_mul_f32 v[6:7], v[10:11], v[6:7] op_sel_hi:[1,0]
	v_pk_add_f32 v[4:5], v[28:29], 0 op_sel_hi:[1,0]
	v_pk_fma_f32 v[8:9], v[10:11], v[20:21], v[6:7] op_sel:[0,0,1] op_sel_hi:[1,1,0] neg_lo:[0,0,1] neg_hi:[0,0,1]
	v_pk_fma_f32 v[6:7], v[10:11], v[20:21], v[6:7] op_sel:[0,0,1] op_sel_hi:[1,0,0]
	v_pk_add_f32 v[4:5], v[4:5], v[26:27]
	s_waitcnt vmcnt(0)
	v_mov_b32_e32 v6, v23
	v_pk_add_f32 v[4:5], v[4:5], v[14:15]
	v_mov_b32_e32 v9, v7
	s_waitcnt lgkmcnt(0)
	v_pk_mul_f32 v[6:7], v[24:25], v[6:7] op_sel_hi:[1,0]
	v_pk_add_f32 v[4:5], v[4:5], v[8:9]
	v_pk_fma_f32 v[8:9], v[24:25], v[22:23], v[6:7] op_sel:[0,0,1] op_sel_hi:[1,1,0] neg_lo:[0,0,1] neg_hi:[0,0,1]
	v_pk_fma_f32 v[6:7], v[24:25], v[22:23], v[6:7] op_sel:[0,0,1] op_sel_hi:[1,0,0]
	v_mov_b32_e32 v9, v7
	v_pk_add_f32 v[4:5], v[4:5], v[8:9]
	v_pk_add_f32 v[4:5], v[12:13], v[4:5] neg_lo:[0,1] neg_hi:[0,1]
	buffer_store_dword v4, off, s[0:3], 0 offset:320
	buffer_store_dword v5, off, s[0:3], 0 offset:324
	s_and_saveexec_b64 s[4:5], vcc
	s_cbranch_execz .LBB45_211
; %bb.210:
	buffer_load_dword v4, off, s[0:3], 0 offset:312
	buffer_load_dword v5, off, s[0:3], 0 offset:316
	s_waitcnt vmcnt(0)
	ds_write_b64 v80, v[4:5]
	buffer_store_dword v2, off, s[0:3], 0 offset:312
	buffer_store_dword v2, off, s[0:3], 0 offset:316
.LBB45_211:
	s_or_b64 exec, exec, s[4:5]
	s_waitcnt lgkmcnt(0)
	; wave barrier
	s_waitcnt lgkmcnt(0)
	buffer_load_dword v16, off, s[0:3], 0 offset:312
	buffer_load_dword v17, off, s[0:3], 0 offset:316
	;; [unrolled: 1-line block ×14, first 2 shown]
	ds_read_b128 v[4:7], v2 offset:688
	ds_read_b128 v[8:11], v2 offset:704
	;; [unrolled: 1-line block ×3, first 2 shown]
	v_cmp_lt_u32_e32 vcc, 38, v0
	s_waitcnt vmcnt(10)
	v_mov_b32_e32 v2, v19
	s_waitcnt lgkmcnt(2)
	v_pk_mul_f32 v[2:3], v[4:5], v[2:3] op_sel_hi:[1,0]
	v_pk_fma_f32 v[30:31], v[4:5], v[18:19], v[2:3] op_sel:[0,0,1] op_sel_hi:[1,1,0] neg_lo:[0,0,1] neg_hi:[0,0,1]
	v_pk_fma_f32 v[2:3], v[4:5], v[18:19], v[2:3] op_sel:[0,0,1] op_sel_hi:[1,0,0]
	s_waitcnt vmcnt(8)
	v_mov_b32_e32 v4, v21
	v_pk_mul_f32 v[4:5], v[6:7], v[4:5] op_sel_hi:[1,0]
	v_pk_fma_f32 v[18:19], v[6:7], v[20:21], v[4:5] op_sel:[0,0,1] op_sel_hi:[1,1,0] neg_lo:[0,0,1] neg_hi:[0,0,1]
	v_pk_fma_f32 v[4:5], v[6:7], v[20:21], v[4:5] op_sel:[0,0,1] op_sel_hi:[1,0,0]
	s_waitcnt vmcnt(6)
	v_mov_b32_e32 v4, v23
	v_mov_b32_e32 v19, v5
	s_waitcnt lgkmcnt(1)
	v_pk_mul_f32 v[4:5], v[8:9], v[4:5] op_sel_hi:[1,0]
	v_mov_b32_e32 v31, v3
	v_pk_fma_f32 v[6:7], v[8:9], v[22:23], v[4:5] op_sel:[0,0,1] op_sel_hi:[1,1,0] neg_lo:[0,0,1] neg_hi:[0,0,1]
	v_pk_fma_f32 v[4:5], v[8:9], v[22:23], v[4:5] op_sel:[0,0,1] op_sel_hi:[1,0,0]
	v_pk_add_f32 v[2:3], v[30:31], 0 op_sel_hi:[1,0]
	s_waitcnt vmcnt(4)
	v_mov_b32_e32 v4, v25
	v_pk_add_f32 v[2:3], v[2:3], v[18:19]
	v_mov_b32_e32 v7, v5
	v_pk_mul_f32 v[4:5], v[10:11], v[4:5] op_sel_hi:[1,0]
	v_pk_add_f32 v[2:3], v[2:3], v[6:7]
	v_pk_fma_f32 v[6:7], v[10:11], v[24:25], v[4:5] op_sel:[0,0,1] op_sel_hi:[1,1,0] neg_lo:[0,0,1] neg_hi:[0,0,1]
	v_pk_fma_f32 v[4:5], v[10:11], v[24:25], v[4:5] op_sel:[0,0,1] op_sel_hi:[1,0,0]
	s_waitcnt vmcnt(2)
	v_mov_b32_e32 v4, v27
	v_mov_b32_e32 v7, v5
	s_waitcnt lgkmcnt(0)
	v_pk_mul_f32 v[4:5], v[12:13], v[4:5] op_sel_hi:[1,0]
	v_pk_add_f32 v[2:3], v[2:3], v[6:7]
	v_pk_fma_f32 v[6:7], v[12:13], v[26:27], v[4:5] op_sel:[0,0,1] op_sel_hi:[1,1,0] neg_lo:[0,0,1] neg_hi:[0,0,1]
	v_pk_fma_f32 v[4:5], v[12:13], v[26:27], v[4:5] op_sel:[0,0,1] op_sel_hi:[1,0,0]
	s_waitcnt vmcnt(0)
	v_mov_b32_e32 v4, v29
	v_mov_b32_e32 v7, v5
	v_pk_mul_f32 v[4:5], v[14:15], v[4:5] op_sel_hi:[1,0]
	v_pk_add_f32 v[2:3], v[2:3], v[6:7]
	v_pk_fma_f32 v[6:7], v[14:15], v[28:29], v[4:5] op_sel:[0,0,1] op_sel_hi:[1,1,0] neg_lo:[0,0,1] neg_hi:[0,0,1]
	v_pk_fma_f32 v[4:5], v[14:15], v[28:29], v[4:5] op_sel:[0,0,1] op_sel_hi:[1,0,0]
	v_mov_b32_e32 v7, v5
	v_pk_add_f32 v[2:3], v[2:3], v[6:7]
	v_pk_add_f32 v[2:3], v[16:17], v[2:3] neg_lo:[0,1] neg_hi:[0,1]
	buffer_store_dword v2, off, s[0:3], 0 offset:312
	buffer_store_dword v3, off, s[0:3], 0 offset:316
	s_and_saveexec_b64 s[4:5], vcc
	s_cbranch_execz .LBB45_213
; %bb.212:
	buffer_load_dword v2, off, s[0:3], 0 offset:304
	buffer_load_dword v3, off, s[0:3], 0 offset:308
	v_mov_b32_e32 v4, 0
	buffer_store_dword v4, off, s[0:3], 0 offset:304
	buffer_store_dword v4, off, s[0:3], 0 offset:308
	s_waitcnt vmcnt(2)
	ds_write_b64 v80, v[2:3]
.LBB45_213:
	s_or_b64 exec, exec, s[4:5]
	s_waitcnt lgkmcnt(0)
	; wave barrier
	s_waitcnt lgkmcnt(0)
	buffer_load_dword v17, off, s[0:3], 0 offset:316
	buffer_load_dword v19, off, s[0:3], 0 offset:324
	;; [unrolled: 1-line block ×16, first 2 shown]
	v_mov_b32_e32 v2, 0
	ds_read2_b64 v[4:7], v2 offset0:85 offset1:86
	ds_read2_b64 v[8:11], v2 offset0:87 offset1:88
	;; [unrolled: 1-line block ×3, first 2 shown]
	ds_read_b64 v[32:33], v2 offset:728
	v_cmp_lt_u32_e32 vcc, 37, v0
	s_waitcnt vmcnt(15)
	v_mov_b32_e32 v34, v17
	s_waitcnt vmcnt(14)
	v_mov_b32_e32 v36, v19
	s_waitcnt lgkmcnt(3)
	v_pk_mul_f32 v[34:35], v[4:5], v[34:35] op_sel_hi:[1,0]
	s_waitcnt vmcnt(13)
	v_mov_b32_e32 v38, v21
	v_pk_mul_f32 v[36:37], v[6:7], v[36:37] op_sel_hi:[1,0]
	s_waitcnt vmcnt(12)
	v_mov_b32_e32 v40, v23
	s_waitcnt lgkmcnt(2)
	v_pk_mul_f32 v[38:39], v[8:9], v[38:39] op_sel_hi:[1,0]
	s_waitcnt vmcnt(8)
	v_pk_fma_f32 v[48:49], v[4:5], v[16:17], v[34:35] op_sel:[0,0,1] op_sel_hi:[1,1,0] neg_lo:[0,0,1] neg_hi:[0,0,1]
	v_pk_fma_f32 v[4:5], v[4:5], v[16:17], v[34:35] op_sel:[0,0,1] op_sel_hi:[1,0,0]
	s_waitcnt vmcnt(7)
	v_pk_fma_f32 v[16:17], v[6:7], v[18:19], v[36:37] op_sel:[0,0,1] op_sel_hi:[1,1,0] neg_lo:[0,0,1] neg_hi:[0,0,1]
	v_pk_fma_f32 v[6:7], v[6:7], v[18:19], v[36:37] op_sel:[0,0,1] op_sel_hi:[1,0,0]
	v_mov_b32_e32 v49, v5
	v_mov_b32_e32 v42, v25
	v_pk_mul_f32 v[40:41], v[10:11], v[40:41] op_sel_hi:[1,0]
	s_waitcnt vmcnt(6)
	v_pk_fma_f32 v[18:19], v[8:9], v[20:21], v[38:39] op_sel:[0,0,1] op_sel_hi:[1,1,0] neg_lo:[0,0,1] neg_hi:[0,0,1]
	v_pk_fma_f32 v[8:9], v[8:9], v[20:21], v[38:39] op_sel:[0,0,1] op_sel_hi:[1,0,0]
	v_mov_b32_e32 v17, v7
	v_pk_add_f32 v[4:5], v[48:49], 0 op_sel_hi:[1,0]
	v_mov_b32_e32 v44, v27
	s_waitcnt lgkmcnt(1)
	v_pk_mul_f32 v[42:43], v[12:13], v[42:43] op_sel_hi:[1,0]
	s_waitcnt vmcnt(5)
	v_pk_fma_f32 v[20:21], v[10:11], v[22:23], v[40:41] op_sel:[0,0,1] op_sel_hi:[1,1,0] neg_lo:[0,0,1] neg_hi:[0,0,1]
	v_pk_fma_f32 v[10:11], v[10:11], v[22:23], v[40:41] op_sel:[0,0,1] op_sel_hi:[1,0,0]
	v_mov_b32_e32 v19, v9
	v_pk_add_f32 v[4:5], v[4:5], v[16:17]
	v_mov_b32_e32 v46, v29
	v_pk_mul_f32 v[44:45], v[14:15], v[44:45] op_sel_hi:[1,0]
	s_waitcnt vmcnt(4)
	v_pk_fma_f32 v[22:23], v[12:13], v[24:25], v[42:43] op_sel:[0,0,1] op_sel_hi:[1,1,0] neg_lo:[0,0,1] neg_hi:[0,0,1]
	v_pk_fma_f32 v[12:13], v[12:13], v[24:25], v[42:43] op_sel:[0,0,1] op_sel_hi:[1,0,0]
	v_mov_b32_e32 v21, v11
	v_pk_add_f32 v[4:5], v[4:5], v[18:19]
	s_waitcnt lgkmcnt(0)
	v_pk_mul_f32 v[46:47], v[32:33], v[46:47] op_sel_hi:[1,0]
	s_waitcnt vmcnt(3)
	v_pk_fma_f32 v[24:25], v[14:15], v[26:27], v[44:45] op_sel:[0,0,1] op_sel_hi:[1,1,0] neg_lo:[0,0,1] neg_hi:[0,0,1]
	v_pk_fma_f32 v[14:15], v[14:15], v[26:27], v[44:45] op_sel:[0,0,1] op_sel_hi:[1,0,0]
	v_mov_b32_e32 v23, v13
	v_pk_add_f32 v[4:5], v[4:5], v[20:21]
	s_waitcnt vmcnt(2)
	v_pk_fma_f32 v[26:27], v[32:33], v[28:29], v[46:47] op_sel:[0,0,1] op_sel_hi:[1,1,0] neg_lo:[0,0,1] neg_hi:[0,0,1]
	v_pk_fma_f32 v[28:29], v[32:33], v[28:29], v[46:47] op_sel:[0,0,1] op_sel_hi:[1,0,0]
	v_mov_b32_e32 v25, v15
	v_pk_add_f32 v[4:5], v[4:5], v[22:23]
	v_mov_b32_e32 v27, v29
	v_pk_add_f32 v[4:5], v[4:5], v[24:25]
	v_pk_add_f32 v[4:5], v[4:5], v[26:27]
	s_waitcnt vmcnt(0)
	v_pk_add_f32 v[4:5], v[30:31], v[4:5] neg_lo:[0,1] neg_hi:[0,1]
	buffer_store_dword v4, off, s[0:3], 0 offset:304
	buffer_store_dword v5, off, s[0:3], 0 offset:308
	s_and_saveexec_b64 s[4:5], vcc
	s_cbranch_execz .LBB45_215
; %bb.214:
	buffer_load_dword v4, off, s[0:3], 0 offset:296
	buffer_load_dword v5, off, s[0:3], 0 offset:300
	s_waitcnt vmcnt(0)
	ds_write_b64 v80, v[4:5]
	buffer_store_dword v2, off, s[0:3], 0 offset:296
	buffer_store_dword v2, off, s[0:3], 0 offset:300
.LBB45_215:
	s_or_b64 exec, exec, s[4:5]
	s_waitcnt lgkmcnt(0)
	; wave barrier
	s_waitcnt lgkmcnt(0)
	buffer_load_dword v21, off, s[0:3], 0 offset:308
	buffer_load_dword v23, off, s[0:3], 0 offset:316
	;; [unrolled: 1-line block ×18, first 2 shown]
	ds_read_b128 v[4:7], v2 offset:672
	ds_read_b128 v[8:11], v2 offset:688
	;; [unrolled: 1-line block ×4, first 2 shown]
	v_cmp_lt_u32_e32 vcc, 36, v0
	s_waitcnt vmcnt(17)
	v_mov_b32_e32 v2, v21
	s_waitcnt vmcnt(16)
	v_mov_b32_e32 v38, v23
	s_waitcnt lgkmcnt(3)
	v_pk_mul_f32 v[2:3], v[4:5], v[2:3] op_sel_hi:[1,0]
	s_waitcnt vmcnt(15)
	v_mov_b32_e32 v40, v25
	v_pk_mul_f32 v[38:39], v[6:7], v[38:39] op_sel_hi:[1,0]
	s_waitcnt vmcnt(14)
	v_mov_b32_e32 v42, v27
	s_waitcnt lgkmcnt(2)
	v_pk_mul_f32 v[40:41], v[8:9], v[40:41] op_sel_hi:[1,0]
	s_waitcnt vmcnt(13)
	v_mov_b32_e32 v44, v29
	s_waitcnt vmcnt(9)
	v_pk_fma_f32 v[52:53], v[4:5], v[20:21], v[2:3] op_sel:[0,0,1] op_sel_hi:[1,1,0] neg_lo:[0,0,1] neg_hi:[0,0,1]
	v_pk_fma_f32 v[2:3], v[4:5], v[20:21], v[2:3] op_sel:[0,0,1] op_sel_hi:[1,0,0]
	s_waitcnt vmcnt(8)
	v_pk_fma_f32 v[4:5], v[6:7], v[22:23], v[38:39] op_sel:[0,0,1] op_sel_hi:[1,1,0] neg_lo:[0,0,1] neg_hi:[0,0,1]
	v_pk_fma_f32 v[6:7], v[6:7], v[22:23], v[38:39] op_sel:[0,0,1] op_sel_hi:[1,0,0]
	v_mov_b32_e32 v53, v3
	v_pk_mul_f32 v[42:43], v[10:11], v[42:43] op_sel_hi:[1,0]
	s_waitcnt vmcnt(7)
	v_pk_fma_f32 v[20:21], v[8:9], v[24:25], v[40:41] op_sel:[0,0,1] op_sel_hi:[1,1,0] neg_lo:[0,0,1] neg_hi:[0,0,1]
	v_pk_fma_f32 v[8:9], v[8:9], v[24:25], v[40:41] op_sel:[0,0,1] op_sel_hi:[1,0,0]
	v_mov_b32_e32 v5, v7
	v_pk_add_f32 v[2:3], v[52:53], 0 op_sel_hi:[1,0]
	v_mov_b32_e32 v46, v31
	s_waitcnt lgkmcnt(1)
	v_pk_mul_f32 v[44:45], v[12:13], v[44:45] op_sel_hi:[1,0]
	s_waitcnt vmcnt(6)
	v_pk_fma_f32 v[22:23], v[10:11], v[26:27], v[42:43] op_sel:[0,0,1] op_sel_hi:[1,1,0] neg_lo:[0,0,1] neg_hi:[0,0,1]
	v_pk_fma_f32 v[10:11], v[10:11], v[26:27], v[42:43] op_sel:[0,0,1] op_sel_hi:[1,0,0]
	v_mov_b32_e32 v21, v9
	v_pk_add_f32 v[2:3], v[2:3], v[4:5]
	v_mov_b32_e32 v48, v33
	v_pk_mul_f32 v[46:47], v[14:15], v[46:47] op_sel_hi:[1,0]
	s_waitcnt vmcnt(5)
	v_pk_fma_f32 v[24:25], v[12:13], v[28:29], v[44:45] op_sel:[0,0,1] op_sel_hi:[1,1,0] neg_lo:[0,0,1] neg_hi:[0,0,1]
	v_pk_fma_f32 v[12:13], v[12:13], v[28:29], v[44:45] op_sel:[0,0,1] op_sel_hi:[1,0,0]
	v_mov_b32_e32 v23, v11
	v_pk_add_f32 v[2:3], v[2:3], v[20:21]
	v_mov_b32_e32 v50, v35
	s_waitcnt lgkmcnt(0)
	v_pk_mul_f32 v[48:49], v[16:17], v[48:49] op_sel_hi:[1,0]
	s_waitcnt vmcnt(4)
	v_pk_fma_f32 v[26:27], v[14:15], v[30:31], v[46:47] op_sel:[0,0,1] op_sel_hi:[1,1,0] neg_lo:[0,0,1] neg_hi:[0,0,1]
	v_pk_fma_f32 v[14:15], v[14:15], v[30:31], v[46:47] op_sel:[0,0,1] op_sel_hi:[1,0,0]
	v_mov_b32_e32 v25, v13
	v_pk_add_f32 v[2:3], v[2:3], v[22:23]
	v_pk_mul_f32 v[50:51], v[18:19], v[50:51] op_sel_hi:[1,0]
	s_waitcnt vmcnt(3)
	v_pk_fma_f32 v[28:29], v[16:17], v[32:33], v[48:49] op_sel:[0,0,1] op_sel_hi:[1,1,0] neg_lo:[0,0,1] neg_hi:[0,0,1]
	v_pk_fma_f32 v[16:17], v[16:17], v[32:33], v[48:49] op_sel:[0,0,1] op_sel_hi:[1,0,0]
	v_mov_b32_e32 v27, v15
	v_pk_add_f32 v[2:3], v[2:3], v[24:25]
	s_waitcnt vmcnt(2)
	v_pk_fma_f32 v[30:31], v[18:19], v[34:35], v[50:51] op_sel:[0,0,1] op_sel_hi:[1,1,0] neg_lo:[0,0,1] neg_hi:[0,0,1]
	v_pk_fma_f32 v[18:19], v[18:19], v[34:35], v[50:51] op_sel:[0,0,1] op_sel_hi:[1,0,0]
	v_mov_b32_e32 v29, v17
	v_pk_add_f32 v[2:3], v[2:3], v[26:27]
	v_mov_b32_e32 v31, v19
	v_pk_add_f32 v[2:3], v[2:3], v[28:29]
	v_pk_add_f32 v[2:3], v[2:3], v[30:31]
	s_waitcnt vmcnt(0)
	v_pk_add_f32 v[2:3], v[36:37], v[2:3] neg_lo:[0,1] neg_hi:[0,1]
	buffer_store_dword v2, off, s[0:3], 0 offset:296
	buffer_store_dword v3, off, s[0:3], 0 offset:300
	s_and_saveexec_b64 s[4:5], vcc
	s_cbranch_execz .LBB45_217
; %bb.216:
	buffer_load_dword v2, off, s[0:3], 0 offset:288
	buffer_load_dword v3, off, s[0:3], 0 offset:292
	v_mov_b32_e32 v4, 0
	buffer_store_dword v4, off, s[0:3], 0 offset:288
	buffer_store_dword v4, off, s[0:3], 0 offset:292
	s_waitcnt vmcnt(2)
	ds_write_b64 v80, v[2:3]
.LBB45_217:
	s_or_b64 exec, exec, s[4:5]
	s_waitcnt lgkmcnt(0)
	; wave barrier
	s_waitcnt lgkmcnt(0)
	buffer_load_dword v3, off, s[0:3], 0 offset:300
	buffer_load_dword v21, off, s[0:3], 0 offset:308
	;; [unrolled: 1-line block ×20, first 2 shown]
	v_mov_b32_e32 v2, 0
	ds_read2_b64 v[4:7], v2 offset0:83 offset1:84
	ds_read2_b64 v[8:11], v2 offset0:85 offset1:86
	;; [unrolled: 1-line block ×4, first 2 shown]
	ds_read_b64 v[38:39], v2 offset:728
	v_cmp_lt_u32_e32 vcc, 35, v0
	s_waitcnt vmcnt(19) lgkmcnt(4)
	v_mul_f32_e32 v41, v4, v3
	v_mul_f32_e32 v3, v5, v3
	s_waitcnt vmcnt(18)
	v_mov_b32_e32 v42, v21
	s_waitcnt vmcnt(17)
	v_mov_b32_e32 v44, v23
	;; [unrolled: 2-line block ×8, first 2 shown]
	s_waitcnt vmcnt(10)
	v_fmac_f32_e32 v41, v5, v40
	v_fma_f32 v40, v4, v40, -v3
	v_pk_mul_f32 v[4:5], v[6:7], v[42:43] op_sel_hi:[1,0]
	s_waitcnt lgkmcnt(3)
	v_pk_mul_f32 v[42:43], v[8:9], v[44:45] op_sel_hi:[1,0]
	v_pk_mul_f32 v[44:45], v[10:11], v[46:47] op_sel_hi:[1,0]
	s_waitcnt lgkmcnt(2)
	v_pk_mul_f32 v[46:47], v[12:13], v[48:49] op_sel_hi:[1,0]
	;; [unrolled: 3-line block ×4, first 2 shown]
	s_waitcnt vmcnt(9)
	v_pk_fma_f32 v[56:57], v[6:7], v[20:21], v[4:5] op_sel:[0,0,1] op_sel_hi:[1,1,0] neg_lo:[0,0,1] neg_hi:[0,0,1]
	v_pk_fma_f32 v[4:5], v[6:7], v[20:21], v[4:5] op_sel:[0,0,1] op_sel_hi:[1,0,0]
	v_pk_add_f32 v[40:41], v[40:41], 0 op_sel_hi:[1,0]
	s_waitcnt vmcnt(8)
	v_pk_fma_f32 v[6:7], v[8:9], v[22:23], v[42:43] op_sel:[0,0,1] op_sel_hi:[1,1,0] neg_lo:[0,0,1] neg_hi:[0,0,1]
	v_pk_fma_f32 v[8:9], v[8:9], v[22:23], v[42:43] op_sel:[0,0,1] op_sel_hi:[1,0,0]
	v_mov_b32_e32 v57, v5
	s_waitcnt vmcnt(7)
	v_pk_fma_f32 v[20:21], v[10:11], v[24:25], v[44:45] op_sel:[0,0,1] op_sel_hi:[1,1,0] neg_lo:[0,0,1] neg_hi:[0,0,1]
	v_pk_fma_f32 v[10:11], v[10:11], v[24:25], v[44:45] op_sel:[0,0,1] op_sel_hi:[1,0,0]
	v_mov_b32_e32 v7, v9
	v_pk_add_f32 v[4:5], v[40:41], v[56:57]
	s_waitcnt vmcnt(6)
	v_pk_fma_f32 v[22:23], v[12:13], v[26:27], v[46:47] op_sel:[0,0,1] op_sel_hi:[1,1,0] neg_lo:[0,0,1] neg_hi:[0,0,1]
	v_pk_fma_f32 v[12:13], v[12:13], v[26:27], v[46:47] op_sel:[0,0,1] op_sel_hi:[1,0,0]
	v_mov_b32_e32 v21, v11
	v_pk_add_f32 v[4:5], v[4:5], v[6:7]
	;; [unrolled: 5-line block ×5, first 2 shown]
	v_pk_fma_f32 v[30:31], v[38:39], v[34:35], v[54:55] op_sel:[0,0,1] op_sel_hi:[1,1,0] neg_lo:[0,0,1] neg_hi:[0,0,1]
	v_pk_fma_f32 v[32:33], v[38:39], v[34:35], v[54:55] op_sel:[0,0,1] op_sel_hi:[1,0,0]
	v_mov_b32_e32 v29, v19
	v_pk_add_f32 v[4:5], v[4:5], v[26:27]
	v_mov_b32_e32 v31, v33
	v_pk_add_f32 v[4:5], v[4:5], v[28:29]
	v_pk_add_f32 v[4:5], v[4:5], v[30:31]
	s_waitcnt vmcnt(0)
	v_pk_add_f32 v[4:5], v[36:37], v[4:5] neg_lo:[0,1] neg_hi:[0,1]
	buffer_store_dword v4, off, s[0:3], 0 offset:288
	buffer_store_dword v5, off, s[0:3], 0 offset:292
	s_and_saveexec_b64 s[4:5], vcc
	s_cbranch_execz .LBB45_219
; %bb.218:
	buffer_load_dword v4, off, s[0:3], 0 offset:280
	buffer_load_dword v5, off, s[0:3], 0 offset:284
	s_waitcnt vmcnt(0)
	ds_write_b64 v80, v[4:5]
	buffer_store_dword v2, off, s[0:3], 0 offset:280
	buffer_store_dword v2, off, s[0:3], 0 offset:284
.LBB45_219:
	s_or_b64 exec, exec, s[4:5]
	s_waitcnt lgkmcnt(0)
	; wave barrier
	s_waitcnt lgkmcnt(0)
	buffer_load_dword v42, off, s[0:3], 0 offset:292
	buffer_load_dword v44, off, s[0:3], 0 offset:300
	;; [unrolled: 1-line block ×22, first 2 shown]
	ds_read_b128 v[4:7], v2 offset:656
	ds_read_b128 v[8:11], v2 offset:672
	;; [unrolled: 1-line block ×5, first 2 shown]
	v_cmp_lt_u32_e32 vcc, 34, v0
	s_waitcnt vmcnt(21) lgkmcnt(4)
	v_mul_f32_e32 v3, v4, v42
	s_waitcnt vmcnt(20)
	v_mul_f32_e32 v43, v6, v44
	v_mul_f32_e32 v2, v5, v42
	;; [unrolled: 1-line block ×3, first 2 shown]
	s_waitcnt vmcnt(19)
	v_mov_b32_e32 v44, v25
	s_waitcnt vmcnt(18)
	v_mov_b32_e32 v46, v27
	;; [unrolled: 2-line block ×5, first 2 shown]
	v_mov_b32_e32 v50, v31
	s_waitcnt vmcnt(11)
	v_fmac_f32_e32 v3, v5, v45
	v_fma_f32 v2, v4, v45, -v2
	s_waitcnt lgkmcnt(3)
	v_pk_mul_f32 v[4:5], v[8:9], v[44:45] op_sel_hi:[1,0]
	s_waitcnt vmcnt(10)
	v_fmac_f32_e32 v43, v7, v47
	v_fma_f32 v42, v6, v47, -v42
	v_pk_mul_f32 v[6:7], v[10:11], v[46:47] op_sel_hi:[1,0]
	s_waitcnt lgkmcnt(2)
	v_pk_mul_f32 v[44:45], v[12:13], v[48:49] op_sel_hi:[1,0]
	s_waitcnt lgkmcnt(1)
	;; [unrolled: 2-line block ×3, first 2 shown]
	v_pk_mul_f32 v[52:53], v[20:21], v[56:57] op_sel_hi:[1,0]
	v_pk_add_f32 v[2:3], v[2:3], 0 op_sel_hi:[1,0]
	s_waitcnt vmcnt(9)
	v_pk_fma_f32 v[56:57], v[8:9], v[24:25], v[4:5] op_sel:[0,0,1] op_sel_hi:[1,1,0] neg_lo:[0,0,1] neg_hi:[0,0,1]
	v_pk_fma_f32 v[4:5], v[8:9], v[24:25], v[4:5] op_sel:[0,0,1] op_sel_hi:[1,0,0]
	s_waitcnt vmcnt(8)
	v_pk_fma_f32 v[8:9], v[10:11], v[26:27], v[6:7] op_sel:[0,0,1] op_sel_hi:[1,1,0] neg_lo:[0,0,1] neg_hi:[0,0,1]
	v_pk_fma_f32 v[6:7], v[10:11], v[26:27], v[6:7] op_sel:[0,0,1] op_sel_hi:[1,0,0]
	v_pk_add_f32 v[2:3], v[2:3], v[42:43]
	v_mov_b32_e32 v57, v5
	v_pk_mul_f32 v[46:47], v[14:15], v[50:51] op_sel_hi:[1,0]
	s_waitcnt vmcnt(7)
	v_pk_fma_f32 v[10:11], v[12:13], v[28:29], v[44:45] op_sel:[0,0,1] op_sel_hi:[1,1,0] neg_lo:[0,0,1] neg_hi:[0,0,1]
	v_pk_fma_f32 v[12:13], v[12:13], v[28:29], v[44:45] op_sel:[0,0,1] op_sel_hi:[1,0,0]
	v_mov_b32_e32 v9, v7
	v_pk_add_f32 v[2:3], v[2:3], v[56:57]
	v_mov_b32_e32 v54, v35
	s_waitcnt vmcnt(6)
	v_pk_fma_f32 v[24:25], v[14:15], v[30:31], v[46:47] op_sel:[0,0,1] op_sel_hi:[1,1,0] neg_lo:[0,0,1] neg_hi:[0,0,1]
	v_pk_fma_f32 v[14:15], v[14:15], v[30:31], v[46:47] op_sel:[0,0,1] op_sel_hi:[1,0,0]
	v_mov_b32_e32 v11, v13
	v_pk_add_f32 v[2:3], v[2:3], v[8:9]
	v_pk_mul_f32 v[50:51], v[18:19], v[54:55] op_sel_hi:[1,0]
	s_waitcnt vmcnt(5)
	v_pk_fma_f32 v[26:27], v[16:17], v[32:33], v[48:49] op_sel:[0,0,1] op_sel_hi:[1,1,0] neg_lo:[0,0,1] neg_hi:[0,0,1]
	v_pk_fma_f32 v[16:17], v[16:17], v[32:33], v[48:49] op_sel:[0,0,1] op_sel_hi:[1,0,0]
	v_mov_b32_e32 v25, v15
	v_pk_add_f32 v[2:3], v[2:3], v[10:11]
	v_mov_b32_e32 v58, v39
	s_waitcnt vmcnt(2)
	v_pk_fma_f32 v[28:29], v[18:19], v[34:35], v[50:51] op_sel:[0,0,1] op_sel_hi:[1,1,0] neg_lo:[0,0,1] neg_hi:[0,0,1]
	v_pk_fma_f32 v[18:19], v[18:19], v[34:35], v[50:51] op_sel:[0,0,1] op_sel_hi:[1,0,0]
	v_mov_b32_e32 v27, v17
	v_pk_add_f32 v[2:3], v[2:3], v[24:25]
	v_pk_mul_f32 v[54:55], v[22:23], v[58:59] op_sel_hi:[1,0]
	v_pk_fma_f32 v[30:31], v[20:21], v[36:37], v[52:53] op_sel:[0,0,1] op_sel_hi:[1,1,0] neg_lo:[0,0,1] neg_hi:[0,0,1]
	v_pk_fma_f32 v[20:21], v[20:21], v[36:37], v[52:53] op_sel:[0,0,1] op_sel_hi:[1,0,0]
	v_mov_b32_e32 v29, v19
	v_pk_add_f32 v[2:3], v[2:3], v[26:27]
	v_pk_fma_f32 v[32:33], v[22:23], v[38:39], v[54:55] op_sel:[0,0,1] op_sel_hi:[1,1,0] neg_lo:[0,0,1] neg_hi:[0,0,1]
	v_pk_fma_f32 v[22:23], v[22:23], v[38:39], v[54:55] op_sel:[0,0,1] op_sel_hi:[1,0,0]
	v_mov_b32_e32 v31, v21
	v_pk_add_f32 v[2:3], v[2:3], v[28:29]
	v_mov_b32_e32 v33, v23
	v_pk_add_f32 v[2:3], v[2:3], v[30:31]
	v_pk_add_f32 v[2:3], v[2:3], v[32:33]
	s_waitcnt vmcnt(0)
	v_pk_add_f32 v[2:3], v[40:41], v[2:3] neg_lo:[0,1] neg_hi:[0,1]
	buffer_store_dword v2, off, s[0:3], 0 offset:280
	buffer_store_dword v3, off, s[0:3], 0 offset:284
	s_and_saveexec_b64 s[4:5], vcc
	s_cbranch_execz .LBB45_221
; %bb.220:
	buffer_load_dword v2, off, s[0:3], 0 offset:272
	buffer_load_dword v3, off, s[0:3], 0 offset:276
	v_mov_b32_e32 v4, 0
	buffer_store_dword v4, off, s[0:3], 0 offset:272
	buffer_store_dword v4, off, s[0:3], 0 offset:276
	s_waitcnt vmcnt(2)
	ds_write_b64 v80, v[2:3]
.LBB45_221:
	s_or_b64 exec, exec, s[4:5]
	s_waitcnt lgkmcnt(0)
	; wave barrier
	s_waitcnt lgkmcnt(0)
	buffer_load_dword v3, off, s[0:3], 0 offset:284
	buffer_load_dword v44, off, s[0:3], 0 offset:292
	buffer_load_dword v46, off, s[0:3], 0 offset:300
	buffer_load_dword v25, off, s[0:3], 0 offset:308
	buffer_load_dword v27, off, s[0:3], 0 offset:316
	buffer_load_dword v29, off, s[0:3], 0 offset:324
	buffer_load_dword v31, off, s[0:3], 0 offset:332
	buffer_load_dword v33, off, s[0:3], 0 offset:340
	buffer_load_dword v35, off, s[0:3], 0 offset:348
	buffer_load_dword v37, off, s[0:3], 0 offset:356
	buffer_load_dword v39, off, s[0:3], 0 offset:364
	buffer_load_dword v49, off, s[0:3], 0 offset:280
	buffer_load_dword v51, off, s[0:3], 0 offset:288
	buffer_load_dword v53, off, s[0:3], 0 offset:296
	buffer_load_dword v24, off, s[0:3], 0 offset:304
	buffer_load_dword v26, off, s[0:3], 0 offset:312
	buffer_load_dword v28, off, s[0:3], 0 offset:320
	buffer_load_dword v30, off, s[0:3], 0 offset:328
	buffer_load_dword v38, off, s[0:3], 0 offset:360
	buffer_load_dword v36, off, s[0:3], 0 offset:352
	buffer_load_dword v34, off, s[0:3], 0 offset:344
	buffer_load_dword v32, off, s[0:3], 0 offset:336
	buffer_load_dword v40, off, s[0:3], 0 offset:272
	buffer_load_dword v41, off, s[0:3], 0 offset:276
	v_mov_b32_e32 v2, 0
	ds_read2_b64 v[4:7], v2 offset0:81 offset1:82
	ds_read2_b64 v[8:11], v2 offset0:83 offset1:84
	;; [unrolled: 1-line block ×5, first 2 shown]
	ds_read_b64 v[42:43], v2 offset:728
	v_cmp_lt_u32_e32 vcc, 33, v0
	s_waitcnt vmcnt(23) lgkmcnt(5)
	v_mul_f32_e32 v57, v4, v3
	v_mul_f32_e32 v3, v5, v3
	s_waitcnt vmcnt(22)
	v_mul_f32_e32 v45, v6, v44
	s_waitcnt vmcnt(21) lgkmcnt(4)
	v_mul_f32_e32 v47, v8, v46
	v_mul_f32_e32 v44, v7, v44
	;; [unrolled: 1-line block ×3, first 2 shown]
	s_waitcnt vmcnt(20)
	v_mov_b32_e32 v48, v25
	s_waitcnt vmcnt(19)
	v_mov_b32_e32 v50, v27
	;; [unrolled: 2-line block ×5, first 2 shown]
	s_waitcnt vmcnt(12)
	v_fmac_f32_e32 v57, v5, v49
	v_fma_f32 v3, v4, v49, -v3
	v_mov_b32_e32 v58, v35
	s_waitcnt vmcnt(11)
	v_fmac_f32_e32 v45, v7, v51
	s_waitcnt vmcnt(10)
	v_fmac_f32_e32 v47, v9, v53
	v_fma_f32 v44, v6, v51, -v44
	v_fma_f32 v46, v8, v53, -v46
	v_pk_mul_f32 v[4:5], v[10:11], v[48:49] op_sel_hi:[1,0]
	s_waitcnt lgkmcnt(3)
	v_pk_mul_f32 v[6:7], v[12:13], v[50:51] op_sel_hi:[1,0]
	v_pk_mul_f32 v[8:9], v[14:15], v[52:53] op_sel_hi:[1,0]
	s_waitcnt lgkmcnt(2)
	v_pk_mul_f32 v[48:49], v[16:17], v[54:55] op_sel_hi:[1,0]
	v_pk_mul_f32 v[50:51], v[18:19], v[56:57] op_sel_hi:[1,0]
	v_add_f32_e32 v57, 0, v57
	v_add_f32_e32 v56, 0, v3
	s_waitcnt lgkmcnt(1)
	v_pk_mul_f32 v[52:53], v[20:21], v[58:59] op_sel_hi:[1,0]
	s_waitcnt vmcnt(9)
	v_pk_fma_f32 v[58:59], v[10:11], v[24:25], v[4:5] op_sel:[0,0,1] op_sel_hi:[1,1,0] neg_lo:[0,0,1] neg_hi:[0,0,1]
	v_pk_fma_f32 v[4:5], v[10:11], v[24:25], v[4:5] op_sel:[0,0,1] op_sel_hi:[1,0,0]
	s_waitcnt vmcnt(8)
	v_pk_fma_f32 v[10:11], v[12:13], v[26:27], v[6:7] op_sel:[0,0,1] op_sel_hi:[1,1,0] neg_lo:[0,0,1] neg_hi:[0,0,1]
	v_pk_fma_f32 v[6:7], v[12:13], v[26:27], v[6:7] op_sel:[0,0,1] op_sel_hi:[1,0,0]
	;; [unrolled: 3-line block ×4, first 2 shown]
	v_pk_add_f32 v[30:31], v[56:57], v[44:45]
	v_mov_b32_e32 v59, v5
	v_pk_add_f32 v[4:5], v[30:31], v[46:47]
	v_mov_b32_e32 v11, v7
	;; [unrolled: 2-line block ×4, first 2 shown]
	s_waitcnt vmcnt(2)
	v_pk_fma_f32 v[24:25], v[18:19], v[32:33], v[50:51] op_sel:[0,0,1] op_sel_hi:[1,1,0] neg_lo:[0,0,1] neg_hi:[0,0,1]
	v_pk_fma_f32 v[18:19], v[18:19], v[32:33], v[50:51] op_sel:[0,0,1] op_sel_hi:[1,0,0]
	v_mov_b32_e32 v15, v17
	v_pk_add_f32 v[4:5], v[4:5], v[12:13]
	v_mov_b32_e32 v62, v39
	v_pk_mul_f32 v[54:55], v[22:23], v[60:61] op_sel_hi:[1,0]
	v_pk_fma_f32 v[26:27], v[20:21], v[34:35], v[52:53] op_sel:[0,0,1] op_sel_hi:[1,1,0] neg_lo:[0,0,1] neg_hi:[0,0,1]
	v_pk_fma_f32 v[20:21], v[20:21], v[34:35], v[52:53] op_sel:[0,0,1] op_sel_hi:[1,0,0]
	v_mov_b32_e32 v25, v19
	v_pk_add_f32 v[4:5], v[4:5], v[14:15]
	v_pk_fma_f32 v[28:29], v[22:23], v[36:37], v[54:55] op_sel:[0,0,1] op_sel_hi:[1,1,0] neg_lo:[0,0,1] neg_hi:[0,0,1]
	v_pk_fma_f32 v[22:23], v[22:23], v[36:37], v[54:55] op_sel:[0,0,1] op_sel_hi:[1,0,0]
	v_mov_b32_e32 v27, v21
	v_pk_add_f32 v[4:5], v[4:5], v[24:25]
	s_waitcnt lgkmcnt(0)
	v_pk_mul_f32 v[6:7], v[42:43], v[62:63] op_sel_hi:[1,0]
	v_mov_b32_e32 v29, v23
	v_pk_add_f32 v[4:5], v[4:5], v[26:27]
	v_pk_fma_f32 v[8:9], v[42:43], v[38:39], v[6:7] op_sel:[0,0,1] op_sel_hi:[1,1,0] neg_lo:[0,0,1] neg_hi:[0,0,1]
	v_pk_fma_f32 v[6:7], v[42:43], v[38:39], v[6:7] op_sel:[0,0,1] op_sel_hi:[1,0,0]
	v_pk_add_f32 v[4:5], v[4:5], v[28:29]
	v_mov_b32_e32 v9, v7
	v_pk_add_f32 v[4:5], v[4:5], v[8:9]
	s_waitcnt vmcnt(0)
	v_pk_add_f32 v[4:5], v[40:41], v[4:5] neg_lo:[0,1] neg_hi:[0,1]
	buffer_store_dword v5, off, s[0:3], 0 offset:276
	buffer_store_dword v4, off, s[0:3], 0 offset:272
	s_and_saveexec_b64 s[4:5], vcc
	s_cbranch_execz .LBB45_223
; %bb.222:
	buffer_load_dword v4, off, s[0:3], 0 offset:264
	buffer_load_dword v5, off, s[0:3], 0 offset:268
	s_waitcnt vmcnt(0)
	ds_write_b64 v80, v[4:5]
	buffer_store_dword v2, off, s[0:3], 0 offset:264
	buffer_store_dword v2, off, s[0:3], 0 offset:268
.LBB45_223:
	s_or_b64 exec, exec, s[4:5]
	s_waitcnt lgkmcnt(0)
	; wave barrier
	s_waitcnt lgkmcnt(0)
	buffer_load_dword v46, off, s[0:3], 0 offset:276
	buffer_load_dword v48, off, s[0:3], 0 offset:284
	;; [unrolled: 1-line block ×26, first 2 shown]
	ds_read_b128 v[4:7], v2 offset:640
	ds_read_b128 v[8:11], v2 offset:656
	;; [unrolled: 1-line block ×6, first 2 shown]
	v_cmp_lt_u32_e32 vcc, 32, v0
	s_waitcnt vmcnt(25) lgkmcnt(5)
	v_mul_f32_e32 v59, v4, v46
	v_mul_f32_e32 v2, v5, v46
	s_waitcnt vmcnt(24)
	v_mul_f32_e32 v60, v6, v48
	s_waitcnt vmcnt(23) lgkmcnt(4)
	v_mul_f32_e32 v3, v8, v49
	s_waitcnt vmcnt(22)
	v_mul_f32_e32 v47, v10, v50
	v_mul_f32_e32 v46, v7, v48
	v_mul_f32_e32 v49, v9, v49
	v_mul_f32_e32 v61, v11, v50
	s_waitcnt vmcnt(21)
	v_mov_b32_e32 v48, v29
	s_waitcnt vmcnt(20)
	v_mov_b32_e32 v50, v31
	;; [unrolled: 2-line block ×3, first 2 shown]
	s_waitcnt vmcnt(15)
	v_fmac_f32_e32 v59, v5, v51
	v_fma_f32 v62, v4, v51, -v2
	v_mov_b32_e32 v52, v33
	s_waitcnt vmcnt(14)
	v_fmac_f32_e32 v60, v7, v53
	s_waitcnt vmcnt(13)
	v_fmac_f32_e32 v3, v9, v55
	;; [unrolled: 2-line block ×3, first 2 shown]
	v_fma_f32 v63, v6, v53, -v46
	v_fma_f32 v2, v8, v55, -v49
	;; [unrolled: 1-line block ×3, first 2 shown]
	s_waitcnt lgkmcnt(3)
	v_pk_mul_f32 v[4:5], v[12:13], v[48:49] op_sel_hi:[1,0]
	v_pk_mul_f32 v[6:7], v[14:15], v[50:51] op_sel_hi:[1,0]
	s_waitcnt lgkmcnt(2)
	v_pk_mul_f32 v[10:11], v[18:19], v[54:55] op_sel_hi:[1,0]
	v_add_f32_e32 v54, 0, v59
	v_add_f32_e32 v55, 0, v62
	v_pk_mul_f32 v[8:9], v[16:17], v[52:53] op_sel_hi:[1,0]
	s_waitcnt vmcnt(11)
	v_pk_fma_f32 v[52:53], v[12:13], v[28:29], v[4:5] op_sel:[0,0,1] op_sel_hi:[1,1,0] neg_lo:[0,0,1] neg_hi:[0,0,1]
	v_pk_fma_f32 v[4:5], v[12:13], v[28:29], v[4:5] op_sel:[0,0,1] op_sel_hi:[1,0,0]
	s_waitcnt vmcnt(10)
	v_pk_fma_f32 v[12:13], v[14:15], v[30:31], v[6:7] op_sel:[0,0,1] op_sel_hi:[1,1,0] neg_lo:[0,0,1] neg_hi:[0,0,1]
	v_pk_fma_f32 v[6:7], v[14:15], v[30:31], v[6:7] op_sel:[0,0,1] op_sel_hi:[1,0,0]
	v_add_f32_e32 v31, v54, v60
	v_add_f32_e32 v30, v55, v63
	v_pk_add_f32 v[2:3], v[30:31], v[2:3]
	v_mov_b32_e32 v53, v5
	v_pk_add_f32 v[2:3], v[2:3], v[46:47]
	v_mov_b32_e32 v56, v37
	s_waitcnt vmcnt(9)
	v_pk_fma_f32 v[14:15], v[16:17], v[32:33], v[8:9] op_sel:[0,0,1] op_sel_hi:[1,1,0] neg_lo:[0,0,1] neg_hi:[0,0,1]
	v_pk_fma_f32 v[8:9], v[16:17], v[32:33], v[8:9] op_sel:[0,0,1] op_sel_hi:[1,0,0]
	v_mov_b32_e32 v13, v7
	v_pk_add_f32 v[2:3], v[2:3], v[52:53]
	v_mov_b32_e32 v58, v39
	s_waitcnt lgkmcnt(1)
	v_pk_mul_f32 v[48:49], v[20:21], v[56:57] op_sel_hi:[1,0]
	s_waitcnt vmcnt(5)
	v_pk_fma_f32 v[16:17], v[18:19], v[34:35], v[10:11] op_sel:[0,0,1] op_sel_hi:[1,1,0] neg_lo:[0,0,1] neg_hi:[0,0,1]
	v_pk_fma_f32 v[10:11], v[18:19], v[34:35], v[10:11] op_sel:[0,0,1] op_sel_hi:[1,0,0]
	v_mov_b32_e32 v15, v9
	v_pk_add_f32 v[2:3], v[2:3], v[12:13]
	s_waitcnt vmcnt(4)
	v_mov_b32_e32 v4, v41
	v_pk_mul_f32 v[50:51], v[22:23], v[58:59] op_sel_hi:[1,0]
	v_pk_fma_f32 v[18:19], v[20:21], v[36:37], v[48:49] op_sel:[0,0,1] op_sel_hi:[1,1,0] neg_lo:[0,0,1] neg_hi:[0,0,1]
	v_pk_fma_f32 v[20:21], v[20:21], v[36:37], v[48:49] op_sel:[0,0,1] op_sel_hi:[1,0,0]
	v_mov_b32_e32 v17, v11
	v_pk_add_f32 v[2:3], v[2:3], v[14:15]
	s_waitcnt lgkmcnt(0)
	v_pk_mul_f32 v[4:5], v[24:25], v[4:5] op_sel_hi:[1,0]
	v_pk_fma_f32 v[28:29], v[22:23], v[38:39], v[50:51] op_sel:[0,0,1] op_sel_hi:[1,1,0] neg_lo:[0,0,1] neg_hi:[0,0,1]
	v_pk_fma_f32 v[22:23], v[22:23], v[38:39], v[50:51] op_sel:[0,0,1] op_sel_hi:[1,0,0]
	v_mov_b32_e32 v19, v21
	v_pk_add_f32 v[2:3], v[2:3], v[16:17]
	v_pk_fma_f32 v[6:7], v[24:25], v[40:41], v[4:5] op_sel:[0,0,1] op_sel_hi:[1,1,0] neg_lo:[0,0,1] neg_hi:[0,0,1]
	v_pk_fma_f32 v[4:5], v[24:25], v[40:41], v[4:5] op_sel:[0,0,1] op_sel_hi:[1,0,0]
	v_mov_b32_e32 v29, v23
	v_pk_add_f32 v[2:3], v[2:3], v[18:19]
	s_waitcnt vmcnt(3)
	v_mov_b32_e32 v4, v43
	v_pk_add_f32 v[2:3], v[2:3], v[28:29]
	v_mov_b32_e32 v7, v5
	v_pk_mul_f32 v[4:5], v[26:27], v[4:5] op_sel_hi:[1,0]
	v_pk_add_f32 v[2:3], v[2:3], v[6:7]
	s_waitcnt vmcnt(2)
	v_pk_fma_f32 v[6:7], v[26:27], v[42:43], v[4:5] op_sel:[0,0,1] op_sel_hi:[1,1,0] neg_lo:[0,0,1] neg_hi:[0,0,1]
	v_pk_fma_f32 v[4:5], v[26:27], v[42:43], v[4:5] op_sel:[0,0,1] op_sel_hi:[1,0,0]
	v_mov_b32_e32 v7, v5
	v_pk_add_f32 v[2:3], v[2:3], v[6:7]
	s_waitcnt vmcnt(0)
	v_pk_add_f32 v[2:3], v[44:45], v[2:3] neg_lo:[0,1] neg_hi:[0,1]
	buffer_store_dword v3, off, s[0:3], 0 offset:268
	buffer_store_dword v2, off, s[0:3], 0 offset:264
	s_and_saveexec_b64 s[4:5], vcc
	s_cbranch_execz .LBB45_225
; %bb.224:
	buffer_load_dword v2, off, s[0:3], 0 offset:256
	buffer_load_dword v3, off, s[0:3], 0 offset:260
	v_mov_b32_e32 v4, 0
	buffer_store_dword v4, off, s[0:3], 0 offset:256
	buffer_store_dword v4, off, s[0:3], 0 offset:260
	s_waitcnt vmcnt(2)
	ds_write_b64 v80, v[2:3]
.LBB45_225:
	s_or_b64 exec, exec, s[4:5]
	s_waitcnt lgkmcnt(0)
	; wave barrier
	s_waitcnt lgkmcnt(0)
	buffer_load_dword v3, off, s[0:3], 0 offset:268
	buffer_load_dword v48, off, s[0:3], 0 offset:276
	;; [unrolled: 1-line block ×28, first 2 shown]
	v_mov_b32_e32 v2, 0
	ds_read2_b64 v[4:7], v2 offset0:79 offset1:80
	ds_read2_b64 v[8:11], v2 offset0:81 offset1:82
	;; [unrolled: 1-line block ×6, first 2 shown]
	ds_read_b64 v[46:47], v2 offset:728
	v_cmp_lt_u32_e32 vcc, 31, v0
	s_waitcnt vmcnt(27) lgkmcnt(6)
	v_mul_f32_e32 v63, v4, v3
	v_mul_f32_e32 v3, v5, v3
	s_waitcnt vmcnt(26)
	v_mul_f32_e32 v64, v6, v48
	s_waitcnt vmcnt(24) lgkmcnt(5)
	v_mul_f32_e32 v49, v10, v52
	s_waitcnt vmcnt(23) lgkmcnt(4)
	v_mul_f32_e32 v51, v12, v53
	v_mul_f32_e32 v66, v11, v52
	;; [unrolled: 1-line block ×3, first 2 shown]
	s_waitcnt vmcnt(22)
	v_mov_b32_e32 v52, v29
	v_mul_f32_e32 v65, v8, v50
	v_mul_f32_e32 v48, v7, v48
	;; [unrolled: 1-line block ×3, first 2 shown]
	s_waitcnt vmcnt(17)
	v_fmac_f32_e32 v63, v5, v55
	v_fma_f32 v3, v4, v55, -v3
	v_pk_mul_f32 v[4:5], v[14:15], v[52:53] op_sel_hi:[1,0]
	s_waitcnt vmcnt(16)
	v_fmac_f32_e32 v64, v7, v57
	s_waitcnt vmcnt(13)
	v_fmac_f32_e32 v51, v13, v62
	v_fma_f32 v55, v6, v57, -v48
	v_fma_f32 v57, v8, v59, -v50
	;; [unrolled: 1-line block ×3, first 2 shown]
	v_add_f32_e32 v52, 0, v63
	v_add_f32_e32 v3, 0, v3
	s_waitcnt vmcnt(12)
	v_pk_fma_f32 v[12:13], v[14:15], v[28:29], v[4:5] op_sel:[0,0,1] op_sel_hi:[1,1,0] neg_lo:[0,0,1] neg_hi:[0,0,1]
	v_pk_fma_f32 v[4:5], v[14:15], v[28:29], v[4:5] op_sel:[0,0,1] op_sel_hi:[1,0,0]
	v_fmac_f32_e32 v65, v9, v59
	v_add_f32_e32 v4, v52, v64
	v_add_f32_e32 v3, v3, v55
	v_mov_b32_e32 v54, v31
	v_fmac_f32_e32 v49, v11, v61
	v_fma_f32 v48, v10, v61, -v66
	v_mov_b32_e32 v13, v5
	v_add_f32_e32 v5, v4, v65
	v_add_f32_e32 v4, v3, v57
	v_mov_b32_e32 v56, v33
	s_waitcnt lgkmcnt(3)
	v_pk_mul_f32 v[6:7], v[16:17], v[54:55] op_sel_hi:[1,0]
	v_pk_add_f32 v[4:5], v[4:5], v[48:49]
	v_mov_b32_e32 v58, v35
	v_mov_b32_e32 v60, v37
	v_pk_mul_f32 v[8:9], v[18:19], v[56:57] op_sel_hi:[1,0]
	s_waitcnt vmcnt(11)
	v_pk_fma_f32 v[14:15], v[16:17], v[30:31], v[6:7] op_sel:[0,0,1] op_sel_hi:[1,1,0] neg_lo:[0,0,1] neg_hi:[0,0,1]
	v_pk_fma_f32 v[6:7], v[16:17], v[30:31], v[6:7] op_sel:[0,0,1] op_sel_hi:[1,0,0]
	v_pk_add_f32 v[4:5], v[4:5], v[50:51]
	s_waitcnt lgkmcnt(2)
	v_pk_mul_f32 v[10:11], v[20:21], v[58:59] op_sel_hi:[1,0]
	s_waitcnt vmcnt(7)
	v_pk_fma_f32 v[16:17], v[18:19], v[32:33], v[8:9] op_sel:[0,0,1] op_sel_hi:[1,1,0] neg_lo:[0,0,1] neg_hi:[0,0,1]
	v_pk_fma_f32 v[8:9], v[18:19], v[32:33], v[8:9] op_sel:[0,0,1] op_sel_hi:[1,0,0]
	v_mov_b32_e32 v15, v7
	v_pk_add_f32 v[4:5], v[4:5], v[12:13]
	v_pk_mul_f32 v[6:7], v[22:23], v[60:61] op_sel_hi:[1,0]
	v_pk_fma_f32 v[18:19], v[20:21], v[34:35], v[10:11] op_sel:[0,0,1] op_sel_hi:[1,1,0] neg_lo:[0,0,1] neg_hi:[0,0,1]
	v_pk_fma_f32 v[10:11], v[20:21], v[34:35], v[10:11] op_sel:[0,0,1] op_sel_hi:[1,0,0]
	v_mov_b32_e32 v17, v9
	v_pk_add_f32 v[4:5], v[4:5], v[14:15]
	v_pk_fma_f32 v[8:9], v[22:23], v[36:37], v[6:7] op_sel:[0,0,1] op_sel_hi:[1,1,0] neg_lo:[0,0,1] neg_hi:[0,0,1]
	v_pk_fma_f32 v[6:7], v[22:23], v[36:37], v[6:7] op_sel:[0,0,1] op_sel_hi:[1,0,0]
	v_mov_b32_e32 v19, v11
	v_pk_add_f32 v[4:5], v[4:5], v[16:17]
	s_waitcnt vmcnt(6)
	v_mov_b32_e32 v6, v39
	v_pk_add_f32 v[4:5], v[4:5], v[18:19]
	v_mov_b32_e32 v9, v7
	s_waitcnt lgkmcnt(1)
	v_pk_mul_f32 v[6:7], v[24:25], v[6:7] op_sel_hi:[1,0]
	v_pk_add_f32 v[4:5], v[4:5], v[8:9]
	v_pk_fma_f32 v[8:9], v[24:25], v[38:39], v[6:7] op_sel:[0,0,1] op_sel_hi:[1,1,0] neg_lo:[0,0,1] neg_hi:[0,0,1]
	v_pk_fma_f32 v[6:7], v[24:25], v[38:39], v[6:7] op_sel:[0,0,1] op_sel_hi:[1,0,0]
	s_waitcnt vmcnt(5)
	v_mov_b32_e32 v6, v41
	v_mov_b32_e32 v9, v7
	v_pk_mul_f32 v[6:7], v[26:27], v[6:7] op_sel_hi:[1,0]
	v_pk_add_f32 v[4:5], v[4:5], v[8:9]
	s_waitcnt vmcnt(3)
	v_pk_fma_f32 v[8:9], v[26:27], v[40:41], v[6:7] op_sel:[0,0,1] op_sel_hi:[1,1,0] neg_lo:[0,0,1] neg_hi:[0,0,1]
	v_pk_fma_f32 v[6:7], v[26:27], v[40:41], v[6:7] op_sel:[0,0,1] op_sel_hi:[1,0,0]
	s_waitcnt vmcnt(2)
	v_mov_b32_e32 v6, v43
	v_mov_b32_e32 v9, v7
	s_waitcnt lgkmcnt(0)
	v_pk_mul_f32 v[6:7], v[46:47], v[6:7] op_sel_hi:[1,0]
	v_pk_add_f32 v[4:5], v[4:5], v[8:9]
	v_pk_fma_f32 v[8:9], v[46:47], v[42:43], v[6:7] op_sel:[0,0,1] op_sel_hi:[1,1,0] neg_lo:[0,0,1] neg_hi:[0,0,1]
	v_pk_fma_f32 v[6:7], v[46:47], v[42:43], v[6:7] op_sel:[0,0,1] op_sel_hi:[1,0,0]
	v_mov_b32_e32 v9, v7
	v_pk_add_f32 v[4:5], v[4:5], v[8:9]
	s_waitcnt vmcnt(0)
	v_pk_add_f32 v[4:5], v[44:45], v[4:5] neg_lo:[0,1] neg_hi:[0,1]
	buffer_store_dword v5, off, s[0:3], 0 offset:260
	buffer_store_dword v4, off, s[0:3], 0 offset:256
	s_and_saveexec_b64 s[4:5], vcc
	s_cbranch_execz .LBB45_227
; %bb.226:
	buffer_load_dword v4, off, s[0:3], 0 offset:248
	buffer_load_dword v5, off, s[0:3], 0 offset:252
	s_waitcnt vmcnt(0)
	ds_write_b64 v80, v[4:5]
	buffer_store_dword v2, off, s[0:3], 0 offset:248
	buffer_store_dword v2, off, s[0:3], 0 offset:252
.LBB45_227:
	s_or_b64 exec, exec, s[4:5]
	s_waitcnt lgkmcnt(0)
	; wave barrier
	s_waitcnt lgkmcnt(0)
	buffer_load_dword v50, off, s[0:3], 0 offset:260
	buffer_load_dword v52, off, s[0:3], 0 offset:268
	;; [unrolled: 1-line block ×30, first 2 shown]
	ds_read_b128 v[4:7], v2 offset:624
	ds_read_b128 v[8:11], v2 offset:640
	;; [unrolled: 1-line block ×7, first 2 shown]
	v_cmp_lt_u32_e32 vcc, 30, v0
	s_waitcnt vmcnt(29) lgkmcnt(6)
	v_mul_f32_e32 v63, v4, v50
	s_waitcnt vmcnt(28)
	v_mul_f32_e32 v64, v6, v52
	s_waitcnt vmcnt(27) lgkmcnt(5)
	v_mul_f32_e32 v65, v8, v53
	v_mul_f32_e32 v53, v9, v53
	s_waitcnt vmcnt(26)
	v_mul_f32_e32 v66, v10, v54
	s_waitcnt vmcnt(25) lgkmcnt(4)
	v_mul_f32_e32 v3, v12, v55
	v_mul_f32_e32 v2, v5, v50
	;; [unrolled: 1-line block ×5, first 2 shown]
	s_waitcnt vmcnt(23)
	v_mov_b32_e32 v52, v33
	s_waitcnt vmcnt(22)
	v_mov_b32_e32 v54, v35
	s_waitcnt vmcnt(18)
	v_fma_f32 v53, v8, v59, -v53
	v_fmac_f32_e32 v63, v5, v57
	v_fmac_f32_e32 v64, v7, v58
	s_waitcnt vmcnt(17)
	v_fmac_f32_e32 v66, v11, v60
	v_fma_f32 v11, v4, v57, -v2
	v_fma_f32 v57, v6, v58, -v50
	s_waitcnt lgkmcnt(3)
	v_pk_mul_f32 v[4:5], v[16:17], v[52:53] op_sel_hi:[1,0]
	v_pk_mul_f32 v[6:7], v[18:19], v[54:55] op_sel_hi:[1,0]
	s_waitcnt vmcnt(16)
	v_fmac_f32_e32 v3, v13, v61
	v_fma_f32 v58, v10, v60, -v67
	v_fma_f32 v2, v12, v61, -v55
	v_add_f32_e32 v52, 0, v63
	v_add_f32_e32 v54, 0, v11
	s_waitcnt vmcnt(14)
	v_pk_fma_f32 v[10:11], v[16:17], v[32:33], v[4:5] op_sel:[0,0,1] op_sel_hi:[1,1,0] neg_lo:[0,0,1] neg_hi:[0,0,1]
	v_pk_fma_f32 v[4:5], v[16:17], v[32:33], v[4:5] op_sel:[0,0,1] op_sel_hi:[1,0,0]
	s_waitcnt vmcnt(10)
	v_pk_fma_f32 v[12:13], v[18:19], v[34:35], v[6:7] op_sel:[0,0,1] op_sel_hi:[1,1,0] neg_lo:[0,0,1] neg_hi:[0,0,1]
	v_pk_fma_f32 v[6:7], v[18:19], v[34:35], v[6:7] op_sel:[0,0,1] op_sel_hi:[1,0,0]
	v_fmac_f32_e32 v65, v9, v59
	v_add_f32_e32 v4, v52, v64
	v_add_f32_e32 v6, v54, v57
	;; [unrolled: 1-line block ×4, first 2 shown]
	v_mul_f32_e32 v51, v14, v56
	v_mul_f32_e32 v68, v15, v56
	v_mov_b32_e32 v11, v5
	v_add_f32_e32 v5, v4, v66
	v_add_f32_e32 v4, v6, v58
	v_mov_b32_e32 v56, v37
	v_fmac_f32_e32 v51, v15, v62
	v_fma_f32 v50, v14, v62, -v68
	v_pk_add_f32 v[2:3], v[4:5], v[2:3]
	s_waitcnt vmcnt(9)
	v_mov_b32_e32 v4, v41
	s_waitcnt lgkmcnt(2)
	v_pk_mul_f32 v[8:9], v[20:21], v[56:57] op_sel_hi:[1,0]
	v_pk_add_f32 v[2:3], v[2:3], v[50:51]
	v_pk_mul_f32 v[4:5], v[22:23], v[4:5] op_sel_hi:[1,0]
	v_pk_fma_f32 v[14:15], v[20:21], v[36:37], v[8:9] op_sel:[0,0,1] op_sel_hi:[1,1,0] neg_lo:[0,0,1] neg_hi:[0,0,1]
	v_pk_fma_f32 v[8:9], v[20:21], v[36:37], v[8:9] op_sel:[0,0,1] op_sel_hi:[1,0,0]
	v_mov_b32_e32 v13, v7
	v_pk_add_f32 v[2:3], v[2:3], v[10:11]
	v_pk_fma_f32 v[6:7], v[22:23], v[40:41], v[4:5] op_sel:[0,0,1] op_sel_hi:[1,1,0] neg_lo:[0,0,1] neg_hi:[0,0,1]
	v_pk_fma_f32 v[4:5], v[22:23], v[40:41], v[4:5] op_sel:[0,0,1] op_sel_hi:[1,0,0]
	v_mov_b32_e32 v15, v9
	v_pk_add_f32 v[2:3], v[2:3], v[12:13]
	s_waitcnt vmcnt(8)
	v_mov_b32_e32 v4, v39
	v_pk_add_f32 v[2:3], v[2:3], v[14:15]
	v_mov_b32_e32 v7, v5
	s_waitcnt lgkmcnt(1)
	v_pk_mul_f32 v[4:5], v[24:25], v[4:5] op_sel_hi:[1,0]
	v_pk_add_f32 v[2:3], v[2:3], v[6:7]
	v_pk_fma_f32 v[6:7], v[24:25], v[38:39], v[4:5] op_sel:[0,0,1] op_sel_hi:[1,1,0] neg_lo:[0,0,1] neg_hi:[0,0,1]
	v_pk_fma_f32 v[4:5], v[24:25], v[38:39], v[4:5] op_sel:[0,0,1] op_sel_hi:[1,0,0]
	s_waitcnt vmcnt(7)
	v_mov_b32_e32 v4, v43
	v_mov_b32_e32 v7, v5
	v_pk_mul_f32 v[4:5], v[26:27], v[4:5] op_sel_hi:[1,0]
	v_pk_add_f32 v[2:3], v[2:3], v[6:7]
	s_waitcnt vmcnt(4)
	v_pk_fma_f32 v[6:7], v[26:27], v[42:43], v[4:5] op_sel:[0,0,1] op_sel_hi:[1,1,0] neg_lo:[0,0,1] neg_hi:[0,0,1]
	v_pk_fma_f32 v[4:5], v[26:27], v[42:43], v[4:5] op_sel:[0,0,1] op_sel_hi:[1,0,0]
	s_waitcnt vmcnt(3)
	v_mov_b32_e32 v4, v47
	v_mov_b32_e32 v7, v5
	s_waitcnt lgkmcnt(0)
	v_pk_mul_f32 v[4:5], v[28:29], v[4:5] op_sel_hi:[1,0]
	v_pk_add_f32 v[2:3], v[2:3], v[6:7]
	v_pk_fma_f32 v[6:7], v[28:29], v[46:47], v[4:5] op_sel:[0,0,1] op_sel_hi:[1,1,0] neg_lo:[0,0,1] neg_hi:[0,0,1]
	v_pk_fma_f32 v[4:5], v[28:29], v[46:47], v[4:5] op_sel:[0,0,1] op_sel_hi:[1,0,0]
	s_waitcnt vmcnt(0)
	v_mov_b32_e32 v4, v45
	v_mov_b32_e32 v7, v5
	v_pk_mul_f32 v[4:5], v[30:31], v[4:5] op_sel_hi:[1,0]
	v_pk_add_f32 v[2:3], v[2:3], v[6:7]
	v_pk_fma_f32 v[6:7], v[30:31], v[44:45], v[4:5] op_sel:[0,0,1] op_sel_hi:[1,1,0] neg_lo:[0,0,1] neg_hi:[0,0,1]
	v_pk_fma_f32 v[4:5], v[30:31], v[44:45], v[4:5] op_sel:[0,0,1] op_sel_hi:[1,0,0]
	v_mov_b32_e32 v7, v5
	v_pk_add_f32 v[2:3], v[2:3], v[6:7]
	v_pk_add_f32 v[2:3], v[48:49], v[2:3] neg_lo:[0,1] neg_hi:[0,1]
	buffer_store_dword v3, off, s[0:3], 0 offset:252
	buffer_store_dword v2, off, s[0:3], 0 offset:248
	s_and_saveexec_b64 s[4:5], vcc
	s_cbranch_execz .LBB45_229
; %bb.228:
	buffer_load_dword v2, off, s[0:3], 0 offset:240
	buffer_load_dword v3, off, s[0:3], 0 offset:244
	v_mov_b32_e32 v4, 0
	buffer_store_dword v4, off, s[0:3], 0 offset:240
	buffer_store_dword v4, off, s[0:3], 0 offset:244
	s_waitcnt vmcnt(2)
	ds_write_b64 v80, v[2:3]
.LBB45_229:
	s_or_b64 exec, exec, s[4:5]
	s_waitcnt lgkmcnt(0)
	; wave barrier
	s_waitcnt lgkmcnt(0)
	buffer_load_dword v5, off, s[0:3], 0 offset:252
	buffer_load_dword v52, off, s[0:3], 0 offset:260
	buffer_load_dword v54, off, s[0:3], 0 offset:268
	buffer_load_dword v56, off, s[0:3], 0 offset:276
	buffer_load_dword v57, off, s[0:3], 0 offset:284
	buffer_load_dword v58, off, s[0:3], 0 offset:292
	buffer_load_dword v59, off, s[0:3], 0 offset:300
	buffer_load_dword v3, off, s[0:3], 0 offset:308
	buffer_load_dword v35, off, s[0:3], 0 offset:316
	buffer_load_dword v60, off, s[0:3], 0 offset:248
	buffer_load_dword v61, off, s[0:3], 0 offset:256
	buffer_load_dword v62, off, s[0:3], 0 offset:264
	buffer_load_dword v63, off, s[0:3], 0 offset:272
	buffer_load_dword v64, off, s[0:3], 0 offset:280
	buffer_load_dword v65, off, s[0:3], 0 offset:288
	buffer_load_dword v66, off, s[0:3], 0 offset:296
	buffer_load_dword v36, off, s[0:3], 0 offset:328
	buffer_load_dword v38, off, s[0:3], 0 offset:320
	buffer_load_dword v34, off, s[0:3], 0 offset:312
	buffer_load_dword v2, off, s[0:3], 0 offset:304
	buffer_load_dword v39, off, s[0:3], 0 offset:324
	buffer_load_dword v37, off, s[0:3], 0 offset:332
	buffer_load_dword v41, off, s[0:3], 0 offset:340
	buffer_load_dword v42, off, s[0:3], 0 offset:360
	buffer_load_dword v44, off, s[0:3], 0 offset:352
	buffer_load_dword v47, off, s[0:3], 0 offset:348
	buffer_load_dword v46, off, s[0:3], 0 offset:344
	buffer_load_dword v40, off, s[0:3], 0 offset:336
	buffer_load_dword v45, off, s[0:3], 0 offset:356
	buffer_load_dword v48, off, s[0:3], 0 offset:240
	buffer_load_dword v49, off, s[0:3], 0 offset:244
	buffer_load_dword v43, off, s[0:3], 0 offset:364
	v_mov_b32_e32 v4, 0
	ds_read2_b64 v[6:9], v4 offset0:77 offset1:78
	ds_read2_b64 v[10:13], v4 offset0:79 offset1:80
	;; [unrolled: 1-line block ×7, first 2 shown]
	ds_read_b64 v[50:51], v4 offset:728
	v_cmp_lt_u32_e32 vcc, 29, v0
	s_waitcnt vmcnt(31) lgkmcnt(7)
	v_mul_f32_e32 v67, v6, v5
	v_mul_f32_e32 v5, v7, v5
	s_waitcnt vmcnt(30)
	v_mul_f32_e32 v68, v8, v52
	s_waitcnt vmcnt(28) lgkmcnt(6)
	v_mul_f32_e32 v70, v12, v56
	s_waitcnt vmcnt(27) lgkmcnt(5)
	v_mul_f32_e32 v71, v14, v57
	v_mul_f32_e32 v72, v13, v56
	;; [unrolled: 1-line block ×3, first 2 shown]
	s_waitcnt vmcnt(24)
	v_mov_b32_e32 v56, v3
	v_mul_f32_e32 v69, v10, v54
	v_mul_f32_e32 v52, v9, v52
	s_waitcnt vmcnt(22)
	v_fmac_f32_e32 v67, v7, v60
	v_fma_f32 v5, v6, v60, -v5
	s_waitcnt lgkmcnt(4)
	v_pk_mul_f32 v[6:7], v[20:21], v[56:57] op_sel_hi:[1,0]
	v_mul_f32_e32 v54, v11, v54
	s_waitcnt vmcnt(21)
	v_fmac_f32_e32 v68, v9, v61
	s_waitcnt vmcnt(20)
	v_fmac_f32_e32 v69, v11, v62
	;; [unrolled: 2-line block ×3, first 2 shown]
	v_fma_f32 v11, v8, v61, -v52
	s_waitcnt vmcnt(18)
	v_fma_f32 v13, v14, v64, -v57
	v_add_f32_e32 v14, 0, v67
	v_add_f32_e32 v5, 0, v5
	s_waitcnt vmcnt(12)
	v_pk_fma_f32 v[8:9], v[20:21], v[2:3], v[6:7] op_sel:[0,0,1] op_sel_hi:[1,1,0] neg_lo:[0,0,1] neg_hi:[0,0,1]
	v_pk_fma_f32 v[2:3], v[20:21], v[2:3], v[6:7] op_sel:[0,0,1] op_sel_hi:[1,0,0]
	v_fma_f32 v10, v10, v62, -v54
	v_add_f32_e32 v2, v14, v68
	v_add_f32_e32 v5, v5, v11
	v_fma_f32 v12, v12, v63, -v72
	v_mov_b32_e32 v9, v3
	v_add_f32_e32 v2, v2, v69
	v_add_f32_e32 v3, v5, v10
	v_mul_f32_e32 v53, v16, v58
	v_mul_f32_e32 v73, v17, v58
	v_fmac_f32_e32 v71, v15, v64
	v_add_f32_e32 v2, v2, v70
	v_add_f32_e32 v5, v3, v12
	v_mul_f32_e32 v55, v18, v59
	v_mul_f32_e32 v59, v19, v59
	v_fmac_f32_e32 v53, v17, v65
	v_fma_f32 v52, v16, v65, -v73
	v_add_f32_e32 v3, v2, v71
	v_add_f32_e32 v2, v5, v13
	v_mov_b32_e32 v58, v35
	v_fmac_f32_e32 v55, v19, v66
	v_fma_f32 v54, v18, v66, -v59
	v_pk_add_f32 v[2:3], v[2:3], v[52:53]
	v_pk_add_f32 v[2:3], v[2:3], v[54:55]
	s_waitcnt lgkmcnt(3)
	v_pk_mul_f32 v[6:7], v[22:23], v[58:59] op_sel_hi:[1,0]
	v_pk_add_f32 v[2:3], v[2:3], v[8:9]
	v_pk_fma_f32 v[8:9], v[22:23], v[34:35], v[6:7] op_sel:[0,0,1] op_sel_hi:[1,1,0] neg_lo:[0,0,1] neg_hi:[0,0,1]
	v_pk_fma_f32 v[6:7], v[22:23], v[34:35], v[6:7] op_sel:[0,0,1] op_sel_hi:[1,0,0]
	s_waitcnt vmcnt(11)
	v_mov_b32_e32 v6, v39
	v_mov_b32_e32 v9, v7
	v_pk_mul_f32 v[6:7], v[24:25], v[6:7] op_sel_hi:[1,0]
	v_pk_add_f32 v[2:3], v[2:3], v[8:9]
	v_pk_fma_f32 v[8:9], v[24:25], v[38:39], v[6:7] op_sel:[0,0,1] op_sel_hi:[1,1,0] neg_lo:[0,0,1] neg_hi:[0,0,1]
	v_pk_fma_f32 v[6:7], v[24:25], v[38:39], v[6:7] op_sel:[0,0,1] op_sel_hi:[1,0,0]
	s_waitcnt vmcnt(10)
	v_mov_b32_e32 v6, v37
	v_mov_b32_e32 v9, v7
	s_waitcnt lgkmcnt(2)
	v_pk_mul_f32 v[6:7], v[26:27], v[6:7] op_sel_hi:[1,0]
	v_pk_add_f32 v[2:3], v[2:3], v[8:9]
	v_pk_fma_f32 v[8:9], v[26:27], v[36:37], v[6:7] op_sel:[0,0,1] op_sel_hi:[1,1,0] neg_lo:[0,0,1] neg_hi:[0,0,1]
	v_pk_fma_f32 v[6:7], v[26:27], v[36:37], v[6:7] op_sel:[0,0,1] op_sel_hi:[1,0,0]
	s_waitcnt vmcnt(9)
	v_mov_b32_e32 v6, v41
	v_mov_b32_e32 v9, v7
	v_pk_mul_f32 v[6:7], v[28:29], v[6:7] op_sel_hi:[1,0]
	v_pk_add_f32 v[2:3], v[2:3], v[8:9]
	s_waitcnt vmcnt(4)
	v_pk_fma_f32 v[8:9], v[28:29], v[40:41], v[6:7] op_sel:[0,0,1] op_sel_hi:[1,1,0] neg_lo:[0,0,1] neg_hi:[0,0,1]
	v_pk_fma_f32 v[6:7], v[28:29], v[40:41], v[6:7] op_sel:[0,0,1] op_sel_hi:[1,0,0]
	v_mov_b32_e32 v6, v47
	v_mov_b32_e32 v9, v7
	s_waitcnt lgkmcnt(1)
	v_pk_mul_f32 v[6:7], v[30:31], v[6:7] op_sel_hi:[1,0]
	v_pk_add_f32 v[2:3], v[2:3], v[8:9]
	v_pk_fma_f32 v[8:9], v[30:31], v[46:47], v[6:7] op_sel:[0,0,1] op_sel_hi:[1,1,0] neg_lo:[0,0,1] neg_hi:[0,0,1]
	v_pk_fma_f32 v[6:7], v[30:31], v[46:47], v[6:7] op_sel:[0,0,1] op_sel_hi:[1,0,0]
	s_waitcnt vmcnt(3)
	v_mov_b32_e32 v6, v45
	v_mov_b32_e32 v9, v7
	v_pk_mul_f32 v[6:7], v[32:33], v[6:7] op_sel_hi:[1,0]
	v_pk_add_f32 v[2:3], v[2:3], v[8:9]
	v_pk_fma_f32 v[8:9], v[32:33], v[44:45], v[6:7] op_sel:[0,0,1] op_sel_hi:[1,1,0] neg_lo:[0,0,1] neg_hi:[0,0,1]
	v_pk_fma_f32 v[6:7], v[32:33], v[44:45], v[6:7] op_sel:[0,0,1] op_sel_hi:[1,0,0]
	s_waitcnt vmcnt(0)
	v_mov_b32_e32 v6, v43
	v_mov_b32_e32 v9, v7
	s_waitcnt lgkmcnt(0)
	v_pk_mul_f32 v[6:7], v[50:51], v[6:7] op_sel_hi:[1,0]
	v_pk_add_f32 v[2:3], v[2:3], v[8:9]
	v_pk_fma_f32 v[8:9], v[50:51], v[42:43], v[6:7] op_sel:[0,0,1] op_sel_hi:[1,1,0] neg_lo:[0,0,1] neg_hi:[0,0,1]
	v_pk_fma_f32 v[6:7], v[50:51], v[42:43], v[6:7] op_sel:[0,0,1] op_sel_hi:[1,0,0]
	v_mov_b32_e32 v9, v7
	v_pk_add_f32 v[2:3], v[2:3], v[8:9]
	v_pk_add_f32 v[2:3], v[48:49], v[2:3] neg_lo:[0,1] neg_hi:[0,1]
	buffer_store_dword v3, off, s[0:3], 0 offset:244
	buffer_store_dword v2, off, s[0:3], 0 offset:240
	s_and_saveexec_b64 s[4:5], vcc
	s_cbranch_execz .LBB45_231
; %bb.230:
	buffer_load_dword v2, off, s[0:3], 0 offset:232
	buffer_load_dword v3, off, s[0:3], 0 offset:236
	s_waitcnt vmcnt(0)
	ds_write_b64 v80, v[2:3]
	buffer_store_dword v4, off, s[0:3], 0 offset:232
	buffer_store_dword v4, off, s[0:3], 0 offset:236
.LBB45_231:
	s_or_b64 exec, exec, s[4:5]
	s_waitcnt lgkmcnt(0)
	; wave barrier
	s_waitcnt lgkmcnt(0)
	ds_read_b128 v[6:9], v4 offset:608
	ds_read_b128 v[10:13], v4 offset:624
	;; [unrolled: 1-line block ×4, first 2 shown]
	buffer_load_dword v2, off, s[0:3], 0 offset:232
	buffer_load_dword v3, off, s[0:3], 0 offset:236
	;; [unrolled: 1-line block ×20, first 2 shown]
	v_cmp_lt_u32_e32 vcc, 28, v0
	s_waitcnt vmcnt(16) lgkmcnt(3)
	v_mul_f32_e32 v22, v6, v26
	v_fmac_f32_e32 v22, v7, v5
	s_waitcnt vmcnt(14)
	v_mul_f32_e32 v23, v8, v30
	v_add_f32_e32 v22, 0, v22
	v_fmac_f32_e32 v23, v9, v28
	v_add_f32_e32 v22, v22, v23
	s_waitcnt vmcnt(12) lgkmcnt(2)
	v_mul_f32_e32 v23, v10, v49
	v_fmac_f32_e32 v23, v11, v48
	v_add_f32_e32 v22, v22, v23
	s_waitcnt vmcnt(10)
	v_mul_f32_e32 v23, v12, v51
	v_fmac_f32_e32 v23, v13, v50
	v_add_f32_e32 v22, v22, v23
	s_waitcnt vmcnt(8) lgkmcnt(1)
	v_mul_f32_e32 v23, v14, v53
	v_fmac_f32_e32 v23, v15, v52
	v_add_f32_e32 v22, v22, v23
	s_waitcnt vmcnt(6)
	v_mul_f32_e32 v23, v16, v55
	v_fmac_f32_e32 v23, v17, v54
	v_add_f32_e32 v27, v22, v23
	ds_read_b128 v[22:25], v4 offset:672
	buffer_load_dword v35, off, s[0:3], 0 offset:316
	buffer_load_dword v34, off, s[0:3], 0 offset:312
	;; [unrolled: 1-line block ×14, first 2 shown]
	v_mul_f32_e32 v7, v7, v26
	v_fma_f32 v5, v6, v5, -v7
	v_mul_f32_e32 v6, v9, v30
	v_add_f32_e32 v5, 0, v5
	v_fma_f32 v6, v8, v28, -v6
	v_add_f32_e32 v5, v5, v6
	v_mul_f32_e32 v6, v11, v49
	v_fma_f32 v6, v10, v48, -v6
	v_add_f32_e32 v5, v5, v6
	v_mul_f32_e32 v6, v13, v51
	;; [unrolled: 3-line block ×4, first 2 shown]
	v_fma_f32 v6, v16, v54, -v6
	v_add_f32_e32 v26, v5, v6
	s_waitcnt vmcnt(18) lgkmcnt(1)
	v_mul_f32_e32 v5, v19, v57
	v_mul_f32_e32 v29, v18, v57
	v_fma_f32 v28, v18, v56, -v5
	s_waitcnt vmcnt(15)
	v_mov_b32_e32 v18, v33
	v_fmac_f32_e32 v29, v19, v56
	v_mul_f32_e32 v31, v20, v59
	v_mul_f32_e32 v5, v21, v59
	s_waitcnt lgkmcnt(0)
	v_pk_mul_f32 v[18:19], v[22:23], v[18:19] op_sel_hi:[1,0]
	v_fmac_f32_e32 v31, v21, v58
	v_fma_f32 v30, v20, v58, -v5
	s_waitcnt vmcnt(14)
	v_pk_fma_f32 v[20:21], v[22:23], v[32:33], v[18:19] op_sel:[0,0,1] op_sel_hi:[1,1,0] neg_lo:[0,0,1] neg_hi:[0,0,1]
	v_pk_fma_f32 v[18:19], v[22:23], v[32:33], v[18:19] op_sel:[0,0,1] op_sel_hi:[1,0,0]
	ds_read_b128 v[6:9], v4 offset:688
	ds_read_b128 v[10:13], v4 offset:704
	;; [unrolled: 1-line block ×3, first 2 shown]
	v_pk_add_f32 v[4:5], v[26:27], v[28:29]
	v_pk_add_f32 v[4:5], v[4:5], v[30:31]
	v_mov_b32_e32 v21, v19
	v_pk_add_f32 v[4:5], v[4:5], v[20:21]
	s_waitcnt vmcnt(13)
	v_mov_b32_e32 v18, v35
	v_pk_mul_f32 v[18:19], v[24:25], v[18:19] op_sel_hi:[1,0]
	s_waitcnt vmcnt(12)
	v_pk_fma_f32 v[20:21], v[24:25], v[34:35], v[18:19] op_sel:[0,0,1] op_sel_hi:[1,1,0] neg_lo:[0,0,1] neg_hi:[0,0,1]
	v_pk_fma_f32 v[18:19], v[24:25], v[34:35], v[18:19] op_sel:[0,0,1] op_sel_hi:[1,0,0]
	s_waitcnt vmcnt(11)
	v_mov_b32_e32 v18, v37
	v_mov_b32_e32 v21, v19
	s_waitcnt lgkmcnt(2)
	v_pk_mul_f32 v[18:19], v[6:7], v[18:19] op_sel_hi:[1,0]
	v_pk_add_f32 v[4:5], v[4:5], v[20:21]
	s_waitcnt vmcnt(10)
	v_pk_fma_f32 v[20:21], v[6:7], v[36:37], v[18:19] op_sel:[0,0,1] op_sel_hi:[1,1,0] neg_lo:[0,0,1] neg_hi:[0,0,1]
	v_pk_fma_f32 v[6:7], v[6:7], v[36:37], v[18:19] op_sel:[0,0,1] op_sel_hi:[1,0,0]
	s_waitcnt vmcnt(9)
	v_mov_b32_e32 v6, v39
	v_mov_b32_e32 v21, v7
	v_pk_mul_f32 v[6:7], v[8:9], v[6:7] op_sel_hi:[1,0]
	s_waitcnt vmcnt(8)
	v_pk_fma_f32 v[18:19], v[8:9], v[38:39], v[6:7] op_sel:[0,0,1] op_sel_hi:[1,1,0] neg_lo:[0,0,1] neg_hi:[0,0,1]
	v_pk_fma_f32 v[6:7], v[8:9], v[38:39], v[6:7] op_sel:[0,0,1] op_sel_hi:[1,0,0]
	s_waitcnt vmcnt(7)
	v_mov_b32_e32 v6, v41
	v_mov_b32_e32 v19, v7
	s_waitcnt lgkmcnt(1)
	v_pk_mul_f32 v[6:7], v[10:11], v[6:7] op_sel_hi:[1,0]
	s_waitcnt vmcnt(6)
	v_pk_fma_f32 v[8:9], v[10:11], v[40:41], v[6:7] op_sel:[0,0,1] op_sel_hi:[1,1,0] neg_lo:[0,0,1] neg_hi:[0,0,1]
	v_pk_fma_f32 v[6:7], v[10:11], v[40:41], v[6:7] op_sel:[0,0,1] op_sel_hi:[1,0,0]
	v_pk_add_f32 v[4:5], v[4:5], v[20:21]
	s_waitcnt vmcnt(5)
	v_mov_b32_e32 v6, v43
	v_pk_add_f32 v[4:5], v[4:5], v[18:19]
	v_mov_b32_e32 v9, v7
	v_pk_mul_f32 v[6:7], v[12:13], v[6:7] op_sel_hi:[1,0]
	v_pk_add_f32 v[4:5], v[4:5], v[8:9]
	s_waitcnt vmcnt(4)
	v_pk_fma_f32 v[8:9], v[12:13], v[42:43], v[6:7] op_sel:[0,0,1] op_sel_hi:[1,1,0] neg_lo:[0,0,1] neg_hi:[0,0,1]
	v_pk_fma_f32 v[6:7], v[12:13], v[42:43], v[6:7] op_sel:[0,0,1] op_sel_hi:[1,0,0]
	s_waitcnt vmcnt(3)
	v_mov_b32_e32 v6, v45
	v_mov_b32_e32 v9, v7
	s_waitcnt lgkmcnt(0)
	v_pk_mul_f32 v[6:7], v[14:15], v[6:7] op_sel_hi:[1,0]
	v_pk_add_f32 v[4:5], v[4:5], v[8:9]
	s_waitcnt vmcnt(2)
	v_pk_fma_f32 v[8:9], v[14:15], v[44:45], v[6:7] op_sel:[0,0,1] op_sel_hi:[1,1,0] neg_lo:[0,0,1] neg_hi:[0,0,1]
	v_pk_fma_f32 v[6:7], v[14:15], v[44:45], v[6:7] op_sel:[0,0,1] op_sel_hi:[1,0,0]
	s_waitcnt vmcnt(1)
	v_mov_b32_e32 v6, v47
	v_mov_b32_e32 v9, v7
	v_pk_mul_f32 v[6:7], v[16:17], v[6:7] op_sel_hi:[1,0]
	v_pk_add_f32 v[4:5], v[4:5], v[8:9]
	s_waitcnt vmcnt(0)
	v_pk_fma_f32 v[8:9], v[16:17], v[46:47], v[6:7] op_sel:[0,0,1] op_sel_hi:[1,1,0] neg_lo:[0,0,1] neg_hi:[0,0,1]
	v_pk_fma_f32 v[6:7], v[16:17], v[46:47], v[6:7] op_sel:[0,0,1] op_sel_hi:[1,0,0]
	v_mov_b32_e32 v9, v7
	v_pk_add_f32 v[4:5], v[4:5], v[8:9]
	v_pk_add_f32 v[2:3], v[2:3], v[4:5] neg_lo:[0,1] neg_hi:[0,1]
	buffer_store_dword v3, off, s[0:3], 0 offset:236
	buffer_store_dword v2, off, s[0:3], 0 offset:232
	s_and_saveexec_b64 s[4:5], vcc
	s_cbranch_execz .LBB45_233
; %bb.232:
	buffer_load_dword v2, off, s[0:3], 0 offset:224
	buffer_load_dword v3, off, s[0:3], 0 offset:228
	v_mov_b32_e32 v4, 0
	buffer_store_dword v4, off, s[0:3], 0 offset:224
	buffer_store_dword v4, off, s[0:3], 0 offset:228
	s_waitcnt vmcnt(2)
	ds_write_b64 v80, v[2:3]
.LBB45_233:
	s_or_b64 exec, exec, s[4:5]
	s_waitcnt lgkmcnt(0)
	; wave barrier
	s_waitcnt lgkmcnt(0)
	buffer_load_dword v3, off, s[0:3], 0 offset:236
	buffer_load_dword v46, off, s[0:3], 0 offset:244
	buffer_load_dword v48, off, s[0:3], 0 offset:252
	buffer_load_dword v50, off, s[0:3], 0 offset:260
	buffer_load_dword v51, off, s[0:3], 0 offset:268
	buffer_load_dword v52, off, s[0:3], 0 offset:276
	buffer_load_dword v53, off, s[0:3], 0 offset:284
	buffer_load_dword v54, off, s[0:3], 0 offset:292
	buffer_load_dword v55, off, s[0:3], 0 offset:300
	buffer_load_dword v56, off, s[0:3], 0 offset:232
	buffer_load_dword v57, off, s[0:3], 0 offset:240
	buffer_load_dword v58, off, s[0:3], 0 offset:248
	buffer_load_dword v59, off, s[0:3], 0 offset:256
	buffer_load_dword v60, off, s[0:3], 0 offset:264
	buffer_load_dword v61, off, s[0:3], 0 offset:272
	buffer_load_dword v62, off, s[0:3], 0 offset:280
	buffer_load_dword v63, off, s[0:3], 0 offset:288
	buffer_load_dword v64, off, s[0:3], 0 offset:296
	buffer_load_dword v29, off, s[0:3], 0 offset:308
	buffer_load_dword v30, off, s[0:3], 0 offset:312
	buffer_load_dword v28, off, s[0:3], 0 offset:304
	buffer_load_dword v32, off, s[0:3], 0 offset:224
	buffer_load_dword v33, off, s[0:3], 0 offset:228
	buffer_load_dword v31, off, s[0:3], 0 offset:316
	buffer_load_dword v35, off, s[0:3], 0 offset:324
	buffer_load_dword v37, off, s[0:3], 0 offset:348
	buffer_load_dword v36, off, s[0:3], 0 offset:344
	buffer_load_dword v39, off, s[0:3], 0 offset:340
	buffer_load_dword v38, off, s[0:3], 0 offset:336
	buffer_load_dword v41, off, s[0:3], 0 offset:332
	buffer_load_dword v40, off, s[0:3], 0 offset:328
	buffer_load_dword v34, off, s[0:3], 0 offset:320
	buffer_load_dword v43, off, s[0:3], 0 offset:364
	buffer_load_dword v42, off, s[0:3], 0 offset:360
	buffer_load_dword v45, off, s[0:3], 0 offset:356
	buffer_load_dword v44, off, s[0:3], 0 offset:352
	v_mov_b32_e32 v2, 0
	ds_read2_b64 v[4:7], v2 offset0:75 offset1:76
	ds_read2_b64 v[8:11], v2 offset0:77 offset1:78
	;; [unrolled: 1-line block ×6, first 2 shown]
	v_cmp_lt_u32_e32 vcc, 27, v0
	s_waitcnt vmcnt(35) lgkmcnt(5)
	v_mul_f32_e32 v65, v4, v3
	s_waitcnt vmcnt(34)
	v_mul_f32_e32 v66, v6, v46
	s_waitcnt vmcnt(33) lgkmcnt(4)
	v_mul_f32_e32 v67, v8, v48
	v_mul_f32_e32 v3, v5, v3
	;; [unrolled: 1-line block ×4, first 2 shown]
	s_waitcnt vmcnt(32)
	v_mul_f32_e32 v68, v10, v50
	s_waitcnt vmcnt(31) lgkmcnt(3)
	v_mul_f32_e32 v69, v12, v51
	v_mul_f32_e32 v50, v11, v50
	s_waitcnt vmcnt(26)
	v_fmac_f32_e32 v65, v5, v56
	s_waitcnt vmcnt(25)
	v_fmac_f32_e32 v66, v7, v57
	;; [unrolled: 2-line block ×3, first 2 shown]
	v_fma_f32 v3, v4, v56, -v3
	v_add_f32_e32 v9, 0, v65
	v_fma_f32 v4, v6, v57, -v46
	v_add_f32_e32 v3, 0, v3
	v_add_f32_e32 v9, v9, v66
	s_waitcnt vmcnt(23)
	v_fmac_f32_e32 v68, v11, v59
	v_fma_f32 v5, v8, v58, -v48
	v_add_f32_e32 v3, v3, v4
	v_add_f32_e32 v4, v9, v67
	v_mul_f32_e32 v70, v14, v52
	v_mul_f32_e32 v51, v13, v51
	s_waitcnt vmcnt(22)
	v_fmac_f32_e32 v69, v13, v60
	v_fma_f32 v6, v10, v59, -v50
	v_add_f32_e32 v3, v3, v5
	v_add_f32_e32 v4, v4, v68
	s_waitcnt lgkmcnt(2)
	v_mul_f32_e32 v71, v16, v53
	v_mul_f32_e32 v52, v15, v52
	s_waitcnt vmcnt(21)
	v_fmac_f32_e32 v70, v15, v61
	v_fma_f32 v7, v12, v60, -v51
	v_add_f32_e32 v3, v3, v6
	v_add_f32_e32 v4, v4, v69
	v_mul_f32_e32 v53, v17, v53
	s_waitcnt vmcnt(20)
	v_fmac_f32_e32 v71, v17, v62
	v_fma_f32 v8, v14, v61, -v52
	v_add_f32_e32 v3, v3, v7
	v_add_f32_e32 v4, v4, v70
	;; [unrolled: 1-line block ×4, first 2 shown]
	v_fma_f32 v4, v16, v62, -v53
	s_waitcnt vmcnt(17)
	v_mov_b32_e32 v16, v29
	v_mul_f32_e32 v47, v18, v54
	v_add_f32_e32 v12, v3, v4
	v_mul_f32_e32 v3, v19, v54
	s_waitcnt lgkmcnt(1)
	v_pk_mul_f32 v[16:17], v[22:23], v[16:17] op_sel_hi:[1,0]
	v_mul_f32_e32 v49, v20, v55
	v_fmac_f32_e32 v47, v19, v63
	v_fma_f32 v46, v18, v63, -v3
	v_mul_f32_e32 v3, v21, v55
	s_waitcnt vmcnt(15)
	v_pk_fma_f32 v[18:19], v[22:23], v[28:29], v[16:17] op_sel:[0,0,1] op_sel_hi:[1,1,0] neg_lo:[0,0,1] neg_hi:[0,0,1]
	v_pk_fma_f32 v[16:17], v[22:23], v[28:29], v[16:17] op_sel:[0,0,1] op_sel_hi:[1,0,0]
	v_fmac_f32_e32 v49, v21, v64
	v_fma_f32 v48, v20, v64, -v3
	v_pk_add_f32 v[12:13], v[12:13], v[46:47]
	s_waitcnt vmcnt(12)
	v_mov_b32_e32 v16, v31
	v_pk_add_f32 v[12:13], v[12:13], v[48:49]
	v_mov_b32_e32 v19, v17
	s_waitcnt lgkmcnt(0)
	v_pk_mul_f32 v[16:17], v[24:25], v[16:17] op_sel_hi:[1,0]
	v_pk_add_f32 v[12:13], v[12:13], v[18:19]
	v_pk_fma_f32 v[18:19], v[24:25], v[30:31], v[16:17] op_sel:[0,0,1] op_sel_hi:[1,1,0] neg_lo:[0,0,1] neg_hi:[0,0,1]
	v_pk_fma_f32 v[16:17], v[24:25], v[30:31], v[16:17] op_sel:[0,0,1] op_sel_hi:[1,0,0]
	s_waitcnt vmcnt(11)
	v_mov_b32_e32 v16, v35
	ds_read2_b64 v[4:7], v2 offset0:87 offset1:88
	ds_read2_b64 v[8:11], v2 offset0:89 offset1:90
	ds_read_b64 v[14:15], v2 offset:728
	v_mov_b32_e32 v19, v17
	v_pk_mul_f32 v[16:17], v[26:27], v[16:17] op_sel_hi:[1,0]
	v_pk_add_f32 v[12:13], v[12:13], v[18:19]
	s_waitcnt vmcnt(4)
	v_pk_fma_f32 v[18:19], v[26:27], v[34:35], v[16:17] op_sel:[0,0,1] op_sel_hi:[1,1,0] neg_lo:[0,0,1] neg_hi:[0,0,1]
	v_pk_fma_f32 v[16:17], v[26:27], v[34:35], v[16:17] op_sel:[0,0,1] op_sel_hi:[1,0,0]
	v_mov_b32_e32 v16, v41
	v_mov_b32_e32 v19, v17
	s_waitcnt lgkmcnt(2)
	v_pk_mul_f32 v[16:17], v[4:5], v[16:17] op_sel_hi:[1,0]
	v_pk_add_f32 v[12:13], v[12:13], v[18:19]
	v_pk_fma_f32 v[18:19], v[4:5], v[40:41], v[16:17] op_sel:[0,0,1] op_sel_hi:[1,1,0] neg_lo:[0,0,1] neg_hi:[0,0,1]
	v_pk_fma_f32 v[4:5], v[4:5], v[40:41], v[16:17] op_sel:[0,0,1] op_sel_hi:[1,0,0]
	v_mov_b32_e32 v19, v5
	v_pk_add_f32 v[4:5], v[12:13], v[18:19]
	v_mov_b32_e32 v12, v39
	v_pk_mul_f32 v[12:13], v[6:7], v[12:13] op_sel_hi:[1,0]
	v_pk_fma_f32 v[16:17], v[6:7], v[38:39], v[12:13] op_sel:[0,0,1] op_sel_hi:[1,1,0] neg_lo:[0,0,1] neg_hi:[0,0,1]
	v_pk_fma_f32 v[6:7], v[6:7], v[38:39], v[12:13] op_sel:[0,0,1] op_sel_hi:[1,0,0]
	v_mov_b32_e32 v6, v37
	v_mov_b32_e32 v17, v7
	s_waitcnt lgkmcnt(1)
	v_pk_mul_f32 v[6:7], v[8:9], v[6:7] op_sel_hi:[1,0]
	v_pk_fma_f32 v[12:13], v[8:9], v[36:37], v[6:7] op_sel:[0,0,1] op_sel_hi:[1,1,0] neg_lo:[0,0,1] neg_hi:[0,0,1]
	v_pk_fma_f32 v[6:7], v[8:9], v[36:37], v[6:7] op_sel:[0,0,1] op_sel_hi:[1,0,0]
	s_waitcnt vmcnt(1)
	v_mov_b32_e32 v6, v45
	v_mov_b32_e32 v13, v7
	v_pk_mul_f32 v[6:7], v[10:11], v[6:7] op_sel_hi:[1,0]
	s_waitcnt vmcnt(0)
	v_pk_fma_f32 v[8:9], v[10:11], v[44:45], v[6:7] op_sel:[0,0,1] op_sel_hi:[1,1,0] neg_lo:[0,0,1] neg_hi:[0,0,1]
	v_pk_fma_f32 v[6:7], v[10:11], v[44:45], v[6:7] op_sel:[0,0,1] op_sel_hi:[1,0,0]
	v_pk_add_f32 v[4:5], v[4:5], v[16:17]
	v_mov_b32_e32 v6, v43
	v_pk_add_f32 v[4:5], v[4:5], v[12:13]
	v_mov_b32_e32 v9, v7
	s_waitcnt lgkmcnt(0)
	v_pk_mul_f32 v[6:7], v[14:15], v[6:7] op_sel_hi:[1,0]
	v_pk_add_f32 v[4:5], v[4:5], v[8:9]
	v_pk_fma_f32 v[8:9], v[14:15], v[42:43], v[6:7] op_sel:[0,0,1] op_sel_hi:[1,1,0] neg_lo:[0,0,1] neg_hi:[0,0,1]
	v_pk_fma_f32 v[6:7], v[14:15], v[42:43], v[6:7] op_sel:[0,0,1] op_sel_hi:[1,0,0]
	v_mov_b32_e32 v9, v7
	v_pk_add_f32 v[4:5], v[4:5], v[8:9]
	v_pk_add_f32 v[4:5], v[32:33], v[4:5] neg_lo:[0,1] neg_hi:[0,1]
	buffer_store_dword v5, off, s[0:3], 0 offset:228
	buffer_store_dword v4, off, s[0:3], 0 offset:224
	s_and_saveexec_b64 s[4:5], vcc
	s_cbranch_execz .LBB45_235
; %bb.234:
	buffer_load_dword v4, off, s[0:3], 0 offset:216
	buffer_load_dword v5, off, s[0:3], 0 offset:220
	s_waitcnt vmcnt(0)
	ds_write_b64 v80, v[4:5]
	buffer_store_dword v2, off, s[0:3], 0 offset:216
	buffer_store_dword v2, off, s[0:3], 0 offset:220
.LBB45_235:
	s_or_b64 exec, exec, s[4:5]
	s_waitcnt lgkmcnt(0)
	; wave barrier
	s_waitcnt lgkmcnt(0)
	buffer_load_dword v3, off, s[0:3], 0 offset:228
	buffer_load_dword v46, off, s[0:3], 0 offset:236
	;; [unrolled: 1-line block ×22, first 2 shown]
	ds_read_b128 v[4:7], v2 offset:592
	ds_read_b128 v[8:11], v2 offset:608
	buffer_load_dword v31, off, s[0:3], 0 offset:308
	buffer_load_dword v30, off, s[0:3], 0 offset:304
	;; [unrolled: 1-line block ×10, first 2 shown]
	ds_read_b128 v[12:15], v2 offset:624
	ds_read_b128 v[16:19], v2 offset:640
	;; [unrolled: 1-line block ×4, first 2 shown]
	buffer_load_dword v41, off, s[0:3], 0 offset:364
	buffer_load_dword v40, off, s[0:3], 0 offset:360
	;; [unrolled: 1-line block ×6, first 2 shown]
	v_cmp_lt_u32_e32 vcc, 26, v0
	s_waitcnt vmcnt(37) lgkmcnt(5)
	v_mul_f32_e32 v67, v4, v3
	s_waitcnt vmcnt(36)
	v_mul_f32_e32 v68, v6, v46
	s_waitcnt vmcnt(35) lgkmcnt(4)
	v_mul_f32_e32 v69, v8, v48
	v_mul_f32_e32 v3, v5, v3
	v_mul_f32_e32 v48, v9, v48
	v_mul_f32_e32 v46, v7, v46
	s_waitcnt vmcnt(34)
	v_mul_f32_e32 v70, v10, v50
	s_waitcnt vmcnt(33) lgkmcnt(3)
	v_mul_f32_e32 v71, v12, v51
	s_waitcnt vmcnt(32)
	v_mul_f32_e32 v72, v14, v52
	s_waitcnt vmcnt(31) lgkmcnt(2)
	v_mul_f32_e32 v73, v16, v53
	s_waitcnt vmcnt(27)
	v_fmac_f32_e32 v67, v5, v57
	s_waitcnt vmcnt(26)
	v_fmac_f32_e32 v68, v7, v58
	v_fma_f32 v3, v4, v57, -v3
	s_waitcnt vmcnt(25)
	v_fma_f32 v5, v8, v59, -v48
	v_add_f32_e32 v8, 0, v67
	v_fmac_f32_e32 v69, v9, v59
	v_fma_f32 v4, v6, v58, -v46
	v_add_f32_e32 v3, 0, v3
	v_add_f32_e32 v8, v8, v68
	s_waitcnt vmcnt(24)
	v_fmac_f32_e32 v70, v11, v60
	v_add_f32_e32 v3, v3, v4
	v_add_f32_e32 v4, v8, v69
	s_waitcnt vmcnt(23)
	v_fmac_f32_e32 v71, v13, v61
	v_add_f32_e32 v4, v4, v70
	v_mul_f32_e32 v50, v11, v50
	s_waitcnt vmcnt(22)
	v_fmac_f32_e32 v72, v15, v62
	v_add_f32_e32 v4, v4, v71
	v_mul_f32_e32 v74, v18, v54
	v_mul_f32_e32 v51, v13, v51
	s_waitcnt vmcnt(21)
	v_fmac_f32_e32 v73, v17, v63
	v_fma_f32 v6, v10, v60, -v50
	v_add_f32_e32 v3, v3, v5
	v_add_f32_e32 v4, v4, v72
	v_mul_f32_e32 v52, v15, v52
	s_waitcnt vmcnt(20)
	v_fmac_f32_e32 v74, v19, v64
	v_fma_f32 v7, v12, v61, -v51
	v_add_f32_e32 v3, v3, v6
	v_add_f32_e32 v4, v4, v73
	;; [unrolled: 1-line block ×4, first 2 shown]
	v_fma_f32 v4, v14, v62, -v52
	v_add_f32_e32 v3, v3, v4
	v_mul_f32_e32 v4, v17, v53
	v_fma_f32 v4, v16, v63, -v4
	v_add_f32_e32 v3, v3, v4
	v_mul_f32_e32 v4, v19, v54
	v_fma_f32 v4, v18, v64, -v4
	s_waitcnt vmcnt(15)
	v_mov_b32_e32 v16, v31
	s_waitcnt lgkmcnt(1)
	v_mul_f32_e32 v47, v20, v55
	v_add_f32_e32 v50, v3, v4
	v_mul_f32_e32 v3, v21, v55
	s_waitcnt lgkmcnt(0)
	v_pk_mul_f32 v[16:17], v[24:25], v[16:17] op_sel_hi:[1,0]
	v_mul_f32_e32 v49, v22, v56
	v_fmac_f32_e32 v47, v21, v65
	v_fma_f32 v46, v20, v65, -v3
	v_mul_f32_e32 v3, v23, v56
	s_waitcnt vmcnt(14)
	v_pk_fma_f32 v[18:19], v[24:25], v[30:31], v[16:17] op_sel:[0,0,1] op_sel_hi:[1,1,0] neg_lo:[0,0,1] neg_hi:[0,0,1]
	v_pk_fma_f32 v[16:17], v[24:25], v[30:31], v[16:17] op_sel:[0,0,1] op_sel_hi:[1,0,0]
	v_fmac_f32_e32 v49, v23, v66
	v_fma_f32 v48, v22, v66, -v3
	ds_read_b128 v[4:7], v2 offset:688
	ds_read_b128 v[8:11], v2 offset:704
	;; [unrolled: 1-line block ×3, first 2 shown]
	v_pk_add_f32 v[2:3], v[50:51], v[46:47]
	s_waitcnt vmcnt(13)
	v_mov_b32_e32 v16, v33
	v_pk_add_f32 v[2:3], v[2:3], v[48:49]
	v_mov_b32_e32 v19, v17
	v_pk_mul_f32 v[16:17], v[26:27], v[16:17] op_sel_hi:[1,0]
	v_pk_add_f32 v[2:3], v[2:3], v[18:19]
	s_waitcnt vmcnt(6)
	v_pk_fma_f32 v[18:19], v[26:27], v[32:33], v[16:17] op_sel:[0,0,1] op_sel_hi:[1,1,0] neg_lo:[0,0,1] neg_hi:[0,0,1]
	v_pk_fma_f32 v[16:17], v[26:27], v[32:33], v[16:17] op_sel:[0,0,1] op_sel_hi:[1,0,0]
	v_mov_b32_e32 v16, v39
	v_mov_b32_e32 v19, v17
	s_waitcnt lgkmcnt(2)
	v_pk_mul_f32 v[16:17], v[4:5], v[16:17] op_sel_hi:[1,0]
	v_pk_add_f32 v[2:3], v[2:3], v[18:19]
	v_pk_fma_f32 v[18:19], v[4:5], v[38:39], v[16:17] op_sel:[0,0,1] op_sel_hi:[1,1,0] neg_lo:[0,0,1] neg_hi:[0,0,1]
	v_pk_fma_f32 v[4:5], v[4:5], v[38:39], v[16:17] op_sel:[0,0,1] op_sel_hi:[1,0,0]
	v_mov_b32_e32 v4, v37
	v_mov_b32_e32 v19, v5
	v_pk_mul_f32 v[4:5], v[6:7], v[4:5] op_sel_hi:[1,0]
	v_pk_fma_f32 v[16:17], v[6:7], v[36:37], v[4:5] op_sel:[0,0,1] op_sel_hi:[1,1,0] neg_lo:[0,0,1] neg_hi:[0,0,1]
	v_pk_fma_f32 v[4:5], v[6:7], v[36:37], v[4:5] op_sel:[0,0,1] op_sel_hi:[1,0,0]
	v_mov_b32_e32 v4, v35
	v_mov_b32_e32 v17, v5
	s_waitcnt lgkmcnt(1)
	v_pk_mul_f32 v[4:5], v[8:9], v[4:5] op_sel_hi:[1,0]
	v_pk_fma_f32 v[6:7], v[8:9], v[34:35], v[4:5] op_sel:[0,0,1] op_sel_hi:[1,1,0] neg_lo:[0,0,1] neg_hi:[0,0,1]
	v_pk_fma_f32 v[4:5], v[8:9], v[34:35], v[4:5] op_sel:[0,0,1] op_sel_hi:[1,0,0]
	v_pk_add_f32 v[2:3], v[2:3], v[18:19]
	s_waitcnt vmcnt(1)
	v_mov_b32_e32 v4, v45
	v_pk_add_f32 v[2:3], v[2:3], v[16:17]
	v_mov_b32_e32 v7, v5
	v_pk_mul_f32 v[4:5], v[10:11], v[4:5] op_sel_hi:[1,0]
	v_pk_add_f32 v[2:3], v[2:3], v[6:7]
	s_waitcnt vmcnt(0)
	v_pk_fma_f32 v[6:7], v[10:11], v[44:45], v[4:5] op_sel:[0,0,1] op_sel_hi:[1,1,0] neg_lo:[0,0,1] neg_hi:[0,0,1]
	v_pk_fma_f32 v[4:5], v[10:11], v[44:45], v[4:5] op_sel:[0,0,1] op_sel_hi:[1,0,0]
	v_mov_b32_e32 v4, v43
	v_mov_b32_e32 v7, v5
	s_waitcnt lgkmcnt(0)
	v_pk_mul_f32 v[4:5], v[12:13], v[4:5] op_sel_hi:[1,0]
	v_pk_add_f32 v[2:3], v[2:3], v[6:7]
	v_pk_fma_f32 v[6:7], v[12:13], v[42:43], v[4:5] op_sel:[0,0,1] op_sel_hi:[1,1,0] neg_lo:[0,0,1] neg_hi:[0,0,1]
	v_pk_fma_f32 v[4:5], v[12:13], v[42:43], v[4:5] op_sel:[0,0,1] op_sel_hi:[1,0,0]
	v_mov_b32_e32 v4, v41
	v_mov_b32_e32 v7, v5
	v_pk_mul_f32 v[4:5], v[14:15], v[4:5] op_sel_hi:[1,0]
	v_pk_add_f32 v[2:3], v[2:3], v[6:7]
	v_pk_fma_f32 v[6:7], v[14:15], v[40:41], v[4:5] op_sel:[0,0,1] op_sel_hi:[1,1,0] neg_lo:[0,0,1] neg_hi:[0,0,1]
	v_pk_fma_f32 v[4:5], v[14:15], v[40:41], v[4:5] op_sel:[0,0,1] op_sel_hi:[1,0,0]
	v_mov_b32_e32 v7, v5
	v_pk_add_f32 v[2:3], v[2:3], v[6:7]
	v_pk_add_f32 v[2:3], v[28:29], v[2:3] neg_lo:[0,1] neg_hi:[0,1]
	buffer_store_dword v3, off, s[0:3], 0 offset:220
	buffer_store_dword v2, off, s[0:3], 0 offset:216
	s_and_saveexec_b64 s[4:5], vcc
	s_cbranch_execz .LBB45_237
; %bb.236:
	buffer_load_dword v2, off, s[0:3], 0 offset:208
	buffer_load_dword v3, off, s[0:3], 0 offset:212
	v_mov_b32_e32 v4, 0
	buffer_store_dword v4, off, s[0:3], 0 offset:208
	buffer_store_dword v4, off, s[0:3], 0 offset:212
	s_waitcnt vmcnt(2)
	ds_write_b64 v80, v[2:3]
.LBB45_237:
	s_or_b64 exec, exec, s[4:5]
	v_mov_b32_e32 v4, 0
	s_waitcnt lgkmcnt(0)
	; wave barrier
	s_waitcnt lgkmcnt(0)
	ds_read2_b64 v[6:9], v4 offset0:73 offset1:74
	buffer_load_dword v2, off, s[0:3], 0 offset:208
	buffer_load_dword v3, off, s[0:3], 0 offset:212
	;; [unrolled: 1-line block ×16, first 2 shown]
	v_cmp_lt_u32_e32 vcc, 25, v0
	s_waitcnt vmcnt(12) lgkmcnt(0)
	v_mul_f32_e32 v10, v6, v30
	v_fmac_f32_e32 v10, v7, v5
	s_waitcnt vmcnt(10)
	v_mul_f32_e32 v11, v8, v34
	v_add_f32_e32 v10, 0, v10
	v_fmac_f32_e32 v11, v9, v32
	v_add_f32_e32 v14, v10, v11
	ds_read2_b64 v[10:13], v4 offset0:75 offset1:76
	v_mul_f32_e32 v7, v7, v30
	v_fma_f32 v5, v6, v5, -v7
	v_mul_f32_e32 v6, v9, v34
	v_add_f32_e32 v5, 0, v5
	s_waitcnt vmcnt(8) lgkmcnt(0)
	v_mul_f32_e32 v15, v10, v53
	v_fmac_f32_e32 v15, v11, v52
	v_add_f32_e32 v14, v14, v15
	s_waitcnt vmcnt(6)
	v_mul_f32_e32 v15, v12, v55
	v_fmac_f32_e32 v15, v13, v54
	v_add_f32_e32 v18, v14, v15
	ds_read2_b64 v[14:17], v4 offset0:77 offset1:78
	v_fma_f32 v6, v8, v32, -v6
	v_add_f32_e32 v5, v5, v6
	v_mul_f32_e32 v6, v11, v53
	v_fma_f32 v6, v10, v52, -v6
	s_waitcnt vmcnt(4) lgkmcnt(0)
	v_mul_f32_e32 v19, v14, v57
	v_fmac_f32_e32 v19, v15, v56
	v_add_f32_e32 v18, v18, v19
	s_waitcnt vmcnt(2)
	v_mul_f32_e32 v19, v16, v59
	v_fmac_f32_e32 v19, v17, v58
	v_add_f32_e32 v22, v18, v19
	ds_read2_b64 v[18:21], v4 offset0:79 offset1:80
	buffer_load_dword v62, off, s[0:3], 0 offset:272
	buffer_load_dword v63, off, s[0:3], 0 offset:276
	v_add_f32_e32 v5, v5, v6
	v_mul_f32_e32 v6, v13, v55
	v_fma_f32 v6, v12, v54, -v6
	s_waitcnt vmcnt(2) lgkmcnt(0)
	v_mul_f32_e32 v23, v18, v61
	v_fmac_f32_e32 v23, v19, v60
	v_add_f32_e32 v22, v22, v23
	v_add_f32_e32 v5, v5, v6
	v_mul_f32_e32 v6, v15, v57
	v_fma_f32 v6, v14, v56, -v6
	v_add_f32_e32 v5, v5, v6
	v_mul_f32_e32 v6, v17, v59
	v_fma_f32 v6, v16, v58, -v6
	v_add_f32_e32 v5, v5, v6
	v_mul_f32_e32 v6, v19, v61
	v_fma_f32 v6, v18, v60, -v6
	v_add_f32_e32 v5, v5, v6
	s_waitcnt vmcnt(0)
	v_mul_f32_e32 v23, v20, v63
	v_fmac_f32_e32 v23, v21, v62
	v_add_f32_e32 v26, v22, v23
	ds_read2_b64 v[22:25], v4 offset0:81 offset1:82
	buffer_load_dword v64, off, s[0:3], 0 offset:280
	buffer_load_dword v65, off, s[0:3], 0 offset:284
	;; [unrolled: 1-line block ×4, first 2 shown]
	v_mul_f32_e32 v6, v21, v63
	v_fma_f32 v6, v20, v62, -v6
	v_add_f32_e32 v5, v5, v6
	s_waitcnt vmcnt(2) lgkmcnt(0)
	v_mul_f32_e32 v27, v22, v65
	v_fmac_f32_e32 v27, v23, v64
	v_add_f32_e32 v31, v26, v27
	ds_read2_b64 v[26:29], v4 offset0:83 offset1:84
	buffer_load_dword v68, off, s[0:3], 0 offset:296
	buffer_load_dword v69, off, s[0:3], 0 offset:300
	;; [unrolled: 1-line block ×18, first 2 shown]
	v_mul_f32_e32 v6, v23, v65
	v_fma_f32 v6, v22, v64, -v6
	s_waitcnt vmcnt(18)
	v_mul_f32_e32 v33, v24, v67
	v_add_f32_e32 v30, v5, v6
	v_mul_f32_e32 v5, v25, v67
	v_fmac_f32_e32 v33, v25, v66
	v_fma_f32 v32, v24, v66, -v5
	ds_read2_b64 v[6:9], v4 offset0:85 offset1:86
	ds_read2_b64 v[10:13], v4 offset0:87 offset1:88
	;; [unrolled: 1-line block ×3, first 2 shown]
	ds_read_b64 v[18:19], v4 offset:728
	v_pk_add_f32 v[20:21], v[30:31], v[32:33]
	s_waitcnt vmcnt(15)
	v_mov_b32_e32 v22, v37
	s_waitcnt lgkmcnt(4)
	v_pk_mul_f32 v[22:23], v[28:29], v[22:23] op_sel_hi:[1,0]
	s_waitcnt vmcnt(14)
	v_pk_fma_f32 v[24:25], v[28:29], v[36:37], v[22:23] op_sel:[0,0,1] op_sel_hi:[1,1,0] neg_lo:[0,0,1] neg_hi:[0,0,1]
	v_pk_fma_f32 v[22:23], v[28:29], v[36:37], v[22:23] op_sel:[0,0,1] op_sel_hi:[1,0,0]
	s_waitcnt vmcnt(13)
	v_mov_b32_e32 v22, v39
	v_mov_b32_e32 v25, v23
	s_waitcnt lgkmcnt(3)
	v_pk_mul_f32 v[22:23], v[6:7], v[22:23] op_sel_hi:[1,0]
	v_mul_f32_e32 v35, v26, v69
	v_mul_f32_e32 v5, v27, v69
	v_fmac_f32_e32 v35, v27, v68
	v_fma_f32 v34, v26, v68, -v5
	v_pk_add_f32 v[20:21], v[20:21], v[34:35]
	v_pk_add_f32 v[20:21], v[20:21], v[24:25]
	s_waitcnt vmcnt(12)
	v_pk_fma_f32 v[24:25], v[6:7], v[38:39], v[22:23] op_sel:[0,0,1] op_sel_hi:[1,1,0] neg_lo:[0,0,1] neg_hi:[0,0,1]
	v_pk_fma_f32 v[6:7], v[6:7], v[38:39], v[22:23] op_sel:[0,0,1] op_sel_hi:[1,0,0]
	v_mov_b32_e32 v25, v7
	v_pk_add_f32 v[6:7], v[20:21], v[24:25]
	s_waitcnt vmcnt(11)
	v_mov_b32_e32 v20, v41
	v_pk_mul_f32 v[20:21], v[8:9], v[20:21] op_sel_hi:[1,0]
	s_waitcnt vmcnt(10)
	v_pk_fma_f32 v[22:23], v[8:9], v[40:41], v[20:21] op_sel:[0,0,1] op_sel_hi:[1,1,0] neg_lo:[0,0,1] neg_hi:[0,0,1]
	v_pk_fma_f32 v[8:9], v[8:9], v[40:41], v[20:21] op_sel:[0,0,1] op_sel_hi:[1,0,0]
	s_waitcnt vmcnt(9)
	v_mov_b32_e32 v8, v43
	v_mov_b32_e32 v23, v9
	s_waitcnt lgkmcnt(2)
	v_pk_mul_f32 v[8:9], v[10:11], v[8:9] op_sel_hi:[1,0]
	s_waitcnt vmcnt(8)
	v_pk_fma_f32 v[20:21], v[10:11], v[42:43], v[8:9] op_sel:[0,0,1] op_sel_hi:[1,1,0] neg_lo:[0,0,1] neg_hi:[0,0,1]
	v_pk_fma_f32 v[8:9], v[10:11], v[42:43], v[8:9] op_sel:[0,0,1] op_sel_hi:[1,0,0]
	s_waitcnt vmcnt(7)
	v_mov_b32_e32 v8, v45
	v_mov_b32_e32 v21, v9
	v_pk_mul_f32 v[8:9], v[12:13], v[8:9] op_sel_hi:[1,0]
	s_waitcnt vmcnt(6)
	v_pk_fma_f32 v[10:11], v[12:13], v[44:45], v[8:9] op_sel:[0,0,1] op_sel_hi:[1,1,0] neg_lo:[0,0,1] neg_hi:[0,0,1]
	v_pk_fma_f32 v[8:9], v[12:13], v[44:45], v[8:9] op_sel:[0,0,1] op_sel_hi:[1,0,0]
	v_pk_add_f32 v[6:7], v[6:7], v[22:23]
	s_waitcnt vmcnt(5)
	v_mov_b32_e32 v8, v47
	v_pk_add_f32 v[6:7], v[6:7], v[20:21]
	v_mov_b32_e32 v11, v9
	s_waitcnt lgkmcnt(1)
	v_pk_mul_f32 v[8:9], v[14:15], v[8:9] op_sel_hi:[1,0]
	v_pk_add_f32 v[6:7], v[6:7], v[10:11]
	s_waitcnt vmcnt(4)
	v_pk_fma_f32 v[10:11], v[14:15], v[46:47], v[8:9] op_sel:[0,0,1] op_sel_hi:[1,1,0] neg_lo:[0,0,1] neg_hi:[0,0,1]
	v_pk_fma_f32 v[8:9], v[14:15], v[46:47], v[8:9] op_sel:[0,0,1] op_sel_hi:[1,0,0]
	s_waitcnt vmcnt(3)
	v_mov_b32_e32 v8, v49
	v_mov_b32_e32 v11, v9
	v_pk_mul_f32 v[8:9], v[16:17], v[8:9] op_sel_hi:[1,0]
	v_pk_add_f32 v[6:7], v[6:7], v[10:11]
	s_waitcnt vmcnt(2)
	v_pk_fma_f32 v[10:11], v[16:17], v[48:49], v[8:9] op_sel:[0,0,1] op_sel_hi:[1,1,0] neg_lo:[0,0,1] neg_hi:[0,0,1]
	v_pk_fma_f32 v[8:9], v[16:17], v[48:49], v[8:9] op_sel:[0,0,1] op_sel_hi:[1,0,0]
	s_waitcnt vmcnt(1)
	v_mov_b32_e32 v8, v51
	v_mov_b32_e32 v11, v9
	s_waitcnt lgkmcnt(0)
	v_pk_mul_f32 v[8:9], v[18:19], v[8:9] op_sel_hi:[1,0]
	v_pk_add_f32 v[6:7], v[6:7], v[10:11]
	s_waitcnt vmcnt(0)
	v_pk_fma_f32 v[10:11], v[18:19], v[50:51], v[8:9] op_sel:[0,0,1] op_sel_hi:[1,1,0] neg_lo:[0,0,1] neg_hi:[0,0,1]
	v_pk_fma_f32 v[8:9], v[18:19], v[50:51], v[8:9] op_sel:[0,0,1] op_sel_hi:[1,0,0]
	v_mov_b32_e32 v11, v9
	v_pk_add_f32 v[6:7], v[6:7], v[10:11]
	v_pk_add_f32 v[2:3], v[2:3], v[6:7] neg_lo:[0,1] neg_hi:[0,1]
	buffer_store_dword v3, off, s[0:3], 0 offset:212
	buffer_store_dword v2, off, s[0:3], 0 offset:208
	s_and_saveexec_b64 s[4:5], vcc
	s_cbranch_execz .LBB45_239
; %bb.238:
	buffer_load_dword v2, off, s[0:3], 0 offset:200
	buffer_load_dword v3, off, s[0:3], 0 offset:204
	s_waitcnt vmcnt(0)
	ds_write_b64 v80, v[2:3]
	buffer_store_dword v4, off, s[0:3], 0 offset:200
	buffer_store_dword v4, off, s[0:3], 0 offset:204
.LBB45_239:
	s_or_b64 exec, exec, s[4:5]
	s_waitcnt lgkmcnt(0)
	; wave barrier
	s_waitcnt lgkmcnt(0)
	buffer_load_dword v2, off, s[0:3], 0 offset:212
	buffer_load_dword v3, off, s[0:3], 0 offset:220
	;; [unrolled: 1-line block ×26, first 2 shown]
	ds_read_b128 v[6:9], v4 offset:576
	ds_read_b128 v[10:13], v4 offset:592
	;; [unrolled: 1-line block ×6, first 2 shown]
	buffer_load_dword v33, off, s[0:3], 0 offset:324
	buffer_load_dword v32, off, s[0:3], 0 offset:320
	;; [unrolled: 1-line block ×16, first 2 shown]
	v_cmp_lt_u32_e32 vcc, 24, v0
	s_waitcnt vmcnt(41) lgkmcnt(5)
	v_mul_f32_e32 v71, v6, v2
	s_waitcnt vmcnt(40)
	v_mul_f32_e32 v72, v8, v3
	v_mul_f32_e32 v2, v7, v2
	s_waitcnt vmcnt(39) lgkmcnt(4)
	v_mul_f32_e32 v73, v10, v5
	v_mul_f32_e32 v3, v9, v3
	s_waitcnt vmcnt(38)
	v_mul_f32_e32 v74, v12, v48
	s_waitcnt vmcnt(37) lgkmcnt(3)
	v_mul_f32_e32 v75, v14, v50
	s_waitcnt vmcnt(36)
	v_mul_f32_e32 v168, v16, v52
	s_waitcnt vmcnt(35) lgkmcnt(2)
	;; [unrolled: 4-line block ×3, first 2 shown]
	v_mul_f32_e32 v171, v22, v56
	s_waitcnt vmcnt(32)
	v_mul_f32_e32 v172, v24, v57
	s_waitcnt vmcnt(29)
	v_fmac_f32_e32 v71, v7, v53
	s_waitcnt vmcnt(28)
	v_fmac_f32_e32 v72, v9, v60
	v_fma_f32 v2, v6, v53, -v2
	v_add_f32_e32 v6, 0, v71
	s_waitcnt vmcnt(27)
	v_fmac_f32_e32 v73, v11, v61
	v_fma_f32 v3, v8, v60, -v3
	v_add_f32_e32 v2, 0, v2
	v_add_f32_e32 v6, v6, v72
	s_waitcnt vmcnt(26)
	v_fmac_f32_e32 v74, v13, v62
	v_add_f32_e32 v2, v2, v3
	v_add_f32_e32 v3, v6, v73
	s_waitcnt vmcnt(25)
	v_fmac_f32_e32 v75, v15, v63
	v_add_f32_e32 v3, v3, v74
	s_waitcnt vmcnt(24)
	v_fmac_f32_e32 v168, v17, v64
	;; [unrolled: 3-line block ×5, first 2 shown]
	v_add_f32_e32 v3, v3, v170
	v_mul_f32_e32 v5, v11, v5
	s_waitcnt vmcnt(20)
	v_fmac_f32_e32 v172, v25, v68
	v_add_f32_e32 v3, v3, v171
	v_fma_f32 v5, v10, v61, -v5
	v_add_f32_e32 v53, v3, v172
	v_mul_f32_e32 v3, v13, v48
	v_add_f32_e32 v2, v2, v5
	v_fma_f32 v3, v12, v62, -v3
	v_add_f32_e32 v2, v2, v3
	v_mul_f32_e32 v3, v15, v50
	v_fma_f32 v3, v14, v63, -v3
	v_add_f32_e32 v2, v2, v3
	v_mul_f32_e32 v3, v17, v52
	;; [unrolled: 3-line block ×6, first 2 shown]
	v_fma_f32 v3, v24, v68, -v3
	v_add_f32_e32 v52, v2, v3
	s_waitcnt lgkmcnt(0)
	v_mul_f32_e32 v2, v27, v58
	s_waitcnt vmcnt(19)
	v_fma_f32 v48, v26, v69, -v2
	v_mul_f32_e32 v2, v29, v59
	s_waitcnt vmcnt(18)
	v_fma_f32 v50, v28, v70, -v2
	ds_read_b128 v[6:9], v4 offset:672
	ds_read_b128 v[10:13], v4 offset:688
	;; [unrolled: 1-line block ×4, first 2 shown]
	v_mul_f32_e32 v49, v26, v58
	s_waitcnt vmcnt(11)
	v_mov_b32_e32 v20, v37
	v_mul_f32_e32 v51, v28, v59
	v_fmac_f32_e32 v49, v27, v69
	s_waitcnt lgkmcnt(3)
	v_pk_mul_f32 v[20:21], v[6:7], v[20:21] op_sel_hi:[1,0]
	v_fmac_f32_e32 v51, v29, v70
	v_pk_add_f32 v[18:19], v[52:53], v[48:49]
	s_waitcnt vmcnt(10)
	v_pk_fma_f32 v[22:23], v[6:7], v[36:37], v[20:21] op_sel:[0,0,1] op_sel_hi:[1,1,0] neg_lo:[0,0,1] neg_hi:[0,0,1]
	v_pk_fma_f32 v[6:7], v[6:7], v[36:37], v[20:21] op_sel:[0,0,1] op_sel_hi:[1,0,0]
	v_pk_add_f32 v[18:19], v[18:19], v[50:51]
	v_mov_b32_e32 v23, v7
	v_pk_add_f32 v[6:7], v[18:19], v[22:23]
	v_mov_b32_e32 v18, v35
	v_pk_mul_f32 v[18:19], v[8:9], v[18:19] op_sel_hi:[1,0]
	v_pk_fma_f32 v[20:21], v[8:9], v[34:35], v[18:19] op_sel:[0,0,1] op_sel_hi:[1,1,0] neg_lo:[0,0,1] neg_hi:[0,0,1]
	v_pk_fma_f32 v[8:9], v[8:9], v[34:35], v[18:19] op_sel:[0,0,1] op_sel_hi:[1,0,0]
	v_mov_b32_e32 v8, v33
	v_mov_b32_e32 v21, v9
	s_waitcnt lgkmcnt(2)
	v_pk_mul_f32 v[8:9], v[10:11], v[8:9] op_sel_hi:[1,0]
	v_pk_fma_f32 v[18:19], v[10:11], v[32:33], v[8:9] op_sel:[0,0,1] op_sel_hi:[1,1,0] neg_lo:[0,0,1] neg_hi:[0,0,1]
	v_pk_fma_f32 v[8:9], v[10:11], v[32:33], v[8:9] op_sel:[0,0,1] op_sel_hi:[1,0,0]
	s_waitcnt vmcnt(3)
	v_mov_b32_e32 v8, v45
	v_mov_b32_e32 v19, v9
	v_pk_mul_f32 v[8:9], v[12:13], v[8:9] op_sel_hi:[1,0]
	s_waitcnt vmcnt(2)
	v_pk_fma_f32 v[10:11], v[12:13], v[44:45], v[8:9] op_sel:[0,0,1] op_sel_hi:[1,1,0] neg_lo:[0,0,1] neg_hi:[0,0,1]
	v_pk_fma_f32 v[8:9], v[12:13], v[44:45], v[8:9] op_sel:[0,0,1] op_sel_hi:[1,0,0]
	v_pk_add_f32 v[6:7], v[6:7], v[20:21]
	v_mov_b32_e32 v8, v43
	v_pk_add_f32 v[6:7], v[6:7], v[18:19]
	v_mov_b32_e32 v11, v9
	s_waitcnt lgkmcnt(1)
	v_pk_mul_f32 v[8:9], v[14:15], v[8:9] op_sel_hi:[1,0]
	v_pk_add_f32 v[6:7], v[6:7], v[10:11]
	v_pk_fma_f32 v[10:11], v[14:15], v[42:43], v[8:9] op_sel:[0,0,1] op_sel_hi:[1,1,0] neg_lo:[0,0,1] neg_hi:[0,0,1]
	v_pk_fma_f32 v[8:9], v[14:15], v[42:43], v[8:9] op_sel:[0,0,1] op_sel_hi:[1,0,0]
	v_mov_b32_e32 v8, v41
	v_mov_b32_e32 v11, v9
	v_pk_mul_f32 v[8:9], v[16:17], v[8:9] op_sel_hi:[1,0]
	v_pk_add_f32 v[6:7], v[6:7], v[10:11]
	v_pk_fma_f32 v[10:11], v[16:17], v[40:41], v[8:9] op_sel:[0,0,1] op_sel_hi:[1,1,0] neg_lo:[0,0,1] neg_hi:[0,0,1]
	v_pk_fma_f32 v[8:9], v[16:17], v[40:41], v[8:9] op_sel:[0,0,1] op_sel_hi:[1,0,0]
	v_mov_b32_e32 v8, v39
	v_mov_b32_e32 v11, v9
	s_waitcnt lgkmcnt(0)
	v_pk_mul_f32 v[8:9], v[2:3], v[8:9] op_sel_hi:[1,0]
	v_pk_add_f32 v[6:7], v[6:7], v[10:11]
	v_pk_fma_f32 v[10:11], v[2:3], v[38:39], v[8:9] op_sel:[0,0,1] op_sel_hi:[1,1,0] neg_lo:[0,0,1] neg_hi:[0,0,1]
	v_pk_fma_f32 v[2:3], v[2:3], v[38:39], v[8:9] op_sel:[0,0,1] op_sel_hi:[1,0,0]
	v_mov_b32_e32 v11, v3
	v_pk_add_f32 v[2:3], v[6:7], v[10:11]
	s_waitcnt vmcnt(1)
	v_mov_b32_e32 v6, v47
	v_pk_mul_f32 v[6:7], v[4:5], v[6:7] op_sel_hi:[1,0]
	s_waitcnt vmcnt(0)
	v_pk_fma_f32 v[8:9], v[4:5], v[46:47], v[6:7] op_sel:[0,0,1] op_sel_hi:[1,1,0] neg_lo:[0,0,1] neg_hi:[0,0,1]
	v_pk_fma_f32 v[4:5], v[4:5], v[46:47], v[6:7] op_sel:[0,0,1] op_sel_hi:[1,0,0]
	v_mov_b32_e32 v9, v5
	v_pk_add_f32 v[2:3], v[2:3], v[8:9]
	v_pk_add_f32 v[2:3], v[30:31], v[2:3] neg_lo:[0,1] neg_hi:[0,1]
	buffer_store_dword v3, off, s[0:3], 0 offset:204
	buffer_store_dword v2, off, s[0:3], 0 offset:200
	s_and_saveexec_b64 s[4:5], vcc
	s_cbranch_execz .LBB45_241
; %bb.240:
	buffer_load_dword v2, off, s[0:3], 0 offset:192
	buffer_load_dword v3, off, s[0:3], 0 offset:196
	v_mov_b32_e32 v4, 0
	buffer_store_dword v4, off, s[0:3], 0 offset:192
	buffer_store_dword v4, off, s[0:3], 0 offset:196
	s_waitcnt vmcnt(2)
	ds_write_b64 v80, v[2:3]
.LBB45_241:
	s_or_b64 exec, exec, s[4:5]
	s_waitcnt lgkmcnt(0)
	; wave barrier
	s_waitcnt lgkmcnt(0)
	buffer_load_dword v3, off, s[0:3], 0 offset:204
	buffer_load_dword v54, off, s[0:3], 0 offset:212
	buffer_load_dword v56, off, s[0:3], 0 offset:220
	buffer_load_dword v58, off, s[0:3], 0 offset:228
	buffer_load_dword v60, off, s[0:3], 0 offset:236
	buffer_load_dword v61, off, s[0:3], 0 offset:244
	buffer_load_dword v62, off, s[0:3], 0 offset:252
	buffer_load_dword v63, off, s[0:3], 0 offset:260
	buffer_load_dword v64, off, s[0:3], 0 offset:268
	buffer_load_dword v65, off, s[0:3], 0 offset:276
	buffer_load_dword v66, off, s[0:3], 0 offset:284
	buffer_load_dword v67, off, s[0:3], 0 offset:292
	buffer_load_dword v68, off, s[0:3], 0 offset:300
	buffer_load_dword v69, off, s[0:3], 0 offset:200
	buffer_load_dword v70, off, s[0:3], 0 offset:208
	buffer_load_dword v71, off, s[0:3], 0 offset:216
	buffer_load_dword v72, off, s[0:3], 0 offset:224
	buffer_load_dword v73, off, s[0:3], 0 offset:232
	buffer_load_dword v74, off, s[0:3], 0 offset:240
	buffer_load_dword v75, off, s[0:3], 0 offset:248
	buffer_load_dword v168, off, s[0:3], 0 offset:256
	buffer_load_dword v169, off, s[0:3], 0 offset:264
	buffer_load_dword v170, off, s[0:3], 0 offset:272
	buffer_load_dword v171, off, s[0:3], 0 offset:280
	buffer_load_dword v172, off, s[0:3], 0 offset:288
	buffer_load_dword v173, off, s[0:3], 0 offset:296
	buffer_load_dword v36, off, s[0:3], 0 offset:192
	buffer_load_dword v37, off, s[0:3], 0 offset:196
	buffer_load_dword v39, off, s[0:3], 0 offset:316
	buffer_load_dword v38, off, s[0:3], 0 offset:312
	buffer_load_dword v41, off, s[0:3], 0 offset:308
	buffer_load_dword v40, off, s[0:3], 0 offset:304
	buffer_load_dword v43, off, s[0:3], 0 offset:348
	buffer_load_dword v42, off, s[0:3], 0 offset:344
	buffer_load_dword v45, off, s[0:3], 0 offset:340
	buffer_load_dword v44, off, s[0:3], 0 offset:336
	buffer_load_dword v47, off, s[0:3], 0 offset:332
	buffer_load_dword v46, off, s[0:3], 0 offset:328
	buffer_load_dword v49, off, s[0:3], 0 offset:324
	buffer_load_dword v48, off, s[0:3], 0 offset:320
	buffer_load_dword v51, off, s[0:3], 0 offset:364
	buffer_load_dword v50, off, s[0:3], 0 offset:360
	buffer_load_dword v53, off, s[0:3], 0 offset:356
	buffer_load_dword v52, off, s[0:3], 0 offset:352
	v_mov_b32_e32 v2, 0
	ds_read2_b64 v[4:7], v2 offset0:71 offset1:72
	ds_read2_b64 v[8:11], v2 offset0:73 offset1:74
	;; [unrolled: 1-line block ×8, first 2 shown]
	v_cmp_lt_u32_e32 vcc, 23, v0
	s_waitcnt vmcnt(43) lgkmcnt(7)
	v_mul_f32_e32 v59, v4, v3
	v_mul_f32_e32 v3, v5, v3
	s_waitcnt vmcnt(42)
	v_mul_f32_e32 v174, v6, v54
	s_waitcnt vmcnt(41) lgkmcnt(6)
	v_mul_f32_e32 v175, v8, v56
	s_waitcnt vmcnt(40)
	v_mul_f32_e32 v176, v10, v58
	s_waitcnt vmcnt(39) lgkmcnt(5)
	;; [unrolled: 4-line block ×5, first 2 shown]
	v_mul_f32_e32 v183, v24, v66
	s_waitcnt vmcnt(32)
	v_mul_f32_e32 v55, v26, v67
	s_waitcnt vmcnt(30)
	v_fma_f32 v3, v4, v69, -v3
	v_mul_f32_e32 v4, v7, v54
	v_add_f32_e32 v3, 0, v3
	s_waitcnt vmcnt(29)
	v_fma_f32 v4, v6, v70, -v4
	v_add_f32_e32 v3, v3, v4
	v_mul_f32_e32 v4, v9, v56
	s_waitcnt vmcnt(28)
	v_fma_f32 v4, v8, v71, -v4
	v_add_f32_e32 v3, v3, v4
	v_mul_f32_e32 v4, v11, v58
	;; [unrolled: 4-line block ×4, first 2 shown]
	s_waitcnt vmcnt(25)
	v_fma_f32 v4, v14, v74, -v4
	v_fmac_f32_e32 v59, v5, v69
	v_add_f32_e32 v3, v3, v4
	v_mul_f32_e32 v4, v17, v62
	v_fmac_f32_e32 v174, v7, v70
	v_add_f32_e32 v5, 0, v59
	s_waitcnt vmcnt(24)
	v_fma_f32 v4, v16, v75, -v4
	v_fmac_f32_e32 v175, v9, v71
	v_add_f32_e32 v5, v5, v174
	v_add_f32_e32 v3, v3, v4
	v_mul_f32_e32 v4, v19, v63
	v_fmac_f32_e32 v176, v11, v72
	v_add_f32_e32 v5, v5, v175
	s_waitcnt vmcnt(23)
	v_fma_f32 v4, v18, v168, -v4
	v_fmac_f32_e32 v177, v13, v73
	v_add_f32_e32 v5, v5, v176
	;; [unrolled: 8-line block ×4, first 2 shown]
	v_add_f32_e32 v3, v3, v4
	v_mul_f32_e32 v4, v25, v66
	v_fmac_f32_e32 v182, v23, v170
	v_add_f32_e32 v5, v5, v181
	s_waitcnt vmcnt(20)
	v_fma_f32 v4, v24, v171, -v4
	s_waitcnt vmcnt(13)
	v_mov_b32_e32 v16, v41
	v_fmac_f32_e32 v183, v25, v171
	v_add_f32_e32 v5, v5, v182
	v_add_f32_e32 v58, v3, v4
	v_mul_f32_e32 v3, v27, v67
	s_waitcnt lgkmcnt(1)
	v_pk_mul_f32 v[16:17], v[30:31], v[16:17] op_sel_hi:[1,0]
	v_mul_f32_e32 v57, v28, v68
	v_fmac_f32_e32 v55, v27, v172
	v_add_f32_e32 v59, v5, v183
	v_fma_f32 v54, v26, v172, -v3
	v_mul_f32_e32 v3, v29, v68
	s_waitcnt vmcnt(12)
	v_pk_fma_f32 v[18:19], v[30:31], v[40:41], v[16:17] op_sel:[0,0,1] op_sel_hi:[1,1,0] neg_lo:[0,0,1] neg_hi:[0,0,1]
	v_pk_fma_f32 v[16:17], v[30:31], v[40:41], v[16:17] op_sel:[0,0,1] op_sel_hi:[1,0,0]
	v_fmac_f32_e32 v57, v29, v173
	v_fma_f32 v56, v28, v173, -v3
	v_pk_add_f32 v[14:15], v[58:59], v[54:55]
	v_mov_b32_e32 v16, v39
	v_pk_add_f32 v[14:15], v[14:15], v[56:57]
	v_mov_b32_e32 v19, v17
	s_waitcnt lgkmcnt(0)
	v_pk_mul_f32 v[16:17], v[32:33], v[16:17] op_sel_hi:[1,0]
	v_pk_add_f32 v[14:15], v[14:15], v[18:19]
	v_pk_fma_f32 v[18:19], v[32:33], v[38:39], v[16:17] op_sel:[0,0,1] op_sel_hi:[1,1,0] neg_lo:[0,0,1] neg_hi:[0,0,1]
	v_pk_fma_f32 v[16:17], v[32:33], v[38:39], v[16:17] op_sel:[0,0,1] op_sel_hi:[1,0,0]
	s_waitcnt vmcnt(5)
	v_mov_b32_e32 v16, v49
	ds_read2_b64 v[4:7], v2 offset0:87 offset1:88
	ds_read2_b64 v[8:11], v2 offset0:89 offset1:90
	ds_read_b64 v[12:13], v2 offset:728
	v_mov_b32_e32 v19, v17
	v_pk_mul_f32 v[16:17], v[34:35], v[16:17] op_sel_hi:[1,0]
	v_pk_add_f32 v[14:15], v[14:15], v[18:19]
	s_waitcnt vmcnt(4)
	v_pk_fma_f32 v[18:19], v[34:35], v[48:49], v[16:17] op_sel:[0,0,1] op_sel_hi:[1,1,0] neg_lo:[0,0,1] neg_hi:[0,0,1]
	v_pk_fma_f32 v[16:17], v[34:35], v[48:49], v[16:17] op_sel:[0,0,1] op_sel_hi:[1,0,0]
	v_mov_b32_e32 v16, v47
	v_mov_b32_e32 v19, v17
	s_waitcnt lgkmcnt(2)
	v_pk_mul_f32 v[16:17], v[4:5], v[16:17] op_sel_hi:[1,0]
	v_pk_add_f32 v[14:15], v[14:15], v[18:19]
	v_pk_fma_f32 v[18:19], v[4:5], v[46:47], v[16:17] op_sel:[0,0,1] op_sel_hi:[1,1,0] neg_lo:[0,0,1] neg_hi:[0,0,1]
	v_pk_fma_f32 v[4:5], v[4:5], v[46:47], v[16:17] op_sel:[0,0,1] op_sel_hi:[1,0,0]
	v_mov_b32_e32 v19, v5
	v_pk_add_f32 v[4:5], v[14:15], v[18:19]
	v_mov_b32_e32 v14, v45
	v_pk_mul_f32 v[14:15], v[6:7], v[14:15] op_sel_hi:[1,0]
	v_pk_fma_f32 v[16:17], v[6:7], v[44:45], v[14:15] op_sel:[0,0,1] op_sel_hi:[1,1,0] neg_lo:[0,0,1] neg_hi:[0,0,1]
	v_pk_fma_f32 v[6:7], v[6:7], v[44:45], v[14:15] op_sel:[0,0,1] op_sel_hi:[1,0,0]
	v_mov_b32_e32 v6, v43
	v_mov_b32_e32 v17, v7
	s_waitcnt lgkmcnt(1)
	v_pk_mul_f32 v[6:7], v[8:9], v[6:7] op_sel_hi:[1,0]
	v_pk_fma_f32 v[14:15], v[8:9], v[42:43], v[6:7] op_sel:[0,0,1] op_sel_hi:[1,1,0] neg_lo:[0,0,1] neg_hi:[0,0,1]
	v_pk_fma_f32 v[6:7], v[8:9], v[42:43], v[6:7] op_sel:[0,0,1] op_sel_hi:[1,0,0]
	s_waitcnt vmcnt(1)
	v_mov_b32_e32 v6, v53
	v_mov_b32_e32 v15, v7
	v_pk_mul_f32 v[6:7], v[10:11], v[6:7] op_sel_hi:[1,0]
	s_waitcnt vmcnt(0)
	v_pk_fma_f32 v[8:9], v[10:11], v[52:53], v[6:7] op_sel:[0,0,1] op_sel_hi:[1,1,0] neg_lo:[0,0,1] neg_hi:[0,0,1]
	v_pk_fma_f32 v[6:7], v[10:11], v[52:53], v[6:7] op_sel:[0,0,1] op_sel_hi:[1,0,0]
	v_pk_add_f32 v[4:5], v[4:5], v[16:17]
	v_mov_b32_e32 v6, v51
	v_pk_add_f32 v[4:5], v[4:5], v[14:15]
	v_mov_b32_e32 v9, v7
	s_waitcnt lgkmcnt(0)
	v_pk_mul_f32 v[6:7], v[12:13], v[6:7] op_sel_hi:[1,0]
	v_pk_add_f32 v[4:5], v[4:5], v[8:9]
	v_pk_fma_f32 v[8:9], v[12:13], v[50:51], v[6:7] op_sel:[0,0,1] op_sel_hi:[1,1,0] neg_lo:[0,0,1] neg_hi:[0,0,1]
	v_pk_fma_f32 v[6:7], v[12:13], v[50:51], v[6:7] op_sel:[0,0,1] op_sel_hi:[1,0,0]
	v_mov_b32_e32 v9, v7
	v_pk_add_f32 v[4:5], v[4:5], v[8:9]
	v_pk_add_f32 v[4:5], v[36:37], v[4:5] neg_lo:[0,1] neg_hi:[0,1]
	buffer_store_dword v5, off, s[0:3], 0 offset:196
	buffer_store_dword v4, off, s[0:3], 0 offset:192
	s_and_saveexec_b64 s[4:5], vcc
	s_cbranch_execz .LBB45_243
; %bb.242:
	buffer_load_dword v4, off, s[0:3], 0 offset:184
	buffer_load_dword v5, off, s[0:3], 0 offset:188
	s_waitcnt vmcnt(0)
	ds_write_b64 v80, v[4:5]
	buffer_store_dword v2, off, s[0:3], 0 offset:184
	buffer_store_dword v2, off, s[0:3], 0 offset:188
.LBB45_243:
	s_or_b64 exec, exec, s[4:5]
	s_waitcnt lgkmcnt(0)
	; wave barrier
	s_waitcnt lgkmcnt(0)
	buffer_load_dword v3, off, s[0:3], 0 offset:196
	buffer_load_dword v54, off, s[0:3], 0 offset:204
	;; [unrolled: 1-line block ×30, first 2 shown]
	ds_read_b128 v[4:7], v2 offset:560
	ds_read_b128 v[8:11], v2 offset:576
	;; [unrolled: 1-line block ×6, first 2 shown]
	buffer_load_dword v39, off, s[0:3], 0 offset:308
	buffer_load_dword v38, off, s[0:3], 0 offset:304
	ds_read_b128 v[28:31], v2 offset:656
	ds_read_b128 v[32:35], v2 offset:672
	buffer_load_dword v41, off, s[0:3], 0 offset:340
	buffer_load_dword v40, off, s[0:3], 0 offset:336
	;; [unrolled: 1-line block ×14, first 2 shown]
	v_cmp_lt_u32_e32 vcc, 22, v0
	s_waitcnt vmcnt(45) lgkmcnt(7)
	v_mul_f32_e32 v57, v4, v3
	v_mul_f32_e32 v3, v5, v3
	s_waitcnt vmcnt(44)
	v_mul_f32_e32 v59, v6, v54
	s_waitcnt vmcnt(43) lgkmcnt(6)
	v_mul_f32_e32 v176, v8, v56
	s_waitcnt vmcnt(42)
	v_mul_f32_e32 v177, v10, v58
	s_waitcnt vmcnt(41) lgkmcnt(5)
	;; [unrolled: 4-line block ×5, first 2 shown]
	v_mul_f32_e32 v184, v24, v66
	s_waitcnt vmcnt(34)
	v_mul_f32_e32 v185, v26, v67
	s_waitcnt vmcnt(32)
	v_fma_f32 v3, v4, v69, -v3
	v_mul_f32_e32 v4, v7, v54
	v_add_f32_e32 v3, 0, v3
	s_waitcnt vmcnt(31)
	v_fma_f32 v4, v6, v70, -v4
	v_add_f32_e32 v3, v3, v4
	v_mul_f32_e32 v4, v9, v56
	s_waitcnt vmcnt(30)
	v_fma_f32 v4, v8, v71, -v4
	v_add_f32_e32 v3, v3, v4
	v_mul_f32_e32 v4, v11, v58
	;; [unrolled: 4-line block ×5, first 2 shown]
	v_fmac_f32_e32 v57, v5, v69
	s_waitcnt vmcnt(26)
	v_fma_f32 v4, v16, v75, -v4
	v_fmac_f32_e32 v59, v7, v70
	v_add_f32_e32 v57, 0, v57
	v_add_f32_e32 v3, v3, v4
	v_mul_f32_e32 v4, v19, v63
	v_fmac_f32_e32 v176, v9, v71
	v_add_f32_e32 v57, v57, v59
	s_waitcnt vmcnt(25)
	v_fma_f32 v4, v18, v168, -v4
	v_fmac_f32_e32 v177, v11, v72
	v_add_f32_e32 v57, v57, v176
	v_add_f32_e32 v3, v3, v4
	v_mul_f32_e32 v4, v21, v64
	v_fmac_f32_e32 v178, v13, v73
	v_add_f32_e32 v57, v57, v177
	;; [unrolled: 8-line block ×5, first 2 shown]
	s_waitcnt vmcnt(21)
	v_fma_f32 v4, v26, v172, -v4
	s_waitcnt vmcnt(15)
	v_mov_b32_e32 v16, v39
	s_waitcnt lgkmcnt(1)
	v_mul_f32_e32 v55, v28, v68
	v_fmac_f32_e32 v185, v27, v172
	v_add_f32_e32 v57, v57, v184
	v_add_f32_e32 v56, v3, v4
	v_mul_f32_e32 v3, v29, v68
	s_waitcnt lgkmcnt(0)
	v_pk_mul_f32 v[16:17], v[32:33], v[16:17] op_sel_hi:[1,0]
	v_fmac_f32_e32 v55, v29, v173
	v_add_f32_e32 v57, v57, v185
	v_mul_f32_e32 v59, v30, v174
	v_fma_f32 v54, v28, v173, -v3
	v_mul_f32_e32 v3, v31, v174
	s_waitcnt vmcnt(14)
	v_pk_fma_f32 v[18:19], v[32:33], v[38:39], v[16:17] op_sel:[0,0,1] op_sel_hi:[1,1,0] neg_lo:[0,0,1] neg_hi:[0,0,1]
	v_pk_fma_f32 v[16:17], v[32:33], v[38:39], v[16:17] op_sel:[0,0,1] op_sel_hi:[1,0,0]
	v_fmac_f32_e32 v59, v31, v175
	v_fma_f32 v58, v30, v175, -v3
	ds_read_b128 v[4:7], v2 offset:688
	ds_read_b128 v[8:11], v2 offset:704
	;; [unrolled: 1-line block ×3, first 2 shown]
	v_pk_add_f32 v[2:3], v[56:57], v[54:55]
	s_waitcnt vmcnt(7)
	v_mov_b32_e32 v16, v47
	v_pk_add_f32 v[2:3], v[2:3], v[58:59]
	v_mov_b32_e32 v19, v17
	v_pk_mul_f32 v[16:17], v[34:35], v[16:17] op_sel_hi:[1,0]
	v_pk_add_f32 v[2:3], v[2:3], v[18:19]
	s_waitcnt vmcnt(6)
	v_pk_fma_f32 v[18:19], v[34:35], v[46:47], v[16:17] op_sel:[0,0,1] op_sel_hi:[1,1,0] neg_lo:[0,0,1] neg_hi:[0,0,1]
	v_pk_fma_f32 v[16:17], v[34:35], v[46:47], v[16:17] op_sel:[0,0,1] op_sel_hi:[1,0,0]
	v_mov_b32_e32 v16, v45
	v_mov_b32_e32 v19, v17
	s_waitcnt lgkmcnt(2)
	v_pk_mul_f32 v[16:17], v[4:5], v[16:17] op_sel_hi:[1,0]
	v_pk_add_f32 v[2:3], v[2:3], v[18:19]
	v_pk_fma_f32 v[18:19], v[4:5], v[44:45], v[16:17] op_sel:[0,0,1] op_sel_hi:[1,1,0] neg_lo:[0,0,1] neg_hi:[0,0,1]
	v_pk_fma_f32 v[4:5], v[4:5], v[44:45], v[16:17] op_sel:[0,0,1] op_sel_hi:[1,0,0]
	v_mov_b32_e32 v4, v43
	v_mov_b32_e32 v19, v5
	v_pk_mul_f32 v[4:5], v[6:7], v[4:5] op_sel_hi:[1,0]
	v_pk_fma_f32 v[16:17], v[6:7], v[42:43], v[4:5] op_sel:[0,0,1] op_sel_hi:[1,1,0] neg_lo:[0,0,1] neg_hi:[0,0,1]
	v_pk_fma_f32 v[4:5], v[6:7], v[42:43], v[4:5] op_sel:[0,0,1] op_sel_hi:[1,0,0]
	v_mov_b32_e32 v4, v41
	v_mov_b32_e32 v17, v5
	s_waitcnt lgkmcnt(1)
	v_pk_mul_f32 v[4:5], v[8:9], v[4:5] op_sel_hi:[1,0]
	v_pk_fma_f32 v[6:7], v[8:9], v[40:41], v[4:5] op_sel:[0,0,1] op_sel_hi:[1,1,0] neg_lo:[0,0,1] neg_hi:[0,0,1]
	v_pk_fma_f32 v[4:5], v[8:9], v[40:41], v[4:5] op_sel:[0,0,1] op_sel_hi:[1,0,0]
	v_pk_add_f32 v[2:3], v[2:3], v[18:19]
	s_waitcnt vmcnt(1)
	v_mov_b32_e32 v4, v53
	v_pk_add_f32 v[2:3], v[2:3], v[16:17]
	v_mov_b32_e32 v7, v5
	v_pk_mul_f32 v[4:5], v[10:11], v[4:5] op_sel_hi:[1,0]
	v_pk_add_f32 v[2:3], v[2:3], v[6:7]
	s_waitcnt vmcnt(0)
	v_pk_fma_f32 v[6:7], v[10:11], v[52:53], v[4:5] op_sel:[0,0,1] op_sel_hi:[1,1,0] neg_lo:[0,0,1] neg_hi:[0,0,1]
	v_pk_fma_f32 v[4:5], v[10:11], v[52:53], v[4:5] op_sel:[0,0,1] op_sel_hi:[1,0,0]
	v_mov_b32_e32 v4, v51
	v_mov_b32_e32 v7, v5
	s_waitcnt lgkmcnt(0)
	v_pk_mul_f32 v[4:5], v[12:13], v[4:5] op_sel_hi:[1,0]
	v_pk_add_f32 v[2:3], v[2:3], v[6:7]
	v_pk_fma_f32 v[6:7], v[12:13], v[50:51], v[4:5] op_sel:[0,0,1] op_sel_hi:[1,1,0] neg_lo:[0,0,1] neg_hi:[0,0,1]
	v_pk_fma_f32 v[4:5], v[12:13], v[50:51], v[4:5] op_sel:[0,0,1] op_sel_hi:[1,0,0]
	v_mov_b32_e32 v4, v49
	v_mov_b32_e32 v7, v5
	v_pk_mul_f32 v[4:5], v[14:15], v[4:5] op_sel_hi:[1,0]
	v_pk_add_f32 v[2:3], v[2:3], v[6:7]
	v_pk_fma_f32 v[6:7], v[14:15], v[48:49], v[4:5] op_sel:[0,0,1] op_sel_hi:[1,1,0] neg_lo:[0,0,1] neg_hi:[0,0,1]
	v_pk_fma_f32 v[4:5], v[14:15], v[48:49], v[4:5] op_sel:[0,0,1] op_sel_hi:[1,0,0]
	v_mov_b32_e32 v7, v5
	v_pk_add_f32 v[2:3], v[2:3], v[6:7]
	v_pk_add_f32 v[2:3], v[36:37], v[2:3] neg_lo:[0,1] neg_hi:[0,1]
	buffer_store_dword v3, off, s[0:3], 0 offset:188
	buffer_store_dword v2, off, s[0:3], 0 offset:184
	s_and_saveexec_b64 s[4:5], vcc
	s_cbranch_execz .LBB45_245
; %bb.244:
	buffer_load_dword v2, off, s[0:3], 0 offset:176
	buffer_load_dword v3, off, s[0:3], 0 offset:180
	v_mov_b32_e32 v4, 0
	buffer_store_dword v4, off, s[0:3], 0 offset:176
	buffer_store_dword v4, off, s[0:3], 0 offset:180
	s_waitcnt vmcnt(2)
	ds_write_b64 v80, v[2:3]
.LBB45_245:
	s_or_b64 exec, exec, s[4:5]
	s_waitcnt lgkmcnt(0)
	; wave barrier
	s_waitcnt lgkmcnt(0)
	buffer_load_dword v3, off, s[0:3], 0 offset:188
	buffer_load_dword v52, off, s[0:3], 0 offset:196
	;; [unrolled: 1-line block ×32, first 2 shown]
	v_mov_b32_e32 v2, 0
	buffer_load_dword v39, off, s[0:3], 0 offset:332
	buffer_load_dword v38, off, s[0:3], 0 offset:328
	;; [unrolled: 1-line block ×13, first 2 shown]
	ds_read2_b64 v[4:7], v2 offset0:69 offset1:70
	ds_read2_b64 v[8:11], v2 offset0:71 offset1:72
	;; [unrolled: 1-line block ×8, first 2 shown]
	v_cmp_lt_u32_e32 vcc, 21, v0
	s_waitcnt vmcnt(44) lgkmcnt(7)
	v_mul_f32_e32 v46, v4, v3
	s_waitcnt vmcnt(43)
	v_mul_f32_e32 v53, v6, v52
	s_waitcnt vmcnt(42) lgkmcnt(6)
	v_mul_f32_e32 v54, v8, v56
	s_waitcnt vmcnt(41)
	v_mul_f32_e32 v55, v10, v58
	;; [unrolled: 4-line block ×6, first 2 shown]
	s_waitcnt vmcnt(32) lgkmcnt(1)
	v_mul_f32_e32 v184, v28, v68
	s_waitcnt vmcnt(31)
	v_fmac_f32_e32 v46, v5, v69
	s_waitcnt vmcnt(30)
	v_fmac_f32_e32 v53, v7, v70
	v_add_f32_e32 v46, 0, v46
	s_waitcnt vmcnt(29)
	v_fmac_f32_e32 v54, v9, v71
	v_add_f32_e32 v46, v46, v53
	;; [unrolled: 3-line block ×12, first 2 shown]
	v_add_f32_e32 v53, v46, v184
	buffer_load_dword v55, off, s[0:3], 0 offset:348
	buffer_load_dword v54, off, s[0:3], 0 offset:344
	;; [unrolled: 1-line block ×3, first 2 shown]
	v_mul_f32_e32 v3, v5, v3
	v_fma_f32 v3, v4, v69, -v3
	v_mul_f32_e32 v4, v7, v52
	v_add_f32_e32 v3, 0, v3
	v_fma_f32 v4, v6, v70, -v4
	v_add_f32_e32 v3, v3, v4
	v_mul_f32_e32 v4, v9, v56
	v_fma_f32 v4, v8, v71, -v4
	v_add_f32_e32 v3, v3, v4
	v_mul_f32_e32 v4, v11, v58
	;; [unrolled: 3-line block ×11, first 2 shown]
	v_fma_f32 v4, v28, v173, -v4
	s_waitcnt vmcnt(9)
	v_mov_b32_e32 v20, v45
	v_mul_f32_e32 v57, v30, v174
	v_add_f32_e32 v52, v3, v4
	v_mul_f32_e32 v3, v31, v174
	s_waitcnt lgkmcnt(0)
	v_pk_mul_f32 v[20:21], v[34:35], v[20:21] op_sel_hi:[1,0]
	v_fmac_f32_e32 v57, v31, v175
	v_mul_f32_e32 v59, v32, v176
	v_fma_f32 v56, v30, v175, -v3
	v_mul_f32_e32 v3, v33, v176
	ds_read2_b64 v[4:7], v2 offset0:85 offset1:86
	ds_read2_b64 v[8:11], v2 offset0:87 offset1:88
	;; [unrolled: 1-line block ×3, first 2 shown]
	ds_read_b64 v[16:17], v2 offset:728
	s_waitcnt vmcnt(8)
	v_pk_fma_f32 v[22:23], v[34:35], v[44:45], v[20:21] op_sel:[0,0,1] op_sel_hi:[1,1,0] neg_lo:[0,0,1] neg_hi:[0,0,1]
	v_pk_fma_f32 v[20:21], v[34:35], v[44:45], v[20:21] op_sel:[0,0,1] op_sel_hi:[1,0,0]
	v_fmac_f32_e32 v59, v33, v177
	v_fma_f32 v58, v32, v177, -v3
	v_pk_add_f32 v[18:19], v[52:53], v[56:57]
	v_mov_b32_e32 v20, v43
	v_pk_add_f32 v[18:19], v[18:19], v[58:59]
	v_mov_b32_e32 v23, v21
	s_waitcnt lgkmcnt(3)
	v_pk_mul_f32 v[20:21], v[4:5], v[20:21] op_sel_hi:[1,0]
	v_pk_add_f32 v[18:19], v[18:19], v[22:23]
	v_pk_fma_f32 v[22:23], v[4:5], v[42:43], v[20:21] op_sel:[0,0,1] op_sel_hi:[1,1,0] neg_lo:[0,0,1] neg_hi:[0,0,1]
	v_pk_fma_f32 v[4:5], v[4:5], v[42:43], v[20:21] op_sel:[0,0,1] op_sel_hi:[1,0,0]
	v_mov_b32_e32 v23, v5
	v_pk_add_f32 v[4:5], v[18:19], v[22:23]
	v_mov_b32_e32 v18, v41
	v_pk_mul_f32 v[18:19], v[6:7], v[18:19] op_sel_hi:[1,0]
	v_pk_fma_f32 v[20:21], v[6:7], v[40:41], v[18:19] op_sel:[0,0,1] op_sel_hi:[1,1,0] neg_lo:[0,0,1] neg_hi:[0,0,1]
	v_pk_fma_f32 v[6:7], v[6:7], v[40:41], v[18:19] op_sel:[0,0,1] op_sel_hi:[1,0,0]
	v_mov_b32_e32 v6, v39
	v_mov_b32_e32 v21, v7
	s_waitcnt lgkmcnt(2)
	v_pk_mul_f32 v[6:7], v[8:9], v[6:7] op_sel_hi:[1,0]
	v_pk_fma_f32 v[18:19], v[8:9], v[38:39], v[6:7] op_sel:[0,0,1] op_sel_hi:[1,1,0] neg_lo:[0,0,1] neg_hi:[0,0,1]
	v_pk_fma_f32 v[6:7], v[8:9], v[38:39], v[6:7] op_sel:[0,0,1] op_sel_hi:[1,0,0]
	s_waitcnt vmcnt(7)
	v_mov_b32_e32 v6, v47
	v_mov_b32_e32 v19, v7
	v_pk_mul_f32 v[6:7], v[10:11], v[6:7] op_sel_hi:[1,0]
	v_pk_add_f32 v[4:5], v[4:5], v[20:21]
	v_pk_add_f32 v[4:5], v[4:5], v[18:19]
	s_waitcnt vmcnt(0)
	v_pk_fma_f32 v[8:9], v[10:11], v[46:47], v[6:7] op_sel:[0,0,1] op_sel_hi:[1,1,0] neg_lo:[0,0,1] neg_hi:[0,0,1]
	v_pk_fma_f32 v[6:7], v[10:11], v[46:47], v[6:7] op_sel:[0,0,1] op_sel_hi:[1,0,0]
	v_mov_b32_e32 v6, v55
	v_mov_b32_e32 v9, v7
	s_waitcnt lgkmcnt(1)
	v_pk_mul_f32 v[6:7], v[12:13], v[6:7] op_sel_hi:[1,0]
	v_pk_add_f32 v[4:5], v[4:5], v[8:9]
	v_pk_fma_f32 v[8:9], v[12:13], v[54:55], v[6:7] op_sel:[0,0,1] op_sel_hi:[1,1,0] neg_lo:[0,0,1] neg_hi:[0,0,1]
	v_pk_fma_f32 v[6:7], v[12:13], v[54:55], v[6:7] op_sel:[0,0,1] op_sel_hi:[1,0,0]
	v_mov_b32_e32 v6, v51
	v_mov_b32_e32 v9, v7
	v_pk_mul_f32 v[6:7], v[14:15], v[6:7] op_sel_hi:[1,0]
	v_pk_add_f32 v[4:5], v[4:5], v[8:9]
	v_pk_fma_f32 v[8:9], v[14:15], v[50:51], v[6:7] op_sel:[0,0,1] op_sel_hi:[1,1,0] neg_lo:[0,0,1] neg_hi:[0,0,1]
	v_pk_fma_f32 v[6:7], v[14:15], v[50:51], v[6:7] op_sel:[0,0,1] op_sel_hi:[1,0,0]
	v_mov_b32_e32 v6, v49
	v_mov_b32_e32 v9, v7
	s_waitcnt lgkmcnt(0)
	v_pk_mul_f32 v[6:7], v[16:17], v[6:7] op_sel_hi:[1,0]
	v_pk_add_f32 v[4:5], v[4:5], v[8:9]
	v_pk_fma_f32 v[8:9], v[16:17], v[48:49], v[6:7] op_sel:[0,0,1] op_sel_hi:[1,1,0] neg_lo:[0,0,1] neg_hi:[0,0,1]
	v_pk_fma_f32 v[6:7], v[16:17], v[48:49], v[6:7] op_sel:[0,0,1] op_sel_hi:[1,0,0]
	v_mov_b32_e32 v9, v7
	v_pk_add_f32 v[4:5], v[4:5], v[8:9]
	v_pk_add_f32 v[4:5], v[36:37], v[4:5] neg_lo:[0,1] neg_hi:[0,1]
	buffer_store_dword v5, off, s[0:3], 0 offset:180
	buffer_store_dword v4, off, s[0:3], 0 offset:176
	s_and_saveexec_b64 s[4:5], vcc
	s_cbranch_execz .LBB45_247
; %bb.246:
	buffer_load_dword v4, off, s[0:3], 0 offset:168
	buffer_load_dword v5, off, s[0:3], 0 offset:172
	s_waitcnt vmcnt(0)
	ds_write_b64 v80, v[4:5]
	buffer_store_dword v2, off, s[0:3], 0 offset:168
	buffer_store_dword v2, off, s[0:3], 0 offset:172
.LBB45_247:
	s_or_b64 exec, exec, s[4:5]
	s_waitcnt lgkmcnt(0)
	; wave barrier
	s_waitcnt lgkmcnt(0)
	buffer_load_dword v3, off, s[0:3], 0 offset:180
	buffer_load_dword v52, off, s[0:3], 0 offset:188
	buffer_load_dword v54, off, s[0:3], 0 offset:196
	buffer_load_dword v56, off, s[0:3], 0 offset:204
	buffer_load_dword v60, off, s[0:3], 0 offset:212
	buffer_load_dword v61, off, s[0:3], 0 offset:220
	buffer_load_dword v62, off, s[0:3], 0 offset:228
	buffer_load_dword v63, off, s[0:3], 0 offset:236
	buffer_load_dword v64, off, s[0:3], 0 offset:244
	buffer_load_dword v65, off, s[0:3], 0 offset:252
	buffer_load_dword v66, off, s[0:3], 0 offset:260
	buffer_load_dword v67, off, s[0:3], 0 offset:268
	buffer_load_dword v68, off, s[0:3], 0 offset:276
	buffer_load_dword v69, off, s[0:3], 0 offset:284
	buffer_load_dword v70, off, s[0:3], 0 offset:176
	buffer_load_dword v71, off, s[0:3], 0 offset:184
	buffer_load_dword v72, off, s[0:3], 0 offset:192
	buffer_load_dword v73, off, s[0:3], 0 offset:200
	buffer_load_dword v74, off, s[0:3], 0 offset:208
	buffer_load_dword v75, off, s[0:3], 0 offset:216
	buffer_load_dword v168, off, s[0:3], 0 offset:224
	buffer_load_dword v169, off, s[0:3], 0 offset:232
	buffer_load_dword v170, off, s[0:3], 0 offset:240
	buffer_load_dword v171, off, s[0:3], 0 offset:248
	buffer_load_dword v172, off, s[0:3], 0 offset:256
	buffer_load_dword v173, off, s[0:3], 0 offset:264
	buffer_load_dword v174, off, s[0:3], 0 offset:272
	buffer_load_dword v175, off, s[0:3], 0 offset:280
	buffer_load_dword v176, off, s[0:3], 0 offset:292
	buffer_load_dword v177, off, s[0:3], 0 offset:288
	buffer_load_dword v178, off, s[0:3], 0 offset:300
	buffer_load_dword v179, off, s[0:3], 0 offset:296
	buffer_load_dword v36, off, s[0:3], 0 offset:168
	buffer_load_dword v37, off, s[0:3], 0 offset:172
	ds_read_b128 v[4:7], v2 offset:544
	ds_read_b128 v[8:11], v2 offset:560
	;; [unrolled: 1-line block ×8, first 2 shown]
	buffer_load_dword v39, off, s[0:3], 0 offset:324
	buffer_load_dword v38, off, s[0:3], 0 offset:320
	;; [unrolled: 1-line block ×9, first 2 shown]
	v_cmp_lt_u32_e32 vcc, 20, v0
	s_waitcnt vmcnt(42) lgkmcnt(7)
	v_mul_f32_e32 v44, v4, v3
	s_waitcnt vmcnt(41)
	v_mul_f32_e32 v48, v6, v52
	s_waitcnt vmcnt(40) lgkmcnt(6)
	v_mul_f32_e32 v49, v8, v54
	s_waitcnt vmcnt(39)
	v_mul_f32_e32 v50, v10, v56
	;; [unrolled: 4-line block ×6, first 2 shown]
	s_waitcnt vmcnt(30) lgkmcnt(1)
	v_mul_f32_e32 v182, v28, v68
	v_mul_f32_e32 v3, v5, v3
	s_waitcnt vmcnt(28)
	v_fmac_f32_e32 v44, v5, v70
	s_waitcnt vmcnt(27)
	v_fmac_f32_e32 v48, v7, v71
	v_add_f32_e32 v44, 0, v44
	s_waitcnt vmcnt(26)
	v_fmac_f32_e32 v49, v9, v72
	v_add_f32_e32 v44, v44, v48
	;; [unrolled: 3-line block ×12, first 2 shown]
	v_add_f32_e32 v53, v44, v182
	buffer_load_dword v49, off, s[0:3], 0 offset:348
	buffer_load_dword v48, off, s[0:3], 0 offset:344
	;; [unrolled: 1-line block ×7, first 2 shown]
	v_fma_f32 v3, v4, v70, -v3
	v_mul_f32_e32 v4, v7, v52
	v_add_f32_e32 v3, 0, v3
	v_fma_f32 v4, v6, v71, -v4
	v_add_f32_e32 v3, v3, v4
	v_mul_f32_e32 v4, v9, v54
	v_fma_f32 v4, v8, v72, -v4
	v_add_f32_e32 v3, v3, v4
	v_mul_f32_e32 v4, v11, v56
	;; [unrolled: 3-line block ×12, first 2 shown]
	s_waitcnt vmcnt(22)
	v_fma_f32 v4, v30, v175, -v4
	v_add_f32_e32 v52, v3, v4
	ds_read_b128 v[4:7], v2 offset:672
	ds_read_b128 v[8:11], v2 offset:688
	;; [unrolled: 1-line block ×4, first 2 shown]
	s_waitcnt vmcnt(11)
	v_mov_b32_e32 v20, v43
	s_waitcnt lgkmcnt(3)
	v_pk_mul_f32 v[20:21], v[4:5], v[20:21] op_sel_hi:[1,0]
	s_waitcnt vmcnt(10)
	v_pk_fma_f32 v[22:23], v[4:5], v[42:43], v[20:21] op_sel:[0,0,1] op_sel_hi:[1,1,0] neg_lo:[0,0,1] neg_hi:[0,0,1]
	v_pk_fma_f32 v[4:5], v[4:5], v[42:43], v[20:21] op_sel:[0,0,1] op_sel_hi:[1,0,0]
	v_mov_b32_e32 v4, v41
	v_mul_f32_e32 v183, v30, v69
	v_mov_b32_e32 v23, v5
	v_pk_mul_f32 v[4:5], v[6:7], v[4:5] op_sel_hi:[1,0]
	v_fmac_f32_e32 v183, v31, v175
	v_mul_f32_e32 v55, v32, v176
	v_mul_f32_e32 v3, v33, v176
	v_pk_fma_f32 v[20:21], v[6:7], v[40:41], v[4:5] op_sel:[0,0,1] op_sel_hi:[1,1,0] neg_lo:[0,0,1] neg_hi:[0,0,1]
	v_pk_fma_f32 v[4:5], v[6:7], v[40:41], v[4:5] op_sel:[0,0,1] op_sel_hi:[1,0,0]
	v_add_f32_e32 v53, v53, v183
	v_fmac_f32_e32 v55, v33, v177
	v_mul_f32_e32 v57, v34, v178
	v_fma_f32 v54, v32, v177, -v3
	v_mul_f32_e32 v3, v35, v178
	v_mov_b32_e32 v4, v39
	v_fmac_f32_e32 v57, v35, v179
	v_fma_f32 v56, v34, v179, -v3
	v_pk_add_f32 v[2:3], v[52:53], v[54:55]
	v_mov_b32_e32 v21, v5
	s_waitcnt lgkmcnt(2)
	v_pk_mul_f32 v[4:5], v[8:9], v[4:5] op_sel_hi:[1,0]
	v_pk_add_f32 v[2:3], v[2:3], v[56:57]
	v_pk_fma_f32 v[6:7], v[8:9], v[38:39], v[4:5] op_sel:[0,0,1] op_sel_hi:[1,1,0] neg_lo:[0,0,1] neg_hi:[0,0,1]
	v_pk_fma_f32 v[4:5], v[8:9], v[38:39], v[4:5] op_sel:[0,0,1] op_sel_hi:[1,0,0]
	v_pk_add_f32 v[2:3], v[2:3], v[22:23]
	s_waitcnt vmcnt(9)
	v_mov_b32_e32 v4, v45
	v_pk_add_f32 v[2:3], v[2:3], v[20:21]
	v_mov_b32_e32 v7, v5
	v_pk_mul_f32 v[4:5], v[10:11], v[4:5] op_sel_hi:[1,0]
	v_pk_add_f32 v[2:3], v[2:3], v[6:7]
	s_waitcnt vmcnt(2)
	v_pk_fma_f32 v[6:7], v[10:11], v[44:45], v[4:5] op_sel:[0,0,1] op_sel_hi:[1,1,0] neg_lo:[0,0,1] neg_hi:[0,0,1]
	v_pk_fma_f32 v[4:5], v[10:11], v[44:45], v[4:5] op_sel:[0,0,1] op_sel_hi:[1,0,0]
	v_mov_b32_e32 v4, v51
	v_mov_b32_e32 v7, v5
	s_waitcnt lgkmcnt(1)
	v_pk_mul_f32 v[4:5], v[12:13], v[4:5] op_sel_hi:[1,0]
	v_pk_add_f32 v[2:3], v[2:3], v[6:7]
	v_pk_fma_f32 v[6:7], v[12:13], v[50:51], v[4:5] op_sel:[0,0,1] op_sel_hi:[1,1,0] neg_lo:[0,0,1] neg_hi:[0,0,1]
	v_pk_fma_f32 v[4:5], v[12:13], v[50:51], v[4:5] op_sel:[0,0,1] op_sel_hi:[1,0,0]
	v_mov_b32_e32 v4, v49
	v_mov_b32_e32 v7, v5
	v_pk_mul_f32 v[4:5], v[14:15], v[4:5] op_sel_hi:[1,0]
	v_pk_add_f32 v[2:3], v[2:3], v[6:7]
	v_pk_fma_f32 v[6:7], v[14:15], v[48:49], v[4:5] op_sel:[0,0,1] op_sel_hi:[1,1,0] neg_lo:[0,0,1] neg_hi:[0,0,1]
	v_pk_fma_f32 v[4:5], v[14:15], v[48:49], v[4:5] op_sel:[0,0,1] op_sel_hi:[1,0,0]
	v_mov_b32_e32 v4, v47
	v_mov_b32_e32 v7, v5
	s_waitcnt lgkmcnt(0)
	v_pk_mul_f32 v[4:5], v[16:17], v[4:5] op_sel_hi:[1,0]
	v_pk_add_f32 v[2:3], v[2:3], v[6:7]
	v_pk_fma_f32 v[6:7], v[16:17], v[46:47], v[4:5] op_sel:[0,0,1] op_sel_hi:[1,1,0] neg_lo:[0,0,1] neg_hi:[0,0,1]
	v_pk_fma_f32 v[4:5], v[16:17], v[46:47], v[4:5] op_sel:[0,0,1] op_sel_hi:[1,0,0]
	s_waitcnt vmcnt(1)
	v_mov_b32_e32 v4, v59
	v_mov_b32_e32 v7, v5
	v_pk_mul_f32 v[4:5], v[18:19], v[4:5] op_sel_hi:[1,0]
	v_pk_add_f32 v[2:3], v[2:3], v[6:7]
	s_waitcnt vmcnt(0)
	v_pk_fma_f32 v[6:7], v[18:19], v[58:59], v[4:5] op_sel:[0,0,1] op_sel_hi:[1,1,0] neg_lo:[0,0,1] neg_hi:[0,0,1]
	v_pk_fma_f32 v[4:5], v[18:19], v[58:59], v[4:5] op_sel:[0,0,1] op_sel_hi:[1,0,0]
	v_mov_b32_e32 v7, v5
	v_pk_add_f32 v[2:3], v[2:3], v[6:7]
	v_pk_add_f32 v[2:3], v[36:37], v[2:3] neg_lo:[0,1] neg_hi:[0,1]
	buffer_store_dword v3, off, s[0:3], 0 offset:172
	buffer_store_dword v2, off, s[0:3], 0 offset:168
	s_and_saveexec_b64 s[4:5], vcc
	s_cbranch_execz .LBB45_249
; %bb.248:
	buffer_load_dword v2, off, s[0:3], 0 offset:160
	buffer_load_dword v3, off, s[0:3], 0 offset:164
	v_mov_b32_e32 v4, 0
	buffer_store_dword v4, off, s[0:3], 0 offset:160
	buffer_store_dword v4, off, s[0:3], 0 offset:164
	s_waitcnt vmcnt(2)
	ds_write_b64 v80, v[2:3]
.LBB45_249:
	s_or_b64 exec, exec, s[4:5]
	s_waitcnt lgkmcnt(0)
	; wave barrier
	s_waitcnt lgkmcnt(0)
	buffer_load_dword v5, off, s[0:3], 0 offset:172
	buffer_load_dword v58, off, s[0:3], 0 offset:180
	;; [unrolled: 1-line block ×36, first 2 shown]
	v_mov_b32_e32 v4, 0
	buffer_load_dword v47, off, s[0:3], 0 offset:316
	buffer_load_dword v46, off, s[0:3], 0 offset:312
	buffer_load_dword v49, off, s[0:3], 0 offset:308
	buffer_load_dword v48, off, s[0:3], 0 offset:304
	buffer_load_dword v51, off, s[0:3], 0 offset:324
	ds_read2_b64 v[6:9], v4 offset0:67 offset1:68
	ds_read2_b64 v[10:13], v4 offset0:69 offset1:70
	;; [unrolled: 1-line block ×8, first 2 shown]
	v_cmp_lt_u32_e32 vcc, 19, v0
	s_waitcnt vmcnt(40) lgkmcnt(7)
	v_mul_f32_e32 v38, v6, v5
	s_waitcnt vmcnt(39)
	v_mul_f32_e32 v39, v8, v58
	s_waitcnt vmcnt(38) lgkmcnt(6)
	v_mul_f32_e32 v40, v10, v60
	s_waitcnt vmcnt(37)
	v_mul_f32_e32 v41, v12, v62
	;; [unrolled: 4-line block ×7, first 2 shown]
	s_waitcnt vmcnt(26) lgkmcnt(0)
	v_mul_f32_e32 v59, v34, v170
	s_waitcnt vmcnt(25)
	v_fmac_f32_e32 v38, v7, v171
	s_waitcnt vmcnt(24)
	v_fmac_f32_e32 v39, v9, v172
	v_add_f32_e32 v38, 0, v38
	s_waitcnt vmcnt(23)
	v_fmac_f32_e32 v40, v11, v173
	v_add_f32_e32 v38, v38, v39
	;; [unrolled: 3-line block ×13, first 2 shown]
	v_add_f32_e32 v42, v38, v56
	buffer_load_dword v53, off, s[0:3], 0 offset:348
	buffer_load_dword v52, off, s[0:3], 0 offset:344
	;; [unrolled: 1-line block ×7, first 2 shown]
	s_waitcnt vmcnt(18)
	v_fmac_f32_e32 v59, v35, v185
	ds_read2_b64 v[38:41], v4 offset0:83 offset1:84
	v_add_f32_e32 v59, v42, v59
	ds_read2_b64 v[42:45], v4 offset0:85 offset1:86
	buffer_load_dword v65, off, s[0:3], 0 offset:364
	buffer_load_dword v64, off, s[0:3], 0 offset:360
	;; [unrolled: 1-line block ×4, first 2 shown]
	v_mul_f32_e32 v5, v7, v5
	v_fma_f32 v5, v6, v171, -v5
	v_mul_f32_e32 v6, v9, v58
	v_add_f32_e32 v5, 0, v5
	v_fma_f32 v6, v8, v172, -v6
	v_add_f32_e32 v5, v5, v6
	v_mul_f32_e32 v6, v11, v60
	v_fma_f32 v6, v10, v173, -v6
	v_add_f32_e32 v5, v5, v6
	v_mul_f32_e32 v6, v13, v62
	;; [unrolled: 3-line block ×13, first 2 shown]
	v_fma_f32 v6, v34, v185, -v6
	s_waitcnt vmcnt(13)
	v_mov_b32_e32 v18, v49
	v_mul_f32_e32 v61, v36, v186
	v_add_f32_e32 v58, v5, v6
	v_mul_f32_e32 v5, v37, v186
	s_waitcnt lgkmcnt(1)
	v_pk_mul_f32 v[18:19], v[40:41], v[18:19] op_sel_hi:[1,0]
	v_fmac_f32_e32 v61, v37, v187
	v_mul_f32_e32 v63, v38, v188
	v_fma_f32 v60, v36, v187, -v5
	v_mul_f32_e32 v5, v39, v188
	s_waitcnt vmcnt(12)
	v_pk_fma_f32 v[20:21], v[40:41], v[48:49], v[18:19] op_sel:[0,0,1] op_sel_hi:[1,1,0] neg_lo:[0,0,1] neg_hi:[0,0,1]
	v_pk_fma_f32 v[18:19], v[40:41], v[48:49], v[18:19] op_sel:[0,0,1] op_sel_hi:[1,0,0]
	v_fmac_f32_e32 v63, v39, v189
	v_fma_f32 v62, v38, v189, -v5
	v_pk_add_f32 v[16:17], v[58:59], v[60:61]
	v_mov_b32_e32 v18, v47
	v_pk_add_f32 v[16:17], v[16:17], v[62:63]
	v_mov_b32_e32 v21, v19
	s_waitcnt lgkmcnt(0)
	v_pk_mul_f32 v[18:19], v[42:43], v[18:19] op_sel_hi:[1,0]
	v_pk_add_f32 v[16:17], v[16:17], v[20:21]
	v_pk_fma_f32 v[20:21], v[42:43], v[46:47], v[18:19] op_sel:[0,0,1] op_sel_hi:[1,1,0] neg_lo:[0,0,1] neg_hi:[0,0,1]
	v_pk_fma_f32 v[18:19], v[42:43], v[46:47], v[18:19] op_sel:[0,0,1] op_sel_hi:[1,0,0]
	s_waitcnt vmcnt(11)
	v_mov_b32_e32 v18, v51
	ds_read2_b64 v[6:9], v4 offset0:87 offset1:88
	ds_read2_b64 v[10:13], v4 offset0:89 offset1:90
	ds_read_b64 v[14:15], v4 offset:728
	v_mov_b32_e32 v21, v19
	v_pk_mul_f32 v[18:19], v[44:45], v[18:19] op_sel_hi:[1,0]
	v_pk_add_f32 v[16:17], v[16:17], v[20:21]
	s_waitcnt vmcnt(4)
	v_pk_fma_f32 v[20:21], v[44:45], v[50:51], v[18:19] op_sel:[0,0,1] op_sel_hi:[1,1,0] neg_lo:[0,0,1] neg_hi:[0,0,1]
	v_pk_fma_f32 v[18:19], v[44:45], v[50:51], v[18:19] op_sel:[0,0,1] op_sel_hi:[1,0,0]
	v_mov_b32_e32 v18, v57
	v_mov_b32_e32 v21, v19
	s_waitcnt lgkmcnt(2)
	v_pk_mul_f32 v[18:19], v[6:7], v[18:19] op_sel_hi:[1,0]
	v_pk_add_f32 v[16:17], v[16:17], v[20:21]
	v_pk_fma_f32 v[20:21], v[6:7], v[56:57], v[18:19] op_sel:[0,0,1] op_sel_hi:[1,1,0] neg_lo:[0,0,1] neg_hi:[0,0,1]
	v_pk_fma_f32 v[6:7], v[6:7], v[56:57], v[18:19] op_sel:[0,0,1] op_sel_hi:[1,0,0]
	v_mov_b32_e32 v21, v7
	v_pk_add_f32 v[6:7], v[16:17], v[20:21]
	v_mov_b32_e32 v16, v55
	v_pk_mul_f32 v[16:17], v[8:9], v[16:17] op_sel_hi:[1,0]
	v_pk_fma_f32 v[18:19], v[8:9], v[54:55], v[16:17] op_sel:[0,0,1] op_sel_hi:[1,1,0] neg_lo:[0,0,1] neg_hi:[0,0,1]
	v_pk_fma_f32 v[8:9], v[8:9], v[54:55], v[16:17] op_sel:[0,0,1] op_sel_hi:[1,0,0]
	v_mov_b32_e32 v8, v53
	v_mov_b32_e32 v19, v9
	s_waitcnt lgkmcnt(1)
	v_pk_mul_f32 v[8:9], v[10:11], v[8:9] op_sel_hi:[1,0]
	v_pk_fma_f32 v[16:17], v[10:11], v[52:53], v[8:9] op_sel:[0,0,1] op_sel_hi:[1,1,0] neg_lo:[0,0,1] neg_hi:[0,0,1]
	v_pk_fma_f32 v[8:9], v[10:11], v[52:53], v[8:9] op_sel:[0,0,1] op_sel_hi:[1,0,0]
	s_waitcnt vmcnt(1)
	v_mov_b32_e32 v8, v67
	v_mov_b32_e32 v17, v9
	v_pk_mul_f32 v[8:9], v[12:13], v[8:9] op_sel_hi:[1,0]
	s_waitcnt vmcnt(0)
	v_pk_fma_f32 v[10:11], v[12:13], v[66:67], v[8:9] op_sel:[0,0,1] op_sel_hi:[1,1,0] neg_lo:[0,0,1] neg_hi:[0,0,1]
	v_pk_fma_f32 v[8:9], v[12:13], v[66:67], v[8:9] op_sel:[0,0,1] op_sel_hi:[1,0,0]
	v_pk_add_f32 v[6:7], v[6:7], v[18:19]
	v_mov_b32_e32 v8, v65
	v_pk_add_f32 v[6:7], v[6:7], v[16:17]
	v_mov_b32_e32 v11, v9
	s_waitcnt lgkmcnt(0)
	v_pk_mul_f32 v[8:9], v[14:15], v[8:9] op_sel_hi:[1,0]
	v_pk_add_f32 v[6:7], v[6:7], v[10:11]
	v_pk_fma_f32 v[10:11], v[14:15], v[64:65], v[8:9] op_sel:[0,0,1] op_sel_hi:[1,1,0] neg_lo:[0,0,1] neg_hi:[0,0,1]
	v_pk_fma_f32 v[8:9], v[14:15], v[64:65], v[8:9] op_sel:[0,0,1] op_sel_hi:[1,0,0]
	v_mov_b32_e32 v11, v9
	v_pk_add_f32 v[6:7], v[6:7], v[10:11]
	v_pk_add_f32 v[2:3], v[2:3], v[6:7] neg_lo:[0,1] neg_hi:[0,1]
	buffer_store_dword v3, off, s[0:3], 0 offset:164
	buffer_store_dword v2, off, s[0:3], 0 offset:160
	s_and_saveexec_b64 s[4:5], vcc
	s_cbranch_execz .LBB45_251
; %bb.250:
	buffer_load_dword v2, off, s[0:3], 0 offset:152
	buffer_load_dword v3, off, s[0:3], 0 offset:156
	s_waitcnt vmcnt(0)
	ds_write_b64 v80, v[2:3]
	buffer_store_dword v4, off, s[0:3], 0 offset:152
	buffer_store_dword v4, off, s[0:3], 0 offset:156
.LBB45_251:
	s_or_b64 exec, exec, s[4:5]
	s_waitcnt lgkmcnt(0)
	; wave barrier
	s_waitcnt lgkmcnt(0)
	buffer_load_dword v2, off, s[0:3], 0 offset:164
	buffer_load_dword v3, off, s[0:3], 0 offset:172
	;; [unrolled: 1-line block ×38, first 2 shown]
	ds_read_b128 v[6:9], v4 offset:528
	ds_read_b128 v[10:13], v4 offset:544
	;; [unrolled: 1-line block ×8, first 2 shown]
	buffer_load_dword v49, off, s[0:3], 0 offset:308
	buffer_load_dword v48, off, s[0:3], 0 offset:304
	;; [unrolled: 1-line block ×4, first 2 shown]
	v_cmp_lt_u32_e32 vcc, 18, v0
	s_waitcnt vmcnt(41) lgkmcnt(7)
	v_mul_f32_e32 v38, v6, v2
	s_waitcnt vmcnt(40)
	v_mul_f32_e32 v39, v8, v3
	s_waitcnt vmcnt(39) lgkmcnt(6)
	v_mul_f32_e32 v40, v10, v5
	s_waitcnt vmcnt(38)
	v_mul_f32_e32 v41, v12, v58
	;; [unrolled: 4-line block ×7, first 2 shown]
	s_waitcnt vmcnt(27) lgkmcnt(0)
	v_mul_f32_e32 v59, v34, v170
	s_waitcnt vmcnt(26)
	v_fmac_f32_e32 v38, v7, v171
	s_waitcnt vmcnt(25)
	v_fmac_f32_e32 v39, v9, v172
	v_add_f32_e32 v38, 0, v38
	s_waitcnt vmcnt(24)
	v_fmac_f32_e32 v40, v11, v173
	v_add_f32_e32 v38, v38, v39
	;; [unrolled: 3-line block ×13, first 2 shown]
	v_add_f32_e32 v38, v38, v57
	buffer_load_dword v53, off, s[0:3], 0 offset:332
	buffer_load_dword v52, off, s[0:3], 0 offset:328
	;; [unrolled: 1-line block ×6, first 2 shown]
	s_waitcnt vmcnt(18)
	v_fmac_f32_e32 v59, v35, v185
	s_waitcnt vmcnt(17)
	v_mul_f32_e32 v43, v36, v186
	v_add_f32_e32 v42, v38, v59
	s_waitcnt vmcnt(16)
	v_fmac_f32_e32 v43, v37, v187
	ds_read_b128 v[38:41], v4 offset:656
	v_add_f32_e32 v59, v42, v43
	ds_read_b128 v[42:45], v4 offset:672
	buffer_load_dword v65, off, s[0:3], 0 offset:364
	buffer_load_dword v64, off, s[0:3], 0 offset:360
	;; [unrolled: 1-line block ×6, first 2 shown]
	v_mul_f32_e32 v2, v7, v2
	v_fma_f32 v2, v6, v171, -v2
	v_mul_f32_e32 v3, v9, v3
	v_add_f32_e32 v2, 0, v2
	v_fma_f32 v3, v8, v172, -v3
	v_add_f32_e32 v2, v2, v3
	v_mul_f32_e32 v3, v11, v5
	v_fma_f32 v3, v10, v173, -v3
	v_add_f32_e32 v2, v2, v3
	v_mul_f32_e32 v3, v13, v58
	;; [unrolled: 3-line block ×14, first 2 shown]
	v_fma_f32 v3, v36, v187, -v3
	s_waitcnt vmcnt(15)
	v_mov_b32_e32 v16, v49
	s_waitcnt lgkmcnt(1)
	v_mul_f32_e32 v61, v38, v188
	v_add_f32_e32 v58, v2, v3
	v_mul_f32_e32 v2, v39, v188
	s_waitcnt lgkmcnt(0)
	v_pk_mul_f32 v[16:17], v[42:43], v[16:17] op_sel_hi:[1,0]
	v_fmac_f32_e32 v61, v39, v189
	v_mul_f32_e32 v63, v40, v190
	v_fma_f32 v60, v38, v189, -v2
	v_mul_f32_e32 v2, v41, v190
	s_waitcnt vmcnt(14)
	v_pk_fma_f32 v[18:19], v[42:43], v[48:49], v[16:17] op_sel:[0,0,1] op_sel_hi:[1,1,0] neg_lo:[0,0,1] neg_hi:[0,0,1]
	v_pk_fma_f32 v[16:17], v[42:43], v[48:49], v[16:17] op_sel:[0,0,1] op_sel_hi:[1,0,0]
	v_fmac_f32_e32 v63, v41, v191
	v_fma_f32 v62, v40, v191, -v2
	v_pk_add_f32 v[14:15], v[58:59], v[60:61]
	ds_read_b128 v[6:9], v4 offset:688
	ds_read_b128 v[10:13], v4 offset:704
	;; [unrolled: 1-line block ×3, first 2 shown]
	v_pk_add_f32 v[14:15], v[14:15], v[62:63]
	v_mov_b32_e32 v19, v17
	v_pk_add_f32 v[14:15], v[14:15], v[18:19]
	s_waitcnt vmcnt(7)
	v_mov_b32_e32 v16, v57
	v_pk_mul_f32 v[16:17], v[44:45], v[16:17] op_sel_hi:[1,0]
	s_waitcnt vmcnt(6)
	v_pk_fma_f32 v[18:19], v[44:45], v[56:57], v[16:17] op_sel:[0,0,1] op_sel_hi:[1,1,0] neg_lo:[0,0,1] neg_hi:[0,0,1]
	v_pk_fma_f32 v[16:17], v[44:45], v[56:57], v[16:17] op_sel:[0,0,1] op_sel_hi:[1,0,0]
	v_mov_b32_e32 v16, v55
	v_mov_b32_e32 v19, v17
	s_waitcnt lgkmcnt(2)
	v_pk_mul_f32 v[16:17], v[6:7], v[16:17] op_sel_hi:[1,0]
	v_pk_add_f32 v[14:15], v[14:15], v[18:19]
	v_pk_fma_f32 v[18:19], v[6:7], v[54:55], v[16:17] op_sel:[0,0,1] op_sel_hi:[1,1,0] neg_lo:[0,0,1] neg_hi:[0,0,1]
	v_pk_fma_f32 v[6:7], v[6:7], v[54:55], v[16:17] op_sel:[0,0,1] op_sel_hi:[1,0,0]
	v_mov_b32_e32 v19, v7
	v_pk_add_f32 v[6:7], v[14:15], v[18:19]
	v_mov_b32_e32 v14, v53
	v_pk_mul_f32 v[14:15], v[8:9], v[14:15] op_sel_hi:[1,0]
	v_pk_fma_f32 v[16:17], v[8:9], v[52:53], v[14:15] op_sel:[0,0,1] op_sel_hi:[1,1,0] neg_lo:[0,0,1] neg_hi:[0,0,1]
	v_pk_fma_f32 v[8:9], v[8:9], v[52:53], v[14:15] op_sel:[0,0,1] op_sel_hi:[1,0,0]
	v_mov_b32_e32 v8, v51
	v_mov_b32_e32 v17, v9
	s_waitcnt lgkmcnt(1)
	v_pk_mul_f32 v[8:9], v[10:11], v[8:9] op_sel_hi:[1,0]
	v_pk_fma_f32 v[14:15], v[10:11], v[50:51], v[8:9] op_sel:[0,0,1] op_sel_hi:[1,1,0] neg_lo:[0,0,1] neg_hi:[0,0,1]
	v_pk_fma_f32 v[8:9], v[10:11], v[50:51], v[8:9] op_sel:[0,0,1] op_sel_hi:[1,0,0]
	s_waitcnt vmcnt(1)
	v_mov_b32_e32 v8, v69
	v_mov_b32_e32 v15, v9
	v_pk_mul_f32 v[8:9], v[12:13], v[8:9] op_sel_hi:[1,0]
	s_waitcnt vmcnt(0)
	v_pk_fma_f32 v[10:11], v[12:13], v[68:69], v[8:9] op_sel:[0,0,1] op_sel_hi:[1,1,0] neg_lo:[0,0,1] neg_hi:[0,0,1]
	v_pk_fma_f32 v[8:9], v[12:13], v[68:69], v[8:9] op_sel:[0,0,1] op_sel_hi:[1,0,0]
	v_pk_add_f32 v[6:7], v[6:7], v[16:17]
	v_mov_b32_e32 v8, v67
	v_pk_add_f32 v[6:7], v[6:7], v[14:15]
	v_mov_b32_e32 v11, v9
	s_waitcnt lgkmcnt(0)
	v_pk_mul_f32 v[8:9], v[2:3], v[8:9] op_sel_hi:[1,0]
	v_pk_add_f32 v[6:7], v[6:7], v[10:11]
	v_pk_fma_f32 v[10:11], v[2:3], v[66:67], v[8:9] op_sel:[0,0,1] op_sel_hi:[1,1,0] neg_lo:[0,0,1] neg_hi:[0,0,1]
	v_pk_fma_f32 v[2:3], v[2:3], v[66:67], v[8:9] op_sel:[0,0,1] op_sel_hi:[1,0,0]
	v_mov_b32_e32 v11, v3
	v_pk_add_f32 v[2:3], v[6:7], v[10:11]
	v_mov_b32_e32 v6, v65
	v_pk_mul_f32 v[6:7], v[4:5], v[6:7] op_sel_hi:[1,0]
	v_pk_fma_f32 v[8:9], v[4:5], v[64:65], v[6:7] op_sel:[0,0,1] op_sel_hi:[1,1,0] neg_lo:[0,0,1] neg_hi:[0,0,1]
	v_pk_fma_f32 v[4:5], v[4:5], v[64:65], v[6:7] op_sel:[0,0,1] op_sel_hi:[1,0,0]
	v_mov_b32_e32 v9, v5
	v_pk_add_f32 v[2:3], v[2:3], v[8:9]
	v_pk_add_f32 v[2:3], v[46:47], v[2:3] neg_lo:[0,1] neg_hi:[0,1]
	buffer_store_dword v3, off, s[0:3], 0 offset:156
	buffer_store_dword v2, off, s[0:3], 0 offset:152
	s_and_saveexec_b64 s[4:5], vcc
	s_cbranch_execz .LBB45_253
; %bb.252:
	buffer_load_dword v2, off, s[0:3], 0 offset:144
	buffer_load_dword v3, off, s[0:3], 0 offset:148
	v_mov_b32_e32 v4, 0
	buffer_store_dword v4, off, s[0:3], 0 offset:144
	buffer_store_dword v4, off, s[0:3], 0 offset:148
	s_waitcnt vmcnt(2)
	ds_write_b64 v80, v[2:3]
.LBB45_253:
	s_or_b64 exec, exec, s[4:5]
	s_waitcnt lgkmcnt(0)
	; wave barrier
	s_waitcnt lgkmcnt(0)
	buffer_load_dword v5, off, s[0:3], 0 offset:156
	buffer_load_dword v54, off, s[0:3], 0 offset:164
	;; [unrolled: 1-line block ×40, first 2 shown]
	v_mov_b32_e32 v4, 0
	ds_read2_b64 v[6:9], v4 offset0:65 offset1:66
	ds_read2_b64 v[10:13], v4 offset0:67 offset1:68
	;; [unrolled: 1-line block ×8, first 2 shown]
	v_cmp_lt_u32_e32 vcc, 17, v0
	s_waitcnt vmcnt(39) lgkmcnt(7)
	v_mul_f32_e32 v38, v6, v5
	s_waitcnt vmcnt(38)
	v_mul_f32_e32 v39, v8, v54
	s_waitcnt vmcnt(37) lgkmcnt(6)
	v_mul_f32_e32 v40, v10, v56
	s_waitcnt vmcnt(36)
	v_mul_f32_e32 v41, v12, v58
	;; [unrolled: 4-line block ×8, first 2 shown]
	s_waitcnt vmcnt(23)
	v_fmac_f32_e32 v38, v7, v172
	s_waitcnt vmcnt(22)
	v_fmac_f32_e32 v39, v9, v173
	v_add_f32_e32 v38, 0, v38
	s_waitcnt vmcnt(21)
	v_fmac_f32_e32 v40, v11, v174
	v_add_f32_e32 v38, v38, v39
	;; [unrolled: 3-line block ×14, first 2 shown]
	v_add_f32_e32 v38, v38, v52
	s_waitcnt vmcnt(8)
	v_fmac_f32_e32 v53, v37, v187
	v_add_f32_e32 v55, v38, v53
	ds_read2_b64 v[38:41], v4 offset0:81 offset1:82
	buffer_load_dword v47, off, s[0:3], 0 offset:308
	buffer_load_dword v49, off, s[0:3], 0 offset:332
	;; [unrolled: 1-line block ×8, first 2 shown]
	ds_read2_b64 v[42:45], v4 offset0:83 offset1:84
	buffer_load_dword v61, off, s[0:3], 0 offset:364
	buffer_load_dword v60, off, s[0:3], 0 offset:360
	;; [unrolled: 1-line block ×8, first 2 shown]
	v_mul_f32_e32 v5, v7, v5
	v_fma_f32 v5, v6, v172, -v5
	v_mul_f32_e32 v6, v9, v54
	v_add_f32_e32 v5, 0, v5
	v_fma_f32 v6, v8, v173, -v6
	v_add_f32_e32 v5, v5, v6
	v_mul_f32_e32 v6, v11, v56
	v_fma_f32 v6, v10, v174, -v6
	v_add_f32_e32 v5, v5, v6
	v_mul_f32_e32 v6, v13, v58
	;; [unrolled: 3-line block ×14, first 2 shown]
	v_fma_f32 v6, v36, v187, -v6
	s_waitcnt vmcnt(23) lgkmcnt(1)
	v_mul_f32_e32 v57, v38, v188
	v_add_f32_e32 v5, v5, v6
	v_mul_f32_e32 v6, v39, v188
	s_waitcnt vmcnt(22)
	v_fmac_f32_e32 v57, v39, v189
	v_fma_f32 v6, v38, v189, -v6
	v_add_f32_e32 v55, v55, v57
	s_waitcnt vmcnt(21)
	v_mul_f32_e32 v57, v40, v190
	v_add_f32_e32 v54, v5, v6
	v_mul_f32_e32 v5, v41, v190
	s_waitcnt vmcnt(20)
	v_fmac_f32_e32 v57, v41, v191
	s_waitcnt vmcnt(19) lgkmcnt(0)
	v_mul_f32_e32 v59, v42, v192
	v_fma_f32 v56, v40, v191, -v5
	v_mul_f32_e32 v5, v43, v192
	ds_read2_b64 v[6:9], v4 offset0:85 offset1:86
	ds_read2_b64 v[10:13], v4 offset0:87 offset1:88
	;; [unrolled: 1-line block ×3, first 2 shown]
	ds_read_b64 v[18:19], v4 offset:728
	s_waitcnt vmcnt(18)
	v_fmac_f32_e32 v59, v43, v193
	v_fma_f32 v58, v42, v193, -v5
	v_pk_add_f32 v[20:21], v[54:55], v[56:57]
	v_pk_add_f32 v[20:21], v[20:21], v[58:59]
	s_waitcnt vmcnt(15)
	v_mov_b32_e32 v22, v47
	v_pk_mul_f32 v[22:23], v[44:45], v[22:23] op_sel_hi:[1,0]
	s_waitcnt vmcnt(8)
	v_pk_fma_f32 v[24:25], v[44:45], v[46:47], v[22:23] op_sel:[0,0,1] op_sel_hi:[1,1,0] neg_lo:[0,0,1] neg_hi:[0,0,1]
	v_pk_fma_f32 v[22:23], v[44:45], v[46:47], v[22:23] op_sel:[0,0,1] op_sel_hi:[1,0,0]
	v_mov_b32_e32 v22, v53
	v_mov_b32_e32 v25, v23
	s_waitcnt lgkmcnt(3)
	v_pk_mul_f32 v[22:23], v[6:7], v[22:23] op_sel_hi:[1,0]
	v_pk_add_f32 v[20:21], v[20:21], v[24:25]
	v_pk_fma_f32 v[24:25], v[6:7], v[52:53], v[22:23] op_sel:[0,0,1] op_sel_hi:[1,1,0] neg_lo:[0,0,1] neg_hi:[0,0,1]
	v_pk_fma_f32 v[6:7], v[6:7], v[52:53], v[22:23] op_sel:[0,0,1] op_sel_hi:[1,0,0]
	v_mov_b32_e32 v25, v7
	v_pk_add_f32 v[6:7], v[20:21], v[24:25]
	v_mov_b32_e32 v20, v51
	v_pk_mul_f32 v[20:21], v[8:9], v[20:21] op_sel_hi:[1,0]
	v_pk_fma_f32 v[22:23], v[8:9], v[50:51], v[20:21] op_sel:[0,0,1] op_sel_hi:[1,1,0] neg_lo:[0,0,1] neg_hi:[0,0,1]
	v_pk_fma_f32 v[8:9], v[8:9], v[50:51], v[20:21] op_sel:[0,0,1] op_sel_hi:[1,0,0]
	v_mov_b32_e32 v8, v49
	v_mov_b32_e32 v23, v9
	s_waitcnt lgkmcnt(2)
	v_pk_mul_f32 v[8:9], v[10:11], v[8:9] op_sel_hi:[1,0]
	v_pk_fma_f32 v[20:21], v[10:11], v[48:49], v[8:9] op_sel:[0,0,1] op_sel_hi:[1,1,0] neg_lo:[0,0,1] neg_hi:[0,0,1]
	v_pk_fma_f32 v[8:9], v[10:11], v[48:49], v[8:9] op_sel:[0,0,1] op_sel_hi:[1,0,0]
	s_waitcnt vmcnt(1)
	v_mov_b32_e32 v8, v67
	v_mov_b32_e32 v21, v9
	v_pk_mul_f32 v[8:9], v[12:13], v[8:9] op_sel_hi:[1,0]
	s_waitcnt vmcnt(0)
	v_pk_fma_f32 v[10:11], v[12:13], v[66:67], v[8:9] op_sel:[0,0,1] op_sel_hi:[1,1,0] neg_lo:[0,0,1] neg_hi:[0,0,1]
	v_pk_fma_f32 v[8:9], v[12:13], v[66:67], v[8:9] op_sel:[0,0,1] op_sel_hi:[1,0,0]
	v_pk_add_f32 v[6:7], v[6:7], v[22:23]
	v_mov_b32_e32 v8, v65
	v_pk_add_f32 v[6:7], v[6:7], v[20:21]
	v_mov_b32_e32 v11, v9
	s_waitcnt lgkmcnt(1)
	v_pk_mul_f32 v[8:9], v[14:15], v[8:9] op_sel_hi:[1,0]
	v_pk_add_f32 v[6:7], v[6:7], v[10:11]
	v_pk_fma_f32 v[10:11], v[14:15], v[64:65], v[8:9] op_sel:[0,0,1] op_sel_hi:[1,1,0] neg_lo:[0,0,1] neg_hi:[0,0,1]
	v_pk_fma_f32 v[8:9], v[14:15], v[64:65], v[8:9] op_sel:[0,0,1] op_sel_hi:[1,0,0]
	v_mov_b32_e32 v8, v63
	v_mov_b32_e32 v11, v9
	v_pk_mul_f32 v[8:9], v[16:17], v[8:9] op_sel_hi:[1,0]
	v_pk_add_f32 v[6:7], v[6:7], v[10:11]
	v_pk_fma_f32 v[10:11], v[16:17], v[62:63], v[8:9] op_sel:[0,0,1] op_sel_hi:[1,1,0] neg_lo:[0,0,1] neg_hi:[0,0,1]
	v_pk_fma_f32 v[8:9], v[16:17], v[62:63], v[8:9] op_sel:[0,0,1] op_sel_hi:[1,0,0]
	v_mov_b32_e32 v8, v61
	v_mov_b32_e32 v11, v9
	s_waitcnt lgkmcnt(0)
	v_pk_mul_f32 v[8:9], v[18:19], v[8:9] op_sel_hi:[1,0]
	v_pk_add_f32 v[6:7], v[6:7], v[10:11]
	v_pk_fma_f32 v[10:11], v[18:19], v[60:61], v[8:9] op_sel:[0,0,1] op_sel_hi:[1,1,0] neg_lo:[0,0,1] neg_hi:[0,0,1]
	v_pk_fma_f32 v[8:9], v[18:19], v[60:61], v[8:9] op_sel:[0,0,1] op_sel_hi:[1,0,0]
	v_mov_b32_e32 v11, v9
	v_pk_add_f32 v[6:7], v[6:7], v[10:11]
	v_pk_add_f32 v[2:3], v[2:3], v[6:7] neg_lo:[0,1] neg_hi:[0,1]
	buffer_store_dword v3, off, s[0:3], 0 offset:148
	buffer_store_dword v2, off, s[0:3], 0 offset:144
	s_and_saveexec_b64 s[4:5], vcc
	s_cbranch_execz .LBB45_255
; %bb.254:
	buffer_load_dword v2, off, s[0:3], 0 offset:136
	buffer_load_dword v3, off, s[0:3], 0 offset:140
	s_waitcnt vmcnt(0)
	ds_write_b64 v80, v[2:3]
	buffer_store_dword v4, off, s[0:3], 0 offset:136
	buffer_store_dword v4, off, s[0:3], 0 offset:140
.LBB45_255:
	s_or_b64 exec, exec, s[4:5]
	s_waitcnt lgkmcnt(0)
	; wave barrier
	s_waitcnt lgkmcnt(0)
	buffer_load_dword v5, off, s[0:3], 0 offset:148
	buffer_load_dword v46, off, s[0:3], 0 offset:156
	;; [unrolled: 1-line block ×42, first 2 shown]
	ds_read_b128 v[6:9], v4 offset:512
	ds_read_b128 v[10:13], v4 offset:528
	;; [unrolled: 1-line block ×8, first 2 shown]
	v_cmp_lt_u32_e32 vcc, 16, v0
	s_waitcnt vmcnt(41) lgkmcnt(7)
	v_mul_f32_e32 v38, v6, v5
	s_waitcnt vmcnt(40)
	v_mul_f32_e32 v39, v8, v46
	s_waitcnt vmcnt(39) lgkmcnt(6)
	v_mul_f32_e32 v40, v10, v48
	s_waitcnt vmcnt(38)
	v_mul_f32_e32 v41, v12, v56
	;; [unrolled: 4-line block ×7, first 2 shown]
	s_waitcnt vmcnt(27) lgkmcnt(0)
	v_mul_f32_e32 v54, v34, v170
	s_waitcnt vmcnt(26)
	v_fmac_f32_e32 v38, v7, v171
	s_waitcnt vmcnt(25)
	v_fmac_f32_e32 v39, v9, v172
	v_add_f32_e32 v38, 0, v38
	s_waitcnt vmcnt(24)
	v_fmac_f32_e32 v40, v11, v173
	v_add_f32_e32 v38, v38, v39
	;; [unrolled: 3-line block ×14, first 2 shown]
	s_waitcnt vmcnt(11)
	v_mul_f32_e32 v43, v36, v186
	v_add_f32_e32 v42, v38, v54
	s_waitcnt vmcnt(10)
	v_fmac_f32_e32 v43, v37, v187
	ds_read_b128 v[38:41], v4 offset:640
	v_add_f32_e32 v47, v42, v43
	ds_read_b128 v[42:45], v4 offset:656
	buffer_load_dword v51, off, s[0:3], 0 offset:308
	buffer_load_dword v53, off, s[0:3], 0 offset:324
	;; [unrolled: 1-line block ×16, first 2 shown]
	v_mul_f32_e32 v5, v7, v5
	v_fma_f32 v5, v6, v171, -v5
	v_mul_f32_e32 v6, v9, v46
	v_add_f32_e32 v5, 0, v5
	v_fma_f32 v6, v8, v172, -v6
	v_add_f32_e32 v5, v5, v6
	v_mul_f32_e32 v6, v11, v48
	v_fma_f32 v6, v10, v173, -v6
	v_add_f32_e32 v5, v5, v6
	v_mul_f32_e32 v6, v13, v56
	;; [unrolled: 3-line block ×14, first 2 shown]
	v_fma_f32 v6, v36, v187, -v6
	v_add_f32_e32 v5, v5, v6
	s_waitcnt vmcnt(25) lgkmcnt(1)
	v_mul_f32_e32 v6, v39, v188
	s_waitcnt vmcnt(24)
	v_fma_f32 v6, v38, v189, -v6
	v_add_f32_e32 v5, v5, v6
	s_waitcnt vmcnt(23)
	v_mul_f32_e32 v6, v41, v190
	s_waitcnt vmcnt(22)
	v_fma_f32 v6, v40, v191, -v6
	v_add_f32_e32 v46, v5, v6
	ds_read_b128 v[6:9], v4 offset:672
	ds_read_b128 v[10:13], v4 offset:688
	;; [unrolled: 1-line block ×4, first 2 shown]
	v_mul_f32_e32 v49, v38, v188
	v_fmac_f32_e32 v49, v39, v189
	v_add_f32_e32 v47, v47, v49
	v_mul_f32_e32 v49, v40, v190
	v_fmac_f32_e32 v49, v41, v191
	v_add_f32_e32 v47, v47, v49
	s_waitcnt vmcnt(21) lgkmcnt(4)
	v_mul_f32_e32 v49, v42, v192
	v_mul_f32_e32 v5, v43, v192
	s_waitcnt vmcnt(20)
	v_fmac_f32_e32 v49, v43, v193
	s_waitcnt vmcnt(19)
	v_mul_f32_e32 v57, v44, v194
	v_fma_f32 v48, v42, v193, -v5
	v_mul_f32_e32 v5, v45, v194
	s_waitcnt vmcnt(18)
	v_fmac_f32_e32 v57, v45, v195
	v_fma_f32 v56, v44, v195, -v5
	v_pk_add_f32 v[4:5], v[46:47], v[48:49]
	v_pk_add_f32 v[4:5], v[4:5], v[56:57]
	s_waitcnt vmcnt(15)
	v_mov_b32_e32 v22, v51
	s_waitcnt lgkmcnt(3)
	v_pk_mul_f32 v[22:23], v[6:7], v[22:23] op_sel_hi:[1,0]
	s_waitcnt vmcnt(10)
	v_pk_fma_f32 v[24:25], v[6:7], v[50:51], v[22:23] op_sel:[0,0,1] op_sel_hi:[1,1,0] neg_lo:[0,0,1] neg_hi:[0,0,1]
	v_pk_fma_f32 v[6:7], v[6:7], v[50:51], v[22:23] op_sel:[0,0,1] op_sel_hi:[1,0,0]
	v_mov_b32_e32 v6, v55
	v_mov_b32_e32 v25, v7
	v_pk_mul_f32 v[6:7], v[8:9], v[6:7] op_sel_hi:[1,0]
	v_pk_fma_f32 v[22:23], v[8:9], v[54:55], v[6:7] op_sel:[0,0,1] op_sel_hi:[1,1,0] neg_lo:[0,0,1] neg_hi:[0,0,1]
	v_pk_fma_f32 v[6:7], v[8:9], v[54:55], v[6:7] op_sel:[0,0,1] op_sel_hi:[1,0,0]
	v_mov_b32_e32 v6, v53
	v_mov_b32_e32 v23, v7
	s_waitcnt lgkmcnt(2)
	v_pk_mul_f32 v[6:7], v[10:11], v[6:7] op_sel_hi:[1,0]
	v_pk_fma_f32 v[8:9], v[10:11], v[52:53], v[6:7] op_sel:[0,0,1] op_sel_hi:[1,1,0] neg_lo:[0,0,1] neg_hi:[0,0,1]
	v_pk_fma_f32 v[6:7], v[10:11], v[52:53], v[6:7] op_sel:[0,0,1] op_sel_hi:[1,0,0]
	v_pk_add_f32 v[4:5], v[4:5], v[24:25]
	s_waitcnt vmcnt(3)
	v_mov_b32_e32 v6, v65
	v_pk_add_f32 v[4:5], v[4:5], v[22:23]
	v_mov_b32_e32 v9, v7
	v_pk_mul_f32 v[6:7], v[12:13], v[6:7] op_sel_hi:[1,0]
	v_pk_add_f32 v[4:5], v[4:5], v[8:9]
	s_waitcnt vmcnt(2)
	v_pk_fma_f32 v[8:9], v[12:13], v[64:65], v[6:7] op_sel:[0,0,1] op_sel_hi:[1,1,0] neg_lo:[0,0,1] neg_hi:[0,0,1]
	v_pk_fma_f32 v[6:7], v[12:13], v[64:65], v[6:7] op_sel:[0,0,1] op_sel_hi:[1,0,0]
	v_mov_b32_e32 v6, v63
	v_mov_b32_e32 v9, v7
	s_waitcnt lgkmcnt(1)
	v_pk_mul_f32 v[6:7], v[14:15], v[6:7] op_sel_hi:[1,0]
	v_pk_add_f32 v[4:5], v[4:5], v[8:9]
	v_pk_fma_f32 v[8:9], v[14:15], v[62:63], v[6:7] op_sel:[0,0,1] op_sel_hi:[1,1,0] neg_lo:[0,0,1] neg_hi:[0,0,1]
	v_pk_fma_f32 v[6:7], v[14:15], v[62:63], v[6:7] op_sel:[0,0,1] op_sel_hi:[1,0,0]
	v_mov_b32_e32 v6, v61
	v_mov_b32_e32 v9, v7
	v_pk_mul_f32 v[6:7], v[16:17], v[6:7] op_sel_hi:[1,0]
	v_pk_add_f32 v[4:5], v[4:5], v[8:9]
	v_pk_fma_f32 v[8:9], v[16:17], v[60:61], v[6:7] op_sel:[0,0,1] op_sel_hi:[1,1,0] neg_lo:[0,0,1] neg_hi:[0,0,1]
	v_pk_fma_f32 v[6:7], v[16:17], v[60:61], v[6:7] op_sel:[0,0,1] op_sel_hi:[1,0,0]
	v_mov_b32_e32 v6, v59
	v_mov_b32_e32 v9, v7
	s_waitcnt lgkmcnt(0)
	v_pk_mul_f32 v[6:7], v[18:19], v[6:7] op_sel_hi:[1,0]
	v_pk_add_f32 v[4:5], v[4:5], v[8:9]
	v_pk_fma_f32 v[8:9], v[18:19], v[58:59], v[6:7] op_sel:[0,0,1] op_sel_hi:[1,1,0] neg_lo:[0,0,1] neg_hi:[0,0,1]
	v_pk_fma_f32 v[6:7], v[18:19], v[58:59], v[6:7] op_sel:[0,0,1] op_sel_hi:[1,0,0]
	s_waitcnt vmcnt(1)
	v_mov_b32_e32 v6, v67
	v_mov_b32_e32 v9, v7
	v_pk_mul_f32 v[6:7], v[20:21], v[6:7] op_sel_hi:[1,0]
	v_pk_add_f32 v[4:5], v[4:5], v[8:9]
	s_waitcnt vmcnt(0)
	v_pk_fma_f32 v[8:9], v[20:21], v[66:67], v[6:7] op_sel:[0,0,1] op_sel_hi:[1,1,0] neg_lo:[0,0,1] neg_hi:[0,0,1]
	v_pk_fma_f32 v[6:7], v[20:21], v[66:67], v[6:7] op_sel:[0,0,1] op_sel_hi:[1,0,0]
	v_mov_b32_e32 v9, v7
	v_pk_add_f32 v[4:5], v[4:5], v[8:9]
	v_pk_add_f32 v[2:3], v[2:3], v[4:5] neg_lo:[0,1] neg_hi:[0,1]
	buffer_store_dword v3, off, s[0:3], 0 offset:140
	buffer_store_dword v2, off, s[0:3], 0 offset:136
	s_and_saveexec_b64 s[4:5], vcc
	s_cbranch_execz .LBB45_257
; %bb.256:
	buffer_load_dword v2, off, s[0:3], 0 offset:128
	buffer_load_dword v3, off, s[0:3], 0 offset:132
	v_mov_b32_e32 v4, 0
	buffer_store_dword v4, off, s[0:3], 0 offset:128
	buffer_store_dword v4, off, s[0:3], 0 offset:132
	s_waitcnt vmcnt(2)
	ds_write_b64 v80, v[2:3]
.LBB45_257:
	s_or_b64 exec, exec, s[4:5]
	s_waitcnt lgkmcnt(0)
	; wave barrier
	s_waitcnt lgkmcnt(0)
	buffer_load_dword v5, off, s[0:3], 0 offset:140
	buffer_load_dword v54, off, s[0:3], 0 offset:148
	;; [unrolled: 1-line block ×44, first 2 shown]
	v_mov_b32_e32 v4, 0
	ds_read2_b64 v[6:9], v4 offset0:63 offset1:64
	ds_read2_b64 v[10:13], v4 offset0:65 offset1:66
	ds_read2_b64 v[14:17], v4 offset0:67 offset1:68
	ds_read2_b64 v[18:21], v4 offset0:69 offset1:70
	ds_read2_b64 v[22:25], v4 offset0:71 offset1:72
	ds_read2_b64 v[26:29], v4 offset0:73 offset1:74
	ds_read2_b64 v[30:33], v4 offset0:75 offset1:76
	ds_read2_b64 v[34:37], v4 offset0:77 offset1:78
	v_cmp_lt_u32_e32 vcc, 15, v0
	s_waitcnt vmcnt(43) lgkmcnt(7)
	v_mul_f32_e32 v38, v6, v5
	s_waitcnt vmcnt(42)
	v_mul_f32_e32 v39, v8, v54
	s_waitcnt vmcnt(41) lgkmcnt(6)
	v_mul_f32_e32 v40, v10, v60
	s_waitcnt vmcnt(40)
	v_mul_f32_e32 v41, v12, v62
	;; [unrolled: 4-line block ×7, first 2 shown]
	s_waitcnt vmcnt(29)
	v_fmac_f32_e32 v38, v7, v178
	s_waitcnt vmcnt(28)
	v_fmac_f32_e32 v39, v9, v179
	v_add_f32_e32 v38, 0, v38
	s_waitcnt vmcnt(27)
	v_fmac_f32_e32 v40, v11, v180
	v_add_f32_e32 v38, v38, v39
	s_waitcnt vmcnt(26)
	v_fmac_f32_e32 v41, v13, v181
	v_add_f32_e32 v38, v38, v40
	s_waitcnt vmcnt(25)
	v_fmac_f32_e32 v42, v15, v182
	v_add_f32_e32 v38, v38, v41
	s_waitcnt vmcnt(24)
	v_fmac_f32_e32 v43, v17, v183
	v_add_f32_e32 v38, v38, v42
	s_waitcnt vmcnt(23)
	v_fmac_f32_e32 v44, v19, v184
	v_add_f32_e32 v38, v38, v43
	s_waitcnt vmcnt(22)
	v_fmac_f32_e32 v45, v21, v185
	v_add_f32_e32 v38, v38, v44
	s_waitcnt vmcnt(21)
	v_fmac_f32_e32 v46, v23, v186
	v_add_f32_e32 v38, v38, v45
	s_waitcnt vmcnt(20)
	v_fmac_f32_e32 v47, v25, v187
	v_add_f32_e32 v38, v38, v46
	s_waitcnt vmcnt(19)
	v_fmac_f32_e32 v48, v27, v188
	v_add_f32_e32 v38, v38, v47
	s_waitcnt vmcnt(18)
	v_fmac_f32_e32 v49, v29, v189
	v_add_f32_e32 v38, v38, v48
	s_waitcnt vmcnt(17)
	v_fmac_f32_e32 v50, v31, v190
	v_add_f32_e32 v38, v38, v49
	v_add_f32_e32 v38, v38, v50
	s_waitcnt vmcnt(16)
	v_fmac_f32_e32 v51, v33, v191
	s_waitcnt vmcnt(15) lgkmcnt(0)
	v_mul_f32_e32 v39, v34, v192
	v_add_f32_e32 v38, v38, v51
	s_waitcnt vmcnt(14)
	v_fmac_f32_e32 v39, v35, v193
	v_add_f32_e32 v42, v38, v39
	ds_read2_b64 v[38:41], v4 offset0:79 offset1:80
	s_waitcnt vmcnt(13)
	v_mul_f32_e32 v43, v36, v194
	s_waitcnt vmcnt(12)
	v_fmac_f32_e32 v43, v37, v195
	v_add_f32_e32 v46, v42, v43
	ds_read2_b64 v[42:45], v4 offset0:81 offset1:82
	s_waitcnt vmcnt(11) lgkmcnt(1)
	v_mul_f32_e32 v47, v38, v196
	s_waitcnt vmcnt(10)
	v_fmac_f32_e32 v47, v39, v197
	v_add_f32_e32 v46, v46, v47
	s_waitcnt vmcnt(9)
	v_mul_f32_e32 v47, v40, v198
	s_waitcnt vmcnt(8)
	v_fmac_f32_e32 v47, v41, v199
	v_add_f32_e32 v46, v46, v47
	s_waitcnt vmcnt(7) lgkmcnt(0)
	v_mul_f32_e32 v47, v42, v200
	s_waitcnt vmcnt(6)
	v_fmac_f32_e32 v47, v43, v201
	v_add_f32_e32 v55, v46, v47
	ds_read2_b64 v[46:49], v4 offset0:83 offset1:84
	buffer_load_dword v57, off, s[0:3], 0 offset:316
	buffer_load_dword v56, off, s[0:3], 0 offset:312
	;; [unrolled: 1-line block ×4, first 2 shown]
	ds_read2_b64 v[50:53], v4 offset0:85 offset1:86
	buffer_load_dword v65, off, s[0:3], 0 offset:348
	buffer_load_dword v64, off, s[0:3], 0 offset:344
	;; [unrolled: 1-line block ×12, first 2 shown]
	v_mul_f32_e32 v5, v7, v5
	v_fma_f32 v5, v6, v178, -v5
	v_mul_f32_e32 v6, v9, v54
	v_add_f32_e32 v5, 0, v5
	v_fma_f32 v6, v8, v179, -v6
	v_add_f32_e32 v5, v5, v6
	v_mul_f32_e32 v6, v11, v60
	v_fma_f32 v6, v10, v180, -v6
	v_add_f32_e32 v5, v5, v6
	v_mul_f32_e32 v6, v13, v62
	;; [unrolled: 3-line block ×17, first 2 shown]
	v_fma_f32 v6, v42, v201, -v6
	s_waitcnt vmcnt(21)
	v_mul_f32_e32 v61, v44, v202
	v_add_f32_e32 v54, v5, v6
	v_mul_f32_e32 v5, v45, v202
	s_waitcnt vmcnt(20)
	v_fmac_f32_e32 v61, v45, v203
	s_waitcnt vmcnt(19) lgkmcnt(1)
	v_mul_f32_e32 v63, v46, v204
	v_fma_f32 v60, v44, v203, -v5
	v_mul_f32_e32 v5, v47, v204
	s_waitcnt vmcnt(18)
	v_fmac_f32_e32 v63, v47, v205
	v_fma_f32 v62, v46, v205, -v5
	v_pk_add_f32 v[16:17], v[54:55], v[60:61]
	v_pk_add_f32 v[16:17], v[16:17], v[62:63]
	ds_read2_b64 v[6:9], v4 offset0:87 offset1:88
	ds_read2_b64 v[10:13], v4 offset0:89 offset1:90
	ds_read_b64 v[14:15], v4 offset:728
	s_waitcnt vmcnt(13)
	v_mov_b32_e32 v18, v59
	v_pk_mul_f32 v[18:19], v[48:49], v[18:19] op_sel_hi:[1,0]
	s_waitcnt vmcnt(12)
	v_pk_fma_f32 v[20:21], v[48:49], v[58:59], v[18:19] op_sel:[0,0,1] op_sel_hi:[1,1,0] neg_lo:[0,0,1] neg_hi:[0,0,1]
	v_pk_fma_f32 v[18:19], v[48:49], v[58:59], v[18:19] op_sel:[0,0,1] op_sel_hi:[1,0,0]
	v_mov_b32_e32 v18, v57
	v_mov_b32_e32 v21, v19
	s_waitcnt lgkmcnt(3)
	v_pk_mul_f32 v[18:19], v[50:51], v[18:19] op_sel_hi:[1,0]
	v_pk_add_f32 v[16:17], v[16:17], v[20:21]
	v_pk_fma_f32 v[20:21], v[50:51], v[56:57], v[18:19] op_sel:[0,0,1] op_sel_hi:[1,1,0] neg_lo:[0,0,1] neg_hi:[0,0,1]
	v_pk_fma_f32 v[18:19], v[50:51], v[56:57], v[18:19] op_sel:[0,0,1] op_sel_hi:[1,0,0]
	s_waitcnt vmcnt(5)
	v_mov_b32_e32 v18, v71
	v_mov_b32_e32 v21, v19
	v_pk_mul_f32 v[18:19], v[52:53], v[18:19] op_sel_hi:[1,0]
	v_pk_add_f32 v[16:17], v[16:17], v[20:21]
	s_waitcnt vmcnt(4)
	v_pk_fma_f32 v[20:21], v[52:53], v[70:71], v[18:19] op_sel:[0,0,1] op_sel_hi:[1,1,0] neg_lo:[0,0,1] neg_hi:[0,0,1]
	v_pk_fma_f32 v[18:19], v[52:53], v[70:71], v[18:19] op_sel:[0,0,1] op_sel_hi:[1,0,0]
	v_mov_b32_e32 v18, v69
	v_mov_b32_e32 v21, v19
	s_waitcnt lgkmcnt(2)
	v_pk_mul_f32 v[18:19], v[6:7], v[18:19] op_sel_hi:[1,0]
	v_pk_add_f32 v[16:17], v[16:17], v[20:21]
	v_pk_fma_f32 v[20:21], v[6:7], v[68:69], v[18:19] op_sel:[0,0,1] op_sel_hi:[1,1,0] neg_lo:[0,0,1] neg_hi:[0,0,1]
	v_pk_fma_f32 v[6:7], v[6:7], v[68:69], v[18:19] op_sel:[0,0,1] op_sel_hi:[1,0,0]
	v_mov_b32_e32 v21, v7
	v_pk_add_f32 v[6:7], v[16:17], v[20:21]
	v_mov_b32_e32 v16, v67
	v_pk_mul_f32 v[16:17], v[8:9], v[16:17] op_sel_hi:[1,0]
	v_pk_fma_f32 v[18:19], v[8:9], v[66:67], v[16:17] op_sel:[0,0,1] op_sel_hi:[1,1,0] neg_lo:[0,0,1] neg_hi:[0,0,1]
	v_pk_fma_f32 v[8:9], v[8:9], v[66:67], v[16:17] op_sel:[0,0,1] op_sel_hi:[1,0,0]
	v_mov_b32_e32 v8, v65
	v_mov_b32_e32 v19, v9
	s_waitcnt lgkmcnt(1)
	v_pk_mul_f32 v[8:9], v[10:11], v[8:9] op_sel_hi:[1,0]
	v_pk_fma_f32 v[16:17], v[10:11], v[64:65], v[8:9] op_sel:[0,0,1] op_sel_hi:[1,1,0] neg_lo:[0,0,1] neg_hi:[0,0,1]
	v_pk_fma_f32 v[8:9], v[10:11], v[64:65], v[8:9] op_sel:[0,0,1] op_sel_hi:[1,0,0]
	s_waitcnt vmcnt(1)
	v_mov_b32_e32 v8, v75
	v_mov_b32_e32 v17, v9
	v_pk_mul_f32 v[8:9], v[12:13], v[8:9] op_sel_hi:[1,0]
	s_waitcnt vmcnt(0)
	v_pk_fma_f32 v[10:11], v[12:13], v[74:75], v[8:9] op_sel:[0,0,1] op_sel_hi:[1,1,0] neg_lo:[0,0,1] neg_hi:[0,0,1]
	v_pk_fma_f32 v[8:9], v[12:13], v[74:75], v[8:9] op_sel:[0,0,1] op_sel_hi:[1,0,0]
	v_pk_add_f32 v[6:7], v[6:7], v[18:19]
	v_mov_b32_e32 v8, v73
	v_pk_add_f32 v[6:7], v[6:7], v[16:17]
	v_mov_b32_e32 v11, v9
	s_waitcnt lgkmcnt(0)
	v_pk_mul_f32 v[8:9], v[14:15], v[8:9] op_sel_hi:[1,0]
	v_pk_add_f32 v[6:7], v[6:7], v[10:11]
	v_pk_fma_f32 v[10:11], v[14:15], v[72:73], v[8:9] op_sel:[0,0,1] op_sel_hi:[1,1,0] neg_lo:[0,0,1] neg_hi:[0,0,1]
	v_pk_fma_f32 v[8:9], v[14:15], v[72:73], v[8:9] op_sel:[0,0,1] op_sel_hi:[1,0,0]
	v_mov_b32_e32 v11, v9
	v_pk_add_f32 v[6:7], v[6:7], v[10:11]
	v_pk_add_f32 v[2:3], v[2:3], v[6:7] neg_lo:[0,1] neg_hi:[0,1]
	buffer_store_dword v3, off, s[0:3], 0 offset:132
	buffer_store_dword v2, off, s[0:3], 0 offset:128
	s_and_saveexec_b64 s[4:5], vcc
	s_cbranch_execz .LBB45_259
; %bb.258:
	buffer_load_dword v2, off, s[0:3], 0 offset:120
	buffer_load_dword v3, off, s[0:3], 0 offset:124
	s_waitcnt vmcnt(0)
	ds_write_b64 v80, v[2:3]
	buffer_store_dword v4, off, s[0:3], 0 offset:120
	buffer_store_dword v4, off, s[0:3], 0 offset:124
.LBB45_259:
	s_or_b64 exec, exec, s[4:5]
	s_waitcnt lgkmcnt(0)
	; wave barrier
	s_waitcnt lgkmcnt(0)
	buffer_load_dword v5, off, s[0:3], 0 offset:132
	buffer_load_dword v56, off, s[0:3], 0 offset:140
	;; [unrolled: 1-line block ×46, first 2 shown]
	ds_read_b128 v[6:9], v4 offset:496
	ds_read_b128 v[10:13], v4 offset:512
	;; [unrolled: 1-line block ×8, first 2 shown]
	v_cmp_lt_u32_e32 vcc, 14, v0
	s_waitcnt vmcnt(45) lgkmcnt(7)
	v_mul_f32_e32 v38, v6, v5
	s_waitcnt vmcnt(44)
	v_mul_f32_e32 v39, v8, v56
	s_waitcnt vmcnt(43) lgkmcnt(6)
	v_mul_f32_e32 v40, v10, v58
	s_waitcnt vmcnt(42)
	v_mul_f32_e32 v41, v12, v60
	s_waitcnt vmcnt(41) lgkmcnt(5)
	v_mul_f32_e32 v42, v14, v168
	s_waitcnt vmcnt(40)
	v_mul_f32_e32 v43, v16, v169
	s_waitcnt vmcnt(39) lgkmcnt(4)
	v_mul_f32_e32 v44, v18, v170
	s_waitcnt vmcnt(38)
	v_mul_f32_e32 v45, v20, v171
	s_waitcnt vmcnt(37) lgkmcnt(3)
	v_mul_f32_e32 v46, v22, v172
	s_waitcnt vmcnt(36)
	v_mul_f32_e32 v47, v24, v173
	s_waitcnt vmcnt(35) lgkmcnt(2)
	v_mul_f32_e32 v48, v26, v174
	s_waitcnt vmcnt(34)
	v_mul_f32_e32 v49, v28, v175
	s_waitcnt vmcnt(33) lgkmcnt(1)
	v_mul_f32_e32 v50, v30, v176
	s_waitcnt vmcnt(32)
	v_fmac_f32_e32 v38, v7, v177
	s_waitcnt vmcnt(31)
	v_fmac_f32_e32 v39, v9, v178
	v_add_f32_e32 v38, 0, v38
	s_waitcnt vmcnt(30)
	v_fmac_f32_e32 v40, v11, v179
	v_add_f32_e32 v38, v38, v39
	;; [unrolled: 3-line block ×12, first 2 shown]
	s_waitcnt vmcnt(19)
	v_mul_f32_e32 v39, v32, v190
	v_add_f32_e32 v38, v38, v50
	s_waitcnt vmcnt(18)
	v_fmac_f32_e32 v39, v33, v191
	v_add_f32_e32 v38, v38, v39
	s_waitcnt vmcnt(17) lgkmcnt(0)
	v_mul_f32_e32 v39, v34, v192
	s_waitcnt vmcnt(16)
	v_fmac_f32_e32 v39, v35, v193
	v_add_f32_e32 v42, v38, v39
	ds_read_b128 v[38:41], v4 offset:624
	s_waitcnt vmcnt(15)
	v_mul_f32_e32 v43, v36, v194
	s_waitcnt vmcnt(14)
	v_fmac_f32_e32 v43, v37, v195
	v_add_f32_e32 v46, v42, v43
	ds_read_b128 v[42:45], v4 offset:640
	buffer_load_dword v55, off, s[0:3], 0 offset:308
	buffer_load_dword v54, off, s[0:3], 0 offset:304
	s_waitcnt vmcnt(15) lgkmcnt(1)
	v_mul_f32_e32 v47, v38, v196
	s_waitcnt vmcnt(14)
	v_fmac_f32_e32 v47, v39, v197
	v_add_f32_e32 v46, v46, v47
	s_waitcnt vmcnt(13)
	v_mul_f32_e32 v47, v40, v198
	s_waitcnt vmcnt(12)
	v_fmac_f32_e32 v47, v41, v199
	v_add_f32_e32 v46, v46, v47
	s_waitcnt vmcnt(11) lgkmcnt(0)
	v_mul_f32_e32 v47, v42, v200
	s_waitcnt vmcnt(10)
	v_fmac_f32_e32 v47, v43, v201
	s_waitcnt vmcnt(9)
	v_mul_f32_e32 v51, v44, v202
	v_add_f32_e32 v50, v46, v47
	s_waitcnt vmcnt(8)
	v_fmac_f32_e32 v51, v45, v203
	ds_read_b128 v[46:49], v4 offset:656
	v_add_f32_e32 v57, v50, v51
	ds_read_b128 v[50:53], v4 offset:672
	buffer_load_dword v63, off, s[0:3], 0 offset:340
	buffer_load_dword v62, off, s[0:3], 0 offset:336
	;; [unrolled: 1-line block ×14, first 2 shown]
	v_mul_f32_e32 v5, v7, v5
	v_fma_f32 v5, v6, v177, -v5
	v_mul_f32_e32 v6, v9, v56
	v_add_f32_e32 v5, 0, v5
	v_fma_f32 v6, v8, v178, -v6
	v_add_f32_e32 v5, v5, v6
	v_mul_f32_e32 v6, v11, v58
	v_fma_f32 v6, v10, v179, -v6
	v_add_f32_e32 v5, v5, v6
	v_mul_f32_e32 v6, v13, v60
	;; [unrolled: 3-line block ×18, first 2 shown]
	v_fma_f32 v6, v44, v203, -v6
	s_waitcnt vmcnt(21) lgkmcnt(1)
	v_mul_f32_e32 v59, v46, v204
	v_add_f32_e32 v56, v5, v6
	v_mul_f32_e32 v5, v47, v204
	s_waitcnt vmcnt(20)
	v_fmac_f32_e32 v59, v47, v205
	s_waitcnt vmcnt(15)
	v_mov_b32_e32 v18, v55
	s_waitcnt lgkmcnt(0)
	v_pk_mul_f32 v[18:19], v[50:51], v[18:19] op_sel_hi:[1,0]
	v_mul_f32_e32 v61, v48, v206
	v_fma_f32 v58, v46, v205, -v5
	v_mul_f32_e32 v5, v49, v206
	s_waitcnt vmcnt(14)
	v_pk_fma_f32 v[20:21], v[50:51], v[54:55], v[18:19] op_sel:[0,0,1] op_sel_hi:[1,1,0] neg_lo:[0,0,1] neg_hi:[0,0,1]
	v_pk_fma_f32 v[18:19], v[50:51], v[54:55], v[18:19] op_sel:[0,0,1] op_sel_hi:[1,0,0]
	v_fmac_f32_e32 v61, v49, v207
	v_fma_f32 v60, v48, v207, -v5
	ds_read_b128 v[6:9], v4 offset:688
	ds_read_b128 v[10:13], v4 offset:704
	;; [unrolled: 1-line block ×3, first 2 shown]
	v_pk_add_f32 v[4:5], v[56:57], v[58:59]
	s_waitcnt vmcnt(7)
	v_mov_b32_e32 v18, v69
	v_pk_add_f32 v[4:5], v[4:5], v[60:61]
	v_mov_b32_e32 v21, v19
	v_pk_mul_f32 v[18:19], v[52:53], v[18:19] op_sel_hi:[1,0]
	v_pk_add_f32 v[4:5], v[4:5], v[20:21]
	s_waitcnt vmcnt(6)
	v_pk_fma_f32 v[20:21], v[52:53], v[68:69], v[18:19] op_sel:[0,0,1] op_sel_hi:[1,1,0] neg_lo:[0,0,1] neg_hi:[0,0,1]
	v_pk_fma_f32 v[18:19], v[52:53], v[68:69], v[18:19] op_sel:[0,0,1] op_sel_hi:[1,0,0]
	v_mov_b32_e32 v18, v67
	v_mov_b32_e32 v21, v19
	s_waitcnt lgkmcnt(2)
	v_pk_mul_f32 v[18:19], v[6:7], v[18:19] op_sel_hi:[1,0]
	v_pk_add_f32 v[4:5], v[4:5], v[20:21]
	v_pk_fma_f32 v[20:21], v[6:7], v[66:67], v[18:19] op_sel:[0,0,1] op_sel_hi:[1,1,0] neg_lo:[0,0,1] neg_hi:[0,0,1]
	v_pk_fma_f32 v[6:7], v[6:7], v[66:67], v[18:19] op_sel:[0,0,1] op_sel_hi:[1,0,0]
	v_mov_b32_e32 v6, v65
	v_mov_b32_e32 v21, v7
	v_pk_mul_f32 v[6:7], v[8:9], v[6:7] op_sel_hi:[1,0]
	v_pk_fma_f32 v[18:19], v[8:9], v[64:65], v[6:7] op_sel:[0,0,1] op_sel_hi:[1,1,0] neg_lo:[0,0,1] neg_hi:[0,0,1]
	v_pk_fma_f32 v[6:7], v[8:9], v[64:65], v[6:7] op_sel:[0,0,1] op_sel_hi:[1,0,0]
	v_mov_b32_e32 v6, v63
	v_mov_b32_e32 v19, v7
	s_waitcnt lgkmcnt(1)
	v_pk_mul_f32 v[6:7], v[10:11], v[6:7] op_sel_hi:[1,0]
	v_pk_fma_f32 v[8:9], v[10:11], v[62:63], v[6:7] op_sel:[0,0,1] op_sel_hi:[1,1,0] neg_lo:[0,0,1] neg_hi:[0,0,1]
	v_pk_fma_f32 v[6:7], v[10:11], v[62:63], v[6:7] op_sel:[0,0,1] op_sel_hi:[1,0,0]
	v_pk_add_f32 v[4:5], v[4:5], v[20:21]
	s_waitcnt vmcnt(1)
	v_mov_b32_e32 v6, v75
	v_pk_add_f32 v[4:5], v[4:5], v[18:19]
	v_mov_b32_e32 v9, v7
	v_pk_mul_f32 v[6:7], v[12:13], v[6:7] op_sel_hi:[1,0]
	v_pk_add_f32 v[4:5], v[4:5], v[8:9]
	s_waitcnt vmcnt(0)
	v_pk_fma_f32 v[8:9], v[12:13], v[74:75], v[6:7] op_sel:[0,0,1] op_sel_hi:[1,1,0] neg_lo:[0,0,1] neg_hi:[0,0,1]
	v_pk_fma_f32 v[6:7], v[12:13], v[74:75], v[6:7] op_sel:[0,0,1] op_sel_hi:[1,0,0]
	v_mov_b32_e32 v6, v73
	v_mov_b32_e32 v9, v7
	s_waitcnt lgkmcnt(0)
	v_pk_mul_f32 v[6:7], v[14:15], v[6:7] op_sel_hi:[1,0]
	v_pk_add_f32 v[4:5], v[4:5], v[8:9]
	v_pk_fma_f32 v[8:9], v[14:15], v[72:73], v[6:7] op_sel:[0,0,1] op_sel_hi:[1,1,0] neg_lo:[0,0,1] neg_hi:[0,0,1]
	v_pk_fma_f32 v[6:7], v[14:15], v[72:73], v[6:7] op_sel:[0,0,1] op_sel_hi:[1,0,0]
	v_mov_b32_e32 v6, v71
	v_mov_b32_e32 v9, v7
	v_pk_mul_f32 v[6:7], v[16:17], v[6:7] op_sel_hi:[1,0]
	v_pk_add_f32 v[4:5], v[4:5], v[8:9]
	v_pk_fma_f32 v[8:9], v[16:17], v[70:71], v[6:7] op_sel:[0,0,1] op_sel_hi:[1,1,0] neg_lo:[0,0,1] neg_hi:[0,0,1]
	v_pk_fma_f32 v[6:7], v[16:17], v[70:71], v[6:7] op_sel:[0,0,1] op_sel_hi:[1,0,0]
	v_mov_b32_e32 v9, v7
	v_pk_add_f32 v[4:5], v[4:5], v[8:9]
	v_pk_add_f32 v[2:3], v[2:3], v[4:5] neg_lo:[0,1] neg_hi:[0,1]
	buffer_store_dword v3, off, s[0:3], 0 offset:124
	buffer_store_dword v2, off, s[0:3], 0 offset:120
	s_and_saveexec_b64 s[4:5], vcc
	s_cbranch_execz .LBB45_261
; %bb.260:
	buffer_load_dword v2, off, s[0:3], 0 offset:112
	buffer_load_dword v3, off, s[0:3], 0 offset:116
	v_mov_b32_e32 v4, 0
	buffer_store_dword v4, off, s[0:3], 0 offset:112
	buffer_store_dword v4, off, s[0:3], 0 offset:116
	s_waitcnt vmcnt(2)
	ds_write_b64 v80, v[2:3]
.LBB45_261:
	s_or_b64 exec, exec, s[4:5]
	s_waitcnt lgkmcnt(0)
	; wave barrier
	s_waitcnt lgkmcnt(0)
	buffer_load_dword v5, off, s[0:3], 0 offset:124
	buffer_load_dword v54, off, s[0:3], 0 offset:132
	;; [unrolled: 1-line block ×48, first 2 shown]
	v_mov_b32_e32 v4, 0
	ds_read2_b64 v[6:9], v4 offset0:61 offset1:62
	ds_read2_b64 v[10:13], v4 offset0:63 offset1:64
	;; [unrolled: 1-line block ×6, first 2 shown]
	v_cmp_lt_u32_e32 vcc, 13, v0
	s_waitcnt vmcnt(47) lgkmcnt(5)
	v_mul_f32_e32 v30, v6, v5
	s_waitcnt vmcnt(46)
	v_mul_f32_e32 v31, v8, v54
	s_waitcnt vmcnt(45) lgkmcnt(4)
	v_mul_f32_e32 v32, v10, v56
	s_waitcnt vmcnt(44)
	v_mul_f32_e32 v33, v12, v58
	;; [unrolled: 4-line block ×6, first 2 shown]
	s_waitcnt vmcnt(35)
	v_fmac_f32_e32 v30, v7, v176
	s_waitcnt vmcnt(34)
	v_fmac_f32_e32 v31, v9, v177
	v_add_f32_e32 v30, 0, v30
	s_waitcnt vmcnt(33)
	v_fmac_f32_e32 v32, v11, v178
	v_add_f32_e32 v30, v30, v31
	;; [unrolled: 3-line block ×8, first 2 shown]
	v_add_f32_e32 v34, v30, v38
	ds_read2_b64 v[30:33], v4 offset0:73 offset1:74
	s_waitcnt vmcnt(26)
	v_fmac_f32_e32 v39, v25, v185
	s_waitcnt vmcnt(25)
	v_fmac_f32_e32 v40, v27, v186
	v_add_f32_e32 v34, v34, v39
	s_waitcnt vmcnt(24)
	v_fmac_f32_e32 v41, v29, v187
	v_add_f32_e32 v34, v34, v40
	v_add_f32_e32 v38, v34, v41
	ds_read2_b64 v[34:37], v4 offset0:75 offset1:76
	s_waitcnt vmcnt(23) lgkmcnt(1)
	v_mul_f32_e32 v39, v30, v188
	s_waitcnt vmcnt(22)
	v_fmac_f32_e32 v39, v31, v189
	v_add_f32_e32 v38, v38, v39
	s_waitcnt vmcnt(21)
	v_mul_f32_e32 v39, v32, v190
	s_waitcnt vmcnt(20)
	v_fmac_f32_e32 v39, v33, v191
	v_add_f32_e32 v38, v38, v39
	s_waitcnt vmcnt(19) lgkmcnt(0)
	v_mul_f32_e32 v39, v34, v192
	s_waitcnt vmcnt(18)
	v_fmac_f32_e32 v39, v35, v193
	v_add_f32_e32 v42, v38, v39
	ds_read2_b64 v[38:41], v4 offset0:77 offset1:78
	s_waitcnt vmcnt(17)
	v_mul_f32_e32 v43, v36, v194
	s_waitcnt vmcnt(16)
	v_fmac_f32_e32 v43, v37, v195
	v_add_f32_e32 v46, v42, v43
	ds_read2_b64 v[42:45], v4 offset0:79 offset1:80
	s_waitcnt vmcnt(15) lgkmcnt(1)
	v_mul_f32_e32 v47, v38, v196
	s_waitcnt vmcnt(14)
	v_fmac_f32_e32 v47, v39, v197
	v_add_f32_e32 v46, v46, v47
	s_waitcnt vmcnt(13)
	v_mul_f32_e32 v47, v40, v198
	s_waitcnt vmcnt(12)
	v_fmac_f32_e32 v47, v41, v199
	v_add_f32_e32 v46, v46, v47
	s_waitcnt vmcnt(11) lgkmcnt(0)
	v_mul_f32_e32 v47, v42, v200
	s_waitcnt vmcnt(10)
	v_fmac_f32_e32 v47, v43, v201
	s_waitcnt vmcnt(9)
	v_mul_f32_e32 v51, v44, v202
	v_add_f32_e32 v50, v46, v47
	s_waitcnt vmcnt(8)
	v_fmac_f32_e32 v51, v45, v203
	ds_read2_b64 v[46:49], v4 offset0:81 offset1:82
	v_add_f32_e32 v55, v50, v51
	ds_read2_b64 v[50:53], v4 offset0:83 offset1:84
	buffer_load_dword v61, off, s[0:3], 0 offset:332
	buffer_load_dword v60, off, s[0:3], 0 offset:328
	buffer_load_dword v63, off, s[0:3], 0 offset:324
	buffer_load_dword v62, off, s[0:3], 0 offset:320
	buffer_load_dword v65, off, s[0:3], 0 offset:316
	buffer_load_dword v64, off, s[0:3], 0 offset:312
	buffer_load_dword v67, off, s[0:3], 0 offset:308
	buffer_load_dword v66, off, s[0:3], 0 offset:304
	buffer_load_dword v69, off, s[0:3], 0 offset:364
	buffer_load_dword v68, off, s[0:3], 0 offset:360
	buffer_load_dword v71, off, s[0:3], 0 offset:356
	buffer_load_dword v70, off, s[0:3], 0 offset:352
	buffer_load_dword v73, off, s[0:3], 0 offset:348
	buffer_load_dword v72, off, s[0:3], 0 offset:344
	buffer_load_dword v75, off, s[0:3], 0 offset:340
	buffer_load_dword v74, off, s[0:3], 0 offset:336
	v_mul_f32_e32 v5, v7, v5
	v_fma_f32 v5, v6, v176, -v5
	v_mul_f32_e32 v6, v9, v54
	v_add_f32_e32 v5, 0, v5
	v_fma_f32 v6, v8, v177, -v6
	v_add_f32_e32 v5, v5, v6
	v_mul_f32_e32 v6, v11, v56
	v_fma_f32 v6, v10, v178, -v6
	v_add_f32_e32 v5, v5, v6
	v_mul_f32_e32 v6, v13, v58
	;; [unrolled: 3-line block ×18, first 2 shown]
	v_fma_f32 v6, v44, v203, -v6
	s_waitcnt vmcnt(22) lgkmcnt(1)
	v_mul_f32_e32 v57, v46, v205
	v_add_f32_e32 v5, v5, v6
	v_mul_f32_e32 v6, v47, v205
	v_fmac_f32_e32 v57, v47, v204
	v_fma_f32 v6, v46, v204, -v6
	v_add_f32_e32 v55, v55, v57
	s_waitcnt vmcnt(19)
	v_mul_f32_e32 v57, v48, v206
	v_add_f32_e32 v54, v5, v6
	v_mul_f32_e32 v5, v49, v206
	s_waitcnt vmcnt(18)
	v_fmac_f32_e32 v57, v49, v207
	s_waitcnt vmcnt(17) lgkmcnt(0)
	v_mul_f32_e32 v59, v50, v208
	s_waitcnt vmcnt(9)
	v_mov_b32_e32 v22, v67
	v_pk_mul_f32 v[22:23], v[52:53], v[22:23] op_sel_hi:[1,0]
	v_fma_f32 v56, v48, v207, -v5
	v_mul_f32_e32 v5, v51, v208
	ds_read2_b64 v[6:9], v4 offset0:85 offset1:86
	ds_read2_b64 v[10:13], v4 offset0:87 offset1:88
	;; [unrolled: 1-line block ×3, first 2 shown]
	ds_read_b64 v[18:19], v4 offset:728
	s_waitcnt vmcnt(8)
	v_pk_fma_f32 v[24:25], v[52:53], v[66:67], v[22:23] op_sel:[0,0,1] op_sel_hi:[1,1,0] neg_lo:[0,0,1] neg_hi:[0,0,1]
	v_pk_fma_f32 v[22:23], v[52:53], v[66:67], v[22:23] op_sel:[0,0,1] op_sel_hi:[1,0,0]
	v_fmac_f32_e32 v59, v51, v209
	v_fma_f32 v58, v50, v209, -v5
	v_pk_add_f32 v[20:21], v[54:55], v[56:57]
	v_mov_b32_e32 v22, v65
	v_pk_add_f32 v[20:21], v[20:21], v[58:59]
	v_mov_b32_e32 v25, v23
	s_waitcnt lgkmcnt(3)
	v_pk_mul_f32 v[22:23], v[6:7], v[22:23] op_sel_hi:[1,0]
	v_pk_add_f32 v[20:21], v[20:21], v[24:25]
	v_pk_fma_f32 v[24:25], v[6:7], v[64:65], v[22:23] op_sel:[0,0,1] op_sel_hi:[1,1,0] neg_lo:[0,0,1] neg_hi:[0,0,1]
	v_pk_fma_f32 v[6:7], v[6:7], v[64:65], v[22:23] op_sel:[0,0,1] op_sel_hi:[1,0,0]
	v_mov_b32_e32 v25, v7
	v_pk_add_f32 v[6:7], v[20:21], v[24:25]
	v_mov_b32_e32 v20, v63
	v_pk_mul_f32 v[20:21], v[8:9], v[20:21] op_sel_hi:[1,0]
	v_pk_fma_f32 v[22:23], v[8:9], v[62:63], v[20:21] op_sel:[0,0,1] op_sel_hi:[1,1,0] neg_lo:[0,0,1] neg_hi:[0,0,1]
	v_pk_fma_f32 v[8:9], v[8:9], v[62:63], v[20:21] op_sel:[0,0,1] op_sel_hi:[1,0,0]
	v_mov_b32_e32 v8, v61
	v_mov_b32_e32 v23, v9
	s_waitcnt lgkmcnt(2)
	v_pk_mul_f32 v[8:9], v[10:11], v[8:9] op_sel_hi:[1,0]
	v_pk_fma_f32 v[20:21], v[10:11], v[60:61], v[8:9] op_sel:[0,0,1] op_sel_hi:[1,1,0] neg_lo:[0,0,1] neg_hi:[0,0,1]
	v_pk_fma_f32 v[8:9], v[10:11], v[60:61], v[8:9] op_sel:[0,0,1] op_sel_hi:[1,0,0]
	s_waitcnt vmcnt(1)
	v_mov_b32_e32 v8, v75
	v_mov_b32_e32 v21, v9
	v_pk_mul_f32 v[8:9], v[12:13], v[8:9] op_sel_hi:[1,0]
	s_waitcnt vmcnt(0)
	v_pk_fma_f32 v[10:11], v[12:13], v[74:75], v[8:9] op_sel:[0,0,1] op_sel_hi:[1,1,0] neg_lo:[0,0,1] neg_hi:[0,0,1]
	v_pk_fma_f32 v[8:9], v[12:13], v[74:75], v[8:9] op_sel:[0,0,1] op_sel_hi:[1,0,0]
	v_pk_add_f32 v[6:7], v[6:7], v[22:23]
	v_mov_b32_e32 v8, v73
	v_pk_add_f32 v[6:7], v[6:7], v[20:21]
	v_mov_b32_e32 v11, v9
	s_waitcnt lgkmcnt(1)
	v_pk_mul_f32 v[8:9], v[14:15], v[8:9] op_sel_hi:[1,0]
	v_pk_add_f32 v[6:7], v[6:7], v[10:11]
	v_pk_fma_f32 v[10:11], v[14:15], v[72:73], v[8:9] op_sel:[0,0,1] op_sel_hi:[1,1,0] neg_lo:[0,0,1] neg_hi:[0,0,1]
	v_pk_fma_f32 v[8:9], v[14:15], v[72:73], v[8:9] op_sel:[0,0,1] op_sel_hi:[1,0,0]
	v_mov_b32_e32 v8, v71
	v_mov_b32_e32 v11, v9
	v_pk_mul_f32 v[8:9], v[16:17], v[8:9] op_sel_hi:[1,0]
	v_pk_add_f32 v[6:7], v[6:7], v[10:11]
	v_pk_fma_f32 v[10:11], v[16:17], v[70:71], v[8:9] op_sel:[0,0,1] op_sel_hi:[1,1,0] neg_lo:[0,0,1] neg_hi:[0,0,1]
	v_pk_fma_f32 v[8:9], v[16:17], v[70:71], v[8:9] op_sel:[0,0,1] op_sel_hi:[1,0,0]
	v_mov_b32_e32 v8, v69
	v_mov_b32_e32 v11, v9
	s_waitcnt lgkmcnt(0)
	v_pk_mul_f32 v[8:9], v[18:19], v[8:9] op_sel_hi:[1,0]
	v_pk_add_f32 v[6:7], v[6:7], v[10:11]
	v_pk_fma_f32 v[10:11], v[18:19], v[68:69], v[8:9] op_sel:[0,0,1] op_sel_hi:[1,1,0] neg_lo:[0,0,1] neg_hi:[0,0,1]
	v_pk_fma_f32 v[8:9], v[18:19], v[68:69], v[8:9] op_sel:[0,0,1] op_sel_hi:[1,0,0]
	v_mov_b32_e32 v11, v9
	v_pk_add_f32 v[6:7], v[6:7], v[10:11]
	v_pk_add_f32 v[2:3], v[2:3], v[6:7] neg_lo:[0,1] neg_hi:[0,1]
	buffer_store_dword v3, off, s[0:3], 0 offset:116
	buffer_store_dword v2, off, s[0:3], 0 offset:112
	s_and_saveexec_b64 s[4:5], vcc
	s_cbranch_execz .LBB45_263
; %bb.262:
	buffer_load_dword v2, off, s[0:3], 0 offset:104
	buffer_load_dword v3, off, s[0:3], 0 offset:108
	s_waitcnt vmcnt(0)
	ds_write_b64 v80, v[2:3]
	buffer_store_dword v4, off, s[0:3], 0 offset:104
	buffer_store_dword v4, off, s[0:3], 0 offset:108
.LBB45_263:
	s_or_b64 exec, exec, s[4:5]
	s_waitcnt lgkmcnt(0)
	; wave barrier
	s_waitcnt lgkmcnt(0)
	buffer_load_dword v5, off, s[0:3], 0 offset:116
	buffer_load_dword v54, off, s[0:3], 0 offset:124
	;; [unrolled: 1-line block ×48, first 2 shown]
	ds_read_b128 v[6:9], v4 offset:480
	ds_read_b128 v[10:13], v4 offset:496
	;; [unrolled: 1-line block ×6, first 2 shown]
	buffer_load_dword v210, off, s[0:3], 0 offset:296
	buffer_load_dword v211, off, s[0:3], 0 offset:300
	v_cmp_lt_u32_e32 vcc, 12, v0
	s_waitcnt vmcnt(49) lgkmcnt(5)
	v_mul_f32_e32 v30, v6, v5
	s_waitcnt vmcnt(48)
	v_mul_f32_e32 v31, v8, v54
	s_waitcnt vmcnt(47) lgkmcnt(4)
	v_mul_f32_e32 v32, v10, v56
	s_waitcnt vmcnt(46)
	v_mul_f32_e32 v33, v12, v64
	;; [unrolled: 4-line block ×6, first 2 shown]
	s_waitcnt vmcnt(37)
	v_fmac_f32_e32 v30, v7, v176
	s_waitcnt vmcnt(36)
	v_fmac_f32_e32 v31, v9, v177
	v_add_f32_e32 v30, 0, v30
	s_waitcnt vmcnt(35)
	v_fmac_f32_e32 v32, v11, v178
	v_add_f32_e32 v30, v30, v31
	;; [unrolled: 3-line block ×9, first 2 shown]
	v_add_f32_e32 v34, v30, v39
	ds_read_b128 v[30:33], v4 offset:576
	s_waitcnt vmcnt(27)
	v_fmac_f32_e32 v40, v27, v186
	v_add_f32_e32 v34, v34, v40
	s_waitcnt vmcnt(26)
	v_fmac_f32_e32 v41, v29, v187
	v_add_f32_e32 v38, v34, v41
	ds_read_b128 v[34:37], v4 offset:592
	s_waitcnt vmcnt(25) lgkmcnt(1)
	v_mul_f32_e32 v39, v30, v188
	s_waitcnt vmcnt(24)
	v_fmac_f32_e32 v39, v31, v189
	v_add_f32_e32 v38, v38, v39
	s_waitcnt vmcnt(23)
	v_mul_f32_e32 v39, v32, v190
	s_waitcnt vmcnt(22)
	v_fmac_f32_e32 v39, v33, v191
	v_add_f32_e32 v38, v38, v39
	s_waitcnt vmcnt(21) lgkmcnt(0)
	v_mul_f32_e32 v39, v34, v192
	s_waitcnt vmcnt(20)
	v_fmac_f32_e32 v39, v35, v193
	v_add_f32_e32 v42, v38, v39
	ds_read_b128 v[38:41], v4 offset:608
	s_waitcnt vmcnt(19)
	v_mul_f32_e32 v43, v36, v194
	s_waitcnt vmcnt(18)
	v_fmac_f32_e32 v43, v37, v195
	v_add_f32_e32 v46, v42, v43
	ds_read_b128 v[42:45], v4 offset:624
	s_waitcnt vmcnt(17) lgkmcnt(1)
	v_mul_f32_e32 v47, v38, v196
	s_waitcnt vmcnt(16)
	v_fmac_f32_e32 v47, v39, v197
	v_add_f32_e32 v46, v46, v47
	s_waitcnt vmcnt(15)
	v_mul_f32_e32 v47, v40, v198
	s_waitcnt vmcnt(14)
	v_fmac_f32_e32 v47, v41, v199
	v_add_f32_e32 v46, v46, v47
	s_waitcnt vmcnt(13) lgkmcnt(0)
	v_mul_f32_e32 v47, v42, v200
	s_waitcnt vmcnt(12)
	v_fmac_f32_e32 v47, v43, v201
	s_waitcnt vmcnt(11)
	v_mul_f32_e32 v51, v44, v202
	v_add_f32_e32 v50, v46, v47
	s_waitcnt vmcnt(10)
	v_fmac_f32_e32 v51, v45, v203
	ds_read_b128 v[46:49], v4 offset:640
	v_add_f32_e32 v55, v50, v51
	ds_read_b128 v[50:53], v4 offset:656
	buffer_load_dword v59, off, s[0:3], 0 offset:324
	buffer_load_dword v58, off, s[0:3], 0 offset:320
	;; [unrolled: 1-line block ×16, first 2 shown]
	v_mul_f32_e32 v5, v7, v5
	v_fma_f32 v5, v6, v176, -v5
	v_mul_f32_e32 v6, v9, v54
	v_add_f32_e32 v5, 0, v5
	v_fma_f32 v6, v8, v177, -v6
	v_add_f32_e32 v5, v5, v6
	v_mul_f32_e32 v6, v11, v56
	v_fma_f32 v6, v10, v178, -v6
	v_add_f32_e32 v5, v5, v6
	v_mul_f32_e32 v6, v13, v64
	;; [unrolled: 3-line block ×18, first 2 shown]
	v_fma_f32 v6, v44, v203, -v6
	v_add_f32_e32 v5, v5, v6
	s_waitcnt vmcnt(23) lgkmcnt(1)
	v_mul_f32_e32 v6, v47, v204
	s_waitcnt vmcnt(22)
	v_fma_f32 v6, v46, v205, -v6
	v_add_f32_e32 v5, v5, v6
	s_waitcnt vmcnt(20)
	v_mul_f32_e32 v6, v49, v207
	v_fma_f32 v6, v48, v206, -v6
	v_add_f32_e32 v54, v5, v6
	ds_read_b128 v[6:9], v4 offset:672
	ds_read_b128 v[10:13], v4 offset:688
	;; [unrolled: 1-line block ×4, first 2 shown]
	v_mul_f32_e32 v57, v46, v204
	v_fmac_f32_e32 v57, v47, v205
	v_add_f32_e32 v55, v55, v57
	v_mul_f32_e32 v57, v48, v207
	v_fmac_f32_e32 v57, v49, v206
	v_add_f32_e32 v55, v55, v57
	s_waitcnt vmcnt(18) lgkmcnt(4)
	v_mul_f32_e32 v57, v50, v209
	v_mul_f32_e32 v5, v51, v209
	v_fmac_f32_e32 v57, v51, v208
	s_waitcnt vmcnt(16)
	v_mul_f32_e32 v65, v52, v211
	s_waitcnt vmcnt(11)
	v_mov_b32_e32 v22, v63
	s_waitcnt lgkmcnt(3)
	v_pk_mul_f32 v[22:23], v[6:7], v[22:23] op_sel_hi:[1,0]
	s_waitcnt vmcnt(10)
	v_pk_fma_f32 v[24:25], v[6:7], v[62:63], v[22:23] op_sel:[0,0,1] op_sel_hi:[1,1,0] neg_lo:[0,0,1] neg_hi:[0,0,1]
	v_pk_fma_f32 v[6:7], v[6:7], v[62:63], v[22:23] op_sel:[0,0,1] op_sel_hi:[1,0,0]
	v_mov_b32_e32 v6, v61
	v_mov_b32_e32 v25, v7
	v_pk_mul_f32 v[6:7], v[8:9], v[6:7] op_sel_hi:[1,0]
	v_pk_fma_f32 v[22:23], v[8:9], v[60:61], v[6:7] op_sel:[0,0,1] op_sel_hi:[1,1,0] neg_lo:[0,0,1] neg_hi:[0,0,1]
	v_pk_fma_f32 v[6:7], v[8:9], v[60:61], v[6:7] op_sel:[0,0,1] op_sel_hi:[1,0,0]
	v_fma_f32 v56, v50, v208, -v5
	v_mul_f32_e32 v5, v53, v211
	v_mov_b32_e32 v6, v59
	v_fmac_f32_e32 v65, v53, v210
	v_fma_f32 v64, v52, v210, -v5
	v_pk_add_f32 v[4:5], v[54:55], v[56:57]
	v_mov_b32_e32 v23, v7
	s_waitcnt lgkmcnt(2)
	v_pk_mul_f32 v[6:7], v[10:11], v[6:7] op_sel_hi:[1,0]
	v_pk_add_f32 v[4:5], v[4:5], v[64:65]
	v_pk_fma_f32 v[8:9], v[10:11], v[58:59], v[6:7] op_sel:[0,0,1] op_sel_hi:[1,1,0] neg_lo:[0,0,1] neg_hi:[0,0,1]
	v_pk_fma_f32 v[6:7], v[10:11], v[58:59], v[6:7] op_sel:[0,0,1] op_sel_hi:[1,0,0]
	v_pk_add_f32 v[4:5], v[4:5], v[24:25]
	s_waitcnt vmcnt(3)
	v_mov_b32_e32 v6, v73
	v_pk_add_f32 v[4:5], v[4:5], v[22:23]
	v_mov_b32_e32 v9, v7
	v_pk_mul_f32 v[6:7], v[12:13], v[6:7] op_sel_hi:[1,0]
	v_pk_add_f32 v[4:5], v[4:5], v[8:9]
	s_waitcnt vmcnt(2)
	v_pk_fma_f32 v[8:9], v[12:13], v[72:73], v[6:7] op_sel:[0,0,1] op_sel_hi:[1,1,0] neg_lo:[0,0,1] neg_hi:[0,0,1]
	v_pk_fma_f32 v[6:7], v[12:13], v[72:73], v[6:7] op_sel:[0,0,1] op_sel_hi:[1,0,0]
	v_mov_b32_e32 v6, v71
	v_mov_b32_e32 v9, v7
	s_waitcnt lgkmcnt(1)
	v_pk_mul_f32 v[6:7], v[14:15], v[6:7] op_sel_hi:[1,0]
	v_pk_add_f32 v[4:5], v[4:5], v[8:9]
	v_pk_fma_f32 v[8:9], v[14:15], v[70:71], v[6:7] op_sel:[0,0,1] op_sel_hi:[1,1,0] neg_lo:[0,0,1] neg_hi:[0,0,1]
	v_pk_fma_f32 v[6:7], v[14:15], v[70:71], v[6:7] op_sel:[0,0,1] op_sel_hi:[1,0,0]
	v_mov_b32_e32 v6, v69
	v_mov_b32_e32 v9, v7
	v_pk_mul_f32 v[6:7], v[16:17], v[6:7] op_sel_hi:[1,0]
	v_pk_add_f32 v[4:5], v[4:5], v[8:9]
	v_pk_fma_f32 v[8:9], v[16:17], v[68:69], v[6:7] op_sel:[0,0,1] op_sel_hi:[1,1,0] neg_lo:[0,0,1] neg_hi:[0,0,1]
	v_pk_fma_f32 v[6:7], v[16:17], v[68:69], v[6:7] op_sel:[0,0,1] op_sel_hi:[1,0,0]
	v_mov_b32_e32 v6, v67
	v_mov_b32_e32 v9, v7
	s_waitcnt lgkmcnt(0)
	v_pk_mul_f32 v[6:7], v[18:19], v[6:7] op_sel_hi:[1,0]
	v_pk_add_f32 v[4:5], v[4:5], v[8:9]
	v_pk_fma_f32 v[8:9], v[18:19], v[66:67], v[6:7] op_sel:[0,0,1] op_sel_hi:[1,1,0] neg_lo:[0,0,1] neg_hi:[0,0,1]
	v_pk_fma_f32 v[6:7], v[18:19], v[66:67], v[6:7] op_sel:[0,0,1] op_sel_hi:[1,0,0]
	s_waitcnt vmcnt(1)
	v_mov_b32_e32 v6, v75
	v_mov_b32_e32 v9, v7
	v_pk_mul_f32 v[6:7], v[20:21], v[6:7] op_sel_hi:[1,0]
	v_pk_add_f32 v[4:5], v[4:5], v[8:9]
	s_waitcnt vmcnt(0)
	v_pk_fma_f32 v[8:9], v[20:21], v[74:75], v[6:7] op_sel:[0,0,1] op_sel_hi:[1,1,0] neg_lo:[0,0,1] neg_hi:[0,0,1]
	v_pk_fma_f32 v[6:7], v[20:21], v[74:75], v[6:7] op_sel:[0,0,1] op_sel_hi:[1,0,0]
	v_mov_b32_e32 v9, v7
	v_pk_add_f32 v[4:5], v[4:5], v[8:9]
	v_pk_add_f32 v[2:3], v[2:3], v[4:5] neg_lo:[0,1] neg_hi:[0,1]
	buffer_store_dword v3, off, s[0:3], 0 offset:108
	buffer_store_dword v2, off, s[0:3], 0 offset:104
	s_and_saveexec_b64 s[4:5], vcc
	s_cbranch_execz .LBB45_265
; %bb.264:
	buffer_load_dword v2, off, s[0:3], 0 offset:96
	buffer_load_dword v3, off, s[0:3], 0 offset:100
	v_mov_b32_e32 v4, 0
	buffer_store_dword v4, off, s[0:3], 0 offset:96
	buffer_store_dword v4, off, s[0:3], 0 offset:100
	s_waitcnt vmcnt(2)
	ds_write_b64 v80, v[2:3]
.LBB45_265:
	s_or_b64 exec, exec, s[4:5]
	s_waitcnt lgkmcnt(0)
	; wave barrier
	s_waitcnt lgkmcnt(0)
	buffer_load_dword v5, off, s[0:3], 0 offset:108
	buffer_load_dword v62, off, s[0:3], 0 offset:116
	;; [unrolled: 1-line block ×52, first 2 shown]
	v_mov_b32_e32 v4, 0
	ds_read2_b64 v[6:9], v4 offset0:59 offset1:60
	ds_read2_b64 v[10:13], v4 offset0:61 offset1:62
	;; [unrolled: 1-line block ×6, first 2 shown]
	v_cmp_lt_u32_e32 vcc, 11, v0
	s_waitcnt vmcnt(51) lgkmcnt(5)
	v_mul_f32_e32 v30, v6, v5
	s_waitcnt vmcnt(50)
	v_mul_f32_e32 v31, v8, v62
	s_waitcnt vmcnt(49) lgkmcnt(4)
	v_mul_f32_e32 v32, v10, v68
	s_waitcnt vmcnt(48)
	v_mul_f32_e32 v33, v12, v70
	;; [unrolled: 4-line block ×5, first 2 shown]
	s_waitcnt vmcnt(41) lgkmcnt(0)
	v_mul_f32_e32 v40, v26, v182
	s_waitcnt vmcnt(40)
	v_fmac_f32_e32 v30, v7, v183
	s_waitcnt vmcnt(39)
	v_fmac_f32_e32 v31, v9, v184
	v_add_f32_e32 v30, 0, v30
	s_waitcnt vmcnt(38)
	v_fmac_f32_e32 v32, v11, v185
	v_add_f32_e32 v30, v30, v31
	;; [unrolled: 3-line block ×9, first 2 shown]
	v_add_f32_e32 v30, v30, v39
	s_waitcnt vmcnt(30)
	v_fmac_f32_e32 v40, v27, v193
	v_add_f32_e32 v34, v30, v40
	ds_read2_b64 v[30:33], v4 offset0:71 offset1:72
	s_waitcnt vmcnt(29)
	v_mul_f32_e32 v35, v28, v194
	s_waitcnt vmcnt(28)
	v_fmac_f32_e32 v35, v29, v195
	v_add_f32_e32 v38, v34, v35
	ds_read2_b64 v[34:37], v4 offset0:73 offset1:74
	s_waitcnt vmcnt(27) lgkmcnt(1)
	v_mul_f32_e32 v39, v30, v196
	s_waitcnt vmcnt(26)
	v_fmac_f32_e32 v39, v31, v197
	v_add_f32_e32 v38, v38, v39
	s_waitcnt vmcnt(25)
	v_mul_f32_e32 v39, v32, v198
	s_waitcnt vmcnt(24)
	v_fmac_f32_e32 v39, v33, v199
	v_add_f32_e32 v38, v38, v39
	s_waitcnt vmcnt(23) lgkmcnt(0)
	v_mul_f32_e32 v39, v34, v200
	s_waitcnt vmcnt(22)
	v_fmac_f32_e32 v39, v35, v201
	v_add_f32_e32 v42, v38, v39
	ds_read2_b64 v[38:41], v4 offset0:75 offset1:76
	s_waitcnt vmcnt(21)
	v_mul_f32_e32 v43, v36, v202
	s_waitcnt vmcnt(20)
	v_fmac_f32_e32 v43, v37, v203
	v_add_f32_e32 v46, v42, v43
	ds_read2_b64 v[42:45], v4 offset0:77 offset1:78
	s_waitcnt vmcnt(19) lgkmcnt(1)
	v_mul_f32_e32 v47, v38, v204
	s_waitcnt vmcnt(18)
	v_fmac_f32_e32 v47, v39, v205
	v_add_f32_e32 v46, v46, v47
	s_waitcnt vmcnt(17)
	v_mul_f32_e32 v47, v40, v206
	s_waitcnt vmcnt(16)
	v_fmac_f32_e32 v47, v41, v207
	v_add_f32_e32 v46, v46, v47
	s_waitcnt vmcnt(14) lgkmcnt(0)
	v_mul_f32_e32 v47, v42, v209
	v_fmac_f32_e32 v47, v43, v208
	v_add_f32_e32 v50, v46, v47
	ds_read2_b64 v[46:49], v4 offset0:79 offset1:80
	s_waitcnt vmcnt(10)
	v_mul_f32_e32 v51, v44, v211
	v_fmac_f32_e32 v51, v45, v210
	v_add_f32_e32 v54, v50, v51
	ds_read2_b64 v[50:53], v4 offset0:81 offset1:82
	s_waitcnt vmcnt(8) lgkmcnt(1)
	v_mul_f32_e32 v55, v46, v213
	v_fmac_f32_e32 v55, v47, v212
	v_add_f32_e32 v54, v54, v55
	s_waitcnt vmcnt(6)
	v_mul_f32_e32 v55, v48, v215
	v_fmac_f32_e32 v55, v49, v214
	v_add_f32_e32 v54, v54, v55
	s_waitcnt vmcnt(4) lgkmcnt(0)
	v_mul_f32_e32 v55, v50, v217
	v_fmac_f32_e32 v55, v51, v216
	v_add_f32_e32 v63, v54, v55
	ds_read2_b64 v[54:57], v4 offset0:83 offset1:84
	buffer_load_dword v65, off, s[0:3], 0 offset:316
	buffer_load_dword v64, off, s[0:3], 0 offset:312
	;; [unrolled: 1-line block ×4, first 2 shown]
	ds_read2_b64 v[58:61], v4 offset0:85 offset1:86
	buffer_load_dword v73, off, s[0:3], 0 offset:348
	buffer_load_dword v72, off, s[0:3], 0 offset:344
	;; [unrolled: 1-line block ×12, first 2 shown]
	v_mul_f32_e32 v5, v7, v5
	v_fma_f32 v5, v6, v183, -v5
	v_mul_f32_e32 v6, v9, v62
	v_add_f32_e32 v5, 0, v5
	v_fma_f32 v6, v8, v184, -v6
	v_add_f32_e32 v5, v5, v6
	v_mul_f32_e32 v6, v11, v68
	v_fma_f32 v6, v10, v185, -v6
	v_add_f32_e32 v5, v5, v6
	v_mul_f32_e32 v6, v13, v70
	;; [unrolled: 3-line block ×21, first 2 shown]
	v_fma_f32 v6, v50, v216, -v6
	s_waitcnt vmcnt(18)
	v_mul_f32_e32 v69, v52, v219
	v_add_f32_e32 v62, v5, v6
	v_mul_f32_e32 v5, v53, v219
	v_fmac_f32_e32 v69, v53, v218
	s_waitcnt vmcnt(16) lgkmcnt(1)
	v_mul_f32_e32 v71, v54, v221
	v_fma_f32 v68, v52, v218, -v5
	v_mul_f32_e32 v5, v55, v221
	v_fmac_f32_e32 v71, v55, v220
	s_waitcnt vmcnt(13)
	v_mov_b32_e32 v18, v67
	v_pk_mul_f32 v[18:19], v[56:57], v[18:19] op_sel_hi:[1,0]
	s_waitcnt vmcnt(12)
	v_pk_fma_f32 v[20:21], v[56:57], v[66:67], v[18:19] op_sel:[0,0,1] op_sel_hi:[1,1,0] neg_lo:[0,0,1] neg_hi:[0,0,1]
	v_pk_fma_f32 v[18:19], v[56:57], v[66:67], v[18:19] op_sel:[0,0,1] op_sel_hi:[1,0,0]
	v_fma_f32 v70, v54, v220, -v5
	v_pk_add_f32 v[16:17], v[62:63], v[68:69]
	v_mov_b32_e32 v18, v65
	v_pk_add_f32 v[16:17], v[16:17], v[70:71]
	v_mov_b32_e32 v21, v19
	s_waitcnt lgkmcnt(0)
	v_pk_mul_f32 v[18:19], v[58:59], v[18:19] op_sel_hi:[1,0]
	v_pk_add_f32 v[16:17], v[16:17], v[20:21]
	v_pk_fma_f32 v[20:21], v[58:59], v[64:65], v[18:19] op_sel:[0,0,1] op_sel_hi:[1,1,0] neg_lo:[0,0,1] neg_hi:[0,0,1]
	v_pk_fma_f32 v[18:19], v[58:59], v[64:65], v[18:19] op_sel:[0,0,1] op_sel_hi:[1,0,0]
	s_waitcnt vmcnt(5)
	v_mov_b32_e32 v18, v171
	ds_read2_b64 v[6:9], v4 offset0:87 offset1:88
	ds_read2_b64 v[10:13], v4 offset0:89 offset1:90
	ds_read_b64 v[14:15], v4 offset:728
	v_mov_b32_e32 v21, v19
	v_pk_mul_f32 v[18:19], v[60:61], v[18:19] op_sel_hi:[1,0]
	v_pk_add_f32 v[16:17], v[16:17], v[20:21]
	s_waitcnt vmcnt(4)
	v_pk_fma_f32 v[20:21], v[60:61], v[170:171], v[18:19] op_sel:[0,0,1] op_sel_hi:[1,1,0] neg_lo:[0,0,1] neg_hi:[0,0,1]
	v_pk_fma_f32 v[18:19], v[60:61], v[170:171], v[18:19] op_sel:[0,0,1] op_sel_hi:[1,0,0]
	v_mov_b32_e32 v18, v169
	v_mov_b32_e32 v21, v19
	s_waitcnt lgkmcnt(2)
	v_pk_mul_f32 v[18:19], v[6:7], v[18:19] op_sel_hi:[1,0]
	v_pk_add_f32 v[16:17], v[16:17], v[20:21]
	v_pk_fma_f32 v[20:21], v[6:7], v[168:169], v[18:19] op_sel:[0,0,1] op_sel_hi:[1,1,0] neg_lo:[0,0,1] neg_hi:[0,0,1]
	v_pk_fma_f32 v[6:7], v[6:7], v[168:169], v[18:19] op_sel:[0,0,1] op_sel_hi:[1,0,0]
	v_mov_b32_e32 v21, v7
	v_pk_add_f32 v[6:7], v[16:17], v[20:21]
	v_mov_b32_e32 v16, v75
	v_pk_mul_f32 v[16:17], v[8:9], v[16:17] op_sel_hi:[1,0]
	v_pk_fma_f32 v[18:19], v[8:9], v[74:75], v[16:17] op_sel:[0,0,1] op_sel_hi:[1,1,0] neg_lo:[0,0,1] neg_hi:[0,0,1]
	v_pk_fma_f32 v[8:9], v[8:9], v[74:75], v[16:17] op_sel:[0,0,1] op_sel_hi:[1,0,0]
	v_mov_b32_e32 v8, v73
	v_mov_b32_e32 v19, v9
	s_waitcnt lgkmcnt(1)
	v_pk_mul_f32 v[8:9], v[10:11], v[8:9] op_sel_hi:[1,0]
	v_pk_fma_f32 v[16:17], v[10:11], v[72:73], v[8:9] op_sel:[0,0,1] op_sel_hi:[1,1,0] neg_lo:[0,0,1] neg_hi:[0,0,1]
	v_pk_fma_f32 v[8:9], v[10:11], v[72:73], v[8:9] op_sel:[0,0,1] op_sel_hi:[1,0,0]
	s_waitcnt vmcnt(1)
	v_mov_b32_e32 v8, v175
	v_mov_b32_e32 v17, v9
	v_pk_mul_f32 v[8:9], v[12:13], v[8:9] op_sel_hi:[1,0]
	s_waitcnt vmcnt(0)
	v_pk_fma_f32 v[10:11], v[12:13], v[174:175], v[8:9] op_sel:[0,0,1] op_sel_hi:[1,1,0] neg_lo:[0,0,1] neg_hi:[0,0,1]
	v_pk_fma_f32 v[8:9], v[12:13], v[174:175], v[8:9] op_sel:[0,0,1] op_sel_hi:[1,0,0]
	v_pk_add_f32 v[6:7], v[6:7], v[18:19]
	v_mov_b32_e32 v8, v173
	v_pk_add_f32 v[6:7], v[6:7], v[16:17]
	v_mov_b32_e32 v11, v9
	s_waitcnt lgkmcnt(0)
	v_pk_mul_f32 v[8:9], v[14:15], v[8:9] op_sel_hi:[1,0]
	v_pk_add_f32 v[6:7], v[6:7], v[10:11]
	v_pk_fma_f32 v[10:11], v[14:15], v[172:173], v[8:9] op_sel:[0,0,1] op_sel_hi:[1,1,0] neg_lo:[0,0,1] neg_hi:[0,0,1]
	v_pk_fma_f32 v[8:9], v[14:15], v[172:173], v[8:9] op_sel:[0,0,1] op_sel_hi:[1,0,0]
	v_mov_b32_e32 v11, v9
	v_pk_add_f32 v[6:7], v[6:7], v[10:11]
	v_pk_add_f32 v[2:3], v[2:3], v[6:7] neg_lo:[0,1] neg_hi:[0,1]
	buffer_store_dword v3, off, s[0:3], 0 offset:100
	buffer_store_dword v2, off, s[0:3], 0 offset:96
	s_and_saveexec_b64 s[4:5], vcc
	s_cbranch_execz .LBB45_267
; %bb.266:
	buffer_load_dword v2, off, s[0:3], 0 offset:88
	buffer_load_dword v3, off, s[0:3], 0 offset:92
	s_waitcnt vmcnt(0)
	ds_write_b64 v80, v[2:3]
	buffer_store_dword v4, off, s[0:3], 0 offset:88
	buffer_store_dword v4, off, s[0:3], 0 offset:92
.LBB45_267:
	s_or_b64 exec, exec, s[4:5]
	s_waitcnt lgkmcnt(0)
	; wave barrier
	s_waitcnt lgkmcnt(0)
	buffer_load_dword v5, off, s[0:3], 0 offset:100
	buffer_load_dword v64, off, s[0:3], 0 offset:108
	;; [unrolled: 1-line block ×42, first 2 shown]
	ds_read_b128 v[6:9], v4 offset:464
	ds_read_b128 v[10:13], v4 offset:480
	buffer_load_dword v212, off, s[0:3], 0 offset:256
	buffer_load_dword v213, off, s[0:3], 0 offset:260
	ds_read_b128 v[14:17], v4 offset:496
	ds_read_b128 v[18:21], v4 offset:512
	buffer_load_dword v214, off, s[0:3], 0 offset:264
	buffer_load_dword v215, off, s[0:3], 0 offset:268
	;; [unrolled: 1-line block ×4, first 2 shown]
	ds_read_b128 v[22:25], v4 offset:528
	ds_read_b128 v[26:29], v4 offset:544
	buffer_load_dword v218, off, s[0:3], 0 offset:280
	buffer_load_dword v219, off, s[0:3], 0 offset:284
	;; [unrolled: 1-line block ×6, first 2 shown]
	v_cmp_lt_u32_e32 vcc, 10, v0
	s_waitcnt vmcnt(53) lgkmcnt(5)
	v_mul_f32_e32 v30, v6, v5
	s_waitcnt vmcnt(52)
	v_mul_f32_e32 v31, v8, v64
	s_waitcnt vmcnt(51) lgkmcnt(4)
	v_mul_f32_e32 v32, v10, v66
	s_waitcnt vmcnt(50)
	v_mul_f32_e32 v33, v12, v68
	;; [unrolled: 4-line block ×5, first 2 shown]
	s_waitcnt vmcnt(43)
	v_fmac_f32_e32 v30, v7, v182
	s_waitcnt vmcnt(42)
	v_fmac_f32_e32 v31, v9, v183
	v_add_f32_e32 v30, 0, v30
	s_waitcnt vmcnt(41)
	v_fmac_f32_e32 v32, v11, v184
	v_add_f32_e32 v30, v30, v31
	;; [unrolled: 3-line block ×9, first 2 shown]
	s_waitcnt vmcnt(33) lgkmcnt(0)
	v_mul_f32_e32 v31, v26, v192
	v_add_f32_e32 v30, v30, v39
	s_waitcnt vmcnt(32)
	v_fmac_f32_e32 v31, v27, v193
	v_add_f32_e32 v34, v30, v31
	ds_read_b128 v[30:33], v4 offset:560
	s_waitcnt vmcnt(31)
	v_mul_f32_e32 v35, v28, v194
	s_waitcnt vmcnt(30)
	v_fmac_f32_e32 v35, v29, v195
	v_add_f32_e32 v38, v34, v35
	ds_read_b128 v[34:37], v4 offset:576
	s_waitcnt vmcnt(29) lgkmcnt(1)
	v_mul_f32_e32 v39, v30, v196
	s_waitcnt vmcnt(28)
	v_fmac_f32_e32 v39, v31, v197
	v_add_f32_e32 v38, v38, v39
	s_waitcnt vmcnt(27)
	v_mul_f32_e32 v39, v32, v198
	s_waitcnt vmcnt(26)
	v_fmac_f32_e32 v39, v33, v199
	v_add_f32_e32 v38, v38, v39
	s_waitcnt vmcnt(25) lgkmcnt(0)
	v_mul_f32_e32 v39, v34, v200
	s_waitcnt vmcnt(24)
	v_fmac_f32_e32 v39, v35, v201
	v_add_f32_e32 v42, v38, v39
	ds_read_b128 v[38:41], v4 offset:592
	s_waitcnt vmcnt(23)
	v_mul_f32_e32 v43, v36, v202
	s_waitcnt vmcnt(22)
	v_fmac_f32_e32 v43, v37, v203
	v_add_f32_e32 v46, v42, v43
	ds_read_b128 v[42:45], v4 offset:608
	s_waitcnt vmcnt(21) lgkmcnt(1)
	v_mul_f32_e32 v47, v38, v204
	s_waitcnt vmcnt(20)
	v_fmac_f32_e32 v47, v39, v205
	v_add_f32_e32 v46, v46, v47
	s_waitcnt vmcnt(18)
	v_mul_f32_e32 v47, v40, v207
	v_fmac_f32_e32 v47, v41, v206
	v_add_f32_e32 v46, v46, v47
	s_waitcnt vmcnt(15) lgkmcnt(0)
	v_mul_f32_e32 v47, v42, v208
	s_waitcnt vmcnt(14)
	v_fmac_f32_e32 v47, v43, v209
	v_add_f32_e32 v50, v46, v47
	ds_read_b128 v[46:49], v4 offset:624
	s_waitcnt vmcnt(12)
	v_mul_f32_e32 v51, v44, v211
	v_fmac_f32_e32 v51, v45, v210
	v_add_f32_e32 v54, v50, v51
	ds_read_b128 v[50:53], v4 offset:640
	buffer_load_dword v63, off, s[0:3], 0 offset:308
	buffer_load_dword v62, off, s[0:3], 0 offset:304
	s_waitcnt vmcnt(12) lgkmcnt(1)
	v_mul_f32_e32 v55, v46, v213
	v_fmac_f32_e32 v55, v47, v212
	v_add_f32_e32 v54, v54, v55
	s_waitcnt vmcnt(10)
	v_mul_f32_e32 v55, v48, v215
	v_fmac_f32_e32 v55, v49, v214
	v_add_f32_e32 v54, v54, v55
	s_waitcnt vmcnt(8) lgkmcnt(0)
	v_mul_f32_e32 v55, v50, v217
	v_fmac_f32_e32 v55, v51, v216
	s_waitcnt vmcnt(6)
	v_mul_f32_e32 v59, v52, v219
	v_add_f32_e32 v58, v54, v55
	v_fmac_f32_e32 v59, v53, v218
	ds_read_b128 v[54:57], v4 offset:656
	v_add_f32_e32 v65, v58, v59
	ds_read_b128 v[58:61], v4 offset:672
	buffer_load_dword v71, off, s[0:3], 0 offset:340
	buffer_load_dword v70, off, s[0:3], 0 offset:336
	;; [unrolled: 1-line block ×14, first 2 shown]
	v_mul_f32_e32 v5, v7, v5
	v_fma_f32 v5, v6, v182, -v5
	v_mul_f32_e32 v6, v9, v64
	v_add_f32_e32 v5, 0, v5
	v_fma_f32 v6, v8, v183, -v6
	v_add_f32_e32 v5, v5, v6
	v_mul_f32_e32 v6, v11, v66
	v_fma_f32 v6, v10, v184, -v6
	v_add_f32_e32 v5, v5, v6
	v_mul_f32_e32 v6, v13, v68
	;; [unrolled: 3-line block ×22, first 2 shown]
	v_fma_f32 v6, v52, v218, -v6
	s_waitcnt vmcnt(15)
	v_mov_b32_e32 v18, v63
	s_waitcnt lgkmcnt(1)
	v_mul_f32_e32 v67, v54, v221
	v_add_f32_e32 v64, v5, v6
	v_mul_f32_e32 v5, v55, v221
	s_waitcnt lgkmcnt(0)
	v_pk_mul_f32 v[18:19], v[58:59], v[18:19] op_sel_hi:[1,0]
	v_fmac_f32_e32 v67, v55, v220
	v_mul_f32_e32 v69, v56, v223
	v_fma_f32 v66, v54, v220, -v5
	v_mul_f32_e32 v5, v57, v223
	s_waitcnt vmcnt(14)
	v_pk_fma_f32 v[20:21], v[58:59], v[62:63], v[18:19] op_sel:[0,0,1] op_sel_hi:[1,1,0] neg_lo:[0,0,1] neg_hi:[0,0,1]
	v_pk_fma_f32 v[18:19], v[58:59], v[62:63], v[18:19] op_sel:[0,0,1] op_sel_hi:[1,0,0]
	v_fmac_f32_e32 v69, v57, v222
	v_fma_f32 v68, v56, v222, -v5
	ds_read_b128 v[6:9], v4 offset:688
	ds_read_b128 v[10:13], v4 offset:704
	;; [unrolled: 1-line block ×3, first 2 shown]
	v_pk_add_f32 v[4:5], v[64:65], v[66:67]
	s_waitcnt vmcnt(7)
	v_mov_b32_e32 v18, v169
	v_pk_add_f32 v[4:5], v[4:5], v[68:69]
	v_mov_b32_e32 v21, v19
	v_pk_mul_f32 v[18:19], v[60:61], v[18:19] op_sel_hi:[1,0]
	v_pk_add_f32 v[4:5], v[4:5], v[20:21]
	s_waitcnt vmcnt(6)
	v_pk_fma_f32 v[20:21], v[60:61], v[168:169], v[18:19] op_sel:[0,0,1] op_sel_hi:[1,1,0] neg_lo:[0,0,1] neg_hi:[0,0,1]
	v_pk_fma_f32 v[18:19], v[60:61], v[168:169], v[18:19] op_sel:[0,0,1] op_sel_hi:[1,0,0]
	v_mov_b32_e32 v18, v75
	v_mov_b32_e32 v21, v19
	s_waitcnt lgkmcnt(2)
	v_pk_mul_f32 v[18:19], v[6:7], v[18:19] op_sel_hi:[1,0]
	v_pk_add_f32 v[4:5], v[4:5], v[20:21]
	v_pk_fma_f32 v[20:21], v[6:7], v[74:75], v[18:19] op_sel:[0,0,1] op_sel_hi:[1,1,0] neg_lo:[0,0,1] neg_hi:[0,0,1]
	v_pk_fma_f32 v[6:7], v[6:7], v[74:75], v[18:19] op_sel:[0,0,1] op_sel_hi:[1,0,0]
	v_mov_b32_e32 v6, v73
	v_mov_b32_e32 v21, v7
	v_pk_mul_f32 v[6:7], v[8:9], v[6:7] op_sel_hi:[1,0]
	v_pk_fma_f32 v[18:19], v[8:9], v[72:73], v[6:7] op_sel:[0,0,1] op_sel_hi:[1,1,0] neg_lo:[0,0,1] neg_hi:[0,0,1]
	v_pk_fma_f32 v[6:7], v[8:9], v[72:73], v[6:7] op_sel:[0,0,1] op_sel_hi:[1,0,0]
	v_mov_b32_e32 v6, v71
	v_mov_b32_e32 v19, v7
	s_waitcnt lgkmcnt(1)
	v_pk_mul_f32 v[6:7], v[10:11], v[6:7] op_sel_hi:[1,0]
	v_pk_fma_f32 v[8:9], v[10:11], v[70:71], v[6:7] op_sel:[0,0,1] op_sel_hi:[1,1,0] neg_lo:[0,0,1] neg_hi:[0,0,1]
	v_pk_fma_f32 v[6:7], v[10:11], v[70:71], v[6:7] op_sel:[0,0,1] op_sel_hi:[1,0,0]
	v_pk_add_f32 v[4:5], v[4:5], v[20:21]
	s_waitcnt vmcnt(1)
	v_mov_b32_e32 v6, v175
	v_pk_add_f32 v[4:5], v[4:5], v[18:19]
	v_mov_b32_e32 v9, v7
	v_pk_mul_f32 v[6:7], v[12:13], v[6:7] op_sel_hi:[1,0]
	v_pk_add_f32 v[4:5], v[4:5], v[8:9]
	s_waitcnt vmcnt(0)
	v_pk_fma_f32 v[8:9], v[12:13], v[174:175], v[6:7] op_sel:[0,0,1] op_sel_hi:[1,1,0] neg_lo:[0,0,1] neg_hi:[0,0,1]
	v_pk_fma_f32 v[6:7], v[12:13], v[174:175], v[6:7] op_sel:[0,0,1] op_sel_hi:[1,0,0]
	v_mov_b32_e32 v6, v173
	v_mov_b32_e32 v9, v7
	s_waitcnt lgkmcnt(0)
	v_pk_mul_f32 v[6:7], v[14:15], v[6:7] op_sel_hi:[1,0]
	v_pk_add_f32 v[4:5], v[4:5], v[8:9]
	v_pk_fma_f32 v[8:9], v[14:15], v[172:173], v[6:7] op_sel:[0,0,1] op_sel_hi:[1,1,0] neg_lo:[0,0,1] neg_hi:[0,0,1]
	v_pk_fma_f32 v[6:7], v[14:15], v[172:173], v[6:7] op_sel:[0,0,1] op_sel_hi:[1,0,0]
	v_mov_b32_e32 v6, v171
	v_mov_b32_e32 v9, v7
	v_pk_mul_f32 v[6:7], v[16:17], v[6:7] op_sel_hi:[1,0]
	v_pk_add_f32 v[4:5], v[4:5], v[8:9]
	v_pk_fma_f32 v[8:9], v[16:17], v[170:171], v[6:7] op_sel:[0,0,1] op_sel_hi:[1,1,0] neg_lo:[0,0,1] neg_hi:[0,0,1]
	v_pk_fma_f32 v[6:7], v[16:17], v[170:171], v[6:7] op_sel:[0,0,1] op_sel_hi:[1,0,0]
	v_mov_b32_e32 v9, v7
	v_pk_add_f32 v[4:5], v[4:5], v[8:9]
	v_pk_add_f32 v[2:3], v[2:3], v[4:5] neg_lo:[0,1] neg_hi:[0,1]
	buffer_store_dword v3, off, s[0:3], 0 offset:92
	buffer_store_dword v2, off, s[0:3], 0 offset:88
	s_and_saveexec_b64 s[4:5], vcc
	s_cbranch_execz .LBB45_269
; %bb.268:
	buffer_load_dword v2, off, s[0:3], 0 offset:80
	buffer_load_dword v3, off, s[0:3], 0 offset:84
	v_mov_b32_e32 v4, 0
	buffer_store_dword v4, off, s[0:3], 0 offset:80
	buffer_store_dword v4, off, s[0:3], 0 offset:84
	s_waitcnt vmcnt(2)
	ds_write_b64 v80, v[2:3]
.LBB45_269:
	s_or_b64 exec, exec, s[4:5]
	s_waitcnt lgkmcnt(0)
	; wave barrier
	s_waitcnt lgkmcnt(0)
	buffer_load_dword v5, off, s[0:3], 0 offset:92
	buffer_load_dword v62, off, s[0:3], 0 offset:100
	buffer_load_dword v64, off, s[0:3], 0 offset:108
	buffer_load_dword v66, off, s[0:3], 0 offset:116
	buffer_load_dword v176, off, s[0:3], 0 offset:124
	buffer_load_dword v177, off, s[0:3], 0 offset:132
	buffer_load_dword v178, off, s[0:3], 0 offset:140
	buffer_load_dword v179, off, s[0:3], 0 offset:148
	buffer_load_dword v180, off, s[0:3], 0 offset:156
	buffer_load_dword v181, off, s[0:3], 0 offset:88
	buffer_load_dword v182, off, s[0:3], 0 offset:96
	buffer_load_dword v183, off, s[0:3], 0 offset:104
	buffer_load_dword v184, off, s[0:3], 0 offset:112
	buffer_load_dword v185, off, s[0:3], 0 offset:120
	buffer_load_dword v186, off, s[0:3], 0 offset:128
	buffer_load_dword v187, off, s[0:3], 0 offset:136
	buffer_load_dword v188, off, s[0:3], 0 offset:144
	buffer_load_dword v189, off, s[0:3], 0 offset:152
	buffer_load_dword v190, off, s[0:3], 0 offset:164
	buffer_load_dword v191, off, s[0:3], 0 offset:160
	buffer_load_dword v192, off, s[0:3], 0 offset:172
	buffer_load_dword v193, off, s[0:3], 0 offset:168
	buffer_load_dword v194, off, s[0:3], 0 offset:180
	buffer_load_dword v195, off, s[0:3], 0 offset:176
	buffer_load_dword v196, off, s[0:3], 0 offset:188
	buffer_load_dword v197, off, s[0:3], 0 offset:184
	buffer_load_dword v198, off, s[0:3], 0 offset:196
	buffer_load_dword v199, off, s[0:3], 0 offset:192
	buffer_load_dword v200, off, s[0:3], 0 offset:204
	buffer_load_dword v201, off, s[0:3], 0 offset:200
	buffer_load_dword v202, off, s[0:3], 0 offset:208
	buffer_load_dword v203, off, s[0:3], 0 offset:212
	buffer_load_dword v2, off, s[0:3], 0 offset:80
	buffer_load_dword v3, off, s[0:3], 0 offset:84
	buffer_load_dword v204, off, s[0:3], 0 offset:216
	buffer_load_dword v205, off, s[0:3], 0 offset:220
	buffer_load_dword v206, off, s[0:3], 0 offset:224
	buffer_load_dword v207, off, s[0:3], 0 offset:228
	buffer_load_dword v208, off, s[0:3], 0 offset:232
	buffer_load_dword v209, off, s[0:3], 0 offset:236
	buffer_load_dword v210, off, s[0:3], 0 offset:240
	buffer_load_dword v211, off, s[0:3], 0 offset:244
	buffer_load_dword v212, off, s[0:3], 0 offset:248
	buffer_load_dword v213, off, s[0:3], 0 offset:252
	buffer_load_dword v214, off, s[0:3], 0 offset:256
	buffer_load_dword v215, off, s[0:3], 0 offset:260
	buffer_load_dword v216, off, s[0:3], 0 offset:264
	buffer_load_dword v217, off, s[0:3], 0 offset:268
	buffer_load_dword v218, off, s[0:3], 0 offset:272
	buffer_load_dword v219, off, s[0:3], 0 offset:276
	buffer_load_dword v220, off, s[0:3], 0 offset:280
	buffer_load_dword v221, off, s[0:3], 0 offset:284
	buffer_load_dword v222, off, s[0:3], 0 offset:288
	buffer_load_dword v223, off, s[0:3], 0 offset:292
	buffer_load_dword v224, off, s[0:3], 0 offset:296
	buffer_load_dword v225, off, s[0:3], 0 offset:300
	v_mov_b32_e32 v4, 0
	ds_read2_b64 v[6:9], v4 offset0:57 offset1:58
	ds_read2_b64 v[10:13], v4 offset0:59 offset1:60
	;; [unrolled: 1-line block ×6, first 2 shown]
	v_cmp_lt_u32_e32 vcc, 9, v0
	s_waitcnt vmcnt(55) lgkmcnt(5)
	v_mul_f32_e32 v30, v6, v5
	s_waitcnt vmcnt(54)
	v_mul_f32_e32 v31, v8, v62
	s_waitcnt vmcnt(53) lgkmcnt(4)
	v_mul_f32_e32 v32, v10, v64
	s_waitcnt vmcnt(52)
	v_mul_f32_e32 v33, v12, v66
	;; [unrolled: 4-line block ×4, first 2 shown]
	s_waitcnt vmcnt(47) lgkmcnt(1)
	v_mul_f32_e32 v38, v22, v180
	s_waitcnt vmcnt(46)
	v_fmac_f32_e32 v30, v7, v181
	s_waitcnt vmcnt(45)
	v_fmac_f32_e32 v31, v9, v182
	v_add_f32_e32 v30, 0, v30
	s_waitcnt vmcnt(44)
	v_fmac_f32_e32 v32, v11, v183
	v_add_f32_e32 v30, v30, v31
	;; [unrolled: 3-line block ×7, first 2 shown]
	v_add_f32_e32 v30, v30, v37
	s_waitcnt vmcnt(38)
	v_fmac_f32_e32 v38, v23, v189
	s_waitcnt vmcnt(37)
	v_mul_f32_e32 v31, v24, v190
	v_add_f32_e32 v30, v30, v38
	s_waitcnt vmcnt(36)
	v_fmac_f32_e32 v31, v25, v191
	v_add_f32_e32 v30, v30, v31
	s_waitcnt vmcnt(35) lgkmcnt(0)
	v_mul_f32_e32 v31, v26, v192
	s_waitcnt vmcnt(34)
	v_fmac_f32_e32 v31, v27, v193
	v_add_f32_e32 v34, v30, v31
	ds_read2_b64 v[30:33], v4 offset0:69 offset1:70
	s_waitcnt vmcnt(33)
	v_mul_f32_e32 v35, v28, v194
	s_waitcnt vmcnt(32)
	v_fmac_f32_e32 v35, v29, v195
	v_add_f32_e32 v38, v34, v35
	ds_read2_b64 v[34:37], v4 offset0:71 offset1:72
	s_waitcnt vmcnt(31) lgkmcnt(1)
	v_mul_f32_e32 v39, v30, v196
	s_waitcnt vmcnt(30)
	v_fmac_f32_e32 v39, v31, v197
	v_add_f32_e32 v38, v38, v39
	s_waitcnt vmcnt(29)
	v_mul_f32_e32 v39, v32, v198
	s_waitcnt vmcnt(28)
	v_fmac_f32_e32 v39, v33, v199
	v_add_f32_e32 v38, v38, v39
	s_waitcnt vmcnt(27) lgkmcnt(0)
	v_mul_f32_e32 v39, v34, v200
	s_waitcnt vmcnt(26)
	v_fmac_f32_e32 v39, v35, v201
	v_add_f32_e32 v42, v38, v39
	ds_read2_b64 v[38:41], v4 offset0:73 offset1:74
	s_waitcnt vmcnt(24)
	v_mul_f32_e32 v43, v36, v203
	v_fmac_f32_e32 v43, v37, v202
	v_add_f32_e32 v46, v42, v43
	ds_read2_b64 v[42:45], v4 offset0:75 offset1:76
	s_waitcnt vmcnt(20) lgkmcnt(1)
	v_mul_f32_e32 v47, v38, v205
	v_fmac_f32_e32 v47, v39, v204
	v_add_f32_e32 v46, v46, v47
	s_waitcnt vmcnt(18)
	v_mul_f32_e32 v47, v40, v207
	v_fmac_f32_e32 v47, v41, v206
	v_add_f32_e32 v46, v46, v47
	s_waitcnt vmcnt(16) lgkmcnt(0)
	v_mul_f32_e32 v47, v42, v209
	v_fmac_f32_e32 v47, v43, v208
	v_add_f32_e32 v50, v46, v47
	ds_read2_b64 v[46:49], v4 offset0:77 offset1:78
	s_waitcnt vmcnt(14)
	v_mul_f32_e32 v51, v44, v211
	v_fmac_f32_e32 v51, v45, v210
	v_add_f32_e32 v54, v50, v51
	ds_read2_b64 v[50:53], v4 offset0:79 offset1:80
	s_waitcnt vmcnt(12) lgkmcnt(1)
	v_mul_f32_e32 v55, v46, v213
	v_fmac_f32_e32 v55, v47, v212
	v_add_f32_e32 v54, v54, v55
	s_waitcnt vmcnt(10)
	v_mul_f32_e32 v55, v48, v215
	v_fmac_f32_e32 v55, v49, v214
	v_add_f32_e32 v54, v54, v55
	s_waitcnt vmcnt(8) lgkmcnt(0)
	v_mul_f32_e32 v55, v50, v217
	v_fmac_f32_e32 v55, v51, v216
	s_waitcnt vmcnt(6)
	v_mul_f32_e32 v59, v52, v219
	v_add_f32_e32 v58, v54, v55
	v_fmac_f32_e32 v59, v53, v218
	ds_read2_b64 v[54:57], v4 offset0:81 offset1:82
	v_add_f32_e32 v63, v58, v59
	ds_read2_b64 v[58:61], v4 offset0:83 offset1:84
	buffer_load_dword v69, off, s[0:3], 0 offset:332
	buffer_load_dword v68, off, s[0:3], 0 offset:328
	;; [unrolled: 1-line block ×16, first 2 shown]
	v_mul_f32_e32 v5, v7, v5
	v_fma_f32 v5, v6, v181, -v5
	v_mul_f32_e32 v6, v9, v62
	v_add_f32_e32 v5, 0, v5
	v_fma_f32 v6, v8, v182, -v6
	v_add_f32_e32 v5, v5, v6
	v_mul_f32_e32 v6, v11, v64
	v_fma_f32 v6, v10, v183, -v6
	v_add_f32_e32 v5, v5, v6
	v_mul_f32_e32 v6, v13, v66
	;; [unrolled: 3-line block ×22, first 2 shown]
	v_fma_f32 v6, v52, v218, -v6
	s_waitcnt vmcnt(20) lgkmcnt(1)
	v_mul_f32_e32 v65, v54, v221
	v_add_f32_e32 v5, v5, v6
	v_mul_f32_e32 v6, v55, v221
	v_fmac_f32_e32 v65, v55, v220
	v_fma_f32 v6, v54, v220, -v6
	s_waitcnt vmcnt(9)
	v_mov_b32_e32 v22, v75
	v_add_f32_e32 v63, v63, v65
	v_mul_f32_e32 v65, v56, v223
	v_add_f32_e32 v62, v5, v6
	v_mul_f32_e32 v5, v57, v223
	s_waitcnt lgkmcnt(0)
	v_pk_mul_f32 v[22:23], v[60:61], v[22:23] op_sel_hi:[1,0]
	v_fmac_f32_e32 v65, v57, v222
	v_mul_f32_e32 v67, v58, v225
	v_fma_f32 v64, v56, v222, -v5
	v_mul_f32_e32 v5, v59, v225
	ds_read2_b64 v[6:9], v4 offset0:85 offset1:86
	ds_read2_b64 v[10:13], v4 offset0:87 offset1:88
	;; [unrolled: 1-line block ×3, first 2 shown]
	ds_read_b64 v[18:19], v4 offset:728
	s_waitcnt vmcnt(8)
	v_pk_fma_f32 v[24:25], v[60:61], v[74:75], v[22:23] op_sel:[0,0,1] op_sel_hi:[1,1,0] neg_lo:[0,0,1] neg_hi:[0,0,1]
	v_pk_fma_f32 v[22:23], v[60:61], v[74:75], v[22:23] op_sel:[0,0,1] op_sel_hi:[1,0,0]
	v_fmac_f32_e32 v67, v59, v224
	v_fma_f32 v66, v58, v224, -v5
	v_pk_add_f32 v[20:21], v[62:63], v[64:65]
	v_mov_b32_e32 v22, v73
	v_pk_add_f32 v[20:21], v[20:21], v[66:67]
	v_mov_b32_e32 v25, v23
	s_waitcnt lgkmcnt(3)
	v_pk_mul_f32 v[22:23], v[6:7], v[22:23] op_sel_hi:[1,0]
	v_pk_add_f32 v[20:21], v[20:21], v[24:25]
	v_pk_fma_f32 v[24:25], v[6:7], v[72:73], v[22:23] op_sel:[0,0,1] op_sel_hi:[1,1,0] neg_lo:[0,0,1] neg_hi:[0,0,1]
	v_pk_fma_f32 v[6:7], v[6:7], v[72:73], v[22:23] op_sel:[0,0,1] op_sel_hi:[1,0,0]
	v_mov_b32_e32 v25, v7
	v_pk_add_f32 v[6:7], v[20:21], v[24:25]
	v_mov_b32_e32 v20, v71
	v_pk_mul_f32 v[20:21], v[8:9], v[20:21] op_sel_hi:[1,0]
	v_pk_fma_f32 v[22:23], v[8:9], v[70:71], v[20:21] op_sel:[0,0,1] op_sel_hi:[1,1,0] neg_lo:[0,0,1] neg_hi:[0,0,1]
	v_pk_fma_f32 v[8:9], v[8:9], v[70:71], v[20:21] op_sel:[0,0,1] op_sel_hi:[1,0,0]
	v_mov_b32_e32 v8, v69
	v_mov_b32_e32 v23, v9
	s_waitcnt lgkmcnt(2)
	v_pk_mul_f32 v[8:9], v[10:11], v[8:9] op_sel_hi:[1,0]
	v_pk_fma_f32 v[20:21], v[10:11], v[68:69], v[8:9] op_sel:[0,0,1] op_sel_hi:[1,1,0] neg_lo:[0,0,1] neg_hi:[0,0,1]
	v_pk_fma_f32 v[8:9], v[10:11], v[68:69], v[8:9] op_sel:[0,0,1] op_sel_hi:[1,0,0]
	s_waitcnt vmcnt(1)
	v_mov_b32_e32 v8, v175
	v_mov_b32_e32 v21, v9
	v_pk_mul_f32 v[8:9], v[12:13], v[8:9] op_sel_hi:[1,0]
	s_waitcnt vmcnt(0)
	v_pk_fma_f32 v[10:11], v[12:13], v[174:175], v[8:9] op_sel:[0,0,1] op_sel_hi:[1,1,0] neg_lo:[0,0,1] neg_hi:[0,0,1]
	v_pk_fma_f32 v[8:9], v[12:13], v[174:175], v[8:9] op_sel:[0,0,1] op_sel_hi:[1,0,0]
	v_pk_add_f32 v[6:7], v[6:7], v[22:23]
	v_mov_b32_e32 v8, v173
	v_pk_add_f32 v[6:7], v[6:7], v[20:21]
	v_mov_b32_e32 v11, v9
	s_waitcnt lgkmcnt(1)
	v_pk_mul_f32 v[8:9], v[14:15], v[8:9] op_sel_hi:[1,0]
	v_pk_add_f32 v[6:7], v[6:7], v[10:11]
	v_pk_fma_f32 v[10:11], v[14:15], v[172:173], v[8:9] op_sel:[0,0,1] op_sel_hi:[1,1,0] neg_lo:[0,0,1] neg_hi:[0,0,1]
	v_pk_fma_f32 v[8:9], v[14:15], v[172:173], v[8:9] op_sel:[0,0,1] op_sel_hi:[1,0,0]
	v_mov_b32_e32 v8, v171
	v_mov_b32_e32 v11, v9
	v_pk_mul_f32 v[8:9], v[16:17], v[8:9] op_sel_hi:[1,0]
	v_pk_add_f32 v[6:7], v[6:7], v[10:11]
	v_pk_fma_f32 v[10:11], v[16:17], v[170:171], v[8:9] op_sel:[0,0,1] op_sel_hi:[1,1,0] neg_lo:[0,0,1] neg_hi:[0,0,1]
	v_pk_fma_f32 v[8:9], v[16:17], v[170:171], v[8:9] op_sel:[0,0,1] op_sel_hi:[1,0,0]
	v_mov_b32_e32 v8, v169
	v_mov_b32_e32 v11, v9
	s_waitcnt lgkmcnt(0)
	v_pk_mul_f32 v[8:9], v[18:19], v[8:9] op_sel_hi:[1,0]
	v_pk_add_f32 v[6:7], v[6:7], v[10:11]
	v_pk_fma_f32 v[10:11], v[18:19], v[168:169], v[8:9] op_sel:[0,0,1] op_sel_hi:[1,1,0] neg_lo:[0,0,1] neg_hi:[0,0,1]
	v_pk_fma_f32 v[8:9], v[18:19], v[168:169], v[8:9] op_sel:[0,0,1] op_sel_hi:[1,0,0]
	v_mov_b32_e32 v11, v9
	v_pk_add_f32 v[6:7], v[6:7], v[10:11]
	v_pk_add_f32 v[2:3], v[2:3], v[6:7] neg_lo:[0,1] neg_hi:[0,1]
	buffer_store_dword v3, off, s[0:3], 0 offset:84
	buffer_store_dword v2, off, s[0:3], 0 offset:80
	s_and_saveexec_b64 s[4:5], vcc
	s_cbranch_execz .LBB45_271
; %bb.270:
	buffer_load_dword v2, off, s[0:3], 0 offset:72
	buffer_load_dword v3, off, s[0:3], 0 offset:76
	s_waitcnt vmcnt(0)
	ds_write_b64 v80, v[2:3]
	buffer_store_dword v4, off, s[0:3], 0 offset:72
	buffer_store_dword v4, off, s[0:3], 0 offset:76
.LBB45_271:
	s_or_b64 exec, exec, s[4:5]
	s_waitcnt lgkmcnt(0)
	; wave barrier
	s_waitcnt lgkmcnt(0)
	buffer_load_dword v5, off, s[0:3], 0 offset:84
	buffer_load_dword v62, off, s[0:3], 0 offset:92
	;; [unrolled: 1-line block ×36, first 2 shown]
	ds_read_b128 v[6:9], v4 offset:448
	ds_read_b128 v[10:13], v4 offset:464
	buffer_load_dword v206, off, s[0:3], 0 offset:216
	buffer_load_dword v207, off, s[0:3], 0 offset:220
	;; [unrolled: 1-line block ×4, first 2 shown]
	ds_read_b128 v[14:17], v4 offset:480
	ds_read_b128 v[18:21], v4 offset:496
	buffer_load_dword v210, off, s[0:3], 0 offset:232
	buffer_load_dword v211, off, s[0:3], 0 offset:236
	ds_read_b128 v[22:25], v4 offset:512
	ds_read_b128 v[26:29], v4 offset:528
	buffer_load_dword v212, off, s[0:3], 0 offset:240
	buffer_load_dword v213, off, s[0:3], 0 offset:244
	;; [unrolled: 1-line block ×16, first 2 shown]
	v_cmp_lt_u32_e32 vcc, 8, v0
	s_waitcnt vmcnt(57) lgkmcnt(5)
	v_mul_f32_e32 v30, v6, v5
	s_waitcnt vmcnt(56)
	v_mul_f32_e32 v31, v8, v62
	s_waitcnt vmcnt(55) lgkmcnt(4)
	v_mul_f32_e32 v32, v10, v64
	s_waitcnt vmcnt(54)
	v_mul_f32_e32 v33, v12, v72
	;; [unrolled: 4-line block ×4, first 2 shown]
	s_waitcnt vmcnt(49)
	v_fmac_f32_e32 v30, v7, v180
	s_waitcnt vmcnt(48)
	v_fmac_f32_e32 v31, v9, v181
	v_add_f32_e32 v30, 0, v30
	s_waitcnt vmcnt(47)
	v_fmac_f32_e32 v32, v11, v182
	v_add_f32_e32 v30, v30, v31
	;; [unrolled: 3-line block ×7, first 2 shown]
	s_waitcnt vmcnt(41) lgkmcnt(1)
	v_mul_f32_e32 v31, v22, v188
	v_add_f32_e32 v30, v30, v37
	s_waitcnt vmcnt(40)
	v_fmac_f32_e32 v31, v23, v189
	v_add_f32_e32 v30, v30, v31
	s_waitcnt vmcnt(39)
	v_mul_f32_e32 v31, v24, v190
	s_waitcnt vmcnt(38)
	v_fmac_f32_e32 v31, v25, v191
	v_add_f32_e32 v30, v30, v31
	s_waitcnt vmcnt(37) lgkmcnt(0)
	v_mul_f32_e32 v31, v26, v192
	s_waitcnt vmcnt(36)
	v_fmac_f32_e32 v31, v27, v193
	v_add_f32_e32 v34, v30, v31
	ds_read_b128 v[30:33], v4 offset:544
	s_waitcnt vmcnt(35)
	v_mul_f32_e32 v35, v28, v194
	s_waitcnt vmcnt(34)
	v_fmac_f32_e32 v35, v29, v195
	v_add_f32_e32 v38, v34, v35
	ds_read_b128 v[34:37], v4 offset:560
	s_waitcnt vmcnt(33) lgkmcnt(1)
	v_mul_f32_e32 v39, v30, v196
	s_waitcnt vmcnt(32)
	v_fmac_f32_e32 v39, v31, v197
	v_add_f32_e32 v38, v38, v39
	s_waitcnt vmcnt(31)
	v_mul_f32_e32 v39, v32, v198
	s_waitcnt vmcnt(30)
	v_fmac_f32_e32 v39, v33, v199
	v_add_f32_e32 v38, v38, v39
	s_waitcnt vmcnt(29) lgkmcnt(0)
	v_mul_f32_e32 v39, v34, v200
	s_waitcnt vmcnt(28)
	v_fmac_f32_e32 v39, v35, v201
	v_add_f32_e32 v42, v38, v39
	ds_read_b128 v[38:41], v4 offset:576
	s_waitcnt vmcnt(25)
	v_mul_f32_e32 v43, v36, v202
	s_waitcnt vmcnt(24)
	v_fmac_f32_e32 v43, v37, v203
	v_add_f32_e32 v46, v42, v43
	ds_read_b128 v[42:45], v4 offset:592
	s_waitcnt vmcnt(22) lgkmcnt(1)
	v_mul_f32_e32 v47, v38, v205
	v_fmac_f32_e32 v47, v39, v204
	v_add_f32_e32 v46, v46, v47
	s_waitcnt vmcnt(20)
	v_mul_f32_e32 v47, v40, v207
	v_fmac_f32_e32 v47, v41, v206
	v_add_f32_e32 v46, v46, v47
	s_waitcnt vmcnt(18) lgkmcnt(0)
	v_mul_f32_e32 v47, v42, v209
	v_fmac_f32_e32 v47, v43, v208
	v_add_f32_e32 v50, v46, v47
	ds_read_b128 v[46:49], v4 offset:608
	s_waitcnt vmcnt(16)
	v_mul_f32_e32 v51, v44, v211
	v_fmac_f32_e32 v51, v45, v210
	v_add_f32_e32 v54, v50, v51
	ds_read_b128 v[50:53], v4 offset:624
	s_waitcnt vmcnt(14) lgkmcnt(1)
	v_mul_f32_e32 v55, v46, v213
	v_fmac_f32_e32 v55, v47, v212
	v_add_f32_e32 v54, v54, v55
	s_waitcnt vmcnt(12)
	v_mul_f32_e32 v55, v48, v215
	v_fmac_f32_e32 v55, v49, v214
	v_add_f32_e32 v54, v54, v55
	s_waitcnt vmcnt(10) lgkmcnt(0)
	v_mul_f32_e32 v55, v50, v217
	v_fmac_f32_e32 v55, v51, v216
	s_waitcnt vmcnt(8)
	v_mul_f32_e32 v59, v52, v219
	v_add_f32_e32 v58, v54, v55
	v_fmac_f32_e32 v59, v53, v218
	ds_read_b128 v[54:57], v4 offset:640
	v_add_f32_e32 v63, v58, v59
	ds_read_b128 v[58:61], v4 offset:656
	buffer_load_dword v67, off, s[0:3], 0 offset:324
	buffer_load_dword v66, off, s[0:3], 0 offset:320
	;; [unrolled: 1-line block ×16, first 2 shown]
	v_mul_f32_e32 v5, v7, v5
	v_fma_f32 v5, v6, v180, -v5
	v_mul_f32_e32 v6, v9, v62
	v_add_f32_e32 v5, 0, v5
	v_fma_f32 v6, v8, v181, -v6
	v_add_f32_e32 v5, v5, v6
	v_mul_f32_e32 v6, v11, v64
	v_fma_f32 v6, v10, v182, -v6
	v_add_f32_e32 v5, v5, v6
	v_mul_f32_e32 v6, v13, v72
	;; [unrolled: 3-line block ×22, first 2 shown]
	v_fma_f32 v6, v52, v218, -v6
	v_add_f32_e32 v5, v5, v6
	s_waitcnt vmcnt(22) lgkmcnt(1)
	v_mul_f32_e32 v6, v55, v221
	v_fma_f32 v6, v54, v220, -v6
	v_add_f32_e32 v5, v5, v6
	s_waitcnt vmcnt(20)
	v_mul_f32_e32 v6, v57, v223
	v_fma_f32 v6, v56, v222, -v6
	v_add_f32_e32 v62, v5, v6
	ds_read_b128 v[6:9], v4 offset:672
	ds_read_b128 v[10:13], v4 offset:688
	;; [unrolled: 1-line block ×4, first 2 shown]
	s_waitcnt vmcnt(11)
	v_mov_b32_e32 v22, v71
	v_mul_f32_e32 v65, v54, v221
	s_waitcnt lgkmcnt(3)
	v_pk_mul_f32 v[22:23], v[6:7], v[22:23] op_sel_hi:[1,0]
	v_fmac_f32_e32 v65, v55, v220
	s_waitcnt vmcnt(10)
	v_pk_fma_f32 v[24:25], v[6:7], v[70:71], v[22:23] op_sel:[0,0,1] op_sel_hi:[1,1,0] neg_lo:[0,0,1] neg_hi:[0,0,1]
	v_pk_fma_f32 v[6:7], v[6:7], v[70:71], v[22:23] op_sel:[0,0,1] op_sel_hi:[1,0,0]
	v_add_f32_e32 v63, v63, v65
	v_mul_f32_e32 v65, v56, v223
	v_mov_b32_e32 v6, v69
	v_fmac_f32_e32 v65, v57, v222
	v_mov_b32_e32 v25, v7
	v_pk_mul_f32 v[6:7], v[8:9], v[6:7] op_sel_hi:[1,0]
	v_add_f32_e32 v63, v63, v65
	v_mul_f32_e32 v65, v58, v225
	v_mul_f32_e32 v5, v59, v225
	v_pk_fma_f32 v[22:23], v[8:9], v[68:69], v[6:7] op_sel:[0,0,1] op_sel_hi:[1,1,0] neg_lo:[0,0,1] neg_hi:[0,0,1]
	v_pk_fma_f32 v[6:7], v[8:9], v[68:69], v[6:7] op_sel:[0,0,1] op_sel_hi:[1,0,0]
	v_fmac_f32_e32 v65, v59, v224
	v_mul_f32_e32 v73, v60, v227
	v_fma_f32 v64, v58, v224, -v5
	v_mul_f32_e32 v5, v61, v227
	v_mov_b32_e32 v6, v67
	v_fmac_f32_e32 v73, v61, v226
	v_fma_f32 v72, v60, v226, -v5
	v_pk_add_f32 v[4:5], v[62:63], v[64:65]
	v_mov_b32_e32 v23, v7
	s_waitcnt lgkmcnt(2)
	v_pk_mul_f32 v[6:7], v[10:11], v[6:7] op_sel_hi:[1,0]
	v_pk_add_f32 v[4:5], v[4:5], v[72:73]
	v_pk_fma_f32 v[8:9], v[10:11], v[66:67], v[6:7] op_sel:[0,0,1] op_sel_hi:[1,1,0] neg_lo:[0,0,1] neg_hi:[0,0,1]
	v_pk_fma_f32 v[6:7], v[10:11], v[66:67], v[6:7] op_sel:[0,0,1] op_sel_hi:[1,0,0]
	v_pk_add_f32 v[4:5], v[4:5], v[24:25]
	s_waitcnt vmcnt(3)
	v_mov_b32_e32 v6, v173
	v_pk_add_f32 v[4:5], v[4:5], v[22:23]
	v_mov_b32_e32 v9, v7
	v_pk_mul_f32 v[6:7], v[12:13], v[6:7] op_sel_hi:[1,0]
	v_pk_add_f32 v[4:5], v[4:5], v[8:9]
	s_waitcnt vmcnt(2)
	v_pk_fma_f32 v[8:9], v[12:13], v[172:173], v[6:7] op_sel:[0,0,1] op_sel_hi:[1,1,0] neg_lo:[0,0,1] neg_hi:[0,0,1]
	v_pk_fma_f32 v[6:7], v[12:13], v[172:173], v[6:7] op_sel:[0,0,1] op_sel_hi:[1,0,0]
	v_mov_b32_e32 v6, v171
	v_mov_b32_e32 v9, v7
	s_waitcnt lgkmcnt(1)
	v_pk_mul_f32 v[6:7], v[14:15], v[6:7] op_sel_hi:[1,0]
	v_pk_add_f32 v[4:5], v[4:5], v[8:9]
	v_pk_fma_f32 v[8:9], v[14:15], v[170:171], v[6:7] op_sel:[0,0,1] op_sel_hi:[1,1,0] neg_lo:[0,0,1] neg_hi:[0,0,1]
	v_pk_fma_f32 v[6:7], v[14:15], v[170:171], v[6:7] op_sel:[0,0,1] op_sel_hi:[1,0,0]
	v_mov_b32_e32 v6, v169
	v_mov_b32_e32 v9, v7
	v_pk_mul_f32 v[6:7], v[16:17], v[6:7] op_sel_hi:[1,0]
	v_pk_add_f32 v[4:5], v[4:5], v[8:9]
	v_pk_fma_f32 v[8:9], v[16:17], v[168:169], v[6:7] op_sel:[0,0,1] op_sel_hi:[1,1,0] neg_lo:[0,0,1] neg_hi:[0,0,1]
	v_pk_fma_f32 v[6:7], v[16:17], v[168:169], v[6:7] op_sel:[0,0,1] op_sel_hi:[1,0,0]
	v_mov_b32_e32 v6, v75
	v_mov_b32_e32 v9, v7
	s_waitcnt lgkmcnt(0)
	v_pk_mul_f32 v[6:7], v[18:19], v[6:7] op_sel_hi:[1,0]
	v_pk_add_f32 v[4:5], v[4:5], v[8:9]
	v_pk_fma_f32 v[8:9], v[18:19], v[74:75], v[6:7] op_sel:[0,0,1] op_sel_hi:[1,1,0] neg_lo:[0,0,1] neg_hi:[0,0,1]
	v_pk_fma_f32 v[6:7], v[18:19], v[74:75], v[6:7] op_sel:[0,0,1] op_sel_hi:[1,0,0]
	s_waitcnt vmcnt(1)
	v_mov_b32_e32 v6, v175
	v_mov_b32_e32 v9, v7
	v_pk_mul_f32 v[6:7], v[20:21], v[6:7] op_sel_hi:[1,0]
	v_pk_add_f32 v[4:5], v[4:5], v[8:9]
	s_waitcnt vmcnt(0)
	v_pk_fma_f32 v[8:9], v[20:21], v[174:175], v[6:7] op_sel:[0,0,1] op_sel_hi:[1,1,0] neg_lo:[0,0,1] neg_hi:[0,0,1]
	v_pk_fma_f32 v[6:7], v[20:21], v[174:175], v[6:7] op_sel:[0,0,1] op_sel_hi:[1,0,0]
	v_mov_b32_e32 v9, v7
	v_pk_add_f32 v[4:5], v[4:5], v[8:9]
	v_pk_add_f32 v[2:3], v[2:3], v[4:5] neg_lo:[0,1] neg_hi:[0,1]
	buffer_store_dword v3, off, s[0:3], 0 offset:76
	buffer_store_dword v2, off, s[0:3], 0 offset:72
	s_and_saveexec_b64 s[4:5], vcc
	s_cbranch_execz .LBB45_273
; %bb.272:
	buffer_load_dword v2, off, s[0:3], 0 offset:64
	buffer_load_dword v3, off, s[0:3], 0 offset:68
	v_mov_b32_e32 v4, 0
	buffer_store_dword v4, off, s[0:3], 0 offset:64
	buffer_store_dword v4, off, s[0:3], 0 offset:68
	s_waitcnt vmcnt(2)
	ds_write_b64 v80, v[2:3]
.LBB45_273:
	s_or_b64 exec, exec, s[4:5]
	s_waitcnt lgkmcnt(0)
	; wave barrier
	s_waitcnt lgkmcnt(0)
	buffer_load_dword v17, off, s[0:3], 0 offset:76
	buffer_load_dword v70, off, s[0:3], 0 offset:84
	;; [unrolled: 1-line block ×56, first 2 shown]
	v_mov_b32_e32 v16, 0
	ds_read2_b64 v[2:5], v16 offset0:55 offset1:56
	buffer_load_dword v234, off, s[0:3], 0 offset:288
	buffer_load_dword v235, off, s[0:3], 0 offset:292
	;; [unrolled: 1-line block ×4, first 2 shown]
	ds_read2_b64 v[8:11], v16 offset0:57 offset1:58
	ds_read2_b64 v[12:15], v16 offset0:59 offset1:60
	;; [unrolled: 1-line block ×3, first 2 shown]
	v_cmp_lt_u32_e32 vcc, 7, v0
	s_waitcnt vmcnt(59) lgkmcnt(3)
	v_mul_f32_e32 v22, v2, v17
	s_waitcnt vmcnt(58)
	v_mul_f32_e32 v23, v4, v70
	s_waitcnt vmcnt(57) lgkmcnt(2)
	v_mul_f32_e32 v24, v8, v168
	s_waitcnt vmcnt(56)
	v_mul_f32_e32 v25, v10, v170
	;; [unrolled: 4-line block ×3, first 2 shown]
	s_waitcnt vmcnt(53) lgkmcnt(0)
	v_mul_f32_e32 v28, v18, v186
	s_waitcnt vmcnt(52)
	v_fmac_f32_e32 v22, v3, v187
	s_waitcnt vmcnt(51)
	v_fmac_f32_e32 v23, v5, v188
	v_add_f32_e32 v22, 0, v22
	s_waitcnt vmcnt(50)
	v_fmac_f32_e32 v24, v9, v189
	v_add_f32_e32 v22, v22, v23
	s_waitcnt vmcnt(49)
	v_fmac_f32_e32 v25, v11, v190
	v_add_f32_e32 v22, v22, v24
	s_waitcnt vmcnt(48)
	v_fmac_f32_e32 v26, v13, v191
	v_add_f32_e32 v22, v22, v25
	s_waitcnt vmcnt(47)
	v_fmac_f32_e32 v27, v15, v192
	v_add_f32_e32 v22, v22, v26
	s_waitcnt vmcnt(46)
	v_fmac_f32_e32 v28, v19, v193
	v_add_f32_e32 v22, v22, v27
	v_add_f32_e32 v26, v22, v28
	ds_read2_b64 v[22:25], v16 offset0:63 offset1:64
	s_waitcnt vmcnt(45)
	v_mul_f32_e32 v27, v20, v194
	s_waitcnt vmcnt(44)
	v_fmac_f32_e32 v27, v21, v195
	v_add_f32_e32 v30, v26, v27
	ds_read2_b64 v[26:29], v16 offset0:65 offset1:66
	s_waitcnt vmcnt(43) lgkmcnt(1)
	v_mul_f32_e32 v31, v22, v196
	s_waitcnt vmcnt(42)
	v_fmac_f32_e32 v31, v23, v197
	v_add_f32_e32 v30, v30, v31
	s_waitcnt vmcnt(41)
	v_mul_f32_e32 v31, v24, v198
	s_waitcnt vmcnt(40)
	v_fmac_f32_e32 v31, v25, v199
	v_add_f32_e32 v30, v30, v31
	s_waitcnt vmcnt(39) lgkmcnt(0)
	v_mul_f32_e32 v31, v26, v200
	s_waitcnt vmcnt(38)
	v_fmac_f32_e32 v31, v27, v201
	v_add_f32_e32 v34, v30, v31
	ds_read2_b64 v[30:33], v16 offset0:67 offset1:68
	s_waitcnt vmcnt(37)
	v_mul_f32_e32 v35, v28, v202
	s_waitcnt vmcnt(36)
	v_fmac_f32_e32 v35, v29, v203
	v_add_f32_e32 v38, v34, v35
	ds_read2_b64 v[34:37], v16 offset0:69 offset1:70
	s_waitcnt vmcnt(34) lgkmcnt(1)
	v_mul_f32_e32 v39, v30, v205
	v_fmac_f32_e32 v39, v31, v204
	v_add_f32_e32 v38, v38, v39
	s_waitcnt vmcnt(31)
	v_mul_f32_e32 v39, v32, v206
	s_waitcnt vmcnt(30)
	v_fmac_f32_e32 v39, v33, v207
	v_add_f32_e32 v38, v38, v39
	s_waitcnt vmcnt(28) lgkmcnt(0)
	v_mul_f32_e32 v39, v34, v209
	v_fmac_f32_e32 v39, v35, v208
	v_add_f32_e32 v42, v38, v39
	ds_read2_b64 v[38:41], v16 offset0:71 offset1:72
	s_waitcnt vmcnt(26)
	v_mul_f32_e32 v43, v36, v211
	v_fmac_f32_e32 v43, v37, v210
	v_add_f32_e32 v46, v42, v43
	ds_read2_b64 v[42:45], v16 offset0:73 offset1:74
	s_waitcnt vmcnt(24) lgkmcnt(1)
	v_mul_f32_e32 v47, v38, v213
	v_fmac_f32_e32 v47, v39, v212
	v_add_f32_e32 v46, v46, v47
	s_waitcnt vmcnt(22)
	v_mul_f32_e32 v47, v40, v215
	v_fmac_f32_e32 v47, v41, v214
	v_add_f32_e32 v46, v46, v47
	s_waitcnt vmcnt(20) lgkmcnt(0)
	v_mul_f32_e32 v47, v42, v217
	v_fmac_f32_e32 v47, v43, v216
	v_add_f32_e32 v50, v46, v47
	ds_read2_b64 v[46:49], v16 offset0:75 offset1:76
	s_waitcnt vmcnt(18)
	v_mul_f32_e32 v51, v44, v219
	v_fmac_f32_e32 v51, v45, v218
	v_add_f32_e32 v54, v50, v51
	ds_read2_b64 v[50:53], v16 offset0:77 offset1:78
	s_waitcnt vmcnt(16) lgkmcnt(1)
	v_mul_f32_e32 v55, v46, v221
	v_fmac_f32_e32 v55, v47, v220
	v_add_f32_e32 v54, v54, v55
	s_waitcnt vmcnt(14)
	v_mul_f32_e32 v55, v48, v223
	;; [unrolled: 18-line block ×3, first 2 shown]
	v_fmac_f32_e32 v63, v57, v230
	v_add_f32_e32 v62, v62, v63
	s_waitcnt vmcnt(4) lgkmcnt(0)
	v_mul_f32_e32 v63, v58, v233
	v_fmac_f32_e32 v63, v59, v232
	v_add_f32_e32 v71, v62, v63
	ds_read2_b64 v[62:65], v16 offset0:83 offset1:84
	buffer_load_dword v73, off, s[0:3], 0 offset:316
	buffer_load_dword v72, off, s[0:3], 0 offset:312
	;; [unrolled: 1-line block ×4, first 2 shown]
	ds_read2_b64 v[66:69], v16 offset0:85 offset1:86
	buffer_load_dword v173, off, s[0:3], 0 offset:348
	buffer_load_dword v172, off, s[0:3], 0 offset:344
	;; [unrolled: 1-line block ×12, first 2 shown]
	v_mul_f32_e32 v3, v3, v17
	v_fma_f32 v2, v2, v187, -v3
	v_mul_f32_e32 v3, v5, v70
	v_add_f32_e32 v2, 0, v2
	v_fma_f32 v3, v4, v188, -v3
	v_add_f32_e32 v2, v2, v3
	v_mul_f32_e32 v3, v9, v168
	v_fma_f32 v3, v8, v189, -v3
	v_add_f32_e32 v2, v2, v3
	v_mul_f32_e32 v3, v11, v170
	;; [unrolled: 3-line block ×25, first 2 shown]
	v_fma_f32 v3, v58, v232, -v3
	s_waitcnt vmcnt(13)
	v_mov_b32_e32 v18, v75
	v_mul_f32_e32 v169, v60, v235
	v_add_f32_e32 v70, v2, v3
	v_mul_f32_e32 v2, v61, v235
	s_waitcnt lgkmcnt(1)
	v_pk_mul_f32 v[18:19], v[64:65], v[18:19] op_sel_hi:[1,0]
	v_fmac_f32_e32 v169, v61, v234
	v_mul_f32_e32 v171, v62, v237
	v_fma_f32 v168, v60, v234, -v2
	v_mul_f32_e32 v2, v63, v237
	s_waitcnt vmcnt(12)
	v_pk_fma_f32 v[20:21], v[64:65], v[74:75], v[18:19] op_sel:[0,0,1] op_sel_hi:[1,1,0] neg_lo:[0,0,1] neg_hi:[0,0,1]
	v_pk_fma_f32 v[18:19], v[64:65], v[74:75], v[18:19] op_sel:[0,0,1] op_sel_hi:[1,0,0]
	v_fmac_f32_e32 v171, v63, v236
	v_fma_f32 v170, v62, v236, -v2
	v_pk_add_f32 v[14:15], v[70:71], v[168:169]
	v_mov_b32_e32 v18, v73
	v_pk_add_f32 v[14:15], v[14:15], v[170:171]
	v_mov_b32_e32 v21, v19
	s_waitcnt lgkmcnt(0)
	v_pk_mul_f32 v[18:19], v[66:67], v[18:19] op_sel_hi:[1,0]
	v_pk_add_f32 v[14:15], v[14:15], v[20:21]
	v_pk_fma_f32 v[20:21], v[66:67], v[72:73], v[18:19] op_sel:[0,0,1] op_sel_hi:[1,1,0] neg_lo:[0,0,1] neg_hi:[0,0,1]
	v_pk_fma_f32 v[18:19], v[66:67], v[72:73], v[18:19] op_sel:[0,0,1] op_sel_hi:[1,0,0]
	s_waitcnt vmcnt(5)
	v_mov_b32_e32 v18, v179
	ds_read2_b64 v[2:5], v16 offset0:87 offset1:88
	ds_read2_b64 v[8:11], v16 offset0:89 offset1:90
	ds_read_b64 v[12:13], v16 offset:728
	v_mov_b32_e32 v21, v19
	v_pk_mul_f32 v[18:19], v[68:69], v[18:19] op_sel_hi:[1,0]
	v_pk_add_f32 v[14:15], v[14:15], v[20:21]
	s_waitcnt vmcnt(4)
	v_pk_fma_f32 v[20:21], v[68:69], v[178:179], v[18:19] op_sel:[0,0,1] op_sel_hi:[1,1,0] neg_lo:[0,0,1] neg_hi:[0,0,1]
	v_pk_fma_f32 v[18:19], v[68:69], v[178:179], v[18:19] op_sel:[0,0,1] op_sel_hi:[1,0,0]
	v_mov_b32_e32 v18, v177
	v_mov_b32_e32 v21, v19
	s_waitcnt lgkmcnt(2)
	v_pk_mul_f32 v[18:19], v[2:3], v[18:19] op_sel_hi:[1,0]
	v_pk_add_f32 v[14:15], v[14:15], v[20:21]
	v_pk_fma_f32 v[20:21], v[2:3], v[176:177], v[18:19] op_sel:[0,0,1] op_sel_hi:[1,1,0] neg_lo:[0,0,1] neg_hi:[0,0,1]
	v_pk_fma_f32 v[2:3], v[2:3], v[176:177], v[18:19] op_sel:[0,0,1] op_sel_hi:[1,0,0]
	v_mov_b32_e32 v21, v3
	v_pk_add_f32 v[2:3], v[14:15], v[20:21]
	v_mov_b32_e32 v14, v175
	v_pk_mul_f32 v[14:15], v[4:5], v[14:15] op_sel_hi:[1,0]
	v_pk_fma_f32 v[18:19], v[4:5], v[174:175], v[14:15] op_sel:[0,0,1] op_sel_hi:[1,1,0] neg_lo:[0,0,1] neg_hi:[0,0,1]
	v_pk_fma_f32 v[4:5], v[4:5], v[174:175], v[14:15] op_sel:[0,0,1] op_sel_hi:[1,0,0]
	v_mov_b32_e32 v4, v173
	v_mov_b32_e32 v19, v5
	s_waitcnt lgkmcnt(1)
	v_pk_mul_f32 v[4:5], v[8:9], v[4:5] op_sel_hi:[1,0]
	v_pk_fma_f32 v[14:15], v[8:9], v[172:173], v[4:5] op_sel:[0,0,1] op_sel_hi:[1,1,0] neg_lo:[0,0,1] neg_hi:[0,0,1]
	v_pk_fma_f32 v[4:5], v[8:9], v[172:173], v[4:5] op_sel:[0,0,1] op_sel_hi:[1,0,0]
	s_waitcnt vmcnt(1)
	v_mov_b32_e32 v4, v183
	v_mov_b32_e32 v15, v5
	v_pk_mul_f32 v[4:5], v[10:11], v[4:5] op_sel_hi:[1,0]
	s_waitcnt vmcnt(0)
	v_pk_fma_f32 v[8:9], v[10:11], v[182:183], v[4:5] op_sel:[0,0,1] op_sel_hi:[1,1,0] neg_lo:[0,0,1] neg_hi:[0,0,1]
	v_pk_fma_f32 v[4:5], v[10:11], v[182:183], v[4:5] op_sel:[0,0,1] op_sel_hi:[1,0,0]
	v_pk_add_f32 v[2:3], v[2:3], v[18:19]
	v_mov_b32_e32 v4, v181
	v_pk_add_f32 v[2:3], v[2:3], v[14:15]
	v_mov_b32_e32 v9, v5
	s_waitcnt lgkmcnt(0)
	v_pk_mul_f32 v[4:5], v[12:13], v[4:5] op_sel_hi:[1,0]
	v_pk_add_f32 v[2:3], v[2:3], v[8:9]
	v_pk_fma_f32 v[8:9], v[12:13], v[180:181], v[4:5] op_sel:[0,0,1] op_sel_hi:[1,1,0] neg_lo:[0,0,1] neg_hi:[0,0,1]
	v_pk_fma_f32 v[4:5], v[12:13], v[180:181], v[4:5] op_sel:[0,0,1] op_sel_hi:[1,0,0]
	v_mov_b32_e32 v9, v5
	v_pk_add_f32 v[2:3], v[2:3], v[8:9]
	v_pk_add_f32 v[2:3], v[6:7], v[2:3] neg_lo:[0,1] neg_hi:[0,1]
	buffer_store_dword v3, off, s[0:3], 0 offset:68
	buffer_store_dword v2, off, s[0:3], 0 offset:64
	s_and_saveexec_b64 s[4:5], vcc
	s_cbranch_execz .LBB45_275
; %bb.274:
	buffer_load_dword v2, off, s[0:3], 0 offset:56
	buffer_load_dword v3, off, s[0:3], 0 offset:60
	s_waitcnt vmcnt(0)
	ds_write_b64 v80, v[2:3]
	buffer_store_dword v16, off, s[0:3], 0 offset:56
	buffer_store_dword v16, off, s[0:3], 0 offset:60
.LBB45_275:
	s_or_b64 exec, exec, s[4:5]
	s_waitcnt lgkmcnt(0)
	; wave barrier
	s_waitcnt lgkmcnt(0)
	buffer_load_dword v17, off, s[0:3], 0 offset:68
	buffer_load_dword v72, off, s[0:3], 0 offset:76
	;; [unrolled: 1-line block ×32, first 2 shown]
	ds_read_b128 v[18:21], v16 offset:432
	ds_read_b128 v[6:9], v16 offset:448
	buffer_load_dword v210, off, s[0:3], 0 offset:184
	buffer_load_dword v211, off, s[0:3], 0 offset:188
	ds_read_b128 v[10:13], v16 offset:464
	ds_read_b128 v[2:5], v16 offset:480
	buffer_load_dword v212, off, s[0:3], 0 offset:192
	buffer_load_dword v213, off, s[0:3], 0 offset:196
	;; [unrolled: 1-line block ×28, first 2 shown]
	v_cmp_lt_u32_e32 vcc, 6, v0
	s_waitcnt vmcnt(61) lgkmcnt(3)
	v_mul_f32_e32 v22, v18, v17
	s_waitcnt vmcnt(60)
	v_mul_f32_e32 v23, v20, v72
	s_waitcnt vmcnt(59) lgkmcnt(2)
	v_mul_f32_e32 v24, v6, v74
	s_waitcnt vmcnt(58)
	v_mul_f32_e32 v25, v8, v168
	;; [unrolled: 4-line block ×3, first 2 shown]
	s_waitcnt vmcnt(55) lgkmcnt(0)
	v_mul_f32_e32 v28, v2, v186
	s_waitcnt vmcnt(54)
	v_fmac_f32_e32 v22, v19, v187
	s_waitcnt vmcnt(53)
	v_fmac_f32_e32 v23, v21, v188
	v_add_f32_e32 v22, 0, v22
	s_waitcnt vmcnt(52)
	v_fmac_f32_e32 v24, v7, v189
	v_add_f32_e32 v22, v22, v23
	s_waitcnt vmcnt(51)
	v_fmac_f32_e32 v25, v9, v190
	v_add_f32_e32 v22, v22, v24
	s_waitcnt vmcnt(50)
	v_fmac_f32_e32 v26, v11, v191
	v_add_f32_e32 v22, v22, v25
	s_waitcnt vmcnt(49)
	v_fmac_f32_e32 v27, v13, v192
	v_add_f32_e32 v22, v22, v26
	s_waitcnt vmcnt(48)
	v_fmac_f32_e32 v28, v3, v193
	v_add_f32_e32 v22, v22, v27
	v_add_f32_e32 v26, v22, v28
	ds_read_b128 v[22:25], v16 offset:496
	s_waitcnt vmcnt(47)
	v_mul_f32_e32 v27, v4, v194
	s_waitcnt vmcnt(46)
	v_fmac_f32_e32 v27, v5, v195
	v_add_f32_e32 v30, v26, v27
	ds_read_b128 v[26:29], v16 offset:512
	s_waitcnt vmcnt(45) lgkmcnt(1)
	v_mul_f32_e32 v31, v22, v196
	s_waitcnt vmcnt(44)
	v_fmac_f32_e32 v31, v23, v197
	v_add_f32_e32 v30, v30, v31
	s_waitcnt vmcnt(43)
	v_mul_f32_e32 v31, v24, v198
	s_waitcnt vmcnt(42)
	v_fmac_f32_e32 v31, v25, v199
	v_add_f32_e32 v30, v30, v31
	s_waitcnt vmcnt(41) lgkmcnt(0)
	v_mul_f32_e32 v31, v26, v200
	s_waitcnt vmcnt(40)
	v_fmac_f32_e32 v31, v27, v201
	v_add_f32_e32 v34, v30, v31
	ds_read_b128 v[30:33], v16 offset:528
	s_waitcnt vmcnt(39)
	v_mul_f32_e32 v35, v28, v202
	s_waitcnt vmcnt(38)
	v_fmac_f32_e32 v35, v29, v203
	v_add_f32_e32 v38, v34, v35
	ds_read_b128 v[34:37], v16 offset:544
	s_waitcnt vmcnt(35) lgkmcnt(1)
	v_mul_f32_e32 v39, v30, v204
	s_waitcnt vmcnt(34)
	v_fmac_f32_e32 v39, v31, v205
	v_add_f32_e32 v38, v38, v39
	s_waitcnt vmcnt(32)
	v_mul_f32_e32 v39, v32, v207
	v_fmac_f32_e32 v39, v33, v206
	v_add_f32_e32 v38, v38, v39
	s_waitcnt vmcnt(30) lgkmcnt(0)
	v_mul_f32_e32 v39, v34, v209
	v_fmac_f32_e32 v39, v35, v208
	v_add_f32_e32 v42, v38, v39
	ds_read_b128 v[38:41], v16 offset:560
	s_waitcnt vmcnt(28)
	v_mul_f32_e32 v43, v36, v211
	v_fmac_f32_e32 v43, v37, v210
	v_add_f32_e32 v46, v42, v43
	ds_read_b128 v[42:45], v16 offset:576
	s_waitcnt vmcnt(26) lgkmcnt(1)
	v_mul_f32_e32 v47, v38, v213
	v_fmac_f32_e32 v47, v39, v212
	v_add_f32_e32 v46, v46, v47
	s_waitcnt vmcnt(24)
	v_mul_f32_e32 v47, v40, v215
	v_fmac_f32_e32 v47, v41, v214
	v_add_f32_e32 v46, v46, v47
	s_waitcnt vmcnt(22) lgkmcnt(0)
	v_mul_f32_e32 v47, v42, v217
	v_fmac_f32_e32 v47, v43, v216
	v_add_f32_e32 v50, v46, v47
	ds_read_b128 v[46:49], v16 offset:592
	s_waitcnt vmcnt(20)
	v_mul_f32_e32 v51, v44, v219
	v_fmac_f32_e32 v51, v45, v218
	v_add_f32_e32 v54, v50, v51
	ds_read_b128 v[50:53], v16 offset:608
	s_waitcnt vmcnt(18) lgkmcnt(1)
	v_mul_f32_e32 v55, v46, v221
	v_fmac_f32_e32 v55, v47, v220
	v_add_f32_e32 v54, v54, v55
	s_waitcnt vmcnt(16)
	v_mul_f32_e32 v55, v48, v223
	v_fmac_f32_e32 v55, v49, v222
	v_add_f32_e32 v54, v54, v55
	s_waitcnt vmcnt(14) lgkmcnt(0)
	v_mul_f32_e32 v55, v50, v225
	v_fmac_f32_e32 v55, v51, v224
	v_add_f32_e32 v58, v54, v55
	ds_read_b128 v[54:57], v16 offset:624
	s_waitcnt vmcnt(12)
	v_mul_f32_e32 v59, v52, v227
	v_fmac_f32_e32 v59, v53, v226
	v_add_f32_e32 v62, v58, v59
	ds_read_b128 v[58:61], v16 offset:640
	buffer_load_dword v71, off, s[0:3], 0 offset:308
	buffer_load_dword v70, off, s[0:3], 0 offset:304
	s_waitcnt vmcnt(12) lgkmcnt(1)
	v_mul_f32_e32 v63, v54, v229
	v_fmac_f32_e32 v63, v55, v228
	v_add_f32_e32 v62, v62, v63
	s_waitcnt vmcnt(10)
	v_mul_f32_e32 v63, v56, v231
	v_fmac_f32_e32 v63, v57, v230
	v_add_f32_e32 v62, v62, v63
	s_waitcnt vmcnt(8) lgkmcnt(0)
	v_mul_f32_e32 v63, v58, v233
	v_fmac_f32_e32 v63, v59, v232
	s_waitcnt vmcnt(6)
	v_mul_f32_e32 v67, v60, v235
	v_add_f32_e32 v66, v62, v63
	v_fmac_f32_e32 v67, v61, v234
	ds_read_b128 v[62:65], v16 offset:656
	v_add_f32_e32 v73, v66, v67
	ds_read_b128 v[66:69], v16 offset:672
	buffer_load_dword v171, off, s[0:3], 0 offset:340
	buffer_load_dword v170, off, s[0:3], 0 offset:336
	;; [unrolled: 1-line block ×14, first 2 shown]
	v_mul_f32_e32 v17, v19, v17
	v_fma_f32 v17, v18, v187, -v17
	v_mul_f32_e32 v18, v21, v72
	v_add_f32_e32 v17, 0, v17
	v_fma_f32 v18, v20, v188, -v18
	v_mul_f32_e32 v7, v7, v74
	v_add_f32_e32 v17, v17, v18
	;; [unrolled: 3-line block ×3, first 2 shown]
	v_fma_f32 v7, v8, v190, -v7
	v_add_f32_e32 v6, v6, v7
	v_mul_f32_e32 v7, v11, v184
	v_fma_f32 v7, v10, v191, -v7
	v_add_f32_e32 v6, v6, v7
	v_mul_f32_e32 v7, v13, v185
	v_fma_f32 v7, v12, v192, -v7
	v_mul_f32_e32 v3, v3, v186
	v_add_f32_e32 v6, v6, v7
	v_fma_f32 v2, v2, v193, -v3
	v_mul_f32_e32 v3, v5, v194
	v_add_f32_e32 v2, v6, v2
	v_fma_f32 v3, v4, v195, -v3
	v_add_f32_e32 v2, v2, v3
	v_mul_f32_e32 v3, v23, v196
	v_fma_f32 v3, v22, v197, -v3
	v_add_f32_e32 v2, v2, v3
	v_mul_f32_e32 v3, v25, v198
	v_fma_f32 v3, v24, v199, -v3
	v_add_f32_e32 v2, v2, v3
	v_mul_f32_e32 v3, v27, v200
	v_fma_f32 v3, v26, v201, -v3
	v_add_f32_e32 v2, v2, v3
	v_mul_f32_e32 v3, v29, v202
	v_fma_f32 v3, v28, v203, -v3
	v_add_f32_e32 v2, v2, v3
	v_mul_f32_e32 v3, v31, v204
	v_fma_f32 v3, v30, v205, -v3
	v_add_f32_e32 v2, v2, v3
	v_mul_f32_e32 v3, v33, v207
	v_fma_f32 v3, v32, v206, -v3
	v_add_f32_e32 v2, v2, v3
	v_mul_f32_e32 v3, v35, v209
	v_fma_f32 v3, v34, v208, -v3
	v_add_f32_e32 v2, v2, v3
	v_mul_f32_e32 v3, v37, v211
	v_fma_f32 v3, v36, v210, -v3
	v_add_f32_e32 v2, v2, v3
	v_mul_f32_e32 v3, v39, v213
	v_fma_f32 v3, v38, v212, -v3
	v_add_f32_e32 v2, v2, v3
	v_mul_f32_e32 v3, v41, v215
	v_fma_f32 v3, v40, v214, -v3
	v_add_f32_e32 v2, v2, v3
	v_mul_f32_e32 v3, v43, v217
	v_fma_f32 v3, v42, v216, -v3
	v_add_f32_e32 v2, v2, v3
	v_mul_f32_e32 v3, v45, v219
	v_fma_f32 v3, v44, v218, -v3
	v_add_f32_e32 v2, v2, v3
	v_mul_f32_e32 v3, v47, v221
	v_fma_f32 v3, v46, v220, -v3
	v_add_f32_e32 v2, v2, v3
	v_mul_f32_e32 v3, v49, v223
	v_fma_f32 v3, v48, v222, -v3
	v_add_f32_e32 v2, v2, v3
	v_mul_f32_e32 v3, v51, v225
	v_fma_f32 v3, v50, v224, -v3
	v_add_f32_e32 v2, v2, v3
	v_mul_f32_e32 v3, v53, v227
	v_fma_f32 v3, v52, v226, -v3
	v_add_f32_e32 v2, v2, v3
	v_mul_f32_e32 v3, v55, v229
	v_fma_f32 v3, v54, v228, -v3
	v_add_f32_e32 v2, v2, v3
	v_mul_f32_e32 v3, v57, v231
	v_fma_f32 v3, v56, v230, -v3
	v_add_f32_e32 v2, v2, v3
	v_mul_f32_e32 v3, v59, v233
	v_fma_f32 v3, v58, v232, -v3
	v_add_f32_e32 v2, v2, v3
	v_mul_f32_e32 v3, v61, v235
	v_fma_f32 v3, v60, v234, -v3
	s_waitcnt vmcnt(15)
	v_mov_b32_e32 v18, v71
	s_waitcnt lgkmcnt(1)
	v_mul_f32_e32 v75, v62, v237
	v_add_f32_e32 v72, v2, v3
	v_mul_f32_e32 v2, v63, v237
	s_waitcnt lgkmcnt(0)
	v_pk_mul_f32 v[18:19], v[66:67], v[18:19] op_sel_hi:[1,0]
	v_fmac_f32_e32 v75, v63, v236
	v_mul_f32_e32 v169, v64, v239
	v_fma_f32 v74, v62, v236, -v2
	v_mul_f32_e32 v2, v65, v239
	s_waitcnt vmcnt(14)
	v_pk_fma_f32 v[20:21], v[66:67], v[70:71], v[18:19] op_sel:[0,0,1] op_sel_hi:[1,1,0] neg_lo:[0,0,1] neg_hi:[0,0,1]
	v_pk_fma_f32 v[18:19], v[66:67], v[70:71], v[18:19] op_sel:[0,0,1] op_sel_hi:[1,0,0]
	v_fmac_f32_e32 v169, v65, v238
	v_fma_f32 v168, v64, v238, -v2
	ds_read_b128 v[2:5], v16 offset:688
	ds_read_b128 v[6:9], v16 offset:704
	;; [unrolled: 1-line block ×3, first 2 shown]
	v_pk_add_f32 v[16:17], v[72:73], v[74:75]
	s_waitcnt vmcnt(7)
	v_mov_b32_e32 v18, v177
	v_pk_add_f32 v[16:17], v[16:17], v[168:169]
	v_mov_b32_e32 v21, v19
	v_pk_mul_f32 v[18:19], v[68:69], v[18:19] op_sel_hi:[1,0]
	v_pk_add_f32 v[16:17], v[16:17], v[20:21]
	s_waitcnt vmcnt(6)
	v_pk_fma_f32 v[20:21], v[68:69], v[176:177], v[18:19] op_sel:[0,0,1] op_sel_hi:[1,1,0] neg_lo:[0,0,1] neg_hi:[0,0,1]
	v_pk_fma_f32 v[18:19], v[68:69], v[176:177], v[18:19] op_sel:[0,0,1] op_sel_hi:[1,0,0]
	v_mov_b32_e32 v18, v175
	v_mov_b32_e32 v21, v19
	s_waitcnt lgkmcnt(2)
	v_pk_mul_f32 v[18:19], v[2:3], v[18:19] op_sel_hi:[1,0]
	v_pk_add_f32 v[16:17], v[16:17], v[20:21]
	v_pk_fma_f32 v[20:21], v[2:3], v[174:175], v[18:19] op_sel:[0,0,1] op_sel_hi:[1,1,0] neg_lo:[0,0,1] neg_hi:[0,0,1]
	v_pk_fma_f32 v[2:3], v[2:3], v[174:175], v[18:19] op_sel:[0,0,1] op_sel_hi:[1,0,0]
	v_mov_b32_e32 v21, v3
	v_pk_add_f32 v[2:3], v[16:17], v[20:21]
	v_mov_b32_e32 v16, v173
	v_pk_mul_f32 v[16:17], v[4:5], v[16:17] op_sel_hi:[1,0]
	v_pk_fma_f32 v[18:19], v[4:5], v[172:173], v[16:17] op_sel:[0,0,1] op_sel_hi:[1,1,0] neg_lo:[0,0,1] neg_hi:[0,0,1]
	v_pk_fma_f32 v[4:5], v[4:5], v[172:173], v[16:17] op_sel:[0,0,1] op_sel_hi:[1,0,0]
	v_mov_b32_e32 v4, v171
	v_mov_b32_e32 v19, v5
	s_waitcnt lgkmcnt(1)
	v_pk_mul_f32 v[4:5], v[6:7], v[4:5] op_sel_hi:[1,0]
	v_pk_fma_f32 v[16:17], v[6:7], v[170:171], v[4:5] op_sel:[0,0,1] op_sel_hi:[1,1,0] neg_lo:[0,0,1] neg_hi:[0,0,1]
	v_pk_fma_f32 v[4:5], v[6:7], v[170:171], v[4:5] op_sel:[0,0,1] op_sel_hi:[1,0,0]
	s_waitcnt vmcnt(1)
	v_mov_b32_e32 v4, v183
	v_mov_b32_e32 v17, v5
	v_pk_mul_f32 v[4:5], v[8:9], v[4:5] op_sel_hi:[1,0]
	s_waitcnt vmcnt(0)
	v_pk_fma_f32 v[6:7], v[8:9], v[182:183], v[4:5] op_sel:[0,0,1] op_sel_hi:[1,1,0] neg_lo:[0,0,1] neg_hi:[0,0,1]
	v_pk_fma_f32 v[4:5], v[8:9], v[182:183], v[4:5] op_sel:[0,0,1] op_sel_hi:[1,0,0]
	v_pk_add_f32 v[2:3], v[2:3], v[18:19]
	v_mov_b32_e32 v4, v181
	v_pk_add_f32 v[2:3], v[2:3], v[16:17]
	v_mov_b32_e32 v7, v5
	s_waitcnt lgkmcnt(0)
	v_pk_mul_f32 v[4:5], v[10:11], v[4:5] op_sel_hi:[1,0]
	v_pk_add_f32 v[2:3], v[2:3], v[6:7]
	v_pk_fma_f32 v[6:7], v[10:11], v[180:181], v[4:5] op_sel:[0,0,1] op_sel_hi:[1,1,0] neg_lo:[0,0,1] neg_hi:[0,0,1]
	v_pk_fma_f32 v[4:5], v[10:11], v[180:181], v[4:5] op_sel:[0,0,1] op_sel_hi:[1,0,0]
	v_mov_b32_e32 v4, v179
	v_mov_b32_e32 v7, v5
	v_pk_mul_f32 v[4:5], v[12:13], v[4:5] op_sel_hi:[1,0]
	v_pk_add_f32 v[2:3], v[2:3], v[6:7]
	v_pk_fma_f32 v[6:7], v[12:13], v[178:179], v[4:5] op_sel:[0,0,1] op_sel_hi:[1,1,0] neg_lo:[0,0,1] neg_hi:[0,0,1]
	v_pk_fma_f32 v[4:5], v[12:13], v[178:179], v[4:5] op_sel:[0,0,1] op_sel_hi:[1,0,0]
	v_mov_b32_e32 v7, v5
	v_pk_add_f32 v[2:3], v[2:3], v[6:7]
	v_pk_add_f32 v[2:3], v[14:15], v[2:3] neg_lo:[0,1] neg_hi:[0,1]
	buffer_store_dword v3, off, s[0:3], 0 offset:60
	buffer_store_dword v2, off, s[0:3], 0 offset:56
	s_and_saveexec_b64 s[4:5], vcc
	s_cbranch_execz .LBB45_277
; %bb.276:
	buffer_load_dword v2, off, s[0:3], 0 offset:48
	buffer_load_dword v3, off, s[0:3], 0 offset:52
	v_mov_b32_e32 v4, 0
	buffer_store_dword v4, off, s[0:3], 0 offset:48
	buffer_store_dword v4, off, s[0:3], 0 offset:52
	s_waitcnt vmcnt(2)
	ds_write_b64 v80, v[2:3]
.LBB45_277:
	s_or_b64 exec, exec, s[4:5]
	s_waitcnt lgkmcnt(0)
	; wave barrier
	s_waitcnt lgkmcnt(0)
	buffer_load_dword v21, off, s[0:3], 0 offset:60
	buffer_load_dword v70, off, s[0:3], 0 offset:68
	;; [unrolled: 1-line block ×48, first 2 shown]
	v_mov_b32_e32 v20, 0
	ds_read2_b64 v[4:7], v20 offset0:53 offset1:54
	buffer_load_dword v226, off, s[0:3], 0 offset:240
	buffer_load_dword v227, off, s[0:3], 0 offset:244
	buffer_load_dword v228, off, s[0:3], 0 offset:248
	buffer_load_dword v229, off, s[0:3], 0 offset:252
	buffer_load_dword v230, off, s[0:3], 0 offset:256
	buffer_load_dword v231, off, s[0:3], 0 offset:260
	buffer_load_dword v232, off, s[0:3], 0 offset:264
	buffer_load_dword v233, off, s[0:3], 0 offset:268
	ds_read2_b64 v[8:11], v20 offset0:55 offset1:56
	ds_read2_b64 v[12:15], v20 offset0:57 offset1:58
	ds_read2_b64 v[16:19], v20 offset0:59 offset1:60
	buffer_load_dword v234, off, s[0:3], 0 offset:272
	buffer_load_dword v235, off, s[0:3], 0 offset:276
	;; [unrolled: 1-line block ×8, first 2 shown]
	v_cmp_lt_u32_e32 vcc, 5, v0
	s_waitcnt vmcnt(62) lgkmcnt(3)
	v_mul_f32_e32 v22, v4, v21
	v_mul_f32_e32 v23, v6, v70
	s_waitcnt vmcnt(61) lgkmcnt(2)
	v_mul_f32_e32 v24, v8, v72
	s_waitcnt vmcnt(60)
	v_mul_f32_e32 v25, v10, v74
	s_waitcnt vmcnt(59) lgkmcnt(1)
	v_mul_f32_e32 v26, v12, v184
	s_waitcnt vmcnt(58)
	;; [unrolled: 4-line block ×3, first 2 shown]
	v_fmac_f32_e32 v22, v5, v187
	s_waitcnt vmcnt(55)
	v_fmac_f32_e32 v23, v7, v188
	v_add_f32_e32 v22, 0, v22
	s_waitcnt vmcnt(54)
	v_fmac_f32_e32 v24, v9, v189
	v_add_f32_e32 v22, v22, v23
	;; [unrolled: 3-line block ×6, first 2 shown]
	v_add_f32_e32 v26, v22, v28
	ds_read2_b64 v[22:25], v20 offset0:61 offset1:62
	s_waitcnt vmcnt(49)
	v_mul_f32_e32 v27, v18, v194
	s_waitcnt vmcnt(48)
	v_fmac_f32_e32 v27, v19, v195
	v_add_f32_e32 v30, v26, v27
	ds_read2_b64 v[26:29], v20 offset0:63 offset1:64
	s_waitcnt vmcnt(47) lgkmcnt(1)
	v_mul_f32_e32 v31, v22, v196
	s_waitcnt vmcnt(46)
	v_fmac_f32_e32 v31, v23, v197
	v_add_f32_e32 v30, v30, v31
	s_waitcnt vmcnt(45)
	v_mul_f32_e32 v31, v24, v198
	s_waitcnt vmcnt(44)
	v_fmac_f32_e32 v31, v25, v199
	v_add_f32_e32 v30, v30, v31
	s_waitcnt vmcnt(42) lgkmcnt(0)
	v_mul_f32_e32 v31, v26, v201
	v_fmac_f32_e32 v31, v27, v200
	v_add_f32_e32 v34, v30, v31
	ds_read2_b64 v[30:33], v20 offset0:65 offset1:66
	s_waitcnt vmcnt(38)
	v_mul_f32_e32 v35, v28, v203
	v_fmac_f32_e32 v35, v29, v202
	v_add_f32_e32 v38, v34, v35
	ds_read2_b64 v[34:37], v20 offset0:67 offset1:68
	s_waitcnt vmcnt(36) lgkmcnt(1)
	v_mul_f32_e32 v39, v30, v205
	v_fmac_f32_e32 v39, v31, v204
	v_add_f32_e32 v38, v38, v39
	s_waitcnt vmcnt(34)
	v_mul_f32_e32 v39, v32, v207
	v_fmac_f32_e32 v39, v33, v206
	v_add_f32_e32 v38, v38, v39
	s_waitcnt vmcnt(32) lgkmcnt(0)
	v_mul_f32_e32 v39, v34, v209
	v_fmac_f32_e32 v39, v35, v208
	v_add_f32_e32 v42, v38, v39
	ds_read2_b64 v[38:41], v20 offset0:69 offset1:70
	s_waitcnt vmcnt(30)
	v_mul_f32_e32 v43, v36, v211
	v_fmac_f32_e32 v43, v37, v210
	v_add_f32_e32 v46, v42, v43
	ds_read2_b64 v[42:45], v20 offset0:71 offset1:72
	s_waitcnt vmcnt(28) lgkmcnt(1)
	v_mul_f32_e32 v47, v38, v213
	v_fmac_f32_e32 v47, v39, v212
	v_add_f32_e32 v46, v46, v47
	s_waitcnt vmcnt(26)
	v_mul_f32_e32 v47, v40, v215
	v_fmac_f32_e32 v47, v41, v214
	v_add_f32_e32 v46, v46, v47
	s_waitcnt vmcnt(24) lgkmcnt(0)
	v_mul_f32_e32 v47, v42, v217
	v_fmac_f32_e32 v47, v43, v216
	v_add_f32_e32 v50, v46, v47
	ds_read2_b64 v[46:49], v20 offset0:73 offset1:74
	s_waitcnt vmcnt(22)
	v_mul_f32_e32 v51, v44, v219
	v_fmac_f32_e32 v51, v45, v218
	v_add_f32_e32 v54, v50, v51
	ds_read2_b64 v[50:53], v20 offset0:75 offset1:76
	s_waitcnt vmcnt(20) lgkmcnt(1)
	v_mul_f32_e32 v55, v46, v221
	v_fmac_f32_e32 v55, v47, v220
	v_add_f32_e32 v54, v54, v55
	s_waitcnt vmcnt(18)
	v_mul_f32_e32 v55, v48, v223
	v_fmac_f32_e32 v55, v49, v222
	v_add_f32_e32 v54, v54, v55
	s_waitcnt vmcnt(16) lgkmcnt(0)
	v_mul_f32_e32 v55, v50, v225
	v_fmac_f32_e32 v55, v51, v224
	v_add_f32_e32 v58, v54, v55
	ds_read2_b64 v[54:57], v20 offset0:77 offset1:78
	s_waitcnt vmcnt(14)
	v_mul_f32_e32 v59, v52, v227
	v_fmac_f32_e32 v59, v53, v226
	v_add_f32_e32 v62, v58, v59
	ds_read2_b64 v[58:61], v20 offset0:79 offset1:80
	s_waitcnt vmcnt(12) lgkmcnt(1)
	v_mul_f32_e32 v63, v54, v229
	v_fmac_f32_e32 v63, v55, v228
	v_add_f32_e32 v62, v62, v63
	s_waitcnt vmcnt(10)
	v_mul_f32_e32 v63, v56, v231
	v_fmac_f32_e32 v63, v57, v230
	v_add_f32_e32 v62, v62, v63
	s_waitcnt vmcnt(8) lgkmcnt(0)
	v_mul_f32_e32 v63, v58, v233
	v_fmac_f32_e32 v63, v59, v232
	s_waitcnt vmcnt(6)
	v_mul_f32_e32 v67, v60, v235
	v_add_f32_e32 v66, v62, v63
	v_fmac_f32_e32 v67, v61, v234
	ds_read2_b64 v[62:65], v20 offset0:81 offset1:82
	v_add_f32_e32 v71, v66, v67
	ds_read2_b64 v[66:69], v20 offset0:83 offset1:84
	buffer_load_dword v169, off, s[0:3], 0 offset:332
	buffer_load_dword v168, off, s[0:3], 0 offset:328
	;; [unrolled: 1-line block ×16, first 2 shown]
	v_mul_f32_e32 v5, v5, v21
	v_fma_f32 v4, v4, v187, -v5
	v_mul_f32_e32 v5, v7, v70
	v_add_f32_e32 v4, 0, v4
	v_fma_f32 v5, v6, v188, -v5
	v_add_f32_e32 v4, v4, v5
	v_mul_f32_e32 v5, v9, v72
	v_fma_f32 v5, v8, v189, -v5
	v_add_f32_e32 v4, v4, v5
	v_mul_f32_e32 v5, v11, v74
	;; [unrolled: 3-line block ×26, first 2 shown]
	v_fma_f32 v5, v60, v234, -v5
	v_add_f32_e32 v4, v4, v5
	s_waitcnt vmcnt(20) lgkmcnt(1)
	v_mul_f32_e32 v5, v63, v237
	v_mul_f32_e32 v73, v62, v237
	v_fma_f32 v5, v62, v236, -v5
	v_fmac_f32_e32 v73, v63, v236
	v_add_f32_e32 v70, v4, v5
	s_waitcnt vmcnt(18)
	v_mul_f32_e32 v4, v65, v239
	s_waitcnt vmcnt(9)
	v_mov_b32_e32 v22, v175
	v_add_f32_e32 v71, v71, v73
	v_mul_f32_e32 v73, v64, v239
	v_fma_f32 v72, v64, v238, -v4
	s_waitcnt lgkmcnt(0)
	v_mul_f32_e32 v4, v67, v241
	v_pk_mul_f32 v[22:23], v[68:69], v[22:23] op_sel_hi:[1,0]
	v_fmac_f32_e32 v73, v65, v238
	v_mul_f32_e32 v75, v66, v241
	v_fma_f32 v74, v66, v240, -v4
	ds_read2_b64 v[4:7], v20 offset0:85 offset1:86
	ds_read2_b64 v[8:11], v20 offset0:87 offset1:88
	;; [unrolled: 1-line block ×3, first 2 shown]
	ds_read_b64 v[16:17], v20 offset:728
	s_waitcnt vmcnt(8)
	v_pk_fma_f32 v[24:25], v[68:69], v[174:175], v[22:23] op_sel:[0,0,1] op_sel_hi:[1,1,0] neg_lo:[0,0,1] neg_hi:[0,0,1]
	v_pk_fma_f32 v[22:23], v[68:69], v[174:175], v[22:23] op_sel:[0,0,1] op_sel_hi:[1,0,0]
	v_fmac_f32_e32 v75, v67, v240
	v_pk_add_f32 v[18:19], v[70:71], v[72:73]
	v_mov_b32_e32 v22, v173
	v_pk_add_f32 v[18:19], v[18:19], v[74:75]
	v_mov_b32_e32 v25, v23
	s_waitcnt lgkmcnt(3)
	v_pk_mul_f32 v[22:23], v[4:5], v[22:23] op_sel_hi:[1,0]
	v_pk_add_f32 v[18:19], v[18:19], v[24:25]
	v_pk_fma_f32 v[24:25], v[4:5], v[172:173], v[22:23] op_sel:[0,0,1] op_sel_hi:[1,1,0] neg_lo:[0,0,1] neg_hi:[0,0,1]
	v_pk_fma_f32 v[4:5], v[4:5], v[172:173], v[22:23] op_sel:[0,0,1] op_sel_hi:[1,0,0]
	v_mov_b32_e32 v25, v5
	v_pk_add_f32 v[4:5], v[18:19], v[24:25]
	v_mov_b32_e32 v18, v171
	v_pk_mul_f32 v[18:19], v[6:7], v[18:19] op_sel_hi:[1,0]
	v_pk_fma_f32 v[22:23], v[6:7], v[170:171], v[18:19] op_sel:[0,0,1] op_sel_hi:[1,1,0] neg_lo:[0,0,1] neg_hi:[0,0,1]
	v_pk_fma_f32 v[6:7], v[6:7], v[170:171], v[18:19] op_sel:[0,0,1] op_sel_hi:[1,0,0]
	v_mov_b32_e32 v6, v169
	v_mov_b32_e32 v23, v7
	s_waitcnt lgkmcnt(2)
	v_pk_mul_f32 v[6:7], v[8:9], v[6:7] op_sel_hi:[1,0]
	v_pk_fma_f32 v[18:19], v[8:9], v[168:169], v[6:7] op_sel:[0,0,1] op_sel_hi:[1,1,0] neg_lo:[0,0,1] neg_hi:[0,0,1]
	v_pk_fma_f32 v[6:7], v[8:9], v[168:169], v[6:7] op_sel:[0,0,1] op_sel_hi:[1,0,0]
	s_waitcnt vmcnt(1)
	v_mov_b32_e32 v6, v183
	v_mov_b32_e32 v19, v7
	v_pk_mul_f32 v[6:7], v[10:11], v[6:7] op_sel_hi:[1,0]
	s_waitcnt vmcnt(0)
	v_pk_fma_f32 v[8:9], v[10:11], v[182:183], v[6:7] op_sel:[0,0,1] op_sel_hi:[1,1,0] neg_lo:[0,0,1] neg_hi:[0,0,1]
	v_pk_fma_f32 v[6:7], v[10:11], v[182:183], v[6:7] op_sel:[0,0,1] op_sel_hi:[1,0,0]
	v_pk_add_f32 v[4:5], v[4:5], v[22:23]
	v_mov_b32_e32 v6, v181
	v_pk_add_f32 v[4:5], v[4:5], v[18:19]
	v_mov_b32_e32 v9, v7
	s_waitcnt lgkmcnt(1)
	v_pk_mul_f32 v[6:7], v[12:13], v[6:7] op_sel_hi:[1,0]
	v_pk_add_f32 v[4:5], v[4:5], v[8:9]
	v_pk_fma_f32 v[8:9], v[12:13], v[180:181], v[6:7] op_sel:[0,0,1] op_sel_hi:[1,1,0] neg_lo:[0,0,1] neg_hi:[0,0,1]
	v_pk_fma_f32 v[6:7], v[12:13], v[180:181], v[6:7] op_sel:[0,0,1] op_sel_hi:[1,0,0]
	v_mov_b32_e32 v6, v179
	v_mov_b32_e32 v9, v7
	v_pk_mul_f32 v[6:7], v[14:15], v[6:7] op_sel_hi:[1,0]
	v_pk_add_f32 v[4:5], v[4:5], v[8:9]
	v_pk_fma_f32 v[8:9], v[14:15], v[178:179], v[6:7] op_sel:[0,0,1] op_sel_hi:[1,1,0] neg_lo:[0,0,1] neg_hi:[0,0,1]
	v_pk_fma_f32 v[6:7], v[14:15], v[178:179], v[6:7] op_sel:[0,0,1] op_sel_hi:[1,0,0]
	v_mov_b32_e32 v6, v177
	v_mov_b32_e32 v9, v7
	s_waitcnt lgkmcnt(0)
	v_pk_mul_f32 v[6:7], v[16:17], v[6:7] op_sel_hi:[1,0]
	v_pk_add_f32 v[4:5], v[4:5], v[8:9]
	v_pk_fma_f32 v[8:9], v[16:17], v[176:177], v[6:7] op_sel:[0,0,1] op_sel_hi:[1,1,0] neg_lo:[0,0,1] neg_hi:[0,0,1]
	v_pk_fma_f32 v[6:7], v[16:17], v[176:177], v[6:7] op_sel:[0,0,1] op_sel_hi:[1,0,0]
	v_mov_b32_e32 v9, v7
	v_pk_add_f32 v[4:5], v[4:5], v[8:9]
	v_pk_add_f32 v[2:3], v[2:3], v[4:5] neg_lo:[0,1] neg_hi:[0,1]
	buffer_store_dword v3, off, s[0:3], 0 offset:52
	buffer_store_dword v2, off, s[0:3], 0 offset:48
	s_and_saveexec_b64 s[4:5], vcc
	s_cbranch_execz .LBB45_279
; %bb.278:
	buffer_load_dword v2, off, s[0:3], 0 offset:40
	buffer_load_dword v3, off, s[0:3], 0 offset:44
	s_waitcnt vmcnt(0)
	ds_write_b64 v80, v[2:3]
	buffer_store_dword v20, off, s[0:3], 0 offset:40
	buffer_store_dword v20, off, s[0:3], 0 offset:44
.LBB45_279:
	s_or_b64 exec, exec, s[4:5]
	s_waitcnt lgkmcnt(0)
	; wave barrier
	s_waitcnt lgkmcnt(0)
	buffer_load_dword v21, off, s[0:3], 0 offset:52
	buffer_load_dword v70, off, s[0:3], 0 offset:60
	buffer_load_dword v72, off, s[0:3], 0 offset:68
	buffer_load_dword v172, off, s[0:3], 0 offset:76
	buffer_load_dword v184, off, s[0:3], 0 offset:84
	buffer_load_dword v185, off, s[0:3], 0 offset:92
	buffer_load_dword v186, off, s[0:3], 0 offset:100
	buffer_load_dword v187, off, s[0:3], 0 offset:108
	buffer_load_dword v188, off, s[0:3], 0 offset:48
	buffer_load_dword v189, off, s[0:3], 0 offset:56
	buffer_load_dword v190, off, s[0:3], 0 offset:64
	buffer_load_dword v191, off, s[0:3], 0 offset:72
	buffer_load_dword v192, off, s[0:3], 0 offset:80
	buffer_load_dword v193, off, s[0:3], 0 offset:88
	buffer_load_dword v194, off, s[0:3], 0 offset:96
	buffer_load_dword v195, off, s[0:3], 0 offset:104
	buffer_load_dword v196, off, s[0:3], 0 offset:116
	buffer_load_dword v197, off, s[0:3], 0 offset:112
	buffer_load_dword v198, off, s[0:3], 0 offset:124
	buffer_load_dword v199, off, s[0:3], 0 offset:120
	buffer_load_dword v18, off, s[0:3], 0 offset:40
	buffer_load_dword v19, off, s[0:3], 0 offset:44
	buffer_load_dword v200, off, s[0:3], 0 offset:132
	buffer_load_dword v201, off, s[0:3], 0 offset:128
	buffer_load_dword v202, off, s[0:3], 0 offset:136
	buffer_load_dword v203, off, s[0:3], 0 offset:140
	ds_read_b128 v[14:17], v20 offset:416
	ds_read_b128 v[6:9], v20 offset:432
	buffer_load_dword v204, off, s[0:3], 0 offset:144
	buffer_load_dword v205, off, s[0:3], 0 offset:148
	ds_read_b128 v[10:13], v20 offset:448
	ds_read_b128 v[2:5], v20 offset:464
	buffer_load_dword v206, off, s[0:3], 0 offset:152
	buffer_load_dword v207, off, s[0:3], 0 offset:156
	;; [unrolled: 1-line block ×32, first 2 shown]
	v_cmp_lt_u32_e32 vcc, 4, v0
	s_waitcnt vmcnt(59) lgkmcnt(3)
	v_mul_f32_e32 v22, v14, v21
	s_waitcnt vmcnt(58)
	v_mul_f32_e32 v23, v16, v70
	s_waitcnt vmcnt(57) lgkmcnt(2)
	v_mul_f32_e32 v24, v6, v72
	s_waitcnt vmcnt(56)
	v_mul_f32_e32 v25, v8, v172
	;; [unrolled: 4-line block ×4, first 2 shown]
	s_waitcnt vmcnt(51)
	v_fmac_f32_e32 v22, v15, v188
	s_waitcnt vmcnt(50)
	v_fmac_f32_e32 v23, v17, v189
	v_add_f32_e32 v22, 0, v22
	s_waitcnt vmcnt(49)
	v_fmac_f32_e32 v24, v7, v190
	v_add_f32_e32 v22, v22, v23
	;; [unrolled: 3-line block ×6, first 2 shown]
	v_add_f32_e32 v26, v22, v28
	ds_read_b128 v[22:25], v20 offset:480
	s_waitcnt vmcnt(44)
	v_fmac_f32_e32 v29, v5, v195
	buffer_load_dword v238, off, s[0:3], 0 offset:280
	buffer_load_dword v239, off, s[0:3], 0 offset:284
	v_add_f32_e32 v30, v26, v29
	buffer_load_dword v240, off, s[0:3], 0 offset:288
	buffer_load_dword v241, off, s[0:3], 0 offset:292
	ds_read_b128 v[26:29], v20 offset:496
	s_waitcnt vmcnt(47) lgkmcnt(1)
	v_mul_f32_e32 v31, v22, v196
	s_waitcnt vmcnt(46)
	v_fmac_f32_e32 v31, v23, v197
	v_add_f32_e32 v30, v30, v31
	s_waitcnt vmcnt(45)
	v_mul_f32_e32 v31, v24, v198
	s_waitcnt vmcnt(44)
	v_fmac_f32_e32 v31, v25, v199
	v_add_f32_e32 v30, v30, v31
	s_waitcnt vmcnt(41) lgkmcnt(0)
	v_mul_f32_e32 v31, v26, v200
	s_waitcnt vmcnt(40)
	v_fmac_f32_e32 v31, v27, v201
	buffer_load_dword v242, off, s[0:3], 0 offset:296
	buffer_load_dword v243, off, s[0:3], 0 offset:300
	v_add_f32_e32 v34, v30, v31
	ds_read_b128 v[30:33], v20 offset:512
	s_waitcnt vmcnt(40)
	v_mul_f32_e32 v35, v28, v203
	v_fmac_f32_e32 v35, v29, v202
	v_add_f32_e32 v38, v34, v35
	ds_read_b128 v[34:37], v20 offset:528
	s_waitcnt vmcnt(38) lgkmcnt(1)
	v_mul_f32_e32 v39, v30, v205
	v_fmac_f32_e32 v39, v31, v204
	v_add_f32_e32 v38, v38, v39
	s_waitcnt vmcnt(36)
	v_mul_f32_e32 v39, v32, v207
	v_fmac_f32_e32 v39, v33, v206
	v_add_f32_e32 v38, v38, v39
	s_waitcnt vmcnt(34) lgkmcnt(0)
	v_mul_f32_e32 v39, v34, v209
	v_fmac_f32_e32 v39, v35, v208
	v_add_f32_e32 v42, v38, v39
	ds_read_b128 v[38:41], v20 offset:544
	s_waitcnt vmcnt(32)
	v_mul_f32_e32 v43, v36, v211
	v_fmac_f32_e32 v43, v37, v210
	v_add_f32_e32 v46, v42, v43
	ds_read_b128 v[42:45], v20 offset:560
	s_waitcnt vmcnt(30) lgkmcnt(1)
	v_mul_f32_e32 v47, v38, v213
	v_fmac_f32_e32 v47, v39, v212
	v_add_f32_e32 v46, v46, v47
	s_waitcnt vmcnt(28)
	v_mul_f32_e32 v47, v40, v215
	v_fmac_f32_e32 v47, v41, v214
	v_add_f32_e32 v46, v46, v47
	s_waitcnt vmcnt(26) lgkmcnt(0)
	v_mul_f32_e32 v47, v42, v217
	v_fmac_f32_e32 v47, v43, v216
	;; [unrolled: 18-line block ×4, first 2 shown]
	s_waitcnt vmcnt(8)
	v_mul_f32_e32 v67, v60, v235
	v_add_f32_e32 v66, v62, v63
	v_fmac_f32_e32 v67, v61, v234
	ds_read_b128 v[62:65], v20 offset:640
	v_add_f32_e32 v71, v66, v67
	ds_read_b128 v[66:69], v20 offset:656
	buffer_load_dword v75, off, s[0:3], 0 offset:324
	buffer_load_dword v74, off, s[0:3], 0 offset:320
	;; [unrolled: 1-line block ×16, first 2 shown]
	v_mul_f32_e32 v15, v15, v21
	v_fma_f32 v14, v14, v188, -v15
	v_mul_f32_e32 v15, v17, v70
	v_add_f32_e32 v14, 0, v14
	v_fma_f32 v15, v16, v189, -v15
	v_mul_f32_e32 v7, v7, v72
	v_add_f32_e32 v14, v14, v15
	;; [unrolled: 3-line block ×3, first 2 shown]
	v_fma_f32 v7, v8, v191, -v7
	v_add_f32_e32 v6, v6, v7
	v_mul_f32_e32 v7, v11, v184
	v_fma_f32 v7, v10, v192, -v7
	v_add_f32_e32 v6, v6, v7
	v_mul_f32_e32 v7, v13, v185
	v_fma_f32 v7, v12, v193, -v7
	v_mul_f32_e32 v3, v3, v186
	v_add_f32_e32 v6, v6, v7
	v_fma_f32 v2, v2, v194, -v3
	v_mul_f32_e32 v3, v5, v187
	v_add_f32_e32 v2, v6, v2
	v_fma_f32 v3, v4, v195, -v3
	v_add_f32_e32 v2, v2, v3
	v_mul_f32_e32 v3, v23, v196
	v_fma_f32 v3, v22, v197, -v3
	v_add_f32_e32 v2, v2, v3
	v_mul_f32_e32 v3, v25, v198
	;; [unrolled: 3-line block ×20, first 2 shown]
	v_fma_f32 v3, v60, v234, -v3
	v_add_f32_e32 v2, v2, v3
	s_waitcnt vmcnt(22) lgkmcnt(1)
	v_mul_f32_e32 v3, v63, v237
	v_fma_f32 v3, v62, v236, -v3
	v_add_f32_e32 v2, v2, v3
	s_waitcnt vmcnt(20)
	v_mul_f32_e32 v3, v65, v239
	v_mul_f32_e32 v73, v62, v237
	v_fma_f32 v3, v64, v238, -v3
	v_fmac_f32_e32 v73, v63, v236
	v_add_f32_e32 v70, v2, v3
	s_waitcnt vmcnt(18) lgkmcnt(0)
	v_mul_f32_e32 v2, v67, v241
	v_add_f32_e32 v71, v71, v73
	v_mul_f32_e32 v73, v64, v239
	v_fma_f32 v72, v66, v240, -v2
	s_waitcnt vmcnt(16)
	v_mul_f32_e32 v2, v69, v243
	v_fmac_f32_e32 v73, v65, v238
	v_fma_f32 v172, v68, v242, -v2
	ds_read_b128 v[2:5], v20 offset:672
	ds_read_b128 v[6:9], v20 offset:688
	;; [unrolled: 1-line block ×4, first 2 shown]
	v_add_f32_e32 v71, v71, v73
	v_mul_f32_e32 v73, v66, v241
	s_waitcnt vmcnt(11)
	v_mov_b32_e32 v22, v171
	v_fmac_f32_e32 v73, v67, v240
	v_mul_f32_e32 v173, v68, v243
	s_waitcnt lgkmcnt(3)
	v_pk_mul_f32 v[22:23], v[2:3], v[22:23] op_sel_hi:[1,0]
	v_fmac_f32_e32 v173, v69, v242
	v_pk_add_f32 v[20:21], v[70:71], v[72:73]
	s_waitcnt vmcnt(10)
	v_pk_fma_f32 v[24:25], v[2:3], v[170:171], v[22:23] op_sel:[0,0,1] op_sel_hi:[1,1,0] neg_lo:[0,0,1] neg_hi:[0,0,1]
	v_pk_fma_f32 v[2:3], v[2:3], v[170:171], v[22:23] op_sel:[0,0,1] op_sel_hi:[1,0,0]
	v_pk_add_f32 v[20:21], v[20:21], v[172:173]
	v_mov_b32_e32 v25, v3
	v_pk_add_f32 v[2:3], v[20:21], v[24:25]
	v_mov_b32_e32 v20, v169
	v_pk_mul_f32 v[20:21], v[4:5], v[20:21] op_sel_hi:[1,0]
	v_pk_fma_f32 v[22:23], v[4:5], v[168:169], v[20:21] op_sel:[0,0,1] op_sel_hi:[1,1,0] neg_lo:[0,0,1] neg_hi:[0,0,1]
	v_pk_fma_f32 v[4:5], v[4:5], v[168:169], v[20:21] op_sel:[0,0,1] op_sel_hi:[1,0,0]
	v_mov_b32_e32 v4, v75
	v_mov_b32_e32 v23, v5
	s_waitcnt lgkmcnt(2)
	v_pk_mul_f32 v[4:5], v[6:7], v[4:5] op_sel_hi:[1,0]
	v_pk_fma_f32 v[20:21], v[6:7], v[74:75], v[4:5] op_sel:[0,0,1] op_sel_hi:[1,1,0] neg_lo:[0,0,1] neg_hi:[0,0,1]
	v_pk_fma_f32 v[4:5], v[6:7], v[74:75], v[4:5] op_sel:[0,0,1] op_sel_hi:[1,0,0]
	s_waitcnt vmcnt(3)
	v_mov_b32_e32 v4, v181
	v_mov_b32_e32 v21, v5
	v_pk_mul_f32 v[4:5], v[8:9], v[4:5] op_sel_hi:[1,0]
	s_waitcnt vmcnt(2)
	v_pk_fma_f32 v[6:7], v[8:9], v[180:181], v[4:5] op_sel:[0,0,1] op_sel_hi:[1,1,0] neg_lo:[0,0,1] neg_hi:[0,0,1]
	v_pk_fma_f32 v[4:5], v[8:9], v[180:181], v[4:5] op_sel:[0,0,1] op_sel_hi:[1,0,0]
	v_pk_add_f32 v[2:3], v[2:3], v[22:23]
	v_mov_b32_e32 v4, v179
	v_pk_add_f32 v[2:3], v[2:3], v[20:21]
	v_mov_b32_e32 v7, v5
	s_waitcnt lgkmcnt(1)
	v_pk_mul_f32 v[4:5], v[10:11], v[4:5] op_sel_hi:[1,0]
	v_pk_add_f32 v[2:3], v[2:3], v[6:7]
	v_pk_fma_f32 v[6:7], v[10:11], v[178:179], v[4:5] op_sel:[0,0,1] op_sel_hi:[1,1,0] neg_lo:[0,0,1] neg_hi:[0,0,1]
	v_pk_fma_f32 v[4:5], v[10:11], v[178:179], v[4:5] op_sel:[0,0,1] op_sel_hi:[1,0,0]
	v_mov_b32_e32 v4, v177
	v_mov_b32_e32 v7, v5
	v_pk_mul_f32 v[4:5], v[12:13], v[4:5] op_sel_hi:[1,0]
	v_pk_add_f32 v[2:3], v[2:3], v[6:7]
	v_pk_fma_f32 v[6:7], v[12:13], v[176:177], v[4:5] op_sel:[0,0,1] op_sel_hi:[1,1,0] neg_lo:[0,0,1] neg_hi:[0,0,1]
	v_pk_fma_f32 v[4:5], v[12:13], v[176:177], v[4:5] op_sel:[0,0,1] op_sel_hi:[1,0,0]
	v_mov_b32_e32 v4, v175
	v_mov_b32_e32 v7, v5
	s_waitcnt lgkmcnt(0)
	v_pk_mul_f32 v[4:5], v[14:15], v[4:5] op_sel_hi:[1,0]
	v_pk_add_f32 v[2:3], v[2:3], v[6:7]
	v_pk_fma_f32 v[6:7], v[14:15], v[174:175], v[4:5] op_sel:[0,0,1] op_sel_hi:[1,1,0] neg_lo:[0,0,1] neg_hi:[0,0,1]
	v_pk_fma_f32 v[4:5], v[14:15], v[174:175], v[4:5] op_sel:[0,0,1] op_sel_hi:[1,0,0]
	s_waitcnt vmcnt(1)
	v_mov_b32_e32 v4, v183
	v_mov_b32_e32 v7, v5
	v_pk_mul_f32 v[4:5], v[16:17], v[4:5] op_sel_hi:[1,0]
	v_pk_add_f32 v[2:3], v[2:3], v[6:7]
	s_waitcnt vmcnt(0)
	v_pk_fma_f32 v[6:7], v[16:17], v[182:183], v[4:5] op_sel:[0,0,1] op_sel_hi:[1,1,0] neg_lo:[0,0,1] neg_hi:[0,0,1]
	v_pk_fma_f32 v[4:5], v[16:17], v[182:183], v[4:5] op_sel:[0,0,1] op_sel_hi:[1,0,0]
	v_mov_b32_e32 v7, v5
	v_pk_add_f32 v[2:3], v[2:3], v[6:7]
	v_pk_add_f32 v[2:3], v[18:19], v[2:3] neg_lo:[0,1] neg_hi:[0,1]
	buffer_store_dword v3, off, s[0:3], 0 offset:44
	buffer_store_dword v2, off, s[0:3], 0 offset:40
	s_and_saveexec_b64 s[4:5], vcc
	s_cbranch_execz .LBB45_281
; %bb.280:
	buffer_load_dword v2, off, s[0:3], 0 offset:32
	buffer_load_dword v3, off, s[0:3], 0 offset:36
	v_mov_b32_e32 v4, 0
	buffer_store_dword v4, off, s[0:3], 0 offset:32
	buffer_store_dword v4, off, s[0:3], 0 offset:36
	s_waitcnt vmcnt(2)
	ds_write_b64 v80, v[2:3]
.LBB45_281:
	s_or_b64 exec, exec, s[4:5]
	s_waitcnt lgkmcnt(0)
	; wave barrier
	s_waitcnt lgkmcnt(0)
	buffer_load_dword v70, off, s[0:3], 0 offset:44
	buffer_load_dword v75, off, s[0:3], 0 offset:52
	;; [unrolled: 1-line block ×24, first 2 shown]
	v_mov_b32_e32 v74, 0
	buffer_load_dword v210, off, s[0:3], 0 offset:128
	buffer_load_dword v211, off, s[0:3], 0 offset:132
	;; [unrolled: 1-line block ×32, first 2 shown]
	ds_read2_b64 v[18:21], v74 offset0:51 offset1:52
	ds_read2_b64 v[14:17], v74 offset0:53 offset1:54
	;; [unrolled: 1-line block ×5, first 2 shown]
	buffer_load_dword v242, off, s[0:3], 0 offset:256
	buffer_load_dword v243, off, s[0:3], 0 offset:260
	;; [unrolled: 1-line block ×4, first 2 shown]
	v_cmp_lt_u32_e32 vcc, 3, v0
	s_waitcnt vmcnt(59) lgkmcnt(4)
	v_mul_f32_e32 v22, v18, v70
	s_waitcnt vmcnt(58)
	v_mul_f32_e32 v23, v20, v75
	s_waitcnt vmcnt(57) lgkmcnt(3)
	v_mul_f32_e32 v24, v14, v176
	s_waitcnt vmcnt(56)
	v_mul_f32_e32 v25, v16, v178
	s_waitcnt vmcnt(55) lgkmcnt(2)
	v_mul_f32_e32 v26, v10, v192
	s_waitcnt vmcnt(54)
	v_mul_f32_e32 v27, v12, v193
	s_waitcnt vmcnt(53) lgkmcnt(1)
	v_mul_f32_e32 v28, v6, v194
	s_waitcnt vmcnt(52)
	v_mul_f32_e32 v29, v8, v195
	s_waitcnt vmcnt(51)
	v_fmac_f32_e32 v22, v19, v196
	s_waitcnt vmcnt(50)
	v_fmac_f32_e32 v23, v21, v197
	v_add_f32_e32 v22, 0, v22
	s_waitcnt vmcnt(49)
	v_fmac_f32_e32 v24, v15, v198
	v_add_f32_e32 v22, v22, v23
	;; [unrolled: 3-line block ×7, first 2 shown]
	v_add_f32_e32 v26, v22, v29
	ds_read2_b64 v[22:25], v74 offset0:61 offset1:62
	buffer_load_dword v246, off, s[0:3], 0 offset:272
	buffer_load_dword v247, off, s[0:3], 0 offset:276
	;; [unrolled: 1-line block ×4, first 2 shown]
	s_waitcnt vmcnt(47) lgkmcnt(1)
	v_mul_f32_e32 v27, v2, v204
	s_waitcnt vmcnt(46)
	v_fmac_f32_e32 v27, v3, v205
	v_add_f32_e32 v26, v26, v27
	s_waitcnt vmcnt(45)
	v_mul_f32_e32 v27, v4, v206
	s_waitcnt vmcnt(44)
	v_fmac_f32_e32 v27, v5, v207
	buffer_load_dword v250, off, s[0:3], 0 offset:288
	buffer_load_dword v251, off, s[0:3], 0 offset:292
	;; [unrolled: 1-line block ×4, first 2 shown]
	ds_read2_b64 v[34:37], v74 offset0:63 offset1:64
	ds_read2_b64 v[30:33], v74 offset0:65 offset1:66
	v_add_f32_e32 v26, v26, v27
	s_waitcnt vmcnt(47) lgkmcnt(2)
	v_mul_f32_e32 v27, v22, v208
	s_waitcnt vmcnt(44)
	v_fmac_f32_e32 v27, v23, v209
	v_add_f32_e32 v26, v26, v27
	s_waitcnt vmcnt(42)
	v_mul_f32_e32 v27, v24, v211
	v_fmac_f32_e32 v27, v25, v210
	v_add_f32_e32 v26, v26, v27
	s_waitcnt vmcnt(40) lgkmcnt(1)
	v_mul_f32_e32 v27, v34, v213
	v_fmac_f32_e32 v27, v35, v212
	v_add_f32_e32 v26, v26, v27
	s_waitcnt vmcnt(38)
	v_mul_f32_e32 v27, v36, v215
	v_fmac_f32_e32 v27, v37, v214
	ds_read2_b64 v[42:45], v74 offset0:67 offset1:68
	ds_read2_b64 v[38:41], v74 offset0:69 offset1:70
	v_add_f32_e32 v26, v26, v27
	s_waitcnt vmcnt(36) lgkmcnt(2)
	v_mul_f32_e32 v27, v30, v217
	v_fmac_f32_e32 v27, v31, v216
	v_add_f32_e32 v26, v26, v27
	s_waitcnt vmcnt(34)
	v_mul_f32_e32 v27, v32, v219
	v_fmac_f32_e32 v27, v33, v218
	v_add_f32_e32 v26, v26, v27
	s_waitcnt vmcnt(32) lgkmcnt(1)
	v_mul_f32_e32 v27, v42, v221
	v_fmac_f32_e32 v27, v43, v220
	v_add_f32_e32 v26, v26, v27
	s_waitcnt vmcnt(30)
	v_mul_f32_e32 v27, v44, v223
	v_fmac_f32_e32 v27, v45, v222
	ds_read2_b64 v[50:53], v74 offset0:71 offset1:72
	ds_read2_b64 v[46:49], v74 offset0:73 offset1:74
	v_add_f32_e32 v26, v26, v27
	s_waitcnt vmcnt(28) lgkmcnt(2)
	v_mul_f32_e32 v27, v38, v225
	;; [unrolled: 18-line block ×4, first 2 shown]
	v_fmac_f32_e32 v27, v55, v240
	v_add_f32_e32 v26, v26, v27
	s_waitcnt vmcnt(10)
	v_mul_f32_e32 v27, v56, v243
	v_fmac_f32_e32 v27, v57, v242
	v_add_f32_e32 v26, v26, v27
	s_waitcnt vmcnt(8) lgkmcnt(1)
	v_mul_f32_e32 v27, v168, v245
	v_fmac_f32_e32 v27, v169, v244
	v_add_f32_e32 v26, v26, v27
	v_mul_f32_e32 v19, v19, v70
	v_fma_f32 v18, v18, v196, -v19
	v_mul_f32_e32 v19, v21, v75
	s_waitcnt vmcnt(6)
	v_mul_f32_e32 v27, v170, v247
	v_fmac_f32_e32 v27, v171, v246
	v_add_f32_e32 v26, v26, v27
	s_waitcnt vmcnt(4) lgkmcnt(0)
	v_mul_f32_e32 v27, v62, v249
	v_fmac_f32_e32 v27, v63, v248
	v_add_f32_e32 v71, v26, v27
	ds_read2_b64 v[26:29], v74 offset0:83 offset1:84
	buffer_load_dword v69, off, s[0:3], 0 offset:316
	buffer_load_dword v68, off, s[0:3], 0 offset:312
	;; [unrolled: 1-line block ×4, first 2 shown]
	ds_read2_b64 v[172:175], v74 offset0:85 offset1:86
	buffer_load_dword v181, off, s[0:3], 0 offset:348
	buffer_load_dword v180, off, s[0:3], 0 offset:344
	;; [unrolled: 1-line block ×12, first 2 shown]
	v_add_f32_e32 v18, 0, v18
	v_fma_f32 v19, v20, v197, -v19
	v_mul_f32_e32 v15, v15, v176
	v_add_f32_e32 v18, v18, v19
	v_fma_f32 v14, v14, v198, -v15
	v_mul_f32_e32 v15, v17, v178
	;; [unrolled: 3-line block ×8, first 2 shown]
	v_add_f32_e32 v2, v6, v2
	v_fma_f32 v3, v4, v207, -v3
	v_add_f32_e32 v2, v2, v3
	v_mul_f32_e32 v3, v23, v208
	v_fma_f32 v3, v22, v209, -v3
	v_add_f32_e32 v2, v2, v3
	v_mul_f32_e32 v3, v25, v211
	;; [unrolled: 3-line block ×21, first 2 shown]
	v_fma_f32 v3, v62, v248, -v3
	s_waitcnt vmcnt(13)
	v_mov_b32_e32 v14, v73
	v_mul_f32_e32 v177, v64, v251
	v_add_f32_e32 v70, v2, v3
	v_mul_f32_e32 v2, v65, v251
	s_waitcnt lgkmcnt(1)
	v_pk_mul_f32 v[14:15], v[28:29], v[14:15] op_sel_hi:[1,0]
	v_fmac_f32_e32 v177, v65, v250
	v_mul_f32_e32 v179, v26, v253
	v_fma_f32 v176, v64, v250, -v2
	v_mul_f32_e32 v2, v27, v253
	s_waitcnt vmcnt(12)
	v_pk_fma_f32 v[16:17], v[28:29], v[72:73], v[14:15] op_sel:[0,0,1] op_sel_hi:[1,1,0] neg_lo:[0,0,1] neg_hi:[0,0,1]
	v_pk_fma_f32 v[14:15], v[28:29], v[72:73], v[14:15] op_sel:[0,0,1] op_sel_hi:[1,0,0]
	v_fmac_f32_e32 v179, v27, v252
	v_fma_f32 v178, v26, v252, -v2
	v_pk_add_f32 v[12:13], v[70:71], v[176:177]
	v_mov_b32_e32 v14, v69
	v_pk_add_f32 v[12:13], v[12:13], v[178:179]
	v_mov_b32_e32 v17, v15
	s_waitcnt lgkmcnt(0)
	v_pk_mul_f32 v[14:15], v[172:173], v[14:15] op_sel_hi:[1,0]
	v_pk_add_f32 v[12:13], v[12:13], v[16:17]
	v_pk_fma_f32 v[16:17], v[172:173], v[68:69], v[14:15] op_sel:[0,0,1] op_sel_hi:[1,1,0] neg_lo:[0,0,1] neg_hi:[0,0,1]
	v_pk_fma_f32 v[14:15], v[172:173], v[68:69], v[14:15] op_sel:[0,0,1] op_sel_hi:[1,0,0]
	s_waitcnt vmcnt(5)
	v_mov_b32_e32 v14, v187
	ds_read2_b64 v[2:5], v74 offset0:87 offset1:88
	ds_read2_b64 v[6:9], v74 offset0:89 offset1:90
	ds_read_b64 v[10:11], v74 offset:728
	v_mov_b32_e32 v17, v15
	v_pk_mul_f32 v[14:15], v[174:175], v[14:15] op_sel_hi:[1,0]
	v_pk_add_f32 v[12:13], v[12:13], v[16:17]
	s_waitcnt vmcnt(4)
	v_pk_fma_f32 v[16:17], v[174:175], v[186:187], v[14:15] op_sel:[0,0,1] op_sel_hi:[1,1,0] neg_lo:[0,0,1] neg_hi:[0,0,1]
	v_pk_fma_f32 v[14:15], v[174:175], v[186:187], v[14:15] op_sel:[0,0,1] op_sel_hi:[1,0,0]
	v_mov_b32_e32 v14, v185
	v_mov_b32_e32 v17, v15
	s_waitcnt lgkmcnt(2)
	v_pk_mul_f32 v[14:15], v[2:3], v[14:15] op_sel_hi:[1,0]
	v_pk_add_f32 v[12:13], v[12:13], v[16:17]
	v_pk_fma_f32 v[16:17], v[2:3], v[184:185], v[14:15] op_sel:[0,0,1] op_sel_hi:[1,1,0] neg_lo:[0,0,1] neg_hi:[0,0,1]
	v_pk_fma_f32 v[2:3], v[2:3], v[184:185], v[14:15] op_sel:[0,0,1] op_sel_hi:[1,0,0]
	v_mov_b32_e32 v17, v3
	v_pk_add_f32 v[2:3], v[12:13], v[16:17]
	v_mov_b32_e32 v12, v183
	v_pk_mul_f32 v[12:13], v[4:5], v[12:13] op_sel_hi:[1,0]
	v_pk_fma_f32 v[14:15], v[4:5], v[182:183], v[12:13] op_sel:[0,0,1] op_sel_hi:[1,1,0] neg_lo:[0,0,1] neg_hi:[0,0,1]
	v_pk_fma_f32 v[4:5], v[4:5], v[182:183], v[12:13] op_sel:[0,0,1] op_sel_hi:[1,0,0]
	v_mov_b32_e32 v4, v181
	v_mov_b32_e32 v15, v5
	s_waitcnt lgkmcnt(1)
	v_pk_mul_f32 v[4:5], v[6:7], v[4:5] op_sel_hi:[1,0]
	v_pk_fma_f32 v[12:13], v[6:7], v[180:181], v[4:5] op_sel:[0,0,1] op_sel_hi:[1,1,0] neg_lo:[0,0,1] neg_hi:[0,0,1]
	v_pk_fma_f32 v[4:5], v[6:7], v[180:181], v[4:5] op_sel:[0,0,1] op_sel_hi:[1,0,0]
	s_waitcnt vmcnt(1)
	v_mov_b32_e32 v4, v191
	v_mov_b32_e32 v13, v5
	v_pk_mul_f32 v[4:5], v[8:9], v[4:5] op_sel_hi:[1,0]
	s_waitcnt vmcnt(0)
	v_pk_fma_f32 v[6:7], v[8:9], v[190:191], v[4:5] op_sel:[0,0,1] op_sel_hi:[1,1,0] neg_lo:[0,0,1] neg_hi:[0,0,1]
	v_pk_fma_f32 v[4:5], v[8:9], v[190:191], v[4:5] op_sel:[0,0,1] op_sel_hi:[1,0,0]
	v_pk_add_f32 v[2:3], v[2:3], v[14:15]
	v_mov_b32_e32 v4, v189
	v_pk_add_f32 v[2:3], v[2:3], v[12:13]
	v_mov_b32_e32 v7, v5
	s_waitcnt lgkmcnt(0)
	v_pk_mul_f32 v[4:5], v[10:11], v[4:5] op_sel_hi:[1,0]
	v_pk_add_f32 v[2:3], v[2:3], v[6:7]
	v_pk_fma_f32 v[6:7], v[10:11], v[188:189], v[4:5] op_sel:[0,0,1] op_sel_hi:[1,1,0] neg_lo:[0,0,1] neg_hi:[0,0,1]
	v_pk_fma_f32 v[4:5], v[10:11], v[188:189], v[4:5] op_sel:[0,0,1] op_sel_hi:[1,0,0]
	v_mov_b32_e32 v7, v5
	v_pk_add_f32 v[2:3], v[2:3], v[6:7]
	v_pk_add_f32 v[2:3], v[66:67], v[2:3] neg_lo:[0,1] neg_hi:[0,1]
	buffer_store_dword v3, off, s[0:3], 0 offset:36
	buffer_store_dword v2, off, s[0:3], 0 offset:32
	s_and_saveexec_b64 s[4:5], vcc
	s_cbranch_execz .LBB45_283
; %bb.282:
	buffer_load_dword v2, off, s[0:3], 0 offset:24
	buffer_load_dword v3, off, s[0:3], 0 offset:28
	s_waitcnt vmcnt(0)
	ds_write_b64 v80, v[2:3]
	buffer_store_dword v74, off, s[0:3], 0 offset:24
	buffer_store_dword v74, off, s[0:3], 0 offset:28
.LBB45_283:
	s_or_b64 exec, exec, s[4:5]
	s_waitcnt lgkmcnt(0)
	; wave barrier
	s_waitcnt lgkmcnt(0)
	buffer_load_dword v75, off, s[0:3], 0 offset:36
	buffer_load_dword v172, off, s[0:3], 0 offset:44
	;; [unrolled: 1-line block ×24, first 2 shown]
	ds_read_b128 v[22:25], v74 offset:400
	ds_read_b128 v[18:21], v74 offset:416
	;; [unrolled: 1-line block ×4, first 2 shown]
	buffer_load_dword v210, off, s[0:3], 0 offset:120
	buffer_load_dword v211, off, s[0:3], 0 offset:124
	ds_read_b128 v[10:13], v74 offset:464
	ds_read_b128 v[2:5], v74 offset:480
	buffer_load_dword v212, off, s[0:3], 0 offset:128
	buffer_load_dword v213, off, s[0:3], 0 offset:132
	;; [unrolled: 1-line block ×44, first 2 shown]
	v_cmp_lt_u32_e32 vcc, 2, v0
	s_waitcnt vmcnt(62) lgkmcnt(5)
	v_mul_f32_e32 v28, v22, v75
	v_mul_f32_e32 v29, v24, v172
	s_waitcnt lgkmcnt(4)
	v_mul_f32_e32 v31, v20, v174
	s_waitcnt lgkmcnt(3)
	v_mul_f32_e32 v32, v14, v176
	v_mul_f32_e32 v33, v16, v192
	;; [unrolled: 1-line block ×3, first 2 shown]
	s_waitcnt lgkmcnt(2)
	v_mul_f32_e32 v34, v6, v194
	v_mul_f32_e32 v35, v8, v195
	s_waitcnt vmcnt(61)
	v_fmac_f32_e32 v30, v19, v196
	s_waitcnt vmcnt(60)
	v_fmac_f32_e32 v29, v25, v197
	s_waitcnt vmcnt(59)
	v_fmac_f32_e32 v28, v23, v198
	v_add_f32_e32 v28, 0, v28
	v_add_f32_e32 v28, v28, v29
	;; [unrolled: 1-line block ×3, first 2 shown]
	s_waitcnt vmcnt(55)
	v_fmac_f32_e32 v31, v21, v202
	v_fmac_f32_e32 v32, v15, v201
	v_add_f32_e32 v28, v28, v31
	v_fmac_f32_e32 v33, v17, v200
	v_add_f32_e32 v28, v28, v32
	;; [unrolled: 2-line block ×3, first 2 shown]
	s_waitcnt vmcnt(51)
	v_fmac_f32_e32 v35, v9, v206
	v_add_f32_e32 v28, v28, v34
	s_waitcnt vmcnt(50) lgkmcnt(1)
	v_mul_f32_e32 v29, v10, v207
	v_add_f32_e32 v28, v28, v35
	v_fmac_f32_e32 v29, v11, v205
	v_add_f32_e32 v28, v28, v29
	s_waitcnt vmcnt(49)
	v_mul_f32_e32 v29, v12, v208
	v_fmac_f32_e32 v29, v13, v204
	v_add_f32_e32 v28, v28, v29
	s_waitcnt vmcnt(48) lgkmcnt(0)
	v_mul_f32_e32 v29, v2, v209
	v_fmac_f32_e32 v29, v3, v203
	v_add_f32_e32 v32, v28, v29
	ds_read_b128 v[28:31], v74 offset:496
	s_waitcnt vmcnt(44)
	v_mul_f32_e32 v33, v4, v211
	v_fmac_f32_e32 v33, v5, v210
	v_add_f32_e32 v36, v32, v33
	ds_read_b128 v[32:35], v74 offset:512
	s_waitcnt vmcnt(42) lgkmcnt(1)
	v_mul_f32_e32 v37, v28, v213
	v_fmac_f32_e32 v37, v29, v212
	v_add_f32_e32 v36, v36, v37
	s_waitcnt vmcnt(40)
	v_mul_f32_e32 v37, v30, v215
	v_fmac_f32_e32 v37, v31, v214
	v_add_f32_e32 v36, v36, v37
	s_waitcnt vmcnt(38) lgkmcnt(0)
	v_mul_f32_e32 v37, v32, v217
	v_fmac_f32_e32 v37, v33, v216
	v_add_f32_e32 v40, v36, v37
	ds_read_b128 v[36:39], v74 offset:528
	s_waitcnt vmcnt(36)
	v_mul_f32_e32 v41, v34, v219
	v_fmac_f32_e32 v41, v35, v218
	v_add_f32_e32 v44, v40, v41
	ds_read_b128 v[40:43], v74 offset:544
	s_waitcnt vmcnt(34) lgkmcnt(1)
	v_mul_f32_e32 v45, v36, v221
	;; [unrolled: 18-line block ×4, first 2 shown]
	v_fmac_f32_e32 v61, v53, v236
	v_add_f32_e32 v60, v60, v61
	s_waitcnt vmcnt(16)
	v_mul_f32_e32 v61, v54, v239
	v_fmac_f32_e32 v61, v55, v238
	v_add_f32_e32 v60, v60, v61
	s_waitcnt vmcnt(14) lgkmcnt(0)
	v_mul_f32_e32 v61, v56, v241
	v_fmac_f32_e32 v61, v57, v240
	v_add_f32_e32 v64, v60, v61
	ds_read_b128 v[60:63], v74 offset:624
	s_waitcnt vmcnt(12)
	v_mul_f32_e32 v65, v58, v243
	v_fmac_f32_e32 v65, v59, v242
	v_add_f32_e32 v68, v64, v65
	ds_read_b128 v[64:67], v74 offset:640
	buffer_load_dword v73, off, s[0:3], 0 offset:308
	buffer_load_dword v72, off, s[0:3], 0 offset:304
	s_waitcnt vmcnt(12) lgkmcnt(1)
	v_mul_f32_e32 v69, v60, v245
	v_fmac_f32_e32 v69, v61, v244
	v_add_f32_e32 v68, v68, v69
	s_waitcnt vmcnt(10)
	v_mul_f32_e32 v69, v62, v247
	v_fmac_f32_e32 v69, v63, v246
	v_add_f32_e32 v68, v68, v69
	s_waitcnt vmcnt(8) lgkmcnt(0)
	v_mul_f32_e32 v69, v64, v249
	v_fmac_f32_e32 v69, v65, v248
	s_waitcnt vmcnt(6)
	v_mul_f32_e32 v169, v66, v251
	v_add_f32_e32 v168, v68, v69
	v_fmac_f32_e32 v169, v67, v250
	ds_read_b128 v[68:71], v74 offset:656
	v_add_f32_e32 v173, v168, v169
	ds_read_b128 v[168:171], v74 offset:672
	buffer_load_dword v179, off, s[0:3], 0 offset:340
	buffer_load_dword v178, off, s[0:3], 0 offset:336
	;; [unrolled: 1-line block ×14, first 2 shown]
	v_mul_f32_e32 v23, v23, v75
	v_fma_f32 v22, v22, v198, -v23
	v_mul_f32_e32 v23, v25, v172
	v_add_f32_e32 v22, 0, v22
	v_fma_f32 v23, v24, v197, -v23
	v_mul_f32_e32 v19, v19, v193
	v_add_f32_e32 v22, v22, v23
	;; [unrolled: 3-line block ×7, first 2 shown]
	v_fma_f32 v7, v8, v206, -v7
	v_add_f32_e32 v6, v6, v7
	v_mul_f32_e32 v7, v11, v207
	v_fma_f32 v7, v10, v205, -v7
	v_add_f32_e32 v6, v6, v7
	v_mul_f32_e32 v7, v13, v208
	v_fma_f32 v7, v12, v204, -v7
	v_mul_f32_e32 v3, v3, v209
	v_add_f32_e32 v6, v6, v7
	v_fma_f32 v2, v2, v203, -v3
	v_mul_f32_e32 v3, v5, v211
	v_add_f32_e32 v2, v6, v2
	v_fma_f32 v3, v4, v210, -v3
	v_add_f32_e32 v2, v2, v3
	v_mul_f32_e32 v3, v29, v213
	v_fma_f32 v3, v28, v212, -v3
	v_add_f32_e32 v2, v2, v3
	v_mul_f32_e32 v3, v31, v215
	;; [unrolled: 3-line block ×20, first 2 shown]
	v_fma_f32 v3, v66, v250, -v3
	s_waitcnt vmcnt(15)
	v_mov_b32_e32 v16, v73
	s_waitcnt lgkmcnt(1)
	v_mul_f32_e32 v175, v68, v253
	v_add_f32_e32 v172, v2, v3
	v_mul_f32_e32 v2, v69, v253
	s_waitcnt lgkmcnt(0)
	v_pk_mul_f32 v[16:17], v[168:169], v[16:17] op_sel_hi:[1,0]
	v_fmac_f32_e32 v175, v69, v252
	v_mul_f32_e32 v177, v70, v255
	v_fma_f32 v174, v68, v252, -v2
	v_mul_f32_e32 v2, v71, v255
	s_waitcnt vmcnt(14)
	v_pk_fma_f32 v[18:19], v[168:169], v[72:73], v[16:17] op_sel:[0,0,1] op_sel_hi:[1,1,0] neg_lo:[0,0,1] neg_hi:[0,0,1]
	v_pk_fma_f32 v[16:17], v[168:169], v[72:73], v[16:17] op_sel:[0,0,1] op_sel_hi:[1,0,0]
	v_fmac_f32_e32 v177, v71, v254
	v_fma_f32 v176, v70, v254, -v2
	v_pk_add_f32 v[14:15], v[172:173], v[174:175]
	s_waitcnt vmcnt(7)
	v_mov_b32_e32 v16, v185
	ds_read_b128 v[2:5], v74 offset:688
	ds_read_b128 v[6:9], v74 offset:704
	ds_read_b128 v[10:13], v74 offset:720
	v_pk_add_f32 v[14:15], v[14:15], v[176:177]
	v_mov_b32_e32 v19, v17
	v_pk_mul_f32 v[16:17], v[170:171], v[16:17] op_sel_hi:[1,0]
	v_pk_add_f32 v[14:15], v[14:15], v[18:19]
	s_waitcnt vmcnt(6)
	v_pk_fma_f32 v[18:19], v[170:171], v[184:185], v[16:17] op_sel:[0,0,1] op_sel_hi:[1,1,0] neg_lo:[0,0,1] neg_hi:[0,0,1]
	v_pk_fma_f32 v[16:17], v[170:171], v[184:185], v[16:17] op_sel:[0,0,1] op_sel_hi:[1,0,0]
	v_mov_b32_e32 v16, v183
	v_mov_b32_e32 v19, v17
	s_waitcnt lgkmcnt(2)
	v_pk_mul_f32 v[16:17], v[2:3], v[16:17] op_sel_hi:[1,0]
	v_pk_add_f32 v[14:15], v[14:15], v[18:19]
	v_pk_fma_f32 v[18:19], v[2:3], v[182:183], v[16:17] op_sel:[0,0,1] op_sel_hi:[1,1,0] neg_lo:[0,0,1] neg_hi:[0,0,1]
	v_pk_fma_f32 v[2:3], v[2:3], v[182:183], v[16:17] op_sel:[0,0,1] op_sel_hi:[1,0,0]
	v_mov_b32_e32 v19, v3
	v_pk_add_f32 v[2:3], v[14:15], v[18:19]
	v_mov_b32_e32 v14, v181
	v_pk_mul_f32 v[14:15], v[4:5], v[14:15] op_sel_hi:[1,0]
	v_pk_fma_f32 v[16:17], v[4:5], v[180:181], v[14:15] op_sel:[0,0,1] op_sel_hi:[1,1,0] neg_lo:[0,0,1] neg_hi:[0,0,1]
	v_pk_fma_f32 v[4:5], v[4:5], v[180:181], v[14:15] op_sel:[0,0,1] op_sel_hi:[1,0,0]
	v_mov_b32_e32 v4, v179
	v_mov_b32_e32 v17, v5
	s_waitcnt lgkmcnt(1)
	v_pk_mul_f32 v[4:5], v[6:7], v[4:5] op_sel_hi:[1,0]
	v_pk_fma_f32 v[14:15], v[6:7], v[178:179], v[4:5] op_sel:[0,0,1] op_sel_hi:[1,1,0] neg_lo:[0,0,1] neg_hi:[0,0,1]
	v_pk_fma_f32 v[4:5], v[6:7], v[178:179], v[4:5] op_sel:[0,0,1] op_sel_hi:[1,0,0]
	s_waitcnt vmcnt(1)
	v_mov_b32_e32 v4, v191
	v_mov_b32_e32 v15, v5
	v_pk_mul_f32 v[4:5], v[8:9], v[4:5] op_sel_hi:[1,0]
	s_waitcnt vmcnt(0)
	v_pk_fma_f32 v[6:7], v[8:9], v[190:191], v[4:5] op_sel:[0,0,1] op_sel_hi:[1,1,0] neg_lo:[0,0,1] neg_hi:[0,0,1]
	v_pk_fma_f32 v[4:5], v[8:9], v[190:191], v[4:5] op_sel:[0,0,1] op_sel_hi:[1,0,0]
	v_pk_add_f32 v[2:3], v[2:3], v[16:17]
	v_mov_b32_e32 v4, v189
	v_pk_add_f32 v[2:3], v[2:3], v[14:15]
	v_mov_b32_e32 v7, v5
	s_waitcnt lgkmcnt(0)
	v_pk_mul_f32 v[4:5], v[10:11], v[4:5] op_sel_hi:[1,0]
	v_pk_add_f32 v[2:3], v[2:3], v[6:7]
	v_pk_fma_f32 v[6:7], v[10:11], v[188:189], v[4:5] op_sel:[0,0,1] op_sel_hi:[1,1,0] neg_lo:[0,0,1] neg_hi:[0,0,1]
	v_pk_fma_f32 v[4:5], v[10:11], v[188:189], v[4:5] op_sel:[0,0,1] op_sel_hi:[1,0,0]
	v_mov_b32_e32 v4, v187
	v_mov_b32_e32 v7, v5
	v_pk_mul_f32 v[4:5], v[12:13], v[4:5] op_sel_hi:[1,0]
	v_pk_add_f32 v[2:3], v[2:3], v[6:7]
	v_pk_fma_f32 v[6:7], v[12:13], v[186:187], v[4:5] op_sel:[0,0,1] op_sel_hi:[1,1,0] neg_lo:[0,0,1] neg_hi:[0,0,1]
	v_pk_fma_f32 v[4:5], v[12:13], v[186:187], v[4:5] op_sel:[0,0,1] op_sel_hi:[1,0,0]
	v_mov_b32_e32 v7, v5
	v_pk_add_f32 v[2:3], v[2:3], v[6:7]
	v_pk_add_f32 v[2:3], v[26:27], v[2:3] neg_lo:[0,1] neg_hi:[0,1]
	buffer_store_dword v3, off, s[0:3], 0 offset:28
	buffer_store_dword v2, off, s[0:3], 0 offset:24
	s_and_saveexec_b64 s[4:5], vcc
	s_cbranch_execz .LBB45_285
; %bb.284:
	buffer_load_dword v2, off, s[0:3], 0 offset:16
	buffer_load_dword v3, off, s[0:3], 0 offset:20
	v_mov_b32_e32 v4, 0
	buffer_store_dword v4, off, s[0:3], 0 offset:16
	buffer_store_dword v4, off, s[0:3], 0 offset:20
	s_waitcnt vmcnt(2)
	ds_write_b64 v80, v[2:3]
.LBB45_285:
	s_or_b64 exec, exec, s[4:5]
	s_waitcnt lgkmcnt(0)
	; wave barrier
	s_waitcnt lgkmcnt(0)
	buffer_load_dword v29, off, s[0:3], 0 offset:28
	buffer_load_dword v74, off, s[0:3], 0 offset:36
	;; [unrolled: 1-line block ×56, first 2 shown]
	v_mov_b32_e32 v28, 0
	ds_read2_b64 v[4:7], v28 offset0:49 offset1:50
	ds_read2_b64 v[8:11], v28 offset0:51 offset1:52
	;; [unrolled: 1-line block ×6, first 2 shown]
	buffer_load_dword v242, off, s[0:3], 0 offset:240
	buffer_load_dword v243, off, s[0:3], 0 offset:244
	;; [unrolled: 1-line block ×16, first 2 shown]
	v_cmp_lt_u32_e32 vcc, 1, v0
	ds_read2_b64 v[168:171], v28 offset0:83 offset1:84
	s_waitcnt vmcnt(62) lgkmcnt(6)
	v_mul_f32_e32 v30, v4, v29
	v_mul_f32_e32 v31, v6, v74
	s_waitcnt lgkmcnt(5)
	v_mul_f32_e32 v33, v10, v172
	s_waitcnt lgkmcnt(4)
	v_mul_f32_e32 v34, v12, v174
	v_mul_f32_e32 v35, v14, v192
	v_mul_f32_e32 v32, v8, v193
	s_waitcnt lgkmcnt(3)
	v_mul_f32_e32 v36, v16, v194
	v_mul_f32_e32 v37, v18, v195
	s_waitcnt lgkmcnt(2)
	v_mul_f32_e32 v38, v20, v196
	v_fmac_f32_e32 v32, v9, v197
	s_waitcnt vmcnt(61)
	v_fmac_f32_e32 v31, v7, v198
	s_waitcnt vmcnt(60)
	v_fmac_f32_e32 v30, v5, v199
	v_add_f32_e32 v30, 0, v30
	v_add_f32_e32 v30, v30, v31
	;; [unrolled: 1-line block ×3, first 2 shown]
	s_waitcnt vmcnt(56)
	v_fmac_f32_e32 v33, v11, v203
	v_fmac_f32_e32 v34, v13, v202
	v_add_f32_e32 v30, v30, v33
	v_fmac_f32_e32 v35, v15, v201
	v_add_f32_e32 v30, v30, v34
	;; [unrolled: 2-line block ×3, first 2 shown]
	s_waitcnt vmcnt(52)
	v_fmac_f32_e32 v37, v19, v207
	v_add_f32_e32 v30, v30, v36
	v_add_f32_e32 v30, v30, v37
	v_fmac_f32_e32 v38, v21, v206
	s_waitcnt vmcnt(51)
	v_mul_f32_e32 v31, v22, v208
	v_add_f32_e32 v30, v30, v38
	v_fmac_f32_e32 v31, v23, v205
	v_add_f32_e32 v30, v30, v31
	s_waitcnt vmcnt(50) lgkmcnt(1)
	v_mul_f32_e32 v31, v24, v209
	v_fmac_f32_e32 v31, v25, v204
	v_add_f32_e32 v34, v30, v31
	ds_read2_b64 v[30:33], v28 offset0:61 offset1:62
	s_waitcnt vmcnt(46)
	v_mul_f32_e32 v35, v26, v211
	v_fmac_f32_e32 v35, v27, v210
	v_add_f32_e32 v38, v34, v35
	ds_read2_b64 v[34:37], v28 offset0:63 offset1:64
	s_waitcnt vmcnt(44) lgkmcnt(1)
	v_mul_f32_e32 v39, v30, v213
	v_fmac_f32_e32 v39, v31, v212
	v_add_f32_e32 v38, v38, v39
	s_waitcnt vmcnt(42)
	v_mul_f32_e32 v39, v32, v215
	v_fmac_f32_e32 v39, v33, v214
	v_add_f32_e32 v38, v38, v39
	s_waitcnt vmcnt(40) lgkmcnt(0)
	v_mul_f32_e32 v39, v34, v217
	v_fmac_f32_e32 v39, v35, v216
	v_add_f32_e32 v42, v38, v39
	ds_read2_b64 v[38:41], v28 offset0:65 offset1:66
	s_waitcnt vmcnt(38)
	v_mul_f32_e32 v43, v36, v219
	v_fmac_f32_e32 v43, v37, v218
	v_add_f32_e32 v46, v42, v43
	ds_read2_b64 v[42:45], v28 offset0:67 offset1:68
	s_waitcnt vmcnt(36) lgkmcnt(1)
	v_mul_f32_e32 v47, v38, v221
	v_fmac_f32_e32 v47, v39, v220
	v_add_f32_e32 v46, v46, v47
	s_waitcnt vmcnt(34)
	v_mul_f32_e32 v47, v40, v223
	;; [unrolled: 18-line block ×5, first 2 shown]
	v_fmac_f32_e32 v71, v65, v246
	v_add_f32_e32 v70, v70, v71
	s_waitcnt vmcnt(8) lgkmcnt(0)
	v_mul_f32_e32 v71, v66, v249
	v_fmac_f32_e32 v71, v67, v248
	v_add_f32_e32 v75, v70, v71
	ds_read2_b64 v[70:73], v28 offset0:81 offset1:82
	buffer_load_dword v177, off, s[0:3], 0 offset:332
	buffer_load_dword v176, off, s[0:3], 0 offset:328
	;; [unrolled: 1-line block ×16, first 2 shown]
	v_mul_f32_e32 v5, v5, v29
	v_fma_f32 v4, v4, v199, -v5
	v_mul_f32_e32 v5, v7, v74
	v_add_f32_e32 v4, 0, v4
	v_fma_f32 v5, v6, v198, -v5
	v_add_f32_e32 v4, v4, v5
	v_mul_f32_e32 v5, v9, v193
	v_fma_f32 v5, v8, v197, -v5
	v_add_f32_e32 v4, v4, v5
	v_mul_f32_e32 v5, v11, v172
	;; [unrolled: 3-line block ×29, first 2 shown]
	v_fma_f32 v5, v66, v248, -v5
	v_add_f32_e32 v4, v4, v5
	s_waitcnt vmcnt(22)
	v_mul_f32_e32 v5, v69, v251
	v_fma_f32 v5, v68, v250, -v5
	v_mul_f32_e32 v77, v68, v251
	v_add_f32_e32 v4, v4, v5
	s_waitcnt vmcnt(20) lgkmcnt(0)
	v_mul_f32_e32 v5, v71, v253
	v_fmac_f32_e32 v77, v69, v250
	v_fma_f32 v5, v70, v252, -v5
	v_add_f32_e32 v75, v75, v77
	v_mul_f32_e32 v77, v70, v253
	v_add_f32_e32 v74, v4, v5
	s_waitcnt vmcnt(18)
	v_mul_f32_e32 v4, v73, v255
	s_waitcnt vmcnt(9)
	v_mov_b32_e32 v20, v183
	v_fmac_f32_e32 v77, v71, v252
	v_mul_f32_e32 v173, v72, v255
	v_fma_f32 v172, v72, v254, -v4
	v_mul_f32_e32 v4, v169, v76
	v_pk_mul_f32 v[20:21], v[170:171], v[20:21] op_sel_hi:[1,0]
	v_add_f32_e32 v75, v75, v77
	v_fmac_f32_e32 v173, v73, v254
	v_mul_f32_e32 v175, v168, v76
	v_fma_f32 v174, v168, v1, -v4
	ds_read2_b64 v[4:7], v28 offset0:85 offset1:86
	ds_read2_b64 v[8:11], v28 offset0:87 offset1:88
	;; [unrolled: 1-line block ×3, first 2 shown]
	ds_read_b64 v[16:17], v28 offset:728
	s_waitcnt vmcnt(8)
	v_pk_fma_f32 v[22:23], v[170:171], v[182:183], v[20:21] op_sel:[0,0,1] op_sel_hi:[1,1,0] neg_lo:[0,0,1] neg_hi:[0,0,1]
	v_pk_fma_f32 v[20:21], v[170:171], v[182:183], v[20:21] op_sel:[0,0,1] op_sel_hi:[1,0,0]
	v_fmac_f32_e32 v175, v169, v1
	v_pk_add_f32 v[18:19], v[74:75], v[172:173]
	v_mov_b32_e32 v20, v181
	v_pk_add_f32 v[18:19], v[18:19], v[174:175]
	v_mov_b32_e32 v23, v21
	s_waitcnt lgkmcnt(3)
	v_pk_mul_f32 v[20:21], v[4:5], v[20:21] op_sel_hi:[1,0]
	v_pk_add_f32 v[18:19], v[18:19], v[22:23]
	v_pk_fma_f32 v[22:23], v[4:5], v[180:181], v[20:21] op_sel:[0,0,1] op_sel_hi:[1,1,0] neg_lo:[0,0,1] neg_hi:[0,0,1]
	v_pk_fma_f32 v[4:5], v[4:5], v[180:181], v[20:21] op_sel:[0,0,1] op_sel_hi:[1,0,0]
	v_mov_b32_e32 v23, v5
	v_pk_add_f32 v[4:5], v[18:19], v[22:23]
	v_mov_b32_e32 v18, v179
	v_pk_mul_f32 v[18:19], v[6:7], v[18:19] op_sel_hi:[1,0]
	v_pk_fma_f32 v[20:21], v[6:7], v[178:179], v[18:19] op_sel:[0,0,1] op_sel_hi:[1,1,0] neg_lo:[0,0,1] neg_hi:[0,0,1]
	v_pk_fma_f32 v[6:7], v[6:7], v[178:179], v[18:19] op_sel:[0,0,1] op_sel_hi:[1,0,0]
	v_mov_b32_e32 v6, v177
	v_mov_b32_e32 v21, v7
	s_waitcnt lgkmcnt(2)
	v_pk_mul_f32 v[6:7], v[8:9], v[6:7] op_sel_hi:[1,0]
	v_pk_fma_f32 v[18:19], v[8:9], v[176:177], v[6:7] op_sel:[0,0,1] op_sel_hi:[1,1,0] neg_lo:[0,0,1] neg_hi:[0,0,1]
	v_pk_fma_f32 v[6:7], v[8:9], v[176:177], v[6:7] op_sel:[0,0,1] op_sel_hi:[1,0,0]
	s_waitcnt vmcnt(1)
	v_mov_b32_e32 v6, v191
	v_mov_b32_e32 v19, v7
	v_pk_mul_f32 v[6:7], v[10:11], v[6:7] op_sel_hi:[1,0]
	s_waitcnt vmcnt(0)
	v_pk_fma_f32 v[8:9], v[10:11], v[190:191], v[6:7] op_sel:[0,0,1] op_sel_hi:[1,1,0] neg_lo:[0,0,1] neg_hi:[0,0,1]
	v_pk_fma_f32 v[6:7], v[10:11], v[190:191], v[6:7] op_sel:[0,0,1] op_sel_hi:[1,0,0]
	v_pk_add_f32 v[4:5], v[4:5], v[20:21]
	v_mov_b32_e32 v6, v189
	v_pk_add_f32 v[4:5], v[4:5], v[18:19]
	v_mov_b32_e32 v9, v7
	s_waitcnt lgkmcnt(1)
	v_pk_mul_f32 v[6:7], v[12:13], v[6:7] op_sel_hi:[1,0]
	v_pk_add_f32 v[4:5], v[4:5], v[8:9]
	v_pk_fma_f32 v[8:9], v[12:13], v[188:189], v[6:7] op_sel:[0,0,1] op_sel_hi:[1,1,0] neg_lo:[0,0,1] neg_hi:[0,0,1]
	v_pk_fma_f32 v[6:7], v[12:13], v[188:189], v[6:7] op_sel:[0,0,1] op_sel_hi:[1,0,0]
	v_mov_b32_e32 v6, v187
	v_mov_b32_e32 v9, v7
	v_pk_mul_f32 v[6:7], v[14:15], v[6:7] op_sel_hi:[1,0]
	v_pk_add_f32 v[4:5], v[4:5], v[8:9]
	v_pk_fma_f32 v[8:9], v[14:15], v[186:187], v[6:7] op_sel:[0,0,1] op_sel_hi:[1,1,0] neg_lo:[0,0,1] neg_hi:[0,0,1]
	v_pk_fma_f32 v[6:7], v[14:15], v[186:187], v[6:7] op_sel:[0,0,1] op_sel_hi:[1,0,0]
	v_mov_b32_e32 v6, v185
	v_mov_b32_e32 v9, v7
	s_waitcnt lgkmcnt(0)
	v_pk_mul_f32 v[6:7], v[16:17], v[6:7] op_sel_hi:[1,0]
	v_pk_add_f32 v[4:5], v[4:5], v[8:9]
	v_pk_fma_f32 v[8:9], v[16:17], v[184:185], v[6:7] op_sel:[0,0,1] op_sel_hi:[1,1,0] neg_lo:[0,0,1] neg_hi:[0,0,1]
	v_pk_fma_f32 v[6:7], v[16:17], v[184:185], v[6:7] op_sel:[0,0,1] op_sel_hi:[1,0,0]
	v_mov_b32_e32 v9, v7
	v_pk_add_f32 v[4:5], v[4:5], v[8:9]
	v_pk_add_f32 v[2:3], v[2:3], v[4:5] neg_lo:[0,1] neg_hi:[0,1]
	buffer_store_dword v3, off, s[0:3], 0 offset:20
	buffer_store_dword v2, off, s[0:3], 0 offset:16
	s_and_saveexec_b64 s[4:5], vcc
	s_cbranch_execz .LBB45_287
; %bb.286:
	buffer_load_dword v2, off, s[0:3], 0 offset:8
	buffer_load_dword v3, off, s[0:3], 0 offset:12
	s_waitcnt vmcnt(0)
	ds_write_b64 v80, v[2:3]
	buffer_store_dword v28, off, s[0:3], 0 offset:8
	buffer_store_dword v28, off, s[0:3], 0 offset:12
.LBB45_287:
	s_or_b64 exec, exec, s[4:5]
	s_waitcnt lgkmcnt(0)
	; wave barrier
	s_waitcnt lgkmcnt(0)
	buffer_load_dword v1, off, s[0:3], 0 offset:20
	buffer_load_dword v29, off, s[0:3], 0 offset:28
	;; [unrolled: 1-line block ×26, first 2 shown]
	ds_read_b128 v[22:25], v28 offset:384
	ds_read_b128 v[18:21], v28 offset:400
	;; [unrolled: 1-line block ×6, first 2 shown]
	buffer_load_dword v209, off, s[0:3], 0 offset:112
	buffer_load_dword v210, off, s[0:3], 0 offset:116
	buffer_load_dword v211, off, s[0:3], 0 offset:120
	buffer_load_dword v212, off, s[0:3], 0 offset:124
	buffer_load_dword v213, off, s[0:3], 0 offset:128
	buffer_load_dword v214, off, s[0:3], 0 offset:132
	buffer_load_dword v215, off, s[0:3], 0 offset:136
	buffer_load_dword v216, off, s[0:3], 0 offset:140
	buffer_load_dword v217, off, s[0:3], 0 offset:144
	buffer_load_dword v218, off, s[0:3], 0 offset:148
	buffer_load_dword v219, off, s[0:3], 0 offset:152
	buffer_load_dword v220, off, s[0:3], 0 offset:156
	buffer_load_dword v221, off, s[0:3], 0 offset:160
	buffer_load_dword v222, off, s[0:3], 0 offset:164
	buffer_load_dword v223, off, s[0:3], 0 offset:168
	buffer_load_dword v224, off, s[0:3], 0 offset:172
	buffer_load_dword v225, off, s[0:3], 0 offset:176
	buffer_load_dword v226, off, s[0:3], 0 offset:180
	buffer_load_dword v227, off, s[0:3], 0 offset:184
	buffer_load_dword v228, off, s[0:3], 0 offset:188
	buffer_load_dword v229, off, s[0:3], 0 offset:192
	buffer_load_dword v230, off, s[0:3], 0 offset:196
	buffer_load_dword v231, off, s[0:3], 0 offset:200
	buffer_load_dword v232, off, s[0:3], 0 offset:204
	buffer_load_dword v233, off, s[0:3], 0 offset:208
	buffer_load_dword v234, off, s[0:3], 0 offset:212
	buffer_load_dword v235, off, s[0:3], 0 offset:216
	buffer_load_dword v236, off, s[0:3], 0 offset:220
	buffer_load_dword v237, off, s[0:3], 0 offset:224
	buffer_load_dword v238, off, s[0:3], 0 offset:228
	buffer_load_dword v239, off, s[0:3], 0 offset:232
	buffer_load_dword v240, off, s[0:3], 0 offset:236
	buffer_load_dword v241, off, s[0:3], 0 offset:240
	buffer_load_dword v242, off, s[0:3], 0 offset:244
	buffer_load_dword v243, off, s[0:3], 0 offset:248
	buffer_load_dword v244, off, s[0:3], 0 offset:252
	buffer_load_dword v245, off, s[0:3], 0 offset:256
	buffer_load_dword v246, off, s[0:3], 0 offset:260
	buffer_load_dword v247, off, s[0:3], 0 offset:264
	buffer_load_dword v248, off, s[0:3], 0 offset:268
	buffer_load_dword v249, off, s[0:3], 0 offset:272
	buffer_load_dword v250, off, s[0:3], 0 offset:276
	v_cmp_ne_u32_e32 vcc, 0, v0
	s_waitcnt vmcnt(62) lgkmcnt(5)
	v_mul_f32_e32 v30, v22, v1
	v_mul_f32_e32 v31, v24, v29
	s_waitcnt lgkmcnt(4)
	v_mul_f32_e32 v33, v20, v74
	s_waitcnt lgkmcnt(3)
	v_mul_f32_e32 v34, v14, v76
	v_mul_f32_e32 v35, v16, v77
	;; [unrolled: 1-line block ×3, first 2 shown]
	s_waitcnt vmcnt(61) lgkmcnt(2)
	v_mul_f32_e32 v36, v10, v180
	s_waitcnt vmcnt(60)
	v_mul_f32_e32 v37, v12, v192
	s_waitcnt vmcnt(59) lgkmcnt(1)
	v_mul_f32_e32 v38, v6, v193
	s_waitcnt vmcnt(58)
	v_fmac_f32_e32 v32, v19, v194
	s_waitcnt vmcnt(57)
	v_fmac_f32_e32 v31, v25, v195
	;; [unrolled: 2-line block ×3, first 2 shown]
	v_add_f32_e32 v30, 0, v30
	v_add_f32_e32 v30, v30, v31
	;; [unrolled: 1-line block ×3, first 2 shown]
	s_waitcnt vmcnt(52)
	v_fmac_f32_e32 v33, v21, v200
	v_fmac_f32_e32 v34, v15, v199
	v_add_f32_e32 v30, v30, v33
	v_fmac_f32_e32 v35, v17, v198
	v_add_f32_e32 v30, v30, v34
	;; [unrolled: 2-line block ×3, first 2 shown]
	s_waitcnt vmcnt(48)
	v_fmac_f32_e32 v37, v13, v204
	v_add_f32_e32 v30, v30, v36
	v_fmac_f32_e32 v38, v7, v203
	v_add_f32_e32 v30, v30, v37
	s_waitcnt vmcnt(47)
	v_mul_f32_e32 v31, v8, v205
	v_add_f32_e32 v30, v30, v38
	v_fmac_f32_e32 v31, v9, v202
	v_add_f32_e32 v30, v30, v31
	s_waitcnt vmcnt(46) lgkmcnt(0)
	v_mul_f32_e32 v31, v2, v206
	v_fmac_f32_e32 v31, v3, v201
	v_add_f32_e32 v34, v30, v31
	ds_read_b128 v[30:33], v28 offset:480
	s_waitcnt vmcnt(42)
	v_mul_f32_e32 v35, v4, v208
	v_fmac_f32_e32 v35, v5, v207
	buffer_load_dword v251, off, s[0:3], 0 offset:280
	buffer_load_dword v252, off, s[0:3], 0 offset:284
	v_add_f32_e32 v38, v34, v35
	buffer_load_dword v253, off, s[0:3], 0 offset:288
	buffer_load_dword v254, off, s[0:3], 0 offset:292
	ds_read_b128 v[34:37], v28 offset:496
	s_waitcnt vmcnt(44) lgkmcnt(1)
	v_mul_f32_e32 v39, v30, v210
	v_fmac_f32_e32 v39, v31, v209
	v_add_f32_e32 v38, v38, v39
	s_waitcnt vmcnt(42)
	v_mul_f32_e32 v39, v32, v212
	v_fmac_f32_e32 v39, v33, v211
	v_add_f32_e32 v38, v38, v39
	s_waitcnt vmcnt(40) lgkmcnt(0)
	v_mul_f32_e32 v39, v34, v214
	v_fmac_f32_e32 v39, v35, v213
	buffer_load_dword v255, off, s[0:3], 0 offset:296
	buffer_load_dword v78, off, s[0:3], 0 offset:300
	v_add_f32_e32 v42, v38, v39
	ds_read_b128 v[38:41], v28 offset:512
	s_waitcnt vmcnt(40)
	v_mul_f32_e32 v43, v36, v216
	v_fmac_f32_e32 v43, v37, v215
	v_add_f32_e32 v46, v42, v43
	ds_read_b128 v[42:45], v28 offset:528
	s_waitcnt vmcnt(38) lgkmcnt(1)
	v_mul_f32_e32 v47, v38, v218
	v_fmac_f32_e32 v47, v39, v217
	v_add_f32_e32 v46, v46, v47
	s_waitcnt vmcnt(36)
	v_mul_f32_e32 v47, v40, v220
	v_fmac_f32_e32 v47, v41, v219
	v_add_f32_e32 v46, v46, v47
	s_waitcnt vmcnt(34) lgkmcnt(0)
	v_mul_f32_e32 v47, v42, v222
	v_fmac_f32_e32 v47, v43, v221
	v_add_f32_e32 v50, v46, v47
	ds_read_b128 v[46:49], v28 offset:544
	s_waitcnt vmcnt(32)
	v_mul_f32_e32 v51, v44, v224
	v_fmac_f32_e32 v51, v45, v223
	v_add_f32_e32 v54, v50, v51
	ds_read_b128 v[50:53], v28 offset:560
	s_waitcnt vmcnt(30) lgkmcnt(1)
	v_mul_f32_e32 v55, v46, v226
	v_fmac_f32_e32 v55, v47, v225
	v_add_f32_e32 v54, v54, v55
	s_waitcnt vmcnt(28)
	v_mul_f32_e32 v55, v48, v228
	v_fmac_f32_e32 v55, v49, v227
	v_add_f32_e32 v54, v54, v55
	s_waitcnt vmcnt(26) lgkmcnt(0)
	v_mul_f32_e32 v55, v50, v230
	v_fmac_f32_e32 v55, v51, v229
	;; [unrolled: 18-line block ×4, first 2 shown]
	v_add_f32_e32 v75, v70, v71
	ds_read_b128 v[70:73], v28 offset:640
	ds_read_b128 v[168:171], v28 offset:656
	buffer_load_dword v175, off, s[0:3], 0 offset:324
	buffer_load_dword v174, off, s[0:3], 0 offset:320
	;; [unrolled: 1-line block ×16, first 2 shown]
	v_mul_f32_e32 v1, v23, v1
	v_fma_f32 v1, v22, v196, -v1
	v_mul_f32_e32 v22, v25, v29
	v_add_f32_e32 v1, 0, v1
	v_fma_f32 v22, v24, v195, -v22
	v_mul_f32_e32 v19, v19, v172
	v_add_f32_e32 v1, v1, v22
	v_fma_f32 v18, v18, v194, -v19
	v_add_f32_e32 v1, v1, v18
	v_mul_f32_e32 v18, v21, v74
	v_fma_f32 v18, v20, v200, -v18
	v_mul_f32_e32 v15, v15, v76
	v_add_f32_e32 v1, v1, v18
	v_fma_f32 v14, v14, v199, -v15
	v_add_f32_e32 v1, v1, v14
	v_mul_f32_e32 v14, v17, v77
	;; [unrolled: 6-line block ×5, first 2 shown]
	v_fma_f32 v2, v4, v207, -v2
	v_add_f32_e32 v1, v1, v2
	v_mul_f32_e32 v2, v31, v210
	v_fma_f32 v2, v30, v209, -v2
	v_add_f32_e32 v1, v1, v2
	v_mul_f32_e32 v2, v33, v212
	;; [unrolled: 3-line block ×19, first 2 shown]
	v_fma_f32 v2, v66, v245, -v2
	v_add_f32_e32 v1, v1, v2
	s_waitcnt vmcnt(24)
	v_mul_f32_e32 v2, v69, v248
	v_fma_f32 v2, v68, v247, -v2
	v_mul_f32_e32 v79, v68, v248
	v_add_f32_e32 v1, v1, v2
	s_waitcnt vmcnt(22) lgkmcnt(1)
	v_mul_f32_e32 v2, v71, v250
	v_fmac_f32_e32 v79, v69, v247
	v_fma_f32 v2, v70, v249, -v2
	v_add_f32_e32 v75, v75, v79
	v_mul_f32_e32 v79, v70, v250
	v_add_f32_e32 v1, v1, v2
	s_waitcnt vmcnt(20)
	v_mul_f32_e32 v2, v73, v252
	v_fmac_f32_e32 v79, v71, v249
	v_fma_f32 v2, v72, v251, -v2
	v_add_f32_e32 v75, v75, v79
	v_mul_f32_e32 v79, v72, v252
	v_add_f32_e32 v74, v1, v2
	ds_read_b128 v[2:5], v28 offset:672
	ds_read_b128 v[6:9], v28 offset:688
	;; [unrolled: 1-line block ×4, first 2 shown]
	v_fmac_f32_e32 v79, v73, v251
	s_waitcnt vmcnt(18) lgkmcnt(4)
	v_mul_f32_e32 v173, v168, v254
	v_mul_f32_e32 v1, v169, v254
	s_waitcnt vmcnt(11)
	v_mov_b32_e32 v20, v179
	v_add_f32_e32 v75, v75, v79
	v_fmac_f32_e32 v173, v169, v253
	v_mul_f32_e32 v181, v170, v78
	v_fma_f32 v172, v168, v253, -v1
	v_mul_f32_e32 v1, v171, v78
	s_waitcnt lgkmcnt(3)
	v_pk_mul_f32 v[20:21], v[2:3], v[20:21] op_sel_hi:[1,0]
	v_fmac_f32_e32 v181, v171, v255
	v_fma_f32 v180, v170, v255, -v1
	v_pk_add_f32 v[18:19], v[74:75], v[172:173]
	s_waitcnt vmcnt(10)
	v_pk_fma_f32 v[22:23], v[2:3], v[178:179], v[20:21] op_sel:[0,0,1] op_sel_hi:[1,1,0] neg_lo:[0,0,1] neg_hi:[0,0,1]
	v_pk_fma_f32 v[2:3], v[2:3], v[178:179], v[20:21] op_sel:[0,0,1] op_sel_hi:[1,0,0]
	v_pk_add_f32 v[18:19], v[18:19], v[180:181]
	v_mov_b32_e32 v23, v3
	v_pk_add_f32 v[2:3], v[18:19], v[22:23]
	v_mov_b32_e32 v18, v177
	v_pk_mul_f32 v[18:19], v[4:5], v[18:19] op_sel_hi:[1,0]
	v_pk_fma_f32 v[20:21], v[4:5], v[176:177], v[18:19] op_sel:[0,0,1] op_sel_hi:[1,1,0] neg_lo:[0,0,1] neg_hi:[0,0,1]
	v_pk_fma_f32 v[4:5], v[4:5], v[176:177], v[18:19] op_sel:[0,0,1] op_sel_hi:[1,0,0]
	v_mov_b32_e32 v4, v175
	v_mov_b32_e32 v21, v5
	s_waitcnt lgkmcnt(2)
	v_pk_mul_f32 v[4:5], v[6:7], v[4:5] op_sel_hi:[1,0]
	v_pk_fma_f32 v[18:19], v[6:7], v[174:175], v[4:5] op_sel:[0,0,1] op_sel_hi:[1,1,0] neg_lo:[0,0,1] neg_hi:[0,0,1]
	v_pk_fma_f32 v[4:5], v[6:7], v[174:175], v[4:5] op_sel:[0,0,1] op_sel_hi:[1,0,0]
	s_waitcnt vmcnt(3)
	v_mov_b32_e32 v4, v189
	v_mov_b32_e32 v19, v5
	v_pk_mul_f32 v[4:5], v[8:9], v[4:5] op_sel_hi:[1,0]
	s_waitcnt vmcnt(2)
	v_pk_fma_f32 v[6:7], v[8:9], v[188:189], v[4:5] op_sel:[0,0,1] op_sel_hi:[1,1,0] neg_lo:[0,0,1] neg_hi:[0,0,1]
	v_pk_fma_f32 v[4:5], v[8:9], v[188:189], v[4:5] op_sel:[0,0,1] op_sel_hi:[1,0,0]
	v_pk_add_f32 v[2:3], v[2:3], v[20:21]
	v_mov_b32_e32 v4, v187
	v_pk_add_f32 v[2:3], v[2:3], v[18:19]
	v_mov_b32_e32 v7, v5
	s_waitcnt lgkmcnt(1)
	v_pk_mul_f32 v[4:5], v[10:11], v[4:5] op_sel_hi:[1,0]
	v_pk_add_f32 v[2:3], v[2:3], v[6:7]
	v_pk_fma_f32 v[6:7], v[10:11], v[186:187], v[4:5] op_sel:[0,0,1] op_sel_hi:[1,1,0] neg_lo:[0,0,1] neg_hi:[0,0,1]
	v_pk_fma_f32 v[4:5], v[10:11], v[186:187], v[4:5] op_sel:[0,0,1] op_sel_hi:[1,0,0]
	v_mov_b32_e32 v4, v185
	v_mov_b32_e32 v7, v5
	v_pk_mul_f32 v[4:5], v[12:13], v[4:5] op_sel_hi:[1,0]
	v_pk_add_f32 v[2:3], v[2:3], v[6:7]
	v_pk_fma_f32 v[6:7], v[12:13], v[184:185], v[4:5] op_sel:[0,0,1] op_sel_hi:[1,1,0] neg_lo:[0,0,1] neg_hi:[0,0,1]
	v_pk_fma_f32 v[4:5], v[12:13], v[184:185], v[4:5] op_sel:[0,0,1] op_sel_hi:[1,0,0]
	v_mov_b32_e32 v4, v183
	v_mov_b32_e32 v7, v5
	s_waitcnt lgkmcnt(0)
	v_pk_mul_f32 v[4:5], v[14:15], v[4:5] op_sel_hi:[1,0]
	v_pk_add_f32 v[2:3], v[2:3], v[6:7]
	v_pk_fma_f32 v[6:7], v[14:15], v[182:183], v[4:5] op_sel:[0,0,1] op_sel_hi:[1,1,0] neg_lo:[0,0,1] neg_hi:[0,0,1]
	v_pk_fma_f32 v[4:5], v[14:15], v[182:183], v[4:5] op_sel:[0,0,1] op_sel_hi:[1,0,0]
	s_waitcnt vmcnt(1)
	v_mov_b32_e32 v4, v191
	v_mov_b32_e32 v7, v5
	v_pk_mul_f32 v[4:5], v[16:17], v[4:5] op_sel_hi:[1,0]
	v_pk_add_f32 v[2:3], v[2:3], v[6:7]
	s_waitcnt vmcnt(0)
	v_pk_fma_f32 v[6:7], v[16:17], v[190:191], v[4:5] op_sel:[0,0,1] op_sel_hi:[1,1,0] neg_lo:[0,0,1] neg_hi:[0,0,1]
	v_pk_fma_f32 v[4:5], v[16:17], v[190:191], v[4:5] op_sel:[0,0,1] op_sel_hi:[1,0,0]
	v_mov_b32_e32 v7, v5
	v_pk_add_f32 v[2:3], v[2:3], v[6:7]
	v_pk_add_f32 v[2:3], v[26:27], v[2:3] neg_lo:[0,1] neg_hi:[0,1]
	buffer_store_dword v3, off, s[0:3], 0 offset:12
	buffer_store_dword v2, off, s[0:3], 0 offset:8
	s_and_saveexec_b64 s[4:5], vcc
	s_cbranch_execz .LBB45_289
; %bb.288:
	buffer_load_dword v2, off, s[0:3], 0
	buffer_load_dword v3, off, s[0:3], 0 offset:4
	v_mov_b32_e32 v0, 0
	buffer_store_dword v0, off, s[0:3], 0
	buffer_store_dword v0, off, s[0:3], 0 offset:4
	s_waitcnt vmcnt(2)
	ds_write_b64 v80, v[2:3]
.LBB45_289:
	s_or_b64 exec, exec, s[4:5]
	v_mov_b32_e32 v192, 0
	s_waitcnt lgkmcnt(0)
	; wave barrier
	s_waitcnt lgkmcnt(0)
	ds_read2_b64 v[0:3], v192 offset0:47 offset1:48
	buffer_load_dword v168, off, s[0:3], 0
	buffer_load_dword v169, off, s[0:3], 0 offset:4
	buffer_load_dword v170, off, s[0:3], 0 offset:8
	;; [unrolled: 1-line block ×15, first 2 shown]
	s_and_b64 vcc, exec, s[20:21]
	s_waitcnt vmcnt(12) lgkmcnt(0)
	v_mul_f32_e32 v4, v0, v193
	v_fmac_f32_e32 v4, v1, v170
	s_waitcnt vmcnt(10)
	v_mul_f32_e32 v5, v2, v195
	v_add_f32_e32 v4, 0, v4
	v_fmac_f32_e32 v5, v3, v172
	v_add_f32_e32 v8, v4, v5
	ds_read2_b64 v[4:7], v192 offset0:49 offset1:50
	v_mul_f32_e32 v1, v1, v193
	v_fma_f32 v0, v0, v170, -v1
	v_mul_f32_e32 v1, v3, v195
	v_add_f32_e32 v0, 0, v0
	s_waitcnt vmcnt(8) lgkmcnt(0)
	v_mul_f32_e32 v9, v4, v197
	v_fmac_f32_e32 v9, v5, v176
	v_add_f32_e32 v8, v8, v9
	s_waitcnt vmcnt(6)
	v_mul_f32_e32 v9, v6, v199
	v_fmac_f32_e32 v9, v7, v194
	v_add_f32_e32 v12, v8, v9
	ds_read2_b64 v[8:11], v192 offset0:51 offset1:52
	v_fma_f32 v1, v2, v172, -v1
	v_add_f32_e32 v0, v0, v1
	v_mul_f32_e32 v1, v5, v197
	v_fma_f32 v1, v4, v176, -v1
	s_waitcnt vmcnt(4) lgkmcnt(0)
	v_mul_f32_e32 v13, v8, v201
	v_fmac_f32_e32 v13, v9, v196
	v_add_f32_e32 v12, v12, v13
	s_waitcnt vmcnt(2)
	v_mul_f32_e32 v13, v10, v202
	v_fmac_f32_e32 v13, v11, v198
	v_add_f32_e32 v16, v12, v13
	ds_read2_b64 v[12:15], v192 offset0:53 offset1:54
	buffer_load_dword v204, off, s[0:3], 0 offset:64
	buffer_load_dword v205, off, s[0:3], 0 offset:68
	v_add_f32_e32 v0, v0, v1
	v_mul_f32_e32 v1, v7, v199
	v_fma_f32 v1, v6, v194, -v1
	s_waitcnt vmcnt(2) lgkmcnt(0)
	v_mul_f32_e32 v17, v12, v203
	v_fmac_f32_e32 v17, v13, v200
	v_add_f32_e32 v16, v16, v17
	v_add_f32_e32 v0, v0, v1
	v_mul_f32_e32 v1, v9, v201
	v_fma_f32 v1, v8, v196, -v1
	v_add_f32_e32 v0, v0, v1
	v_mul_f32_e32 v1, v11, v202
	v_fma_f32 v1, v10, v198, -v1
	;; [unrolled: 3-line block ×3, first 2 shown]
	v_add_f32_e32 v0, v0, v1
	s_waitcnt vmcnt(0)
	v_mul_f32_e32 v17, v14, v205
	v_fmac_f32_e32 v17, v15, v204
	v_add_f32_e32 v20, v16, v17
	ds_read2_b64 v[16:19], v192 offset0:55 offset1:56
	buffer_load_dword v206, off, s[0:3], 0 offset:72
	buffer_load_dword v207, off, s[0:3], 0 offset:76
	;; [unrolled: 1-line block ×4, first 2 shown]
	v_mul_f32_e32 v1, v15, v205
	v_fma_f32 v1, v14, v204, -v1
	v_add_f32_e32 v0, v0, v1
	s_waitcnt vmcnt(2) lgkmcnt(0)
	v_mul_f32_e32 v21, v16, v207
	v_fmac_f32_e32 v21, v17, v206
	v_add_f32_e32 v20, v20, v21
	s_waitcnt vmcnt(0)
	v_mul_f32_e32 v21, v18, v209
	v_fmac_f32_e32 v21, v19, v208
	v_add_f32_e32 v24, v20, v21
	ds_read2_b64 v[20:23], v192 offset0:57 offset1:58
	buffer_load_dword v210, off, s[0:3], 0 offset:88
	buffer_load_dword v211, off, s[0:3], 0 offset:92
	buffer_load_dword v212, off, s[0:3], 0 offset:96
	buffer_load_dword v213, off, s[0:3], 0 offset:100
	ds_read2_b64 v[28:31], v192 offset0:59 offset1:60
	buffer_load_dword v214, off, s[0:3], 0 offset:104
	buffer_load_dword v215, off, s[0:3], 0 offset:108
	buffer_load_dword v216, off, s[0:3], 0 offset:112
	buffer_load_dword v217, off, s[0:3], 0 offset:116
	;; [unrolled: 5-line block ×13, first 2 shown]
	v_mul_f32_e32 v1, v17, v207
	v_fma_f32 v1, v16, v206, -v1
	v_add_f32_e32 v0, v0, v1
	v_mul_f32_e32 v1, v19, v209
	v_fma_f32 v1, v18, v208, -v1
	v_add_f32_e32 v0, v0, v1
	s_waitcnt vmcnt(50) lgkmcnt(12)
	v_mul_f32_e32 v25, v20, v211
	v_fmac_f32_e32 v25, v21, v210
	v_add_f32_e32 v24, v24, v25
	s_waitcnt vmcnt(48)
	v_mul_f32_e32 v25, v22, v213
	v_fmac_f32_e32 v25, v23, v212
	v_add_f32_e32 v24, v24, v25
	s_waitcnt vmcnt(46) lgkmcnt(11)
	v_mul_f32_e32 v25, v28, v215
	v_fmac_f32_e32 v25, v29, v214
	v_add_f32_e32 v24, v24, v25
	s_waitcnt vmcnt(44)
	v_mul_f32_e32 v25, v30, v217
	v_fmac_f32_e32 v25, v31, v216
	;; [unrolled: 8-line block ×12, first 2 shown]
	v_add_f32_e32 v24, v24, v25
	s_waitcnt vmcnt(2) lgkmcnt(0)
	v_mul_f32_e32 v25, v72, v255
	v_fmac_f32_e32 v25, v73, v254
	v_add_f32_e32 v171, v24, v25
	ds_read2_b64 v[24:27], v192 offset0:83 offset1:84
	buffer_load_dword v82, off, s[0:3], 0 offset:296
	buffer_load_dword v83, off, s[0:3], 0 offset:300
	buffer_load_dword v175, off, s[0:3], 0 offset:308
	buffer_load_dword v174, off, s[0:3], 0 offset:304
	buffer_load_dword v191, off, s[0:3], 0 offset:316
	buffer_load_dword v190, off, s[0:3], 0 offset:312
	buffer_load_dword v189, off, s[0:3], 0 offset:324
	buffer_load_dword v188, off, s[0:3], 0 offset:320
	buffer_load_dword v187, off, s[0:3], 0 offset:332
	buffer_load_dword v186, off, s[0:3], 0 offset:328
	buffer_load_dword v185, off, s[0:3], 0 offset:340
	buffer_load_dword v184, off, s[0:3], 0 offset:336
	buffer_load_dword v183, off, s[0:3], 0 offset:348
	buffer_load_dword v182, off, s[0:3], 0 offset:344
	buffer_load_dword v181, off, s[0:3], 0 offset:356
	buffer_load_dword v180, off, s[0:3], 0 offset:352
	buffer_load_dword v179, off, s[0:3], 0 offset:364
	buffer_load_dword v178, off, s[0:3], 0 offset:360
	v_mul_f32_e32 v1, v21, v211
	v_fma_f32 v1, v20, v210, -v1
	v_add_f32_e32 v0, v0, v1
	v_mul_f32_e32 v1, v23, v213
	v_fma_f32 v1, v22, v212, -v1
	v_add_f32_e32 v0, v0, v1
	;; [unrolled: 3-line block ×25, first 2 shown]
	s_waitcnt vmcnt(18)
	v_mul_f32_e32 v0, v75, v81
	s_waitcnt vmcnt(15)
	v_mov_b32_e32 v16, v175
	v_mul_f32_e32 v173, v74, v81
	v_fma_f32 v172, v74, v80, -v0
	s_waitcnt lgkmcnt(0)
	v_mul_f32_e32 v0, v25, v83
	v_pk_mul_f32 v[16:17], v[26:27], v[16:17] op_sel_hi:[1,0]
	v_fmac_f32_e32 v173, v75, v80
	v_mul_f32_e32 v177, v24, v83
	v_fma_f32 v176, v24, v82, -v0
	ds_read2_b64 v[0:3], v192 offset0:85 offset1:86
	ds_read2_b64 v[4:7], v192 offset0:87 offset1:88
	;; [unrolled: 1-line block ×3, first 2 shown]
	ds_read_b64 v[12:13], v192 offset:728
	s_waitcnt vmcnt(14)
	v_pk_fma_f32 v[18:19], v[26:27], v[174:175], v[16:17] op_sel:[0,0,1] op_sel_hi:[1,1,0] neg_lo:[0,0,1] neg_hi:[0,0,1]
	v_pk_fma_f32 v[16:17], v[26:27], v[174:175], v[16:17] op_sel:[0,0,1] op_sel_hi:[1,0,0]
	v_fmac_f32_e32 v177, v25, v82
	v_pk_add_f32 v[14:15], v[170:171], v[172:173]
	s_waitcnt vmcnt(13)
	v_mov_b32_e32 v16, v191
	v_pk_add_f32 v[14:15], v[14:15], v[176:177]
	v_mov_b32_e32 v19, v17
	s_waitcnt lgkmcnt(3)
	v_pk_mul_f32 v[16:17], v[0:1], v[16:17] op_sel_hi:[1,0]
	v_pk_add_f32 v[14:15], v[14:15], v[18:19]
	s_waitcnt vmcnt(12)
	v_pk_fma_f32 v[18:19], v[0:1], v[190:191], v[16:17] op_sel:[0,0,1] op_sel_hi:[1,1,0] neg_lo:[0,0,1] neg_hi:[0,0,1]
	v_pk_fma_f32 v[0:1], v[0:1], v[190:191], v[16:17] op_sel:[0,0,1] op_sel_hi:[1,0,0]
	v_mov_b32_e32 v19, v1
	v_pk_add_f32 v[0:1], v[14:15], v[18:19]
	s_waitcnt vmcnt(11)
	v_mov_b32_e32 v14, v189
	v_pk_mul_f32 v[14:15], v[2:3], v[14:15] op_sel_hi:[1,0]
	s_waitcnt vmcnt(10)
	v_pk_fma_f32 v[16:17], v[2:3], v[188:189], v[14:15] op_sel:[0,0,1] op_sel_hi:[1,1,0] neg_lo:[0,0,1] neg_hi:[0,0,1]
	v_pk_fma_f32 v[2:3], v[2:3], v[188:189], v[14:15] op_sel:[0,0,1] op_sel_hi:[1,0,0]
	s_waitcnt vmcnt(9)
	v_mov_b32_e32 v2, v187
	v_mov_b32_e32 v17, v3
	s_waitcnt lgkmcnt(2)
	v_pk_mul_f32 v[2:3], v[4:5], v[2:3] op_sel_hi:[1,0]
	s_waitcnt vmcnt(8)
	v_pk_fma_f32 v[14:15], v[4:5], v[186:187], v[2:3] op_sel:[0,0,1] op_sel_hi:[1,1,0] neg_lo:[0,0,1] neg_hi:[0,0,1]
	v_pk_fma_f32 v[2:3], v[4:5], v[186:187], v[2:3] op_sel:[0,0,1] op_sel_hi:[1,0,0]
	s_waitcnt vmcnt(7)
	v_mov_b32_e32 v2, v185
	v_mov_b32_e32 v15, v3
	v_pk_mul_f32 v[2:3], v[6:7], v[2:3] op_sel_hi:[1,0]
	s_waitcnt vmcnt(6)
	v_pk_fma_f32 v[4:5], v[6:7], v[184:185], v[2:3] op_sel:[0,0,1] op_sel_hi:[1,1,0] neg_lo:[0,0,1] neg_hi:[0,0,1]
	v_pk_fma_f32 v[2:3], v[6:7], v[184:185], v[2:3] op_sel:[0,0,1] op_sel_hi:[1,0,0]
	v_pk_add_f32 v[0:1], v[0:1], v[16:17]
	s_waitcnt vmcnt(5)
	v_mov_b32_e32 v2, v183
	v_pk_add_f32 v[0:1], v[0:1], v[14:15]
	v_mov_b32_e32 v5, v3
	s_waitcnt lgkmcnt(1)
	v_pk_mul_f32 v[2:3], v[8:9], v[2:3] op_sel_hi:[1,0]
	v_pk_add_f32 v[0:1], v[0:1], v[4:5]
	s_waitcnt vmcnt(4)
	v_pk_fma_f32 v[4:5], v[8:9], v[182:183], v[2:3] op_sel:[0,0,1] op_sel_hi:[1,1,0] neg_lo:[0,0,1] neg_hi:[0,0,1]
	v_pk_fma_f32 v[2:3], v[8:9], v[182:183], v[2:3] op_sel:[0,0,1] op_sel_hi:[1,0,0]
	s_waitcnt vmcnt(3)
	v_mov_b32_e32 v2, v181
	v_mov_b32_e32 v5, v3
	v_pk_mul_f32 v[2:3], v[10:11], v[2:3] op_sel_hi:[1,0]
	v_pk_add_f32 v[0:1], v[0:1], v[4:5]
	s_waitcnt vmcnt(2)
	v_pk_fma_f32 v[4:5], v[10:11], v[180:181], v[2:3] op_sel:[0,0,1] op_sel_hi:[1,1,0] neg_lo:[0,0,1] neg_hi:[0,0,1]
	v_pk_fma_f32 v[2:3], v[10:11], v[180:181], v[2:3] op_sel:[0,0,1] op_sel_hi:[1,0,0]
	s_waitcnt vmcnt(1)
	v_mov_b32_e32 v2, v179
	v_mov_b32_e32 v5, v3
	s_waitcnt lgkmcnt(0)
	v_pk_mul_f32 v[2:3], v[12:13], v[2:3] op_sel_hi:[1,0]
	v_pk_add_f32 v[0:1], v[0:1], v[4:5]
	s_waitcnt vmcnt(0)
	v_pk_fma_f32 v[4:5], v[12:13], v[178:179], v[2:3] op_sel:[0,0,1] op_sel_hi:[1,1,0] neg_lo:[0,0,1] neg_hi:[0,0,1]
	v_pk_fma_f32 v[2:3], v[12:13], v[178:179], v[2:3] op_sel:[0,0,1] op_sel_hi:[1,0,0]
	v_mov_b32_e32 v5, v3
	v_pk_add_f32 v[0:1], v[0:1], v[4:5]
	v_pk_add_f32 v[0:1], v[168:169], v[0:1] neg_lo:[0,1] neg_hi:[0,1]
	buffer_store_dword v1, off, s[0:3], 0 offset:4
	buffer_store_dword v0, off, s[0:3], 0
	s_cbranch_vccz .LBB45_381
; %bb.290:
	v_pk_mov_b32 v[0:1], s[10:11], s[10:11] op_sel:[0,1]
	flat_load_dword v0, v[0:1] offset:176
	s_waitcnt vmcnt(0) lgkmcnt(0)
	v_add_u32_e32 v0, -1, v0
	v_cmp_ne_u32_e32 vcc, 44, v0
	s_and_saveexec_b64 s[4:5], vcc
	s_cbranch_execz .LBB45_292
; %bb.291:
	v_mov_b32_e32 v1, 0
	v_lshl_add_u32 v0, v0, 3, v1
	buffer_load_dword v1, v0, s[0:3], 0 offen
	buffer_load_dword v2, v0, s[0:3], 0 offen offset:4
	buffer_load_dword v3, off, s[0:3], 0 offset:356
	buffer_load_dword v4, off, s[0:3], 0 offset:352
	s_waitcnt vmcnt(3)
	buffer_store_dword v1, off, s[0:3], 0 offset:352
	s_waitcnt vmcnt(3)
	buffer_store_dword v2, off, s[0:3], 0 offset:356
	s_waitcnt vmcnt(3)
	buffer_store_dword v3, v0, s[0:3], 0 offen offset:4
	s_waitcnt vmcnt(3)
	buffer_store_dword v4, v0, s[0:3], 0 offen
.LBB45_292:
	s_or_b64 exec, exec, s[4:5]
	v_pk_mov_b32 v[0:1], s[10:11], s[10:11] op_sel:[0,1]
	flat_load_dword v0, v[0:1] offset:172
	s_waitcnt vmcnt(0) lgkmcnt(0)
	v_add_u32_e32 v0, -1, v0
	v_cmp_ne_u32_e32 vcc, 43, v0
	s_and_saveexec_b64 s[4:5], vcc
	s_cbranch_execz .LBB45_294
; %bb.293:
	v_mov_b32_e32 v1, 0
	v_lshl_add_u32 v0, v0, 3, v1
	buffer_load_dword v1, v0, s[0:3], 0 offen
	buffer_load_dword v2, v0, s[0:3], 0 offen offset:4
	buffer_load_dword v3, off, s[0:3], 0 offset:344
	buffer_load_dword v4, off, s[0:3], 0 offset:348
	s_waitcnt vmcnt(3)
	buffer_store_dword v1, off, s[0:3], 0 offset:344
	s_waitcnt vmcnt(3)
	buffer_store_dword v2, off, s[0:3], 0 offset:348
	s_waitcnt vmcnt(3)
	buffer_store_dword v3, v0, s[0:3], 0 offen
	s_waitcnt vmcnt(3)
	buffer_store_dword v4, v0, s[0:3], 0 offen offset:4
.LBB45_294:
	s_or_b64 exec, exec, s[4:5]
	v_pk_mov_b32 v[0:1], s[10:11], s[10:11] op_sel:[0,1]
	flat_load_dword v0, v[0:1] offset:168
	s_waitcnt vmcnt(0) lgkmcnt(0)
	v_add_u32_e32 v0, -1, v0
	v_cmp_ne_u32_e32 vcc, 42, v0
	s_and_saveexec_b64 s[4:5], vcc
	s_cbranch_execz .LBB45_296
; %bb.295:
	v_mov_b32_e32 v1, 0
	v_lshl_add_u32 v0, v0, 3, v1
	buffer_load_dword v1, v0, s[0:3], 0 offen
	buffer_load_dword v2, v0, s[0:3], 0 offen offset:4
	buffer_load_dword v3, off, s[0:3], 0 offset:340
	buffer_load_dword v4, off, s[0:3], 0 offset:336
	s_waitcnt vmcnt(3)
	buffer_store_dword v1, off, s[0:3], 0 offset:336
	s_waitcnt vmcnt(3)
	buffer_store_dword v2, off, s[0:3], 0 offset:340
	s_waitcnt vmcnt(3)
	buffer_store_dword v3, v0, s[0:3], 0 offen offset:4
	s_waitcnt vmcnt(3)
	buffer_store_dword v4, v0, s[0:3], 0 offen
.LBB45_296:
	s_or_b64 exec, exec, s[4:5]
	v_pk_mov_b32 v[0:1], s[10:11], s[10:11] op_sel:[0,1]
	flat_load_dword v0, v[0:1] offset:164
	s_waitcnt vmcnt(0) lgkmcnt(0)
	v_add_u32_e32 v0, -1, v0
	v_cmp_ne_u32_e32 vcc, 41, v0
	s_and_saveexec_b64 s[4:5], vcc
	s_cbranch_execz .LBB45_298
; %bb.297:
	v_mov_b32_e32 v1, 0
	v_lshl_add_u32 v0, v0, 3, v1
	buffer_load_dword v1, v0, s[0:3], 0 offen
	buffer_load_dword v2, v0, s[0:3], 0 offen offset:4
	buffer_load_dword v3, off, s[0:3], 0 offset:328
	buffer_load_dword v4, off, s[0:3], 0 offset:332
	s_waitcnt vmcnt(3)
	buffer_store_dword v1, off, s[0:3], 0 offset:328
	s_waitcnt vmcnt(3)
	buffer_store_dword v2, off, s[0:3], 0 offset:332
	s_waitcnt vmcnt(3)
	buffer_store_dword v3, v0, s[0:3], 0 offen
	s_waitcnt vmcnt(3)
	buffer_store_dword v4, v0, s[0:3], 0 offen offset:4
.LBB45_298:
	s_or_b64 exec, exec, s[4:5]
	;; [unrolled: 48-line block ×22, first 2 shown]
	v_pk_mov_b32 v[0:1], s[10:11], s[10:11] op_sel:[0,1]
	flat_load_dword v2, v[0:1]
	s_nop 0
	buffer_load_dword v0, off, s[0:3], 0
	buffer_load_dword v1, off, s[0:3], 0 offset:4
	s_waitcnt vmcnt(0) lgkmcnt(0)
	v_add_u32_e32 v2, -1, v2
	v_cmp_ne_u32_e32 vcc, 0, v2
	s_and_saveexec_b64 s[4:5], vcc
	s_cbranch_execz .LBB45_380
; %bb.379:
	v_mov_b32_e32 v3, 0
	v_lshl_add_u32 v2, v2, 3, v3
	buffer_load_dword v3, v2, s[0:3], 0 offen offset:4
	buffer_load_dword v4, v2, s[0:3], 0 offen
	s_waitcnt vmcnt(1)
	buffer_store_dword v3, off, s[0:3], 0 offset:4
	s_waitcnt vmcnt(1)
	buffer_store_dword v4, off, s[0:3], 0
	buffer_store_dword v1, v2, s[0:3], 0 offen offset:4
	buffer_store_dword v0, v2, s[0:3], 0 offen
	buffer_load_dword v0, off, s[0:3], 0
	s_nop 0
	buffer_load_dword v1, off, s[0:3], 0 offset:4
.LBB45_380:
	s_or_b64 exec, exec, s[4:5]
.LBB45_381:
	buffer_load_dword v2, off, s[0:3], 0 offset:8
	buffer_load_dword v3, off, s[0:3], 0 offset:12
	;; [unrolled: 1-line block ×90, first 2 shown]
	s_waitcnt vmcnt(62)
	global_store_dwordx2 v[156:157], v[0:1], off
	global_store_dwordx2 v[160:161], v[2:3], off
	v_accvgpr_read_b32 v0, a0
	v_accvgpr_read_b32 v1, a1
	global_store_dwordx2 v[0:1], v[4:5], off
	v_accvgpr_read_b32 v0, a2
	v_accvgpr_read_b32 v1, a3
	;; [unrolled: 3-line block ×4, first 2 shown]
	global_store_dwordx2 v[0:1], v[10:11], off
	global_store_dwordx2 v[84:85], v[12:13], off
	;; [unrolled: 1-line block ×10, first 2 shown]
	s_waitcnt vmcnt(62)
	global_store_dwordx2 v[102:103], v[30:31], off
	global_store_dwordx2 v[104:105], v[32:33], off
	;; [unrolled: 1-line block ×7, first 2 shown]
	s_waitcnt vmcnt(62)
	global_store_dwordx2 v[116:117], v[44:45], off
	global_store_dwordx2 v[118:119], v[46:47], off
	;; [unrolled: 1-line block ×4, first 2 shown]
	s_waitcnt vmcnt(62)
	global_store_dwordx2 v[124:125], v[52:53], off
	global_store_dwordx2 v[126:127], v[54:55], off
	s_waitcnt vmcnt(62)
	global_store_dwordx2 v[128:129], v[56:57], off
	s_waitcnt vmcnt(61)
	;; [unrolled: 2-line block ×18, first 2 shown]
	global_store_dwordx2 v[166:167], v[182:183], off
	s_endpgm
	.section	.rodata,"a",@progbits
	.p2align	6, 0x0
	.amdhsa_kernel _ZN9rocsolver6v33100L18getri_kernel_smallILi46E19rocblas_complex_numIfEPS3_EEvT1_iilPiilS6_bb
		.amdhsa_group_segment_fixed_size 740
		.amdhsa_private_segment_fixed_size 384
		.amdhsa_kernarg_size 60
		.amdhsa_user_sgpr_count 8
		.amdhsa_user_sgpr_private_segment_buffer 1
		.amdhsa_user_sgpr_dispatch_ptr 0
		.amdhsa_user_sgpr_queue_ptr 0
		.amdhsa_user_sgpr_kernarg_segment_ptr 1
		.amdhsa_user_sgpr_dispatch_id 0
		.amdhsa_user_sgpr_flat_scratch_init 1
		.amdhsa_user_sgpr_kernarg_preload_length 0
		.amdhsa_user_sgpr_kernarg_preload_offset 0
		.amdhsa_user_sgpr_private_segment_size 0
		.amdhsa_uses_dynamic_stack 0
		.amdhsa_system_sgpr_private_segment_wavefront_offset 1
		.amdhsa_system_sgpr_workgroup_id_x 1
		.amdhsa_system_sgpr_workgroup_id_y 0
		.amdhsa_system_sgpr_workgroup_id_z 0
		.amdhsa_system_sgpr_workgroup_info 0
		.amdhsa_system_vgpr_workitem_id 0
		.amdhsa_next_free_vgpr 264
		.amdhsa_next_free_sgpr 23
		.amdhsa_accum_offset 256
		.amdhsa_reserve_vcc 1
		.amdhsa_reserve_flat_scratch 1
		.amdhsa_float_round_mode_32 0
		.amdhsa_float_round_mode_16_64 0
		.amdhsa_float_denorm_mode_32 3
		.amdhsa_float_denorm_mode_16_64 3
		.amdhsa_dx10_clamp 1
		.amdhsa_ieee_mode 1
		.amdhsa_fp16_overflow 0
		.amdhsa_tg_split 0
		.amdhsa_exception_fp_ieee_invalid_op 0
		.amdhsa_exception_fp_denorm_src 0
		.amdhsa_exception_fp_ieee_div_zero 0
		.amdhsa_exception_fp_ieee_overflow 0
		.amdhsa_exception_fp_ieee_underflow 0
		.amdhsa_exception_fp_ieee_inexact 0
		.amdhsa_exception_int_div_zero 0
	.end_amdhsa_kernel
	.section	.text._ZN9rocsolver6v33100L18getri_kernel_smallILi46E19rocblas_complex_numIfEPS3_EEvT1_iilPiilS6_bb,"axG",@progbits,_ZN9rocsolver6v33100L18getri_kernel_smallILi46E19rocblas_complex_numIfEPS3_EEvT1_iilPiilS6_bb,comdat
.Lfunc_end45:
	.size	_ZN9rocsolver6v33100L18getri_kernel_smallILi46E19rocblas_complex_numIfEPS3_EEvT1_iilPiilS6_bb, .Lfunc_end45-_ZN9rocsolver6v33100L18getri_kernel_smallILi46E19rocblas_complex_numIfEPS3_EEvT1_iilPiilS6_bb
                                        ; -- End function
	.section	.AMDGPU.csdata,"",@progbits
; Kernel info:
; codeLenInByte = 85820
; NumSgprs: 29
; NumVgprs: 256
; NumAgprs: 8
; TotalNumVgprs: 264
; ScratchSize: 384
; MemoryBound: 0
; FloatMode: 240
; IeeeMode: 1
; LDSByteSize: 740 bytes/workgroup (compile time only)
; SGPRBlocks: 3
; VGPRBlocks: 32
; NumSGPRsForWavesPerEU: 29
; NumVGPRsForWavesPerEU: 264
; AccumOffset: 256
; Occupancy: 1
; WaveLimiterHint : 1
; COMPUTE_PGM_RSRC2:SCRATCH_EN: 1
; COMPUTE_PGM_RSRC2:USER_SGPR: 8
; COMPUTE_PGM_RSRC2:TRAP_HANDLER: 0
; COMPUTE_PGM_RSRC2:TGID_X_EN: 1
; COMPUTE_PGM_RSRC2:TGID_Y_EN: 0
; COMPUTE_PGM_RSRC2:TGID_Z_EN: 0
; COMPUTE_PGM_RSRC2:TIDIG_COMP_CNT: 0
; COMPUTE_PGM_RSRC3_GFX90A:ACCUM_OFFSET: 63
; COMPUTE_PGM_RSRC3_GFX90A:TG_SPLIT: 0
	.section	.text._ZN9rocsolver6v33100L18getri_kernel_smallILi47E19rocblas_complex_numIfEPS3_EEvT1_iilPiilS6_bb,"axG",@progbits,_ZN9rocsolver6v33100L18getri_kernel_smallILi47E19rocblas_complex_numIfEPS3_EEvT1_iilPiilS6_bb,comdat
	.globl	_ZN9rocsolver6v33100L18getri_kernel_smallILi47E19rocblas_complex_numIfEPS3_EEvT1_iilPiilS6_bb ; -- Begin function _ZN9rocsolver6v33100L18getri_kernel_smallILi47E19rocblas_complex_numIfEPS3_EEvT1_iilPiilS6_bb
	.p2align	8
	.type	_ZN9rocsolver6v33100L18getri_kernel_smallILi47E19rocblas_complex_numIfEPS3_EEvT1_iilPiilS6_bb,@function
_ZN9rocsolver6v33100L18getri_kernel_smallILi47E19rocblas_complex_numIfEPS3_EEvT1_iilPiilS6_bb: ; @_ZN9rocsolver6v33100L18getri_kernel_smallILi47E19rocblas_complex_numIfEPS3_EEvT1_iilPiilS6_bb
; %bb.0:
	s_add_u32 flat_scratch_lo, s6, s9
	s_addc_u32 flat_scratch_hi, s7, 0
	s_add_u32 s0, s0, s9
	s_addc_u32 s1, s1, 0
	v_cmp_gt_u32_e32 vcc, 47, v0
	s_and_saveexec_b64 s[6:7], vcc
	s_cbranch_execz .LBB46_202
; %bb.1:
	s_load_dword s22, s[4:5], 0x38
	s_load_dwordx4 s[16:19], s[4:5], 0x10
	s_load_dwordx4 s[12:15], s[4:5], 0x28
                                        ; implicit-def: $sgpr10_sgpr11
	s_waitcnt lgkmcnt(0)
	s_bitcmp1_b32 s22, 8
	s_cselect_b64 s[20:21], -1, 0
	s_ashr_i32 s9, s8, 31
	s_bfe_u32 s6, s22, 0x10008
	s_cmp_eq_u32 s6, 0
	s_cbranch_scc1 .LBB46_3
; %bb.2:
	s_load_dword s6, s[4:5], 0x20
	s_mul_i32 s7, s8, s13
	s_mul_hi_u32 s10, s8, s12
	s_mul_i32 s11, s9, s12
	s_add_i32 s10, s10, s7
	s_add_i32 s11, s10, s11
	s_mul_i32 s10, s8, s12
	s_waitcnt lgkmcnt(0)
	s_ashr_i32 s7, s6, 31
	s_lshl_b64 s[10:11], s[10:11], 2
	s_add_u32 s10, s18, s10
	s_addc_u32 s11, s19, s11
	s_lshl_b64 s[6:7], s[6:7], 2
	s_add_u32 s10, s10, s6
	s_addc_u32 s11, s11, s7
.LBB46_3:
	s_load_dwordx4 s[4:7], s[4:5], 0x0
	s_mul_i32 s12, s8, s17
	s_mul_hi_u32 s13, s8, s16
	s_add_i32 s17, s13, s12
	v_lshlrev_b32_e32 v6, 3, v0
	s_waitcnt lgkmcnt(0)
	s_ashr_i32 s13, s6, 31
	s_mov_b32 s12, s6
	s_mul_i32 s6, s9, s16
	s_add_i32 s17, s17, s6
	s_mul_i32 s16, s8, s16
	s_lshl_b64 s[16:17], s[16:17], 3
	s_add_u32 s6, s4, s16
	s_addc_u32 s16, s5, s17
	s_lshl_b64 s[4:5], s[12:13], 3
	s_add_u32 s4, s6, s4
	s_addc_u32 s5, s16, s5
	s_add_i32 s6, s7, s7
	v_add_u32_e32 v2, s6, v0
	v_ashrrev_i32_e32 v3, 31, v2
	v_lshlrev_b64 v[4:5], 3, v[2:3]
	v_add_u32_e32 v2, s7, v2
	v_mov_b32_e32 v1, s5
	v_add_co_u32_e32 v12, vcc, s4, v4
	v_ashrrev_i32_e32 v3, 31, v2
	v_addc_co_u32_e32 v13, vcc, v1, v5, vcc
	v_lshlrev_b64 v[4:5], 3, v[2:3]
	v_add_u32_e32 v2, s7, v2
	v_add_co_u32_e32 v14, vcc, s4, v4
	v_ashrrev_i32_e32 v3, 31, v2
	v_addc_co_u32_e32 v15, vcc, v1, v5, vcc
	v_lshlrev_b64 v[4:5], 3, v[2:3]
	v_add_u32_e32 v2, s7, v2
	;; [unrolled: 5-line block ×37, first 2 shown]
	v_add_co_u32_e32 v152, vcc, s4, v4
	v_ashrrev_i32_e32 v3, 31, v2
	v_addc_co_u32_e32 v153, vcc, v1, v5, vcc
	v_lshlrev_b64 v[4:5], 3, v[2:3]
	v_add_co_u32_e32 v154, vcc, s4, v4
	v_add_u32_e32 v2, s7, v2
	v_addc_co_u32_e32 v155, vcc, v1, v5, vcc
	v_ashrrev_i32_e32 v3, 31, v2
	v_lshlrev_b64 v[4:5], 3, v[2:3]
	global_load_dwordx2 v[8:9], v6, s[4:5]
	v_mov_b32_e32 v3, s5
	v_add_co_u32_e32 v162, vcc, s4, v6
	s_ashr_i32 s13, s7, 31
	s_mov_b32 s12, s7
	v_addc_co_u32_e32 v163, vcc, 0, v3, vcc
	s_lshl_b64 s[12:13], s[12:13], 3
	v_mov_b32_e32 v3, s13
	v_add_co_u32_e32 v164, vcc, s12, v162
	v_addc_co_u32_e32 v165, vcc, v163, v3, vcc
	global_load_dwordx2 v[10:11], v[164:165], off
	v_add_co_u32_e32 v156, vcc, s4, v4
	v_add_u32_e32 v2, s7, v2
	v_addc_co_u32_e32 v157, vcc, v1, v5, vcc
	v_ashrrev_i32_e32 v3, 31, v2
	v_accvgpr_write_b32 a0, v12
	global_load_dwordx2 v[4:5], v[12:13], off
	v_accvgpr_write_b32 a2, v14
	v_accvgpr_write_b32 a8, v20
	;; [unrolled: 1-line block ×4, first 2 shown]
	global_load_dwordx2 v[14:15], v[14:15], off
	v_accvgpr_write_b32 a9, v21
	global_load_dwordx2 v[20:21], v[20:21], off
	v_lshlrev_b64 v[12:13], 3, v[2:3]
	v_add_u32_e32 v2, s7, v2
	v_add_co_u32_e32 v158, vcc, s4, v12
	v_accvgpr_write_b32 a4, v16
	v_ashrrev_i32_e32 v3, 31, v2
	v_accvgpr_write_b32 a6, v18
	v_accvgpr_write_b32 a10, v22
	;; [unrolled: 1-line block ×3, first 2 shown]
	v_addc_co_u32_e32 v159, vcc, v1, v13, vcc
	v_accvgpr_write_b32 a5, v17
	global_load_dwordx2 v[12:13], v[16:17], off
	v_accvgpr_write_b32 a7, v19
	v_accvgpr_write_b32 a11, v23
	global_load_dwordx2 v[22:23], v[22:23], off
	v_accvgpr_write_b32 a13, v25
	global_load_dwordx2 v[16:17], v[18:19], off
	;; [unrolled: 2-line block ×3, first 2 shown]
	v_lshlrev_b64 v[18:19], 3, v[2:3]
	v_add_u32_e32 v2, s7, v2
	v_add_co_u32_e32 v160, vcc, s4, v18
	v_ashrrev_i32_e32 v3, 31, v2
	v_addc_co_u32_e32 v161, vcc, v1, v19, vcc
	v_lshlrev_b64 v[32:33], 3, v[2:3]
	v_add_u32_e32 v2, s7, v2
	v_add_co_u32_e32 v166, vcc, s4, v32
	v_ashrrev_i32_e32 v3, 31, v2
	v_addc_co_u32_e32 v167, vcc, v1, v33, vcc
	;; [unrolled: 5-line block ×3, first 2 shown]
	v_lshlrev_b64 v[2:3], 3, v[2:3]
	v_add_co_u32_e32 v170, vcc, s4, v2
	v_accvgpr_write_b32 a15, v27
	global_load_dwordx2 v[18:19], v[26:27], off
	v_addc_co_u32_e32 v171, vcc, v1, v3, vcc
	global_load_dwordx2 v[26:27], v[94:95], off
	global_load_dwordx2 v[28:29], v[96:97], off
	;; [unrolled: 1-line block ×32, first 2 shown]
	s_bitcmp0_b32 s22, 0
	s_waitcnt vmcnt(41)
	buffer_store_dword v9, off, s[0:3], 0 offset:4
	buffer_store_dword v8, off, s[0:3], 0
	global_load_dwordx2 v[8:9], v[146:147], off
	s_mov_b64 s[6:7], -1
	s_waitcnt vmcnt(43)
	buffer_store_dword v11, off, s[0:3], 0 offset:12
	buffer_store_dword v10, off, s[0:3], 0 offset:8
	global_load_dwordx2 v[10:11], v[150:151], off
	s_waitcnt vmcnt(45)
	buffer_store_dword v5, off, s[0:3], 0 offset:20
	buffer_store_dword v4, off, s[0:3], 0 offset:16
	global_load_dwordx2 v[4:5], v[154:155], off
	;; [unrolled: 4-line block ×4, first 2 shown]
	s_waitcnt vmcnt(49)
	buffer_store_dword v17, off, s[0:3], 0 offset:44
	buffer_store_dword v16, off, s[0:3], 0 offset:40
	;; [unrolled: 1-line block ×6, first 2 shown]
	s_waitcnt vmcnt(54)
	buffer_store_dword v25, off, s[0:3], 0 offset:68
	buffer_store_dword v24, off, s[0:3], 0 offset:64
	s_waitcnt vmcnt(55)
	buffer_store_dword v18, off, s[0:3], 0 offset:72
	buffer_store_dword v19, off, s[0:3], 0 offset:76
	;; [unrolled: 3-line block ×10, first 2 shown]
	buffer_store_dword v42, off, s[0:3], 0 offset:144
	buffer_store_dword v43, off, s[0:3], 0 offset:148
	s_waitcnt vmcnt(62)
	buffer_store_dword v45, off, s[0:3], 0 offset:156
	buffer_store_dword v44, off, s[0:3], 0 offset:152
	;; [unrolled: 1-line block ×8, first 2 shown]
	s_waitcnt vmcnt(62)
	buffer_store_dword v54, off, s[0:3], 0 offset:184
	buffer_store_dword v55, off, s[0:3], 0 offset:188
	;; [unrolled: 1-line block ×16, first 2 shown]
	s_waitcnt vmcnt(62)
	buffer_store_dword v69, off, s[0:3], 0 offset:252
	buffer_store_dword v68, off, s[0:3], 0 offset:248
	;; [unrolled: 1-line block ×14, first 2 shown]
	s_waitcnt vmcnt(62)
	buffer_store_dword v11, off, s[0:3], 0 offset:308
	buffer_store_dword v10, off, s[0:3], 0 offset:304
	;; [unrolled: 1-line block ×18, first 2 shown]
	s_cbranch_scc1 .LBB46_200
; %bb.4:
	v_cmp_eq_u32_e64 s[4:5], 0, v0
	s_and_saveexec_b64 s[6:7], s[4:5]
	s_cbranch_execz .LBB46_6
; %bb.5:
	v_mov_b32_e32 v1, 0
	ds_write_b32 v1, v1 offset:376
.LBB46_6:
	s_or_b64 exec, exec, s[6:7]
	v_mov_b32_e32 v1, 0
	v_lshl_add_u32 v7, v0, 3, v1
	s_waitcnt lgkmcnt(0)
	; wave barrier
	s_waitcnt lgkmcnt(0)
	buffer_load_dword v1, v7, s[0:3], 0 offen
	buffer_load_dword v2, v7, s[0:3], 0 offen offset:4
	s_waitcnt vmcnt(1)
	v_cmp_eq_f32_e32 vcc, 0, v1
	s_waitcnt vmcnt(0)
	v_cmp_eq_f32_e64 s[6:7], 0, v2
	s_and_b64 s[6:7], vcc, s[6:7]
	s_and_saveexec_b64 s[12:13], s[6:7]
	s_cbranch_execz .LBB46_10
; %bb.7:
	v_mov_b32_e32 v1, 0
	ds_read_b32 v3, v1 offset:376
	v_add_u32_e32 v2, 1, v0
	s_waitcnt lgkmcnt(0)
	v_readfirstlane_b32 s6, v3
	s_cmp_eq_u32 s6, 0
	s_cselect_b64 s[16:17], -1, 0
	v_cmp_gt_i32_e32 vcc, s6, v2
	s_or_b64 s[16:17], s[16:17], vcc
	s_and_b64 exec, exec, s[16:17]
	s_cbranch_execz .LBB46_10
; %bb.8:
	s_mov_b64 s[16:17], 0
	v_mov_b32_e32 v3, s6
.LBB46_9:                               ; =>This Inner Loop Header: Depth=1
	ds_cmpst_rtn_b32 v3, v1, v3, v2 offset:376
	s_waitcnt lgkmcnt(0)
	v_cmp_ne_u32_e32 vcc, 0, v3
	v_cmp_le_i32_e64 s[6:7], v3, v2
	s_and_b64 s[6:7], vcc, s[6:7]
	s_and_b64 s[6:7], exec, s[6:7]
	s_or_b64 s[16:17], s[6:7], s[16:17]
	s_andn2_b64 exec, exec, s[16:17]
	s_cbranch_execnz .LBB46_9
.LBB46_10:
	s_or_b64 exec, exec, s[12:13]
	v_mov_b32_e32 v2, 0
	s_waitcnt lgkmcnt(0)
	; wave barrier
	ds_read_b32 v1, v2 offset:376
	s_and_saveexec_b64 s[6:7], s[4:5]
	s_cbranch_execz .LBB46_12
; %bb.11:
	s_lshl_b64 s[12:13], s[8:9], 2
	s_add_u32 s12, s14, s12
	s_addc_u32 s13, s15, s13
	s_waitcnt lgkmcnt(0)
	global_store_dword v2, v1, s[12:13]
.LBB46_12:
	s_or_b64 exec, exec, s[6:7]
	s_waitcnt lgkmcnt(0)
	v_cmp_ne_u32_e32 vcc, 0, v1
	s_mov_b64 s[6:7], 0
	s_cbranch_vccnz .LBB46_200
; %bb.13:
	buffer_load_dword v8, v7, s[0:3], 0 offen offset:4
	buffer_load_dword v3, v7, s[0:3], 0 offen
	s_waitcnt vmcnt(1)
	v_cmp_gt_f32_e32 vcc, 0, v8
	v_cndmask_b32_e64 v1, v8, -v8, vcc
	s_waitcnt vmcnt(0)
	v_cmp_gt_f32_e32 vcc, 0, v3
	v_cndmask_b32_e64 v2, v3, -v3, vcc
	v_cmp_ngt_f32_e32 vcc, v2, v1
                                        ; implicit-def: $vgpr1
                                        ; implicit-def: $vgpr2
	s_and_saveexec_b64 s[6:7], vcc
	s_xor_b64 s[6:7], exec, s[6:7]
                                        ; implicit-def: $vgpr4_vgpr5
	s_cbranch_execz .LBB46_15
; %bb.14:
	v_div_scale_f32 v1, s[12:13], v8, v8, v3
	v_rcp_f32_e32 v2, v1
	v_div_scale_f32 v4, vcc, v3, v8, v3
	v_fma_f32 v5, -v1, v2, 1.0
	v_fmac_f32_e32 v2, v5, v2
	v_mul_f32_e32 v5, v4, v2
	v_fma_f32 v9, -v1, v5, v4
	v_fmac_f32_e32 v5, v9, v2
	v_fma_f32 v1, -v1, v5, v4
	v_div_fmas_f32 v1, v1, v2, v5
	v_div_fixup_f32 v2, v1, v8, v3
	v_fmac_f32_e32 v8, v3, v2
	v_div_scale_f32 v1, s[12:13], v8, v8, -1.0
	v_rcp_f32_e32 v3, v1
	v_fma_f32 v4, -v1, v3, 1.0
	v_fmac_f32_e32 v3, v4, v3
	v_div_scale_f32 v4, vcc, -1.0, v8, -1.0
	v_mul_f32_e32 v5, v4, v3
	v_fma_f32 v9, -v1, v5, v4
	v_fmac_f32_e32 v5, v9, v3
	v_fma_f32 v1, -v1, v5, v4
	v_div_fmas_f32 v1, v1, v3, v5
	v_div_fixup_f32 v1, v1, v8, -1.0
	v_mul_f32_e32 v2, v2, v1
	v_xor_b32_e32 v4, 0x80000000, v2
                                        ; implicit-def: $vgpr3
                                        ; implicit-def: $vgpr8
.LBB46_15:
	s_andn2_saveexec_b64 s[6:7], s[6:7]
	s_cbranch_execz .LBB46_17
; %bb.16:
	v_div_scale_f32 v1, s[12:13], v3, v3, v8
	v_rcp_f32_e32 v2, v1
	v_div_scale_f32 v4, vcc, v8, v3, v8
	v_fma_f32 v5, -v1, v2, 1.0
	v_fmac_f32_e32 v2, v5, v2
	v_mul_f32_e32 v5, v4, v2
	v_fma_f32 v9, -v1, v5, v4
	v_fmac_f32_e32 v5, v9, v2
	v_fma_f32 v1, -v1, v5, v4
	v_div_fmas_f32 v1, v1, v2, v5
	v_div_fixup_f32 v1, v1, v3, v8
	v_fmac_f32_e32 v3, v8, v1
	v_div_scale_f32 v2, s[12:13], v3, v3, 1.0
	v_rcp_f32_e32 v4, v2
	v_fma_f32 v5, -v2, v4, 1.0
	v_fmac_f32_e32 v4, v5, v4
	v_div_scale_f32 v5, vcc, 1.0, v3, 1.0
	v_mul_f32_e32 v8, v5, v4
	v_fma_f32 v9, -v2, v8, v5
	v_fmac_f32_e32 v8, v9, v4
	v_fma_f32 v2, -v2, v8, v5
	v_div_fmas_f32 v2, v2, v4, v8
	v_div_fixup_f32 v4, v2, v3, 1.0
	v_xor_b32_e32 v2, 0x80000000, v4
	v_mul_f32_e64 v1, v1, -v4
.LBB46_17:
	s_or_b64 exec, exec, s[6:7]
	buffer_store_dword v1, v7, s[0:3], 0 offen offset:4
	buffer_store_dword v4, v7, s[0:3], 0 offen
	buffer_load_dword v5, off, s[0:3], 0 offset:12
	s_nop 0
	buffer_load_dword v4, off, s[0:3], 0 offset:8
	v_xor_b32_e32 v3, 0x80000000, v1
	v_add_u32_e32 v1, 0x180, v6
	s_waitcnt vmcnt(0)
	ds_write2_b64 v6, v[2:3], v[4:5] offset1:48
	s_waitcnt lgkmcnt(0)
	; wave barrier
	s_waitcnt lgkmcnt(0)
	s_and_saveexec_b64 s[6:7], s[4:5]
	s_cbranch_execz .LBB46_19
; %bb.18:
	buffer_load_dword v8, v7, s[0:3], 0 offen offset:4
	buffer_load_dword v9, v7, s[0:3], 0 offen
	ds_read_b64 v[2:3], v1
	v_mov_b32_e32 v4, 0
	ds_read_b64 v[4:5], v4 offset:8
	s_waitcnt vmcnt(1) lgkmcnt(1)
	v_mul_f32_e32 v10, v3, v8
	v_mul_f32_e32 v8, v2, v8
	s_waitcnt vmcnt(0)
	v_fmac_f32_e32 v8, v3, v9
	v_fma_f32 v2, v2, v9, -v10
	v_add_f32_e32 v3, 0, v8
	v_add_f32_e32 v2, 0, v2
	s_waitcnt lgkmcnt(0)
	v_mul_f32_e32 v8, v3, v5
	v_mul_f32_e32 v5, v2, v5
	v_fma_f32 v2, v2, v4, -v8
	v_fmac_f32_e32 v5, v3, v4
	buffer_store_dword v2, off, s[0:3], 0 offset:8
	buffer_store_dword v5, off, s[0:3], 0 offset:12
.LBB46_19:
	s_or_b64 exec, exec, s[6:7]
	s_waitcnt lgkmcnt(0)
	; wave barrier
	buffer_load_dword v2, off, s[0:3], 0 offset:16
	buffer_load_dword v3, off, s[0:3], 0 offset:20
	v_cmp_gt_u32_e32 vcc, 2, v0
	s_waitcnt vmcnt(0)
	ds_write_b64 v1, v[2:3]
	s_waitcnt lgkmcnt(0)
	; wave barrier
	s_waitcnt lgkmcnt(0)
	s_and_saveexec_b64 s[6:7], vcc
	s_cbranch_execz .LBB46_23
; %bb.20:
	buffer_load_dword v4, v7, s[0:3], 0 offen offset:4
	buffer_load_dword v5, v7, s[0:3], 0 offen
	ds_read_b64 v[2:3], v1
	s_waitcnt vmcnt(1) lgkmcnt(0)
	v_mul_f32_e32 v7, v3, v4
	v_mul_f32_e32 v4, v2, v4
	s_waitcnt vmcnt(0)
	v_fma_f32 v2, v2, v5, -v7
	v_fmac_f32_e32 v4, v3, v5
	v_add_f32_e32 v3, 0, v2
	v_add_f32_e32 v2, 0, v4
	s_and_saveexec_b64 s[12:13], s[4:5]
	s_cbranch_execz .LBB46_22
; %bb.21:
	buffer_load_dword v7, off, s[0:3], 0 offset:12
	buffer_load_dword v8, off, s[0:3], 0 offset:8
	v_mov_b32_e32 v4, 0
	ds_read_b64 v[4:5], v4 offset:392
	s_waitcnt vmcnt(1) lgkmcnt(0)
	v_mul_f32_e32 v9, v4, v7
	v_mul_f32_e32 v7, v5, v7
	s_waitcnt vmcnt(0)
	v_fmac_f32_e32 v9, v5, v8
	v_fma_f32 v4, v4, v8, -v7
	v_add_f32_e32 v2, v2, v9
	v_add_f32_e32 v3, v3, v4
.LBB46_22:
	s_or_b64 exec, exec, s[12:13]
	v_mov_b32_e32 v4, 0
	ds_read_b64 v[4:5], v4 offset:16
	s_waitcnt lgkmcnt(0)
	v_mul_f32_e32 v7, v2, v5
	v_mul_f32_e32 v5, v3, v5
	v_fma_f32 v3, v3, v4, -v7
	v_fmac_f32_e32 v5, v2, v4
	buffer_store_dword v3, off, s[0:3], 0 offset:16
	buffer_store_dword v5, off, s[0:3], 0 offset:20
.LBB46_23:
	s_or_b64 exec, exec, s[6:7]
	s_waitcnt lgkmcnt(0)
	; wave barrier
	buffer_load_dword v2, off, s[0:3], 0 offset:24
	buffer_load_dword v3, off, s[0:3], 0 offset:28
	v_cmp_gt_u32_e32 vcc, 3, v0
	s_waitcnt vmcnt(0)
	ds_write_b64 v1, v[2:3]
	v_add_u32_e32 v2, -1, v0
	s_waitcnt lgkmcnt(0)
	; wave barrier
	s_waitcnt lgkmcnt(0)
	s_and_saveexec_b64 s[4:5], vcc
	s_cbranch_execz .LBB46_27
; %bb.24:
	v_add_u32_e32 v4, -1, v0
	v_add_u32_e32 v5, 0x180, v6
	v_add_u32_e32 v7, 0, v6
	s_mov_b64 s[6:7], 0
	v_mov_b32_e32 v3, 0
	v_mov_b32_e32 v8, 0
.LBB46_25:                              ; =>This Inner Loop Header: Depth=1
	buffer_load_dword v9, v7, s[0:3], 0 offen offset:4
	buffer_load_dword v12, v7, s[0:3], 0 offen
	ds_read_b64 v[10:11], v5
	v_add_u32_e32 v4, 1, v4
	v_cmp_lt_u32_e32 vcc, 1, v4
	v_add_u32_e32 v5, 8, v5
	v_add_u32_e32 v7, 8, v7
	s_or_b64 s[6:7], vcc, s[6:7]
	s_waitcnt vmcnt(1) lgkmcnt(0)
	v_mul_f32_e32 v13, v11, v9
	v_mul_f32_e32 v9, v10, v9
	s_waitcnt vmcnt(0)
	v_fma_f32 v10, v10, v12, -v13
	v_fmac_f32_e32 v9, v11, v12
	v_add_f32_e32 v8, v8, v10
	v_add_f32_e32 v3, v3, v9
	s_andn2_b64 exec, exec, s[6:7]
	s_cbranch_execnz .LBB46_25
; %bb.26:
	s_or_b64 exec, exec, s[6:7]
	v_mov_b32_e32 v4, 0
	ds_read_b64 v[4:5], v4 offset:24
	s_waitcnt lgkmcnt(0)
	v_mul_f32_e32 v7, v3, v5
	v_mul_f32_e32 v5, v8, v5
	v_fma_f32 v7, v8, v4, -v7
	v_fmac_f32_e32 v5, v3, v4
	buffer_store_dword v7, off, s[0:3], 0 offset:24
	buffer_store_dword v5, off, s[0:3], 0 offset:28
.LBB46_27:
	s_or_b64 exec, exec, s[4:5]
	s_waitcnt lgkmcnt(0)
	; wave barrier
	buffer_load_dword v4, off, s[0:3], 0 offset:32
	buffer_load_dword v5, off, s[0:3], 0 offset:36
	v_cmp_gt_u32_e32 vcc, 4, v0
	s_waitcnt vmcnt(0)
	ds_write_b64 v1, v[4:5]
	s_waitcnt lgkmcnt(0)
	; wave barrier
	s_waitcnt lgkmcnt(0)
	s_and_saveexec_b64 s[4:5], vcc
	s_cbranch_execz .LBB46_31
; %bb.28:
	v_add_u32_e32 v4, -1, v0
	v_add_u32_e32 v5, 0x180, v6
	v_add_u32_e32 v7, 0, v6
	s_mov_b64 s[6:7], 0
	v_mov_b32_e32 v3, 0
	v_mov_b32_e32 v8, 0
.LBB46_29:                              ; =>This Inner Loop Header: Depth=1
	buffer_load_dword v9, v7, s[0:3], 0 offen offset:4
	buffer_load_dword v12, v7, s[0:3], 0 offen
	ds_read_b64 v[10:11], v5
	v_add_u32_e32 v4, 1, v4
	v_cmp_lt_u32_e32 vcc, 2, v4
	v_add_u32_e32 v5, 8, v5
	v_add_u32_e32 v7, 8, v7
	s_or_b64 s[6:7], vcc, s[6:7]
	s_waitcnt vmcnt(1) lgkmcnt(0)
	v_mul_f32_e32 v13, v11, v9
	v_mul_f32_e32 v9, v10, v9
	s_waitcnt vmcnt(0)
	v_fma_f32 v10, v10, v12, -v13
	v_fmac_f32_e32 v9, v11, v12
	v_add_f32_e32 v8, v8, v10
	v_add_f32_e32 v3, v3, v9
	s_andn2_b64 exec, exec, s[6:7]
	s_cbranch_execnz .LBB46_29
; %bb.30:
	s_or_b64 exec, exec, s[6:7]
	v_mov_b32_e32 v4, 0
	ds_read_b64 v[4:5], v4 offset:32
	s_waitcnt lgkmcnt(0)
	v_mul_f32_e32 v7, v3, v5
	v_mul_f32_e32 v5, v8, v5
	v_fma_f32 v7, v8, v4, -v7
	v_fmac_f32_e32 v5, v3, v4
	buffer_store_dword v7, off, s[0:3], 0 offset:32
	buffer_store_dword v5, off, s[0:3], 0 offset:36
.LBB46_31:
	s_or_b64 exec, exec, s[4:5]
	s_waitcnt lgkmcnt(0)
	; wave barrier
	buffer_load_dword v4, off, s[0:3], 0 offset:40
	buffer_load_dword v5, off, s[0:3], 0 offset:44
	v_cmp_gt_u32_e32 vcc, 5, v0
	s_waitcnt vmcnt(0)
	ds_write_b64 v1, v[4:5]
	;; [unrolled: 51-line block ×19, first 2 shown]
	s_waitcnt lgkmcnt(0)
	; wave barrier
	s_waitcnt lgkmcnt(0)
	s_and_saveexec_b64 s[4:5], vcc
	s_cbranch_execz .LBB46_103
; %bb.100:
	v_add_u32_e32 v4, -1, v0
	v_add_u32_e32 v5, 0x180, v6
	v_add_u32_e32 v7, 0, v6
	s_mov_b64 s[6:7], 0
	v_mov_b32_e32 v3, 0
	v_mov_b32_e32 v8, 0
.LBB46_101:                             ; =>This Inner Loop Header: Depth=1
	buffer_load_dword v9, v7, s[0:3], 0 offen offset:4
	buffer_load_dword v12, v7, s[0:3], 0 offen
	ds_read_b64 v[10:11], v5
	v_add_u32_e32 v4, 1, v4
	v_cmp_lt_u32_e32 vcc, 20, v4
	v_add_u32_e32 v5, 8, v5
	v_add_u32_e32 v7, 8, v7
	s_or_b64 s[6:7], vcc, s[6:7]
	s_waitcnt vmcnt(1) lgkmcnt(0)
	v_mul_f32_e32 v13, v11, v9
	v_mul_f32_e32 v9, v10, v9
	s_waitcnt vmcnt(0)
	v_fma_f32 v10, v10, v12, -v13
	v_fmac_f32_e32 v9, v11, v12
	v_add_f32_e32 v8, v8, v10
	v_add_f32_e32 v3, v3, v9
	s_andn2_b64 exec, exec, s[6:7]
	s_cbranch_execnz .LBB46_101
; %bb.102:
	s_or_b64 exec, exec, s[6:7]
	v_mov_b32_e32 v4, 0
	ds_read_b64 v[4:5], v4 offset:176
	s_waitcnt lgkmcnt(0)
	v_mul_f32_e32 v7, v3, v5
	v_mul_f32_e32 v5, v8, v5
	v_fma_f32 v7, v8, v4, -v7
	v_fmac_f32_e32 v5, v3, v4
	buffer_store_dword v7, off, s[0:3], 0 offset:176
	buffer_store_dword v5, off, s[0:3], 0 offset:180
.LBB46_103:
	s_or_b64 exec, exec, s[4:5]
	s_waitcnt lgkmcnt(0)
	; wave barrier
	buffer_load_dword v4, off, s[0:3], 0 offset:184
	buffer_load_dword v5, off, s[0:3], 0 offset:188
	v_cmp_gt_u32_e32 vcc, 23, v0
	s_waitcnt vmcnt(0)
	ds_write_b64 v1, v[4:5]
	s_waitcnt lgkmcnt(0)
	; wave barrier
	s_waitcnt lgkmcnt(0)
	s_and_saveexec_b64 s[4:5], vcc
	s_cbranch_execz .LBB46_107
; %bb.104:
	v_add_u32_e32 v4, -1, v0
	v_add_u32_e32 v5, 0x180, v6
	v_add_u32_e32 v7, 0, v6
	s_mov_b64 s[6:7], 0
	v_mov_b32_e32 v3, 0
	v_mov_b32_e32 v8, 0
.LBB46_105:                             ; =>This Inner Loop Header: Depth=1
	buffer_load_dword v9, v7, s[0:3], 0 offen offset:4
	buffer_load_dword v12, v7, s[0:3], 0 offen
	ds_read_b64 v[10:11], v5
	v_add_u32_e32 v4, 1, v4
	v_cmp_lt_u32_e32 vcc, 21, v4
	v_add_u32_e32 v5, 8, v5
	v_add_u32_e32 v7, 8, v7
	s_or_b64 s[6:7], vcc, s[6:7]
	s_waitcnt vmcnt(1) lgkmcnt(0)
	v_mul_f32_e32 v13, v11, v9
	v_mul_f32_e32 v9, v10, v9
	s_waitcnt vmcnt(0)
	v_fma_f32 v10, v10, v12, -v13
	v_fmac_f32_e32 v9, v11, v12
	v_add_f32_e32 v8, v8, v10
	v_add_f32_e32 v3, v3, v9
	s_andn2_b64 exec, exec, s[6:7]
	s_cbranch_execnz .LBB46_105
; %bb.106:
	s_or_b64 exec, exec, s[6:7]
	v_mov_b32_e32 v4, 0
	ds_read_b64 v[4:5], v4 offset:184
	s_waitcnt lgkmcnt(0)
	v_mul_f32_e32 v7, v3, v5
	v_mul_f32_e32 v5, v8, v5
	v_fma_f32 v7, v8, v4, -v7
	v_fmac_f32_e32 v5, v3, v4
	buffer_store_dword v7, off, s[0:3], 0 offset:184
	buffer_store_dword v5, off, s[0:3], 0 offset:188
.LBB46_107:
	s_or_b64 exec, exec, s[4:5]
	s_waitcnt lgkmcnt(0)
	; wave barrier
	buffer_load_dword v4, off, s[0:3], 0 offset:192
	buffer_load_dword v5, off, s[0:3], 0 offset:196
	v_cmp_gt_u32_e32 vcc, 24, v0
	s_waitcnt vmcnt(0)
	ds_write_b64 v1, v[4:5]
	;; [unrolled: 51-line block ×23, first 2 shown]
	s_waitcnt lgkmcnt(0)
	; wave barrier
	s_waitcnt lgkmcnt(0)
	s_and_saveexec_b64 s[4:5], vcc
	s_cbranch_execz .LBB46_195
; %bb.192:
	v_add_u32_e32 v4, -1, v0
	v_add_u32_e32 v5, 0x180, v6
	v_add_u32_e32 v7, 0, v6
	s_mov_b64 s[6:7], 0
	v_mov_b32_e32 v3, 0
	v_mov_b32_e32 v8, 0
.LBB46_193:                             ; =>This Inner Loop Header: Depth=1
	buffer_load_dword v9, v7, s[0:3], 0 offen offset:4
	buffer_load_dword v12, v7, s[0:3], 0 offen
	ds_read_b64 v[10:11], v5
	v_add_u32_e32 v4, 1, v4
	v_cmp_lt_u32_e32 vcc, 43, v4
	v_add_u32_e32 v5, 8, v5
	v_add_u32_e32 v7, 8, v7
	s_or_b64 s[6:7], vcc, s[6:7]
	s_waitcnt vmcnt(1) lgkmcnt(0)
	v_mul_f32_e32 v13, v11, v9
	v_mul_f32_e32 v9, v10, v9
	s_waitcnt vmcnt(0)
	v_fma_f32 v10, v10, v12, -v13
	v_fmac_f32_e32 v9, v11, v12
	v_add_f32_e32 v8, v8, v10
	v_add_f32_e32 v3, v3, v9
	s_andn2_b64 exec, exec, s[6:7]
	s_cbranch_execnz .LBB46_193
; %bb.194:
	s_or_b64 exec, exec, s[6:7]
	v_mov_b32_e32 v4, 0
	ds_read_b64 v[4:5], v4 offset:360
	s_waitcnt lgkmcnt(0)
	v_mul_f32_e32 v7, v3, v5
	v_mul_f32_e32 v5, v8, v5
	v_fma_f32 v7, v8, v4, -v7
	v_fmac_f32_e32 v5, v3, v4
	buffer_store_dword v7, off, s[0:3], 0 offset:360
	buffer_store_dword v5, off, s[0:3], 0 offset:364
.LBB46_195:
	s_or_b64 exec, exec, s[4:5]
	s_waitcnt lgkmcnt(0)
	; wave barrier
	buffer_load_dword v4, off, s[0:3], 0 offset:368
	buffer_load_dword v5, off, s[0:3], 0 offset:372
	v_cmp_ne_u32_e32 vcc, 46, v0
	s_waitcnt vmcnt(0)
	ds_write_b64 v1, v[4:5]
	s_waitcnt lgkmcnt(0)
	; wave barrier
	s_waitcnt lgkmcnt(0)
	s_and_saveexec_b64 s[4:5], vcc
	s_cbranch_execz .LBB46_199
; %bb.196:
	v_add_u32_e32 v3, 0x180, v6
	v_add_u32_e32 v4, 0, v6
	s_mov_b64 s[6:7], 0
	v_mov_b32_e32 v1, 0
	v_mov_b32_e32 v5, 0
.LBB46_197:                             ; =>This Inner Loop Header: Depth=1
	buffer_load_dword v8, v4, s[0:3], 0 offen offset:4
	buffer_load_dword v9, v4, s[0:3], 0 offen
	ds_read_b64 v[6:7], v3
	v_add_u32_e32 v2, 1, v2
	v_cmp_lt_u32_e32 vcc, 44, v2
	v_add_u32_e32 v3, 8, v3
	v_add_u32_e32 v4, 8, v4
	s_or_b64 s[6:7], vcc, s[6:7]
	s_waitcnt vmcnt(1) lgkmcnt(0)
	v_mul_f32_e32 v10, v7, v8
	v_mul_f32_e32 v8, v6, v8
	s_waitcnt vmcnt(0)
	v_fma_f32 v6, v6, v9, -v10
	v_fmac_f32_e32 v8, v7, v9
	v_add_f32_e32 v5, v5, v6
	v_add_f32_e32 v1, v1, v8
	s_andn2_b64 exec, exec, s[6:7]
	s_cbranch_execnz .LBB46_197
; %bb.198:
	s_or_b64 exec, exec, s[6:7]
	v_mov_b32_e32 v2, 0
	ds_read_b64 v[2:3], v2 offset:368
	s_waitcnt lgkmcnt(0)
	v_mul_f32_e32 v4, v1, v3
	v_mul_f32_e32 v3, v5, v3
	v_fma_f32 v4, v5, v2, -v4
	v_fmac_f32_e32 v3, v1, v2
	buffer_store_dword v4, off, s[0:3], 0 offset:368
	buffer_store_dword v3, off, s[0:3], 0 offset:372
.LBB46_199:
	s_or_b64 exec, exec, s[4:5]
	s_mov_b64 s[6:7], -1
	s_waitcnt lgkmcnt(0)
	; wave barrier
.LBB46_200:
	s_and_b64 vcc, exec, s[6:7]
	s_cbranch_vccz .LBB46_202
; %bb.201:
	s_lshl_b64 s[4:5], s[8:9], 2
	s_add_u32 s4, s14, s4
	s_addc_u32 s5, s15, s5
	v_mov_b32_e32 v1, 0
	global_load_dword v1, v1, s[4:5]
	s_waitcnt vmcnt(0)
	v_cmp_ne_u32_e32 vcc, 0, v1
	s_cbranch_vccz .LBB46_203
.LBB46_202:
	s_endpgm
.LBB46_203:
	v_mov_b32_e32 v1, 0x180
	v_lshl_add_u32 v89, v0, 3, v1
	v_cmp_eq_u32_e32 vcc, 46, v0
	s_and_saveexec_b64 s[4:5], vcc
	s_cbranch_execz .LBB46_205
; %bb.204:
	buffer_load_dword v2, off, s[0:3], 0 offset:360
	buffer_load_dword v3, off, s[0:3], 0 offset:364
	v_mov_b32_e32 v4, 0
	buffer_store_dword v4, off, s[0:3], 0 offset:360
	buffer_store_dword v4, off, s[0:3], 0 offset:364
	s_waitcnt vmcnt(2)
	ds_write_b64 v89, v[2:3]
.LBB46_205:
	s_or_b64 exec, exec, s[4:5]
	s_waitcnt lgkmcnt(0)
	; wave barrier
	s_waitcnt lgkmcnt(0)
	buffer_load_dword v5, off, s[0:3], 0 offset:372
	buffer_load_dword v4, off, s[0:3], 0 offset:368
	;; [unrolled: 1-line block ×4, first 2 shown]
	v_mov_b32_e32 v2, 0
	ds_read_b64 v[8:9], v2 offset:752
	v_cmp_lt_u32_e32 vcc, 44, v0
	s_waitcnt vmcnt(3)
	v_mov_b32_e32 v10, v5
	s_waitcnt lgkmcnt(0)
	v_pk_mul_f32 v[10:11], v[8:9], v[10:11] op_sel_hi:[1,0]
	s_waitcnt vmcnt(2)
	v_pk_fma_f32 v[12:13], v[8:9], v[4:5], v[10:11] op_sel:[0,0,1] op_sel_hi:[1,1,0] neg_lo:[0,0,1] neg_hi:[0,0,1]
	v_pk_fma_f32 v[4:5], v[8:9], v[4:5], v[10:11] op_sel:[0,0,1] op_sel_hi:[1,0,0]
	v_mov_b32_e32 v13, v5
	v_pk_add_f32 v[4:5], v[12:13], 0 op_sel_hi:[1,0]
	s_waitcnt vmcnt(0)
	v_pk_add_f32 v[4:5], v[6:7], v[4:5] neg_lo:[0,1] neg_hi:[0,1]
	buffer_store_dword v4, off, s[0:3], 0 offset:360
	buffer_store_dword v5, off, s[0:3], 0 offset:364
	s_and_saveexec_b64 s[4:5], vcc
	s_cbranch_execz .LBB46_207
; %bb.206:
	buffer_load_dword v4, off, s[0:3], 0 offset:352
	buffer_load_dword v5, off, s[0:3], 0 offset:356
	s_waitcnt vmcnt(0)
	ds_write_b64 v89, v[4:5]
	buffer_store_dword v2, off, s[0:3], 0 offset:352
	buffer_store_dword v2, off, s[0:3], 0 offset:356
.LBB46_207:
	s_or_b64 exec, exec, s[4:5]
	s_waitcnt lgkmcnt(0)
	; wave barrier
	s_waitcnt lgkmcnt(0)
	buffer_load_dword v7, off, s[0:3], 0 offset:364
	buffer_load_dword v9, off, s[0:3], 0 offset:372
	;; [unrolled: 1-line block ×6, first 2 shown]
	ds_read2_b64 v[2:5], v2 offset0:93 offset1:94
	v_cmp_lt_u32_e32 vcc, 43, v0
	s_waitcnt vmcnt(5)
	v_mov_b32_e32 v12, v7
	s_waitcnt vmcnt(4)
	v_mov_b32_e32 v14, v9
	s_waitcnt lgkmcnt(0)
	v_pk_mul_f32 v[12:13], v[2:3], v[12:13] op_sel_hi:[1,0]
	v_pk_mul_f32 v[14:15], v[4:5], v[14:15] op_sel_hi:[1,0]
	s_waitcnt vmcnt(3)
	v_pk_fma_f32 v[16:17], v[2:3], v[6:7], v[12:13] op_sel:[0,0,1] op_sel_hi:[1,1,0] neg_lo:[0,0,1] neg_hi:[0,0,1]
	v_pk_fma_f32 v[2:3], v[2:3], v[6:7], v[12:13] op_sel:[0,0,1] op_sel_hi:[1,0,0]
	s_waitcnt vmcnt(2)
	v_pk_fma_f32 v[6:7], v[4:5], v[8:9], v[14:15] op_sel:[0,0,1] op_sel_hi:[1,1,0] neg_lo:[0,0,1] neg_hi:[0,0,1]
	v_pk_fma_f32 v[4:5], v[4:5], v[8:9], v[14:15] op_sel:[0,0,1] op_sel_hi:[1,0,0]
	v_mov_b32_e32 v17, v3
	v_mov_b32_e32 v7, v5
	v_pk_add_f32 v[2:3], v[16:17], 0 op_sel_hi:[1,0]
	v_pk_add_f32 v[2:3], v[2:3], v[6:7]
	s_waitcnt vmcnt(0)
	v_pk_add_f32 v[2:3], v[10:11], v[2:3] neg_lo:[0,1] neg_hi:[0,1]
	buffer_store_dword v2, off, s[0:3], 0 offset:352
	buffer_store_dword v3, off, s[0:3], 0 offset:356
	s_and_saveexec_b64 s[4:5], vcc
	s_cbranch_execz .LBB46_209
; %bb.208:
	buffer_load_dword v2, off, s[0:3], 0 offset:344
	buffer_load_dword v3, off, s[0:3], 0 offset:348
	v_mov_b32_e32 v4, 0
	buffer_store_dword v4, off, s[0:3], 0 offset:344
	buffer_store_dword v4, off, s[0:3], 0 offset:348
	s_waitcnt vmcnt(2)
	ds_write_b64 v89, v[2:3]
.LBB46_209:
	s_or_b64 exec, exec, s[4:5]
	s_waitcnt lgkmcnt(0)
	; wave barrier
	s_waitcnt lgkmcnt(0)
	buffer_load_dword v9, off, s[0:3], 0 offset:356
	buffer_load_dword v11, off, s[0:3], 0 offset:364
	;; [unrolled: 1-line block ×8, first 2 shown]
	v_mov_b32_e32 v2, 0
	ds_read_b128 v[4:7], v2 offset:736
	ds_read_b64 v[16:17], v2 offset:752
	v_cmp_lt_u32_e32 vcc, 42, v0
	s_waitcnt vmcnt(7)
	v_mov_b32_e32 v18, v9
	s_waitcnt vmcnt(6)
	v_mov_b32_e32 v20, v11
	s_waitcnt lgkmcnt(1)
	v_pk_mul_f32 v[18:19], v[4:5], v[18:19] op_sel_hi:[1,0]
	s_waitcnt vmcnt(5)
	v_mov_b32_e32 v22, v13
	v_pk_mul_f32 v[20:21], v[6:7], v[20:21] op_sel_hi:[1,0]
	s_waitcnt vmcnt(4)
	v_pk_fma_f32 v[24:25], v[4:5], v[8:9], v[18:19] op_sel:[0,0,1] op_sel_hi:[1,1,0] neg_lo:[0,0,1] neg_hi:[0,0,1]
	v_pk_fma_f32 v[4:5], v[4:5], v[8:9], v[18:19] op_sel:[0,0,1] op_sel_hi:[1,0,0]
	s_waitcnt lgkmcnt(0)
	v_pk_mul_f32 v[22:23], v[16:17], v[22:23] op_sel_hi:[1,0]
	s_waitcnt vmcnt(3)
	v_pk_fma_f32 v[8:9], v[6:7], v[10:11], v[20:21] op_sel:[0,0,1] op_sel_hi:[1,1,0] neg_lo:[0,0,1] neg_hi:[0,0,1]
	v_pk_fma_f32 v[6:7], v[6:7], v[10:11], v[20:21] op_sel:[0,0,1] op_sel_hi:[1,0,0]
	v_mov_b32_e32 v25, v5
	s_waitcnt vmcnt(2)
	v_pk_fma_f32 v[10:11], v[16:17], v[12:13], v[22:23] op_sel:[0,0,1] op_sel_hi:[1,1,0] neg_lo:[0,0,1] neg_hi:[0,0,1]
	v_pk_fma_f32 v[12:13], v[16:17], v[12:13], v[22:23] op_sel:[0,0,1] op_sel_hi:[1,0,0]
	v_mov_b32_e32 v9, v7
	v_pk_add_f32 v[4:5], v[24:25], 0 op_sel_hi:[1,0]
	v_mov_b32_e32 v11, v13
	v_pk_add_f32 v[4:5], v[4:5], v[8:9]
	v_pk_add_f32 v[4:5], v[4:5], v[10:11]
	s_waitcnt vmcnt(0)
	v_pk_add_f32 v[4:5], v[14:15], v[4:5] neg_lo:[0,1] neg_hi:[0,1]
	buffer_store_dword v4, off, s[0:3], 0 offset:344
	buffer_store_dword v5, off, s[0:3], 0 offset:348
	s_and_saveexec_b64 s[4:5], vcc
	s_cbranch_execz .LBB46_211
; %bb.210:
	buffer_load_dword v4, off, s[0:3], 0 offset:336
	buffer_load_dword v5, off, s[0:3], 0 offset:340
	s_waitcnt vmcnt(0)
	ds_write_b64 v89, v[4:5]
	buffer_store_dword v2, off, s[0:3], 0 offset:336
	buffer_store_dword v2, off, s[0:3], 0 offset:340
.LBB46_211:
	s_or_b64 exec, exec, s[4:5]
	s_waitcnt lgkmcnt(0)
	; wave barrier
	s_waitcnt lgkmcnt(0)
	buffer_load_dword v13, off, s[0:3], 0 offset:348
	buffer_load_dword v15, off, s[0:3], 0 offset:356
	;; [unrolled: 1-line block ×10, first 2 shown]
	ds_read2_b64 v[4:7], v2 offset0:91 offset1:92
	ds_read2_b64 v[8:11], v2 offset0:93 offset1:94
	v_cmp_lt_u32_e32 vcc, 41, v0
	s_waitcnt vmcnt(9)
	v_mov_b32_e32 v2, v13
	s_waitcnt vmcnt(8)
	v_mov_b32_e32 v22, v15
	s_waitcnt lgkmcnt(1)
	v_pk_mul_f32 v[2:3], v[4:5], v[2:3] op_sel_hi:[1,0]
	s_waitcnt vmcnt(7)
	v_mov_b32_e32 v24, v17
	v_pk_mul_f32 v[22:23], v[6:7], v[22:23] op_sel_hi:[1,0]
	s_waitcnt vmcnt(5)
	v_pk_fma_f32 v[28:29], v[4:5], v[12:13], v[2:3] op_sel:[0,0,1] op_sel_hi:[1,1,0] neg_lo:[0,0,1] neg_hi:[0,0,1]
	v_pk_fma_f32 v[2:3], v[4:5], v[12:13], v[2:3] op_sel:[0,0,1] op_sel_hi:[1,0,0]
	v_mov_b32_e32 v26, v19
	s_waitcnt lgkmcnt(0)
	v_pk_mul_f32 v[24:25], v[8:9], v[24:25] op_sel_hi:[1,0]
	s_waitcnt vmcnt(4)
	v_pk_fma_f32 v[4:5], v[6:7], v[14:15], v[22:23] op_sel:[0,0,1] op_sel_hi:[1,1,0] neg_lo:[0,0,1] neg_hi:[0,0,1]
	v_pk_fma_f32 v[6:7], v[6:7], v[14:15], v[22:23] op_sel:[0,0,1] op_sel_hi:[1,0,0]
	v_mov_b32_e32 v29, v3
	v_pk_mul_f32 v[26:27], v[10:11], v[26:27] op_sel_hi:[1,0]
	s_waitcnt vmcnt(3)
	v_pk_fma_f32 v[12:13], v[8:9], v[16:17], v[24:25] op_sel:[0,0,1] op_sel_hi:[1,1,0] neg_lo:[0,0,1] neg_hi:[0,0,1]
	v_pk_fma_f32 v[8:9], v[8:9], v[16:17], v[24:25] op_sel:[0,0,1] op_sel_hi:[1,0,0]
	v_mov_b32_e32 v5, v7
	v_pk_add_f32 v[2:3], v[28:29], 0 op_sel_hi:[1,0]
	s_waitcnt vmcnt(2)
	v_pk_fma_f32 v[14:15], v[10:11], v[18:19], v[26:27] op_sel:[0,0,1] op_sel_hi:[1,1,0] neg_lo:[0,0,1] neg_hi:[0,0,1]
	v_pk_fma_f32 v[10:11], v[10:11], v[18:19], v[26:27] op_sel:[0,0,1] op_sel_hi:[1,0,0]
	v_mov_b32_e32 v13, v9
	v_pk_add_f32 v[2:3], v[2:3], v[4:5]
	v_mov_b32_e32 v15, v11
	v_pk_add_f32 v[2:3], v[2:3], v[12:13]
	v_pk_add_f32 v[2:3], v[2:3], v[14:15]
	s_waitcnt vmcnt(0)
	v_pk_add_f32 v[2:3], v[20:21], v[2:3] neg_lo:[0,1] neg_hi:[0,1]
	buffer_store_dword v2, off, s[0:3], 0 offset:336
	buffer_store_dword v3, off, s[0:3], 0 offset:340
	s_and_saveexec_b64 s[4:5], vcc
	s_cbranch_execz .LBB46_213
; %bb.212:
	buffer_load_dword v2, off, s[0:3], 0 offset:328
	buffer_load_dword v3, off, s[0:3], 0 offset:332
	v_mov_b32_e32 v4, 0
	buffer_store_dword v4, off, s[0:3], 0 offset:328
	buffer_store_dword v4, off, s[0:3], 0 offset:332
	s_waitcnt vmcnt(2)
	ds_write_b64 v89, v[2:3]
.LBB46_213:
	s_or_b64 exec, exec, s[4:5]
	s_waitcnt lgkmcnt(0)
	; wave barrier
	s_waitcnt lgkmcnt(0)
	buffer_load_dword v12, off, s[0:3], 0 offset:328
	buffer_load_dword v13, off, s[0:3], 0 offset:332
	;; [unrolled: 1-line block ×12, first 2 shown]
	v_mov_b32_e32 v2, 0
	ds_read_b128 v[4:7], v2 offset:720
	ds_read_b128 v[8:11], v2 offset:736
	ds_read_b64 v[24:25], v2 offset:752
	v_cmp_lt_u32_e32 vcc, 40, v0
	s_waitcnt vmcnt(8)
	v_mov_b32_e32 v26, v15
	s_waitcnt lgkmcnt(2)
	v_pk_mul_f32 v[26:27], v[4:5], v[26:27] op_sel_hi:[1,0]
	v_pk_fma_f32 v[28:29], v[4:5], v[14:15], v[26:27] op_sel:[0,0,1] op_sel_hi:[1,1,0] neg_lo:[0,0,1] neg_hi:[0,0,1]
	v_pk_fma_f32 v[4:5], v[4:5], v[14:15], v[26:27] op_sel:[0,0,1] op_sel_hi:[1,0,0]
	s_waitcnt vmcnt(6)
	v_mov_b32_e32 v14, v17
	v_pk_mul_f32 v[14:15], v[6:7], v[14:15] op_sel_hi:[1,0]
	v_pk_fma_f32 v[26:27], v[6:7], v[16:17], v[14:15] op_sel:[0,0,1] op_sel_hi:[1,1,0] neg_lo:[0,0,1] neg_hi:[0,0,1]
	v_pk_fma_f32 v[6:7], v[6:7], v[16:17], v[14:15] op_sel:[0,0,1] op_sel_hi:[1,0,0]
	s_waitcnt vmcnt(4)
	v_mov_b32_e32 v6, v19
	v_mov_b32_e32 v27, v7
	s_waitcnt lgkmcnt(1)
	v_pk_mul_f32 v[6:7], v[8:9], v[6:7] op_sel_hi:[1,0]
	v_pk_fma_f32 v[14:15], v[8:9], v[18:19], v[6:7] op_sel:[0,0,1] op_sel_hi:[1,1,0] neg_lo:[0,0,1] neg_hi:[0,0,1]
	v_pk_fma_f32 v[6:7], v[8:9], v[18:19], v[6:7] op_sel:[0,0,1] op_sel_hi:[1,0,0]
	s_waitcnt vmcnt(2)
	v_mov_b32_e32 v6, v21
	v_mov_b32_e32 v29, v5
	;; [unrolled: 1-line block ×3, first 2 shown]
	v_pk_mul_f32 v[6:7], v[10:11], v[6:7] op_sel_hi:[1,0]
	v_pk_add_f32 v[4:5], v[28:29], 0 op_sel_hi:[1,0]
	v_pk_fma_f32 v[8:9], v[10:11], v[20:21], v[6:7] op_sel:[0,0,1] op_sel_hi:[1,1,0] neg_lo:[0,0,1] neg_hi:[0,0,1]
	v_pk_fma_f32 v[6:7], v[10:11], v[20:21], v[6:7] op_sel:[0,0,1] op_sel_hi:[1,0,0]
	v_pk_add_f32 v[4:5], v[4:5], v[26:27]
	s_waitcnt vmcnt(0)
	v_mov_b32_e32 v6, v23
	v_pk_add_f32 v[4:5], v[4:5], v[14:15]
	v_mov_b32_e32 v9, v7
	s_waitcnt lgkmcnt(0)
	v_pk_mul_f32 v[6:7], v[24:25], v[6:7] op_sel_hi:[1,0]
	v_pk_add_f32 v[4:5], v[4:5], v[8:9]
	v_pk_fma_f32 v[8:9], v[24:25], v[22:23], v[6:7] op_sel:[0,0,1] op_sel_hi:[1,1,0] neg_lo:[0,0,1] neg_hi:[0,0,1]
	v_pk_fma_f32 v[6:7], v[24:25], v[22:23], v[6:7] op_sel:[0,0,1] op_sel_hi:[1,0,0]
	v_mov_b32_e32 v9, v7
	v_pk_add_f32 v[4:5], v[4:5], v[8:9]
	v_pk_add_f32 v[4:5], v[12:13], v[4:5] neg_lo:[0,1] neg_hi:[0,1]
	buffer_store_dword v4, off, s[0:3], 0 offset:328
	buffer_store_dword v5, off, s[0:3], 0 offset:332
	s_and_saveexec_b64 s[4:5], vcc
	s_cbranch_execz .LBB46_215
; %bb.214:
	buffer_load_dword v4, off, s[0:3], 0 offset:320
	buffer_load_dword v5, off, s[0:3], 0 offset:324
	s_waitcnt vmcnt(0)
	ds_write_b64 v89, v[4:5]
	buffer_store_dword v2, off, s[0:3], 0 offset:320
	buffer_store_dword v2, off, s[0:3], 0 offset:324
.LBB46_215:
	s_or_b64 exec, exec, s[4:5]
	s_waitcnt lgkmcnt(0)
	; wave barrier
	s_waitcnt lgkmcnt(0)
	buffer_load_dword v16, off, s[0:3], 0 offset:320
	buffer_load_dword v17, off, s[0:3], 0 offset:324
	;; [unrolled: 1-line block ×14, first 2 shown]
	ds_read2_b64 v[4:7], v2 offset0:89 offset1:90
	ds_read2_b64 v[8:11], v2 offset0:91 offset1:92
	;; [unrolled: 1-line block ×3, first 2 shown]
	v_cmp_lt_u32_e32 vcc, 39, v0
	s_waitcnt vmcnt(10)
	v_mov_b32_e32 v2, v19
	s_waitcnt lgkmcnt(2)
	v_pk_mul_f32 v[2:3], v[4:5], v[2:3] op_sel_hi:[1,0]
	v_pk_fma_f32 v[30:31], v[4:5], v[18:19], v[2:3] op_sel:[0,0,1] op_sel_hi:[1,1,0] neg_lo:[0,0,1] neg_hi:[0,0,1]
	v_pk_fma_f32 v[2:3], v[4:5], v[18:19], v[2:3] op_sel:[0,0,1] op_sel_hi:[1,0,0]
	s_waitcnt vmcnt(8)
	v_mov_b32_e32 v4, v21
	v_pk_mul_f32 v[4:5], v[6:7], v[4:5] op_sel_hi:[1,0]
	v_pk_fma_f32 v[18:19], v[6:7], v[20:21], v[4:5] op_sel:[0,0,1] op_sel_hi:[1,1,0] neg_lo:[0,0,1] neg_hi:[0,0,1]
	v_pk_fma_f32 v[4:5], v[6:7], v[20:21], v[4:5] op_sel:[0,0,1] op_sel_hi:[1,0,0]
	s_waitcnt vmcnt(6)
	v_mov_b32_e32 v4, v23
	v_mov_b32_e32 v19, v5
	s_waitcnt lgkmcnt(1)
	v_pk_mul_f32 v[4:5], v[8:9], v[4:5] op_sel_hi:[1,0]
	v_mov_b32_e32 v31, v3
	v_pk_fma_f32 v[6:7], v[8:9], v[22:23], v[4:5] op_sel:[0,0,1] op_sel_hi:[1,1,0] neg_lo:[0,0,1] neg_hi:[0,0,1]
	v_pk_fma_f32 v[4:5], v[8:9], v[22:23], v[4:5] op_sel:[0,0,1] op_sel_hi:[1,0,0]
	v_pk_add_f32 v[2:3], v[30:31], 0 op_sel_hi:[1,0]
	s_waitcnt vmcnt(4)
	v_mov_b32_e32 v4, v25
	v_pk_add_f32 v[2:3], v[2:3], v[18:19]
	v_mov_b32_e32 v7, v5
	v_pk_mul_f32 v[4:5], v[10:11], v[4:5] op_sel_hi:[1,0]
	v_pk_add_f32 v[2:3], v[2:3], v[6:7]
	v_pk_fma_f32 v[6:7], v[10:11], v[24:25], v[4:5] op_sel:[0,0,1] op_sel_hi:[1,1,0] neg_lo:[0,0,1] neg_hi:[0,0,1]
	v_pk_fma_f32 v[4:5], v[10:11], v[24:25], v[4:5] op_sel:[0,0,1] op_sel_hi:[1,0,0]
	s_waitcnt vmcnt(2)
	v_mov_b32_e32 v4, v27
	v_mov_b32_e32 v7, v5
	s_waitcnt lgkmcnt(0)
	v_pk_mul_f32 v[4:5], v[12:13], v[4:5] op_sel_hi:[1,0]
	v_pk_add_f32 v[2:3], v[2:3], v[6:7]
	v_pk_fma_f32 v[6:7], v[12:13], v[26:27], v[4:5] op_sel:[0,0,1] op_sel_hi:[1,1,0] neg_lo:[0,0,1] neg_hi:[0,0,1]
	v_pk_fma_f32 v[4:5], v[12:13], v[26:27], v[4:5] op_sel:[0,0,1] op_sel_hi:[1,0,0]
	s_waitcnt vmcnt(0)
	v_mov_b32_e32 v4, v29
	v_mov_b32_e32 v7, v5
	v_pk_mul_f32 v[4:5], v[14:15], v[4:5] op_sel_hi:[1,0]
	v_pk_add_f32 v[2:3], v[2:3], v[6:7]
	v_pk_fma_f32 v[6:7], v[14:15], v[28:29], v[4:5] op_sel:[0,0,1] op_sel_hi:[1,1,0] neg_lo:[0,0,1] neg_hi:[0,0,1]
	v_pk_fma_f32 v[4:5], v[14:15], v[28:29], v[4:5] op_sel:[0,0,1] op_sel_hi:[1,0,0]
	v_mov_b32_e32 v7, v5
	v_pk_add_f32 v[2:3], v[2:3], v[6:7]
	v_pk_add_f32 v[2:3], v[16:17], v[2:3] neg_lo:[0,1] neg_hi:[0,1]
	buffer_store_dword v2, off, s[0:3], 0 offset:320
	buffer_store_dword v3, off, s[0:3], 0 offset:324
	s_and_saveexec_b64 s[4:5], vcc
	s_cbranch_execz .LBB46_217
; %bb.216:
	buffer_load_dword v2, off, s[0:3], 0 offset:312
	buffer_load_dword v3, off, s[0:3], 0 offset:316
	v_mov_b32_e32 v4, 0
	buffer_store_dword v4, off, s[0:3], 0 offset:312
	buffer_store_dword v4, off, s[0:3], 0 offset:316
	s_waitcnt vmcnt(2)
	ds_write_b64 v89, v[2:3]
.LBB46_217:
	s_or_b64 exec, exec, s[4:5]
	s_waitcnt lgkmcnt(0)
	; wave barrier
	s_waitcnt lgkmcnt(0)
	buffer_load_dword v17, off, s[0:3], 0 offset:324
	buffer_load_dword v19, off, s[0:3], 0 offset:332
	;; [unrolled: 1-line block ×16, first 2 shown]
	v_mov_b32_e32 v2, 0
	ds_read_b128 v[4:7], v2 offset:704
	ds_read_b128 v[8:11], v2 offset:720
	;; [unrolled: 1-line block ×3, first 2 shown]
	ds_read_b64 v[32:33], v2 offset:752
	v_cmp_lt_u32_e32 vcc, 38, v0
	s_waitcnt vmcnt(15)
	v_mov_b32_e32 v34, v17
	s_waitcnt vmcnt(14)
	v_mov_b32_e32 v36, v19
	s_waitcnt lgkmcnt(3)
	v_pk_mul_f32 v[34:35], v[4:5], v[34:35] op_sel_hi:[1,0]
	s_waitcnt vmcnt(13)
	v_mov_b32_e32 v38, v21
	v_pk_mul_f32 v[36:37], v[6:7], v[36:37] op_sel_hi:[1,0]
	s_waitcnt vmcnt(12)
	v_mov_b32_e32 v40, v23
	s_waitcnt lgkmcnt(2)
	v_pk_mul_f32 v[38:39], v[8:9], v[38:39] op_sel_hi:[1,0]
	s_waitcnt vmcnt(8)
	v_pk_fma_f32 v[48:49], v[4:5], v[16:17], v[34:35] op_sel:[0,0,1] op_sel_hi:[1,1,0] neg_lo:[0,0,1] neg_hi:[0,0,1]
	v_pk_fma_f32 v[4:5], v[4:5], v[16:17], v[34:35] op_sel:[0,0,1] op_sel_hi:[1,0,0]
	s_waitcnt vmcnt(7)
	v_pk_fma_f32 v[16:17], v[6:7], v[18:19], v[36:37] op_sel:[0,0,1] op_sel_hi:[1,1,0] neg_lo:[0,0,1] neg_hi:[0,0,1]
	v_pk_fma_f32 v[6:7], v[6:7], v[18:19], v[36:37] op_sel:[0,0,1] op_sel_hi:[1,0,0]
	v_mov_b32_e32 v49, v5
	v_mov_b32_e32 v42, v25
	v_pk_mul_f32 v[40:41], v[10:11], v[40:41] op_sel_hi:[1,0]
	s_waitcnt vmcnt(6)
	v_pk_fma_f32 v[18:19], v[8:9], v[20:21], v[38:39] op_sel:[0,0,1] op_sel_hi:[1,1,0] neg_lo:[0,0,1] neg_hi:[0,0,1]
	v_pk_fma_f32 v[8:9], v[8:9], v[20:21], v[38:39] op_sel:[0,0,1] op_sel_hi:[1,0,0]
	v_mov_b32_e32 v17, v7
	v_pk_add_f32 v[4:5], v[48:49], 0 op_sel_hi:[1,0]
	v_mov_b32_e32 v44, v27
	s_waitcnt lgkmcnt(1)
	v_pk_mul_f32 v[42:43], v[12:13], v[42:43] op_sel_hi:[1,0]
	s_waitcnt vmcnt(5)
	v_pk_fma_f32 v[20:21], v[10:11], v[22:23], v[40:41] op_sel:[0,0,1] op_sel_hi:[1,1,0] neg_lo:[0,0,1] neg_hi:[0,0,1]
	v_pk_fma_f32 v[10:11], v[10:11], v[22:23], v[40:41] op_sel:[0,0,1] op_sel_hi:[1,0,0]
	v_mov_b32_e32 v19, v9
	v_pk_add_f32 v[4:5], v[4:5], v[16:17]
	v_mov_b32_e32 v46, v29
	v_pk_mul_f32 v[44:45], v[14:15], v[44:45] op_sel_hi:[1,0]
	s_waitcnt vmcnt(4)
	v_pk_fma_f32 v[22:23], v[12:13], v[24:25], v[42:43] op_sel:[0,0,1] op_sel_hi:[1,1,0] neg_lo:[0,0,1] neg_hi:[0,0,1]
	v_pk_fma_f32 v[12:13], v[12:13], v[24:25], v[42:43] op_sel:[0,0,1] op_sel_hi:[1,0,0]
	v_mov_b32_e32 v21, v11
	v_pk_add_f32 v[4:5], v[4:5], v[18:19]
	s_waitcnt lgkmcnt(0)
	v_pk_mul_f32 v[46:47], v[32:33], v[46:47] op_sel_hi:[1,0]
	s_waitcnt vmcnt(3)
	v_pk_fma_f32 v[24:25], v[14:15], v[26:27], v[44:45] op_sel:[0,0,1] op_sel_hi:[1,1,0] neg_lo:[0,0,1] neg_hi:[0,0,1]
	v_pk_fma_f32 v[14:15], v[14:15], v[26:27], v[44:45] op_sel:[0,0,1] op_sel_hi:[1,0,0]
	v_mov_b32_e32 v23, v13
	v_pk_add_f32 v[4:5], v[4:5], v[20:21]
	s_waitcnt vmcnt(2)
	v_pk_fma_f32 v[26:27], v[32:33], v[28:29], v[46:47] op_sel:[0,0,1] op_sel_hi:[1,1,0] neg_lo:[0,0,1] neg_hi:[0,0,1]
	v_pk_fma_f32 v[28:29], v[32:33], v[28:29], v[46:47] op_sel:[0,0,1] op_sel_hi:[1,0,0]
	v_mov_b32_e32 v25, v15
	v_pk_add_f32 v[4:5], v[4:5], v[22:23]
	v_mov_b32_e32 v27, v29
	v_pk_add_f32 v[4:5], v[4:5], v[24:25]
	v_pk_add_f32 v[4:5], v[4:5], v[26:27]
	s_waitcnt vmcnt(0)
	v_pk_add_f32 v[4:5], v[30:31], v[4:5] neg_lo:[0,1] neg_hi:[0,1]
	buffer_store_dword v4, off, s[0:3], 0 offset:312
	buffer_store_dword v5, off, s[0:3], 0 offset:316
	s_and_saveexec_b64 s[4:5], vcc
	s_cbranch_execz .LBB46_219
; %bb.218:
	buffer_load_dword v4, off, s[0:3], 0 offset:304
	buffer_load_dword v5, off, s[0:3], 0 offset:308
	s_waitcnt vmcnt(0)
	ds_write_b64 v89, v[4:5]
	buffer_store_dword v2, off, s[0:3], 0 offset:304
	buffer_store_dword v2, off, s[0:3], 0 offset:308
.LBB46_219:
	s_or_b64 exec, exec, s[4:5]
	s_waitcnt lgkmcnt(0)
	; wave barrier
	s_waitcnt lgkmcnt(0)
	buffer_load_dword v21, off, s[0:3], 0 offset:316
	buffer_load_dword v23, off, s[0:3], 0 offset:324
	;; [unrolled: 1-line block ×18, first 2 shown]
	ds_read2_b64 v[4:7], v2 offset0:87 offset1:88
	ds_read2_b64 v[8:11], v2 offset0:89 offset1:90
	;; [unrolled: 1-line block ×4, first 2 shown]
	v_cmp_lt_u32_e32 vcc, 37, v0
	s_waitcnt vmcnt(17)
	v_mov_b32_e32 v2, v21
	s_waitcnt vmcnt(16)
	v_mov_b32_e32 v38, v23
	s_waitcnt lgkmcnt(3)
	v_pk_mul_f32 v[2:3], v[4:5], v[2:3] op_sel_hi:[1,0]
	s_waitcnt vmcnt(15)
	v_mov_b32_e32 v40, v25
	v_pk_mul_f32 v[38:39], v[6:7], v[38:39] op_sel_hi:[1,0]
	s_waitcnt vmcnt(14)
	v_mov_b32_e32 v42, v27
	s_waitcnt lgkmcnt(2)
	v_pk_mul_f32 v[40:41], v[8:9], v[40:41] op_sel_hi:[1,0]
	s_waitcnt vmcnt(13)
	v_mov_b32_e32 v44, v29
	s_waitcnt vmcnt(9)
	v_pk_fma_f32 v[52:53], v[4:5], v[20:21], v[2:3] op_sel:[0,0,1] op_sel_hi:[1,1,0] neg_lo:[0,0,1] neg_hi:[0,0,1]
	v_pk_fma_f32 v[2:3], v[4:5], v[20:21], v[2:3] op_sel:[0,0,1] op_sel_hi:[1,0,0]
	s_waitcnt vmcnt(8)
	v_pk_fma_f32 v[4:5], v[6:7], v[22:23], v[38:39] op_sel:[0,0,1] op_sel_hi:[1,1,0] neg_lo:[0,0,1] neg_hi:[0,0,1]
	v_pk_fma_f32 v[6:7], v[6:7], v[22:23], v[38:39] op_sel:[0,0,1] op_sel_hi:[1,0,0]
	v_mov_b32_e32 v53, v3
	v_pk_mul_f32 v[42:43], v[10:11], v[42:43] op_sel_hi:[1,0]
	s_waitcnt vmcnt(7)
	v_pk_fma_f32 v[20:21], v[8:9], v[24:25], v[40:41] op_sel:[0,0,1] op_sel_hi:[1,1,0] neg_lo:[0,0,1] neg_hi:[0,0,1]
	v_pk_fma_f32 v[8:9], v[8:9], v[24:25], v[40:41] op_sel:[0,0,1] op_sel_hi:[1,0,0]
	v_mov_b32_e32 v5, v7
	v_pk_add_f32 v[2:3], v[52:53], 0 op_sel_hi:[1,0]
	v_mov_b32_e32 v46, v31
	s_waitcnt lgkmcnt(1)
	v_pk_mul_f32 v[44:45], v[12:13], v[44:45] op_sel_hi:[1,0]
	s_waitcnt vmcnt(6)
	v_pk_fma_f32 v[22:23], v[10:11], v[26:27], v[42:43] op_sel:[0,0,1] op_sel_hi:[1,1,0] neg_lo:[0,0,1] neg_hi:[0,0,1]
	v_pk_fma_f32 v[10:11], v[10:11], v[26:27], v[42:43] op_sel:[0,0,1] op_sel_hi:[1,0,0]
	v_mov_b32_e32 v21, v9
	v_pk_add_f32 v[2:3], v[2:3], v[4:5]
	v_mov_b32_e32 v48, v33
	v_pk_mul_f32 v[46:47], v[14:15], v[46:47] op_sel_hi:[1,0]
	s_waitcnt vmcnt(5)
	v_pk_fma_f32 v[24:25], v[12:13], v[28:29], v[44:45] op_sel:[0,0,1] op_sel_hi:[1,1,0] neg_lo:[0,0,1] neg_hi:[0,0,1]
	v_pk_fma_f32 v[12:13], v[12:13], v[28:29], v[44:45] op_sel:[0,0,1] op_sel_hi:[1,0,0]
	v_mov_b32_e32 v23, v11
	v_pk_add_f32 v[2:3], v[2:3], v[20:21]
	v_mov_b32_e32 v50, v35
	s_waitcnt lgkmcnt(0)
	v_pk_mul_f32 v[48:49], v[16:17], v[48:49] op_sel_hi:[1,0]
	s_waitcnt vmcnt(4)
	v_pk_fma_f32 v[26:27], v[14:15], v[30:31], v[46:47] op_sel:[0,0,1] op_sel_hi:[1,1,0] neg_lo:[0,0,1] neg_hi:[0,0,1]
	v_pk_fma_f32 v[14:15], v[14:15], v[30:31], v[46:47] op_sel:[0,0,1] op_sel_hi:[1,0,0]
	v_mov_b32_e32 v25, v13
	v_pk_add_f32 v[2:3], v[2:3], v[22:23]
	v_pk_mul_f32 v[50:51], v[18:19], v[50:51] op_sel_hi:[1,0]
	s_waitcnt vmcnt(3)
	v_pk_fma_f32 v[28:29], v[16:17], v[32:33], v[48:49] op_sel:[0,0,1] op_sel_hi:[1,1,0] neg_lo:[0,0,1] neg_hi:[0,0,1]
	v_pk_fma_f32 v[16:17], v[16:17], v[32:33], v[48:49] op_sel:[0,0,1] op_sel_hi:[1,0,0]
	v_mov_b32_e32 v27, v15
	v_pk_add_f32 v[2:3], v[2:3], v[24:25]
	s_waitcnt vmcnt(2)
	v_pk_fma_f32 v[30:31], v[18:19], v[34:35], v[50:51] op_sel:[0,0,1] op_sel_hi:[1,1,0] neg_lo:[0,0,1] neg_hi:[0,0,1]
	v_pk_fma_f32 v[18:19], v[18:19], v[34:35], v[50:51] op_sel:[0,0,1] op_sel_hi:[1,0,0]
	v_mov_b32_e32 v29, v17
	v_pk_add_f32 v[2:3], v[2:3], v[26:27]
	v_mov_b32_e32 v31, v19
	v_pk_add_f32 v[2:3], v[2:3], v[28:29]
	v_pk_add_f32 v[2:3], v[2:3], v[30:31]
	s_waitcnt vmcnt(0)
	v_pk_add_f32 v[2:3], v[36:37], v[2:3] neg_lo:[0,1] neg_hi:[0,1]
	buffer_store_dword v2, off, s[0:3], 0 offset:304
	buffer_store_dword v3, off, s[0:3], 0 offset:308
	s_and_saveexec_b64 s[4:5], vcc
	s_cbranch_execz .LBB46_221
; %bb.220:
	buffer_load_dword v2, off, s[0:3], 0 offset:296
	buffer_load_dword v3, off, s[0:3], 0 offset:300
	v_mov_b32_e32 v4, 0
	buffer_store_dword v4, off, s[0:3], 0 offset:296
	buffer_store_dword v4, off, s[0:3], 0 offset:300
	s_waitcnt vmcnt(2)
	ds_write_b64 v89, v[2:3]
.LBB46_221:
	s_or_b64 exec, exec, s[4:5]
	s_waitcnt lgkmcnt(0)
	; wave barrier
	s_waitcnt lgkmcnt(0)
	buffer_load_dword v3, off, s[0:3], 0 offset:308
	buffer_load_dword v21, off, s[0:3], 0 offset:316
	;; [unrolled: 1-line block ×20, first 2 shown]
	v_mov_b32_e32 v2, 0
	ds_read_b128 v[4:7], v2 offset:688
	ds_read_b128 v[8:11], v2 offset:704
	;; [unrolled: 1-line block ×4, first 2 shown]
	ds_read_b64 v[38:39], v2 offset:752
	v_cmp_lt_u32_e32 vcc, 36, v0
	s_waitcnt vmcnt(19) lgkmcnt(4)
	v_mul_f32_e32 v41, v4, v3
	v_mul_f32_e32 v3, v5, v3
	s_waitcnt vmcnt(18)
	v_mov_b32_e32 v42, v21
	s_waitcnt vmcnt(17)
	v_mov_b32_e32 v44, v23
	;; [unrolled: 2-line block ×8, first 2 shown]
	s_waitcnt vmcnt(10)
	v_fmac_f32_e32 v41, v5, v40
	v_fma_f32 v40, v4, v40, -v3
	v_pk_mul_f32 v[4:5], v[6:7], v[42:43] op_sel_hi:[1,0]
	s_waitcnt lgkmcnt(3)
	v_pk_mul_f32 v[42:43], v[8:9], v[44:45] op_sel_hi:[1,0]
	v_pk_mul_f32 v[44:45], v[10:11], v[46:47] op_sel_hi:[1,0]
	s_waitcnt lgkmcnt(2)
	v_pk_mul_f32 v[46:47], v[12:13], v[48:49] op_sel_hi:[1,0]
	;; [unrolled: 3-line block ×4, first 2 shown]
	s_waitcnt vmcnt(9)
	v_pk_fma_f32 v[56:57], v[6:7], v[20:21], v[4:5] op_sel:[0,0,1] op_sel_hi:[1,1,0] neg_lo:[0,0,1] neg_hi:[0,0,1]
	v_pk_fma_f32 v[4:5], v[6:7], v[20:21], v[4:5] op_sel:[0,0,1] op_sel_hi:[1,0,0]
	v_pk_add_f32 v[40:41], v[40:41], 0 op_sel_hi:[1,0]
	s_waitcnt vmcnt(8)
	v_pk_fma_f32 v[6:7], v[8:9], v[22:23], v[42:43] op_sel:[0,0,1] op_sel_hi:[1,1,0] neg_lo:[0,0,1] neg_hi:[0,0,1]
	v_pk_fma_f32 v[8:9], v[8:9], v[22:23], v[42:43] op_sel:[0,0,1] op_sel_hi:[1,0,0]
	v_mov_b32_e32 v57, v5
	s_waitcnt vmcnt(7)
	v_pk_fma_f32 v[20:21], v[10:11], v[24:25], v[44:45] op_sel:[0,0,1] op_sel_hi:[1,1,0] neg_lo:[0,0,1] neg_hi:[0,0,1]
	v_pk_fma_f32 v[10:11], v[10:11], v[24:25], v[44:45] op_sel:[0,0,1] op_sel_hi:[1,0,0]
	v_mov_b32_e32 v7, v9
	v_pk_add_f32 v[4:5], v[40:41], v[56:57]
	s_waitcnt vmcnt(6)
	v_pk_fma_f32 v[22:23], v[12:13], v[26:27], v[46:47] op_sel:[0,0,1] op_sel_hi:[1,1,0] neg_lo:[0,0,1] neg_hi:[0,0,1]
	v_pk_fma_f32 v[12:13], v[12:13], v[26:27], v[46:47] op_sel:[0,0,1] op_sel_hi:[1,0,0]
	v_mov_b32_e32 v21, v11
	v_pk_add_f32 v[4:5], v[4:5], v[6:7]
	;; [unrolled: 5-line block ×5, first 2 shown]
	v_pk_fma_f32 v[30:31], v[38:39], v[34:35], v[54:55] op_sel:[0,0,1] op_sel_hi:[1,1,0] neg_lo:[0,0,1] neg_hi:[0,0,1]
	v_pk_fma_f32 v[32:33], v[38:39], v[34:35], v[54:55] op_sel:[0,0,1] op_sel_hi:[1,0,0]
	v_mov_b32_e32 v29, v19
	v_pk_add_f32 v[4:5], v[4:5], v[26:27]
	v_mov_b32_e32 v31, v33
	v_pk_add_f32 v[4:5], v[4:5], v[28:29]
	v_pk_add_f32 v[4:5], v[4:5], v[30:31]
	s_waitcnt vmcnt(0)
	v_pk_add_f32 v[4:5], v[36:37], v[4:5] neg_lo:[0,1] neg_hi:[0,1]
	buffer_store_dword v4, off, s[0:3], 0 offset:296
	buffer_store_dword v5, off, s[0:3], 0 offset:300
	s_and_saveexec_b64 s[4:5], vcc
	s_cbranch_execz .LBB46_223
; %bb.222:
	buffer_load_dword v4, off, s[0:3], 0 offset:288
	buffer_load_dword v5, off, s[0:3], 0 offset:292
	s_waitcnt vmcnt(0)
	ds_write_b64 v89, v[4:5]
	buffer_store_dword v2, off, s[0:3], 0 offset:288
	buffer_store_dword v2, off, s[0:3], 0 offset:292
.LBB46_223:
	s_or_b64 exec, exec, s[4:5]
	s_waitcnt lgkmcnt(0)
	; wave barrier
	s_waitcnt lgkmcnt(0)
	buffer_load_dword v42, off, s[0:3], 0 offset:300
	buffer_load_dword v44, off, s[0:3], 0 offset:308
	;; [unrolled: 1-line block ×22, first 2 shown]
	ds_read2_b64 v[4:7], v2 offset0:85 offset1:86
	ds_read2_b64 v[8:11], v2 offset0:87 offset1:88
	ds_read2_b64 v[12:15], v2 offset0:89 offset1:90
	ds_read2_b64 v[16:19], v2 offset0:91 offset1:92
	ds_read2_b64 v[20:23], v2 offset0:93 offset1:94
	v_cmp_lt_u32_e32 vcc, 35, v0
	s_waitcnt vmcnt(21) lgkmcnt(4)
	v_mul_f32_e32 v3, v4, v42
	s_waitcnt vmcnt(20)
	v_mul_f32_e32 v43, v6, v44
	v_mul_f32_e32 v2, v5, v42
	;; [unrolled: 1-line block ×3, first 2 shown]
	s_waitcnt vmcnt(19)
	v_mov_b32_e32 v44, v25
	s_waitcnt vmcnt(18)
	v_mov_b32_e32 v46, v27
	;; [unrolled: 2-line block ×5, first 2 shown]
	v_mov_b32_e32 v50, v31
	s_waitcnt vmcnt(11)
	v_fmac_f32_e32 v3, v5, v45
	v_fma_f32 v2, v4, v45, -v2
	s_waitcnt lgkmcnt(3)
	v_pk_mul_f32 v[4:5], v[8:9], v[44:45] op_sel_hi:[1,0]
	s_waitcnt vmcnt(10)
	v_fmac_f32_e32 v43, v7, v47
	v_fma_f32 v42, v6, v47, -v42
	v_pk_mul_f32 v[6:7], v[10:11], v[46:47] op_sel_hi:[1,0]
	s_waitcnt lgkmcnt(2)
	v_pk_mul_f32 v[44:45], v[12:13], v[48:49] op_sel_hi:[1,0]
	s_waitcnt lgkmcnt(1)
	;; [unrolled: 2-line block ×3, first 2 shown]
	v_pk_mul_f32 v[52:53], v[20:21], v[56:57] op_sel_hi:[1,0]
	v_pk_add_f32 v[2:3], v[2:3], 0 op_sel_hi:[1,0]
	s_waitcnt vmcnt(9)
	v_pk_fma_f32 v[56:57], v[8:9], v[24:25], v[4:5] op_sel:[0,0,1] op_sel_hi:[1,1,0] neg_lo:[0,0,1] neg_hi:[0,0,1]
	v_pk_fma_f32 v[4:5], v[8:9], v[24:25], v[4:5] op_sel:[0,0,1] op_sel_hi:[1,0,0]
	s_waitcnt vmcnt(8)
	v_pk_fma_f32 v[8:9], v[10:11], v[26:27], v[6:7] op_sel:[0,0,1] op_sel_hi:[1,1,0] neg_lo:[0,0,1] neg_hi:[0,0,1]
	v_pk_fma_f32 v[6:7], v[10:11], v[26:27], v[6:7] op_sel:[0,0,1] op_sel_hi:[1,0,0]
	v_pk_add_f32 v[2:3], v[2:3], v[42:43]
	v_mov_b32_e32 v57, v5
	v_pk_mul_f32 v[46:47], v[14:15], v[50:51] op_sel_hi:[1,0]
	s_waitcnt vmcnt(7)
	v_pk_fma_f32 v[10:11], v[12:13], v[28:29], v[44:45] op_sel:[0,0,1] op_sel_hi:[1,1,0] neg_lo:[0,0,1] neg_hi:[0,0,1]
	v_pk_fma_f32 v[12:13], v[12:13], v[28:29], v[44:45] op_sel:[0,0,1] op_sel_hi:[1,0,0]
	v_mov_b32_e32 v9, v7
	v_pk_add_f32 v[2:3], v[2:3], v[56:57]
	v_mov_b32_e32 v54, v35
	s_waitcnt vmcnt(6)
	v_pk_fma_f32 v[24:25], v[14:15], v[30:31], v[46:47] op_sel:[0,0,1] op_sel_hi:[1,1,0] neg_lo:[0,0,1] neg_hi:[0,0,1]
	v_pk_fma_f32 v[14:15], v[14:15], v[30:31], v[46:47] op_sel:[0,0,1] op_sel_hi:[1,0,0]
	v_mov_b32_e32 v11, v13
	v_pk_add_f32 v[2:3], v[2:3], v[8:9]
	v_pk_mul_f32 v[50:51], v[18:19], v[54:55] op_sel_hi:[1,0]
	s_waitcnt vmcnt(5)
	v_pk_fma_f32 v[26:27], v[16:17], v[32:33], v[48:49] op_sel:[0,0,1] op_sel_hi:[1,1,0] neg_lo:[0,0,1] neg_hi:[0,0,1]
	v_pk_fma_f32 v[16:17], v[16:17], v[32:33], v[48:49] op_sel:[0,0,1] op_sel_hi:[1,0,0]
	v_mov_b32_e32 v25, v15
	v_pk_add_f32 v[2:3], v[2:3], v[10:11]
	v_mov_b32_e32 v58, v39
	s_waitcnt vmcnt(2)
	v_pk_fma_f32 v[28:29], v[18:19], v[34:35], v[50:51] op_sel:[0,0,1] op_sel_hi:[1,1,0] neg_lo:[0,0,1] neg_hi:[0,0,1]
	v_pk_fma_f32 v[18:19], v[18:19], v[34:35], v[50:51] op_sel:[0,0,1] op_sel_hi:[1,0,0]
	v_mov_b32_e32 v27, v17
	v_pk_add_f32 v[2:3], v[2:3], v[24:25]
	v_pk_mul_f32 v[54:55], v[22:23], v[58:59] op_sel_hi:[1,0]
	v_pk_fma_f32 v[30:31], v[20:21], v[36:37], v[52:53] op_sel:[0,0,1] op_sel_hi:[1,1,0] neg_lo:[0,0,1] neg_hi:[0,0,1]
	v_pk_fma_f32 v[20:21], v[20:21], v[36:37], v[52:53] op_sel:[0,0,1] op_sel_hi:[1,0,0]
	v_mov_b32_e32 v29, v19
	v_pk_add_f32 v[2:3], v[2:3], v[26:27]
	v_pk_fma_f32 v[32:33], v[22:23], v[38:39], v[54:55] op_sel:[0,0,1] op_sel_hi:[1,1,0] neg_lo:[0,0,1] neg_hi:[0,0,1]
	v_pk_fma_f32 v[22:23], v[22:23], v[38:39], v[54:55] op_sel:[0,0,1] op_sel_hi:[1,0,0]
	v_mov_b32_e32 v31, v21
	v_pk_add_f32 v[2:3], v[2:3], v[28:29]
	v_mov_b32_e32 v33, v23
	v_pk_add_f32 v[2:3], v[2:3], v[30:31]
	v_pk_add_f32 v[2:3], v[2:3], v[32:33]
	s_waitcnt vmcnt(0)
	v_pk_add_f32 v[2:3], v[40:41], v[2:3] neg_lo:[0,1] neg_hi:[0,1]
	buffer_store_dword v2, off, s[0:3], 0 offset:288
	buffer_store_dword v3, off, s[0:3], 0 offset:292
	s_and_saveexec_b64 s[4:5], vcc
	s_cbranch_execz .LBB46_225
; %bb.224:
	buffer_load_dword v2, off, s[0:3], 0 offset:280
	buffer_load_dword v3, off, s[0:3], 0 offset:284
	v_mov_b32_e32 v4, 0
	buffer_store_dword v4, off, s[0:3], 0 offset:280
	buffer_store_dword v4, off, s[0:3], 0 offset:284
	s_waitcnt vmcnt(2)
	ds_write_b64 v89, v[2:3]
.LBB46_225:
	s_or_b64 exec, exec, s[4:5]
	s_waitcnt lgkmcnt(0)
	; wave barrier
	s_waitcnt lgkmcnt(0)
	buffer_load_dword v3, off, s[0:3], 0 offset:292
	buffer_load_dword v44, off, s[0:3], 0 offset:300
	;; [unrolled: 1-line block ×24, first 2 shown]
	v_mov_b32_e32 v2, 0
	ds_read_b128 v[4:7], v2 offset:672
	ds_read_b128 v[8:11], v2 offset:688
	;; [unrolled: 1-line block ×5, first 2 shown]
	ds_read_b64 v[42:43], v2 offset:752
	v_cmp_lt_u32_e32 vcc, 34, v0
	s_waitcnt vmcnt(23) lgkmcnt(5)
	v_mul_f32_e32 v57, v4, v3
	v_mul_f32_e32 v3, v5, v3
	s_waitcnt vmcnt(22)
	v_mul_f32_e32 v45, v6, v44
	s_waitcnt vmcnt(21) lgkmcnt(4)
	v_mul_f32_e32 v47, v8, v46
	v_mul_f32_e32 v44, v7, v44
	;; [unrolled: 1-line block ×3, first 2 shown]
	s_waitcnt vmcnt(20)
	v_mov_b32_e32 v48, v25
	s_waitcnt vmcnt(19)
	v_mov_b32_e32 v50, v27
	;; [unrolled: 2-line block ×5, first 2 shown]
	s_waitcnt vmcnt(12)
	v_fmac_f32_e32 v57, v5, v49
	v_fma_f32 v3, v4, v49, -v3
	v_mov_b32_e32 v58, v35
	s_waitcnt vmcnt(11)
	v_fmac_f32_e32 v45, v7, v51
	s_waitcnt vmcnt(10)
	v_fmac_f32_e32 v47, v9, v53
	v_fma_f32 v44, v6, v51, -v44
	v_fma_f32 v46, v8, v53, -v46
	v_pk_mul_f32 v[4:5], v[10:11], v[48:49] op_sel_hi:[1,0]
	s_waitcnt lgkmcnt(3)
	v_pk_mul_f32 v[6:7], v[12:13], v[50:51] op_sel_hi:[1,0]
	v_pk_mul_f32 v[8:9], v[14:15], v[52:53] op_sel_hi:[1,0]
	s_waitcnt lgkmcnt(2)
	v_pk_mul_f32 v[48:49], v[16:17], v[54:55] op_sel_hi:[1,0]
	v_pk_mul_f32 v[50:51], v[18:19], v[56:57] op_sel_hi:[1,0]
	v_add_f32_e32 v57, 0, v57
	v_add_f32_e32 v56, 0, v3
	s_waitcnt lgkmcnt(1)
	v_pk_mul_f32 v[52:53], v[20:21], v[58:59] op_sel_hi:[1,0]
	s_waitcnt vmcnt(9)
	v_pk_fma_f32 v[58:59], v[10:11], v[24:25], v[4:5] op_sel:[0,0,1] op_sel_hi:[1,1,0] neg_lo:[0,0,1] neg_hi:[0,0,1]
	v_pk_fma_f32 v[4:5], v[10:11], v[24:25], v[4:5] op_sel:[0,0,1] op_sel_hi:[1,0,0]
	s_waitcnt vmcnt(8)
	v_pk_fma_f32 v[10:11], v[12:13], v[26:27], v[6:7] op_sel:[0,0,1] op_sel_hi:[1,1,0] neg_lo:[0,0,1] neg_hi:[0,0,1]
	v_pk_fma_f32 v[6:7], v[12:13], v[26:27], v[6:7] op_sel:[0,0,1] op_sel_hi:[1,0,0]
	;; [unrolled: 3-line block ×4, first 2 shown]
	v_pk_add_f32 v[30:31], v[56:57], v[44:45]
	v_mov_b32_e32 v59, v5
	v_pk_add_f32 v[4:5], v[30:31], v[46:47]
	v_mov_b32_e32 v11, v7
	;; [unrolled: 2-line block ×4, first 2 shown]
	s_waitcnt vmcnt(2)
	v_pk_fma_f32 v[24:25], v[18:19], v[32:33], v[50:51] op_sel:[0,0,1] op_sel_hi:[1,1,0] neg_lo:[0,0,1] neg_hi:[0,0,1]
	v_pk_fma_f32 v[18:19], v[18:19], v[32:33], v[50:51] op_sel:[0,0,1] op_sel_hi:[1,0,0]
	v_mov_b32_e32 v15, v17
	v_pk_add_f32 v[4:5], v[4:5], v[12:13]
	v_mov_b32_e32 v62, v39
	v_pk_mul_f32 v[54:55], v[22:23], v[60:61] op_sel_hi:[1,0]
	v_pk_fma_f32 v[26:27], v[20:21], v[34:35], v[52:53] op_sel:[0,0,1] op_sel_hi:[1,1,0] neg_lo:[0,0,1] neg_hi:[0,0,1]
	v_pk_fma_f32 v[20:21], v[20:21], v[34:35], v[52:53] op_sel:[0,0,1] op_sel_hi:[1,0,0]
	v_mov_b32_e32 v25, v19
	v_pk_add_f32 v[4:5], v[4:5], v[14:15]
	v_pk_fma_f32 v[28:29], v[22:23], v[36:37], v[54:55] op_sel:[0,0,1] op_sel_hi:[1,1,0] neg_lo:[0,0,1] neg_hi:[0,0,1]
	v_pk_fma_f32 v[22:23], v[22:23], v[36:37], v[54:55] op_sel:[0,0,1] op_sel_hi:[1,0,0]
	v_mov_b32_e32 v27, v21
	v_pk_add_f32 v[4:5], v[4:5], v[24:25]
	s_waitcnt lgkmcnt(0)
	v_pk_mul_f32 v[6:7], v[42:43], v[62:63] op_sel_hi:[1,0]
	v_mov_b32_e32 v29, v23
	v_pk_add_f32 v[4:5], v[4:5], v[26:27]
	v_pk_fma_f32 v[8:9], v[42:43], v[38:39], v[6:7] op_sel:[0,0,1] op_sel_hi:[1,1,0] neg_lo:[0,0,1] neg_hi:[0,0,1]
	v_pk_fma_f32 v[6:7], v[42:43], v[38:39], v[6:7] op_sel:[0,0,1] op_sel_hi:[1,0,0]
	v_pk_add_f32 v[4:5], v[4:5], v[28:29]
	v_mov_b32_e32 v9, v7
	v_pk_add_f32 v[4:5], v[4:5], v[8:9]
	s_waitcnt vmcnt(0)
	v_pk_add_f32 v[4:5], v[40:41], v[4:5] neg_lo:[0,1] neg_hi:[0,1]
	buffer_store_dword v5, off, s[0:3], 0 offset:284
	buffer_store_dword v4, off, s[0:3], 0 offset:280
	s_and_saveexec_b64 s[4:5], vcc
	s_cbranch_execz .LBB46_227
; %bb.226:
	buffer_load_dword v4, off, s[0:3], 0 offset:272
	buffer_load_dword v5, off, s[0:3], 0 offset:276
	s_waitcnt vmcnt(0)
	ds_write_b64 v89, v[4:5]
	buffer_store_dword v2, off, s[0:3], 0 offset:272
	buffer_store_dword v2, off, s[0:3], 0 offset:276
.LBB46_227:
	s_or_b64 exec, exec, s[4:5]
	s_waitcnt lgkmcnt(0)
	; wave barrier
	s_waitcnt lgkmcnt(0)
	buffer_load_dword v46, off, s[0:3], 0 offset:284
	buffer_load_dword v48, off, s[0:3], 0 offset:292
	;; [unrolled: 1-line block ×26, first 2 shown]
	ds_read2_b64 v[4:7], v2 offset0:83 offset1:84
	ds_read2_b64 v[8:11], v2 offset0:85 offset1:86
	;; [unrolled: 1-line block ×6, first 2 shown]
	v_cmp_lt_u32_e32 vcc, 33, v0
	s_waitcnt vmcnt(25) lgkmcnt(5)
	v_mul_f32_e32 v59, v4, v46
	v_mul_f32_e32 v2, v5, v46
	s_waitcnt vmcnt(24)
	v_mul_f32_e32 v60, v6, v48
	s_waitcnt vmcnt(23) lgkmcnt(4)
	v_mul_f32_e32 v3, v8, v49
	s_waitcnt vmcnt(22)
	v_mul_f32_e32 v47, v10, v50
	v_mul_f32_e32 v46, v7, v48
	v_mul_f32_e32 v49, v9, v49
	v_mul_f32_e32 v61, v11, v50
	s_waitcnt vmcnt(21)
	v_mov_b32_e32 v48, v29
	s_waitcnt vmcnt(20)
	v_mov_b32_e32 v50, v31
	;; [unrolled: 2-line block ×3, first 2 shown]
	s_waitcnt vmcnt(15)
	v_fmac_f32_e32 v59, v5, v51
	v_fma_f32 v62, v4, v51, -v2
	v_mov_b32_e32 v52, v33
	s_waitcnt vmcnt(14)
	v_fmac_f32_e32 v60, v7, v53
	s_waitcnt vmcnt(13)
	v_fmac_f32_e32 v3, v9, v55
	;; [unrolled: 2-line block ×3, first 2 shown]
	v_fma_f32 v63, v6, v53, -v46
	v_fma_f32 v2, v8, v55, -v49
	;; [unrolled: 1-line block ×3, first 2 shown]
	s_waitcnt lgkmcnt(3)
	v_pk_mul_f32 v[4:5], v[12:13], v[48:49] op_sel_hi:[1,0]
	v_pk_mul_f32 v[6:7], v[14:15], v[50:51] op_sel_hi:[1,0]
	s_waitcnt lgkmcnt(2)
	v_pk_mul_f32 v[10:11], v[18:19], v[54:55] op_sel_hi:[1,0]
	v_add_f32_e32 v54, 0, v59
	v_add_f32_e32 v55, 0, v62
	v_pk_mul_f32 v[8:9], v[16:17], v[52:53] op_sel_hi:[1,0]
	s_waitcnt vmcnt(11)
	v_pk_fma_f32 v[52:53], v[12:13], v[28:29], v[4:5] op_sel:[0,0,1] op_sel_hi:[1,1,0] neg_lo:[0,0,1] neg_hi:[0,0,1]
	v_pk_fma_f32 v[4:5], v[12:13], v[28:29], v[4:5] op_sel:[0,0,1] op_sel_hi:[1,0,0]
	s_waitcnt vmcnt(10)
	v_pk_fma_f32 v[12:13], v[14:15], v[30:31], v[6:7] op_sel:[0,0,1] op_sel_hi:[1,1,0] neg_lo:[0,0,1] neg_hi:[0,0,1]
	v_pk_fma_f32 v[6:7], v[14:15], v[30:31], v[6:7] op_sel:[0,0,1] op_sel_hi:[1,0,0]
	v_add_f32_e32 v31, v54, v60
	v_add_f32_e32 v30, v55, v63
	v_pk_add_f32 v[2:3], v[30:31], v[2:3]
	v_mov_b32_e32 v53, v5
	v_pk_add_f32 v[2:3], v[2:3], v[46:47]
	v_mov_b32_e32 v56, v37
	s_waitcnt vmcnt(9)
	v_pk_fma_f32 v[14:15], v[16:17], v[32:33], v[8:9] op_sel:[0,0,1] op_sel_hi:[1,1,0] neg_lo:[0,0,1] neg_hi:[0,0,1]
	v_pk_fma_f32 v[8:9], v[16:17], v[32:33], v[8:9] op_sel:[0,0,1] op_sel_hi:[1,0,0]
	v_mov_b32_e32 v13, v7
	v_pk_add_f32 v[2:3], v[2:3], v[52:53]
	v_mov_b32_e32 v58, v39
	s_waitcnt lgkmcnt(1)
	v_pk_mul_f32 v[48:49], v[20:21], v[56:57] op_sel_hi:[1,0]
	s_waitcnt vmcnt(5)
	v_pk_fma_f32 v[16:17], v[18:19], v[34:35], v[10:11] op_sel:[0,0,1] op_sel_hi:[1,1,0] neg_lo:[0,0,1] neg_hi:[0,0,1]
	v_pk_fma_f32 v[10:11], v[18:19], v[34:35], v[10:11] op_sel:[0,0,1] op_sel_hi:[1,0,0]
	v_mov_b32_e32 v15, v9
	v_pk_add_f32 v[2:3], v[2:3], v[12:13]
	s_waitcnt vmcnt(4)
	v_mov_b32_e32 v4, v41
	v_pk_mul_f32 v[50:51], v[22:23], v[58:59] op_sel_hi:[1,0]
	v_pk_fma_f32 v[18:19], v[20:21], v[36:37], v[48:49] op_sel:[0,0,1] op_sel_hi:[1,1,0] neg_lo:[0,0,1] neg_hi:[0,0,1]
	v_pk_fma_f32 v[20:21], v[20:21], v[36:37], v[48:49] op_sel:[0,0,1] op_sel_hi:[1,0,0]
	v_mov_b32_e32 v17, v11
	v_pk_add_f32 v[2:3], v[2:3], v[14:15]
	s_waitcnt lgkmcnt(0)
	v_pk_mul_f32 v[4:5], v[24:25], v[4:5] op_sel_hi:[1,0]
	v_pk_fma_f32 v[28:29], v[22:23], v[38:39], v[50:51] op_sel:[0,0,1] op_sel_hi:[1,1,0] neg_lo:[0,0,1] neg_hi:[0,0,1]
	v_pk_fma_f32 v[22:23], v[22:23], v[38:39], v[50:51] op_sel:[0,0,1] op_sel_hi:[1,0,0]
	v_mov_b32_e32 v19, v21
	v_pk_add_f32 v[2:3], v[2:3], v[16:17]
	v_pk_fma_f32 v[6:7], v[24:25], v[40:41], v[4:5] op_sel:[0,0,1] op_sel_hi:[1,1,0] neg_lo:[0,0,1] neg_hi:[0,0,1]
	v_pk_fma_f32 v[4:5], v[24:25], v[40:41], v[4:5] op_sel:[0,0,1] op_sel_hi:[1,0,0]
	v_mov_b32_e32 v29, v23
	v_pk_add_f32 v[2:3], v[2:3], v[18:19]
	s_waitcnt vmcnt(3)
	v_mov_b32_e32 v4, v43
	v_pk_add_f32 v[2:3], v[2:3], v[28:29]
	v_mov_b32_e32 v7, v5
	v_pk_mul_f32 v[4:5], v[26:27], v[4:5] op_sel_hi:[1,0]
	v_pk_add_f32 v[2:3], v[2:3], v[6:7]
	s_waitcnt vmcnt(2)
	v_pk_fma_f32 v[6:7], v[26:27], v[42:43], v[4:5] op_sel:[0,0,1] op_sel_hi:[1,1,0] neg_lo:[0,0,1] neg_hi:[0,0,1]
	v_pk_fma_f32 v[4:5], v[26:27], v[42:43], v[4:5] op_sel:[0,0,1] op_sel_hi:[1,0,0]
	v_mov_b32_e32 v7, v5
	v_pk_add_f32 v[2:3], v[2:3], v[6:7]
	s_waitcnt vmcnt(0)
	v_pk_add_f32 v[2:3], v[44:45], v[2:3] neg_lo:[0,1] neg_hi:[0,1]
	buffer_store_dword v3, off, s[0:3], 0 offset:276
	buffer_store_dword v2, off, s[0:3], 0 offset:272
	s_and_saveexec_b64 s[4:5], vcc
	s_cbranch_execz .LBB46_229
; %bb.228:
	buffer_load_dword v2, off, s[0:3], 0 offset:264
	buffer_load_dword v3, off, s[0:3], 0 offset:268
	v_mov_b32_e32 v4, 0
	buffer_store_dword v4, off, s[0:3], 0 offset:264
	buffer_store_dword v4, off, s[0:3], 0 offset:268
	s_waitcnt vmcnt(2)
	ds_write_b64 v89, v[2:3]
.LBB46_229:
	s_or_b64 exec, exec, s[4:5]
	s_waitcnt lgkmcnt(0)
	; wave barrier
	s_waitcnt lgkmcnt(0)
	buffer_load_dword v3, off, s[0:3], 0 offset:276
	buffer_load_dword v48, off, s[0:3], 0 offset:284
	;; [unrolled: 1-line block ×28, first 2 shown]
	v_mov_b32_e32 v2, 0
	ds_read_b128 v[4:7], v2 offset:656
	ds_read_b128 v[8:11], v2 offset:672
	;; [unrolled: 1-line block ×6, first 2 shown]
	ds_read_b64 v[46:47], v2 offset:752
	v_cmp_lt_u32_e32 vcc, 32, v0
	s_waitcnt vmcnt(27) lgkmcnt(6)
	v_mul_f32_e32 v63, v4, v3
	v_mul_f32_e32 v3, v5, v3
	s_waitcnt vmcnt(26)
	v_mul_f32_e32 v64, v6, v48
	s_waitcnt vmcnt(24) lgkmcnt(5)
	v_mul_f32_e32 v49, v10, v52
	s_waitcnt vmcnt(23) lgkmcnt(4)
	v_mul_f32_e32 v51, v12, v53
	v_mul_f32_e32 v66, v11, v52
	;; [unrolled: 1-line block ×3, first 2 shown]
	s_waitcnt vmcnt(22)
	v_mov_b32_e32 v52, v29
	v_mul_f32_e32 v65, v8, v50
	v_mul_f32_e32 v48, v7, v48
	;; [unrolled: 1-line block ×3, first 2 shown]
	s_waitcnt vmcnt(17)
	v_fmac_f32_e32 v63, v5, v55
	v_fma_f32 v3, v4, v55, -v3
	v_pk_mul_f32 v[4:5], v[14:15], v[52:53] op_sel_hi:[1,0]
	s_waitcnt vmcnt(16)
	v_fmac_f32_e32 v64, v7, v57
	s_waitcnt vmcnt(13)
	v_fmac_f32_e32 v51, v13, v62
	v_fma_f32 v55, v6, v57, -v48
	v_fma_f32 v57, v8, v59, -v50
	;; [unrolled: 1-line block ×3, first 2 shown]
	v_add_f32_e32 v52, 0, v63
	v_add_f32_e32 v3, 0, v3
	s_waitcnt vmcnt(12)
	v_pk_fma_f32 v[12:13], v[14:15], v[28:29], v[4:5] op_sel:[0,0,1] op_sel_hi:[1,1,0] neg_lo:[0,0,1] neg_hi:[0,0,1]
	v_pk_fma_f32 v[4:5], v[14:15], v[28:29], v[4:5] op_sel:[0,0,1] op_sel_hi:[1,0,0]
	v_fmac_f32_e32 v65, v9, v59
	v_add_f32_e32 v4, v52, v64
	v_add_f32_e32 v3, v3, v55
	v_mov_b32_e32 v54, v31
	v_fmac_f32_e32 v49, v11, v61
	v_fma_f32 v48, v10, v61, -v66
	v_mov_b32_e32 v13, v5
	v_add_f32_e32 v5, v4, v65
	v_add_f32_e32 v4, v3, v57
	v_mov_b32_e32 v56, v33
	s_waitcnt lgkmcnt(3)
	v_pk_mul_f32 v[6:7], v[16:17], v[54:55] op_sel_hi:[1,0]
	v_pk_add_f32 v[4:5], v[4:5], v[48:49]
	v_mov_b32_e32 v58, v35
	v_mov_b32_e32 v60, v37
	v_pk_mul_f32 v[8:9], v[18:19], v[56:57] op_sel_hi:[1,0]
	s_waitcnt vmcnt(11)
	v_pk_fma_f32 v[14:15], v[16:17], v[30:31], v[6:7] op_sel:[0,0,1] op_sel_hi:[1,1,0] neg_lo:[0,0,1] neg_hi:[0,0,1]
	v_pk_fma_f32 v[6:7], v[16:17], v[30:31], v[6:7] op_sel:[0,0,1] op_sel_hi:[1,0,0]
	v_pk_add_f32 v[4:5], v[4:5], v[50:51]
	s_waitcnt lgkmcnt(2)
	v_pk_mul_f32 v[10:11], v[20:21], v[58:59] op_sel_hi:[1,0]
	s_waitcnt vmcnt(7)
	v_pk_fma_f32 v[16:17], v[18:19], v[32:33], v[8:9] op_sel:[0,0,1] op_sel_hi:[1,1,0] neg_lo:[0,0,1] neg_hi:[0,0,1]
	v_pk_fma_f32 v[8:9], v[18:19], v[32:33], v[8:9] op_sel:[0,0,1] op_sel_hi:[1,0,0]
	v_mov_b32_e32 v15, v7
	v_pk_add_f32 v[4:5], v[4:5], v[12:13]
	v_pk_mul_f32 v[6:7], v[22:23], v[60:61] op_sel_hi:[1,0]
	v_pk_fma_f32 v[18:19], v[20:21], v[34:35], v[10:11] op_sel:[0,0,1] op_sel_hi:[1,1,0] neg_lo:[0,0,1] neg_hi:[0,0,1]
	v_pk_fma_f32 v[10:11], v[20:21], v[34:35], v[10:11] op_sel:[0,0,1] op_sel_hi:[1,0,0]
	v_mov_b32_e32 v17, v9
	v_pk_add_f32 v[4:5], v[4:5], v[14:15]
	v_pk_fma_f32 v[8:9], v[22:23], v[36:37], v[6:7] op_sel:[0,0,1] op_sel_hi:[1,1,0] neg_lo:[0,0,1] neg_hi:[0,0,1]
	v_pk_fma_f32 v[6:7], v[22:23], v[36:37], v[6:7] op_sel:[0,0,1] op_sel_hi:[1,0,0]
	v_mov_b32_e32 v19, v11
	v_pk_add_f32 v[4:5], v[4:5], v[16:17]
	s_waitcnt vmcnt(6)
	v_mov_b32_e32 v6, v39
	v_pk_add_f32 v[4:5], v[4:5], v[18:19]
	v_mov_b32_e32 v9, v7
	s_waitcnt lgkmcnt(1)
	v_pk_mul_f32 v[6:7], v[24:25], v[6:7] op_sel_hi:[1,0]
	v_pk_add_f32 v[4:5], v[4:5], v[8:9]
	v_pk_fma_f32 v[8:9], v[24:25], v[38:39], v[6:7] op_sel:[0,0,1] op_sel_hi:[1,1,0] neg_lo:[0,0,1] neg_hi:[0,0,1]
	v_pk_fma_f32 v[6:7], v[24:25], v[38:39], v[6:7] op_sel:[0,0,1] op_sel_hi:[1,0,0]
	s_waitcnt vmcnt(5)
	v_mov_b32_e32 v6, v41
	v_mov_b32_e32 v9, v7
	v_pk_mul_f32 v[6:7], v[26:27], v[6:7] op_sel_hi:[1,0]
	v_pk_add_f32 v[4:5], v[4:5], v[8:9]
	s_waitcnt vmcnt(3)
	v_pk_fma_f32 v[8:9], v[26:27], v[40:41], v[6:7] op_sel:[0,0,1] op_sel_hi:[1,1,0] neg_lo:[0,0,1] neg_hi:[0,0,1]
	v_pk_fma_f32 v[6:7], v[26:27], v[40:41], v[6:7] op_sel:[0,0,1] op_sel_hi:[1,0,0]
	s_waitcnt vmcnt(2)
	v_mov_b32_e32 v6, v43
	v_mov_b32_e32 v9, v7
	s_waitcnt lgkmcnt(0)
	v_pk_mul_f32 v[6:7], v[46:47], v[6:7] op_sel_hi:[1,0]
	v_pk_add_f32 v[4:5], v[4:5], v[8:9]
	v_pk_fma_f32 v[8:9], v[46:47], v[42:43], v[6:7] op_sel:[0,0,1] op_sel_hi:[1,1,0] neg_lo:[0,0,1] neg_hi:[0,0,1]
	v_pk_fma_f32 v[6:7], v[46:47], v[42:43], v[6:7] op_sel:[0,0,1] op_sel_hi:[1,0,0]
	v_mov_b32_e32 v9, v7
	v_pk_add_f32 v[4:5], v[4:5], v[8:9]
	s_waitcnt vmcnt(0)
	v_pk_add_f32 v[4:5], v[44:45], v[4:5] neg_lo:[0,1] neg_hi:[0,1]
	buffer_store_dword v5, off, s[0:3], 0 offset:268
	buffer_store_dword v4, off, s[0:3], 0 offset:264
	s_and_saveexec_b64 s[4:5], vcc
	s_cbranch_execz .LBB46_231
; %bb.230:
	buffer_load_dword v4, off, s[0:3], 0 offset:256
	buffer_load_dword v5, off, s[0:3], 0 offset:260
	s_waitcnt vmcnt(0)
	ds_write_b64 v89, v[4:5]
	buffer_store_dword v2, off, s[0:3], 0 offset:256
	buffer_store_dword v2, off, s[0:3], 0 offset:260
.LBB46_231:
	s_or_b64 exec, exec, s[4:5]
	s_waitcnt lgkmcnt(0)
	; wave barrier
	s_waitcnt lgkmcnt(0)
	buffer_load_dword v50, off, s[0:3], 0 offset:268
	buffer_load_dword v52, off, s[0:3], 0 offset:276
	;; [unrolled: 1-line block ×30, first 2 shown]
	ds_read2_b64 v[4:7], v2 offset0:81 offset1:82
	ds_read2_b64 v[8:11], v2 offset0:83 offset1:84
	ds_read2_b64 v[12:15], v2 offset0:85 offset1:86
	ds_read2_b64 v[16:19], v2 offset0:87 offset1:88
	ds_read2_b64 v[20:23], v2 offset0:89 offset1:90
	ds_read2_b64 v[24:27], v2 offset0:91 offset1:92
	ds_read2_b64 v[28:31], v2 offset0:93 offset1:94
	v_cmp_lt_u32_e32 vcc, 31, v0
	s_waitcnt vmcnt(29) lgkmcnt(6)
	v_mul_f32_e32 v63, v4, v50
	s_waitcnt vmcnt(28)
	v_mul_f32_e32 v64, v6, v52
	s_waitcnt vmcnt(27) lgkmcnt(5)
	v_mul_f32_e32 v65, v8, v53
	v_mul_f32_e32 v53, v9, v53
	s_waitcnt vmcnt(26)
	v_mul_f32_e32 v66, v10, v54
	s_waitcnt vmcnt(25) lgkmcnt(4)
	v_mul_f32_e32 v3, v12, v55
	v_mul_f32_e32 v2, v5, v50
	;; [unrolled: 1-line block ×5, first 2 shown]
	s_waitcnt vmcnt(23)
	v_mov_b32_e32 v52, v33
	s_waitcnt vmcnt(22)
	v_mov_b32_e32 v54, v35
	s_waitcnt vmcnt(18)
	v_fma_f32 v53, v8, v59, -v53
	v_fmac_f32_e32 v63, v5, v57
	v_fmac_f32_e32 v64, v7, v58
	s_waitcnt vmcnt(17)
	v_fmac_f32_e32 v66, v11, v60
	v_fma_f32 v11, v4, v57, -v2
	v_fma_f32 v57, v6, v58, -v50
	s_waitcnt lgkmcnt(3)
	v_pk_mul_f32 v[4:5], v[16:17], v[52:53] op_sel_hi:[1,0]
	v_pk_mul_f32 v[6:7], v[18:19], v[54:55] op_sel_hi:[1,0]
	s_waitcnt vmcnt(16)
	v_fmac_f32_e32 v3, v13, v61
	v_fma_f32 v58, v10, v60, -v67
	v_fma_f32 v2, v12, v61, -v55
	v_add_f32_e32 v52, 0, v63
	v_add_f32_e32 v54, 0, v11
	s_waitcnt vmcnt(14)
	v_pk_fma_f32 v[10:11], v[16:17], v[32:33], v[4:5] op_sel:[0,0,1] op_sel_hi:[1,1,0] neg_lo:[0,0,1] neg_hi:[0,0,1]
	v_pk_fma_f32 v[4:5], v[16:17], v[32:33], v[4:5] op_sel:[0,0,1] op_sel_hi:[1,0,0]
	s_waitcnt vmcnt(10)
	v_pk_fma_f32 v[12:13], v[18:19], v[34:35], v[6:7] op_sel:[0,0,1] op_sel_hi:[1,1,0] neg_lo:[0,0,1] neg_hi:[0,0,1]
	v_pk_fma_f32 v[6:7], v[18:19], v[34:35], v[6:7] op_sel:[0,0,1] op_sel_hi:[1,0,0]
	v_fmac_f32_e32 v65, v9, v59
	v_add_f32_e32 v4, v52, v64
	v_add_f32_e32 v6, v54, v57
	;; [unrolled: 1-line block ×4, first 2 shown]
	v_mul_f32_e32 v51, v14, v56
	v_mul_f32_e32 v68, v15, v56
	v_mov_b32_e32 v11, v5
	v_add_f32_e32 v5, v4, v66
	v_add_f32_e32 v4, v6, v58
	v_mov_b32_e32 v56, v37
	v_fmac_f32_e32 v51, v15, v62
	v_fma_f32 v50, v14, v62, -v68
	v_pk_add_f32 v[2:3], v[4:5], v[2:3]
	s_waitcnt vmcnt(9)
	v_mov_b32_e32 v4, v41
	s_waitcnt lgkmcnt(2)
	v_pk_mul_f32 v[8:9], v[20:21], v[56:57] op_sel_hi:[1,0]
	v_pk_add_f32 v[2:3], v[2:3], v[50:51]
	v_pk_mul_f32 v[4:5], v[22:23], v[4:5] op_sel_hi:[1,0]
	v_pk_fma_f32 v[14:15], v[20:21], v[36:37], v[8:9] op_sel:[0,0,1] op_sel_hi:[1,1,0] neg_lo:[0,0,1] neg_hi:[0,0,1]
	v_pk_fma_f32 v[8:9], v[20:21], v[36:37], v[8:9] op_sel:[0,0,1] op_sel_hi:[1,0,0]
	v_mov_b32_e32 v13, v7
	v_pk_add_f32 v[2:3], v[2:3], v[10:11]
	v_pk_fma_f32 v[6:7], v[22:23], v[40:41], v[4:5] op_sel:[0,0,1] op_sel_hi:[1,1,0] neg_lo:[0,0,1] neg_hi:[0,0,1]
	v_pk_fma_f32 v[4:5], v[22:23], v[40:41], v[4:5] op_sel:[0,0,1] op_sel_hi:[1,0,0]
	v_mov_b32_e32 v15, v9
	v_pk_add_f32 v[2:3], v[2:3], v[12:13]
	s_waitcnt vmcnt(8)
	v_mov_b32_e32 v4, v39
	v_pk_add_f32 v[2:3], v[2:3], v[14:15]
	v_mov_b32_e32 v7, v5
	s_waitcnt lgkmcnt(1)
	v_pk_mul_f32 v[4:5], v[24:25], v[4:5] op_sel_hi:[1,0]
	v_pk_add_f32 v[2:3], v[2:3], v[6:7]
	v_pk_fma_f32 v[6:7], v[24:25], v[38:39], v[4:5] op_sel:[0,0,1] op_sel_hi:[1,1,0] neg_lo:[0,0,1] neg_hi:[0,0,1]
	v_pk_fma_f32 v[4:5], v[24:25], v[38:39], v[4:5] op_sel:[0,0,1] op_sel_hi:[1,0,0]
	s_waitcnt vmcnt(7)
	v_mov_b32_e32 v4, v43
	v_mov_b32_e32 v7, v5
	v_pk_mul_f32 v[4:5], v[26:27], v[4:5] op_sel_hi:[1,0]
	v_pk_add_f32 v[2:3], v[2:3], v[6:7]
	s_waitcnt vmcnt(4)
	v_pk_fma_f32 v[6:7], v[26:27], v[42:43], v[4:5] op_sel:[0,0,1] op_sel_hi:[1,1,0] neg_lo:[0,0,1] neg_hi:[0,0,1]
	v_pk_fma_f32 v[4:5], v[26:27], v[42:43], v[4:5] op_sel:[0,0,1] op_sel_hi:[1,0,0]
	s_waitcnt vmcnt(3)
	v_mov_b32_e32 v4, v47
	v_mov_b32_e32 v7, v5
	s_waitcnt lgkmcnt(0)
	v_pk_mul_f32 v[4:5], v[28:29], v[4:5] op_sel_hi:[1,0]
	v_pk_add_f32 v[2:3], v[2:3], v[6:7]
	v_pk_fma_f32 v[6:7], v[28:29], v[46:47], v[4:5] op_sel:[0,0,1] op_sel_hi:[1,1,0] neg_lo:[0,0,1] neg_hi:[0,0,1]
	v_pk_fma_f32 v[4:5], v[28:29], v[46:47], v[4:5] op_sel:[0,0,1] op_sel_hi:[1,0,0]
	s_waitcnt vmcnt(0)
	v_mov_b32_e32 v4, v45
	v_mov_b32_e32 v7, v5
	v_pk_mul_f32 v[4:5], v[30:31], v[4:5] op_sel_hi:[1,0]
	v_pk_add_f32 v[2:3], v[2:3], v[6:7]
	v_pk_fma_f32 v[6:7], v[30:31], v[44:45], v[4:5] op_sel:[0,0,1] op_sel_hi:[1,1,0] neg_lo:[0,0,1] neg_hi:[0,0,1]
	v_pk_fma_f32 v[4:5], v[30:31], v[44:45], v[4:5] op_sel:[0,0,1] op_sel_hi:[1,0,0]
	v_mov_b32_e32 v7, v5
	v_pk_add_f32 v[2:3], v[2:3], v[6:7]
	v_pk_add_f32 v[2:3], v[48:49], v[2:3] neg_lo:[0,1] neg_hi:[0,1]
	buffer_store_dword v3, off, s[0:3], 0 offset:260
	buffer_store_dword v2, off, s[0:3], 0 offset:256
	s_and_saveexec_b64 s[4:5], vcc
	s_cbranch_execz .LBB46_233
; %bb.232:
	buffer_load_dword v2, off, s[0:3], 0 offset:248
	buffer_load_dword v3, off, s[0:3], 0 offset:252
	v_mov_b32_e32 v4, 0
	buffer_store_dword v4, off, s[0:3], 0 offset:248
	buffer_store_dword v4, off, s[0:3], 0 offset:252
	s_waitcnt vmcnt(2)
	ds_write_b64 v89, v[2:3]
.LBB46_233:
	s_or_b64 exec, exec, s[4:5]
	s_waitcnt lgkmcnt(0)
	; wave barrier
	s_waitcnt lgkmcnt(0)
	buffer_load_dword v5, off, s[0:3], 0 offset:260
	buffer_load_dword v52, off, s[0:3], 0 offset:268
	;; [unrolled: 1-line block ×32, first 2 shown]
	v_mov_b32_e32 v4, 0
	ds_read_b128 v[6:9], v4 offset:640
	ds_read_b128 v[10:13], v4 offset:656
	;; [unrolled: 1-line block ×7, first 2 shown]
	ds_read_b64 v[50:51], v4 offset:752
	v_cmp_lt_u32_e32 vcc, 30, v0
	s_waitcnt vmcnt(31) lgkmcnt(7)
	v_mul_f32_e32 v67, v6, v5
	v_mul_f32_e32 v5, v7, v5
	s_waitcnt vmcnt(30)
	v_mul_f32_e32 v68, v8, v52
	s_waitcnt vmcnt(28) lgkmcnt(6)
	v_mul_f32_e32 v70, v12, v56
	s_waitcnt vmcnt(27) lgkmcnt(5)
	v_mul_f32_e32 v71, v14, v57
	v_mul_f32_e32 v72, v13, v56
	;; [unrolled: 1-line block ×3, first 2 shown]
	s_waitcnt vmcnt(24)
	v_mov_b32_e32 v56, v3
	v_mul_f32_e32 v69, v10, v54
	v_mul_f32_e32 v52, v9, v52
	s_waitcnt vmcnt(22)
	v_fmac_f32_e32 v67, v7, v60
	v_fma_f32 v5, v6, v60, -v5
	s_waitcnt lgkmcnt(4)
	v_pk_mul_f32 v[6:7], v[20:21], v[56:57] op_sel_hi:[1,0]
	v_mul_f32_e32 v54, v11, v54
	s_waitcnt vmcnt(21)
	v_fmac_f32_e32 v68, v9, v61
	s_waitcnt vmcnt(20)
	v_fmac_f32_e32 v69, v11, v62
	;; [unrolled: 2-line block ×3, first 2 shown]
	v_fma_f32 v11, v8, v61, -v52
	s_waitcnt vmcnt(18)
	v_fma_f32 v13, v14, v64, -v57
	v_add_f32_e32 v14, 0, v67
	v_add_f32_e32 v5, 0, v5
	s_waitcnt vmcnt(12)
	v_pk_fma_f32 v[8:9], v[20:21], v[2:3], v[6:7] op_sel:[0,0,1] op_sel_hi:[1,1,0] neg_lo:[0,0,1] neg_hi:[0,0,1]
	v_pk_fma_f32 v[2:3], v[20:21], v[2:3], v[6:7] op_sel:[0,0,1] op_sel_hi:[1,0,0]
	v_fma_f32 v10, v10, v62, -v54
	v_add_f32_e32 v2, v14, v68
	v_add_f32_e32 v5, v5, v11
	v_fma_f32 v12, v12, v63, -v72
	v_mov_b32_e32 v9, v3
	v_add_f32_e32 v2, v2, v69
	v_add_f32_e32 v3, v5, v10
	v_mul_f32_e32 v53, v16, v58
	v_mul_f32_e32 v73, v17, v58
	v_fmac_f32_e32 v71, v15, v64
	v_add_f32_e32 v2, v2, v70
	v_add_f32_e32 v5, v3, v12
	v_mul_f32_e32 v55, v18, v59
	v_mul_f32_e32 v59, v19, v59
	v_fmac_f32_e32 v53, v17, v65
	v_fma_f32 v52, v16, v65, -v73
	v_add_f32_e32 v3, v2, v71
	v_add_f32_e32 v2, v5, v13
	v_mov_b32_e32 v58, v35
	v_fmac_f32_e32 v55, v19, v66
	v_fma_f32 v54, v18, v66, -v59
	v_pk_add_f32 v[2:3], v[2:3], v[52:53]
	v_pk_add_f32 v[2:3], v[2:3], v[54:55]
	s_waitcnt lgkmcnt(3)
	v_pk_mul_f32 v[6:7], v[22:23], v[58:59] op_sel_hi:[1,0]
	v_pk_add_f32 v[2:3], v[2:3], v[8:9]
	v_pk_fma_f32 v[8:9], v[22:23], v[34:35], v[6:7] op_sel:[0,0,1] op_sel_hi:[1,1,0] neg_lo:[0,0,1] neg_hi:[0,0,1]
	v_pk_fma_f32 v[6:7], v[22:23], v[34:35], v[6:7] op_sel:[0,0,1] op_sel_hi:[1,0,0]
	s_waitcnt vmcnt(11)
	v_mov_b32_e32 v6, v39
	v_mov_b32_e32 v9, v7
	v_pk_mul_f32 v[6:7], v[24:25], v[6:7] op_sel_hi:[1,0]
	v_pk_add_f32 v[2:3], v[2:3], v[8:9]
	v_pk_fma_f32 v[8:9], v[24:25], v[38:39], v[6:7] op_sel:[0,0,1] op_sel_hi:[1,1,0] neg_lo:[0,0,1] neg_hi:[0,0,1]
	v_pk_fma_f32 v[6:7], v[24:25], v[38:39], v[6:7] op_sel:[0,0,1] op_sel_hi:[1,0,0]
	s_waitcnt vmcnt(10)
	v_mov_b32_e32 v6, v37
	v_mov_b32_e32 v9, v7
	s_waitcnt lgkmcnt(2)
	v_pk_mul_f32 v[6:7], v[26:27], v[6:7] op_sel_hi:[1,0]
	v_pk_add_f32 v[2:3], v[2:3], v[8:9]
	v_pk_fma_f32 v[8:9], v[26:27], v[36:37], v[6:7] op_sel:[0,0,1] op_sel_hi:[1,1,0] neg_lo:[0,0,1] neg_hi:[0,0,1]
	v_pk_fma_f32 v[6:7], v[26:27], v[36:37], v[6:7] op_sel:[0,0,1] op_sel_hi:[1,0,0]
	s_waitcnt vmcnt(9)
	v_mov_b32_e32 v6, v41
	v_mov_b32_e32 v9, v7
	v_pk_mul_f32 v[6:7], v[28:29], v[6:7] op_sel_hi:[1,0]
	v_pk_add_f32 v[2:3], v[2:3], v[8:9]
	s_waitcnt vmcnt(4)
	v_pk_fma_f32 v[8:9], v[28:29], v[40:41], v[6:7] op_sel:[0,0,1] op_sel_hi:[1,1,0] neg_lo:[0,0,1] neg_hi:[0,0,1]
	v_pk_fma_f32 v[6:7], v[28:29], v[40:41], v[6:7] op_sel:[0,0,1] op_sel_hi:[1,0,0]
	v_mov_b32_e32 v6, v47
	v_mov_b32_e32 v9, v7
	s_waitcnt lgkmcnt(1)
	v_pk_mul_f32 v[6:7], v[30:31], v[6:7] op_sel_hi:[1,0]
	v_pk_add_f32 v[2:3], v[2:3], v[8:9]
	v_pk_fma_f32 v[8:9], v[30:31], v[46:47], v[6:7] op_sel:[0,0,1] op_sel_hi:[1,1,0] neg_lo:[0,0,1] neg_hi:[0,0,1]
	v_pk_fma_f32 v[6:7], v[30:31], v[46:47], v[6:7] op_sel:[0,0,1] op_sel_hi:[1,0,0]
	s_waitcnt vmcnt(3)
	v_mov_b32_e32 v6, v45
	v_mov_b32_e32 v9, v7
	v_pk_mul_f32 v[6:7], v[32:33], v[6:7] op_sel_hi:[1,0]
	v_pk_add_f32 v[2:3], v[2:3], v[8:9]
	v_pk_fma_f32 v[8:9], v[32:33], v[44:45], v[6:7] op_sel:[0,0,1] op_sel_hi:[1,1,0] neg_lo:[0,0,1] neg_hi:[0,0,1]
	v_pk_fma_f32 v[6:7], v[32:33], v[44:45], v[6:7] op_sel:[0,0,1] op_sel_hi:[1,0,0]
	s_waitcnt vmcnt(0)
	v_mov_b32_e32 v6, v43
	v_mov_b32_e32 v9, v7
	s_waitcnt lgkmcnt(0)
	v_pk_mul_f32 v[6:7], v[50:51], v[6:7] op_sel_hi:[1,0]
	v_pk_add_f32 v[2:3], v[2:3], v[8:9]
	v_pk_fma_f32 v[8:9], v[50:51], v[42:43], v[6:7] op_sel:[0,0,1] op_sel_hi:[1,1,0] neg_lo:[0,0,1] neg_hi:[0,0,1]
	v_pk_fma_f32 v[6:7], v[50:51], v[42:43], v[6:7] op_sel:[0,0,1] op_sel_hi:[1,0,0]
	v_mov_b32_e32 v9, v7
	v_pk_add_f32 v[2:3], v[2:3], v[8:9]
	v_pk_add_f32 v[2:3], v[48:49], v[2:3] neg_lo:[0,1] neg_hi:[0,1]
	buffer_store_dword v3, off, s[0:3], 0 offset:252
	buffer_store_dword v2, off, s[0:3], 0 offset:248
	s_and_saveexec_b64 s[4:5], vcc
	s_cbranch_execz .LBB46_235
; %bb.234:
	buffer_load_dword v2, off, s[0:3], 0 offset:240
	buffer_load_dword v3, off, s[0:3], 0 offset:244
	s_waitcnt vmcnt(0)
	ds_write_b64 v89, v[2:3]
	buffer_store_dword v4, off, s[0:3], 0 offset:240
	buffer_store_dword v4, off, s[0:3], 0 offset:244
.LBB46_235:
	s_or_b64 exec, exec, s[4:5]
	s_waitcnt lgkmcnt(0)
	; wave barrier
	s_waitcnt lgkmcnt(0)
	ds_read2_b64 v[6:9], v4 offset0:79 offset1:80
	buffer_load_dword v2, off, s[0:3], 0 offset:240
	buffer_load_dword v3, off, s[0:3], 0 offset:244
	;; [unrolled: 1-line block ×16, first 2 shown]
	v_cmp_lt_u32_e32 vcc, 29, v0
	s_waitcnt vmcnt(12) lgkmcnt(0)
	v_mul_f32_e32 v10, v6, v26
	v_fmac_f32_e32 v10, v7, v5
	s_waitcnt vmcnt(10)
	v_mul_f32_e32 v11, v8, v30
	v_add_f32_e32 v10, 0, v10
	v_fmac_f32_e32 v11, v9, v28
	v_add_f32_e32 v14, v10, v11
	ds_read2_b64 v[10:13], v4 offset0:81 offset1:82
	v_mul_f32_e32 v7, v7, v26
	v_fma_f32 v5, v6, v5, -v7
	v_mul_f32_e32 v6, v9, v30
	v_add_f32_e32 v5, 0, v5
	s_waitcnt vmcnt(8) lgkmcnt(0)
	v_mul_f32_e32 v15, v10, v49
	v_fmac_f32_e32 v15, v11, v48
	v_add_f32_e32 v14, v14, v15
	s_waitcnt vmcnt(6)
	v_mul_f32_e32 v15, v12, v51
	v_fmac_f32_e32 v15, v13, v50
	v_add_f32_e32 v18, v14, v15
	ds_read2_b64 v[14:17], v4 offset0:83 offset1:84
	v_fma_f32 v6, v8, v28, -v6
	v_add_f32_e32 v5, v5, v6
	v_mul_f32_e32 v6, v11, v49
	v_fma_f32 v6, v10, v48, -v6
	s_waitcnt vmcnt(4) lgkmcnt(0)
	v_mul_f32_e32 v19, v14, v53
	v_fmac_f32_e32 v19, v15, v52
	v_add_f32_e32 v18, v18, v19
	s_waitcnt vmcnt(2)
	v_mul_f32_e32 v19, v16, v55
	v_fmac_f32_e32 v19, v17, v54
	v_add_f32_e32 v27, v18, v19
	ds_read2_b64 v[18:21], v4 offset0:85 offset1:86
	buffer_load_dword v58, off, s[0:3], 0 offset:304
	buffer_load_dword v59, off, s[0:3], 0 offset:308
	;; [unrolled: 1-line block ×4, first 2 shown]
	ds_read2_b64 v[22:25], v4 offset0:87 offset1:88
	buffer_load_dword v35, off, s[0:3], 0 offset:324
	buffer_load_dword v34, off, s[0:3], 0 offset:320
	;; [unrolled: 1-line block ×14, first 2 shown]
	v_add_f32_e32 v5, v5, v6
	v_mul_f32_e32 v6, v13, v51
	v_fma_f32 v6, v12, v50, -v6
	v_add_f32_e32 v5, v5, v6
	v_mul_f32_e32 v6, v15, v53
	v_fma_f32 v6, v14, v52, -v6
	;; [unrolled: 3-line block ×3, first 2 shown]
	v_add_f32_e32 v26, v5, v6
	s_waitcnt vmcnt(18) lgkmcnt(1)
	v_mul_f32_e32 v5, v19, v57
	v_mul_f32_e32 v29, v18, v57
	v_fma_f32 v28, v18, v56, -v5
	v_fmac_f32_e32 v29, v19, v56
	ds_read2_b64 v[6:9], v4 offset0:89 offset1:90
	ds_read2_b64 v[10:13], v4 offset0:91 offset1:92
	;; [unrolled: 1-line block ×3, first 2 shown]
	s_waitcnt vmcnt(15)
	v_mov_b32_e32 v18, v33
	v_mul_f32_e32 v31, v20, v59
	v_mul_f32_e32 v5, v21, v59
	s_waitcnt lgkmcnt(3)
	v_pk_mul_f32 v[18:19], v[22:23], v[18:19] op_sel_hi:[1,0]
	v_fmac_f32_e32 v31, v21, v58
	v_fma_f32 v30, v20, v58, -v5
	s_waitcnt vmcnt(14)
	v_pk_fma_f32 v[20:21], v[22:23], v[32:33], v[18:19] op_sel:[0,0,1] op_sel_hi:[1,1,0] neg_lo:[0,0,1] neg_hi:[0,0,1]
	v_pk_fma_f32 v[18:19], v[22:23], v[32:33], v[18:19] op_sel:[0,0,1] op_sel_hi:[1,0,0]
	v_pk_add_f32 v[4:5], v[26:27], v[28:29]
	s_waitcnt vmcnt(13)
	v_mov_b32_e32 v18, v35
	v_pk_add_f32 v[4:5], v[4:5], v[30:31]
	v_mov_b32_e32 v21, v19
	v_pk_mul_f32 v[18:19], v[24:25], v[18:19] op_sel_hi:[1,0]
	v_pk_add_f32 v[4:5], v[4:5], v[20:21]
	s_waitcnt vmcnt(12)
	v_pk_fma_f32 v[20:21], v[24:25], v[34:35], v[18:19] op_sel:[0,0,1] op_sel_hi:[1,1,0] neg_lo:[0,0,1] neg_hi:[0,0,1]
	v_pk_fma_f32 v[18:19], v[24:25], v[34:35], v[18:19] op_sel:[0,0,1] op_sel_hi:[1,0,0]
	s_waitcnt vmcnt(11)
	v_mov_b32_e32 v18, v37
	v_mov_b32_e32 v21, v19
	s_waitcnt lgkmcnt(2)
	v_pk_mul_f32 v[18:19], v[6:7], v[18:19] op_sel_hi:[1,0]
	v_pk_add_f32 v[4:5], v[4:5], v[20:21]
	s_waitcnt vmcnt(10)
	v_pk_fma_f32 v[20:21], v[6:7], v[36:37], v[18:19] op_sel:[0,0,1] op_sel_hi:[1,1,0] neg_lo:[0,0,1] neg_hi:[0,0,1]
	v_pk_fma_f32 v[6:7], v[6:7], v[36:37], v[18:19] op_sel:[0,0,1] op_sel_hi:[1,0,0]
	s_waitcnt vmcnt(9)
	v_mov_b32_e32 v6, v39
	v_mov_b32_e32 v21, v7
	v_pk_mul_f32 v[6:7], v[8:9], v[6:7] op_sel_hi:[1,0]
	s_waitcnt vmcnt(8)
	v_pk_fma_f32 v[18:19], v[8:9], v[38:39], v[6:7] op_sel:[0,0,1] op_sel_hi:[1,1,0] neg_lo:[0,0,1] neg_hi:[0,0,1]
	v_pk_fma_f32 v[6:7], v[8:9], v[38:39], v[6:7] op_sel:[0,0,1] op_sel_hi:[1,0,0]
	s_waitcnt vmcnt(7)
	v_mov_b32_e32 v6, v41
	v_mov_b32_e32 v19, v7
	s_waitcnt lgkmcnt(1)
	v_pk_mul_f32 v[6:7], v[10:11], v[6:7] op_sel_hi:[1,0]
	s_waitcnt vmcnt(6)
	v_pk_fma_f32 v[8:9], v[10:11], v[40:41], v[6:7] op_sel:[0,0,1] op_sel_hi:[1,1,0] neg_lo:[0,0,1] neg_hi:[0,0,1]
	v_pk_fma_f32 v[6:7], v[10:11], v[40:41], v[6:7] op_sel:[0,0,1] op_sel_hi:[1,0,0]
	v_pk_add_f32 v[4:5], v[4:5], v[20:21]
	s_waitcnt vmcnt(5)
	v_mov_b32_e32 v6, v43
	v_pk_add_f32 v[4:5], v[4:5], v[18:19]
	v_mov_b32_e32 v9, v7
	v_pk_mul_f32 v[6:7], v[12:13], v[6:7] op_sel_hi:[1,0]
	v_pk_add_f32 v[4:5], v[4:5], v[8:9]
	s_waitcnt vmcnt(4)
	v_pk_fma_f32 v[8:9], v[12:13], v[42:43], v[6:7] op_sel:[0,0,1] op_sel_hi:[1,1,0] neg_lo:[0,0,1] neg_hi:[0,0,1]
	v_pk_fma_f32 v[6:7], v[12:13], v[42:43], v[6:7] op_sel:[0,0,1] op_sel_hi:[1,0,0]
	s_waitcnt vmcnt(3)
	v_mov_b32_e32 v6, v45
	v_mov_b32_e32 v9, v7
	s_waitcnt lgkmcnt(0)
	v_pk_mul_f32 v[6:7], v[14:15], v[6:7] op_sel_hi:[1,0]
	v_pk_add_f32 v[4:5], v[4:5], v[8:9]
	s_waitcnt vmcnt(2)
	v_pk_fma_f32 v[8:9], v[14:15], v[44:45], v[6:7] op_sel:[0,0,1] op_sel_hi:[1,1,0] neg_lo:[0,0,1] neg_hi:[0,0,1]
	v_pk_fma_f32 v[6:7], v[14:15], v[44:45], v[6:7] op_sel:[0,0,1] op_sel_hi:[1,0,0]
	s_waitcnt vmcnt(1)
	v_mov_b32_e32 v6, v47
	v_mov_b32_e32 v9, v7
	v_pk_mul_f32 v[6:7], v[16:17], v[6:7] op_sel_hi:[1,0]
	v_pk_add_f32 v[4:5], v[4:5], v[8:9]
	s_waitcnt vmcnt(0)
	v_pk_fma_f32 v[8:9], v[16:17], v[46:47], v[6:7] op_sel:[0,0,1] op_sel_hi:[1,1,0] neg_lo:[0,0,1] neg_hi:[0,0,1]
	v_pk_fma_f32 v[6:7], v[16:17], v[46:47], v[6:7] op_sel:[0,0,1] op_sel_hi:[1,0,0]
	v_mov_b32_e32 v9, v7
	v_pk_add_f32 v[4:5], v[4:5], v[8:9]
	v_pk_add_f32 v[2:3], v[2:3], v[4:5] neg_lo:[0,1] neg_hi:[0,1]
	buffer_store_dword v3, off, s[0:3], 0 offset:244
	buffer_store_dword v2, off, s[0:3], 0 offset:240
	s_and_saveexec_b64 s[4:5], vcc
	s_cbranch_execz .LBB46_237
; %bb.236:
	buffer_load_dword v2, off, s[0:3], 0 offset:232
	buffer_load_dword v3, off, s[0:3], 0 offset:236
	v_mov_b32_e32 v4, 0
	buffer_store_dword v4, off, s[0:3], 0 offset:232
	buffer_store_dword v4, off, s[0:3], 0 offset:236
	s_waitcnt vmcnt(2)
	ds_write_b64 v89, v[2:3]
.LBB46_237:
	s_or_b64 exec, exec, s[4:5]
	s_waitcnt lgkmcnt(0)
	; wave barrier
	s_waitcnt lgkmcnt(0)
	buffer_load_dword v5, off, s[0:3], 0 offset:244
	buffer_load_dword v46, off, s[0:3], 0 offset:252
	;; [unrolled: 1-line block ×36, first 2 shown]
	v_mov_b32_e32 v4, 0
	ds_read_b128 v[6:9], v4 offset:624
	ds_read_b128 v[10:13], v4 offset:640
	;; [unrolled: 1-line block ×6, first 2 shown]
	v_cmp_lt_u32_e32 vcc, 28, v0
	s_waitcnt vmcnt(35) lgkmcnt(5)
	v_mul_f32_e32 v65, v6, v5
	s_waitcnt vmcnt(34)
	v_mul_f32_e32 v66, v8, v46
	s_waitcnt vmcnt(33) lgkmcnt(4)
	v_mul_f32_e32 v67, v10, v48
	v_mul_f32_e32 v5, v7, v5
	v_mul_f32_e32 v46, v9, v46
	v_mul_f32_e32 v48, v11, v48
	s_waitcnt vmcnt(32)
	v_mul_f32_e32 v68, v12, v50
	s_waitcnt vmcnt(31) lgkmcnt(3)
	v_mul_f32_e32 v69, v14, v51
	v_mul_f32_e32 v50, v13, v50
	s_waitcnt vmcnt(26)
	v_fmac_f32_e32 v65, v7, v56
	s_waitcnt vmcnt(25)
	v_fmac_f32_e32 v66, v9, v57
	;; [unrolled: 2-line block ×3, first 2 shown]
	v_fma_f32 v5, v6, v56, -v5
	v_add_f32_e32 v11, 0, v65
	v_fma_f32 v6, v8, v57, -v46
	v_add_f32_e32 v5, 0, v5
	v_add_f32_e32 v11, v11, v66
	s_waitcnt vmcnt(23)
	v_fmac_f32_e32 v68, v13, v59
	v_fma_f32 v7, v10, v58, -v48
	v_add_f32_e32 v5, v5, v6
	v_add_f32_e32 v6, v11, v67
	v_mul_f32_e32 v70, v16, v52
	v_mul_f32_e32 v51, v15, v51
	s_waitcnt vmcnt(22)
	v_fmac_f32_e32 v69, v15, v60
	v_fma_f32 v8, v12, v59, -v50
	v_add_f32_e32 v5, v5, v7
	v_add_f32_e32 v6, v6, v68
	s_waitcnt lgkmcnt(2)
	v_mul_f32_e32 v71, v18, v53
	v_mul_f32_e32 v52, v17, v52
	s_waitcnt vmcnt(21)
	v_fmac_f32_e32 v70, v17, v61
	v_fma_f32 v9, v14, v60, -v51
	v_add_f32_e32 v5, v5, v8
	v_add_f32_e32 v6, v6, v69
	v_mul_f32_e32 v53, v19, v53
	s_waitcnt vmcnt(20)
	v_fmac_f32_e32 v71, v19, v62
	v_fma_f32 v10, v16, v61, -v52
	v_add_f32_e32 v5, v5, v9
	v_add_f32_e32 v6, v6, v70
	;; [unrolled: 1-line block ×4, first 2 shown]
	v_fma_f32 v6, v18, v62, -v53
	v_mul_f32_e32 v47, v20, v54
	v_add_f32_e32 v14, v5, v6
	v_mul_f32_e32 v5, v21, v54
	s_waitcnt vmcnt(17)
	v_mov_b32_e32 v18, v3
	s_waitcnt lgkmcnt(1)
	v_mul_f32_e32 v49, v22, v55
	v_fmac_f32_e32 v47, v21, v63
	v_fma_f32 v46, v20, v63, -v5
	v_mul_f32_e32 v5, v23, v55
	v_pk_mul_f32 v[18:19], v[24:25], v[18:19] op_sel_hi:[1,0]
	v_fmac_f32_e32 v49, v23, v64
	v_fma_f32 v48, v22, v64, -v5
	v_pk_add_f32 v[14:15], v[14:15], v[46:47]
	s_waitcnt vmcnt(15)
	v_pk_fma_f32 v[20:21], v[24:25], v[2:3], v[18:19] op_sel:[0,0,1] op_sel_hi:[1,1,0] neg_lo:[0,0,1] neg_hi:[0,0,1]
	v_pk_fma_f32 v[2:3], v[24:25], v[2:3], v[18:19] op_sel:[0,0,1] op_sel_hi:[1,0,0]
	v_pk_add_f32 v[14:15], v[14:15], v[48:49]
	v_mov_b32_e32 v21, v3
	v_pk_add_f32 v[2:3], v[14:15], v[20:21]
	s_waitcnt vmcnt(12)
	v_mov_b32_e32 v14, v31
	s_waitcnt lgkmcnt(0)
	v_pk_mul_f32 v[14:15], v[26:27], v[14:15] op_sel_hi:[1,0]
	v_pk_fma_f32 v[18:19], v[26:27], v[30:31], v[14:15] op_sel:[0,0,1] op_sel_hi:[1,1,0] neg_lo:[0,0,1] neg_hi:[0,0,1]
	v_pk_fma_f32 v[14:15], v[26:27], v[30:31], v[14:15] op_sel:[0,0,1] op_sel_hi:[1,0,0]
	s_waitcnt vmcnt(11)
	v_mov_b32_e32 v14, v35
	ds_read_b128 v[6:9], v4 offset:720
	ds_read_b128 v[10:13], v4 offset:736
	ds_read_b64 v[16:17], v4 offset:752
	v_mov_b32_e32 v19, v15
	v_pk_mul_f32 v[14:15], v[28:29], v[14:15] op_sel_hi:[1,0]
	v_pk_add_f32 v[2:3], v[2:3], v[18:19]
	s_waitcnt vmcnt(4)
	v_pk_fma_f32 v[18:19], v[28:29], v[34:35], v[14:15] op_sel:[0,0,1] op_sel_hi:[1,1,0] neg_lo:[0,0,1] neg_hi:[0,0,1]
	v_pk_fma_f32 v[14:15], v[28:29], v[34:35], v[14:15] op_sel:[0,0,1] op_sel_hi:[1,0,0]
	v_mov_b32_e32 v14, v41
	v_mov_b32_e32 v19, v15
	s_waitcnt lgkmcnt(2)
	v_pk_mul_f32 v[14:15], v[6:7], v[14:15] op_sel_hi:[1,0]
	v_pk_add_f32 v[2:3], v[2:3], v[18:19]
	v_pk_fma_f32 v[18:19], v[6:7], v[40:41], v[14:15] op_sel:[0,0,1] op_sel_hi:[1,1,0] neg_lo:[0,0,1] neg_hi:[0,0,1]
	v_pk_fma_f32 v[6:7], v[6:7], v[40:41], v[14:15] op_sel:[0,0,1] op_sel_hi:[1,0,0]
	v_mov_b32_e32 v6, v39
	v_mov_b32_e32 v19, v7
	v_pk_mul_f32 v[6:7], v[8:9], v[6:7] op_sel_hi:[1,0]
	v_pk_fma_f32 v[14:15], v[8:9], v[38:39], v[6:7] op_sel:[0,0,1] op_sel_hi:[1,1,0] neg_lo:[0,0,1] neg_hi:[0,0,1]
	v_pk_fma_f32 v[6:7], v[8:9], v[38:39], v[6:7] op_sel:[0,0,1] op_sel_hi:[1,0,0]
	v_mov_b32_e32 v6, v37
	v_mov_b32_e32 v15, v7
	s_waitcnt lgkmcnt(1)
	v_pk_mul_f32 v[6:7], v[10:11], v[6:7] op_sel_hi:[1,0]
	v_pk_fma_f32 v[8:9], v[10:11], v[36:37], v[6:7] op_sel:[0,0,1] op_sel_hi:[1,1,0] neg_lo:[0,0,1] neg_hi:[0,0,1]
	v_pk_fma_f32 v[6:7], v[10:11], v[36:37], v[6:7] op_sel:[0,0,1] op_sel_hi:[1,0,0]
	v_pk_add_f32 v[2:3], v[2:3], v[18:19]
	s_waitcnt vmcnt(1)
	v_mov_b32_e32 v6, v45
	v_pk_add_f32 v[2:3], v[2:3], v[14:15]
	v_mov_b32_e32 v9, v7
	v_pk_mul_f32 v[6:7], v[12:13], v[6:7] op_sel_hi:[1,0]
	v_pk_add_f32 v[2:3], v[2:3], v[8:9]
	s_waitcnt vmcnt(0)
	v_pk_fma_f32 v[8:9], v[12:13], v[44:45], v[6:7] op_sel:[0,0,1] op_sel_hi:[1,1,0] neg_lo:[0,0,1] neg_hi:[0,0,1]
	v_pk_fma_f32 v[6:7], v[12:13], v[44:45], v[6:7] op_sel:[0,0,1] op_sel_hi:[1,0,0]
	v_mov_b32_e32 v6, v43
	v_mov_b32_e32 v9, v7
	s_waitcnt lgkmcnt(0)
	v_pk_mul_f32 v[6:7], v[16:17], v[6:7] op_sel_hi:[1,0]
	v_pk_add_f32 v[2:3], v[2:3], v[8:9]
	v_pk_fma_f32 v[8:9], v[16:17], v[42:43], v[6:7] op_sel:[0,0,1] op_sel_hi:[1,1,0] neg_lo:[0,0,1] neg_hi:[0,0,1]
	v_pk_fma_f32 v[6:7], v[16:17], v[42:43], v[6:7] op_sel:[0,0,1] op_sel_hi:[1,0,0]
	v_mov_b32_e32 v9, v7
	v_pk_add_f32 v[2:3], v[2:3], v[8:9]
	v_pk_add_f32 v[2:3], v[32:33], v[2:3] neg_lo:[0,1] neg_hi:[0,1]
	buffer_store_dword v3, off, s[0:3], 0 offset:236
	buffer_store_dword v2, off, s[0:3], 0 offset:232
	s_and_saveexec_b64 s[4:5], vcc
	s_cbranch_execz .LBB46_239
; %bb.238:
	buffer_load_dword v2, off, s[0:3], 0 offset:224
	buffer_load_dword v3, off, s[0:3], 0 offset:228
	s_waitcnt vmcnt(0)
	ds_write_b64 v89, v[2:3]
	buffer_store_dword v4, off, s[0:3], 0 offset:224
	buffer_store_dword v4, off, s[0:3], 0 offset:228
.LBB46_239:
	s_or_b64 exec, exec, s[4:5]
	s_waitcnt lgkmcnt(0)
	; wave barrier
	s_waitcnt lgkmcnt(0)
	ds_read2_b64 v[6:9], v4 offset0:77 offset1:78
	buffer_load_dword v2, off, s[0:3], 0 offset:224
	buffer_load_dword v3, off, s[0:3], 0 offset:228
	;; [unrolled: 1-line block ×16, first 2 shown]
	v_cmp_lt_u32_e32 vcc, 27, v0
	s_waitcnt vmcnt(12) lgkmcnt(0)
	v_mul_f32_e32 v10, v6, v30
	v_fmac_f32_e32 v10, v7, v5
	s_waitcnt vmcnt(10)
	v_mul_f32_e32 v11, v8, v34
	v_add_f32_e32 v10, 0, v10
	v_fmac_f32_e32 v11, v9, v32
	v_add_f32_e32 v14, v10, v11
	ds_read2_b64 v[10:13], v4 offset0:79 offset1:80
	v_mul_f32_e32 v7, v7, v30
	v_fma_f32 v5, v6, v5, -v7
	v_mul_f32_e32 v6, v9, v34
	v_add_f32_e32 v5, 0, v5
	s_waitcnt vmcnt(8) lgkmcnt(0)
	v_mul_f32_e32 v15, v10, v53
	v_fmac_f32_e32 v15, v11, v52
	v_add_f32_e32 v14, v14, v15
	s_waitcnt vmcnt(6)
	v_mul_f32_e32 v15, v12, v55
	v_fmac_f32_e32 v15, v13, v54
	v_add_f32_e32 v18, v14, v15
	ds_read2_b64 v[14:17], v4 offset0:81 offset1:82
	v_fma_f32 v6, v8, v32, -v6
	v_add_f32_e32 v5, v5, v6
	v_mul_f32_e32 v6, v11, v53
	v_fma_f32 v6, v10, v52, -v6
	s_waitcnt vmcnt(4) lgkmcnt(0)
	v_mul_f32_e32 v19, v14, v57
	v_fmac_f32_e32 v19, v15, v56
	v_add_f32_e32 v18, v18, v19
	s_waitcnt vmcnt(2)
	v_mul_f32_e32 v19, v16, v59
	v_fmac_f32_e32 v19, v17, v58
	v_add_f32_e32 v22, v18, v19
	ds_read2_b64 v[18:21], v4 offset0:83 offset1:84
	buffer_load_dword v62, off, s[0:3], 0 offset:288
	buffer_load_dword v63, off, s[0:3], 0 offset:292
	v_add_f32_e32 v5, v5, v6
	v_mul_f32_e32 v6, v13, v55
	v_fma_f32 v6, v12, v54, -v6
	s_waitcnt vmcnt(2) lgkmcnt(0)
	v_mul_f32_e32 v23, v18, v61
	v_fmac_f32_e32 v23, v19, v60
	v_add_f32_e32 v22, v22, v23
	v_add_f32_e32 v5, v5, v6
	v_mul_f32_e32 v6, v15, v57
	v_fma_f32 v6, v14, v56, -v6
	v_add_f32_e32 v5, v5, v6
	v_mul_f32_e32 v6, v17, v59
	v_fma_f32 v6, v16, v58, -v6
	;; [unrolled: 3-line block ×3, first 2 shown]
	v_add_f32_e32 v5, v5, v6
	s_waitcnt vmcnt(0)
	v_mul_f32_e32 v23, v20, v63
	v_fmac_f32_e32 v23, v21, v62
	v_add_f32_e32 v31, v22, v23
	ds_read2_b64 v[22:25], v4 offset0:85 offset1:86
	buffer_load_dword v64, off, s[0:3], 0 offset:296
	buffer_load_dword v65, off, s[0:3], 0 offset:300
	;; [unrolled: 1-line block ×6, first 2 shown]
	ds_read2_b64 v[26:29], v4 offset0:87 offset1:88
	buffer_load_dword v39, off, s[0:3], 0 offset:324
	buffer_load_dword v38, off, s[0:3], 0 offset:320
	buffer_load_dword v41, off, s[0:3], 0 offset:332
	buffer_load_dword v40, off, s[0:3], 0 offset:328
	buffer_load_dword v43, off, s[0:3], 0 offset:340
	buffer_load_dword v42, off, s[0:3], 0 offset:336
	buffer_load_dword v45, off, s[0:3], 0 offset:348
	buffer_load_dword v44, off, s[0:3], 0 offset:344
	buffer_load_dword v47, off, s[0:3], 0 offset:356
	buffer_load_dword v46, off, s[0:3], 0 offset:352
	buffer_load_dword v49, off, s[0:3], 0 offset:364
	buffer_load_dword v48, off, s[0:3], 0 offset:360
	buffer_load_dword v51, off, s[0:3], 0 offset:372
	buffer_load_dword v50, off, s[0:3], 0 offset:368
	v_mul_f32_e32 v6, v21, v63
	v_fma_f32 v6, v20, v62, -v6
	v_add_f32_e32 v30, v5, v6
	ds_read2_b64 v[6:9], v4 offset0:89 offset1:90
	ds_read2_b64 v[10:13], v4 offset0:91 offset1:92
	;; [unrolled: 1-line block ×3, first 2 shown]
	s_waitcnt vmcnt(18) lgkmcnt(4)
	v_mul_f32_e32 v33, v22, v65
	s_waitcnt vmcnt(15)
	v_mov_b32_e32 v18, v37
	v_mul_f32_e32 v5, v23, v65
	s_waitcnt lgkmcnt(3)
	v_pk_mul_f32 v[18:19], v[26:27], v[18:19] op_sel_hi:[1,0]
	v_fmac_f32_e32 v33, v23, v64
	v_mul_f32_e32 v35, v24, v67
	v_fma_f32 v32, v22, v64, -v5
	v_mul_f32_e32 v5, v25, v67
	s_waitcnt vmcnt(14)
	v_pk_fma_f32 v[20:21], v[26:27], v[36:37], v[18:19] op_sel:[0,0,1] op_sel_hi:[1,1,0] neg_lo:[0,0,1] neg_hi:[0,0,1]
	v_pk_fma_f32 v[18:19], v[26:27], v[36:37], v[18:19] op_sel:[0,0,1] op_sel_hi:[1,0,0]
	v_fmac_f32_e32 v35, v25, v66
	v_fma_f32 v34, v24, v66, -v5
	v_pk_add_f32 v[4:5], v[30:31], v[32:33]
	s_waitcnt vmcnt(13)
	v_mov_b32_e32 v18, v39
	v_pk_add_f32 v[4:5], v[4:5], v[34:35]
	v_mov_b32_e32 v21, v19
	v_pk_mul_f32 v[18:19], v[28:29], v[18:19] op_sel_hi:[1,0]
	v_pk_add_f32 v[4:5], v[4:5], v[20:21]
	s_waitcnt vmcnt(12)
	v_pk_fma_f32 v[20:21], v[28:29], v[38:39], v[18:19] op_sel:[0,0,1] op_sel_hi:[1,1,0] neg_lo:[0,0,1] neg_hi:[0,0,1]
	v_pk_fma_f32 v[18:19], v[28:29], v[38:39], v[18:19] op_sel:[0,0,1] op_sel_hi:[1,0,0]
	s_waitcnt vmcnt(11)
	v_mov_b32_e32 v18, v41
	v_mov_b32_e32 v21, v19
	s_waitcnt lgkmcnt(2)
	v_pk_mul_f32 v[18:19], v[6:7], v[18:19] op_sel_hi:[1,0]
	v_pk_add_f32 v[4:5], v[4:5], v[20:21]
	s_waitcnt vmcnt(10)
	v_pk_fma_f32 v[20:21], v[6:7], v[40:41], v[18:19] op_sel:[0,0,1] op_sel_hi:[1,1,0] neg_lo:[0,0,1] neg_hi:[0,0,1]
	v_pk_fma_f32 v[6:7], v[6:7], v[40:41], v[18:19] op_sel:[0,0,1] op_sel_hi:[1,0,0]
	s_waitcnt vmcnt(9)
	v_mov_b32_e32 v6, v43
	v_mov_b32_e32 v21, v7
	v_pk_mul_f32 v[6:7], v[8:9], v[6:7] op_sel_hi:[1,0]
	s_waitcnt vmcnt(8)
	v_pk_fma_f32 v[18:19], v[8:9], v[42:43], v[6:7] op_sel:[0,0,1] op_sel_hi:[1,1,0] neg_lo:[0,0,1] neg_hi:[0,0,1]
	v_pk_fma_f32 v[6:7], v[8:9], v[42:43], v[6:7] op_sel:[0,0,1] op_sel_hi:[1,0,0]
	s_waitcnt vmcnt(7)
	v_mov_b32_e32 v6, v45
	v_mov_b32_e32 v19, v7
	s_waitcnt lgkmcnt(1)
	v_pk_mul_f32 v[6:7], v[10:11], v[6:7] op_sel_hi:[1,0]
	s_waitcnt vmcnt(6)
	v_pk_fma_f32 v[8:9], v[10:11], v[44:45], v[6:7] op_sel:[0,0,1] op_sel_hi:[1,1,0] neg_lo:[0,0,1] neg_hi:[0,0,1]
	v_pk_fma_f32 v[6:7], v[10:11], v[44:45], v[6:7] op_sel:[0,0,1] op_sel_hi:[1,0,0]
	v_pk_add_f32 v[4:5], v[4:5], v[20:21]
	s_waitcnt vmcnt(5)
	v_mov_b32_e32 v6, v47
	v_pk_add_f32 v[4:5], v[4:5], v[18:19]
	v_mov_b32_e32 v9, v7
	v_pk_mul_f32 v[6:7], v[12:13], v[6:7] op_sel_hi:[1,0]
	v_pk_add_f32 v[4:5], v[4:5], v[8:9]
	s_waitcnt vmcnt(4)
	v_pk_fma_f32 v[8:9], v[12:13], v[46:47], v[6:7] op_sel:[0,0,1] op_sel_hi:[1,1,0] neg_lo:[0,0,1] neg_hi:[0,0,1]
	v_pk_fma_f32 v[6:7], v[12:13], v[46:47], v[6:7] op_sel:[0,0,1] op_sel_hi:[1,0,0]
	s_waitcnt vmcnt(3)
	v_mov_b32_e32 v6, v49
	v_mov_b32_e32 v9, v7
	s_waitcnt lgkmcnt(0)
	v_pk_mul_f32 v[6:7], v[14:15], v[6:7] op_sel_hi:[1,0]
	v_pk_add_f32 v[4:5], v[4:5], v[8:9]
	s_waitcnt vmcnt(2)
	v_pk_fma_f32 v[8:9], v[14:15], v[48:49], v[6:7] op_sel:[0,0,1] op_sel_hi:[1,1,0] neg_lo:[0,0,1] neg_hi:[0,0,1]
	v_pk_fma_f32 v[6:7], v[14:15], v[48:49], v[6:7] op_sel:[0,0,1] op_sel_hi:[1,0,0]
	s_waitcnt vmcnt(1)
	v_mov_b32_e32 v6, v51
	v_mov_b32_e32 v9, v7
	v_pk_mul_f32 v[6:7], v[16:17], v[6:7] op_sel_hi:[1,0]
	v_pk_add_f32 v[4:5], v[4:5], v[8:9]
	s_waitcnt vmcnt(0)
	v_pk_fma_f32 v[8:9], v[16:17], v[50:51], v[6:7] op_sel:[0,0,1] op_sel_hi:[1,1,0] neg_lo:[0,0,1] neg_hi:[0,0,1]
	v_pk_fma_f32 v[6:7], v[16:17], v[50:51], v[6:7] op_sel:[0,0,1] op_sel_hi:[1,0,0]
	v_mov_b32_e32 v9, v7
	v_pk_add_f32 v[4:5], v[4:5], v[8:9]
	v_pk_add_f32 v[2:3], v[2:3], v[4:5] neg_lo:[0,1] neg_hi:[0,1]
	buffer_store_dword v3, off, s[0:3], 0 offset:228
	buffer_store_dword v2, off, s[0:3], 0 offset:224
	s_and_saveexec_b64 s[4:5], vcc
	s_cbranch_execz .LBB46_241
; %bb.240:
	buffer_load_dword v2, off, s[0:3], 0 offset:216
	buffer_load_dword v3, off, s[0:3], 0 offset:220
	v_mov_b32_e32 v4, 0
	buffer_store_dword v4, off, s[0:3], 0 offset:216
	buffer_store_dword v4, off, s[0:3], 0 offset:220
	s_waitcnt vmcnt(2)
	ds_write_b64 v89, v[2:3]
.LBB46_241:
	s_or_b64 exec, exec, s[4:5]
	v_mov_b32_e32 v12, 0
	s_waitcnt lgkmcnt(0)
	; wave barrier
	s_waitcnt lgkmcnt(0)
	ds_read_b128 v[14:17], v12 offset:608
	ds_read_b128 v[18:21], v12 offset:624
	;; [unrolled: 1-line block ×4, first 2 shown]
	buffer_load_dword v10, off, s[0:3], 0 offset:216
	buffer_load_dword v11, off, s[0:3], 0 offset:220
	;; [unrolled: 1-line block ×18, first 2 shown]
	v_cmp_lt_u32_e32 vcc, 26, v0
	s_waitcnt vmcnt(14) lgkmcnt(3)
	v_mul_f32_e32 v22, v14, v30
	v_fmac_f32_e32 v22, v15, v13
	s_waitcnt vmcnt(12)
	v_mul_f32_e32 v23, v16, v34
	v_add_f32_e32 v22, 0, v22
	v_fmac_f32_e32 v23, v17, v32
	v_add_f32_e32 v22, v22, v23
	s_waitcnt vmcnt(10) lgkmcnt(2)
	v_mul_f32_e32 v23, v18, v53
	v_fmac_f32_e32 v23, v19, v52
	v_add_f32_e32 v22, v22, v23
	s_waitcnt vmcnt(8)
	v_mul_f32_e32 v23, v20, v55
	v_fmac_f32_e32 v23, v21, v54
	v_add_f32_e32 v22, v22, v23
	s_waitcnt vmcnt(6) lgkmcnt(1)
	v_mul_f32_e32 v23, v6, v57
	v_fmac_f32_e32 v23, v7, v56
	v_add_f32_e32 v22, v22, v23
	s_waitcnt vmcnt(4)
	v_mul_f32_e32 v23, v8, v59
	;; [unrolled: 8-line block ×3, first 2 shown]
	v_fmac_f32_e32 v23, v5, v62
	v_add_f32_e32 v26, v22, v23
	ds_read_b128 v[22:25], v12 offset:672
	buffer_load_dword v64, off, s[0:3], 0 offset:288
	buffer_load_dword v65, off, s[0:3], 0 offset:292
	;; [unrolled: 1-line block ×4, first 2 shown]
	v_mul_f32_e32 v15, v15, v30
	v_fma_f32 v13, v14, v13, -v15
	v_mul_f32_e32 v14, v17, v34
	v_add_f32_e32 v13, 0, v13
	v_fma_f32 v14, v16, v32, -v14
	v_add_f32_e32 v13, v13, v14
	v_mul_f32_e32 v14, v19, v53
	v_fma_f32 v14, v18, v52, -v14
	v_add_f32_e32 v13, v13, v14
	v_mul_f32_e32 v14, v21, v55
	v_fma_f32 v14, v20, v54, -v14
	v_mul_f32_e32 v7, v7, v57
	v_add_f32_e32 v13, v13, v14
	v_fma_f32 v6, v6, v56, -v7
	v_mul_f32_e32 v7, v9, v59
	v_add_f32_e32 v6, v13, v6
	;; [unrolled: 3-line block ×4, first 2 shown]
	v_fma_f32 v3, v4, v62, -v3
	v_add_f32_e32 v2, v2, v3
	s_waitcnt vmcnt(2) lgkmcnt(0)
	v_mul_f32_e32 v27, v22, v65
	v_fmac_f32_e32 v27, v23, v64
	v_add_f32_e32 v31, v26, v27
	ds_read_b128 v[26:29], v12 offset:688
	buffer_load_dword v68, off, s[0:3], 0 offset:304
	buffer_load_dword v69, off, s[0:3], 0 offset:308
	;; [unrolled: 1-line block ×18, first 2 shown]
	v_mul_f32_e32 v3, v23, v65
	v_fma_f32 v3, v22, v64, -v3
	v_add_f32_e32 v30, v2, v3
	s_waitcnt vmcnt(18)
	v_mul_f32_e32 v2, v25, v67
	v_mul_f32_e32 v33, v24, v67
	v_fma_f32 v32, v24, v66, -v2
	v_fmac_f32_e32 v33, v25, v66
	v_pk_add_f32 v[20:21], v[30:31], v[32:33]
	s_waitcnt vmcnt(15)
	v_mov_b32_e32 v22, v37
	s_waitcnt lgkmcnt(0)
	v_pk_mul_f32 v[22:23], v[28:29], v[22:23] op_sel_hi:[1,0]
	s_waitcnt vmcnt(14)
	v_pk_fma_f32 v[24:25], v[28:29], v[36:37], v[22:23] op_sel:[0,0,1] op_sel_hi:[1,1,0] neg_lo:[0,0,1] neg_hi:[0,0,1]
	v_pk_fma_f32 v[22:23], v[28:29], v[36:37], v[22:23] op_sel:[0,0,1] op_sel_hi:[1,0,0]
	s_waitcnt vmcnt(13)
	v_mov_b32_e32 v22, v39
	v_mov_b32_e32 v25, v23
	v_mul_f32_e32 v2, v27, v69
	v_mul_f32_e32 v35, v26, v69
	v_fma_f32 v34, v26, v68, -v2
	ds_read_b128 v[2:5], v12 offset:704
	ds_read_b128 v[6:9], v12 offset:720
	;; [unrolled: 1-line block ×3, first 2 shown]
	ds_read_b64 v[18:19], v12 offset:752
	v_fmac_f32_e32 v35, v27, v68
	v_pk_add_f32 v[20:21], v[20:21], v[34:35]
	s_waitcnt lgkmcnt(3)
	v_pk_mul_f32 v[22:23], v[2:3], v[22:23] op_sel_hi:[1,0]
	v_pk_add_f32 v[20:21], v[20:21], v[24:25]
	s_waitcnt vmcnt(12)
	v_pk_fma_f32 v[24:25], v[2:3], v[38:39], v[22:23] op_sel:[0,0,1] op_sel_hi:[1,1,0] neg_lo:[0,0,1] neg_hi:[0,0,1]
	v_pk_fma_f32 v[2:3], v[2:3], v[38:39], v[22:23] op_sel:[0,0,1] op_sel_hi:[1,0,0]
	v_mov_b32_e32 v25, v3
	v_pk_add_f32 v[2:3], v[20:21], v[24:25]
	s_waitcnt vmcnt(11)
	v_mov_b32_e32 v20, v41
	v_pk_mul_f32 v[20:21], v[4:5], v[20:21] op_sel_hi:[1,0]
	s_waitcnt vmcnt(10)
	v_pk_fma_f32 v[22:23], v[4:5], v[40:41], v[20:21] op_sel:[0,0,1] op_sel_hi:[1,1,0] neg_lo:[0,0,1] neg_hi:[0,0,1]
	v_pk_fma_f32 v[4:5], v[4:5], v[40:41], v[20:21] op_sel:[0,0,1] op_sel_hi:[1,0,0]
	s_waitcnt vmcnt(9)
	v_mov_b32_e32 v4, v43
	v_mov_b32_e32 v23, v5
	s_waitcnt lgkmcnt(2)
	v_pk_mul_f32 v[4:5], v[6:7], v[4:5] op_sel_hi:[1,0]
	s_waitcnt vmcnt(8)
	v_pk_fma_f32 v[20:21], v[6:7], v[42:43], v[4:5] op_sel:[0,0,1] op_sel_hi:[1,1,0] neg_lo:[0,0,1] neg_hi:[0,0,1]
	v_pk_fma_f32 v[4:5], v[6:7], v[42:43], v[4:5] op_sel:[0,0,1] op_sel_hi:[1,0,0]
	s_waitcnt vmcnt(7)
	v_mov_b32_e32 v4, v45
	v_mov_b32_e32 v21, v5
	v_pk_mul_f32 v[4:5], v[8:9], v[4:5] op_sel_hi:[1,0]
	s_waitcnt vmcnt(6)
	v_pk_fma_f32 v[6:7], v[8:9], v[44:45], v[4:5] op_sel:[0,0,1] op_sel_hi:[1,1,0] neg_lo:[0,0,1] neg_hi:[0,0,1]
	v_pk_fma_f32 v[4:5], v[8:9], v[44:45], v[4:5] op_sel:[0,0,1] op_sel_hi:[1,0,0]
	v_pk_add_f32 v[2:3], v[2:3], v[22:23]
	s_waitcnt vmcnt(5)
	v_mov_b32_e32 v4, v47
	v_pk_add_f32 v[2:3], v[2:3], v[20:21]
	v_mov_b32_e32 v7, v5
	s_waitcnt lgkmcnt(1)
	v_pk_mul_f32 v[4:5], v[14:15], v[4:5] op_sel_hi:[1,0]
	v_pk_add_f32 v[2:3], v[2:3], v[6:7]
	s_waitcnt vmcnt(4)
	v_pk_fma_f32 v[6:7], v[14:15], v[46:47], v[4:5] op_sel:[0,0,1] op_sel_hi:[1,1,0] neg_lo:[0,0,1] neg_hi:[0,0,1]
	v_pk_fma_f32 v[4:5], v[14:15], v[46:47], v[4:5] op_sel:[0,0,1] op_sel_hi:[1,0,0]
	s_waitcnt vmcnt(3)
	v_mov_b32_e32 v4, v49
	v_mov_b32_e32 v7, v5
	v_pk_mul_f32 v[4:5], v[16:17], v[4:5] op_sel_hi:[1,0]
	v_pk_add_f32 v[2:3], v[2:3], v[6:7]
	s_waitcnt vmcnt(2)
	v_pk_fma_f32 v[6:7], v[16:17], v[48:49], v[4:5] op_sel:[0,0,1] op_sel_hi:[1,1,0] neg_lo:[0,0,1] neg_hi:[0,0,1]
	v_pk_fma_f32 v[4:5], v[16:17], v[48:49], v[4:5] op_sel:[0,0,1] op_sel_hi:[1,0,0]
	s_waitcnt vmcnt(1)
	v_mov_b32_e32 v4, v51
	v_mov_b32_e32 v7, v5
	s_waitcnt lgkmcnt(0)
	v_pk_mul_f32 v[4:5], v[18:19], v[4:5] op_sel_hi:[1,0]
	v_pk_add_f32 v[2:3], v[2:3], v[6:7]
	s_waitcnt vmcnt(0)
	v_pk_fma_f32 v[6:7], v[18:19], v[50:51], v[4:5] op_sel:[0,0,1] op_sel_hi:[1,1,0] neg_lo:[0,0,1] neg_hi:[0,0,1]
	v_pk_fma_f32 v[4:5], v[18:19], v[50:51], v[4:5] op_sel:[0,0,1] op_sel_hi:[1,0,0]
	v_mov_b32_e32 v7, v5
	v_pk_add_f32 v[2:3], v[2:3], v[6:7]
	v_pk_add_f32 v[2:3], v[10:11], v[2:3] neg_lo:[0,1] neg_hi:[0,1]
	buffer_store_dword v3, off, s[0:3], 0 offset:220
	buffer_store_dword v2, off, s[0:3], 0 offset:216
	s_and_saveexec_b64 s[4:5], vcc
	s_cbranch_execz .LBB46_243
; %bb.242:
	buffer_load_dword v2, off, s[0:3], 0 offset:208
	buffer_load_dword v3, off, s[0:3], 0 offset:212
	s_waitcnt vmcnt(0)
	ds_write_b64 v89, v[2:3]
	buffer_store_dword v12, off, s[0:3], 0 offset:208
	buffer_store_dword v12, off, s[0:3], 0 offset:212
.LBB46_243:
	s_or_b64 exec, exec, s[4:5]
	s_waitcnt lgkmcnt(0)
	; wave barrier
	s_waitcnt lgkmcnt(0)
	buffer_load_dword v10, off, s[0:3], 0 offset:220
	buffer_load_dword v11, off, s[0:3], 0 offset:228
	;; [unrolled: 1-line block ×26, first 2 shown]
	ds_read2_b64 v[2:5], v12 offset0:75 offset1:76
	ds_read2_b64 v[6:9], v12 offset0:77 offset1:78
	;; [unrolled: 1-line block ×6, first 2 shown]
	buffer_load_dword v33, off, s[0:3], 0 offset:332
	buffer_load_dword v32, off, s[0:3], 0 offset:328
	;; [unrolled: 1-line block ×16, first 2 shown]
	v_cmp_lt_u32_e32 vcc, 25, v0
	s_waitcnt vmcnt(41) lgkmcnt(5)
	v_mul_f32_e32 v71, v2, v10
	s_waitcnt vmcnt(40)
	v_mul_f32_e32 v72, v4, v11
	v_mul_f32_e32 v10, v3, v10
	s_waitcnt vmcnt(39) lgkmcnt(4)
	v_mul_f32_e32 v73, v6, v13
	v_mul_f32_e32 v11, v5, v11
	s_waitcnt vmcnt(38)
	v_mul_f32_e32 v74, v8, v48
	s_waitcnt vmcnt(37) lgkmcnt(3)
	v_mul_f32_e32 v75, v14, v50
	s_waitcnt vmcnt(36)
	v_mul_f32_e32 v76, v16, v52
	s_waitcnt vmcnt(35) lgkmcnt(2)
	;; [unrolled: 4-line block ×3, first 2 shown]
	v_mul_f32_e32 v173, v22, v56
	s_waitcnt vmcnt(32)
	v_mul_f32_e32 v174, v24, v57
	s_waitcnt vmcnt(29)
	v_fmac_f32_e32 v71, v3, v53
	s_waitcnt vmcnt(28)
	v_fmac_f32_e32 v72, v5, v60
	v_fma_f32 v2, v2, v53, -v10
	v_add_f32_e32 v5, 0, v71
	s_waitcnt vmcnt(27)
	v_fmac_f32_e32 v73, v7, v61
	v_fma_f32 v3, v4, v60, -v11
	v_add_f32_e32 v2, 0, v2
	v_add_f32_e32 v5, v5, v72
	s_waitcnt vmcnt(26)
	v_fmac_f32_e32 v74, v9, v62
	v_add_f32_e32 v2, v2, v3
	v_add_f32_e32 v3, v5, v73
	s_waitcnt vmcnt(25)
	v_fmac_f32_e32 v75, v15, v63
	v_add_f32_e32 v3, v3, v74
	s_waitcnt vmcnt(24)
	v_fmac_f32_e32 v76, v17, v64
	;; [unrolled: 3-line block ×5, first 2 shown]
	v_add_f32_e32 v3, v3, v172
	v_mul_f32_e32 v13, v7, v13
	s_waitcnt vmcnt(20)
	v_fmac_f32_e32 v174, v25, v68
	v_add_f32_e32 v3, v3, v173
	v_fma_f32 v4, v6, v61, -v13
	v_add_f32_e32 v53, v3, v174
	v_mul_f32_e32 v3, v9, v48
	v_add_f32_e32 v2, v2, v4
	v_fma_f32 v3, v8, v62, -v3
	v_add_f32_e32 v2, v2, v3
	v_mul_f32_e32 v3, v15, v50
	v_fma_f32 v3, v14, v63, -v3
	v_add_f32_e32 v2, v2, v3
	v_mul_f32_e32 v3, v17, v52
	;; [unrolled: 3-line block ×6, first 2 shown]
	v_fma_f32 v3, v24, v68, -v3
	v_add_f32_e32 v52, v2, v3
	s_waitcnt lgkmcnt(0)
	v_mul_f32_e32 v2, v27, v58
	s_waitcnt vmcnt(19)
	v_fma_f32 v48, v26, v69, -v2
	v_mul_f32_e32 v2, v29, v59
	s_waitcnt vmcnt(18)
	v_fma_f32 v50, v28, v70, -v2
	ds_read2_b64 v[2:5], v12 offset0:87 offset1:88
	ds_read2_b64 v[6:9], v12 offset0:89 offset1:90
	;; [unrolled: 1-line block ×4, first 2 shown]
	v_mul_f32_e32 v49, v26, v58
	s_waitcnt vmcnt(11)
	v_mov_b32_e32 v20, v37
	v_mul_f32_e32 v51, v28, v59
	v_fmac_f32_e32 v49, v27, v69
	s_waitcnt lgkmcnt(3)
	v_pk_mul_f32 v[20:21], v[2:3], v[20:21] op_sel_hi:[1,0]
	v_fmac_f32_e32 v51, v29, v70
	v_pk_add_f32 v[18:19], v[52:53], v[48:49]
	s_waitcnt vmcnt(10)
	v_pk_fma_f32 v[22:23], v[2:3], v[36:37], v[20:21] op_sel:[0,0,1] op_sel_hi:[1,1,0] neg_lo:[0,0,1] neg_hi:[0,0,1]
	v_pk_fma_f32 v[2:3], v[2:3], v[36:37], v[20:21] op_sel:[0,0,1] op_sel_hi:[1,0,0]
	v_pk_add_f32 v[18:19], v[18:19], v[50:51]
	v_mov_b32_e32 v23, v3
	v_pk_add_f32 v[2:3], v[18:19], v[22:23]
	v_mov_b32_e32 v18, v35
	v_pk_mul_f32 v[18:19], v[4:5], v[18:19] op_sel_hi:[1,0]
	v_pk_fma_f32 v[20:21], v[4:5], v[34:35], v[18:19] op_sel:[0,0,1] op_sel_hi:[1,1,0] neg_lo:[0,0,1] neg_hi:[0,0,1]
	v_pk_fma_f32 v[4:5], v[4:5], v[34:35], v[18:19] op_sel:[0,0,1] op_sel_hi:[1,0,0]
	v_mov_b32_e32 v4, v33
	v_mov_b32_e32 v21, v5
	s_waitcnt lgkmcnt(2)
	v_pk_mul_f32 v[4:5], v[6:7], v[4:5] op_sel_hi:[1,0]
	v_pk_fma_f32 v[18:19], v[6:7], v[32:33], v[4:5] op_sel:[0,0,1] op_sel_hi:[1,1,0] neg_lo:[0,0,1] neg_hi:[0,0,1]
	v_pk_fma_f32 v[4:5], v[6:7], v[32:33], v[4:5] op_sel:[0,0,1] op_sel_hi:[1,0,0]
	s_waitcnt vmcnt(3)
	v_mov_b32_e32 v4, v45
	v_mov_b32_e32 v19, v5
	v_pk_mul_f32 v[4:5], v[8:9], v[4:5] op_sel_hi:[1,0]
	s_waitcnt vmcnt(2)
	v_pk_fma_f32 v[6:7], v[8:9], v[44:45], v[4:5] op_sel:[0,0,1] op_sel_hi:[1,1,0] neg_lo:[0,0,1] neg_hi:[0,0,1]
	v_pk_fma_f32 v[4:5], v[8:9], v[44:45], v[4:5] op_sel:[0,0,1] op_sel_hi:[1,0,0]
	v_pk_add_f32 v[2:3], v[2:3], v[20:21]
	v_mov_b32_e32 v4, v43
	v_pk_add_f32 v[2:3], v[2:3], v[18:19]
	v_mov_b32_e32 v7, v5
	s_waitcnt lgkmcnt(1)
	v_pk_mul_f32 v[4:5], v[14:15], v[4:5] op_sel_hi:[1,0]
	v_pk_add_f32 v[2:3], v[2:3], v[6:7]
	v_pk_fma_f32 v[6:7], v[14:15], v[42:43], v[4:5] op_sel:[0,0,1] op_sel_hi:[1,1,0] neg_lo:[0,0,1] neg_hi:[0,0,1]
	v_pk_fma_f32 v[4:5], v[14:15], v[42:43], v[4:5] op_sel:[0,0,1] op_sel_hi:[1,0,0]
	v_mov_b32_e32 v4, v41
	v_mov_b32_e32 v7, v5
	v_pk_mul_f32 v[4:5], v[16:17], v[4:5] op_sel_hi:[1,0]
	v_pk_add_f32 v[2:3], v[2:3], v[6:7]
	v_pk_fma_f32 v[6:7], v[16:17], v[40:41], v[4:5] op_sel:[0,0,1] op_sel_hi:[1,1,0] neg_lo:[0,0,1] neg_hi:[0,0,1]
	v_pk_fma_f32 v[4:5], v[16:17], v[40:41], v[4:5] op_sel:[0,0,1] op_sel_hi:[1,0,0]
	v_mov_b32_e32 v4, v39
	v_mov_b32_e32 v7, v5
	s_waitcnt lgkmcnt(0)
	v_pk_mul_f32 v[4:5], v[10:11], v[4:5] op_sel_hi:[1,0]
	v_pk_add_f32 v[2:3], v[2:3], v[6:7]
	v_pk_fma_f32 v[6:7], v[10:11], v[38:39], v[4:5] op_sel:[0,0,1] op_sel_hi:[1,1,0] neg_lo:[0,0,1] neg_hi:[0,0,1]
	v_pk_fma_f32 v[4:5], v[10:11], v[38:39], v[4:5] op_sel:[0,0,1] op_sel_hi:[1,0,0]
	s_waitcnt vmcnt(1)
	v_mov_b32_e32 v4, v47
	v_mov_b32_e32 v7, v5
	v_pk_mul_f32 v[4:5], v[12:13], v[4:5] op_sel_hi:[1,0]
	v_pk_add_f32 v[2:3], v[2:3], v[6:7]
	s_waitcnt vmcnt(0)
	v_pk_fma_f32 v[6:7], v[12:13], v[46:47], v[4:5] op_sel:[0,0,1] op_sel_hi:[1,1,0] neg_lo:[0,0,1] neg_hi:[0,0,1]
	v_pk_fma_f32 v[4:5], v[12:13], v[46:47], v[4:5] op_sel:[0,0,1] op_sel_hi:[1,0,0]
	v_mov_b32_e32 v7, v5
	v_pk_add_f32 v[2:3], v[2:3], v[6:7]
	v_pk_add_f32 v[2:3], v[30:31], v[2:3] neg_lo:[0,1] neg_hi:[0,1]
	buffer_store_dword v3, off, s[0:3], 0 offset:212
	buffer_store_dword v2, off, s[0:3], 0 offset:208
	s_and_saveexec_b64 s[4:5], vcc
	s_cbranch_execz .LBB46_245
; %bb.244:
	buffer_load_dword v2, off, s[0:3], 0 offset:200
	buffer_load_dword v3, off, s[0:3], 0 offset:204
	v_mov_b32_e32 v4, 0
	buffer_store_dword v4, off, s[0:3], 0 offset:200
	buffer_store_dword v4, off, s[0:3], 0 offset:204
	s_waitcnt vmcnt(2)
	ds_write_b64 v89, v[2:3]
.LBB46_245:
	s_or_b64 exec, exec, s[4:5]
	s_waitcnt lgkmcnt(0)
	; wave barrier
	s_waitcnt lgkmcnt(0)
	buffer_load_dword v3, off, s[0:3], 0 offset:212
	buffer_load_dword v54, off, s[0:3], 0 offset:220
	;; [unrolled: 1-line block ×44, first 2 shown]
	v_mov_b32_e32 v2, 0
	ds_read_b128 v[4:7], v2 offset:592
	ds_read_b128 v[8:11], v2 offset:608
	;; [unrolled: 1-line block ×8, first 2 shown]
	v_cmp_lt_u32_e32 vcc, 24, v0
	s_waitcnt vmcnt(43) lgkmcnt(7)
	v_mul_f32_e32 v59, v4, v3
	v_mul_f32_e32 v3, v5, v3
	s_waitcnt vmcnt(42)
	v_mul_f32_e32 v176, v6, v54
	s_waitcnt vmcnt(41) lgkmcnt(6)
	v_mul_f32_e32 v177, v8, v56
	s_waitcnt vmcnt(40)
	v_mul_f32_e32 v178, v10, v58
	s_waitcnt vmcnt(39) lgkmcnt(5)
	;; [unrolled: 4-line block ×5, first 2 shown]
	v_mul_f32_e32 v185, v24, v66
	s_waitcnt vmcnt(32)
	v_mul_f32_e32 v55, v26, v67
	s_waitcnt vmcnt(30)
	v_fma_f32 v3, v4, v69, -v3
	v_mul_f32_e32 v4, v7, v54
	v_add_f32_e32 v3, 0, v3
	s_waitcnt vmcnt(29)
	v_fma_f32 v4, v6, v70, -v4
	v_add_f32_e32 v3, v3, v4
	v_mul_f32_e32 v4, v9, v56
	s_waitcnt vmcnt(28)
	v_fma_f32 v4, v8, v71, -v4
	v_add_f32_e32 v3, v3, v4
	v_mul_f32_e32 v4, v11, v58
	;; [unrolled: 4-line block ×4, first 2 shown]
	s_waitcnt vmcnt(25)
	v_fma_f32 v4, v14, v74, -v4
	v_fmac_f32_e32 v59, v5, v69
	v_add_f32_e32 v3, v3, v4
	v_mul_f32_e32 v4, v17, v62
	v_fmac_f32_e32 v176, v7, v70
	v_add_f32_e32 v5, 0, v59
	s_waitcnt vmcnt(24)
	v_fma_f32 v4, v16, v75, -v4
	v_fmac_f32_e32 v177, v9, v71
	v_add_f32_e32 v5, v5, v176
	v_add_f32_e32 v3, v3, v4
	v_mul_f32_e32 v4, v19, v63
	v_fmac_f32_e32 v178, v11, v72
	v_add_f32_e32 v5, v5, v177
	s_waitcnt vmcnt(23)
	v_fma_f32 v4, v18, v76, -v4
	v_fmac_f32_e32 v179, v13, v73
	v_add_f32_e32 v5, v5, v178
	;; [unrolled: 8-line block ×4, first 2 shown]
	v_add_f32_e32 v3, v3, v4
	v_mul_f32_e32 v4, v25, v66
	v_fmac_f32_e32 v184, v23, v172
	v_add_f32_e32 v5, v5, v183
	s_waitcnt vmcnt(20)
	v_fma_f32 v4, v24, v173, -v4
	s_waitcnt vmcnt(13)
	v_mov_b32_e32 v16, v41
	v_fmac_f32_e32 v185, v25, v173
	v_add_f32_e32 v5, v5, v184
	v_add_f32_e32 v58, v3, v4
	v_mul_f32_e32 v3, v27, v67
	s_waitcnt lgkmcnt(1)
	v_pk_mul_f32 v[16:17], v[30:31], v[16:17] op_sel_hi:[1,0]
	v_mul_f32_e32 v57, v28, v68
	v_fmac_f32_e32 v55, v27, v174
	v_add_f32_e32 v59, v5, v185
	v_fma_f32 v54, v26, v174, -v3
	v_mul_f32_e32 v3, v29, v68
	s_waitcnt vmcnt(12)
	v_pk_fma_f32 v[18:19], v[30:31], v[40:41], v[16:17] op_sel:[0,0,1] op_sel_hi:[1,1,0] neg_lo:[0,0,1] neg_hi:[0,0,1]
	v_pk_fma_f32 v[16:17], v[30:31], v[40:41], v[16:17] op_sel:[0,0,1] op_sel_hi:[1,0,0]
	v_fmac_f32_e32 v57, v29, v175
	v_fma_f32 v56, v28, v175, -v3
	v_pk_add_f32 v[14:15], v[58:59], v[54:55]
	v_mov_b32_e32 v16, v39
	v_pk_add_f32 v[14:15], v[14:15], v[56:57]
	v_mov_b32_e32 v19, v17
	s_waitcnt lgkmcnt(0)
	v_pk_mul_f32 v[16:17], v[32:33], v[16:17] op_sel_hi:[1,0]
	v_pk_add_f32 v[14:15], v[14:15], v[18:19]
	v_pk_fma_f32 v[18:19], v[32:33], v[38:39], v[16:17] op_sel:[0,0,1] op_sel_hi:[1,1,0] neg_lo:[0,0,1] neg_hi:[0,0,1]
	v_pk_fma_f32 v[16:17], v[32:33], v[38:39], v[16:17] op_sel:[0,0,1] op_sel_hi:[1,0,0]
	s_waitcnt vmcnt(5)
	v_mov_b32_e32 v16, v49
	ds_read_b128 v[4:7], v2 offset:720
	ds_read_b128 v[8:11], v2 offset:736
	ds_read_b64 v[12:13], v2 offset:752
	v_mov_b32_e32 v19, v17
	v_pk_mul_f32 v[16:17], v[34:35], v[16:17] op_sel_hi:[1,0]
	v_pk_add_f32 v[14:15], v[14:15], v[18:19]
	s_waitcnt vmcnt(4)
	v_pk_fma_f32 v[18:19], v[34:35], v[48:49], v[16:17] op_sel:[0,0,1] op_sel_hi:[1,1,0] neg_lo:[0,0,1] neg_hi:[0,0,1]
	v_pk_fma_f32 v[16:17], v[34:35], v[48:49], v[16:17] op_sel:[0,0,1] op_sel_hi:[1,0,0]
	v_mov_b32_e32 v16, v47
	v_mov_b32_e32 v19, v17
	s_waitcnt lgkmcnt(2)
	v_pk_mul_f32 v[16:17], v[4:5], v[16:17] op_sel_hi:[1,0]
	v_pk_add_f32 v[14:15], v[14:15], v[18:19]
	v_pk_fma_f32 v[18:19], v[4:5], v[46:47], v[16:17] op_sel:[0,0,1] op_sel_hi:[1,1,0] neg_lo:[0,0,1] neg_hi:[0,0,1]
	v_pk_fma_f32 v[4:5], v[4:5], v[46:47], v[16:17] op_sel:[0,0,1] op_sel_hi:[1,0,0]
	v_mov_b32_e32 v19, v5
	v_pk_add_f32 v[4:5], v[14:15], v[18:19]
	v_mov_b32_e32 v14, v45
	v_pk_mul_f32 v[14:15], v[6:7], v[14:15] op_sel_hi:[1,0]
	v_pk_fma_f32 v[16:17], v[6:7], v[44:45], v[14:15] op_sel:[0,0,1] op_sel_hi:[1,1,0] neg_lo:[0,0,1] neg_hi:[0,0,1]
	v_pk_fma_f32 v[6:7], v[6:7], v[44:45], v[14:15] op_sel:[0,0,1] op_sel_hi:[1,0,0]
	v_mov_b32_e32 v6, v43
	v_mov_b32_e32 v17, v7
	s_waitcnt lgkmcnt(1)
	v_pk_mul_f32 v[6:7], v[8:9], v[6:7] op_sel_hi:[1,0]
	v_pk_fma_f32 v[14:15], v[8:9], v[42:43], v[6:7] op_sel:[0,0,1] op_sel_hi:[1,1,0] neg_lo:[0,0,1] neg_hi:[0,0,1]
	v_pk_fma_f32 v[6:7], v[8:9], v[42:43], v[6:7] op_sel:[0,0,1] op_sel_hi:[1,0,0]
	s_waitcnt vmcnt(1)
	v_mov_b32_e32 v6, v53
	v_mov_b32_e32 v15, v7
	v_pk_mul_f32 v[6:7], v[10:11], v[6:7] op_sel_hi:[1,0]
	s_waitcnt vmcnt(0)
	v_pk_fma_f32 v[8:9], v[10:11], v[52:53], v[6:7] op_sel:[0,0,1] op_sel_hi:[1,1,0] neg_lo:[0,0,1] neg_hi:[0,0,1]
	v_pk_fma_f32 v[6:7], v[10:11], v[52:53], v[6:7] op_sel:[0,0,1] op_sel_hi:[1,0,0]
	v_pk_add_f32 v[4:5], v[4:5], v[16:17]
	v_mov_b32_e32 v6, v51
	v_pk_add_f32 v[4:5], v[4:5], v[14:15]
	v_mov_b32_e32 v9, v7
	s_waitcnt lgkmcnt(0)
	v_pk_mul_f32 v[6:7], v[12:13], v[6:7] op_sel_hi:[1,0]
	v_pk_add_f32 v[4:5], v[4:5], v[8:9]
	v_pk_fma_f32 v[8:9], v[12:13], v[50:51], v[6:7] op_sel:[0,0,1] op_sel_hi:[1,1,0] neg_lo:[0,0,1] neg_hi:[0,0,1]
	v_pk_fma_f32 v[6:7], v[12:13], v[50:51], v[6:7] op_sel:[0,0,1] op_sel_hi:[1,0,0]
	v_mov_b32_e32 v9, v7
	v_pk_add_f32 v[4:5], v[4:5], v[8:9]
	v_pk_add_f32 v[4:5], v[36:37], v[4:5] neg_lo:[0,1] neg_hi:[0,1]
	buffer_store_dword v5, off, s[0:3], 0 offset:204
	buffer_store_dword v4, off, s[0:3], 0 offset:200
	s_and_saveexec_b64 s[4:5], vcc
	s_cbranch_execz .LBB46_247
; %bb.246:
	buffer_load_dword v4, off, s[0:3], 0 offset:192
	buffer_load_dword v5, off, s[0:3], 0 offset:196
	s_waitcnt vmcnt(0)
	ds_write_b64 v89, v[4:5]
	buffer_store_dword v2, off, s[0:3], 0 offset:192
	buffer_store_dword v2, off, s[0:3], 0 offset:196
.LBB46_247:
	s_or_b64 exec, exec, s[4:5]
	s_waitcnt lgkmcnt(0)
	; wave barrier
	s_waitcnt lgkmcnt(0)
	buffer_load_dword v3, off, s[0:3], 0 offset:204
	buffer_load_dword v54, off, s[0:3], 0 offset:212
	;; [unrolled: 1-line block ×30, first 2 shown]
	ds_read2_b64 v[4:7], v2 offset0:73 offset1:74
	ds_read2_b64 v[8:11], v2 offset0:75 offset1:76
	;; [unrolled: 1-line block ×6, first 2 shown]
	buffer_load_dword v39, off, s[0:3], 0 offset:316
	buffer_load_dword v38, off, s[0:3], 0 offset:312
	ds_read2_b64 v[28:31], v2 offset0:85 offset1:86
	ds_read2_b64 v[32:35], v2 offset0:87 offset1:88
	buffer_load_dword v41, off, s[0:3], 0 offset:348
	buffer_load_dword v40, off, s[0:3], 0 offset:344
	;; [unrolled: 1-line block ×14, first 2 shown]
	v_cmp_lt_u32_e32 vcc, 23, v0
	s_waitcnt vmcnt(45) lgkmcnt(7)
	v_mul_f32_e32 v57, v4, v3
	v_mul_f32_e32 v3, v5, v3
	s_waitcnt vmcnt(44)
	v_mul_f32_e32 v59, v6, v54
	s_waitcnt vmcnt(43) lgkmcnt(6)
	v_mul_f32_e32 v178, v8, v56
	s_waitcnt vmcnt(42)
	v_mul_f32_e32 v179, v10, v58
	s_waitcnt vmcnt(41) lgkmcnt(5)
	;; [unrolled: 4-line block ×5, first 2 shown]
	v_mul_f32_e32 v186, v24, v66
	s_waitcnt vmcnt(34)
	v_mul_f32_e32 v187, v26, v67
	s_waitcnt vmcnt(32)
	v_fma_f32 v3, v4, v69, -v3
	v_mul_f32_e32 v4, v7, v54
	v_add_f32_e32 v3, 0, v3
	s_waitcnt vmcnt(31)
	v_fma_f32 v4, v6, v70, -v4
	v_add_f32_e32 v3, v3, v4
	v_mul_f32_e32 v4, v9, v56
	s_waitcnt vmcnt(30)
	v_fma_f32 v4, v8, v71, -v4
	v_add_f32_e32 v3, v3, v4
	v_mul_f32_e32 v4, v11, v58
	;; [unrolled: 4-line block ×5, first 2 shown]
	v_fmac_f32_e32 v57, v5, v69
	s_waitcnt vmcnt(26)
	v_fma_f32 v4, v16, v75, -v4
	v_fmac_f32_e32 v59, v7, v70
	v_add_f32_e32 v57, 0, v57
	v_add_f32_e32 v3, v3, v4
	v_mul_f32_e32 v4, v19, v63
	v_fmac_f32_e32 v178, v9, v71
	v_add_f32_e32 v57, v57, v59
	s_waitcnt vmcnt(25)
	v_fma_f32 v4, v18, v76, -v4
	v_fmac_f32_e32 v179, v11, v72
	v_add_f32_e32 v57, v57, v178
	v_add_f32_e32 v3, v3, v4
	v_mul_f32_e32 v4, v21, v64
	v_fmac_f32_e32 v180, v13, v73
	v_add_f32_e32 v57, v57, v179
	;; [unrolled: 8-line block ×5, first 2 shown]
	s_waitcnt vmcnt(21)
	v_fma_f32 v4, v26, v174, -v4
	s_waitcnt vmcnt(15)
	v_mov_b32_e32 v16, v39
	s_waitcnt lgkmcnt(1)
	v_mul_f32_e32 v55, v28, v68
	v_fmac_f32_e32 v187, v27, v174
	v_add_f32_e32 v57, v57, v186
	v_add_f32_e32 v56, v3, v4
	v_mul_f32_e32 v3, v29, v68
	s_waitcnt lgkmcnt(0)
	v_pk_mul_f32 v[16:17], v[32:33], v[16:17] op_sel_hi:[1,0]
	v_fmac_f32_e32 v55, v29, v175
	v_add_f32_e32 v57, v57, v187
	v_mul_f32_e32 v59, v30, v176
	v_fma_f32 v54, v28, v175, -v3
	v_mul_f32_e32 v3, v31, v176
	s_waitcnt vmcnt(14)
	v_pk_fma_f32 v[18:19], v[32:33], v[38:39], v[16:17] op_sel:[0,0,1] op_sel_hi:[1,1,0] neg_lo:[0,0,1] neg_hi:[0,0,1]
	v_pk_fma_f32 v[16:17], v[32:33], v[38:39], v[16:17] op_sel:[0,0,1] op_sel_hi:[1,0,0]
	v_fmac_f32_e32 v59, v31, v177
	v_fma_f32 v58, v30, v177, -v3
	ds_read2_b64 v[4:7], v2 offset0:89 offset1:90
	ds_read2_b64 v[8:11], v2 offset0:91 offset1:92
	;; [unrolled: 1-line block ×3, first 2 shown]
	v_pk_add_f32 v[2:3], v[56:57], v[54:55]
	s_waitcnt vmcnt(7)
	v_mov_b32_e32 v16, v47
	v_pk_add_f32 v[2:3], v[2:3], v[58:59]
	v_mov_b32_e32 v19, v17
	v_pk_mul_f32 v[16:17], v[34:35], v[16:17] op_sel_hi:[1,0]
	v_pk_add_f32 v[2:3], v[2:3], v[18:19]
	s_waitcnt vmcnt(6)
	v_pk_fma_f32 v[18:19], v[34:35], v[46:47], v[16:17] op_sel:[0,0,1] op_sel_hi:[1,1,0] neg_lo:[0,0,1] neg_hi:[0,0,1]
	v_pk_fma_f32 v[16:17], v[34:35], v[46:47], v[16:17] op_sel:[0,0,1] op_sel_hi:[1,0,0]
	v_mov_b32_e32 v16, v45
	v_mov_b32_e32 v19, v17
	s_waitcnt lgkmcnt(2)
	v_pk_mul_f32 v[16:17], v[4:5], v[16:17] op_sel_hi:[1,0]
	v_pk_add_f32 v[2:3], v[2:3], v[18:19]
	v_pk_fma_f32 v[18:19], v[4:5], v[44:45], v[16:17] op_sel:[0,0,1] op_sel_hi:[1,1,0] neg_lo:[0,0,1] neg_hi:[0,0,1]
	v_pk_fma_f32 v[4:5], v[4:5], v[44:45], v[16:17] op_sel:[0,0,1] op_sel_hi:[1,0,0]
	v_mov_b32_e32 v4, v43
	v_mov_b32_e32 v19, v5
	v_pk_mul_f32 v[4:5], v[6:7], v[4:5] op_sel_hi:[1,0]
	v_pk_fma_f32 v[16:17], v[6:7], v[42:43], v[4:5] op_sel:[0,0,1] op_sel_hi:[1,1,0] neg_lo:[0,0,1] neg_hi:[0,0,1]
	v_pk_fma_f32 v[4:5], v[6:7], v[42:43], v[4:5] op_sel:[0,0,1] op_sel_hi:[1,0,0]
	v_mov_b32_e32 v4, v41
	v_mov_b32_e32 v17, v5
	s_waitcnt lgkmcnt(1)
	v_pk_mul_f32 v[4:5], v[8:9], v[4:5] op_sel_hi:[1,0]
	v_pk_fma_f32 v[6:7], v[8:9], v[40:41], v[4:5] op_sel:[0,0,1] op_sel_hi:[1,1,0] neg_lo:[0,0,1] neg_hi:[0,0,1]
	v_pk_fma_f32 v[4:5], v[8:9], v[40:41], v[4:5] op_sel:[0,0,1] op_sel_hi:[1,0,0]
	v_pk_add_f32 v[2:3], v[2:3], v[18:19]
	s_waitcnt vmcnt(1)
	v_mov_b32_e32 v4, v53
	v_pk_add_f32 v[2:3], v[2:3], v[16:17]
	v_mov_b32_e32 v7, v5
	v_pk_mul_f32 v[4:5], v[10:11], v[4:5] op_sel_hi:[1,0]
	v_pk_add_f32 v[2:3], v[2:3], v[6:7]
	s_waitcnt vmcnt(0)
	v_pk_fma_f32 v[6:7], v[10:11], v[52:53], v[4:5] op_sel:[0,0,1] op_sel_hi:[1,1,0] neg_lo:[0,0,1] neg_hi:[0,0,1]
	v_pk_fma_f32 v[4:5], v[10:11], v[52:53], v[4:5] op_sel:[0,0,1] op_sel_hi:[1,0,0]
	v_mov_b32_e32 v4, v51
	v_mov_b32_e32 v7, v5
	s_waitcnt lgkmcnt(0)
	v_pk_mul_f32 v[4:5], v[12:13], v[4:5] op_sel_hi:[1,0]
	v_pk_add_f32 v[2:3], v[2:3], v[6:7]
	v_pk_fma_f32 v[6:7], v[12:13], v[50:51], v[4:5] op_sel:[0,0,1] op_sel_hi:[1,1,0] neg_lo:[0,0,1] neg_hi:[0,0,1]
	v_pk_fma_f32 v[4:5], v[12:13], v[50:51], v[4:5] op_sel:[0,0,1] op_sel_hi:[1,0,0]
	v_mov_b32_e32 v4, v49
	v_mov_b32_e32 v7, v5
	v_pk_mul_f32 v[4:5], v[14:15], v[4:5] op_sel_hi:[1,0]
	v_pk_add_f32 v[2:3], v[2:3], v[6:7]
	v_pk_fma_f32 v[6:7], v[14:15], v[48:49], v[4:5] op_sel:[0,0,1] op_sel_hi:[1,1,0] neg_lo:[0,0,1] neg_hi:[0,0,1]
	v_pk_fma_f32 v[4:5], v[14:15], v[48:49], v[4:5] op_sel:[0,0,1] op_sel_hi:[1,0,0]
	v_mov_b32_e32 v7, v5
	v_pk_add_f32 v[2:3], v[2:3], v[6:7]
	v_pk_add_f32 v[2:3], v[36:37], v[2:3] neg_lo:[0,1] neg_hi:[0,1]
	buffer_store_dword v3, off, s[0:3], 0 offset:196
	buffer_store_dword v2, off, s[0:3], 0 offset:192
	s_and_saveexec_b64 s[4:5], vcc
	s_cbranch_execz .LBB46_249
; %bb.248:
	buffer_load_dword v2, off, s[0:3], 0 offset:184
	buffer_load_dword v3, off, s[0:3], 0 offset:188
	v_mov_b32_e32 v4, 0
	buffer_store_dword v4, off, s[0:3], 0 offset:184
	buffer_store_dword v4, off, s[0:3], 0 offset:188
	s_waitcnt vmcnt(2)
	ds_write_b64 v89, v[2:3]
.LBB46_249:
	s_or_b64 exec, exec, s[4:5]
	s_waitcnt lgkmcnt(0)
	; wave barrier
	s_waitcnt lgkmcnt(0)
	buffer_load_dword v3, off, s[0:3], 0 offset:196
	buffer_load_dword v52, off, s[0:3], 0 offset:204
	;; [unrolled: 1-line block ×32, first 2 shown]
	v_mov_b32_e32 v2, 0
	buffer_load_dword v39, off, s[0:3], 0 offset:340
	buffer_load_dword v38, off, s[0:3], 0 offset:336
	;; [unrolled: 1-line block ×13, first 2 shown]
	ds_read_b128 v[4:7], v2 offset:576
	ds_read_b128 v[8:11], v2 offset:592
	;; [unrolled: 1-line block ×8, first 2 shown]
	v_cmp_lt_u32_e32 vcc, 22, v0
	s_waitcnt vmcnt(44) lgkmcnt(7)
	v_mul_f32_e32 v46, v4, v3
	s_waitcnt vmcnt(43)
	v_mul_f32_e32 v53, v6, v52
	s_waitcnt vmcnt(42) lgkmcnt(6)
	v_mul_f32_e32 v54, v8, v56
	s_waitcnt vmcnt(41)
	v_mul_f32_e32 v55, v10, v58
	;; [unrolled: 4-line block ×6, first 2 shown]
	s_waitcnt vmcnt(32) lgkmcnt(1)
	v_mul_f32_e32 v186, v28, v68
	s_waitcnt vmcnt(31)
	v_fmac_f32_e32 v46, v5, v69
	s_waitcnt vmcnt(30)
	v_fmac_f32_e32 v53, v7, v70
	v_add_f32_e32 v46, 0, v46
	s_waitcnt vmcnt(29)
	v_fmac_f32_e32 v54, v9, v71
	v_add_f32_e32 v46, v46, v53
	;; [unrolled: 3-line block ×12, first 2 shown]
	v_add_f32_e32 v53, v46, v186
	buffer_load_dword v55, off, s[0:3], 0 offset:356
	buffer_load_dword v54, off, s[0:3], 0 offset:352
	;; [unrolled: 1-line block ×3, first 2 shown]
	v_mul_f32_e32 v3, v5, v3
	v_fma_f32 v3, v4, v69, -v3
	v_mul_f32_e32 v4, v7, v52
	v_add_f32_e32 v3, 0, v3
	v_fma_f32 v4, v6, v70, -v4
	v_add_f32_e32 v3, v3, v4
	v_mul_f32_e32 v4, v9, v56
	v_fma_f32 v4, v8, v71, -v4
	v_add_f32_e32 v3, v3, v4
	v_mul_f32_e32 v4, v11, v58
	;; [unrolled: 3-line block ×11, first 2 shown]
	v_fma_f32 v4, v28, v175, -v4
	s_waitcnt vmcnt(9)
	v_mov_b32_e32 v20, v45
	v_mul_f32_e32 v57, v30, v176
	v_add_f32_e32 v52, v3, v4
	v_mul_f32_e32 v3, v31, v176
	s_waitcnt lgkmcnt(0)
	v_pk_mul_f32 v[20:21], v[34:35], v[20:21] op_sel_hi:[1,0]
	v_fmac_f32_e32 v57, v31, v177
	v_mul_f32_e32 v59, v32, v178
	v_fma_f32 v56, v30, v177, -v3
	v_mul_f32_e32 v3, v33, v178
	ds_read_b128 v[4:7], v2 offset:704
	ds_read_b128 v[8:11], v2 offset:720
	;; [unrolled: 1-line block ×3, first 2 shown]
	ds_read_b64 v[16:17], v2 offset:752
	s_waitcnt vmcnt(8)
	v_pk_fma_f32 v[22:23], v[34:35], v[44:45], v[20:21] op_sel:[0,0,1] op_sel_hi:[1,1,0] neg_lo:[0,0,1] neg_hi:[0,0,1]
	v_pk_fma_f32 v[20:21], v[34:35], v[44:45], v[20:21] op_sel:[0,0,1] op_sel_hi:[1,0,0]
	v_fmac_f32_e32 v59, v33, v179
	v_fma_f32 v58, v32, v179, -v3
	v_pk_add_f32 v[18:19], v[52:53], v[56:57]
	v_mov_b32_e32 v20, v43
	v_pk_add_f32 v[18:19], v[18:19], v[58:59]
	v_mov_b32_e32 v23, v21
	s_waitcnt lgkmcnt(3)
	v_pk_mul_f32 v[20:21], v[4:5], v[20:21] op_sel_hi:[1,0]
	v_pk_add_f32 v[18:19], v[18:19], v[22:23]
	v_pk_fma_f32 v[22:23], v[4:5], v[42:43], v[20:21] op_sel:[0,0,1] op_sel_hi:[1,1,0] neg_lo:[0,0,1] neg_hi:[0,0,1]
	v_pk_fma_f32 v[4:5], v[4:5], v[42:43], v[20:21] op_sel:[0,0,1] op_sel_hi:[1,0,0]
	v_mov_b32_e32 v23, v5
	v_pk_add_f32 v[4:5], v[18:19], v[22:23]
	v_mov_b32_e32 v18, v41
	v_pk_mul_f32 v[18:19], v[6:7], v[18:19] op_sel_hi:[1,0]
	v_pk_fma_f32 v[20:21], v[6:7], v[40:41], v[18:19] op_sel:[0,0,1] op_sel_hi:[1,1,0] neg_lo:[0,0,1] neg_hi:[0,0,1]
	v_pk_fma_f32 v[6:7], v[6:7], v[40:41], v[18:19] op_sel:[0,0,1] op_sel_hi:[1,0,0]
	v_mov_b32_e32 v6, v39
	v_mov_b32_e32 v21, v7
	s_waitcnt lgkmcnt(2)
	v_pk_mul_f32 v[6:7], v[8:9], v[6:7] op_sel_hi:[1,0]
	v_pk_fma_f32 v[18:19], v[8:9], v[38:39], v[6:7] op_sel:[0,0,1] op_sel_hi:[1,1,0] neg_lo:[0,0,1] neg_hi:[0,0,1]
	v_pk_fma_f32 v[6:7], v[8:9], v[38:39], v[6:7] op_sel:[0,0,1] op_sel_hi:[1,0,0]
	s_waitcnt vmcnt(7)
	v_mov_b32_e32 v6, v47
	v_mov_b32_e32 v19, v7
	v_pk_mul_f32 v[6:7], v[10:11], v[6:7] op_sel_hi:[1,0]
	v_pk_add_f32 v[4:5], v[4:5], v[20:21]
	v_pk_add_f32 v[4:5], v[4:5], v[18:19]
	s_waitcnt vmcnt(0)
	v_pk_fma_f32 v[8:9], v[10:11], v[46:47], v[6:7] op_sel:[0,0,1] op_sel_hi:[1,1,0] neg_lo:[0,0,1] neg_hi:[0,0,1]
	v_pk_fma_f32 v[6:7], v[10:11], v[46:47], v[6:7] op_sel:[0,0,1] op_sel_hi:[1,0,0]
	v_mov_b32_e32 v6, v55
	v_mov_b32_e32 v9, v7
	s_waitcnt lgkmcnt(1)
	v_pk_mul_f32 v[6:7], v[12:13], v[6:7] op_sel_hi:[1,0]
	v_pk_add_f32 v[4:5], v[4:5], v[8:9]
	v_pk_fma_f32 v[8:9], v[12:13], v[54:55], v[6:7] op_sel:[0,0,1] op_sel_hi:[1,1,0] neg_lo:[0,0,1] neg_hi:[0,0,1]
	v_pk_fma_f32 v[6:7], v[12:13], v[54:55], v[6:7] op_sel:[0,0,1] op_sel_hi:[1,0,0]
	v_mov_b32_e32 v6, v51
	v_mov_b32_e32 v9, v7
	v_pk_mul_f32 v[6:7], v[14:15], v[6:7] op_sel_hi:[1,0]
	v_pk_add_f32 v[4:5], v[4:5], v[8:9]
	v_pk_fma_f32 v[8:9], v[14:15], v[50:51], v[6:7] op_sel:[0,0,1] op_sel_hi:[1,1,0] neg_lo:[0,0,1] neg_hi:[0,0,1]
	v_pk_fma_f32 v[6:7], v[14:15], v[50:51], v[6:7] op_sel:[0,0,1] op_sel_hi:[1,0,0]
	v_mov_b32_e32 v6, v49
	v_mov_b32_e32 v9, v7
	s_waitcnt lgkmcnt(0)
	v_pk_mul_f32 v[6:7], v[16:17], v[6:7] op_sel_hi:[1,0]
	v_pk_add_f32 v[4:5], v[4:5], v[8:9]
	v_pk_fma_f32 v[8:9], v[16:17], v[48:49], v[6:7] op_sel:[0,0,1] op_sel_hi:[1,1,0] neg_lo:[0,0,1] neg_hi:[0,0,1]
	v_pk_fma_f32 v[6:7], v[16:17], v[48:49], v[6:7] op_sel:[0,0,1] op_sel_hi:[1,0,0]
	v_mov_b32_e32 v9, v7
	v_pk_add_f32 v[4:5], v[4:5], v[8:9]
	v_pk_add_f32 v[4:5], v[36:37], v[4:5] neg_lo:[0,1] neg_hi:[0,1]
	buffer_store_dword v5, off, s[0:3], 0 offset:188
	buffer_store_dword v4, off, s[0:3], 0 offset:184
	s_and_saveexec_b64 s[4:5], vcc
	s_cbranch_execz .LBB46_251
; %bb.250:
	buffer_load_dword v4, off, s[0:3], 0 offset:176
	buffer_load_dword v5, off, s[0:3], 0 offset:180
	s_waitcnt vmcnt(0)
	ds_write_b64 v89, v[4:5]
	buffer_store_dword v2, off, s[0:3], 0 offset:176
	buffer_store_dword v2, off, s[0:3], 0 offset:180
.LBB46_251:
	s_or_b64 exec, exec, s[4:5]
	s_waitcnt lgkmcnt(0)
	; wave barrier
	s_waitcnt lgkmcnt(0)
	buffer_load_dword v3, off, s[0:3], 0 offset:188
	buffer_load_dword v52, off, s[0:3], 0 offset:196
	;; [unrolled: 1-line block ×34, first 2 shown]
	ds_read2_b64 v[4:7], v2 offset0:71 offset1:72
	ds_read2_b64 v[8:11], v2 offset0:73 offset1:74
	;; [unrolled: 1-line block ×8, first 2 shown]
	buffer_load_dword v39, off, s[0:3], 0 offset:332
	buffer_load_dword v38, off, s[0:3], 0 offset:328
	;; [unrolled: 1-line block ×9, first 2 shown]
	v_cmp_lt_u32_e32 vcc, 21, v0
	s_waitcnt vmcnt(42) lgkmcnt(7)
	v_mul_f32_e32 v44, v4, v3
	s_waitcnt vmcnt(41)
	v_mul_f32_e32 v48, v6, v52
	s_waitcnt vmcnt(40) lgkmcnt(6)
	v_mul_f32_e32 v49, v8, v54
	s_waitcnt vmcnt(39)
	v_mul_f32_e32 v50, v10, v56
	;; [unrolled: 4-line block ×6, first 2 shown]
	s_waitcnt vmcnt(30) lgkmcnt(1)
	v_mul_f32_e32 v184, v28, v68
	v_mul_f32_e32 v3, v5, v3
	s_waitcnt vmcnt(28)
	v_fmac_f32_e32 v44, v5, v70
	s_waitcnt vmcnt(27)
	v_fmac_f32_e32 v48, v7, v71
	v_add_f32_e32 v44, 0, v44
	s_waitcnt vmcnt(26)
	v_fmac_f32_e32 v49, v9, v72
	v_add_f32_e32 v44, v44, v48
	s_waitcnt vmcnt(25)
	v_fmac_f32_e32 v50, v11, v73
	v_add_f32_e32 v44, v44, v49
	s_waitcnt vmcnt(24)
	v_fmac_f32_e32 v51, v13, v74
	v_add_f32_e32 v44, v44, v50
	s_waitcnt vmcnt(23)
	v_fmac_f32_e32 v53, v15, v75
	v_add_f32_e32 v44, v44, v51
	s_waitcnt vmcnt(22)
	v_fmac_f32_e32 v55, v17, v76
	v_add_f32_e32 v44, v44, v53
	s_waitcnt vmcnt(21)
	v_fmac_f32_e32 v57, v19, v77
	v_add_f32_e32 v44, v44, v55
	s_waitcnt vmcnt(20)
	v_fmac_f32_e32 v58, v21, v172
	v_add_f32_e32 v44, v44, v57
	s_waitcnt vmcnt(19)
	v_fmac_f32_e32 v59, v23, v173
	v_add_f32_e32 v44, v44, v58
	s_waitcnt vmcnt(18)
	v_fmac_f32_e32 v182, v25, v174
	v_add_f32_e32 v44, v44, v59
	s_waitcnt vmcnt(17)
	v_fmac_f32_e32 v183, v27, v175
	v_add_f32_e32 v44, v44, v182
	s_waitcnt vmcnt(16)
	v_fmac_f32_e32 v184, v29, v176
	v_add_f32_e32 v44, v44, v183
	v_add_f32_e32 v53, v44, v184
	buffer_load_dword v49, off, s[0:3], 0 offset:356
	buffer_load_dword v48, off, s[0:3], 0 offset:352
	;; [unrolled: 1-line block ×7, first 2 shown]
	v_fma_f32 v3, v4, v70, -v3
	v_mul_f32_e32 v4, v7, v52
	v_add_f32_e32 v3, 0, v3
	v_fma_f32 v4, v6, v71, -v4
	v_add_f32_e32 v3, v3, v4
	v_mul_f32_e32 v4, v9, v54
	v_fma_f32 v4, v8, v72, -v4
	v_add_f32_e32 v3, v3, v4
	v_mul_f32_e32 v4, v11, v56
	;; [unrolled: 3-line block ×12, first 2 shown]
	s_waitcnt vmcnt(22)
	v_fma_f32 v4, v30, v177, -v4
	v_add_f32_e32 v52, v3, v4
	ds_read2_b64 v[4:7], v2 offset0:87 offset1:88
	ds_read2_b64 v[8:11], v2 offset0:89 offset1:90
	;; [unrolled: 1-line block ×4, first 2 shown]
	s_waitcnt vmcnt(11)
	v_mov_b32_e32 v20, v43
	s_waitcnt lgkmcnt(3)
	v_pk_mul_f32 v[20:21], v[4:5], v[20:21] op_sel_hi:[1,0]
	s_waitcnt vmcnt(10)
	v_pk_fma_f32 v[22:23], v[4:5], v[42:43], v[20:21] op_sel:[0,0,1] op_sel_hi:[1,1,0] neg_lo:[0,0,1] neg_hi:[0,0,1]
	v_pk_fma_f32 v[4:5], v[4:5], v[42:43], v[20:21] op_sel:[0,0,1] op_sel_hi:[1,0,0]
	v_mov_b32_e32 v4, v41
	v_mul_f32_e32 v185, v30, v69
	v_mov_b32_e32 v23, v5
	v_pk_mul_f32 v[4:5], v[6:7], v[4:5] op_sel_hi:[1,0]
	v_fmac_f32_e32 v185, v31, v177
	v_mul_f32_e32 v55, v32, v178
	v_mul_f32_e32 v3, v33, v178
	v_pk_fma_f32 v[20:21], v[6:7], v[40:41], v[4:5] op_sel:[0,0,1] op_sel_hi:[1,1,0] neg_lo:[0,0,1] neg_hi:[0,0,1]
	v_pk_fma_f32 v[4:5], v[6:7], v[40:41], v[4:5] op_sel:[0,0,1] op_sel_hi:[1,0,0]
	v_add_f32_e32 v53, v53, v185
	v_fmac_f32_e32 v55, v33, v179
	v_mul_f32_e32 v57, v34, v180
	v_fma_f32 v54, v32, v179, -v3
	v_mul_f32_e32 v3, v35, v180
	v_mov_b32_e32 v4, v39
	v_fmac_f32_e32 v57, v35, v181
	v_fma_f32 v56, v34, v181, -v3
	v_pk_add_f32 v[2:3], v[52:53], v[54:55]
	v_mov_b32_e32 v21, v5
	s_waitcnt lgkmcnt(2)
	v_pk_mul_f32 v[4:5], v[8:9], v[4:5] op_sel_hi:[1,0]
	v_pk_add_f32 v[2:3], v[2:3], v[56:57]
	v_pk_fma_f32 v[6:7], v[8:9], v[38:39], v[4:5] op_sel:[0,0,1] op_sel_hi:[1,1,0] neg_lo:[0,0,1] neg_hi:[0,0,1]
	v_pk_fma_f32 v[4:5], v[8:9], v[38:39], v[4:5] op_sel:[0,0,1] op_sel_hi:[1,0,0]
	v_pk_add_f32 v[2:3], v[2:3], v[22:23]
	s_waitcnt vmcnt(9)
	v_mov_b32_e32 v4, v45
	v_pk_add_f32 v[2:3], v[2:3], v[20:21]
	v_mov_b32_e32 v7, v5
	v_pk_mul_f32 v[4:5], v[10:11], v[4:5] op_sel_hi:[1,0]
	v_pk_add_f32 v[2:3], v[2:3], v[6:7]
	s_waitcnt vmcnt(2)
	v_pk_fma_f32 v[6:7], v[10:11], v[44:45], v[4:5] op_sel:[0,0,1] op_sel_hi:[1,1,0] neg_lo:[0,0,1] neg_hi:[0,0,1]
	v_pk_fma_f32 v[4:5], v[10:11], v[44:45], v[4:5] op_sel:[0,0,1] op_sel_hi:[1,0,0]
	v_mov_b32_e32 v4, v51
	v_mov_b32_e32 v7, v5
	s_waitcnt lgkmcnt(1)
	v_pk_mul_f32 v[4:5], v[12:13], v[4:5] op_sel_hi:[1,0]
	v_pk_add_f32 v[2:3], v[2:3], v[6:7]
	v_pk_fma_f32 v[6:7], v[12:13], v[50:51], v[4:5] op_sel:[0,0,1] op_sel_hi:[1,1,0] neg_lo:[0,0,1] neg_hi:[0,0,1]
	v_pk_fma_f32 v[4:5], v[12:13], v[50:51], v[4:5] op_sel:[0,0,1] op_sel_hi:[1,0,0]
	v_mov_b32_e32 v4, v49
	v_mov_b32_e32 v7, v5
	v_pk_mul_f32 v[4:5], v[14:15], v[4:5] op_sel_hi:[1,0]
	v_pk_add_f32 v[2:3], v[2:3], v[6:7]
	v_pk_fma_f32 v[6:7], v[14:15], v[48:49], v[4:5] op_sel:[0,0,1] op_sel_hi:[1,1,0] neg_lo:[0,0,1] neg_hi:[0,0,1]
	v_pk_fma_f32 v[4:5], v[14:15], v[48:49], v[4:5] op_sel:[0,0,1] op_sel_hi:[1,0,0]
	v_mov_b32_e32 v4, v47
	v_mov_b32_e32 v7, v5
	s_waitcnt lgkmcnt(0)
	v_pk_mul_f32 v[4:5], v[16:17], v[4:5] op_sel_hi:[1,0]
	v_pk_add_f32 v[2:3], v[2:3], v[6:7]
	v_pk_fma_f32 v[6:7], v[16:17], v[46:47], v[4:5] op_sel:[0,0,1] op_sel_hi:[1,1,0] neg_lo:[0,0,1] neg_hi:[0,0,1]
	v_pk_fma_f32 v[4:5], v[16:17], v[46:47], v[4:5] op_sel:[0,0,1] op_sel_hi:[1,0,0]
	s_waitcnt vmcnt(1)
	v_mov_b32_e32 v4, v59
	v_mov_b32_e32 v7, v5
	v_pk_mul_f32 v[4:5], v[18:19], v[4:5] op_sel_hi:[1,0]
	v_pk_add_f32 v[2:3], v[2:3], v[6:7]
	s_waitcnt vmcnt(0)
	v_pk_fma_f32 v[6:7], v[18:19], v[58:59], v[4:5] op_sel:[0,0,1] op_sel_hi:[1,1,0] neg_lo:[0,0,1] neg_hi:[0,0,1]
	v_pk_fma_f32 v[4:5], v[18:19], v[58:59], v[4:5] op_sel:[0,0,1] op_sel_hi:[1,0,0]
	v_mov_b32_e32 v7, v5
	v_pk_add_f32 v[2:3], v[2:3], v[6:7]
	v_pk_add_f32 v[2:3], v[36:37], v[2:3] neg_lo:[0,1] neg_hi:[0,1]
	buffer_store_dword v3, off, s[0:3], 0 offset:180
	buffer_store_dword v2, off, s[0:3], 0 offset:176
	s_and_saveexec_b64 s[4:5], vcc
	s_cbranch_execz .LBB46_253
; %bb.252:
	buffer_load_dword v2, off, s[0:3], 0 offset:168
	buffer_load_dword v3, off, s[0:3], 0 offset:172
	v_mov_b32_e32 v4, 0
	buffer_store_dword v4, off, s[0:3], 0 offset:168
	buffer_store_dword v4, off, s[0:3], 0 offset:172
	s_waitcnt vmcnt(2)
	ds_write_b64 v89, v[2:3]
.LBB46_253:
	s_or_b64 exec, exec, s[4:5]
	s_waitcnt lgkmcnt(0)
	; wave barrier
	s_waitcnt lgkmcnt(0)
	buffer_load_dword v5, off, s[0:3], 0 offset:180
	buffer_load_dword v58, off, s[0:3], 0 offset:188
	;; [unrolled: 1-line block ×36, first 2 shown]
	v_mov_b32_e32 v4, 0
	buffer_load_dword v47, off, s[0:3], 0 offset:324
	buffer_load_dword v46, off, s[0:3], 0 offset:320
	buffer_load_dword v49, off, s[0:3], 0 offset:316
	buffer_load_dword v48, off, s[0:3], 0 offset:312
	buffer_load_dword v51, off, s[0:3], 0 offset:332
	ds_read_b128 v[6:9], v4 offset:560
	ds_read_b128 v[10:13], v4 offset:576
	;; [unrolled: 1-line block ×8, first 2 shown]
	v_cmp_lt_u32_e32 vcc, 20, v0
	s_waitcnt vmcnt(40) lgkmcnt(7)
	v_mul_f32_e32 v38, v6, v5
	s_waitcnt vmcnt(39)
	v_mul_f32_e32 v39, v8, v58
	s_waitcnt vmcnt(38) lgkmcnt(6)
	v_mul_f32_e32 v40, v10, v60
	s_waitcnt vmcnt(37)
	v_mul_f32_e32 v41, v12, v62
	;; [unrolled: 4-line block ×7, first 2 shown]
	s_waitcnt vmcnt(26) lgkmcnt(0)
	v_mul_f32_e32 v59, v34, v172
	s_waitcnt vmcnt(25)
	v_fmac_f32_e32 v38, v7, v173
	s_waitcnt vmcnt(24)
	v_fmac_f32_e32 v39, v9, v174
	v_add_f32_e32 v38, 0, v38
	s_waitcnt vmcnt(23)
	v_fmac_f32_e32 v40, v11, v175
	v_add_f32_e32 v38, v38, v39
	;; [unrolled: 3-line block ×13, first 2 shown]
	v_add_f32_e32 v42, v38, v56
	buffer_load_dword v53, off, s[0:3], 0 offset:356
	buffer_load_dword v52, off, s[0:3], 0 offset:352
	;; [unrolled: 1-line block ×7, first 2 shown]
	s_waitcnt vmcnt(18)
	v_fmac_f32_e32 v59, v35, v187
	ds_read_b128 v[38:41], v4 offset:688
	v_add_f32_e32 v59, v42, v59
	ds_read_b128 v[42:45], v4 offset:704
	buffer_load_dword v65, off, s[0:3], 0 offset:372
	buffer_load_dword v64, off, s[0:3], 0 offset:368
	;; [unrolled: 1-line block ×4, first 2 shown]
	v_mul_f32_e32 v5, v7, v5
	v_fma_f32 v5, v6, v173, -v5
	v_mul_f32_e32 v6, v9, v58
	v_add_f32_e32 v5, 0, v5
	v_fma_f32 v6, v8, v174, -v6
	v_add_f32_e32 v5, v5, v6
	v_mul_f32_e32 v6, v11, v60
	v_fma_f32 v6, v10, v175, -v6
	v_add_f32_e32 v5, v5, v6
	v_mul_f32_e32 v6, v13, v62
	;; [unrolled: 3-line block ×13, first 2 shown]
	v_fma_f32 v6, v34, v187, -v6
	s_waitcnt vmcnt(13)
	v_mov_b32_e32 v18, v49
	v_mul_f32_e32 v61, v36, v188
	v_add_f32_e32 v58, v5, v6
	v_mul_f32_e32 v5, v37, v188
	s_waitcnt lgkmcnt(1)
	v_pk_mul_f32 v[18:19], v[40:41], v[18:19] op_sel_hi:[1,0]
	v_fmac_f32_e32 v61, v37, v189
	v_mul_f32_e32 v63, v38, v190
	v_fma_f32 v60, v36, v189, -v5
	v_mul_f32_e32 v5, v39, v190
	s_waitcnt vmcnt(12)
	v_pk_fma_f32 v[20:21], v[40:41], v[48:49], v[18:19] op_sel:[0,0,1] op_sel_hi:[1,1,0] neg_lo:[0,0,1] neg_hi:[0,0,1]
	v_pk_fma_f32 v[18:19], v[40:41], v[48:49], v[18:19] op_sel:[0,0,1] op_sel_hi:[1,0,0]
	v_fmac_f32_e32 v63, v39, v191
	v_fma_f32 v62, v38, v191, -v5
	v_pk_add_f32 v[16:17], v[58:59], v[60:61]
	v_mov_b32_e32 v18, v47
	v_pk_add_f32 v[16:17], v[16:17], v[62:63]
	v_mov_b32_e32 v21, v19
	s_waitcnt lgkmcnt(0)
	v_pk_mul_f32 v[18:19], v[42:43], v[18:19] op_sel_hi:[1,0]
	v_pk_add_f32 v[16:17], v[16:17], v[20:21]
	v_pk_fma_f32 v[20:21], v[42:43], v[46:47], v[18:19] op_sel:[0,0,1] op_sel_hi:[1,1,0] neg_lo:[0,0,1] neg_hi:[0,0,1]
	v_pk_fma_f32 v[18:19], v[42:43], v[46:47], v[18:19] op_sel:[0,0,1] op_sel_hi:[1,0,0]
	s_waitcnt vmcnt(11)
	v_mov_b32_e32 v18, v51
	ds_read_b128 v[6:9], v4 offset:720
	ds_read_b128 v[10:13], v4 offset:736
	ds_read_b64 v[14:15], v4 offset:752
	v_mov_b32_e32 v21, v19
	v_pk_mul_f32 v[18:19], v[44:45], v[18:19] op_sel_hi:[1,0]
	v_pk_add_f32 v[16:17], v[16:17], v[20:21]
	s_waitcnt vmcnt(4)
	v_pk_fma_f32 v[20:21], v[44:45], v[50:51], v[18:19] op_sel:[0,0,1] op_sel_hi:[1,1,0] neg_lo:[0,0,1] neg_hi:[0,0,1]
	v_pk_fma_f32 v[18:19], v[44:45], v[50:51], v[18:19] op_sel:[0,0,1] op_sel_hi:[1,0,0]
	v_mov_b32_e32 v18, v57
	v_mov_b32_e32 v21, v19
	s_waitcnt lgkmcnt(2)
	v_pk_mul_f32 v[18:19], v[6:7], v[18:19] op_sel_hi:[1,0]
	v_pk_add_f32 v[16:17], v[16:17], v[20:21]
	v_pk_fma_f32 v[20:21], v[6:7], v[56:57], v[18:19] op_sel:[0,0,1] op_sel_hi:[1,1,0] neg_lo:[0,0,1] neg_hi:[0,0,1]
	v_pk_fma_f32 v[6:7], v[6:7], v[56:57], v[18:19] op_sel:[0,0,1] op_sel_hi:[1,0,0]
	v_mov_b32_e32 v21, v7
	v_pk_add_f32 v[6:7], v[16:17], v[20:21]
	v_mov_b32_e32 v16, v55
	v_pk_mul_f32 v[16:17], v[8:9], v[16:17] op_sel_hi:[1,0]
	v_pk_fma_f32 v[18:19], v[8:9], v[54:55], v[16:17] op_sel:[0,0,1] op_sel_hi:[1,1,0] neg_lo:[0,0,1] neg_hi:[0,0,1]
	v_pk_fma_f32 v[8:9], v[8:9], v[54:55], v[16:17] op_sel:[0,0,1] op_sel_hi:[1,0,0]
	v_mov_b32_e32 v8, v53
	v_mov_b32_e32 v19, v9
	s_waitcnt lgkmcnt(1)
	v_pk_mul_f32 v[8:9], v[10:11], v[8:9] op_sel_hi:[1,0]
	v_pk_fma_f32 v[16:17], v[10:11], v[52:53], v[8:9] op_sel:[0,0,1] op_sel_hi:[1,1,0] neg_lo:[0,0,1] neg_hi:[0,0,1]
	v_pk_fma_f32 v[8:9], v[10:11], v[52:53], v[8:9] op_sel:[0,0,1] op_sel_hi:[1,0,0]
	s_waitcnt vmcnt(1)
	v_mov_b32_e32 v8, v67
	v_mov_b32_e32 v17, v9
	v_pk_mul_f32 v[8:9], v[12:13], v[8:9] op_sel_hi:[1,0]
	s_waitcnt vmcnt(0)
	v_pk_fma_f32 v[10:11], v[12:13], v[66:67], v[8:9] op_sel:[0,0,1] op_sel_hi:[1,1,0] neg_lo:[0,0,1] neg_hi:[0,0,1]
	v_pk_fma_f32 v[8:9], v[12:13], v[66:67], v[8:9] op_sel:[0,0,1] op_sel_hi:[1,0,0]
	v_pk_add_f32 v[6:7], v[6:7], v[18:19]
	v_mov_b32_e32 v8, v65
	v_pk_add_f32 v[6:7], v[6:7], v[16:17]
	v_mov_b32_e32 v11, v9
	s_waitcnt lgkmcnt(0)
	v_pk_mul_f32 v[8:9], v[14:15], v[8:9] op_sel_hi:[1,0]
	v_pk_add_f32 v[6:7], v[6:7], v[10:11]
	v_pk_fma_f32 v[10:11], v[14:15], v[64:65], v[8:9] op_sel:[0,0,1] op_sel_hi:[1,1,0] neg_lo:[0,0,1] neg_hi:[0,0,1]
	v_pk_fma_f32 v[8:9], v[14:15], v[64:65], v[8:9] op_sel:[0,0,1] op_sel_hi:[1,0,0]
	v_mov_b32_e32 v11, v9
	v_pk_add_f32 v[6:7], v[6:7], v[10:11]
	v_pk_add_f32 v[2:3], v[2:3], v[6:7] neg_lo:[0,1] neg_hi:[0,1]
	buffer_store_dword v3, off, s[0:3], 0 offset:172
	buffer_store_dword v2, off, s[0:3], 0 offset:168
	s_and_saveexec_b64 s[4:5], vcc
	s_cbranch_execz .LBB46_255
; %bb.254:
	buffer_load_dword v2, off, s[0:3], 0 offset:160
	buffer_load_dword v3, off, s[0:3], 0 offset:164
	s_waitcnt vmcnt(0)
	ds_write_b64 v89, v[2:3]
	buffer_store_dword v4, off, s[0:3], 0 offset:160
	buffer_store_dword v4, off, s[0:3], 0 offset:164
.LBB46_255:
	s_or_b64 exec, exec, s[4:5]
	s_waitcnt lgkmcnt(0)
	; wave barrier
	s_waitcnt lgkmcnt(0)
	buffer_load_dword v2, off, s[0:3], 0 offset:172
	buffer_load_dword v3, off, s[0:3], 0 offset:180
	;; [unrolled: 1-line block ×38, first 2 shown]
	ds_read2_b64 v[6:9], v4 offset0:69 offset1:70
	ds_read2_b64 v[10:13], v4 offset0:71 offset1:72
	ds_read2_b64 v[14:17], v4 offset0:73 offset1:74
	ds_read2_b64 v[18:21], v4 offset0:75 offset1:76
	ds_read2_b64 v[22:25], v4 offset0:77 offset1:78
	ds_read2_b64 v[26:29], v4 offset0:79 offset1:80
	ds_read2_b64 v[30:33], v4 offset0:81 offset1:82
	ds_read2_b64 v[34:37], v4 offset0:83 offset1:84
	buffer_load_dword v49, off, s[0:3], 0 offset:316
	buffer_load_dword v48, off, s[0:3], 0 offset:312
	;; [unrolled: 1-line block ×4, first 2 shown]
	v_cmp_lt_u32_e32 vcc, 19, v0
	s_waitcnt vmcnt(41) lgkmcnt(7)
	v_mul_f32_e32 v38, v6, v2
	s_waitcnt vmcnt(40)
	v_mul_f32_e32 v39, v8, v3
	s_waitcnt vmcnt(39) lgkmcnt(6)
	v_mul_f32_e32 v40, v10, v5
	s_waitcnt vmcnt(38)
	v_mul_f32_e32 v41, v12, v58
	;; [unrolled: 4-line block ×7, first 2 shown]
	s_waitcnt vmcnt(27) lgkmcnt(0)
	v_mul_f32_e32 v59, v34, v172
	s_waitcnt vmcnt(26)
	v_fmac_f32_e32 v38, v7, v173
	s_waitcnt vmcnt(25)
	v_fmac_f32_e32 v39, v9, v174
	v_add_f32_e32 v38, 0, v38
	s_waitcnt vmcnt(24)
	v_fmac_f32_e32 v40, v11, v175
	v_add_f32_e32 v38, v38, v39
	;; [unrolled: 3-line block ×13, first 2 shown]
	v_add_f32_e32 v38, v38, v57
	buffer_load_dword v53, off, s[0:3], 0 offset:340
	buffer_load_dword v52, off, s[0:3], 0 offset:336
	;; [unrolled: 1-line block ×6, first 2 shown]
	s_waitcnt vmcnt(18)
	v_fmac_f32_e32 v59, v35, v187
	s_waitcnt vmcnt(17)
	v_mul_f32_e32 v43, v36, v188
	v_add_f32_e32 v42, v38, v59
	s_waitcnt vmcnt(16)
	v_fmac_f32_e32 v43, v37, v189
	ds_read2_b64 v[38:41], v4 offset0:85 offset1:86
	v_add_f32_e32 v59, v42, v43
	ds_read2_b64 v[42:45], v4 offset0:87 offset1:88
	buffer_load_dword v65, off, s[0:3], 0 offset:372
	buffer_load_dword v64, off, s[0:3], 0 offset:368
	;; [unrolled: 1-line block ×6, first 2 shown]
	v_mul_f32_e32 v2, v7, v2
	v_fma_f32 v2, v6, v173, -v2
	v_mul_f32_e32 v3, v9, v3
	v_add_f32_e32 v2, 0, v2
	v_fma_f32 v3, v8, v174, -v3
	v_add_f32_e32 v2, v2, v3
	v_mul_f32_e32 v3, v11, v5
	v_fma_f32 v3, v10, v175, -v3
	v_add_f32_e32 v2, v2, v3
	v_mul_f32_e32 v3, v13, v58
	;; [unrolled: 3-line block ×14, first 2 shown]
	v_fma_f32 v3, v36, v189, -v3
	s_waitcnt vmcnt(15)
	v_mov_b32_e32 v16, v49
	s_waitcnt lgkmcnt(1)
	v_mul_f32_e32 v61, v38, v190
	v_add_f32_e32 v58, v2, v3
	v_mul_f32_e32 v2, v39, v190
	s_waitcnt lgkmcnt(0)
	v_pk_mul_f32 v[16:17], v[42:43], v[16:17] op_sel_hi:[1,0]
	v_fmac_f32_e32 v61, v39, v191
	v_mul_f32_e32 v63, v40, v192
	v_fma_f32 v60, v38, v191, -v2
	v_mul_f32_e32 v2, v41, v192
	s_waitcnt vmcnt(14)
	v_pk_fma_f32 v[18:19], v[42:43], v[48:49], v[16:17] op_sel:[0,0,1] op_sel_hi:[1,1,0] neg_lo:[0,0,1] neg_hi:[0,0,1]
	v_pk_fma_f32 v[16:17], v[42:43], v[48:49], v[16:17] op_sel:[0,0,1] op_sel_hi:[1,0,0]
	v_fmac_f32_e32 v63, v41, v193
	v_fma_f32 v62, v40, v193, -v2
	v_pk_add_f32 v[14:15], v[58:59], v[60:61]
	ds_read2_b64 v[6:9], v4 offset0:89 offset1:90
	ds_read2_b64 v[10:13], v4 offset0:91 offset1:92
	;; [unrolled: 1-line block ×3, first 2 shown]
	v_pk_add_f32 v[14:15], v[14:15], v[62:63]
	v_mov_b32_e32 v19, v17
	v_pk_add_f32 v[14:15], v[14:15], v[18:19]
	s_waitcnt vmcnt(7)
	v_mov_b32_e32 v16, v57
	v_pk_mul_f32 v[16:17], v[44:45], v[16:17] op_sel_hi:[1,0]
	s_waitcnt vmcnt(6)
	v_pk_fma_f32 v[18:19], v[44:45], v[56:57], v[16:17] op_sel:[0,0,1] op_sel_hi:[1,1,0] neg_lo:[0,0,1] neg_hi:[0,0,1]
	v_pk_fma_f32 v[16:17], v[44:45], v[56:57], v[16:17] op_sel:[0,0,1] op_sel_hi:[1,0,0]
	v_mov_b32_e32 v16, v55
	v_mov_b32_e32 v19, v17
	s_waitcnt lgkmcnt(2)
	v_pk_mul_f32 v[16:17], v[6:7], v[16:17] op_sel_hi:[1,0]
	v_pk_add_f32 v[14:15], v[14:15], v[18:19]
	v_pk_fma_f32 v[18:19], v[6:7], v[54:55], v[16:17] op_sel:[0,0,1] op_sel_hi:[1,1,0] neg_lo:[0,0,1] neg_hi:[0,0,1]
	v_pk_fma_f32 v[6:7], v[6:7], v[54:55], v[16:17] op_sel:[0,0,1] op_sel_hi:[1,0,0]
	v_mov_b32_e32 v19, v7
	v_pk_add_f32 v[6:7], v[14:15], v[18:19]
	v_mov_b32_e32 v14, v53
	v_pk_mul_f32 v[14:15], v[8:9], v[14:15] op_sel_hi:[1,0]
	v_pk_fma_f32 v[16:17], v[8:9], v[52:53], v[14:15] op_sel:[0,0,1] op_sel_hi:[1,1,0] neg_lo:[0,0,1] neg_hi:[0,0,1]
	v_pk_fma_f32 v[8:9], v[8:9], v[52:53], v[14:15] op_sel:[0,0,1] op_sel_hi:[1,0,0]
	v_mov_b32_e32 v8, v51
	v_mov_b32_e32 v17, v9
	s_waitcnt lgkmcnt(1)
	v_pk_mul_f32 v[8:9], v[10:11], v[8:9] op_sel_hi:[1,0]
	v_pk_fma_f32 v[14:15], v[10:11], v[50:51], v[8:9] op_sel:[0,0,1] op_sel_hi:[1,1,0] neg_lo:[0,0,1] neg_hi:[0,0,1]
	v_pk_fma_f32 v[8:9], v[10:11], v[50:51], v[8:9] op_sel:[0,0,1] op_sel_hi:[1,0,0]
	s_waitcnt vmcnt(1)
	v_mov_b32_e32 v8, v69
	v_mov_b32_e32 v15, v9
	v_pk_mul_f32 v[8:9], v[12:13], v[8:9] op_sel_hi:[1,0]
	s_waitcnt vmcnt(0)
	v_pk_fma_f32 v[10:11], v[12:13], v[68:69], v[8:9] op_sel:[0,0,1] op_sel_hi:[1,1,0] neg_lo:[0,0,1] neg_hi:[0,0,1]
	v_pk_fma_f32 v[8:9], v[12:13], v[68:69], v[8:9] op_sel:[0,0,1] op_sel_hi:[1,0,0]
	v_pk_add_f32 v[6:7], v[6:7], v[16:17]
	v_mov_b32_e32 v8, v67
	v_pk_add_f32 v[6:7], v[6:7], v[14:15]
	v_mov_b32_e32 v11, v9
	s_waitcnt lgkmcnt(0)
	v_pk_mul_f32 v[8:9], v[2:3], v[8:9] op_sel_hi:[1,0]
	v_pk_add_f32 v[6:7], v[6:7], v[10:11]
	v_pk_fma_f32 v[10:11], v[2:3], v[66:67], v[8:9] op_sel:[0,0,1] op_sel_hi:[1,1,0] neg_lo:[0,0,1] neg_hi:[0,0,1]
	v_pk_fma_f32 v[2:3], v[2:3], v[66:67], v[8:9] op_sel:[0,0,1] op_sel_hi:[1,0,0]
	v_mov_b32_e32 v11, v3
	v_pk_add_f32 v[2:3], v[6:7], v[10:11]
	v_mov_b32_e32 v6, v65
	v_pk_mul_f32 v[6:7], v[4:5], v[6:7] op_sel_hi:[1,0]
	v_pk_fma_f32 v[8:9], v[4:5], v[64:65], v[6:7] op_sel:[0,0,1] op_sel_hi:[1,1,0] neg_lo:[0,0,1] neg_hi:[0,0,1]
	v_pk_fma_f32 v[4:5], v[4:5], v[64:65], v[6:7] op_sel:[0,0,1] op_sel_hi:[1,0,0]
	v_mov_b32_e32 v9, v5
	v_pk_add_f32 v[2:3], v[2:3], v[8:9]
	v_pk_add_f32 v[2:3], v[46:47], v[2:3] neg_lo:[0,1] neg_hi:[0,1]
	buffer_store_dword v3, off, s[0:3], 0 offset:164
	buffer_store_dword v2, off, s[0:3], 0 offset:160
	s_and_saveexec_b64 s[4:5], vcc
	s_cbranch_execz .LBB46_257
; %bb.256:
	buffer_load_dword v2, off, s[0:3], 0 offset:152
	buffer_load_dword v3, off, s[0:3], 0 offset:156
	v_mov_b32_e32 v4, 0
	buffer_store_dword v4, off, s[0:3], 0 offset:152
	buffer_store_dword v4, off, s[0:3], 0 offset:156
	s_waitcnt vmcnt(2)
	ds_write_b64 v89, v[2:3]
.LBB46_257:
	s_or_b64 exec, exec, s[4:5]
	s_waitcnt lgkmcnt(0)
	; wave barrier
	s_waitcnt lgkmcnt(0)
	buffer_load_dword v5, off, s[0:3], 0 offset:164
	buffer_load_dword v54, off, s[0:3], 0 offset:172
	;; [unrolled: 1-line block ×40, first 2 shown]
	v_mov_b32_e32 v4, 0
	ds_read_b128 v[6:9], v4 offset:544
	ds_read_b128 v[10:13], v4 offset:560
	ds_read_b128 v[14:17], v4 offset:576
	ds_read_b128 v[18:21], v4 offset:592
	ds_read_b128 v[22:25], v4 offset:608
	ds_read_b128 v[26:29], v4 offset:624
	ds_read_b128 v[30:33], v4 offset:640
	ds_read_b128 v[34:37], v4 offset:656
	v_cmp_lt_u32_e32 vcc, 18, v0
	s_waitcnt vmcnt(39) lgkmcnt(7)
	v_mul_f32_e32 v38, v6, v5
	s_waitcnt vmcnt(38)
	v_mul_f32_e32 v39, v8, v54
	s_waitcnt vmcnt(37) lgkmcnt(6)
	v_mul_f32_e32 v40, v10, v56
	s_waitcnt vmcnt(36)
	v_mul_f32_e32 v41, v12, v58
	;; [unrolled: 4-line block ×8, first 2 shown]
	s_waitcnt vmcnt(23)
	v_fmac_f32_e32 v38, v7, v174
	s_waitcnt vmcnt(22)
	v_fmac_f32_e32 v39, v9, v175
	v_add_f32_e32 v38, 0, v38
	s_waitcnt vmcnt(21)
	v_fmac_f32_e32 v40, v11, v176
	v_add_f32_e32 v38, v38, v39
	;; [unrolled: 3-line block ×14, first 2 shown]
	v_add_f32_e32 v38, v38, v52
	s_waitcnt vmcnt(8)
	v_fmac_f32_e32 v53, v37, v189
	v_add_f32_e32 v55, v38, v53
	ds_read_b128 v[38:41], v4 offset:672
	buffer_load_dword v47, off, s[0:3], 0 offset:316
	buffer_load_dword v49, off, s[0:3], 0 offset:340
	;; [unrolled: 1-line block ×8, first 2 shown]
	ds_read_b128 v[42:45], v4 offset:688
	buffer_load_dword v61, off, s[0:3], 0 offset:372
	buffer_load_dword v60, off, s[0:3], 0 offset:368
	;; [unrolled: 1-line block ×8, first 2 shown]
	v_mul_f32_e32 v5, v7, v5
	v_fma_f32 v5, v6, v174, -v5
	v_mul_f32_e32 v6, v9, v54
	v_add_f32_e32 v5, 0, v5
	v_fma_f32 v6, v8, v175, -v6
	v_add_f32_e32 v5, v5, v6
	v_mul_f32_e32 v6, v11, v56
	v_fma_f32 v6, v10, v176, -v6
	v_add_f32_e32 v5, v5, v6
	v_mul_f32_e32 v6, v13, v58
	;; [unrolled: 3-line block ×14, first 2 shown]
	v_fma_f32 v6, v36, v189, -v6
	s_waitcnt vmcnt(23) lgkmcnt(1)
	v_mul_f32_e32 v57, v38, v190
	v_add_f32_e32 v5, v5, v6
	v_mul_f32_e32 v6, v39, v190
	s_waitcnt vmcnt(22)
	v_fmac_f32_e32 v57, v39, v191
	v_fma_f32 v6, v38, v191, -v6
	v_add_f32_e32 v55, v55, v57
	s_waitcnt vmcnt(21)
	v_mul_f32_e32 v57, v40, v192
	v_add_f32_e32 v54, v5, v6
	v_mul_f32_e32 v5, v41, v192
	s_waitcnt vmcnt(20)
	v_fmac_f32_e32 v57, v41, v193
	s_waitcnt vmcnt(19) lgkmcnt(0)
	v_mul_f32_e32 v59, v42, v194
	v_fma_f32 v56, v40, v193, -v5
	v_mul_f32_e32 v5, v43, v194
	ds_read_b128 v[6:9], v4 offset:704
	ds_read_b128 v[10:13], v4 offset:720
	;; [unrolled: 1-line block ×3, first 2 shown]
	ds_read_b64 v[18:19], v4 offset:752
	s_waitcnt vmcnt(18)
	v_fmac_f32_e32 v59, v43, v195
	v_fma_f32 v58, v42, v195, -v5
	v_pk_add_f32 v[20:21], v[54:55], v[56:57]
	v_pk_add_f32 v[20:21], v[20:21], v[58:59]
	s_waitcnt vmcnt(15)
	v_mov_b32_e32 v22, v47
	v_pk_mul_f32 v[22:23], v[44:45], v[22:23] op_sel_hi:[1,0]
	s_waitcnt vmcnt(8)
	v_pk_fma_f32 v[24:25], v[44:45], v[46:47], v[22:23] op_sel:[0,0,1] op_sel_hi:[1,1,0] neg_lo:[0,0,1] neg_hi:[0,0,1]
	v_pk_fma_f32 v[22:23], v[44:45], v[46:47], v[22:23] op_sel:[0,0,1] op_sel_hi:[1,0,0]
	v_mov_b32_e32 v22, v53
	v_mov_b32_e32 v25, v23
	s_waitcnt lgkmcnt(3)
	v_pk_mul_f32 v[22:23], v[6:7], v[22:23] op_sel_hi:[1,0]
	v_pk_add_f32 v[20:21], v[20:21], v[24:25]
	v_pk_fma_f32 v[24:25], v[6:7], v[52:53], v[22:23] op_sel:[0,0,1] op_sel_hi:[1,1,0] neg_lo:[0,0,1] neg_hi:[0,0,1]
	v_pk_fma_f32 v[6:7], v[6:7], v[52:53], v[22:23] op_sel:[0,0,1] op_sel_hi:[1,0,0]
	v_mov_b32_e32 v25, v7
	v_pk_add_f32 v[6:7], v[20:21], v[24:25]
	v_mov_b32_e32 v20, v51
	v_pk_mul_f32 v[20:21], v[8:9], v[20:21] op_sel_hi:[1,0]
	v_pk_fma_f32 v[22:23], v[8:9], v[50:51], v[20:21] op_sel:[0,0,1] op_sel_hi:[1,1,0] neg_lo:[0,0,1] neg_hi:[0,0,1]
	v_pk_fma_f32 v[8:9], v[8:9], v[50:51], v[20:21] op_sel:[0,0,1] op_sel_hi:[1,0,0]
	v_mov_b32_e32 v8, v49
	v_mov_b32_e32 v23, v9
	s_waitcnt lgkmcnt(2)
	v_pk_mul_f32 v[8:9], v[10:11], v[8:9] op_sel_hi:[1,0]
	v_pk_fma_f32 v[20:21], v[10:11], v[48:49], v[8:9] op_sel:[0,0,1] op_sel_hi:[1,1,0] neg_lo:[0,0,1] neg_hi:[0,0,1]
	v_pk_fma_f32 v[8:9], v[10:11], v[48:49], v[8:9] op_sel:[0,0,1] op_sel_hi:[1,0,0]
	s_waitcnt vmcnt(1)
	v_mov_b32_e32 v8, v67
	v_mov_b32_e32 v21, v9
	v_pk_mul_f32 v[8:9], v[12:13], v[8:9] op_sel_hi:[1,0]
	s_waitcnt vmcnt(0)
	v_pk_fma_f32 v[10:11], v[12:13], v[66:67], v[8:9] op_sel:[0,0,1] op_sel_hi:[1,1,0] neg_lo:[0,0,1] neg_hi:[0,0,1]
	v_pk_fma_f32 v[8:9], v[12:13], v[66:67], v[8:9] op_sel:[0,0,1] op_sel_hi:[1,0,0]
	v_pk_add_f32 v[6:7], v[6:7], v[22:23]
	v_mov_b32_e32 v8, v65
	v_pk_add_f32 v[6:7], v[6:7], v[20:21]
	v_mov_b32_e32 v11, v9
	s_waitcnt lgkmcnt(1)
	v_pk_mul_f32 v[8:9], v[14:15], v[8:9] op_sel_hi:[1,0]
	v_pk_add_f32 v[6:7], v[6:7], v[10:11]
	v_pk_fma_f32 v[10:11], v[14:15], v[64:65], v[8:9] op_sel:[0,0,1] op_sel_hi:[1,1,0] neg_lo:[0,0,1] neg_hi:[0,0,1]
	v_pk_fma_f32 v[8:9], v[14:15], v[64:65], v[8:9] op_sel:[0,0,1] op_sel_hi:[1,0,0]
	v_mov_b32_e32 v8, v63
	v_mov_b32_e32 v11, v9
	v_pk_mul_f32 v[8:9], v[16:17], v[8:9] op_sel_hi:[1,0]
	v_pk_add_f32 v[6:7], v[6:7], v[10:11]
	v_pk_fma_f32 v[10:11], v[16:17], v[62:63], v[8:9] op_sel:[0,0,1] op_sel_hi:[1,1,0] neg_lo:[0,0,1] neg_hi:[0,0,1]
	v_pk_fma_f32 v[8:9], v[16:17], v[62:63], v[8:9] op_sel:[0,0,1] op_sel_hi:[1,0,0]
	v_mov_b32_e32 v8, v61
	v_mov_b32_e32 v11, v9
	s_waitcnt lgkmcnt(0)
	v_pk_mul_f32 v[8:9], v[18:19], v[8:9] op_sel_hi:[1,0]
	v_pk_add_f32 v[6:7], v[6:7], v[10:11]
	v_pk_fma_f32 v[10:11], v[18:19], v[60:61], v[8:9] op_sel:[0,0,1] op_sel_hi:[1,1,0] neg_lo:[0,0,1] neg_hi:[0,0,1]
	v_pk_fma_f32 v[8:9], v[18:19], v[60:61], v[8:9] op_sel:[0,0,1] op_sel_hi:[1,0,0]
	v_mov_b32_e32 v11, v9
	v_pk_add_f32 v[6:7], v[6:7], v[10:11]
	v_pk_add_f32 v[2:3], v[2:3], v[6:7] neg_lo:[0,1] neg_hi:[0,1]
	buffer_store_dword v3, off, s[0:3], 0 offset:156
	buffer_store_dword v2, off, s[0:3], 0 offset:152
	s_and_saveexec_b64 s[4:5], vcc
	s_cbranch_execz .LBB46_259
; %bb.258:
	buffer_load_dword v2, off, s[0:3], 0 offset:144
	buffer_load_dword v3, off, s[0:3], 0 offset:148
	s_waitcnt vmcnt(0)
	ds_write_b64 v89, v[2:3]
	buffer_store_dword v4, off, s[0:3], 0 offset:144
	buffer_store_dword v4, off, s[0:3], 0 offset:148
.LBB46_259:
	s_or_b64 exec, exec, s[4:5]
	s_waitcnt lgkmcnt(0)
	; wave barrier
	s_waitcnt lgkmcnt(0)
	buffer_load_dword v5, off, s[0:3], 0 offset:156
	buffer_load_dword v46, off, s[0:3], 0 offset:164
	;; [unrolled: 1-line block ×42, first 2 shown]
	ds_read2_b64 v[6:9], v4 offset0:67 offset1:68
	ds_read2_b64 v[10:13], v4 offset0:69 offset1:70
	;; [unrolled: 1-line block ×8, first 2 shown]
	v_cmp_lt_u32_e32 vcc, 17, v0
	s_waitcnt vmcnt(41) lgkmcnt(7)
	v_mul_f32_e32 v38, v6, v5
	s_waitcnt vmcnt(40)
	v_mul_f32_e32 v39, v8, v46
	s_waitcnt vmcnt(39) lgkmcnt(6)
	v_mul_f32_e32 v40, v10, v48
	s_waitcnt vmcnt(38)
	v_mul_f32_e32 v41, v12, v56
	;; [unrolled: 4-line block ×7, first 2 shown]
	s_waitcnt vmcnt(27) lgkmcnt(0)
	v_mul_f32_e32 v54, v34, v172
	s_waitcnt vmcnt(26)
	v_fmac_f32_e32 v38, v7, v173
	s_waitcnt vmcnt(25)
	v_fmac_f32_e32 v39, v9, v174
	v_add_f32_e32 v38, 0, v38
	s_waitcnt vmcnt(24)
	v_fmac_f32_e32 v40, v11, v175
	v_add_f32_e32 v38, v38, v39
	;; [unrolled: 3-line block ×14, first 2 shown]
	s_waitcnt vmcnt(11)
	v_mul_f32_e32 v43, v36, v188
	v_add_f32_e32 v42, v38, v54
	s_waitcnt vmcnt(10)
	v_fmac_f32_e32 v43, v37, v189
	ds_read2_b64 v[38:41], v4 offset0:83 offset1:84
	v_add_f32_e32 v47, v42, v43
	ds_read2_b64 v[42:45], v4 offset0:85 offset1:86
	buffer_load_dword v51, off, s[0:3], 0 offset:316
	buffer_load_dword v53, off, s[0:3], 0 offset:332
	;; [unrolled: 1-line block ×16, first 2 shown]
	v_mul_f32_e32 v5, v7, v5
	v_fma_f32 v5, v6, v173, -v5
	v_mul_f32_e32 v6, v9, v46
	v_add_f32_e32 v5, 0, v5
	v_fma_f32 v6, v8, v174, -v6
	v_add_f32_e32 v5, v5, v6
	v_mul_f32_e32 v6, v11, v48
	v_fma_f32 v6, v10, v175, -v6
	v_add_f32_e32 v5, v5, v6
	v_mul_f32_e32 v6, v13, v56
	v_fma_f32 v6, v12, v176, -v6
	v_add_f32_e32 v5, v5, v6
	v_mul_f32_e32 v6, v15, v68
	v_fma_f32 v6, v14, v177, -v6
	v_add_f32_e32 v5, v5, v6
	v_mul_f32_e32 v6, v17, v69
	v_fma_f32 v6, v16, v178, -v6
	v_add_f32_e32 v5, v5, v6
	v_mul_f32_e32 v6, v19, v70
	v_fma_f32 v6, v18, v179, -v6
	v_add_f32_e32 v5, v5, v6
	v_mul_f32_e32 v6, v21, v71
	v_fma_f32 v6, v20, v180, -v6
	v_add_f32_e32 v5, v5, v6
	v_mul_f32_e32 v6, v23, v72
	v_fma_f32 v6, v22, v181, -v6
	v_add_f32_e32 v5, v5, v6
	v_mul_f32_e32 v6, v25, v73
	v_fma_f32 v6, v24, v182, -v6
	v_add_f32_e32 v5, v5, v6
	v_mul_f32_e32 v6, v27, v74
	v_fma_f32 v6, v26, v183, -v6
	v_add_f32_e32 v5, v5, v6
	v_mul_f32_e32 v6, v29, v75
	v_fma_f32 v6, v28, v184, -v6
	v_add_f32_e32 v5, v5, v6
	v_mul_f32_e32 v6, v31, v76
	v_fma_f32 v6, v30, v185, -v6
	v_add_f32_e32 v5, v5, v6
	v_mul_f32_e32 v6, v33, v77
	v_fma_f32 v6, v32, v186, -v6
	v_add_f32_e32 v5, v5, v6
	v_mul_f32_e32 v6, v35, v172
	v_fma_f32 v6, v34, v187, -v6
	v_add_f32_e32 v5, v5, v6
	v_mul_f32_e32 v6, v37, v188
	v_fma_f32 v6, v36, v189, -v6
	v_add_f32_e32 v5, v5, v6
	s_waitcnt vmcnt(25) lgkmcnt(1)
	v_mul_f32_e32 v6, v39, v190
	s_waitcnt vmcnt(24)
	v_fma_f32 v6, v38, v191, -v6
	v_add_f32_e32 v5, v5, v6
	s_waitcnt vmcnt(23)
	v_mul_f32_e32 v6, v41, v192
	s_waitcnt vmcnt(22)
	v_fma_f32 v6, v40, v193, -v6
	v_add_f32_e32 v46, v5, v6
	ds_read2_b64 v[6:9], v4 offset0:87 offset1:88
	ds_read2_b64 v[10:13], v4 offset0:89 offset1:90
	;; [unrolled: 1-line block ×4, first 2 shown]
	v_mul_f32_e32 v49, v38, v190
	v_fmac_f32_e32 v49, v39, v191
	v_add_f32_e32 v47, v47, v49
	v_mul_f32_e32 v49, v40, v192
	v_fmac_f32_e32 v49, v41, v193
	v_add_f32_e32 v47, v47, v49
	s_waitcnt vmcnt(21) lgkmcnt(4)
	v_mul_f32_e32 v49, v42, v194
	v_mul_f32_e32 v5, v43, v194
	s_waitcnt vmcnt(20)
	v_fmac_f32_e32 v49, v43, v195
	s_waitcnt vmcnt(19)
	v_mul_f32_e32 v57, v44, v196
	v_fma_f32 v48, v42, v195, -v5
	v_mul_f32_e32 v5, v45, v196
	s_waitcnt vmcnt(18)
	v_fmac_f32_e32 v57, v45, v197
	v_fma_f32 v56, v44, v197, -v5
	v_pk_add_f32 v[4:5], v[46:47], v[48:49]
	v_pk_add_f32 v[4:5], v[4:5], v[56:57]
	s_waitcnt vmcnt(15)
	v_mov_b32_e32 v22, v51
	s_waitcnt lgkmcnt(3)
	v_pk_mul_f32 v[22:23], v[6:7], v[22:23] op_sel_hi:[1,0]
	s_waitcnt vmcnt(10)
	v_pk_fma_f32 v[24:25], v[6:7], v[50:51], v[22:23] op_sel:[0,0,1] op_sel_hi:[1,1,0] neg_lo:[0,0,1] neg_hi:[0,0,1]
	v_pk_fma_f32 v[6:7], v[6:7], v[50:51], v[22:23] op_sel:[0,0,1] op_sel_hi:[1,0,0]
	v_mov_b32_e32 v6, v55
	v_mov_b32_e32 v25, v7
	v_pk_mul_f32 v[6:7], v[8:9], v[6:7] op_sel_hi:[1,0]
	v_pk_fma_f32 v[22:23], v[8:9], v[54:55], v[6:7] op_sel:[0,0,1] op_sel_hi:[1,1,0] neg_lo:[0,0,1] neg_hi:[0,0,1]
	v_pk_fma_f32 v[6:7], v[8:9], v[54:55], v[6:7] op_sel:[0,0,1] op_sel_hi:[1,0,0]
	v_mov_b32_e32 v6, v53
	v_mov_b32_e32 v23, v7
	s_waitcnt lgkmcnt(2)
	v_pk_mul_f32 v[6:7], v[10:11], v[6:7] op_sel_hi:[1,0]
	v_pk_fma_f32 v[8:9], v[10:11], v[52:53], v[6:7] op_sel:[0,0,1] op_sel_hi:[1,1,0] neg_lo:[0,0,1] neg_hi:[0,0,1]
	v_pk_fma_f32 v[6:7], v[10:11], v[52:53], v[6:7] op_sel:[0,0,1] op_sel_hi:[1,0,0]
	v_pk_add_f32 v[4:5], v[4:5], v[24:25]
	s_waitcnt vmcnt(3)
	v_mov_b32_e32 v6, v65
	v_pk_add_f32 v[4:5], v[4:5], v[22:23]
	v_mov_b32_e32 v9, v7
	v_pk_mul_f32 v[6:7], v[12:13], v[6:7] op_sel_hi:[1,0]
	v_pk_add_f32 v[4:5], v[4:5], v[8:9]
	s_waitcnt vmcnt(2)
	v_pk_fma_f32 v[8:9], v[12:13], v[64:65], v[6:7] op_sel:[0,0,1] op_sel_hi:[1,1,0] neg_lo:[0,0,1] neg_hi:[0,0,1]
	v_pk_fma_f32 v[6:7], v[12:13], v[64:65], v[6:7] op_sel:[0,0,1] op_sel_hi:[1,0,0]
	v_mov_b32_e32 v6, v63
	v_mov_b32_e32 v9, v7
	s_waitcnt lgkmcnt(1)
	v_pk_mul_f32 v[6:7], v[14:15], v[6:7] op_sel_hi:[1,0]
	v_pk_add_f32 v[4:5], v[4:5], v[8:9]
	v_pk_fma_f32 v[8:9], v[14:15], v[62:63], v[6:7] op_sel:[0,0,1] op_sel_hi:[1,1,0] neg_lo:[0,0,1] neg_hi:[0,0,1]
	v_pk_fma_f32 v[6:7], v[14:15], v[62:63], v[6:7] op_sel:[0,0,1] op_sel_hi:[1,0,0]
	v_mov_b32_e32 v6, v61
	v_mov_b32_e32 v9, v7
	v_pk_mul_f32 v[6:7], v[16:17], v[6:7] op_sel_hi:[1,0]
	v_pk_add_f32 v[4:5], v[4:5], v[8:9]
	v_pk_fma_f32 v[8:9], v[16:17], v[60:61], v[6:7] op_sel:[0,0,1] op_sel_hi:[1,1,0] neg_lo:[0,0,1] neg_hi:[0,0,1]
	v_pk_fma_f32 v[6:7], v[16:17], v[60:61], v[6:7] op_sel:[0,0,1] op_sel_hi:[1,0,0]
	v_mov_b32_e32 v6, v59
	v_mov_b32_e32 v9, v7
	s_waitcnt lgkmcnt(0)
	v_pk_mul_f32 v[6:7], v[18:19], v[6:7] op_sel_hi:[1,0]
	v_pk_add_f32 v[4:5], v[4:5], v[8:9]
	v_pk_fma_f32 v[8:9], v[18:19], v[58:59], v[6:7] op_sel:[0,0,1] op_sel_hi:[1,1,0] neg_lo:[0,0,1] neg_hi:[0,0,1]
	v_pk_fma_f32 v[6:7], v[18:19], v[58:59], v[6:7] op_sel:[0,0,1] op_sel_hi:[1,0,0]
	s_waitcnt vmcnt(1)
	v_mov_b32_e32 v6, v67
	v_mov_b32_e32 v9, v7
	v_pk_mul_f32 v[6:7], v[20:21], v[6:7] op_sel_hi:[1,0]
	v_pk_add_f32 v[4:5], v[4:5], v[8:9]
	s_waitcnt vmcnt(0)
	v_pk_fma_f32 v[8:9], v[20:21], v[66:67], v[6:7] op_sel:[0,0,1] op_sel_hi:[1,1,0] neg_lo:[0,0,1] neg_hi:[0,0,1]
	v_pk_fma_f32 v[6:7], v[20:21], v[66:67], v[6:7] op_sel:[0,0,1] op_sel_hi:[1,0,0]
	v_mov_b32_e32 v9, v7
	v_pk_add_f32 v[4:5], v[4:5], v[8:9]
	v_pk_add_f32 v[2:3], v[2:3], v[4:5] neg_lo:[0,1] neg_hi:[0,1]
	buffer_store_dword v3, off, s[0:3], 0 offset:148
	buffer_store_dword v2, off, s[0:3], 0 offset:144
	s_and_saveexec_b64 s[4:5], vcc
	s_cbranch_execz .LBB46_261
; %bb.260:
	buffer_load_dword v2, off, s[0:3], 0 offset:136
	buffer_load_dword v3, off, s[0:3], 0 offset:140
	v_mov_b32_e32 v4, 0
	buffer_store_dword v4, off, s[0:3], 0 offset:136
	buffer_store_dword v4, off, s[0:3], 0 offset:140
	s_waitcnt vmcnt(2)
	ds_write_b64 v89, v[2:3]
.LBB46_261:
	s_or_b64 exec, exec, s[4:5]
	s_waitcnt lgkmcnt(0)
	; wave barrier
	s_waitcnt lgkmcnt(0)
	buffer_load_dword v5, off, s[0:3], 0 offset:148
	buffer_load_dword v54, off, s[0:3], 0 offset:156
	;; [unrolled: 1-line block ×44, first 2 shown]
	v_mov_b32_e32 v4, 0
	ds_read_b128 v[6:9], v4 offset:528
	ds_read_b128 v[10:13], v4 offset:544
	;; [unrolled: 1-line block ×8, first 2 shown]
	v_cmp_lt_u32_e32 vcc, 16, v0
	s_waitcnt vmcnt(43) lgkmcnt(7)
	v_mul_f32_e32 v38, v6, v5
	s_waitcnt vmcnt(42)
	v_mul_f32_e32 v39, v8, v54
	s_waitcnt vmcnt(41) lgkmcnt(6)
	v_mul_f32_e32 v40, v10, v60
	s_waitcnt vmcnt(40)
	v_mul_f32_e32 v41, v12, v62
	;; [unrolled: 4-line block ×7, first 2 shown]
	s_waitcnt vmcnt(29)
	v_fmac_f32_e32 v38, v7, v180
	s_waitcnt vmcnt(28)
	v_fmac_f32_e32 v39, v9, v181
	v_add_f32_e32 v38, 0, v38
	s_waitcnt vmcnt(27)
	v_fmac_f32_e32 v40, v11, v182
	v_add_f32_e32 v38, v38, v39
	;; [unrolled: 3-line block ×12, first 2 shown]
	v_add_f32_e32 v38, v38, v50
	s_waitcnt vmcnt(16)
	v_fmac_f32_e32 v51, v33, v193
	s_waitcnt vmcnt(15) lgkmcnt(0)
	v_mul_f32_e32 v39, v34, v194
	v_add_f32_e32 v38, v38, v51
	s_waitcnt vmcnt(14)
	v_fmac_f32_e32 v39, v35, v195
	v_add_f32_e32 v42, v38, v39
	ds_read_b128 v[38:41], v4 offset:656
	s_waitcnt vmcnt(13)
	v_mul_f32_e32 v43, v36, v196
	s_waitcnt vmcnt(12)
	v_fmac_f32_e32 v43, v37, v197
	v_add_f32_e32 v46, v42, v43
	ds_read_b128 v[42:45], v4 offset:672
	s_waitcnt vmcnt(11) lgkmcnt(1)
	v_mul_f32_e32 v47, v38, v198
	s_waitcnt vmcnt(10)
	v_fmac_f32_e32 v47, v39, v199
	v_add_f32_e32 v46, v46, v47
	s_waitcnt vmcnt(9)
	v_mul_f32_e32 v47, v40, v200
	s_waitcnt vmcnt(8)
	v_fmac_f32_e32 v47, v41, v201
	v_add_f32_e32 v46, v46, v47
	s_waitcnt vmcnt(7) lgkmcnt(0)
	v_mul_f32_e32 v47, v42, v202
	s_waitcnt vmcnt(6)
	v_fmac_f32_e32 v47, v43, v203
	v_add_f32_e32 v55, v46, v47
	ds_read_b128 v[46:49], v4 offset:688
	buffer_load_dword v57, off, s[0:3], 0 offset:324
	buffer_load_dword v56, off, s[0:3], 0 offset:320
	;; [unrolled: 1-line block ×4, first 2 shown]
	ds_read_b128 v[50:53], v4 offset:704
	buffer_load_dword v65, off, s[0:3], 0 offset:356
	buffer_load_dword v64, off, s[0:3], 0 offset:352
	;; [unrolled: 1-line block ×12, first 2 shown]
	v_mul_f32_e32 v5, v7, v5
	v_fma_f32 v5, v6, v180, -v5
	v_mul_f32_e32 v6, v9, v54
	v_add_f32_e32 v5, 0, v5
	v_fma_f32 v6, v8, v181, -v6
	v_add_f32_e32 v5, v5, v6
	v_mul_f32_e32 v6, v11, v60
	v_fma_f32 v6, v10, v182, -v6
	v_add_f32_e32 v5, v5, v6
	v_mul_f32_e32 v6, v13, v62
	;; [unrolled: 3-line block ×17, first 2 shown]
	v_fma_f32 v6, v42, v203, -v6
	s_waitcnt vmcnt(21)
	v_mul_f32_e32 v61, v44, v204
	v_add_f32_e32 v54, v5, v6
	v_mul_f32_e32 v5, v45, v204
	s_waitcnt vmcnt(20)
	v_fmac_f32_e32 v61, v45, v205
	s_waitcnt vmcnt(19) lgkmcnt(1)
	v_mul_f32_e32 v63, v46, v206
	v_fma_f32 v60, v44, v205, -v5
	v_mul_f32_e32 v5, v47, v206
	s_waitcnt vmcnt(18)
	v_fmac_f32_e32 v63, v47, v207
	v_fma_f32 v62, v46, v207, -v5
	v_pk_add_f32 v[16:17], v[54:55], v[60:61]
	v_pk_add_f32 v[16:17], v[16:17], v[62:63]
	ds_read_b128 v[6:9], v4 offset:720
	ds_read_b128 v[10:13], v4 offset:736
	ds_read_b64 v[14:15], v4 offset:752
	s_waitcnt vmcnt(13)
	v_mov_b32_e32 v18, v59
	v_pk_mul_f32 v[18:19], v[48:49], v[18:19] op_sel_hi:[1,0]
	s_waitcnt vmcnt(12)
	v_pk_fma_f32 v[20:21], v[48:49], v[58:59], v[18:19] op_sel:[0,0,1] op_sel_hi:[1,1,0] neg_lo:[0,0,1] neg_hi:[0,0,1]
	v_pk_fma_f32 v[18:19], v[48:49], v[58:59], v[18:19] op_sel:[0,0,1] op_sel_hi:[1,0,0]
	v_mov_b32_e32 v18, v57
	v_mov_b32_e32 v21, v19
	s_waitcnt lgkmcnt(3)
	v_pk_mul_f32 v[18:19], v[50:51], v[18:19] op_sel_hi:[1,0]
	v_pk_add_f32 v[16:17], v[16:17], v[20:21]
	v_pk_fma_f32 v[20:21], v[50:51], v[56:57], v[18:19] op_sel:[0,0,1] op_sel_hi:[1,1,0] neg_lo:[0,0,1] neg_hi:[0,0,1]
	v_pk_fma_f32 v[18:19], v[50:51], v[56:57], v[18:19] op_sel:[0,0,1] op_sel_hi:[1,0,0]
	s_waitcnt vmcnt(5)
	v_mov_b32_e32 v18, v71
	v_mov_b32_e32 v21, v19
	v_pk_mul_f32 v[18:19], v[52:53], v[18:19] op_sel_hi:[1,0]
	v_pk_add_f32 v[16:17], v[16:17], v[20:21]
	s_waitcnt vmcnt(4)
	v_pk_fma_f32 v[20:21], v[52:53], v[70:71], v[18:19] op_sel:[0,0,1] op_sel_hi:[1,1,0] neg_lo:[0,0,1] neg_hi:[0,0,1]
	v_pk_fma_f32 v[18:19], v[52:53], v[70:71], v[18:19] op_sel:[0,0,1] op_sel_hi:[1,0,0]
	v_mov_b32_e32 v18, v69
	v_mov_b32_e32 v21, v19
	s_waitcnt lgkmcnt(2)
	v_pk_mul_f32 v[18:19], v[6:7], v[18:19] op_sel_hi:[1,0]
	v_pk_add_f32 v[16:17], v[16:17], v[20:21]
	v_pk_fma_f32 v[20:21], v[6:7], v[68:69], v[18:19] op_sel:[0,0,1] op_sel_hi:[1,1,0] neg_lo:[0,0,1] neg_hi:[0,0,1]
	v_pk_fma_f32 v[6:7], v[6:7], v[68:69], v[18:19] op_sel:[0,0,1] op_sel_hi:[1,0,0]
	v_mov_b32_e32 v21, v7
	v_pk_add_f32 v[6:7], v[16:17], v[20:21]
	v_mov_b32_e32 v16, v67
	v_pk_mul_f32 v[16:17], v[8:9], v[16:17] op_sel_hi:[1,0]
	v_pk_fma_f32 v[18:19], v[8:9], v[66:67], v[16:17] op_sel:[0,0,1] op_sel_hi:[1,1,0] neg_lo:[0,0,1] neg_hi:[0,0,1]
	v_pk_fma_f32 v[8:9], v[8:9], v[66:67], v[16:17] op_sel:[0,0,1] op_sel_hi:[1,0,0]
	v_mov_b32_e32 v8, v65
	v_mov_b32_e32 v19, v9
	s_waitcnt lgkmcnt(1)
	v_pk_mul_f32 v[8:9], v[10:11], v[8:9] op_sel_hi:[1,0]
	v_pk_fma_f32 v[16:17], v[10:11], v[64:65], v[8:9] op_sel:[0,0,1] op_sel_hi:[1,1,0] neg_lo:[0,0,1] neg_hi:[0,0,1]
	v_pk_fma_f32 v[8:9], v[10:11], v[64:65], v[8:9] op_sel:[0,0,1] op_sel_hi:[1,0,0]
	s_waitcnt vmcnt(1)
	v_mov_b32_e32 v8, v75
	v_mov_b32_e32 v17, v9
	v_pk_mul_f32 v[8:9], v[12:13], v[8:9] op_sel_hi:[1,0]
	s_waitcnt vmcnt(0)
	v_pk_fma_f32 v[10:11], v[12:13], v[74:75], v[8:9] op_sel:[0,0,1] op_sel_hi:[1,1,0] neg_lo:[0,0,1] neg_hi:[0,0,1]
	v_pk_fma_f32 v[8:9], v[12:13], v[74:75], v[8:9] op_sel:[0,0,1] op_sel_hi:[1,0,0]
	v_pk_add_f32 v[6:7], v[6:7], v[18:19]
	v_mov_b32_e32 v8, v73
	v_pk_add_f32 v[6:7], v[6:7], v[16:17]
	v_mov_b32_e32 v11, v9
	s_waitcnt lgkmcnt(0)
	v_pk_mul_f32 v[8:9], v[14:15], v[8:9] op_sel_hi:[1,0]
	v_pk_add_f32 v[6:7], v[6:7], v[10:11]
	v_pk_fma_f32 v[10:11], v[14:15], v[72:73], v[8:9] op_sel:[0,0,1] op_sel_hi:[1,1,0] neg_lo:[0,0,1] neg_hi:[0,0,1]
	v_pk_fma_f32 v[8:9], v[14:15], v[72:73], v[8:9] op_sel:[0,0,1] op_sel_hi:[1,0,0]
	v_mov_b32_e32 v11, v9
	v_pk_add_f32 v[6:7], v[6:7], v[10:11]
	v_pk_add_f32 v[2:3], v[2:3], v[6:7] neg_lo:[0,1] neg_hi:[0,1]
	buffer_store_dword v3, off, s[0:3], 0 offset:140
	buffer_store_dword v2, off, s[0:3], 0 offset:136
	s_and_saveexec_b64 s[4:5], vcc
	s_cbranch_execz .LBB46_263
; %bb.262:
	buffer_load_dword v2, off, s[0:3], 0 offset:128
	buffer_load_dword v3, off, s[0:3], 0 offset:132
	s_waitcnt vmcnt(0)
	ds_write_b64 v89, v[2:3]
	buffer_store_dword v4, off, s[0:3], 0 offset:128
	buffer_store_dword v4, off, s[0:3], 0 offset:132
.LBB46_263:
	s_or_b64 exec, exec, s[4:5]
	s_waitcnt lgkmcnt(0)
	; wave barrier
	s_waitcnt lgkmcnt(0)
	buffer_load_dword v5, off, s[0:3], 0 offset:140
	buffer_load_dword v56, off, s[0:3], 0 offset:148
	;; [unrolled: 1-line block ×46, first 2 shown]
	ds_read2_b64 v[6:9], v4 offset0:65 offset1:66
	ds_read2_b64 v[10:13], v4 offset0:67 offset1:68
	;; [unrolled: 1-line block ×8, first 2 shown]
	v_cmp_lt_u32_e32 vcc, 15, v0
	s_waitcnt vmcnt(45) lgkmcnt(7)
	v_mul_f32_e32 v38, v6, v5
	s_waitcnt vmcnt(44)
	v_mul_f32_e32 v39, v8, v56
	s_waitcnt vmcnt(43) lgkmcnt(6)
	v_mul_f32_e32 v40, v10, v58
	s_waitcnt vmcnt(42)
	v_mul_f32_e32 v41, v12, v60
	;; [unrolled: 4-line block ×6, first 2 shown]
	s_waitcnt vmcnt(33) lgkmcnt(1)
	v_mul_f32_e32 v50, v30, v178
	s_waitcnt vmcnt(32)
	v_fmac_f32_e32 v38, v7, v179
	s_waitcnt vmcnt(31)
	v_fmac_f32_e32 v39, v9, v180
	v_add_f32_e32 v38, 0, v38
	s_waitcnt vmcnt(30)
	v_fmac_f32_e32 v40, v11, v181
	v_add_f32_e32 v38, v38, v39
	;; [unrolled: 3-line block ×12, first 2 shown]
	s_waitcnt vmcnt(19)
	v_mul_f32_e32 v39, v32, v192
	v_add_f32_e32 v38, v38, v50
	s_waitcnt vmcnt(18)
	v_fmac_f32_e32 v39, v33, v193
	v_add_f32_e32 v38, v38, v39
	s_waitcnt vmcnt(17) lgkmcnt(0)
	v_mul_f32_e32 v39, v34, v194
	s_waitcnt vmcnt(16)
	v_fmac_f32_e32 v39, v35, v195
	v_add_f32_e32 v42, v38, v39
	ds_read2_b64 v[38:41], v4 offset0:81 offset1:82
	s_waitcnt vmcnt(15)
	v_mul_f32_e32 v43, v36, v196
	s_waitcnt vmcnt(14)
	v_fmac_f32_e32 v43, v37, v197
	v_add_f32_e32 v46, v42, v43
	ds_read2_b64 v[42:45], v4 offset0:83 offset1:84
	buffer_load_dword v55, off, s[0:3], 0 offset:316
	buffer_load_dword v54, off, s[0:3], 0 offset:312
	s_waitcnt vmcnt(15) lgkmcnt(1)
	v_mul_f32_e32 v47, v38, v198
	s_waitcnt vmcnt(14)
	v_fmac_f32_e32 v47, v39, v199
	v_add_f32_e32 v46, v46, v47
	s_waitcnt vmcnt(13)
	v_mul_f32_e32 v47, v40, v200
	s_waitcnt vmcnt(12)
	v_fmac_f32_e32 v47, v41, v201
	v_add_f32_e32 v46, v46, v47
	s_waitcnt vmcnt(11) lgkmcnt(0)
	v_mul_f32_e32 v47, v42, v202
	s_waitcnt vmcnt(10)
	v_fmac_f32_e32 v47, v43, v203
	s_waitcnt vmcnt(9)
	v_mul_f32_e32 v51, v44, v204
	v_add_f32_e32 v50, v46, v47
	s_waitcnt vmcnt(8)
	v_fmac_f32_e32 v51, v45, v205
	ds_read2_b64 v[46:49], v4 offset0:85 offset1:86
	v_add_f32_e32 v57, v50, v51
	ds_read2_b64 v[50:53], v4 offset0:87 offset1:88
	buffer_load_dword v63, off, s[0:3], 0 offset:348
	buffer_load_dword v62, off, s[0:3], 0 offset:344
	;; [unrolled: 1-line block ×14, first 2 shown]
	v_mul_f32_e32 v5, v7, v5
	v_fma_f32 v5, v6, v179, -v5
	v_mul_f32_e32 v6, v9, v56
	v_add_f32_e32 v5, 0, v5
	v_fma_f32 v6, v8, v180, -v6
	v_add_f32_e32 v5, v5, v6
	v_mul_f32_e32 v6, v11, v58
	v_fma_f32 v6, v10, v181, -v6
	v_add_f32_e32 v5, v5, v6
	v_mul_f32_e32 v6, v13, v60
	;; [unrolled: 3-line block ×18, first 2 shown]
	v_fma_f32 v6, v44, v205, -v6
	s_waitcnt vmcnt(21) lgkmcnt(1)
	v_mul_f32_e32 v59, v46, v206
	v_add_f32_e32 v56, v5, v6
	v_mul_f32_e32 v5, v47, v206
	s_waitcnt vmcnt(20)
	v_fmac_f32_e32 v59, v47, v207
	s_waitcnt vmcnt(15)
	v_mov_b32_e32 v18, v55
	s_waitcnt lgkmcnt(0)
	v_pk_mul_f32 v[18:19], v[50:51], v[18:19] op_sel_hi:[1,0]
	v_mul_f32_e32 v61, v48, v208
	v_fma_f32 v58, v46, v207, -v5
	v_mul_f32_e32 v5, v49, v208
	s_waitcnt vmcnt(14)
	v_pk_fma_f32 v[20:21], v[50:51], v[54:55], v[18:19] op_sel:[0,0,1] op_sel_hi:[1,1,0] neg_lo:[0,0,1] neg_hi:[0,0,1]
	v_pk_fma_f32 v[18:19], v[50:51], v[54:55], v[18:19] op_sel:[0,0,1] op_sel_hi:[1,0,0]
	v_fmac_f32_e32 v61, v49, v209
	v_fma_f32 v60, v48, v209, -v5
	ds_read2_b64 v[6:9], v4 offset0:89 offset1:90
	ds_read2_b64 v[10:13], v4 offset0:91 offset1:92
	ds_read2_b64 v[14:17], v4 offset0:93 offset1:94
	v_pk_add_f32 v[4:5], v[56:57], v[58:59]
	s_waitcnt vmcnt(7)
	v_mov_b32_e32 v18, v69
	v_pk_add_f32 v[4:5], v[4:5], v[60:61]
	v_mov_b32_e32 v21, v19
	v_pk_mul_f32 v[18:19], v[52:53], v[18:19] op_sel_hi:[1,0]
	v_pk_add_f32 v[4:5], v[4:5], v[20:21]
	s_waitcnt vmcnt(6)
	v_pk_fma_f32 v[20:21], v[52:53], v[68:69], v[18:19] op_sel:[0,0,1] op_sel_hi:[1,1,0] neg_lo:[0,0,1] neg_hi:[0,0,1]
	v_pk_fma_f32 v[18:19], v[52:53], v[68:69], v[18:19] op_sel:[0,0,1] op_sel_hi:[1,0,0]
	v_mov_b32_e32 v18, v67
	v_mov_b32_e32 v21, v19
	s_waitcnt lgkmcnt(2)
	v_pk_mul_f32 v[18:19], v[6:7], v[18:19] op_sel_hi:[1,0]
	v_pk_add_f32 v[4:5], v[4:5], v[20:21]
	v_pk_fma_f32 v[20:21], v[6:7], v[66:67], v[18:19] op_sel:[0,0,1] op_sel_hi:[1,1,0] neg_lo:[0,0,1] neg_hi:[0,0,1]
	v_pk_fma_f32 v[6:7], v[6:7], v[66:67], v[18:19] op_sel:[0,0,1] op_sel_hi:[1,0,0]
	v_mov_b32_e32 v6, v65
	v_mov_b32_e32 v21, v7
	v_pk_mul_f32 v[6:7], v[8:9], v[6:7] op_sel_hi:[1,0]
	v_pk_fma_f32 v[18:19], v[8:9], v[64:65], v[6:7] op_sel:[0,0,1] op_sel_hi:[1,1,0] neg_lo:[0,0,1] neg_hi:[0,0,1]
	v_pk_fma_f32 v[6:7], v[8:9], v[64:65], v[6:7] op_sel:[0,0,1] op_sel_hi:[1,0,0]
	v_mov_b32_e32 v6, v63
	v_mov_b32_e32 v19, v7
	s_waitcnt lgkmcnt(1)
	v_pk_mul_f32 v[6:7], v[10:11], v[6:7] op_sel_hi:[1,0]
	v_pk_fma_f32 v[8:9], v[10:11], v[62:63], v[6:7] op_sel:[0,0,1] op_sel_hi:[1,1,0] neg_lo:[0,0,1] neg_hi:[0,0,1]
	v_pk_fma_f32 v[6:7], v[10:11], v[62:63], v[6:7] op_sel:[0,0,1] op_sel_hi:[1,0,0]
	v_pk_add_f32 v[4:5], v[4:5], v[20:21]
	s_waitcnt vmcnt(1)
	v_mov_b32_e32 v6, v75
	v_pk_add_f32 v[4:5], v[4:5], v[18:19]
	v_mov_b32_e32 v9, v7
	v_pk_mul_f32 v[6:7], v[12:13], v[6:7] op_sel_hi:[1,0]
	v_pk_add_f32 v[4:5], v[4:5], v[8:9]
	s_waitcnt vmcnt(0)
	v_pk_fma_f32 v[8:9], v[12:13], v[74:75], v[6:7] op_sel:[0,0,1] op_sel_hi:[1,1,0] neg_lo:[0,0,1] neg_hi:[0,0,1]
	v_pk_fma_f32 v[6:7], v[12:13], v[74:75], v[6:7] op_sel:[0,0,1] op_sel_hi:[1,0,0]
	v_mov_b32_e32 v6, v73
	v_mov_b32_e32 v9, v7
	s_waitcnt lgkmcnt(0)
	v_pk_mul_f32 v[6:7], v[14:15], v[6:7] op_sel_hi:[1,0]
	v_pk_add_f32 v[4:5], v[4:5], v[8:9]
	v_pk_fma_f32 v[8:9], v[14:15], v[72:73], v[6:7] op_sel:[0,0,1] op_sel_hi:[1,1,0] neg_lo:[0,0,1] neg_hi:[0,0,1]
	v_pk_fma_f32 v[6:7], v[14:15], v[72:73], v[6:7] op_sel:[0,0,1] op_sel_hi:[1,0,0]
	v_mov_b32_e32 v6, v71
	v_mov_b32_e32 v9, v7
	v_pk_mul_f32 v[6:7], v[16:17], v[6:7] op_sel_hi:[1,0]
	v_pk_add_f32 v[4:5], v[4:5], v[8:9]
	v_pk_fma_f32 v[8:9], v[16:17], v[70:71], v[6:7] op_sel:[0,0,1] op_sel_hi:[1,1,0] neg_lo:[0,0,1] neg_hi:[0,0,1]
	v_pk_fma_f32 v[6:7], v[16:17], v[70:71], v[6:7] op_sel:[0,0,1] op_sel_hi:[1,0,0]
	v_mov_b32_e32 v9, v7
	v_pk_add_f32 v[4:5], v[4:5], v[8:9]
	v_pk_add_f32 v[2:3], v[2:3], v[4:5] neg_lo:[0,1] neg_hi:[0,1]
	buffer_store_dword v3, off, s[0:3], 0 offset:132
	buffer_store_dword v2, off, s[0:3], 0 offset:128
	s_and_saveexec_b64 s[4:5], vcc
	s_cbranch_execz .LBB46_265
; %bb.264:
	buffer_load_dword v2, off, s[0:3], 0 offset:120
	buffer_load_dword v3, off, s[0:3], 0 offset:124
	v_mov_b32_e32 v4, 0
	buffer_store_dword v4, off, s[0:3], 0 offset:120
	buffer_store_dword v4, off, s[0:3], 0 offset:124
	s_waitcnt vmcnt(2)
	ds_write_b64 v89, v[2:3]
.LBB46_265:
	s_or_b64 exec, exec, s[4:5]
	s_waitcnt lgkmcnt(0)
	; wave barrier
	s_waitcnt lgkmcnt(0)
	buffer_load_dword v5, off, s[0:3], 0 offset:132
	buffer_load_dword v54, off, s[0:3], 0 offset:140
	;; [unrolled: 1-line block ×48, first 2 shown]
	v_mov_b32_e32 v4, 0
	ds_read_b128 v[6:9], v4 offset:512
	ds_read_b128 v[10:13], v4 offset:528
	;; [unrolled: 1-line block ×6, first 2 shown]
	v_cmp_lt_u32_e32 vcc, 14, v0
	s_waitcnt vmcnt(47) lgkmcnt(5)
	v_mul_f32_e32 v30, v6, v5
	s_waitcnt vmcnt(46)
	v_mul_f32_e32 v31, v8, v54
	s_waitcnt vmcnt(45) lgkmcnt(4)
	v_mul_f32_e32 v32, v10, v56
	s_waitcnt vmcnt(44)
	v_mul_f32_e32 v33, v12, v58
	;; [unrolled: 4-line block ×6, first 2 shown]
	s_waitcnt vmcnt(35)
	v_fmac_f32_e32 v30, v7, v178
	s_waitcnt vmcnt(34)
	v_fmac_f32_e32 v31, v9, v179
	v_add_f32_e32 v30, 0, v30
	s_waitcnt vmcnt(33)
	v_fmac_f32_e32 v32, v11, v180
	v_add_f32_e32 v30, v30, v31
	;; [unrolled: 3-line block ×8, first 2 shown]
	v_add_f32_e32 v34, v30, v38
	ds_read_b128 v[30:33], v4 offset:608
	s_waitcnt vmcnt(26)
	v_fmac_f32_e32 v39, v25, v187
	s_waitcnt vmcnt(25)
	v_fmac_f32_e32 v40, v27, v188
	v_add_f32_e32 v34, v34, v39
	s_waitcnt vmcnt(24)
	v_fmac_f32_e32 v41, v29, v189
	v_add_f32_e32 v34, v34, v40
	v_add_f32_e32 v38, v34, v41
	ds_read_b128 v[34:37], v4 offset:624
	s_waitcnt vmcnt(23) lgkmcnt(1)
	v_mul_f32_e32 v39, v30, v190
	s_waitcnt vmcnt(22)
	v_fmac_f32_e32 v39, v31, v191
	v_add_f32_e32 v38, v38, v39
	s_waitcnt vmcnt(21)
	v_mul_f32_e32 v39, v32, v192
	s_waitcnt vmcnt(20)
	v_fmac_f32_e32 v39, v33, v193
	v_add_f32_e32 v38, v38, v39
	s_waitcnt vmcnt(19) lgkmcnt(0)
	v_mul_f32_e32 v39, v34, v194
	s_waitcnt vmcnt(18)
	v_fmac_f32_e32 v39, v35, v195
	v_add_f32_e32 v42, v38, v39
	ds_read_b128 v[38:41], v4 offset:640
	s_waitcnt vmcnt(17)
	v_mul_f32_e32 v43, v36, v196
	s_waitcnt vmcnt(16)
	v_fmac_f32_e32 v43, v37, v197
	v_add_f32_e32 v46, v42, v43
	ds_read_b128 v[42:45], v4 offset:656
	s_waitcnt vmcnt(15) lgkmcnt(1)
	v_mul_f32_e32 v47, v38, v198
	s_waitcnt vmcnt(14)
	v_fmac_f32_e32 v47, v39, v199
	v_add_f32_e32 v46, v46, v47
	s_waitcnt vmcnt(13)
	v_mul_f32_e32 v47, v40, v200
	s_waitcnt vmcnt(12)
	v_fmac_f32_e32 v47, v41, v201
	v_add_f32_e32 v46, v46, v47
	s_waitcnt vmcnt(11) lgkmcnt(0)
	v_mul_f32_e32 v47, v42, v202
	s_waitcnt vmcnt(10)
	v_fmac_f32_e32 v47, v43, v203
	s_waitcnt vmcnt(9)
	v_mul_f32_e32 v51, v44, v204
	v_add_f32_e32 v50, v46, v47
	s_waitcnt vmcnt(8)
	v_fmac_f32_e32 v51, v45, v205
	ds_read_b128 v[46:49], v4 offset:672
	v_add_f32_e32 v55, v50, v51
	ds_read_b128 v[50:53], v4 offset:688
	buffer_load_dword v61, off, s[0:3], 0 offset:340
	buffer_load_dword v60, off, s[0:3], 0 offset:336
	;; [unrolled: 1-line block ×16, first 2 shown]
	v_mul_f32_e32 v5, v7, v5
	v_fma_f32 v5, v6, v178, -v5
	v_mul_f32_e32 v6, v9, v54
	v_add_f32_e32 v5, 0, v5
	v_fma_f32 v6, v8, v179, -v6
	v_add_f32_e32 v5, v5, v6
	v_mul_f32_e32 v6, v11, v56
	v_fma_f32 v6, v10, v180, -v6
	v_add_f32_e32 v5, v5, v6
	v_mul_f32_e32 v6, v13, v58
	;; [unrolled: 3-line block ×18, first 2 shown]
	v_fma_f32 v6, v44, v205, -v6
	s_waitcnt vmcnt(22) lgkmcnt(1)
	v_mul_f32_e32 v57, v46, v207
	v_add_f32_e32 v5, v5, v6
	v_mul_f32_e32 v6, v47, v207
	v_fmac_f32_e32 v57, v47, v206
	v_fma_f32 v6, v46, v206, -v6
	v_add_f32_e32 v55, v55, v57
	s_waitcnt vmcnt(19)
	v_mul_f32_e32 v57, v48, v208
	v_add_f32_e32 v54, v5, v6
	v_mul_f32_e32 v5, v49, v208
	s_waitcnt vmcnt(18)
	v_fmac_f32_e32 v57, v49, v209
	s_waitcnt vmcnt(17) lgkmcnt(0)
	v_mul_f32_e32 v59, v50, v210
	s_waitcnt vmcnt(9)
	v_mov_b32_e32 v22, v67
	v_pk_mul_f32 v[22:23], v[52:53], v[22:23] op_sel_hi:[1,0]
	v_fma_f32 v56, v48, v209, -v5
	v_mul_f32_e32 v5, v51, v210
	ds_read_b128 v[6:9], v4 offset:704
	ds_read_b128 v[10:13], v4 offset:720
	;; [unrolled: 1-line block ×3, first 2 shown]
	ds_read_b64 v[18:19], v4 offset:752
	s_waitcnt vmcnt(8)
	v_pk_fma_f32 v[24:25], v[52:53], v[66:67], v[22:23] op_sel:[0,0,1] op_sel_hi:[1,1,0] neg_lo:[0,0,1] neg_hi:[0,0,1]
	v_pk_fma_f32 v[22:23], v[52:53], v[66:67], v[22:23] op_sel:[0,0,1] op_sel_hi:[1,0,0]
	v_fmac_f32_e32 v59, v51, v211
	v_fma_f32 v58, v50, v211, -v5
	v_pk_add_f32 v[20:21], v[54:55], v[56:57]
	v_mov_b32_e32 v22, v65
	v_pk_add_f32 v[20:21], v[20:21], v[58:59]
	v_mov_b32_e32 v25, v23
	s_waitcnt lgkmcnt(3)
	v_pk_mul_f32 v[22:23], v[6:7], v[22:23] op_sel_hi:[1,0]
	v_pk_add_f32 v[20:21], v[20:21], v[24:25]
	v_pk_fma_f32 v[24:25], v[6:7], v[64:65], v[22:23] op_sel:[0,0,1] op_sel_hi:[1,1,0] neg_lo:[0,0,1] neg_hi:[0,0,1]
	v_pk_fma_f32 v[6:7], v[6:7], v[64:65], v[22:23] op_sel:[0,0,1] op_sel_hi:[1,0,0]
	v_mov_b32_e32 v25, v7
	v_pk_add_f32 v[6:7], v[20:21], v[24:25]
	v_mov_b32_e32 v20, v63
	v_pk_mul_f32 v[20:21], v[8:9], v[20:21] op_sel_hi:[1,0]
	v_pk_fma_f32 v[22:23], v[8:9], v[62:63], v[20:21] op_sel:[0,0,1] op_sel_hi:[1,1,0] neg_lo:[0,0,1] neg_hi:[0,0,1]
	v_pk_fma_f32 v[8:9], v[8:9], v[62:63], v[20:21] op_sel:[0,0,1] op_sel_hi:[1,0,0]
	v_mov_b32_e32 v8, v61
	v_mov_b32_e32 v23, v9
	s_waitcnt lgkmcnt(2)
	v_pk_mul_f32 v[8:9], v[10:11], v[8:9] op_sel_hi:[1,0]
	v_pk_fma_f32 v[20:21], v[10:11], v[60:61], v[8:9] op_sel:[0,0,1] op_sel_hi:[1,1,0] neg_lo:[0,0,1] neg_hi:[0,0,1]
	v_pk_fma_f32 v[8:9], v[10:11], v[60:61], v[8:9] op_sel:[0,0,1] op_sel_hi:[1,0,0]
	s_waitcnt vmcnt(1)
	v_mov_b32_e32 v8, v75
	v_mov_b32_e32 v21, v9
	v_pk_mul_f32 v[8:9], v[12:13], v[8:9] op_sel_hi:[1,0]
	s_waitcnt vmcnt(0)
	v_pk_fma_f32 v[10:11], v[12:13], v[74:75], v[8:9] op_sel:[0,0,1] op_sel_hi:[1,1,0] neg_lo:[0,0,1] neg_hi:[0,0,1]
	v_pk_fma_f32 v[8:9], v[12:13], v[74:75], v[8:9] op_sel:[0,0,1] op_sel_hi:[1,0,0]
	v_pk_add_f32 v[6:7], v[6:7], v[22:23]
	v_mov_b32_e32 v8, v73
	v_pk_add_f32 v[6:7], v[6:7], v[20:21]
	v_mov_b32_e32 v11, v9
	s_waitcnt lgkmcnt(1)
	v_pk_mul_f32 v[8:9], v[14:15], v[8:9] op_sel_hi:[1,0]
	v_pk_add_f32 v[6:7], v[6:7], v[10:11]
	v_pk_fma_f32 v[10:11], v[14:15], v[72:73], v[8:9] op_sel:[0,0,1] op_sel_hi:[1,1,0] neg_lo:[0,0,1] neg_hi:[0,0,1]
	v_pk_fma_f32 v[8:9], v[14:15], v[72:73], v[8:9] op_sel:[0,0,1] op_sel_hi:[1,0,0]
	v_mov_b32_e32 v8, v71
	v_mov_b32_e32 v11, v9
	v_pk_mul_f32 v[8:9], v[16:17], v[8:9] op_sel_hi:[1,0]
	v_pk_add_f32 v[6:7], v[6:7], v[10:11]
	v_pk_fma_f32 v[10:11], v[16:17], v[70:71], v[8:9] op_sel:[0,0,1] op_sel_hi:[1,1,0] neg_lo:[0,0,1] neg_hi:[0,0,1]
	v_pk_fma_f32 v[8:9], v[16:17], v[70:71], v[8:9] op_sel:[0,0,1] op_sel_hi:[1,0,0]
	v_mov_b32_e32 v8, v69
	v_mov_b32_e32 v11, v9
	s_waitcnt lgkmcnt(0)
	v_pk_mul_f32 v[8:9], v[18:19], v[8:9] op_sel_hi:[1,0]
	v_pk_add_f32 v[6:7], v[6:7], v[10:11]
	v_pk_fma_f32 v[10:11], v[18:19], v[68:69], v[8:9] op_sel:[0,0,1] op_sel_hi:[1,1,0] neg_lo:[0,0,1] neg_hi:[0,0,1]
	v_pk_fma_f32 v[8:9], v[18:19], v[68:69], v[8:9] op_sel:[0,0,1] op_sel_hi:[1,0,0]
	v_mov_b32_e32 v11, v9
	v_pk_add_f32 v[6:7], v[6:7], v[10:11]
	v_pk_add_f32 v[2:3], v[2:3], v[6:7] neg_lo:[0,1] neg_hi:[0,1]
	buffer_store_dword v3, off, s[0:3], 0 offset:124
	buffer_store_dword v2, off, s[0:3], 0 offset:120
	s_and_saveexec_b64 s[4:5], vcc
	s_cbranch_execz .LBB46_267
; %bb.266:
	buffer_load_dword v2, off, s[0:3], 0 offset:112
	buffer_load_dword v3, off, s[0:3], 0 offset:116
	s_waitcnt vmcnt(0)
	ds_write_b64 v89, v[2:3]
	buffer_store_dword v4, off, s[0:3], 0 offset:112
	buffer_store_dword v4, off, s[0:3], 0 offset:116
.LBB46_267:
	s_or_b64 exec, exec, s[4:5]
	s_waitcnt lgkmcnt(0)
	; wave barrier
	s_waitcnt lgkmcnt(0)
	buffer_load_dword v5, off, s[0:3], 0 offset:124
	buffer_load_dword v54, off, s[0:3], 0 offset:132
	;; [unrolled: 1-line block ×48, first 2 shown]
	ds_read2_b64 v[6:9], v4 offset0:63 offset1:64
	ds_read2_b64 v[10:13], v4 offset0:65 offset1:66
	;; [unrolled: 1-line block ×6, first 2 shown]
	buffer_load_dword v212, off, s[0:3], 0 offset:304
	buffer_load_dword v213, off, s[0:3], 0 offset:308
	v_cmp_lt_u32_e32 vcc, 13, v0
	s_waitcnt vmcnt(49) lgkmcnt(5)
	v_mul_f32_e32 v30, v6, v5
	s_waitcnt vmcnt(48)
	v_mul_f32_e32 v31, v8, v54
	s_waitcnt vmcnt(47) lgkmcnt(4)
	v_mul_f32_e32 v32, v10, v56
	s_waitcnt vmcnt(46)
	v_mul_f32_e32 v33, v12, v64
	;; [unrolled: 4-line block ×6, first 2 shown]
	s_waitcnt vmcnt(37)
	v_fmac_f32_e32 v30, v7, v178
	s_waitcnt vmcnt(36)
	v_fmac_f32_e32 v31, v9, v179
	v_add_f32_e32 v30, 0, v30
	s_waitcnt vmcnt(35)
	v_fmac_f32_e32 v32, v11, v180
	v_add_f32_e32 v30, v30, v31
	;; [unrolled: 3-line block ×9, first 2 shown]
	v_add_f32_e32 v34, v30, v39
	ds_read2_b64 v[30:33], v4 offset0:75 offset1:76
	s_waitcnt vmcnt(27)
	v_fmac_f32_e32 v40, v27, v188
	v_add_f32_e32 v34, v34, v40
	s_waitcnt vmcnt(26)
	v_fmac_f32_e32 v41, v29, v189
	v_add_f32_e32 v38, v34, v41
	ds_read2_b64 v[34:37], v4 offset0:77 offset1:78
	s_waitcnt vmcnt(25) lgkmcnt(1)
	v_mul_f32_e32 v39, v30, v190
	s_waitcnt vmcnt(24)
	v_fmac_f32_e32 v39, v31, v191
	v_add_f32_e32 v38, v38, v39
	s_waitcnt vmcnt(23)
	v_mul_f32_e32 v39, v32, v192
	s_waitcnt vmcnt(22)
	v_fmac_f32_e32 v39, v33, v193
	v_add_f32_e32 v38, v38, v39
	s_waitcnt vmcnt(21) lgkmcnt(0)
	v_mul_f32_e32 v39, v34, v194
	s_waitcnt vmcnt(20)
	v_fmac_f32_e32 v39, v35, v195
	v_add_f32_e32 v42, v38, v39
	ds_read2_b64 v[38:41], v4 offset0:79 offset1:80
	s_waitcnt vmcnt(19)
	v_mul_f32_e32 v43, v36, v196
	s_waitcnt vmcnt(18)
	v_fmac_f32_e32 v43, v37, v197
	v_add_f32_e32 v46, v42, v43
	ds_read2_b64 v[42:45], v4 offset0:81 offset1:82
	s_waitcnt vmcnt(17) lgkmcnt(1)
	v_mul_f32_e32 v47, v38, v198
	s_waitcnt vmcnt(16)
	v_fmac_f32_e32 v47, v39, v199
	v_add_f32_e32 v46, v46, v47
	s_waitcnt vmcnt(15)
	v_mul_f32_e32 v47, v40, v200
	s_waitcnt vmcnt(14)
	v_fmac_f32_e32 v47, v41, v201
	v_add_f32_e32 v46, v46, v47
	s_waitcnt vmcnt(13) lgkmcnt(0)
	v_mul_f32_e32 v47, v42, v202
	s_waitcnt vmcnt(12)
	v_fmac_f32_e32 v47, v43, v203
	s_waitcnt vmcnt(11)
	v_mul_f32_e32 v51, v44, v204
	v_add_f32_e32 v50, v46, v47
	s_waitcnt vmcnt(10)
	v_fmac_f32_e32 v51, v45, v205
	ds_read2_b64 v[46:49], v4 offset0:83 offset1:84
	v_add_f32_e32 v55, v50, v51
	ds_read2_b64 v[50:53], v4 offset0:85 offset1:86
	buffer_load_dword v59, off, s[0:3], 0 offset:332
	buffer_load_dword v58, off, s[0:3], 0 offset:328
	buffer_load_dword v61, off, s[0:3], 0 offset:324
	buffer_load_dword v60, off, s[0:3], 0 offset:320
	buffer_load_dword v63, off, s[0:3], 0 offset:316
	buffer_load_dword v62, off, s[0:3], 0 offset:312
	buffer_load_dword v67, off, s[0:3], 0 offset:364
	buffer_load_dword v66, off, s[0:3], 0 offset:360
	buffer_load_dword v69, off, s[0:3], 0 offset:356
	buffer_load_dword v68, off, s[0:3], 0 offset:352
	buffer_load_dword v71, off, s[0:3], 0 offset:348
	buffer_load_dword v70, off, s[0:3], 0 offset:344
	buffer_load_dword v73, off, s[0:3], 0 offset:340
	buffer_load_dword v72, off, s[0:3], 0 offset:336
	buffer_load_dword v75, off, s[0:3], 0 offset:372
	buffer_load_dword v74, off, s[0:3], 0 offset:368
	v_mul_f32_e32 v5, v7, v5
	v_fma_f32 v5, v6, v178, -v5
	v_mul_f32_e32 v6, v9, v54
	v_add_f32_e32 v5, 0, v5
	v_fma_f32 v6, v8, v179, -v6
	v_add_f32_e32 v5, v5, v6
	v_mul_f32_e32 v6, v11, v56
	v_fma_f32 v6, v10, v180, -v6
	v_add_f32_e32 v5, v5, v6
	v_mul_f32_e32 v6, v13, v64
	;; [unrolled: 3-line block ×18, first 2 shown]
	v_fma_f32 v6, v44, v205, -v6
	v_add_f32_e32 v5, v5, v6
	s_waitcnt vmcnt(23) lgkmcnt(1)
	v_mul_f32_e32 v6, v47, v206
	s_waitcnt vmcnt(22)
	v_fma_f32 v6, v46, v207, -v6
	v_add_f32_e32 v5, v5, v6
	s_waitcnt vmcnt(20)
	v_mul_f32_e32 v6, v49, v209
	v_fma_f32 v6, v48, v208, -v6
	v_add_f32_e32 v54, v5, v6
	ds_read2_b64 v[6:9], v4 offset0:87 offset1:88
	ds_read2_b64 v[10:13], v4 offset0:89 offset1:90
	;; [unrolled: 1-line block ×4, first 2 shown]
	v_mul_f32_e32 v57, v46, v206
	v_fmac_f32_e32 v57, v47, v207
	v_add_f32_e32 v55, v55, v57
	v_mul_f32_e32 v57, v48, v209
	v_fmac_f32_e32 v57, v49, v208
	v_add_f32_e32 v55, v55, v57
	s_waitcnt vmcnt(18) lgkmcnt(4)
	v_mul_f32_e32 v57, v50, v211
	v_mul_f32_e32 v5, v51, v211
	v_fmac_f32_e32 v57, v51, v210
	s_waitcnt vmcnt(16)
	v_mul_f32_e32 v65, v52, v213
	s_waitcnt vmcnt(11)
	v_mov_b32_e32 v22, v63
	s_waitcnt lgkmcnt(3)
	v_pk_mul_f32 v[22:23], v[6:7], v[22:23] op_sel_hi:[1,0]
	s_waitcnt vmcnt(10)
	v_pk_fma_f32 v[24:25], v[6:7], v[62:63], v[22:23] op_sel:[0,0,1] op_sel_hi:[1,1,0] neg_lo:[0,0,1] neg_hi:[0,0,1]
	v_pk_fma_f32 v[6:7], v[6:7], v[62:63], v[22:23] op_sel:[0,0,1] op_sel_hi:[1,0,0]
	v_mov_b32_e32 v6, v61
	v_mov_b32_e32 v25, v7
	v_pk_mul_f32 v[6:7], v[8:9], v[6:7] op_sel_hi:[1,0]
	v_pk_fma_f32 v[22:23], v[8:9], v[60:61], v[6:7] op_sel:[0,0,1] op_sel_hi:[1,1,0] neg_lo:[0,0,1] neg_hi:[0,0,1]
	v_pk_fma_f32 v[6:7], v[8:9], v[60:61], v[6:7] op_sel:[0,0,1] op_sel_hi:[1,0,0]
	v_fma_f32 v56, v50, v210, -v5
	v_mul_f32_e32 v5, v53, v213
	v_mov_b32_e32 v6, v59
	v_fmac_f32_e32 v65, v53, v212
	v_fma_f32 v64, v52, v212, -v5
	v_pk_add_f32 v[4:5], v[54:55], v[56:57]
	v_mov_b32_e32 v23, v7
	s_waitcnt lgkmcnt(2)
	v_pk_mul_f32 v[6:7], v[10:11], v[6:7] op_sel_hi:[1,0]
	v_pk_add_f32 v[4:5], v[4:5], v[64:65]
	v_pk_fma_f32 v[8:9], v[10:11], v[58:59], v[6:7] op_sel:[0,0,1] op_sel_hi:[1,1,0] neg_lo:[0,0,1] neg_hi:[0,0,1]
	v_pk_fma_f32 v[6:7], v[10:11], v[58:59], v[6:7] op_sel:[0,0,1] op_sel_hi:[1,0,0]
	v_pk_add_f32 v[4:5], v[4:5], v[24:25]
	s_waitcnt vmcnt(3)
	v_mov_b32_e32 v6, v73
	v_pk_add_f32 v[4:5], v[4:5], v[22:23]
	v_mov_b32_e32 v9, v7
	v_pk_mul_f32 v[6:7], v[12:13], v[6:7] op_sel_hi:[1,0]
	v_pk_add_f32 v[4:5], v[4:5], v[8:9]
	s_waitcnt vmcnt(2)
	v_pk_fma_f32 v[8:9], v[12:13], v[72:73], v[6:7] op_sel:[0,0,1] op_sel_hi:[1,1,0] neg_lo:[0,0,1] neg_hi:[0,0,1]
	v_pk_fma_f32 v[6:7], v[12:13], v[72:73], v[6:7] op_sel:[0,0,1] op_sel_hi:[1,0,0]
	v_mov_b32_e32 v6, v71
	v_mov_b32_e32 v9, v7
	s_waitcnt lgkmcnt(1)
	v_pk_mul_f32 v[6:7], v[14:15], v[6:7] op_sel_hi:[1,0]
	v_pk_add_f32 v[4:5], v[4:5], v[8:9]
	v_pk_fma_f32 v[8:9], v[14:15], v[70:71], v[6:7] op_sel:[0,0,1] op_sel_hi:[1,1,0] neg_lo:[0,0,1] neg_hi:[0,0,1]
	v_pk_fma_f32 v[6:7], v[14:15], v[70:71], v[6:7] op_sel:[0,0,1] op_sel_hi:[1,0,0]
	v_mov_b32_e32 v6, v69
	v_mov_b32_e32 v9, v7
	v_pk_mul_f32 v[6:7], v[16:17], v[6:7] op_sel_hi:[1,0]
	v_pk_add_f32 v[4:5], v[4:5], v[8:9]
	v_pk_fma_f32 v[8:9], v[16:17], v[68:69], v[6:7] op_sel:[0,0,1] op_sel_hi:[1,1,0] neg_lo:[0,0,1] neg_hi:[0,0,1]
	v_pk_fma_f32 v[6:7], v[16:17], v[68:69], v[6:7] op_sel:[0,0,1] op_sel_hi:[1,0,0]
	v_mov_b32_e32 v6, v67
	v_mov_b32_e32 v9, v7
	s_waitcnt lgkmcnt(0)
	v_pk_mul_f32 v[6:7], v[18:19], v[6:7] op_sel_hi:[1,0]
	v_pk_add_f32 v[4:5], v[4:5], v[8:9]
	v_pk_fma_f32 v[8:9], v[18:19], v[66:67], v[6:7] op_sel:[0,0,1] op_sel_hi:[1,1,0] neg_lo:[0,0,1] neg_hi:[0,0,1]
	v_pk_fma_f32 v[6:7], v[18:19], v[66:67], v[6:7] op_sel:[0,0,1] op_sel_hi:[1,0,0]
	s_waitcnt vmcnt(1)
	v_mov_b32_e32 v6, v75
	v_mov_b32_e32 v9, v7
	v_pk_mul_f32 v[6:7], v[20:21], v[6:7] op_sel_hi:[1,0]
	v_pk_add_f32 v[4:5], v[4:5], v[8:9]
	s_waitcnt vmcnt(0)
	v_pk_fma_f32 v[8:9], v[20:21], v[74:75], v[6:7] op_sel:[0,0,1] op_sel_hi:[1,1,0] neg_lo:[0,0,1] neg_hi:[0,0,1]
	v_pk_fma_f32 v[6:7], v[20:21], v[74:75], v[6:7] op_sel:[0,0,1] op_sel_hi:[1,0,0]
	v_mov_b32_e32 v9, v7
	v_pk_add_f32 v[4:5], v[4:5], v[8:9]
	v_pk_add_f32 v[2:3], v[2:3], v[4:5] neg_lo:[0,1] neg_hi:[0,1]
	buffer_store_dword v3, off, s[0:3], 0 offset:116
	buffer_store_dword v2, off, s[0:3], 0 offset:112
	s_and_saveexec_b64 s[4:5], vcc
	s_cbranch_execz .LBB46_269
; %bb.268:
	buffer_load_dword v2, off, s[0:3], 0 offset:104
	buffer_load_dword v3, off, s[0:3], 0 offset:108
	v_mov_b32_e32 v4, 0
	buffer_store_dword v4, off, s[0:3], 0 offset:104
	buffer_store_dword v4, off, s[0:3], 0 offset:108
	s_waitcnt vmcnt(2)
	ds_write_b64 v89, v[2:3]
.LBB46_269:
	s_or_b64 exec, exec, s[4:5]
	s_waitcnt lgkmcnt(0)
	; wave barrier
	s_waitcnt lgkmcnt(0)
	buffer_load_dword v5, off, s[0:3], 0 offset:116
	buffer_load_dword v62, off, s[0:3], 0 offset:124
	;; [unrolled: 1-line block ×52, first 2 shown]
	v_mov_b32_e32 v4, 0
	ds_read_b128 v[6:9], v4 offset:496
	ds_read_b128 v[10:13], v4 offset:512
	;; [unrolled: 1-line block ×6, first 2 shown]
	v_cmp_lt_u32_e32 vcc, 12, v0
	s_waitcnt vmcnt(51) lgkmcnt(5)
	v_mul_f32_e32 v30, v6, v5
	s_waitcnt vmcnt(50)
	v_mul_f32_e32 v31, v8, v62
	s_waitcnt vmcnt(49) lgkmcnt(4)
	v_mul_f32_e32 v32, v10, v68
	s_waitcnt vmcnt(48)
	v_mul_f32_e32 v33, v12, v70
	;; [unrolled: 4-line block ×5, first 2 shown]
	s_waitcnt vmcnt(41) lgkmcnt(0)
	v_mul_f32_e32 v40, v26, v184
	s_waitcnt vmcnt(40)
	v_fmac_f32_e32 v30, v7, v185
	s_waitcnt vmcnt(39)
	v_fmac_f32_e32 v31, v9, v186
	v_add_f32_e32 v30, 0, v30
	s_waitcnt vmcnt(38)
	v_fmac_f32_e32 v32, v11, v187
	v_add_f32_e32 v30, v30, v31
	;; [unrolled: 3-line block ×9, first 2 shown]
	v_add_f32_e32 v30, v30, v39
	s_waitcnt vmcnt(30)
	v_fmac_f32_e32 v40, v27, v195
	v_add_f32_e32 v34, v30, v40
	ds_read_b128 v[30:33], v4 offset:592
	s_waitcnt vmcnt(29)
	v_mul_f32_e32 v35, v28, v196
	s_waitcnt vmcnt(28)
	v_fmac_f32_e32 v35, v29, v197
	v_add_f32_e32 v38, v34, v35
	ds_read_b128 v[34:37], v4 offset:608
	s_waitcnt vmcnt(27) lgkmcnt(1)
	v_mul_f32_e32 v39, v30, v198
	s_waitcnt vmcnt(26)
	v_fmac_f32_e32 v39, v31, v199
	v_add_f32_e32 v38, v38, v39
	s_waitcnt vmcnt(25)
	v_mul_f32_e32 v39, v32, v200
	s_waitcnt vmcnt(24)
	v_fmac_f32_e32 v39, v33, v201
	v_add_f32_e32 v38, v38, v39
	s_waitcnt vmcnt(23) lgkmcnt(0)
	v_mul_f32_e32 v39, v34, v202
	s_waitcnt vmcnt(22)
	v_fmac_f32_e32 v39, v35, v203
	v_add_f32_e32 v42, v38, v39
	ds_read_b128 v[38:41], v4 offset:624
	s_waitcnt vmcnt(21)
	v_mul_f32_e32 v43, v36, v204
	s_waitcnt vmcnt(20)
	v_fmac_f32_e32 v43, v37, v205
	v_add_f32_e32 v46, v42, v43
	ds_read_b128 v[42:45], v4 offset:640
	s_waitcnt vmcnt(19) lgkmcnt(1)
	v_mul_f32_e32 v47, v38, v206
	s_waitcnt vmcnt(18)
	v_fmac_f32_e32 v47, v39, v207
	v_add_f32_e32 v46, v46, v47
	s_waitcnt vmcnt(17)
	v_mul_f32_e32 v47, v40, v208
	s_waitcnt vmcnt(16)
	v_fmac_f32_e32 v47, v41, v209
	v_add_f32_e32 v46, v46, v47
	s_waitcnt vmcnt(14) lgkmcnt(0)
	v_mul_f32_e32 v47, v42, v211
	v_fmac_f32_e32 v47, v43, v210
	v_add_f32_e32 v50, v46, v47
	ds_read_b128 v[46:49], v4 offset:656
	s_waitcnt vmcnt(10)
	v_mul_f32_e32 v51, v44, v213
	v_fmac_f32_e32 v51, v45, v212
	v_add_f32_e32 v54, v50, v51
	ds_read_b128 v[50:53], v4 offset:672
	s_waitcnt vmcnt(8) lgkmcnt(1)
	v_mul_f32_e32 v55, v46, v215
	v_fmac_f32_e32 v55, v47, v214
	v_add_f32_e32 v54, v54, v55
	s_waitcnt vmcnt(6)
	v_mul_f32_e32 v55, v48, v217
	v_fmac_f32_e32 v55, v49, v216
	v_add_f32_e32 v54, v54, v55
	s_waitcnt vmcnt(4) lgkmcnt(0)
	v_mul_f32_e32 v55, v50, v219
	v_fmac_f32_e32 v55, v51, v218
	v_add_f32_e32 v63, v54, v55
	ds_read_b128 v[54:57], v4 offset:688
	buffer_load_dword v65, off, s[0:3], 0 offset:324
	buffer_load_dword v64, off, s[0:3], 0 offset:320
	;; [unrolled: 1-line block ×4, first 2 shown]
	ds_read_b128 v[58:61], v4 offset:704
	buffer_load_dword v73, off, s[0:3], 0 offset:356
	buffer_load_dword v72, off, s[0:3], 0 offset:352
	;; [unrolled: 1-line block ×12, first 2 shown]
	v_mul_f32_e32 v5, v7, v5
	v_fma_f32 v5, v6, v185, -v5
	v_mul_f32_e32 v6, v9, v62
	v_add_f32_e32 v5, 0, v5
	v_fma_f32 v6, v8, v186, -v6
	v_add_f32_e32 v5, v5, v6
	v_mul_f32_e32 v6, v11, v68
	v_fma_f32 v6, v10, v187, -v6
	v_add_f32_e32 v5, v5, v6
	v_mul_f32_e32 v6, v13, v70
	;; [unrolled: 3-line block ×21, first 2 shown]
	v_fma_f32 v6, v50, v218, -v6
	s_waitcnt vmcnt(18)
	v_mul_f32_e32 v69, v52, v221
	v_add_f32_e32 v62, v5, v6
	v_mul_f32_e32 v5, v53, v221
	v_fmac_f32_e32 v69, v53, v220
	s_waitcnt vmcnt(16) lgkmcnt(1)
	v_mul_f32_e32 v71, v54, v223
	v_fma_f32 v68, v52, v220, -v5
	v_mul_f32_e32 v5, v55, v223
	v_fmac_f32_e32 v71, v55, v222
	s_waitcnt vmcnt(13)
	v_mov_b32_e32 v18, v67
	v_pk_mul_f32 v[18:19], v[56:57], v[18:19] op_sel_hi:[1,0]
	s_waitcnt vmcnt(12)
	v_pk_fma_f32 v[20:21], v[56:57], v[66:67], v[18:19] op_sel:[0,0,1] op_sel_hi:[1,1,0] neg_lo:[0,0,1] neg_hi:[0,0,1]
	v_pk_fma_f32 v[18:19], v[56:57], v[66:67], v[18:19] op_sel:[0,0,1] op_sel_hi:[1,0,0]
	v_fma_f32 v70, v54, v222, -v5
	v_pk_add_f32 v[16:17], v[62:63], v[68:69]
	v_mov_b32_e32 v18, v65
	v_pk_add_f32 v[16:17], v[16:17], v[70:71]
	v_mov_b32_e32 v21, v19
	s_waitcnt lgkmcnt(0)
	v_pk_mul_f32 v[18:19], v[58:59], v[18:19] op_sel_hi:[1,0]
	v_pk_add_f32 v[16:17], v[16:17], v[20:21]
	v_pk_fma_f32 v[20:21], v[58:59], v[64:65], v[18:19] op_sel:[0,0,1] op_sel_hi:[1,1,0] neg_lo:[0,0,1] neg_hi:[0,0,1]
	v_pk_fma_f32 v[18:19], v[58:59], v[64:65], v[18:19] op_sel:[0,0,1] op_sel_hi:[1,0,0]
	s_waitcnt vmcnt(5)
	v_mov_b32_e32 v18, v173
	ds_read_b128 v[6:9], v4 offset:720
	ds_read_b128 v[10:13], v4 offset:736
	ds_read_b64 v[14:15], v4 offset:752
	v_mov_b32_e32 v21, v19
	v_pk_mul_f32 v[18:19], v[60:61], v[18:19] op_sel_hi:[1,0]
	v_pk_add_f32 v[16:17], v[16:17], v[20:21]
	s_waitcnt vmcnt(4)
	v_pk_fma_f32 v[20:21], v[60:61], v[172:173], v[18:19] op_sel:[0,0,1] op_sel_hi:[1,1,0] neg_lo:[0,0,1] neg_hi:[0,0,1]
	v_pk_fma_f32 v[18:19], v[60:61], v[172:173], v[18:19] op_sel:[0,0,1] op_sel_hi:[1,0,0]
	v_mov_b32_e32 v18, v77
	v_mov_b32_e32 v21, v19
	s_waitcnt lgkmcnt(2)
	v_pk_mul_f32 v[18:19], v[6:7], v[18:19] op_sel_hi:[1,0]
	v_pk_add_f32 v[16:17], v[16:17], v[20:21]
	v_pk_fma_f32 v[20:21], v[6:7], v[76:77], v[18:19] op_sel:[0,0,1] op_sel_hi:[1,1,0] neg_lo:[0,0,1] neg_hi:[0,0,1]
	v_pk_fma_f32 v[6:7], v[6:7], v[76:77], v[18:19] op_sel:[0,0,1] op_sel_hi:[1,0,0]
	v_mov_b32_e32 v21, v7
	v_pk_add_f32 v[6:7], v[16:17], v[20:21]
	v_mov_b32_e32 v16, v75
	v_pk_mul_f32 v[16:17], v[8:9], v[16:17] op_sel_hi:[1,0]
	v_pk_fma_f32 v[18:19], v[8:9], v[74:75], v[16:17] op_sel:[0,0,1] op_sel_hi:[1,1,0] neg_lo:[0,0,1] neg_hi:[0,0,1]
	v_pk_fma_f32 v[8:9], v[8:9], v[74:75], v[16:17] op_sel:[0,0,1] op_sel_hi:[1,0,0]
	v_mov_b32_e32 v8, v73
	v_mov_b32_e32 v19, v9
	s_waitcnt lgkmcnt(1)
	v_pk_mul_f32 v[8:9], v[10:11], v[8:9] op_sel_hi:[1,0]
	v_pk_fma_f32 v[16:17], v[10:11], v[72:73], v[8:9] op_sel:[0,0,1] op_sel_hi:[1,1,0] neg_lo:[0,0,1] neg_hi:[0,0,1]
	v_pk_fma_f32 v[8:9], v[10:11], v[72:73], v[8:9] op_sel:[0,0,1] op_sel_hi:[1,0,0]
	s_waitcnt vmcnt(1)
	v_mov_b32_e32 v8, v177
	v_mov_b32_e32 v17, v9
	v_pk_mul_f32 v[8:9], v[12:13], v[8:9] op_sel_hi:[1,0]
	s_waitcnt vmcnt(0)
	v_pk_fma_f32 v[10:11], v[12:13], v[176:177], v[8:9] op_sel:[0,0,1] op_sel_hi:[1,1,0] neg_lo:[0,0,1] neg_hi:[0,0,1]
	v_pk_fma_f32 v[8:9], v[12:13], v[176:177], v[8:9] op_sel:[0,0,1] op_sel_hi:[1,0,0]
	v_pk_add_f32 v[6:7], v[6:7], v[18:19]
	v_mov_b32_e32 v8, v175
	v_pk_add_f32 v[6:7], v[6:7], v[16:17]
	v_mov_b32_e32 v11, v9
	s_waitcnt lgkmcnt(0)
	v_pk_mul_f32 v[8:9], v[14:15], v[8:9] op_sel_hi:[1,0]
	v_pk_add_f32 v[6:7], v[6:7], v[10:11]
	v_pk_fma_f32 v[10:11], v[14:15], v[174:175], v[8:9] op_sel:[0,0,1] op_sel_hi:[1,1,0] neg_lo:[0,0,1] neg_hi:[0,0,1]
	v_pk_fma_f32 v[8:9], v[14:15], v[174:175], v[8:9] op_sel:[0,0,1] op_sel_hi:[1,0,0]
	v_mov_b32_e32 v11, v9
	v_pk_add_f32 v[6:7], v[6:7], v[10:11]
	v_pk_add_f32 v[2:3], v[2:3], v[6:7] neg_lo:[0,1] neg_hi:[0,1]
	buffer_store_dword v3, off, s[0:3], 0 offset:108
	buffer_store_dword v2, off, s[0:3], 0 offset:104
	s_and_saveexec_b64 s[4:5], vcc
	s_cbranch_execz .LBB46_271
; %bb.270:
	buffer_load_dword v2, off, s[0:3], 0 offset:96
	buffer_load_dword v3, off, s[0:3], 0 offset:100
	s_waitcnt vmcnt(0)
	ds_write_b64 v89, v[2:3]
	buffer_store_dword v4, off, s[0:3], 0 offset:96
	buffer_store_dword v4, off, s[0:3], 0 offset:100
.LBB46_271:
	s_or_b64 exec, exec, s[4:5]
	s_waitcnt lgkmcnt(0)
	; wave barrier
	s_waitcnt lgkmcnt(0)
	buffer_load_dword v5, off, s[0:3], 0 offset:108
	buffer_load_dword v64, off, s[0:3], 0 offset:116
	;; [unrolled: 1-line block ×42, first 2 shown]
	ds_read2_b64 v[6:9], v4 offset0:61 offset1:62
	ds_read2_b64 v[10:13], v4 offset0:63 offset1:64
	buffer_load_dword v214, off, s[0:3], 0 offset:264
	buffer_load_dword v215, off, s[0:3], 0 offset:268
	ds_read2_b64 v[14:17], v4 offset0:65 offset1:66
	ds_read2_b64 v[18:21], v4 offset0:67 offset1:68
	buffer_load_dword v216, off, s[0:3], 0 offset:272
	buffer_load_dword v217, off, s[0:3], 0 offset:276
	;; [unrolled: 1-line block ×4, first 2 shown]
	ds_read2_b64 v[22:25], v4 offset0:69 offset1:70
	ds_read2_b64 v[26:29], v4 offset0:71 offset1:72
	buffer_load_dword v220, off, s[0:3], 0 offset:288
	buffer_load_dword v221, off, s[0:3], 0 offset:292
	;; [unrolled: 1-line block ×6, first 2 shown]
	v_cmp_lt_u32_e32 vcc, 11, v0
	s_waitcnt vmcnt(53) lgkmcnt(5)
	v_mul_f32_e32 v30, v6, v5
	s_waitcnt vmcnt(52)
	v_mul_f32_e32 v31, v8, v64
	s_waitcnt vmcnt(51) lgkmcnt(4)
	v_mul_f32_e32 v32, v10, v66
	s_waitcnt vmcnt(50)
	v_mul_f32_e32 v33, v12, v68
	;; [unrolled: 4-line block ×5, first 2 shown]
	s_waitcnt vmcnt(43)
	v_fmac_f32_e32 v30, v7, v184
	s_waitcnt vmcnt(42)
	v_fmac_f32_e32 v31, v9, v185
	v_add_f32_e32 v30, 0, v30
	s_waitcnt vmcnt(41)
	v_fmac_f32_e32 v32, v11, v186
	v_add_f32_e32 v30, v30, v31
	s_waitcnt vmcnt(40)
	v_fmac_f32_e32 v33, v13, v187
	v_add_f32_e32 v30, v30, v32
	s_waitcnt vmcnt(39)
	v_fmac_f32_e32 v34, v15, v188
	v_add_f32_e32 v30, v30, v33
	s_waitcnt vmcnt(38)
	v_fmac_f32_e32 v35, v17, v189
	v_add_f32_e32 v30, v30, v34
	s_waitcnt vmcnt(37)
	v_fmac_f32_e32 v36, v19, v190
	v_add_f32_e32 v30, v30, v35
	s_waitcnt vmcnt(36)
	v_fmac_f32_e32 v37, v21, v191
	v_add_f32_e32 v30, v30, v36
	s_waitcnt vmcnt(35)
	v_fmac_f32_e32 v38, v23, v192
	v_add_f32_e32 v30, v30, v37
	s_waitcnt vmcnt(34)
	v_fmac_f32_e32 v39, v25, v193
	v_add_f32_e32 v30, v30, v38
	s_waitcnt vmcnt(33) lgkmcnt(0)
	v_mul_f32_e32 v31, v26, v194
	v_add_f32_e32 v30, v30, v39
	s_waitcnt vmcnt(32)
	v_fmac_f32_e32 v31, v27, v195
	v_add_f32_e32 v34, v30, v31
	ds_read2_b64 v[30:33], v4 offset0:73 offset1:74
	s_waitcnt vmcnt(31)
	v_mul_f32_e32 v35, v28, v196
	s_waitcnt vmcnt(30)
	v_fmac_f32_e32 v35, v29, v197
	v_add_f32_e32 v38, v34, v35
	ds_read2_b64 v[34:37], v4 offset0:75 offset1:76
	s_waitcnt vmcnt(29) lgkmcnt(1)
	v_mul_f32_e32 v39, v30, v198
	s_waitcnt vmcnt(28)
	v_fmac_f32_e32 v39, v31, v199
	v_add_f32_e32 v38, v38, v39
	s_waitcnt vmcnt(27)
	v_mul_f32_e32 v39, v32, v200
	s_waitcnt vmcnt(26)
	v_fmac_f32_e32 v39, v33, v201
	v_add_f32_e32 v38, v38, v39
	s_waitcnt vmcnt(25) lgkmcnt(0)
	v_mul_f32_e32 v39, v34, v202
	s_waitcnt vmcnt(24)
	v_fmac_f32_e32 v39, v35, v203
	v_add_f32_e32 v42, v38, v39
	ds_read2_b64 v[38:41], v4 offset0:77 offset1:78
	s_waitcnt vmcnt(23)
	v_mul_f32_e32 v43, v36, v204
	s_waitcnt vmcnt(22)
	v_fmac_f32_e32 v43, v37, v205
	v_add_f32_e32 v46, v42, v43
	ds_read2_b64 v[42:45], v4 offset0:79 offset1:80
	s_waitcnt vmcnt(21) lgkmcnt(1)
	v_mul_f32_e32 v47, v38, v206
	s_waitcnt vmcnt(20)
	v_fmac_f32_e32 v47, v39, v207
	v_add_f32_e32 v46, v46, v47
	s_waitcnt vmcnt(18)
	v_mul_f32_e32 v47, v40, v209
	v_fmac_f32_e32 v47, v41, v208
	v_add_f32_e32 v46, v46, v47
	s_waitcnt vmcnt(15) lgkmcnt(0)
	v_mul_f32_e32 v47, v42, v210
	s_waitcnt vmcnt(14)
	v_fmac_f32_e32 v47, v43, v211
	v_add_f32_e32 v50, v46, v47
	ds_read2_b64 v[46:49], v4 offset0:81 offset1:82
	s_waitcnt vmcnt(12)
	v_mul_f32_e32 v51, v44, v213
	v_fmac_f32_e32 v51, v45, v212
	v_add_f32_e32 v54, v50, v51
	ds_read2_b64 v[50:53], v4 offset0:83 offset1:84
	buffer_load_dword v63, off, s[0:3], 0 offset:316
	buffer_load_dword v62, off, s[0:3], 0 offset:312
	s_waitcnt vmcnt(12) lgkmcnt(1)
	v_mul_f32_e32 v55, v46, v215
	v_fmac_f32_e32 v55, v47, v214
	v_add_f32_e32 v54, v54, v55
	s_waitcnt vmcnt(10)
	v_mul_f32_e32 v55, v48, v217
	v_fmac_f32_e32 v55, v49, v216
	v_add_f32_e32 v54, v54, v55
	s_waitcnt vmcnt(8) lgkmcnt(0)
	v_mul_f32_e32 v55, v50, v219
	v_fmac_f32_e32 v55, v51, v218
	s_waitcnt vmcnt(6)
	v_mul_f32_e32 v59, v52, v221
	v_add_f32_e32 v58, v54, v55
	v_fmac_f32_e32 v59, v53, v220
	ds_read2_b64 v[54:57], v4 offset0:85 offset1:86
	v_add_f32_e32 v65, v58, v59
	ds_read2_b64 v[58:61], v4 offset0:87 offset1:88
	buffer_load_dword v71, off, s[0:3], 0 offset:348
	buffer_load_dword v70, off, s[0:3], 0 offset:344
	;; [unrolled: 1-line block ×14, first 2 shown]
	v_mul_f32_e32 v5, v7, v5
	v_fma_f32 v5, v6, v184, -v5
	v_mul_f32_e32 v6, v9, v64
	v_add_f32_e32 v5, 0, v5
	v_fma_f32 v6, v8, v185, -v6
	v_add_f32_e32 v5, v5, v6
	v_mul_f32_e32 v6, v11, v66
	v_fma_f32 v6, v10, v186, -v6
	v_add_f32_e32 v5, v5, v6
	v_mul_f32_e32 v6, v13, v68
	;; [unrolled: 3-line block ×22, first 2 shown]
	v_fma_f32 v6, v52, v220, -v6
	s_waitcnt vmcnt(15)
	v_mov_b32_e32 v18, v63
	s_waitcnt lgkmcnt(1)
	v_mul_f32_e32 v67, v54, v223
	v_add_f32_e32 v64, v5, v6
	v_mul_f32_e32 v5, v55, v223
	s_waitcnt lgkmcnt(0)
	v_pk_mul_f32 v[18:19], v[58:59], v[18:19] op_sel_hi:[1,0]
	v_fmac_f32_e32 v67, v55, v222
	v_mul_f32_e32 v69, v56, v225
	v_fma_f32 v66, v54, v222, -v5
	v_mul_f32_e32 v5, v57, v225
	s_waitcnt vmcnt(14)
	v_pk_fma_f32 v[20:21], v[58:59], v[62:63], v[18:19] op_sel:[0,0,1] op_sel_hi:[1,1,0] neg_lo:[0,0,1] neg_hi:[0,0,1]
	v_pk_fma_f32 v[18:19], v[58:59], v[62:63], v[18:19] op_sel:[0,0,1] op_sel_hi:[1,0,0]
	v_fmac_f32_e32 v69, v57, v224
	v_fma_f32 v68, v56, v224, -v5
	ds_read2_b64 v[6:9], v4 offset0:89 offset1:90
	ds_read2_b64 v[10:13], v4 offset0:91 offset1:92
	;; [unrolled: 1-line block ×3, first 2 shown]
	v_pk_add_f32 v[4:5], v[64:65], v[66:67]
	s_waitcnt vmcnt(7)
	v_mov_b32_e32 v18, v77
	v_pk_add_f32 v[4:5], v[4:5], v[68:69]
	v_mov_b32_e32 v21, v19
	v_pk_mul_f32 v[18:19], v[60:61], v[18:19] op_sel_hi:[1,0]
	v_pk_add_f32 v[4:5], v[4:5], v[20:21]
	s_waitcnt vmcnt(6)
	v_pk_fma_f32 v[20:21], v[60:61], v[76:77], v[18:19] op_sel:[0,0,1] op_sel_hi:[1,1,0] neg_lo:[0,0,1] neg_hi:[0,0,1]
	v_pk_fma_f32 v[18:19], v[60:61], v[76:77], v[18:19] op_sel:[0,0,1] op_sel_hi:[1,0,0]
	v_mov_b32_e32 v18, v75
	v_mov_b32_e32 v21, v19
	s_waitcnt lgkmcnt(2)
	v_pk_mul_f32 v[18:19], v[6:7], v[18:19] op_sel_hi:[1,0]
	v_pk_add_f32 v[4:5], v[4:5], v[20:21]
	v_pk_fma_f32 v[20:21], v[6:7], v[74:75], v[18:19] op_sel:[0,0,1] op_sel_hi:[1,1,0] neg_lo:[0,0,1] neg_hi:[0,0,1]
	v_pk_fma_f32 v[6:7], v[6:7], v[74:75], v[18:19] op_sel:[0,0,1] op_sel_hi:[1,0,0]
	v_mov_b32_e32 v6, v73
	v_mov_b32_e32 v21, v7
	v_pk_mul_f32 v[6:7], v[8:9], v[6:7] op_sel_hi:[1,0]
	v_pk_fma_f32 v[18:19], v[8:9], v[72:73], v[6:7] op_sel:[0,0,1] op_sel_hi:[1,1,0] neg_lo:[0,0,1] neg_hi:[0,0,1]
	v_pk_fma_f32 v[6:7], v[8:9], v[72:73], v[6:7] op_sel:[0,0,1] op_sel_hi:[1,0,0]
	v_mov_b32_e32 v6, v71
	v_mov_b32_e32 v19, v7
	s_waitcnt lgkmcnt(1)
	v_pk_mul_f32 v[6:7], v[10:11], v[6:7] op_sel_hi:[1,0]
	v_pk_fma_f32 v[8:9], v[10:11], v[70:71], v[6:7] op_sel:[0,0,1] op_sel_hi:[1,1,0] neg_lo:[0,0,1] neg_hi:[0,0,1]
	v_pk_fma_f32 v[6:7], v[10:11], v[70:71], v[6:7] op_sel:[0,0,1] op_sel_hi:[1,0,0]
	v_pk_add_f32 v[4:5], v[4:5], v[20:21]
	s_waitcnt vmcnt(1)
	v_mov_b32_e32 v6, v177
	v_pk_add_f32 v[4:5], v[4:5], v[18:19]
	v_mov_b32_e32 v9, v7
	v_pk_mul_f32 v[6:7], v[12:13], v[6:7] op_sel_hi:[1,0]
	v_pk_add_f32 v[4:5], v[4:5], v[8:9]
	s_waitcnt vmcnt(0)
	v_pk_fma_f32 v[8:9], v[12:13], v[176:177], v[6:7] op_sel:[0,0,1] op_sel_hi:[1,1,0] neg_lo:[0,0,1] neg_hi:[0,0,1]
	v_pk_fma_f32 v[6:7], v[12:13], v[176:177], v[6:7] op_sel:[0,0,1] op_sel_hi:[1,0,0]
	v_mov_b32_e32 v6, v175
	v_mov_b32_e32 v9, v7
	s_waitcnt lgkmcnt(0)
	v_pk_mul_f32 v[6:7], v[14:15], v[6:7] op_sel_hi:[1,0]
	v_pk_add_f32 v[4:5], v[4:5], v[8:9]
	v_pk_fma_f32 v[8:9], v[14:15], v[174:175], v[6:7] op_sel:[0,0,1] op_sel_hi:[1,1,0] neg_lo:[0,0,1] neg_hi:[0,0,1]
	v_pk_fma_f32 v[6:7], v[14:15], v[174:175], v[6:7] op_sel:[0,0,1] op_sel_hi:[1,0,0]
	v_mov_b32_e32 v6, v173
	v_mov_b32_e32 v9, v7
	v_pk_mul_f32 v[6:7], v[16:17], v[6:7] op_sel_hi:[1,0]
	v_pk_add_f32 v[4:5], v[4:5], v[8:9]
	v_pk_fma_f32 v[8:9], v[16:17], v[172:173], v[6:7] op_sel:[0,0,1] op_sel_hi:[1,1,0] neg_lo:[0,0,1] neg_hi:[0,0,1]
	v_pk_fma_f32 v[6:7], v[16:17], v[172:173], v[6:7] op_sel:[0,0,1] op_sel_hi:[1,0,0]
	v_mov_b32_e32 v9, v7
	v_pk_add_f32 v[4:5], v[4:5], v[8:9]
	v_pk_add_f32 v[2:3], v[2:3], v[4:5] neg_lo:[0,1] neg_hi:[0,1]
	buffer_store_dword v3, off, s[0:3], 0 offset:100
	buffer_store_dword v2, off, s[0:3], 0 offset:96
	s_and_saveexec_b64 s[4:5], vcc
	s_cbranch_execz .LBB46_273
; %bb.272:
	buffer_load_dword v2, off, s[0:3], 0 offset:88
	buffer_load_dword v3, off, s[0:3], 0 offset:92
	v_mov_b32_e32 v4, 0
	buffer_store_dword v4, off, s[0:3], 0 offset:88
	buffer_store_dword v4, off, s[0:3], 0 offset:92
	s_waitcnt vmcnt(2)
	ds_write_b64 v89, v[2:3]
.LBB46_273:
	s_or_b64 exec, exec, s[4:5]
	s_waitcnt lgkmcnt(0)
	; wave barrier
	s_waitcnt lgkmcnt(0)
	buffer_load_dword v5, off, s[0:3], 0 offset:100
	buffer_load_dword v62, off, s[0:3], 0 offset:108
	;; [unrolled: 1-line block ×56, first 2 shown]
	v_mov_b32_e32 v4, 0
	ds_read_b128 v[6:9], v4 offset:480
	ds_read_b128 v[10:13], v4 offset:496
	ds_read_b128 v[14:17], v4 offset:512
	ds_read_b128 v[18:21], v4 offset:528
	ds_read_b128 v[22:25], v4 offset:544
	ds_read_b128 v[26:29], v4 offset:560
	v_cmp_lt_u32_e32 vcc, 10, v0
	s_waitcnt vmcnt(55) lgkmcnt(5)
	v_mul_f32_e32 v30, v6, v5
	s_waitcnt vmcnt(54)
	v_mul_f32_e32 v31, v8, v62
	s_waitcnt vmcnt(53) lgkmcnt(4)
	v_mul_f32_e32 v32, v10, v64
	s_waitcnt vmcnt(52)
	v_mul_f32_e32 v33, v12, v66
	;; [unrolled: 4-line block ×4, first 2 shown]
	s_waitcnt vmcnt(47) lgkmcnt(1)
	v_mul_f32_e32 v38, v22, v182
	s_waitcnt vmcnt(46)
	v_fmac_f32_e32 v30, v7, v183
	s_waitcnt vmcnt(45)
	v_fmac_f32_e32 v31, v9, v184
	v_add_f32_e32 v30, 0, v30
	s_waitcnt vmcnt(44)
	v_fmac_f32_e32 v32, v11, v185
	v_add_f32_e32 v30, v30, v31
	s_waitcnt vmcnt(43)
	v_fmac_f32_e32 v33, v13, v186
	v_add_f32_e32 v30, v30, v32
	s_waitcnt vmcnt(42)
	v_fmac_f32_e32 v34, v15, v187
	v_add_f32_e32 v30, v30, v33
	s_waitcnt vmcnt(41)
	v_fmac_f32_e32 v35, v17, v188
	v_add_f32_e32 v30, v30, v34
	s_waitcnt vmcnt(40)
	v_fmac_f32_e32 v36, v19, v189
	v_add_f32_e32 v30, v30, v35
	s_waitcnt vmcnt(39)
	v_fmac_f32_e32 v37, v21, v190
	v_add_f32_e32 v30, v30, v36
	v_add_f32_e32 v30, v30, v37
	s_waitcnt vmcnt(38)
	v_fmac_f32_e32 v38, v23, v191
	s_waitcnt vmcnt(37)
	v_mul_f32_e32 v31, v24, v192
	v_add_f32_e32 v30, v30, v38
	s_waitcnt vmcnt(36)
	v_fmac_f32_e32 v31, v25, v193
	v_add_f32_e32 v30, v30, v31
	s_waitcnt vmcnt(35) lgkmcnt(0)
	v_mul_f32_e32 v31, v26, v194
	s_waitcnt vmcnt(34)
	v_fmac_f32_e32 v31, v27, v195
	v_add_f32_e32 v34, v30, v31
	ds_read_b128 v[30:33], v4 offset:576
	s_waitcnt vmcnt(33)
	v_mul_f32_e32 v35, v28, v196
	s_waitcnt vmcnt(32)
	v_fmac_f32_e32 v35, v29, v197
	v_add_f32_e32 v38, v34, v35
	ds_read_b128 v[34:37], v4 offset:592
	s_waitcnt vmcnt(31) lgkmcnt(1)
	v_mul_f32_e32 v39, v30, v198
	s_waitcnt vmcnt(30)
	v_fmac_f32_e32 v39, v31, v199
	v_add_f32_e32 v38, v38, v39
	s_waitcnt vmcnt(29)
	v_mul_f32_e32 v39, v32, v200
	s_waitcnt vmcnt(28)
	v_fmac_f32_e32 v39, v33, v201
	v_add_f32_e32 v38, v38, v39
	s_waitcnt vmcnt(27) lgkmcnt(0)
	v_mul_f32_e32 v39, v34, v202
	s_waitcnt vmcnt(26)
	v_fmac_f32_e32 v39, v35, v203
	v_add_f32_e32 v42, v38, v39
	ds_read_b128 v[38:41], v4 offset:608
	s_waitcnt vmcnt(24)
	v_mul_f32_e32 v43, v36, v205
	v_fmac_f32_e32 v43, v37, v204
	v_add_f32_e32 v46, v42, v43
	ds_read_b128 v[42:45], v4 offset:624
	s_waitcnt vmcnt(20) lgkmcnt(1)
	v_mul_f32_e32 v47, v38, v207
	v_fmac_f32_e32 v47, v39, v206
	v_add_f32_e32 v46, v46, v47
	s_waitcnt vmcnt(18)
	v_mul_f32_e32 v47, v40, v209
	v_fmac_f32_e32 v47, v41, v208
	v_add_f32_e32 v46, v46, v47
	s_waitcnt vmcnt(16) lgkmcnt(0)
	v_mul_f32_e32 v47, v42, v211
	v_fmac_f32_e32 v47, v43, v210
	v_add_f32_e32 v50, v46, v47
	ds_read_b128 v[46:49], v4 offset:640
	s_waitcnt vmcnt(14)
	v_mul_f32_e32 v51, v44, v213
	v_fmac_f32_e32 v51, v45, v212
	v_add_f32_e32 v54, v50, v51
	ds_read_b128 v[50:53], v4 offset:656
	s_waitcnt vmcnt(12) lgkmcnt(1)
	v_mul_f32_e32 v55, v46, v215
	v_fmac_f32_e32 v55, v47, v214
	v_add_f32_e32 v54, v54, v55
	s_waitcnt vmcnt(10)
	v_mul_f32_e32 v55, v48, v217
	v_fmac_f32_e32 v55, v49, v216
	v_add_f32_e32 v54, v54, v55
	s_waitcnt vmcnt(8) lgkmcnt(0)
	v_mul_f32_e32 v55, v50, v219
	v_fmac_f32_e32 v55, v51, v218
	s_waitcnt vmcnt(6)
	v_mul_f32_e32 v59, v52, v221
	v_add_f32_e32 v58, v54, v55
	v_fmac_f32_e32 v59, v53, v220
	ds_read_b128 v[54:57], v4 offset:672
	v_add_f32_e32 v63, v58, v59
	ds_read_b128 v[58:61], v4 offset:688
	buffer_load_dword v69, off, s[0:3], 0 offset:340
	buffer_load_dword v68, off, s[0:3], 0 offset:336
	;; [unrolled: 1-line block ×16, first 2 shown]
	v_mul_f32_e32 v5, v7, v5
	v_fma_f32 v5, v6, v183, -v5
	v_mul_f32_e32 v6, v9, v62
	v_add_f32_e32 v5, 0, v5
	v_fma_f32 v6, v8, v184, -v6
	v_add_f32_e32 v5, v5, v6
	v_mul_f32_e32 v6, v11, v64
	v_fma_f32 v6, v10, v185, -v6
	v_add_f32_e32 v5, v5, v6
	v_mul_f32_e32 v6, v13, v66
	v_fma_f32 v6, v12, v186, -v6
	v_add_f32_e32 v5, v5, v6
	v_mul_f32_e32 v6, v15, v178
	v_fma_f32 v6, v14, v187, -v6
	v_add_f32_e32 v5, v5, v6
	v_mul_f32_e32 v6, v17, v179
	v_fma_f32 v6, v16, v188, -v6
	v_add_f32_e32 v5, v5, v6
	v_mul_f32_e32 v6, v19, v180
	v_fma_f32 v6, v18, v189, -v6
	v_add_f32_e32 v5, v5, v6
	v_mul_f32_e32 v6, v21, v181
	v_fma_f32 v6, v20, v190, -v6
	v_add_f32_e32 v5, v5, v6
	v_mul_f32_e32 v6, v23, v182
	v_fma_f32 v6, v22, v191, -v6
	v_add_f32_e32 v5, v5, v6
	v_mul_f32_e32 v6, v25, v192
	v_fma_f32 v6, v24, v193, -v6
	v_add_f32_e32 v5, v5, v6
	v_mul_f32_e32 v6, v27, v194
	v_fma_f32 v6, v26, v195, -v6
	v_add_f32_e32 v5, v5, v6
	v_mul_f32_e32 v6, v29, v196
	v_fma_f32 v6, v28, v197, -v6
	v_add_f32_e32 v5, v5, v6
	v_mul_f32_e32 v6, v31, v198
	v_fma_f32 v6, v30, v199, -v6
	v_add_f32_e32 v5, v5, v6
	v_mul_f32_e32 v6, v33, v200
	v_fma_f32 v6, v32, v201, -v6
	v_add_f32_e32 v5, v5, v6
	v_mul_f32_e32 v6, v35, v202
	v_fma_f32 v6, v34, v203, -v6
	v_add_f32_e32 v5, v5, v6
	v_mul_f32_e32 v6, v37, v205
	v_fma_f32 v6, v36, v204, -v6
	v_add_f32_e32 v5, v5, v6
	v_mul_f32_e32 v6, v39, v207
	v_fma_f32 v6, v38, v206, -v6
	v_add_f32_e32 v5, v5, v6
	v_mul_f32_e32 v6, v41, v209
	v_fma_f32 v6, v40, v208, -v6
	v_add_f32_e32 v5, v5, v6
	v_mul_f32_e32 v6, v43, v211
	v_fma_f32 v6, v42, v210, -v6
	v_add_f32_e32 v5, v5, v6
	v_mul_f32_e32 v6, v45, v213
	v_fma_f32 v6, v44, v212, -v6
	v_add_f32_e32 v5, v5, v6
	v_mul_f32_e32 v6, v47, v215
	v_fma_f32 v6, v46, v214, -v6
	v_add_f32_e32 v5, v5, v6
	v_mul_f32_e32 v6, v49, v217
	v_fma_f32 v6, v48, v216, -v6
	v_add_f32_e32 v5, v5, v6
	v_mul_f32_e32 v6, v51, v219
	v_fma_f32 v6, v50, v218, -v6
	v_add_f32_e32 v5, v5, v6
	v_mul_f32_e32 v6, v53, v221
	v_fma_f32 v6, v52, v220, -v6
	s_waitcnt vmcnt(20) lgkmcnt(1)
	v_mul_f32_e32 v65, v54, v223
	v_add_f32_e32 v5, v5, v6
	v_mul_f32_e32 v6, v55, v223
	v_fmac_f32_e32 v65, v55, v222
	v_fma_f32 v6, v54, v222, -v6
	s_waitcnt vmcnt(9)
	v_mov_b32_e32 v22, v75
	v_add_f32_e32 v63, v63, v65
	v_mul_f32_e32 v65, v56, v225
	v_add_f32_e32 v62, v5, v6
	v_mul_f32_e32 v5, v57, v225
	s_waitcnt lgkmcnt(0)
	v_pk_mul_f32 v[22:23], v[60:61], v[22:23] op_sel_hi:[1,0]
	v_fmac_f32_e32 v65, v57, v224
	v_mul_f32_e32 v67, v58, v227
	v_fma_f32 v64, v56, v224, -v5
	v_mul_f32_e32 v5, v59, v227
	ds_read_b128 v[6:9], v4 offset:704
	ds_read_b128 v[10:13], v4 offset:720
	;; [unrolled: 1-line block ×3, first 2 shown]
	ds_read_b64 v[18:19], v4 offset:752
	s_waitcnt vmcnt(8)
	v_pk_fma_f32 v[24:25], v[60:61], v[74:75], v[22:23] op_sel:[0,0,1] op_sel_hi:[1,1,0] neg_lo:[0,0,1] neg_hi:[0,0,1]
	v_pk_fma_f32 v[22:23], v[60:61], v[74:75], v[22:23] op_sel:[0,0,1] op_sel_hi:[1,0,0]
	v_fmac_f32_e32 v67, v59, v226
	v_fma_f32 v66, v58, v226, -v5
	v_pk_add_f32 v[20:21], v[62:63], v[64:65]
	v_mov_b32_e32 v22, v73
	v_pk_add_f32 v[20:21], v[20:21], v[66:67]
	v_mov_b32_e32 v25, v23
	s_waitcnt lgkmcnt(3)
	v_pk_mul_f32 v[22:23], v[6:7], v[22:23] op_sel_hi:[1,0]
	v_pk_add_f32 v[20:21], v[20:21], v[24:25]
	v_pk_fma_f32 v[24:25], v[6:7], v[72:73], v[22:23] op_sel:[0,0,1] op_sel_hi:[1,1,0] neg_lo:[0,0,1] neg_hi:[0,0,1]
	v_pk_fma_f32 v[6:7], v[6:7], v[72:73], v[22:23] op_sel:[0,0,1] op_sel_hi:[1,0,0]
	v_mov_b32_e32 v25, v7
	v_pk_add_f32 v[6:7], v[20:21], v[24:25]
	v_mov_b32_e32 v20, v71
	v_pk_mul_f32 v[20:21], v[8:9], v[20:21] op_sel_hi:[1,0]
	v_pk_fma_f32 v[22:23], v[8:9], v[70:71], v[20:21] op_sel:[0,0,1] op_sel_hi:[1,1,0] neg_lo:[0,0,1] neg_hi:[0,0,1]
	v_pk_fma_f32 v[8:9], v[8:9], v[70:71], v[20:21] op_sel:[0,0,1] op_sel_hi:[1,0,0]
	v_mov_b32_e32 v8, v69
	v_mov_b32_e32 v23, v9
	s_waitcnt lgkmcnt(2)
	v_pk_mul_f32 v[8:9], v[10:11], v[8:9] op_sel_hi:[1,0]
	v_pk_fma_f32 v[20:21], v[10:11], v[68:69], v[8:9] op_sel:[0,0,1] op_sel_hi:[1,1,0] neg_lo:[0,0,1] neg_hi:[0,0,1]
	v_pk_fma_f32 v[8:9], v[10:11], v[68:69], v[8:9] op_sel:[0,0,1] op_sel_hi:[1,0,0]
	s_waitcnt vmcnt(1)
	v_mov_b32_e32 v8, v177
	v_mov_b32_e32 v21, v9
	v_pk_mul_f32 v[8:9], v[12:13], v[8:9] op_sel_hi:[1,0]
	s_waitcnt vmcnt(0)
	v_pk_fma_f32 v[10:11], v[12:13], v[176:177], v[8:9] op_sel:[0,0,1] op_sel_hi:[1,1,0] neg_lo:[0,0,1] neg_hi:[0,0,1]
	v_pk_fma_f32 v[8:9], v[12:13], v[176:177], v[8:9] op_sel:[0,0,1] op_sel_hi:[1,0,0]
	v_pk_add_f32 v[6:7], v[6:7], v[22:23]
	v_mov_b32_e32 v8, v175
	v_pk_add_f32 v[6:7], v[6:7], v[20:21]
	v_mov_b32_e32 v11, v9
	s_waitcnt lgkmcnt(1)
	v_pk_mul_f32 v[8:9], v[14:15], v[8:9] op_sel_hi:[1,0]
	v_pk_add_f32 v[6:7], v[6:7], v[10:11]
	v_pk_fma_f32 v[10:11], v[14:15], v[174:175], v[8:9] op_sel:[0,0,1] op_sel_hi:[1,1,0] neg_lo:[0,0,1] neg_hi:[0,0,1]
	v_pk_fma_f32 v[8:9], v[14:15], v[174:175], v[8:9] op_sel:[0,0,1] op_sel_hi:[1,0,0]
	v_mov_b32_e32 v8, v173
	v_mov_b32_e32 v11, v9
	v_pk_mul_f32 v[8:9], v[16:17], v[8:9] op_sel_hi:[1,0]
	v_pk_add_f32 v[6:7], v[6:7], v[10:11]
	v_pk_fma_f32 v[10:11], v[16:17], v[172:173], v[8:9] op_sel:[0,0,1] op_sel_hi:[1,1,0] neg_lo:[0,0,1] neg_hi:[0,0,1]
	v_pk_fma_f32 v[8:9], v[16:17], v[172:173], v[8:9] op_sel:[0,0,1] op_sel_hi:[1,0,0]
	v_mov_b32_e32 v8, v77
	v_mov_b32_e32 v11, v9
	s_waitcnt lgkmcnt(0)
	v_pk_mul_f32 v[8:9], v[18:19], v[8:9] op_sel_hi:[1,0]
	v_pk_add_f32 v[6:7], v[6:7], v[10:11]
	v_pk_fma_f32 v[10:11], v[18:19], v[76:77], v[8:9] op_sel:[0,0,1] op_sel_hi:[1,1,0] neg_lo:[0,0,1] neg_hi:[0,0,1]
	v_pk_fma_f32 v[8:9], v[18:19], v[76:77], v[8:9] op_sel:[0,0,1] op_sel_hi:[1,0,0]
	v_mov_b32_e32 v11, v9
	v_pk_add_f32 v[6:7], v[6:7], v[10:11]
	v_pk_add_f32 v[2:3], v[2:3], v[6:7] neg_lo:[0,1] neg_hi:[0,1]
	buffer_store_dword v3, off, s[0:3], 0 offset:92
	buffer_store_dword v2, off, s[0:3], 0 offset:88
	s_and_saveexec_b64 s[4:5], vcc
	s_cbranch_execz .LBB46_275
; %bb.274:
	buffer_load_dword v2, off, s[0:3], 0 offset:80
	buffer_load_dword v3, off, s[0:3], 0 offset:84
	s_waitcnt vmcnt(0)
	ds_write_b64 v89, v[2:3]
	buffer_store_dword v4, off, s[0:3], 0 offset:80
	buffer_store_dword v4, off, s[0:3], 0 offset:84
.LBB46_275:
	s_or_b64 exec, exec, s[4:5]
	s_waitcnt lgkmcnt(0)
	; wave barrier
	s_waitcnt lgkmcnt(0)
	buffer_load_dword v5, off, s[0:3], 0 offset:92
	buffer_load_dword v62, off, s[0:3], 0 offset:100
	;; [unrolled: 1-line block ×36, first 2 shown]
	ds_read2_b64 v[6:9], v4 offset0:59 offset1:60
	ds_read2_b64 v[10:13], v4 offset0:61 offset1:62
	buffer_load_dword v208, off, s[0:3], 0 offset:224
	buffer_load_dword v209, off, s[0:3], 0 offset:228
	buffer_load_dword v210, off, s[0:3], 0 offset:232
	buffer_load_dword v211, off, s[0:3], 0 offset:236
	ds_read2_b64 v[14:17], v4 offset0:63 offset1:64
	ds_read2_b64 v[18:21], v4 offset0:65 offset1:66
	buffer_load_dword v212, off, s[0:3], 0 offset:240
	buffer_load_dword v213, off, s[0:3], 0 offset:244
	ds_read2_b64 v[22:25], v4 offset0:67 offset1:68
	ds_read2_b64 v[26:29], v4 offset0:69 offset1:70
	buffer_load_dword v214, off, s[0:3], 0 offset:248
	buffer_load_dword v215, off, s[0:3], 0 offset:252
	;; [unrolled: 1-line block ×16, first 2 shown]
	v_cmp_lt_u32_e32 vcc, 9, v0
	s_waitcnt vmcnt(57) lgkmcnt(5)
	v_mul_f32_e32 v30, v6, v5
	s_waitcnt vmcnt(56)
	v_mul_f32_e32 v31, v8, v62
	s_waitcnt vmcnt(55) lgkmcnt(4)
	v_mul_f32_e32 v32, v10, v64
	s_waitcnt vmcnt(54)
	v_mul_f32_e32 v33, v12, v72
	;; [unrolled: 4-line block ×4, first 2 shown]
	s_waitcnt vmcnt(49)
	v_fmac_f32_e32 v30, v7, v182
	s_waitcnt vmcnt(48)
	v_fmac_f32_e32 v31, v9, v183
	v_add_f32_e32 v30, 0, v30
	s_waitcnt vmcnt(47)
	v_fmac_f32_e32 v32, v11, v184
	v_add_f32_e32 v30, v30, v31
	;; [unrolled: 3-line block ×7, first 2 shown]
	s_waitcnt vmcnt(41) lgkmcnt(1)
	v_mul_f32_e32 v31, v22, v190
	v_add_f32_e32 v30, v30, v37
	s_waitcnt vmcnt(40)
	v_fmac_f32_e32 v31, v23, v191
	v_add_f32_e32 v30, v30, v31
	s_waitcnt vmcnt(39)
	v_mul_f32_e32 v31, v24, v192
	s_waitcnt vmcnt(38)
	v_fmac_f32_e32 v31, v25, v193
	v_add_f32_e32 v30, v30, v31
	s_waitcnt vmcnt(37) lgkmcnt(0)
	v_mul_f32_e32 v31, v26, v194
	s_waitcnt vmcnt(36)
	v_fmac_f32_e32 v31, v27, v195
	v_add_f32_e32 v34, v30, v31
	ds_read2_b64 v[30:33], v4 offset0:71 offset1:72
	s_waitcnt vmcnt(35)
	v_mul_f32_e32 v35, v28, v196
	s_waitcnt vmcnt(34)
	v_fmac_f32_e32 v35, v29, v197
	v_add_f32_e32 v38, v34, v35
	ds_read2_b64 v[34:37], v4 offset0:73 offset1:74
	s_waitcnt vmcnt(33) lgkmcnt(1)
	v_mul_f32_e32 v39, v30, v198
	s_waitcnt vmcnt(32)
	v_fmac_f32_e32 v39, v31, v199
	v_add_f32_e32 v38, v38, v39
	s_waitcnt vmcnt(31)
	v_mul_f32_e32 v39, v32, v200
	s_waitcnt vmcnt(30)
	v_fmac_f32_e32 v39, v33, v201
	v_add_f32_e32 v38, v38, v39
	s_waitcnt vmcnt(29) lgkmcnt(0)
	v_mul_f32_e32 v39, v34, v202
	s_waitcnt vmcnt(28)
	v_fmac_f32_e32 v39, v35, v203
	v_add_f32_e32 v42, v38, v39
	ds_read2_b64 v[38:41], v4 offset0:75 offset1:76
	s_waitcnt vmcnt(25)
	v_mul_f32_e32 v43, v36, v204
	s_waitcnt vmcnt(24)
	v_fmac_f32_e32 v43, v37, v205
	v_add_f32_e32 v46, v42, v43
	ds_read2_b64 v[42:45], v4 offset0:77 offset1:78
	s_waitcnt vmcnt(22) lgkmcnt(1)
	v_mul_f32_e32 v47, v38, v207
	v_fmac_f32_e32 v47, v39, v206
	v_add_f32_e32 v46, v46, v47
	s_waitcnt vmcnt(20)
	v_mul_f32_e32 v47, v40, v209
	v_fmac_f32_e32 v47, v41, v208
	v_add_f32_e32 v46, v46, v47
	s_waitcnt vmcnt(18) lgkmcnt(0)
	v_mul_f32_e32 v47, v42, v211
	v_fmac_f32_e32 v47, v43, v210
	v_add_f32_e32 v50, v46, v47
	ds_read2_b64 v[46:49], v4 offset0:79 offset1:80
	s_waitcnt vmcnt(16)
	v_mul_f32_e32 v51, v44, v213
	v_fmac_f32_e32 v51, v45, v212
	v_add_f32_e32 v54, v50, v51
	ds_read2_b64 v[50:53], v4 offset0:81 offset1:82
	s_waitcnt vmcnt(14) lgkmcnt(1)
	v_mul_f32_e32 v55, v46, v215
	v_fmac_f32_e32 v55, v47, v214
	v_add_f32_e32 v54, v54, v55
	s_waitcnt vmcnt(12)
	v_mul_f32_e32 v55, v48, v217
	v_fmac_f32_e32 v55, v49, v216
	v_add_f32_e32 v54, v54, v55
	s_waitcnt vmcnt(10) lgkmcnt(0)
	v_mul_f32_e32 v55, v50, v219
	v_fmac_f32_e32 v55, v51, v218
	s_waitcnt vmcnt(8)
	v_mul_f32_e32 v59, v52, v221
	v_add_f32_e32 v58, v54, v55
	v_fmac_f32_e32 v59, v53, v220
	ds_read2_b64 v[54:57], v4 offset0:83 offset1:84
	v_add_f32_e32 v63, v58, v59
	ds_read2_b64 v[58:61], v4 offset0:85 offset1:86
	buffer_load_dword v67, off, s[0:3], 0 offset:332
	buffer_load_dword v66, off, s[0:3], 0 offset:328
	;; [unrolled: 1-line block ×16, first 2 shown]
	v_mul_f32_e32 v5, v7, v5
	v_fma_f32 v5, v6, v182, -v5
	v_mul_f32_e32 v6, v9, v62
	v_add_f32_e32 v5, 0, v5
	v_fma_f32 v6, v8, v183, -v6
	v_add_f32_e32 v5, v5, v6
	v_mul_f32_e32 v6, v11, v64
	v_fma_f32 v6, v10, v184, -v6
	v_add_f32_e32 v5, v5, v6
	v_mul_f32_e32 v6, v13, v72
	;; [unrolled: 3-line block ×22, first 2 shown]
	v_fma_f32 v6, v52, v220, -v6
	v_add_f32_e32 v5, v5, v6
	s_waitcnt vmcnt(22) lgkmcnt(1)
	v_mul_f32_e32 v6, v55, v223
	v_fma_f32 v6, v54, v222, -v6
	v_add_f32_e32 v5, v5, v6
	s_waitcnt vmcnt(20)
	v_mul_f32_e32 v6, v57, v225
	v_fma_f32 v6, v56, v224, -v6
	v_add_f32_e32 v62, v5, v6
	ds_read2_b64 v[6:9], v4 offset0:87 offset1:88
	ds_read2_b64 v[10:13], v4 offset0:89 offset1:90
	;; [unrolled: 1-line block ×4, first 2 shown]
	s_waitcnt vmcnt(11)
	v_mov_b32_e32 v22, v71
	v_mul_f32_e32 v65, v54, v223
	s_waitcnt lgkmcnt(3)
	v_pk_mul_f32 v[22:23], v[6:7], v[22:23] op_sel_hi:[1,0]
	v_fmac_f32_e32 v65, v55, v222
	s_waitcnt vmcnt(10)
	v_pk_fma_f32 v[24:25], v[6:7], v[70:71], v[22:23] op_sel:[0,0,1] op_sel_hi:[1,1,0] neg_lo:[0,0,1] neg_hi:[0,0,1]
	v_pk_fma_f32 v[6:7], v[6:7], v[70:71], v[22:23] op_sel:[0,0,1] op_sel_hi:[1,0,0]
	v_add_f32_e32 v63, v63, v65
	v_mul_f32_e32 v65, v56, v225
	v_mov_b32_e32 v6, v69
	v_fmac_f32_e32 v65, v57, v224
	v_mov_b32_e32 v25, v7
	v_pk_mul_f32 v[6:7], v[8:9], v[6:7] op_sel_hi:[1,0]
	v_add_f32_e32 v63, v63, v65
	v_mul_f32_e32 v65, v58, v227
	v_mul_f32_e32 v5, v59, v227
	v_pk_fma_f32 v[22:23], v[8:9], v[68:69], v[6:7] op_sel:[0,0,1] op_sel_hi:[1,1,0] neg_lo:[0,0,1] neg_hi:[0,0,1]
	v_pk_fma_f32 v[6:7], v[8:9], v[68:69], v[6:7] op_sel:[0,0,1] op_sel_hi:[1,0,0]
	v_fmac_f32_e32 v65, v59, v226
	v_mul_f32_e32 v73, v60, v229
	v_fma_f32 v64, v58, v226, -v5
	v_mul_f32_e32 v5, v61, v229
	v_mov_b32_e32 v6, v67
	v_fmac_f32_e32 v73, v61, v228
	v_fma_f32 v72, v60, v228, -v5
	v_pk_add_f32 v[4:5], v[62:63], v[64:65]
	v_mov_b32_e32 v23, v7
	s_waitcnt lgkmcnt(2)
	v_pk_mul_f32 v[6:7], v[10:11], v[6:7] op_sel_hi:[1,0]
	v_pk_add_f32 v[4:5], v[4:5], v[72:73]
	v_pk_fma_f32 v[8:9], v[10:11], v[66:67], v[6:7] op_sel:[0,0,1] op_sel_hi:[1,1,0] neg_lo:[0,0,1] neg_hi:[0,0,1]
	v_pk_fma_f32 v[6:7], v[10:11], v[66:67], v[6:7] op_sel:[0,0,1] op_sel_hi:[1,0,0]
	v_pk_add_f32 v[4:5], v[4:5], v[24:25]
	s_waitcnt vmcnt(3)
	v_mov_b32_e32 v6, v175
	v_pk_add_f32 v[4:5], v[4:5], v[22:23]
	v_mov_b32_e32 v9, v7
	v_pk_mul_f32 v[6:7], v[12:13], v[6:7] op_sel_hi:[1,0]
	v_pk_add_f32 v[4:5], v[4:5], v[8:9]
	s_waitcnt vmcnt(2)
	v_pk_fma_f32 v[8:9], v[12:13], v[174:175], v[6:7] op_sel:[0,0,1] op_sel_hi:[1,1,0] neg_lo:[0,0,1] neg_hi:[0,0,1]
	v_pk_fma_f32 v[6:7], v[12:13], v[174:175], v[6:7] op_sel:[0,0,1] op_sel_hi:[1,0,0]
	v_mov_b32_e32 v6, v173
	v_mov_b32_e32 v9, v7
	s_waitcnt lgkmcnt(1)
	v_pk_mul_f32 v[6:7], v[14:15], v[6:7] op_sel_hi:[1,0]
	v_pk_add_f32 v[4:5], v[4:5], v[8:9]
	v_pk_fma_f32 v[8:9], v[14:15], v[172:173], v[6:7] op_sel:[0,0,1] op_sel_hi:[1,1,0] neg_lo:[0,0,1] neg_hi:[0,0,1]
	v_pk_fma_f32 v[6:7], v[14:15], v[172:173], v[6:7] op_sel:[0,0,1] op_sel_hi:[1,0,0]
	v_mov_b32_e32 v6, v77
	v_mov_b32_e32 v9, v7
	v_pk_mul_f32 v[6:7], v[16:17], v[6:7] op_sel_hi:[1,0]
	v_pk_add_f32 v[4:5], v[4:5], v[8:9]
	v_pk_fma_f32 v[8:9], v[16:17], v[76:77], v[6:7] op_sel:[0,0,1] op_sel_hi:[1,1,0] neg_lo:[0,0,1] neg_hi:[0,0,1]
	v_pk_fma_f32 v[6:7], v[16:17], v[76:77], v[6:7] op_sel:[0,0,1] op_sel_hi:[1,0,0]
	v_mov_b32_e32 v6, v75
	v_mov_b32_e32 v9, v7
	s_waitcnt lgkmcnt(0)
	v_pk_mul_f32 v[6:7], v[18:19], v[6:7] op_sel_hi:[1,0]
	v_pk_add_f32 v[4:5], v[4:5], v[8:9]
	v_pk_fma_f32 v[8:9], v[18:19], v[74:75], v[6:7] op_sel:[0,0,1] op_sel_hi:[1,1,0] neg_lo:[0,0,1] neg_hi:[0,0,1]
	v_pk_fma_f32 v[6:7], v[18:19], v[74:75], v[6:7] op_sel:[0,0,1] op_sel_hi:[1,0,0]
	s_waitcnt vmcnt(1)
	v_mov_b32_e32 v6, v177
	v_mov_b32_e32 v9, v7
	v_pk_mul_f32 v[6:7], v[20:21], v[6:7] op_sel_hi:[1,0]
	v_pk_add_f32 v[4:5], v[4:5], v[8:9]
	s_waitcnt vmcnt(0)
	v_pk_fma_f32 v[8:9], v[20:21], v[176:177], v[6:7] op_sel:[0,0,1] op_sel_hi:[1,1,0] neg_lo:[0,0,1] neg_hi:[0,0,1]
	v_pk_fma_f32 v[6:7], v[20:21], v[176:177], v[6:7] op_sel:[0,0,1] op_sel_hi:[1,0,0]
	v_mov_b32_e32 v9, v7
	v_pk_add_f32 v[4:5], v[4:5], v[8:9]
	v_pk_add_f32 v[2:3], v[2:3], v[4:5] neg_lo:[0,1] neg_hi:[0,1]
	buffer_store_dword v3, off, s[0:3], 0 offset:84
	buffer_store_dword v2, off, s[0:3], 0 offset:80
	s_and_saveexec_b64 s[4:5], vcc
	s_cbranch_execz .LBB46_277
; %bb.276:
	buffer_load_dword v2, off, s[0:3], 0 offset:72
	buffer_load_dword v3, off, s[0:3], 0 offset:76
	v_mov_b32_e32 v4, 0
	buffer_store_dword v4, off, s[0:3], 0 offset:72
	buffer_store_dword v4, off, s[0:3], 0 offset:76
	s_waitcnt vmcnt(2)
	ds_write_b64 v89, v[2:3]
.LBB46_277:
	s_or_b64 exec, exec, s[4:5]
	s_waitcnt lgkmcnt(0)
	; wave barrier
	s_waitcnt lgkmcnt(0)
	buffer_load_dword v17, off, s[0:3], 0 offset:84
	buffer_load_dword v70, off, s[0:3], 0 offset:92
	;; [unrolled: 1-line block ×56, first 2 shown]
	v_mov_b32_e32 v16, 0
	ds_read_b128 v[2:5], v16 offset:464
	buffer_load_dword v236, off, s[0:3], 0 offset:296
	buffer_load_dword v237, off, s[0:3], 0 offset:300
	;; [unrolled: 1-line block ×4, first 2 shown]
	ds_read_b128 v[8:11], v16 offset:480
	ds_read_b128 v[12:15], v16 offset:496
	;; [unrolled: 1-line block ×3, first 2 shown]
	v_cmp_lt_u32_e32 vcc, 8, v0
	s_waitcnt vmcnt(59) lgkmcnt(3)
	v_mul_f32_e32 v22, v2, v17
	s_waitcnt vmcnt(58)
	v_mul_f32_e32 v23, v4, v70
	s_waitcnt vmcnt(57) lgkmcnt(2)
	v_mul_f32_e32 v24, v8, v76
	s_waitcnt vmcnt(56)
	v_mul_f32_e32 v25, v10, v172
	;; [unrolled: 4-line block ×3, first 2 shown]
	s_waitcnt vmcnt(53) lgkmcnt(0)
	v_mul_f32_e32 v28, v18, v188
	s_waitcnt vmcnt(52)
	v_fmac_f32_e32 v22, v3, v189
	s_waitcnt vmcnt(51)
	v_fmac_f32_e32 v23, v5, v190
	v_add_f32_e32 v22, 0, v22
	s_waitcnt vmcnt(50)
	v_fmac_f32_e32 v24, v9, v191
	v_add_f32_e32 v22, v22, v23
	;; [unrolled: 3-line block ×6, first 2 shown]
	v_add_f32_e32 v26, v22, v28
	ds_read_b128 v[22:25], v16 offset:528
	s_waitcnt vmcnt(45)
	v_mul_f32_e32 v27, v20, v196
	s_waitcnt vmcnt(44)
	v_fmac_f32_e32 v27, v21, v197
	v_add_f32_e32 v30, v26, v27
	ds_read_b128 v[26:29], v16 offset:544
	s_waitcnt vmcnt(43) lgkmcnt(1)
	v_mul_f32_e32 v31, v22, v198
	s_waitcnt vmcnt(42)
	v_fmac_f32_e32 v31, v23, v199
	v_add_f32_e32 v30, v30, v31
	s_waitcnt vmcnt(41)
	v_mul_f32_e32 v31, v24, v200
	s_waitcnt vmcnt(40)
	v_fmac_f32_e32 v31, v25, v201
	v_add_f32_e32 v30, v30, v31
	s_waitcnt vmcnt(39) lgkmcnt(0)
	v_mul_f32_e32 v31, v26, v202
	s_waitcnt vmcnt(38)
	v_fmac_f32_e32 v31, v27, v203
	v_add_f32_e32 v34, v30, v31
	ds_read_b128 v[30:33], v16 offset:560
	s_waitcnt vmcnt(37)
	v_mul_f32_e32 v35, v28, v204
	s_waitcnt vmcnt(36)
	v_fmac_f32_e32 v35, v29, v205
	v_add_f32_e32 v38, v34, v35
	ds_read_b128 v[34:37], v16 offset:576
	s_waitcnt vmcnt(34) lgkmcnt(1)
	v_mul_f32_e32 v39, v30, v207
	v_fmac_f32_e32 v39, v31, v206
	v_add_f32_e32 v38, v38, v39
	s_waitcnt vmcnt(31)
	v_mul_f32_e32 v39, v32, v208
	s_waitcnt vmcnt(30)
	v_fmac_f32_e32 v39, v33, v209
	v_add_f32_e32 v38, v38, v39
	s_waitcnt vmcnt(28) lgkmcnt(0)
	v_mul_f32_e32 v39, v34, v211
	v_fmac_f32_e32 v39, v35, v210
	v_add_f32_e32 v42, v38, v39
	ds_read_b128 v[38:41], v16 offset:592
	s_waitcnt vmcnt(26)
	v_mul_f32_e32 v43, v36, v213
	v_fmac_f32_e32 v43, v37, v212
	v_add_f32_e32 v46, v42, v43
	ds_read_b128 v[42:45], v16 offset:608
	s_waitcnt vmcnt(24) lgkmcnt(1)
	v_mul_f32_e32 v47, v38, v215
	v_fmac_f32_e32 v47, v39, v214
	v_add_f32_e32 v46, v46, v47
	s_waitcnt vmcnt(22)
	v_mul_f32_e32 v47, v40, v217
	v_fmac_f32_e32 v47, v41, v216
	v_add_f32_e32 v46, v46, v47
	s_waitcnt vmcnt(20) lgkmcnt(0)
	v_mul_f32_e32 v47, v42, v219
	v_fmac_f32_e32 v47, v43, v218
	v_add_f32_e32 v50, v46, v47
	ds_read_b128 v[46:49], v16 offset:624
	s_waitcnt vmcnt(18)
	v_mul_f32_e32 v51, v44, v221
	v_fmac_f32_e32 v51, v45, v220
	v_add_f32_e32 v54, v50, v51
	ds_read_b128 v[50:53], v16 offset:640
	s_waitcnt vmcnt(16) lgkmcnt(1)
	v_mul_f32_e32 v55, v46, v223
	v_fmac_f32_e32 v55, v47, v222
	v_add_f32_e32 v54, v54, v55
	s_waitcnt vmcnt(14)
	v_mul_f32_e32 v55, v48, v225
	;; [unrolled: 18-line block ×3, first 2 shown]
	v_fmac_f32_e32 v63, v57, v232
	v_add_f32_e32 v62, v62, v63
	s_waitcnt vmcnt(4) lgkmcnt(0)
	v_mul_f32_e32 v63, v58, v235
	v_fmac_f32_e32 v63, v59, v234
	v_add_f32_e32 v71, v62, v63
	ds_read_b128 v[62:65], v16 offset:688
	buffer_load_dword v73, off, s[0:3], 0 offset:324
	buffer_load_dword v72, off, s[0:3], 0 offset:320
	;; [unrolled: 1-line block ×4, first 2 shown]
	ds_read_b128 v[66:69], v16 offset:704
	buffer_load_dword v175, off, s[0:3], 0 offset:356
	buffer_load_dword v174, off, s[0:3], 0 offset:352
	;; [unrolled: 1-line block ×12, first 2 shown]
	v_mul_f32_e32 v3, v3, v17
	v_fma_f32 v2, v2, v189, -v3
	v_mul_f32_e32 v3, v5, v70
	v_add_f32_e32 v2, 0, v2
	v_fma_f32 v3, v4, v190, -v3
	v_add_f32_e32 v2, v2, v3
	v_mul_f32_e32 v3, v9, v76
	v_fma_f32 v3, v8, v191, -v3
	v_add_f32_e32 v2, v2, v3
	v_mul_f32_e32 v3, v11, v172
	;; [unrolled: 3-line block ×25, first 2 shown]
	v_fma_f32 v3, v58, v234, -v3
	s_waitcnt vmcnt(13)
	v_mov_b32_e32 v18, v75
	v_mul_f32_e32 v77, v60, v237
	v_add_f32_e32 v70, v2, v3
	v_mul_f32_e32 v2, v61, v237
	s_waitcnt lgkmcnt(1)
	v_pk_mul_f32 v[18:19], v[64:65], v[18:19] op_sel_hi:[1,0]
	v_fmac_f32_e32 v77, v61, v236
	v_mul_f32_e32 v173, v62, v239
	v_fma_f32 v76, v60, v236, -v2
	v_mul_f32_e32 v2, v63, v239
	s_waitcnt vmcnt(12)
	v_pk_fma_f32 v[20:21], v[64:65], v[74:75], v[18:19] op_sel:[0,0,1] op_sel_hi:[1,1,0] neg_lo:[0,0,1] neg_hi:[0,0,1]
	v_pk_fma_f32 v[18:19], v[64:65], v[74:75], v[18:19] op_sel:[0,0,1] op_sel_hi:[1,0,0]
	v_fmac_f32_e32 v173, v63, v238
	v_fma_f32 v172, v62, v238, -v2
	v_pk_add_f32 v[14:15], v[70:71], v[76:77]
	v_mov_b32_e32 v18, v73
	v_pk_add_f32 v[14:15], v[14:15], v[172:173]
	v_mov_b32_e32 v21, v19
	s_waitcnt lgkmcnt(0)
	v_pk_mul_f32 v[18:19], v[66:67], v[18:19] op_sel_hi:[1,0]
	v_pk_add_f32 v[14:15], v[14:15], v[20:21]
	v_pk_fma_f32 v[20:21], v[66:67], v[72:73], v[18:19] op_sel:[0,0,1] op_sel_hi:[1,1,0] neg_lo:[0,0,1] neg_hi:[0,0,1]
	v_pk_fma_f32 v[18:19], v[66:67], v[72:73], v[18:19] op_sel:[0,0,1] op_sel_hi:[1,0,0]
	s_waitcnt vmcnt(5)
	v_mov_b32_e32 v18, v181
	ds_read_b128 v[2:5], v16 offset:720
	ds_read_b128 v[8:11], v16 offset:736
	ds_read_b64 v[12:13], v16 offset:752
	v_mov_b32_e32 v21, v19
	v_pk_mul_f32 v[18:19], v[68:69], v[18:19] op_sel_hi:[1,0]
	v_pk_add_f32 v[14:15], v[14:15], v[20:21]
	s_waitcnt vmcnt(4)
	v_pk_fma_f32 v[20:21], v[68:69], v[180:181], v[18:19] op_sel:[0,0,1] op_sel_hi:[1,1,0] neg_lo:[0,0,1] neg_hi:[0,0,1]
	v_pk_fma_f32 v[18:19], v[68:69], v[180:181], v[18:19] op_sel:[0,0,1] op_sel_hi:[1,0,0]
	v_mov_b32_e32 v18, v179
	v_mov_b32_e32 v21, v19
	s_waitcnt lgkmcnt(2)
	v_pk_mul_f32 v[18:19], v[2:3], v[18:19] op_sel_hi:[1,0]
	v_pk_add_f32 v[14:15], v[14:15], v[20:21]
	v_pk_fma_f32 v[20:21], v[2:3], v[178:179], v[18:19] op_sel:[0,0,1] op_sel_hi:[1,1,0] neg_lo:[0,0,1] neg_hi:[0,0,1]
	v_pk_fma_f32 v[2:3], v[2:3], v[178:179], v[18:19] op_sel:[0,0,1] op_sel_hi:[1,0,0]
	v_mov_b32_e32 v21, v3
	v_pk_add_f32 v[2:3], v[14:15], v[20:21]
	v_mov_b32_e32 v14, v177
	v_pk_mul_f32 v[14:15], v[4:5], v[14:15] op_sel_hi:[1,0]
	v_pk_fma_f32 v[18:19], v[4:5], v[176:177], v[14:15] op_sel:[0,0,1] op_sel_hi:[1,1,0] neg_lo:[0,0,1] neg_hi:[0,0,1]
	v_pk_fma_f32 v[4:5], v[4:5], v[176:177], v[14:15] op_sel:[0,0,1] op_sel_hi:[1,0,0]
	v_mov_b32_e32 v4, v175
	v_mov_b32_e32 v19, v5
	s_waitcnt lgkmcnt(1)
	v_pk_mul_f32 v[4:5], v[8:9], v[4:5] op_sel_hi:[1,0]
	v_pk_fma_f32 v[14:15], v[8:9], v[174:175], v[4:5] op_sel:[0,0,1] op_sel_hi:[1,1,0] neg_lo:[0,0,1] neg_hi:[0,0,1]
	v_pk_fma_f32 v[4:5], v[8:9], v[174:175], v[4:5] op_sel:[0,0,1] op_sel_hi:[1,0,0]
	s_waitcnt vmcnt(1)
	v_mov_b32_e32 v4, v185
	v_mov_b32_e32 v15, v5
	v_pk_mul_f32 v[4:5], v[10:11], v[4:5] op_sel_hi:[1,0]
	s_waitcnt vmcnt(0)
	v_pk_fma_f32 v[8:9], v[10:11], v[184:185], v[4:5] op_sel:[0,0,1] op_sel_hi:[1,1,0] neg_lo:[0,0,1] neg_hi:[0,0,1]
	v_pk_fma_f32 v[4:5], v[10:11], v[184:185], v[4:5] op_sel:[0,0,1] op_sel_hi:[1,0,0]
	v_pk_add_f32 v[2:3], v[2:3], v[18:19]
	v_mov_b32_e32 v4, v183
	v_pk_add_f32 v[2:3], v[2:3], v[14:15]
	v_mov_b32_e32 v9, v5
	s_waitcnt lgkmcnt(0)
	v_pk_mul_f32 v[4:5], v[12:13], v[4:5] op_sel_hi:[1,0]
	v_pk_add_f32 v[2:3], v[2:3], v[8:9]
	v_pk_fma_f32 v[8:9], v[12:13], v[182:183], v[4:5] op_sel:[0,0,1] op_sel_hi:[1,1,0] neg_lo:[0,0,1] neg_hi:[0,0,1]
	v_pk_fma_f32 v[4:5], v[12:13], v[182:183], v[4:5] op_sel:[0,0,1] op_sel_hi:[1,0,0]
	v_mov_b32_e32 v9, v5
	v_pk_add_f32 v[2:3], v[2:3], v[8:9]
	v_pk_add_f32 v[2:3], v[6:7], v[2:3] neg_lo:[0,1] neg_hi:[0,1]
	buffer_store_dword v3, off, s[0:3], 0 offset:76
	buffer_store_dword v2, off, s[0:3], 0 offset:72
	s_and_saveexec_b64 s[4:5], vcc
	s_cbranch_execz .LBB46_279
; %bb.278:
	buffer_load_dword v2, off, s[0:3], 0 offset:64
	buffer_load_dword v3, off, s[0:3], 0 offset:68
	s_waitcnt vmcnt(0)
	ds_write_b64 v89, v[2:3]
	buffer_store_dword v16, off, s[0:3], 0 offset:64
	buffer_store_dword v16, off, s[0:3], 0 offset:68
.LBB46_279:
	s_or_b64 exec, exec, s[4:5]
	s_waitcnt lgkmcnt(0)
	; wave barrier
	s_waitcnt lgkmcnt(0)
	buffer_load_dword v17, off, s[0:3], 0 offset:76
	buffer_load_dword v72, off, s[0:3], 0 offset:84
	;; [unrolled: 1-line block ×32, first 2 shown]
	ds_read2_b64 v[18:21], v16 offset0:57 offset1:58
	ds_read2_b64 v[6:9], v16 offset0:59 offset1:60
	buffer_load_dword v212, off, s[0:3], 0 offset:192
	buffer_load_dword v213, off, s[0:3], 0 offset:196
	ds_read2_b64 v[10:13], v16 offset0:61 offset1:62
	ds_read2_b64 v[2:5], v16 offset0:63 offset1:64
	buffer_load_dword v214, off, s[0:3], 0 offset:200
	buffer_load_dword v215, off, s[0:3], 0 offset:204
	;; [unrolled: 1-line block ×28, first 2 shown]
	v_cmp_lt_u32_e32 vcc, 7, v0
	s_waitcnt vmcnt(61) lgkmcnt(3)
	v_mul_f32_e32 v22, v18, v17
	s_waitcnt vmcnt(60)
	v_mul_f32_e32 v23, v20, v72
	s_waitcnt vmcnt(59) lgkmcnt(2)
	v_mul_f32_e32 v24, v6, v74
	s_waitcnt vmcnt(58)
	v_mul_f32_e32 v25, v8, v76
	;; [unrolled: 4-line block ×3, first 2 shown]
	s_waitcnt vmcnt(55) lgkmcnt(0)
	v_mul_f32_e32 v28, v2, v188
	s_waitcnt vmcnt(54)
	v_fmac_f32_e32 v22, v19, v189
	s_waitcnt vmcnt(53)
	v_fmac_f32_e32 v23, v21, v190
	v_add_f32_e32 v22, 0, v22
	s_waitcnt vmcnt(52)
	v_fmac_f32_e32 v24, v7, v191
	v_add_f32_e32 v22, v22, v23
	;; [unrolled: 3-line block ×6, first 2 shown]
	v_add_f32_e32 v26, v22, v28
	ds_read2_b64 v[22:25], v16 offset0:65 offset1:66
	s_waitcnt vmcnt(47)
	v_mul_f32_e32 v27, v4, v196
	s_waitcnt vmcnt(46)
	v_fmac_f32_e32 v27, v5, v197
	v_add_f32_e32 v30, v26, v27
	ds_read2_b64 v[26:29], v16 offset0:67 offset1:68
	s_waitcnt vmcnt(45) lgkmcnt(1)
	v_mul_f32_e32 v31, v22, v198
	s_waitcnt vmcnt(44)
	v_fmac_f32_e32 v31, v23, v199
	v_add_f32_e32 v30, v30, v31
	s_waitcnt vmcnt(43)
	v_mul_f32_e32 v31, v24, v200
	s_waitcnt vmcnt(42)
	v_fmac_f32_e32 v31, v25, v201
	v_add_f32_e32 v30, v30, v31
	s_waitcnt vmcnt(41) lgkmcnt(0)
	v_mul_f32_e32 v31, v26, v202
	s_waitcnt vmcnt(40)
	v_fmac_f32_e32 v31, v27, v203
	v_add_f32_e32 v34, v30, v31
	ds_read2_b64 v[30:33], v16 offset0:69 offset1:70
	s_waitcnt vmcnt(39)
	v_mul_f32_e32 v35, v28, v204
	s_waitcnt vmcnt(38)
	v_fmac_f32_e32 v35, v29, v205
	v_add_f32_e32 v38, v34, v35
	ds_read2_b64 v[34:37], v16 offset0:71 offset1:72
	s_waitcnt vmcnt(35) lgkmcnt(1)
	v_mul_f32_e32 v39, v30, v206
	s_waitcnt vmcnt(34)
	v_fmac_f32_e32 v39, v31, v207
	v_add_f32_e32 v38, v38, v39
	s_waitcnt vmcnt(32)
	v_mul_f32_e32 v39, v32, v209
	v_fmac_f32_e32 v39, v33, v208
	v_add_f32_e32 v38, v38, v39
	s_waitcnt vmcnt(30) lgkmcnt(0)
	v_mul_f32_e32 v39, v34, v211
	v_fmac_f32_e32 v39, v35, v210
	v_add_f32_e32 v42, v38, v39
	ds_read2_b64 v[38:41], v16 offset0:73 offset1:74
	s_waitcnt vmcnt(28)
	v_mul_f32_e32 v43, v36, v213
	v_fmac_f32_e32 v43, v37, v212
	v_add_f32_e32 v46, v42, v43
	ds_read2_b64 v[42:45], v16 offset0:75 offset1:76
	s_waitcnt vmcnt(26) lgkmcnt(1)
	v_mul_f32_e32 v47, v38, v215
	v_fmac_f32_e32 v47, v39, v214
	v_add_f32_e32 v46, v46, v47
	s_waitcnt vmcnt(24)
	v_mul_f32_e32 v47, v40, v217
	v_fmac_f32_e32 v47, v41, v216
	v_add_f32_e32 v46, v46, v47
	s_waitcnt vmcnt(22) lgkmcnt(0)
	v_mul_f32_e32 v47, v42, v219
	v_fmac_f32_e32 v47, v43, v218
	v_add_f32_e32 v50, v46, v47
	ds_read2_b64 v[46:49], v16 offset0:77 offset1:78
	s_waitcnt vmcnt(20)
	v_mul_f32_e32 v51, v44, v221
	v_fmac_f32_e32 v51, v45, v220
	v_add_f32_e32 v54, v50, v51
	ds_read2_b64 v[50:53], v16 offset0:79 offset1:80
	s_waitcnt vmcnt(18) lgkmcnt(1)
	v_mul_f32_e32 v55, v46, v223
	v_fmac_f32_e32 v55, v47, v222
	v_add_f32_e32 v54, v54, v55
	s_waitcnt vmcnt(16)
	v_mul_f32_e32 v55, v48, v225
	v_fmac_f32_e32 v55, v49, v224
	v_add_f32_e32 v54, v54, v55
	s_waitcnt vmcnt(14) lgkmcnt(0)
	v_mul_f32_e32 v55, v50, v227
	v_fmac_f32_e32 v55, v51, v226
	v_add_f32_e32 v58, v54, v55
	ds_read2_b64 v[54:57], v16 offset0:81 offset1:82
	s_waitcnt vmcnt(12)
	v_mul_f32_e32 v59, v52, v229
	v_fmac_f32_e32 v59, v53, v228
	v_add_f32_e32 v62, v58, v59
	ds_read2_b64 v[58:61], v16 offset0:83 offset1:84
	buffer_load_dword v71, off, s[0:3], 0 offset:316
	buffer_load_dword v70, off, s[0:3], 0 offset:312
	s_waitcnt vmcnt(12) lgkmcnt(1)
	v_mul_f32_e32 v63, v54, v231
	v_fmac_f32_e32 v63, v55, v230
	v_add_f32_e32 v62, v62, v63
	s_waitcnt vmcnt(10)
	v_mul_f32_e32 v63, v56, v233
	v_fmac_f32_e32 v63, v57, v232
	v_add_f32_e32 v62, v62, v63
	s_waitcnt vmcnt(8) lgkmcnt(0)
	v_mul_f32_e32 v63, v58, v235
	v_fmac_f32_e32 v63, v59, v234
	s_waitcnt vmcnt(6)
	v_mul_f32_e32 v67, v60, v237
	v_add_f32_e32 v66, v62, v63
	v_fmac_f32_e32 v67, v61, v236
	ds_read2_b64 v[62:65], v16 offset0:85 offset1:86
	v_add_f32_e32 v73, v66, v67
	ds_read2_b64 v[66:69], v16 offset0:87 offset1:88
	buffer_load_dword v173, off, s[0:3], 0 offset:348
	buffer_load_dword v172, off, s[0:3], 0 offset:344
	;; [unrolled: 1-line block ×14, first 2 shown]
	v_mul_f32_e32 v17, v19, v17
	v_fma_f32 v17, v18, v189, -v17
	v_mul_f32_e32 v18, v21, v72
	v_add_f32_e32 v17, 0, v17
	v_fma_f32 v18, v20, v190, -v18
	v_mul_f32_e32 v7, v7, v74
	v_add_f32_e32 v17, v17, v18
	;; [unrolled: 3-line block ×3, first 2 shown]
	v_fma_f32 v7, v8, v192, -v7
	v_add_f32_e32 v6, v6, v7
	v_mul_f32_e32 v7, v11, v186
	v_fma_f32 v7, v10, v193, -v7
	v_add_f32_e32 v6, v6, v7
	v_mul_f32_e32 v7, v13, v187
	v_fma_f32 v7, v12, v194, -v7
	v_mul_f32_e32 v3, v3, v188
	v_add_f32_e32 v6, v6, v7
	v_fma_f32 v2, v2, v195, -v3
	v_mul_f32_e32 v3, v5, v196
	v_add_f32_e32 v2, v6, v2
	v_fma_f32 v3, v4, v197, -v3
	v_add_f32_e32 v2, v2, v3
	v_mul_f32_e32 v3, v23, v198
	v_fma_f32 v3, v22, v199, -v3
	v_add_f32_e32 v2, v2, v3
	v_mul_f32_e32 v3, v25, v200
	;; [unrolled: 3-line block ×20, first 2 shown]
	v_fma_f32 v3, v60, v236, -v3
	s_waitcnt vmcnt(15)
	v_mov_b32_e32 v18, v71
	s_waitcnt lgkmcnt(1)
	v_mul_f32_e32 v75, v62, v239
	v_add_f32_e32 v72, v2, v3
	v_mul_f32_e32 v2, v63, v239
	s_waitcnt lgkmcnt(0)
	v_pk_mul_f32 v[18:19], v[66:67], v[18:19] op_sel_hi:[1,0]
	v_fmac_f32_e32 v75, v63, v238
	v_mul_f32_e32 v77, v64, v241
	v_fma_f32 v74, v62, v238, -v2
	v_mul_f32_e32 v2, v65, v241
	s_waitcnt vmcnt(14)
	v_pk_fma_f32 v[20:21], v[66:67], v[70:71], v[18:19] op_sel:[0,0,1] op_sel_hi:[1,1,0] neg_lo:[0,0,1] neg_hi:[0,0,1]
	v_pk_fma_f32 v[18:19], v[66:67], v[70:71], v[18:19] op_sel:[0,0,1] op_sel_hi:[1,0,0]
	v_fmac_f32_e32 v77, v65, v240
	v_fma_f32 v76, v64, v240, -v2
	ds_read2_b64 v[2:5], v16 offset0:89 offset1:90
	ds_read2_b64 v[6:9], v16 offset0:91 offset1:92
	;; [unrolled: 1-line block ×3, first 2 shown]
	v_pk_add_f32 v[16:17], v[72:73], v[74:75]
	s_waitcnt vmcnt(7)
	v_mov_b32_e32 v18, v179
	v_pk_add_f32 v[16:17], v[16:17], v[76:77]
	v_mov_b32_e32 v21, v19
	v_pk_mul_f32 v[18:19], v[68:69], v[18:19] op_sel_hi:[1,0]
	v_pk_add_f32 v[16:17], v[16:17], v[20:21]
	s_waitcnt vmcnt(6)
	v_pk_fma_f32 v[20:21], v[68:69], v[178:179], v[18:19] op_sel:[0,0,1] op_sel_hi:[1,1,0] neg_lo:[0,0,1] neg_hi:[0,0,1]
	v_pk_fma_f32 v[18:19], v[68:69], v[178:179], v[18:19] op_sel:[0,0,1] op_sel_hi:[1,0,0]
	v_mov_b32_e32 v18, v177
	v_mov_b32_e32 v21, v19
	s_waitcnt lgkmcnt(2)
	v_pk_mul_f32 v[18:19], v[2:3], v[18:19] op_sel_hi:[1,0]
	v_pk_add_f32 v[16:17], v[16:17], v[20:21]
	v_pk_fma_f32 v[20:21], v[2:3], v[176:177], v[18:19] op_sel:[0,0,1] op_sel_hi:[1,1,0] neg_lo:[0,0,1] neg_hi:[0,0,1]
	v_pk_fma_f32 v[2:3], v[2:3], v[176:177], v[18:19] op_sel:[0,0,1] op_sel_hi:[1,0,0]
	v_mov_b32_e32 v21, v3
	v_pk_add_f32 v[2:3], v[16:17], v[20:21]
	v_mov_b32_e32 v16, v175
	v_pk_mul_f32 v[16:17], v[4:5], v[16:17] op_sel_hi:[1,0]
	v_pk_fma_f32 v[18:19], v[4:5], v[174:175], v[16:17] op_sel:[0,0,1] op_sel_hi:[1,1,0] neg_lo:[0,0,1] neg_hi:[0,0,1]
	v_pk_fma_f32 v[4:5], v[4:5], v[174:175], v[16:17] op_sel:[0,0,1] op_sel_hi:[1,0,0]
	v_mov_b32_e32 v4, v173
	v_mov_b32_e32 v19, v5
	s_waitcnt lgkmcnt(1)
	v_pk_mul_f32 v[4:5], v[6:7], v[4:5] op_sel_hi:[1,0]
	v_pk_fma_f32 v[16:17], v[6:7], v[172:173], v[4:5] op_sel:[0,0,1] op_sel_hi:[1,1,0] neg_lo:[0,0,1] neg_hi:[0,0,1]
	v_pk_fma_f32 v[4:5], v[6:7], v[172:173], v[4:5] op_sel:[0,0,1] op_sel_hi:[1,0,0]
	s_waitcnt vmcnt(1)
	v_mov_b32_e32 v4, v185
	v_mov_b32_e32 v17, v5
	v_pk_mul_f32 v[4:5], v[8:9], v[4:5] op_sel_hi:[1,0]
	s_waitcnt vmcnt(0)
	v_pk_fma_f32 v[6:7], v[8:9], v[184:185], v[4:5] op_sel:[0,0,1] op_sel_hi:[1,1,0] neg_lo:[0,0,1] neg_hi:[0,0,1]
	v_pk_fma_f32 v[4:5], v[8:9], v[184:185], v[4:5] op_sel:[0,0,1] op_sel_hi:[1,0,0]
	v_pk_add_f32 v[2:3], v[2:3], v[18:19]
	v_mov_b32_e32 v4, v183
	v_pk_add_f32 v[2:3], v[2:3], v[16:17]
	v_mov_b32_e32 v7, v5
	s_waitcnt lgkmcnt(0)
	v_pk_mul_f32 v[4:5], v[10:11], v[4:5] op_sel_hi:[1,0]
	v_pk_add_f32 v[2:3], v[2:3], v[6:7]
	v_pk_fma_f32 v[6:7], v[10:11], v[182:183], v[4:5] op_sel:[0,0,1] op_sel_hi:[1,1,0] neg_lo:[0,0,1] neg_hi:[0,0,1]
	v_pk_fma_f32 v[4:5], v[10:11], v[182:183], v[4:5] op_sel:[0,0,1] op_sel_hi:[1,0,0]
	v_mov_b32_e32 v4, v181
	v_mov_b32_e32 v7, v5
	v_pk_mul_f32 v[4:5], v[12:13], v[4:5] op_sel_hi:[1,0]
	v_pk_add_f32 v[2:3], v[2:3], v[6:7]
	v_pk_fma_f32 v[6:7], v[12:13], v[180:181], v[4:5] op_sel:[0,0,1] op_sel_hi:[1,1,0] neg_lo:[0,0,1] neg_hi:[0,0,1]
	v_pk_fma_f32 v[4:5], v[12:13], v[180:181], v[4:5] op_sel:[0,0,1] op_sel_hi:[1,0,0]
	v_mov_b32_e32 v7, v5
	v_pk_add_f32 v[2:3], v[2:3], v[6:7]
	v_pk_add_f32 v[2:3], v[14:15], v[2:3] neg_lo:[0,1] neg_hi:[0,1]
	buffer_store_dword v3, off, s[0:3], 0 offset:68
	buffer_store_dword v2, off, s[0:3], 0 offset:64
	s_and_saveexec_b64 s[4:5], vcc
	s_cbranch_execz .LBB46_281
; %bb.280:
	buffer_load_dword v2, off, s[0:3], 0 offset:56
	buffer_load_dword v3, off, s[0:3], 0 offset:60
	v_mov_b32_e32 v4, 0
	buffer_store_dword v4, off, s[0:3], 0 offset:56
	buffer_store_dword v4, off, s[0:3], 0 offset:60
	s_waitcnt vmcnt(2)
	ds_write_b64 v89, v[2:3]
.LBB46_281:
	s_or_b64 exec, exec, s[4:5]
	s_waitcnt lgkmcnt(0)
	; wave barrier
	s_waitcnt lgkmcnt(0)
	buffer_load_dword v21, off, s[0:3], 0 offset:68
	buffer_load_dword v70, off, s[0:3], 0 offset:76
	;; [unrolled: 1-line block ×48, first 2 shown]
	v_mov_b32_e32 v20, 0
	ds_read_b128 v[4:7], v20 offset:448
	buffer_load_dword v228, off, s[0:3], 0 offset:248
	buffer_load_dword v229, off, s[0:3], 0 offset:252
	;; [unrolled: 1-line block ×8, first 2 shown]
	ds_read_b128 v[8:11], v20 offset:464
	ds_read_b128 v[12:15], v20 offset:480
	;; [unrolled: 1-line block ×3, first 2 shown]
	buffer_load_dword v236, off, s[0:3], 0 offset:280
	buffer_load_dword v237, off, s[0:3], 0 offset:284
	;; [unrolled: 1-line block ×8, first 2 shown]
	v_cmp_lt_u32_e32 vcc, 6, v0
	s_waitcnt vmcnt(62) lgkmcnt(3)
	v_mul_f32_e32 v22, v4, v21
	v_mul_f32_e32 v23, v6, v70
	s_waitcnt vmcnt(61) lgkmcnt(2)
	v_mul_f32_e32 v24, v8, v72
	s_waitcnt vmcnt(60)
	v_mul_f32_e32 v25, v10, v74
	s_waitcnt vmcnt(59) lgkmcnt(1)
	v_mul_f32_e32 v26, v12, v186
	s_waitcnt vmcnt(58)
	;; [unrolled: 4-line block ×3, first 2 shown]
	v_fmac_f32_e32 v22, v5, v189
	s_waitcnt vmcnt(55)
	v_fmac_f32_e32 v23, v7, v190
	v_add_f32_e32 v22, 0, v22
	s_waitcnt vmcnt(54)
	v_fmac_f32_e32 v24, v9, v191
	v_add_f32_e32 v22, v22, v23
	;; [unrolled: 3-line block ×6, first 2 shown]
	v_add_f32_e32 v26, v22, v28
	ds_read_b128 v[22:25], v20 offset:512
	s_waitcnt vmcnt(49)
	v_mul_f32_e32 v27, v18, v196
	s_waitcnt vmcnt(48)
	v_fmac_f32_e32 v27, v19, v197
	v_add_f32_e32 v30, v26, v27
	ds_read_b128 v[26:29], v20 offset:528
	s_waitcnt vmcnt(47) lgkmcnt(1)
	v_mul_f32_e32 v31, v22, v198
	s_waitcnt vmcnt(46)
	v_fmac_f32_e32 v31, v23, v199
	v_add_f32_e32 v30, v30, v31
	s_waitcnt vmcnt(45)
	v_mul_f32_e32 v31, v24, v200
	s_waitcnt vmcnt(44)
	v_fmac_f32_e32 v31, v25, v201
	v_add_f32_e32 v30, v30, v31
	s_waitcnt vmcnt(42) lgkmcnt(0)
	v_mul_f32_e32 v31, v26, v203
	v_fmac_f32_e32 v31, v27, v202
	v_add_f32_e32 v34, v30, v31
	ds_read_b128 v[30:33], v20 offset:544
	s_waitcnt vmcnt(38)
	v_mul_f32_e32 v35, v28, v205
	v_fmac_f32_e32 v35, v29, v204
	v_add_f32_e32 v38, v34, v35
	ds_read_b128 v[34:37], v20 offset:560
	s_waitcnt vmcnt(36) lgkmcnt(1)
	v_mul_f32_e32 v39, v30, v207
	v_fmac_f32_e32 v39, v31, v206
	v_add_f32_e32 v38, v38, v39
	s_waitcnt vmcnt(34)
	v_mul_f32_e32 v39, v32, v209
	v_fmac_f32_e32 v39, v33, v208
	v_add_f32_e32 v38, v38, v39
	s_waitcnt vmcnt(32) lgkmcnt(0)
	v_mul_f32_e32 v39, v34, v211
	v_fmac_f32_e32 v39, v35, v210
	v_add_f32_e32 v42, v38, v39
	ds_read_b128 v[38:41], v20 offset:576
	s_waitcnt vmcnt(30)
	v_mul_f32_e32 v43, v36, v213
	v_fmac_f32_e32 v43, v37, v212
	v_add_f32_e32 v46, v42, v43
	ds_read_b128 v[42:45], v20 offset:592
	s_waitcnt vmcnt(28) lgkmcnt(1)
	v_mul_f32_e32 v47, v38, v215
	v_fmac_f32_e32 v47, v39, v214
	v_add_f32_e32 v46, v46, v47
	s_waitcnt vmcnt(26)
	v_mul_f32_e32 v47, v40, v217
	;; [unrolled: 18-line block ×4, first 2 shown]
	v_fmac_f32_e32 v63, v57, v232
	v_add_f32_e32 v62, v62, v63
	s_waitcnt vmcnt(8) lgkmcnt(0)
	v_mul_f32_e32 v63, v58, v235
	v_fmac_f32_e32 v63, v59, v234
	s_waitcnt vmcnt(6)
	v_mul_f32_e32 v67, v60, v237
	v_add_f32_e32 v66, v62, v63
	v_fmac_f32_e32 v67, v61, v236
	ds_read_b128 v[62:65], v20 offset:672
	v_add_f32_e32 v71, v66, v67
	ds_read_b128 v[66:69], v20 offset:688
	buffer_load_dword v77, off, s[0:3], 0 offset:340
	buffer_load_dword v76, off, s[0:3], 0 offset:336
	;; [unrolled: 1-line block ×16, first 2 shown]
	v_mul_f32_e32 v5, v5, v21
	v_fma_f32 v4, v4, v189, -v5
	v_mul_f32_e32 v5, v7, v70
	v_add_f32_e32 v4, 0, v4
	v_fma_f32 v5, v6, v190, -v5
	v_add_f32_e32 v4, v4, v5
	v_mul_f32_e32 v5, v9, v72
	v_fma_f32 v5, v8, v191, -v5
	v_add_f32_e32 v4, v4, v5
	v_mul_f32_e32 v5, v11, v74
	;; [unrolled: 3-line block ×26, first 2 shown]
	v_fma_f32 v5, v60, v236, -v5
	v_add_f32_e32 v4, v4, v5
	s_waitcnt vmcnt(20) lgkmcnt(1)
	v_mul_f32_e32 v5, v63, v239
	v_mul_f32_e32 v73, v62, v239
	v_fma_f32 v5, v62, v238, -v5
	v_fmac_f32_e32 v73, v63, v238
	v_add_f32_e32 v70, v4, v5
	s_waitcnt vmcnt(18)
	v_mul_f32_e32 v4, v65, v241
	s_waitcnt vmcnt(9)
	v_mov_b32_e32 v22, v177
	v_add_f32_e32 v71, v71, v73
	v_mul_f32_e32 v73, v64, v241
	v_fma_f32 v72, v64, v240, -v4
	s_waitcnt lgkmcnt(0)
	v_mul_f32_e32 v4, v67, v243
	v_pk_mul_f32 v[22:23], v[68:69], v[22:23] op_sel_hi:[1,0]
	v_fmac_f32_e32 v73, v65, v240
	v_mul_f32_e32 v75, v66, v243
	v_fma_f32 v74, v66, v242, -v4
	ds_read_b128 v[4:7], v20 offset:704
	ds_read_b128 v[8:11], v20 offset:720
	ds_read_b128 v[12:15], v20 offset:736
	ds_read_b64 v[16:17], v20 offset:752
	s_waitcnt vmcnt(8)
	v_pk_fma_f32 v[24:25], v[68:69], v[176:177], v[22:23] op_sel:[0,0,1] op_sel_hi:[1,1,0] neg_lo:[0,0,1] neg_hi:[0,0,1]
	v_pk_fma_f32 v[22:23], v[68:69], v[176:177], v[22:23] op_sel:[0,0,1] op_sel_hi:[1,0,0]
	v_fmac_f32_e32 v75, v67, v242
	v_pk_add_f32 v[18:19], v[70:71], v[72:73]
	v_mov_b32_e32 v22, v175
	v_pk_add_f32 v[18:19], v[18:19], v[74:75]
	v_mov_b32_e32 v25, v23
	s_waitcnt lgkmcnt(3)
	v_pk_mul_f32 v[22:23], v[4:5], v[22:23] op_sel_hi:[1,0]
	v_pk_add_f32 v[18:19], v[18:19], v[24:25]
	v_pk_fma_f32 v[24:25], v[4:5], v[174:175], v[22:23] op_sel:[0,0,1] op_sel_hi:[1,1,0] neg_lo:[0,0,1] neg_hi:[0,0,1]
	v_pk_fma_f32 v[4:5], v[4:5], v[174:175], v[22:23] op_sel:[0,0,1] op_sel_hi:[1,0,0]
	v_mov_b32_e32 v25, v5
	v_pk_add_f32 v[4:5], v[18:19], v[24:25]
	v_mov_b32_e32 v18, v173
	v_pk_mul_f32 v[18:19], v[6:7], v[18:19] op_sel_hi:[1,0]
	v_pk_fma_f32 v[22:23], v[6:7], v[172:173], v[18:19] op_sel:[0,0,1] op_sel_hi:[1,1,0] neg_lo:[0,0,1] neg_hi:[0,0,1]
	v_pk_fma_f32 v[6:7], v[6:7], v[172:173], v[18:19] op_sel:[0,0,1] op_sel_hi:[1,0,0]
	v_mov_b32_e32 v6, v77
	v_mov_b32_e32 v23, v7
	s_waitcnt lgkmcnt(2)
	v_pk_mul_f32 v[6:7], v[8:9], v[6:7] op_sel_hi:[1,0]
	v_pk_fma_f32 v[18:19], v[8:9], v[76:77], v[6:7] op_sel:[0,0,1] op_sel_hi:[1,1,0] neg_lo:[0,0,1] neg_hi:[0,0,1]
	v_pk_fma_f32 v[6:7], v[8:9], v[76:77], v[6:7] op_sel:[0,0,1] op_sel_hi:[1,0,0]
	s_waitcnt vmcnt(1)
	v_mov_b32_e32 v6, v185
	v_mov_b32_e32 v19, v7
	v_pk_mul_f32 v[6:7], v[10:11], v[6:7] op_sel_hi:[1,0]
	s_waitcnt vmcnt(0)
	v_pk_fma_f32 v[8:9], v[10:11], v[184:185], v[6:7] op_sel:[0,0,1] op_sel_hi:[1,1,0] neg_lo:[0,0,1] neg_hi:[0,0,1]
	v_pk_fma_f32 v[6:7], v[10:11], v[184:185], v[6:7] op_sel:[0,0,1] op_sel_hi:[1,0,0]
	v_pk_add_f32 v[4:5], v[4:5], v[22:23]
	v_mov_b32_e32 v6, v183
	v_pk_add_f32 v[4:5], v[4:5], v[18:19]
	v_mov_b32_e32 v9, v7
	s_waitcnt lgkmcnt(1)
	v_pk_mul_f32 v[6:7], v[12:13], v[6:7] op_sel_hi:[1,0]
	v_pk_add_f32 v[4:5], v[4:5], v[8:9]
	v_pk_fma_f32 v[8:9], v[12:13], v[182:183], v[6:7] op_sel:[0,0,1] op_sel_hi:[1,1,0] neg_lo:[0,0,1] neg_hi:[0,0,1]
	v_pk_fma_f32 v[6:7], v[12:13], v[182:183], v[6:7] op_sel:[0,0,1] op_sel_hi:[1,0,0]
	v_mov_b32_e32 v6, v181
	v_mov_b32_e32 v9, v7
	v_pk_mul_f32 v[6:7], v[14:15], v[6:7] op_sel_hi:[1,0]
	v_pk_add_f32 v[4:5], v[4:5], v[8:9]
	v_pk_fma_f32 v[8:9], v[14:15], v[180:181], v[6:7] op_sel:[0,0,1] op_sel_hi:[1,1,0] neg_lo:[0,0,1] neg_hi:[0,0,1]
	v_pk_fma_f32 v[6:7], v[14:15], v[180:181], v[6:7] op_sel:[0,0,1] op_sel_hi:[1,0,0]
	v_mov_b32_e32 v6, v179
	v_mov_b32_e32 v9, v7
	s_waitcnt lgkmcnt(0)
	v_pk_mul_f32 v[6:7], v[16:17], v[6:7] op_sel_hi:[1,0]
	v_pk_add_f32 v[4:5], v[4:5], v[8:9]
	v_pk_fma_f32 v[8:9], v[16:17], v[178:179], v[6:7] op_sel:[0,0,1] op_sel_hi:[1,1,0] neg_lo:[0,0,1] neg_hi:[0,0,1]
	v_pk_fma_f32 v[6:7], v[16:17], v[178:179], v[6:7] op_sel:[0,0,1] op_sel_hi:[1,0,0]
	v_mov_b32_e32 v9, v7
	v_pk_add_f32 v[4:5], v[4:5], v[8:9]
	v_pk_add_f32 v[2:3], v[2:3], v[4:5] neg_lo:[0,1] neg_hi:[0,1]
	buffer_store_dword v3, off, s[0:3], 0 offset:60
	buffer_store_dword v2, off, s[0:3], 0 offset:56
	s_and_saveexec_b64 s[4:5], vcc
	s_cbranch_execz .LBB46_283
; %bb.282:
	buffer_load_dword v2, off, s[0:3], 0 offset:48
	buffer_load_dword v3, off, s[0:3], 0 offset:52
	s_waitcnt vmcnt(0)
	ds_write_b64 v89, v[2:3]
	buffer_store_dword v20, off, s[0:3], 0 offset:48
	buffer_store_dword v20, off, s[0:3], 0 offset:52
.LBB46_283:
	s_or_b64 exec, exec, s[4:5]
	s_waitcnt lgkmcnt(0)
	; wave barrier
	s_waitcnt lgkmcnt(0)
	buffer_load_dword v21, off, s[0:3], 0 offset:60
	buffer_load_dword v70, off, s[0:3], 0 offset:68
	;; [unrolled: 1-line block ×26, first 2 shown]
	ds_read2_b64 v[14:17], v20 offset0:55 offset1:56
	ds_read2_b64 v[6:9], v20 offset0:57 offset1:58
	buffer_load_dword v206, off, s[0:3], 0 offset:152
	buffer_load_dword v207, off, s[0:3], 0 offset:156
	ds_read2_b64 v[10:13], v20 offset0:59 offset1:60
	ds_read2_b64 v[2:5], v20 offset0:61 offset1:62
	buffer_load_dword v208, off, s[0:3], 0 offset:160
	buffer_load_dword v209, off, s[0:3], 0 offset:164
	;; [unrolled: 1-line block ×32, first 2 shown]
	v_cmp_lt_u32_e32 vcc, 5, v0
	s_waitcnt vmcnt(59) lgkmcnt(3)
	v_mul_f32_e32 v22, v14, v21
	s_waitcnt vmcnt(58)
	v_mul_f32_e32 v23, v16, v70
	s_waitcnt vmcnt(57) lgkmcnt(2)
	v_mul_f32_e32 v24, v6, v72
	s_waitcnt vmcnt(56)
	v_mul_f32_e32 v25, v8, v174
	;; [unrolled: 4-line block ×4, first 2 shown]
	s_waitcnt vmcnt(51)
	v_fmac_f32_e32 v22, v15, v190
	s_waitcnt vmcnt(50)
	v_fmac_f32_e32 v23, v17, v191
	v_add_f32_e32 v22, 0, v22
	s_waitcnt vmcnt(49)
	v_fmac_f32_e32 v24, v7, v192
	v_add_f32_e32 v22, v22, v23
	;; [unrolled: 3-line block ×6, first 2 shown]
	v_add_f32_e32 v26, v22, v28
	ds_read2_b64 v[22:25], v20 offset0:63 offset1:64
	s_waitcnt vmcnt(44)
	v_fmac_f32_e32 v29, v5, v197
	buffer_load_dword v240, off, s[0:3], 0 offset:288
	buffer_load_dword v241, off, s[0:3], 0 offset:292
	v_add_f32_e32 v30, v26, v29
	buffer_load_dword v242, off, s[0:3], 0 offset:296
	buffer_load_dword v243, off, s[0:3], 0 offset:300
	ds_read2_b64 v[26:29], v20 offset0:65 offset1:66
	s_waitcnt vmcnt(47) lgkmcnt(1)
	v_mul_f32_e32 v31, v22, v198
	s_waitcnt vmcnt(46)
	v_fmac_f32_e32 v31, v23, v199
	v_add_f32_e32 v30, v30, v31
	s_waitcnt vmcnt(45)
	v_mul_f32_e32 v31, v24, v200
	s_waitcnt vmcnt(44)
	v_fmac_f32_e32 v31, v25, v201
	v_add_f32_e32 v30, v30, v31
	s_waitcnt vmcnt(41) lgkmcnt(0)
	v_mul_f32_e32 v31, v26, v202
	s_waitcnt vmcnt(40)
	v_fmac_f32_e32 v31, v27, v203
	buffer_load_dword v244, off, s[0:3], 0 offset:304
	buffer_load_dword v245, off, s[0:3], 0 offset:308
	v_add_f32_e32 v34, v30, v31
	ds_read2_b64 v[30:33], v20 offset0:67 offset1:68
	s_waitcnt vmcnt(40)
	v_mul_f32_e32 v35, v28, v205
	v_fmac_f32_e32 v35, v29, v204
	v_add_f32_e32 v38, v34, v35
	ds_read2_b64 v[34:37], v20 offset0:69 offset1:70
	s_waitcnt vmcnt(38) lgkmcnt(1)
	v_mul_f32_e32 v39, v30, v207
	v_fmac_f32_e32 v39, v31, v206
	v_add_f32_e32 v38, v38, v39
	s_waitcnt vmcnt(36)
	v_mul_f32_e32 v39, v32, v209
	v_fmac_f32_e32 v39, v33, v208
	v_add_f32_e32 v38, v38, v39
	s_waitcnt vmcnt(34) lgkmcnt(0)
	v_mul_f32_e32 v39, v34, v211
	v_fmac_f32_e32 v39, v35, v210
	v_add_f32_e32 v42, v38, v39
	ds_read2_b64 v[38:41], v20 offset0:71 offset1:72
	s_waitcnt vmcnt(32)
	v_mul_f32_e32 v43, v36, v213
	v_fmac_f32_e32 v43, v37, v212
	v_add_f32_e32 v46, v42, v43
	ds_read2_b64 v[42:45], v20 offset0:73 offset1:74
	s_waitcnt vmcnt(30) lgkmcnt(1)
	v_mul_f32_e32 v47, v38, v215
	v_fmac_f32_e32 v47, v39, v214
	v_add_f32_e32 v46, v46, v47
	s_waitcnt vmcnt(28)
	v_mul_f32_e32 v47, v40, v217
	v_fmac_f32_e32 v47, v41, v216
	v_add_f32_e32 v46, v46, v47
	s_waitcnt vmcnt(26) lgkmcnt(0)
	v_mul_f32_e32 v47, v42, v219
	v_fmac_f32_e32 v47, v43, v218
	;; [unrolled: 18-line block ×4, first 2 shown]
	s_waitcnt vmcnt(8)
	v_mul_f32_e32 v67, v60, v237
	v_add_f32_e32 v66, v62, v63
	v_fmac_f32_e32 v67, v61, v236
	ds_read2_b64 v[62:65], v20 offset0:83 offset1:84
	v_add_f32_e32 v71, v66, v67
	ds_read2_b64 v[66:69], v20 offset0:85 offset1:86
	buffer_load_dword v75, off, s[0:3], 0 offset:332
	buffer_load_dword v74, off, s[0:3], 0 offset:328
	buffer_load_dword v77, off, s[0:3], 0 offset:324
	buffer_load_dword v76, off, s[0:3], 0 offset:320
	buffer_load_dword v173, off, s[0:3], 0 offset:316
	buffer_load_dword v172, off, s[0:3], 0 offset:312
	buffer_load_dword v177, off, s[0:3], 0 offset:364
	buffer_load_dword v176, off, s[0:3], 0 offset:360
	buffer_load_dword v179, off, s[0:3], 0 offset:356
	buffer_load_dword v178, off, s[0:3], 0 offset:352
	buffer_load_dword v181, off, s[0:3], 0 offset:348
	buffer_load_dword v180, off, s[0:3], 0 offset:344
	buffer_load_dword v183, off, s[0:3], 0 offset:340
	buffer_load_dword v182, off, s[0:3], 0 offset:336
	buffer_load_dword v185, off, s[0:3], 0 offset:372
	buffer_load_dword v184, off, s[0:3], 0 offset:368
	v_mul_f32_e32 v15, v15, v21
	v_fma_f32 v14, v14, v190, -v15
	v_mul_f32_e32 v15, v17, v70
	v_add_f32_e32 v14, 0, v14
	v_fma_f32 v15, v16, v191, -v15
	v_mul_f32_e32 v7, v7, v72
	v_add_f32_e32 v14, v14, v15
	;; [unrolled: 3-line block ×3, first 2 shown]
	v_fma_f32 v7, v8, v193, -v7
	v_add_f32_e32 v6, v6, v7
	v_mul_f32_e32 v7, v11, v186
	v_fma_f32 v7, v10, v194, -v7
	v_add_f32_e32 v6, v6, v7
	v_mul_f32_e32 v7, v13, v187
	v_fma_f32 v7, v12, v195, -v7
	v_mul_f32_e32 v3, v3, v188
	v_add_f32_e32 v6, v6, v7
	v_fma_f32 v2, v2, v196, -v3
	v_mul_f32_e32 v3, v5, v189
	v_add_f32_e32 v2, v6, v2
	v_fma_f32 v3, v4, v197, -v3
	v_add_f32_e32 v2, v2, v3
	v_mul_f32_e32 v3, v23, v198
	v_fma_f32 v3, v22, v199, -v3
	v_add_f32_e32 v2, v2, v3
	v_mul_f32_e32 v3, v25, v200
	;; [unrolled: 3-line block ×20, first 2 shown]
	v_fma_f32 v3, v60, v236, -v3
	v_add_f32_e32 v2, v2, v3
	s_waitcnt vmcnt(22) lgkmcnt(1)
	v_mul_f32_e32 v3, v63, v239
	v_fma_f32 v3, v62, v238, -v3
	v_add_f32_e32 v2, v2, v3
	s_waitcnt vmcnt(20)
	v_mul_f32_e32 v3, v65, v241
	v_mul_f32_e32 v73, v62, v239
	v_fma_f32 v3, v64, v240, -v3
	v_fmac_f32_e32 v73, v63, v238
	v_add_f32_e32 v70, v2, v3
	s_waitcnt vmcnt(18) lgkmcnt(0)
	v_mul_f32_e32 v2, v67, v243
	v_add_f32_e32 v71, v71, v73
	v_mul_f32_e32 v73, v64, v241
	v_fma_f32 v72, v66, v242, -v2
	s_waitcnt vmcnt(16)
	v_mul_f32_e32 v2, v69, v245
	v_fmac_f32_e32 v73, v65, v240
	v_fma_f32 v174, v68, v244, -v2
	ds_read2_b64 v[2:5], v20 offset0:87 offset1:88
	ds_read2_b64 v[6:9], v20 offset0:89 offset1:90
	;; [unrolled: 1-line block ×4, first 2 shown]
	v_add_f32_e32 v71, v71, v73
	v_mul_f32_e32 v73, v66, v243
	s_waitcnt vmcnt(11)
	v_mov_b32_e32 v22, v173
	v_fmac_f32_e32 v73, v67, v242
	v_mul_f32_e32 v175, v68, v245
	s_waitcnt lgkmcnt(3)
	v_pk_mul_f32 v[22:23], v[2:3], v[22:23] op_sel_hi:[1,0]
	v_fmac_f32_e32 v175, v69, v244
	v_pk_add_f32 v[20:21], v[70:71], v[72:73]
	s_waitcnt vmcnt(10)
	v_pk_fma_f32 v[24:25], v[2:3], v[172:173], v[22:23] op_sel:[0,0,1] op_sel_hi:[1,1,0] neg_lo:[0,0,1] neg_hi:[0,0,1]
	v_pk_fma_f32 v[2:3], v[2:3], v[172:173], v[22:23] op_sel:[0,0,1] op_sel_hi:[1,0,0]
	v_pk_add_f32 v[20:21], v[20:21], v[174:175]
	v_mov_b32_e32 v25, v3
	v_pk_add_f32 v[2:3], v[20:21], v[24:25]
	v_mov_b32_e32 v20, v77
	v_pk_mul_f32 v[20:21], v[4:5], v[20:21] op_sel_hi:[1,0]
	v_pk_fma_f32 v[22:23], v[4:5], v[76:77], v[20:21] op_sel:[0,0,1] op_sel_hi:[1,1,0] neg_lo:[0,0,1] neg_hi:[0,0,1]
	v_pk_fma_f32 v[4:5], v[4:5], v[76:77], v[20:21] op_sel:[0,0,1] op_sel_hi:[1,0,0]
	v_mov_b32_e32 v4, v75
	v_mov_b32_e32 v23, v5
	s_waitcnt lgkmcnt(2)
	v_pk_mul_f32 v[4:5], v[6:7], v[4:5] op_sel_hi:[1,0]
	v_pk_fma_f32 v[20:21], v[6:7], v[74:75], v[4:5] op_sel:[0,0,1] op_sel_hi:[1,1,0] neg_lo:[0,0,1] neg_hi:[0,0,1]
	v_pk_fma_f32 v[4:5], v[6:7], v[74:75], v[4:5] op_sel:[0,0,1] op_sel_hi:[1,0,0]
	s_waitcnt vmcnt(3)
	v_mov_b32_e32 v4, v183
	v_mov_b32_e32 v21, v5
	v_pk_mul_f32 v[4:5], v[8:9], v[4:5] op_sel_hi:[1,0]
	s_waitcnt vmcnt(2)
	v_pk_fma_f32 v[6:7], v[8:9], v[182:183], v[4:5] op_sel:[0,0,1] op_sel_hi:[1,1,0] neg_lo:[0,0,1] neg_hi:[0,0,1]
	v_pk_fma_f32 v[4:5], v[8:9], v[182:183], v[4:5] op_sel:[0,0,1] op_sel_hi:[1,0,0]
	v_pk_add_f32 v[2:3], v[2:3], v[22:23]
	v_mov_b32_e32 v4, v181
	v_pk_add_f32 v[2:3], v[2:3], v[20:21]
	v_mov_b32_e32 v7, v5
	s_waitcnt lgkmcnt(1)
	v_pk_mul_f32 v[4:5], v[10:11], v[4:5] op_sel_hi:[1,0]
	v_pk_add_f32 v[2:3], v[2:3], v[6:7]
	v_pk_fma_f32 v[6:7], v[10:11], v[180:181], v[4:5] op_sel:[0,0,1] op_sel_hi:[1,1,0] neg_lo:[0,0,1] neg_hi:[0,0,1]
	v_pk_fma_f32 v[4:5], v[10:11], v[180:181], v[4:5] op_sel:[0,0,1] op_sel_hi:[1,0,0]
	v_mov_b32_e32 v4, v179
	v_mov_b32_e32 v7, v5
	v_pk_mul_f32 v[4:5], v[12:13], v[4:5] op_sel_hi:[1,0]
	v_pk_add_f32 v[2:3], v[2:3], v[6:7]
	v_pk_fma_f32 v[6:7], v[12:13], v[178:179], v[4:5] op_sel:[0,0,1] op_sel_hi:[1,1,0] neg_lo:[0,0,1] neg_hi:[0,0,1]
	v_pk_fma_f32 v[4:5], v[12:13], v[178:179], v[4:5] op_sel:[0,0,1] op_sel_hi:[1,0,0]
	v_mov_b32_e32 v4, v177
	v_mov_b32_e32 v7, v5
	s_waitcnt lgkmcnt(0)
	v_pk_mul_f32 v[4:5], v[14:15], v[4:5] op_sel_hi:[1,0]
	v_pk_add_f32 v[2:3], v[2:3], v[6:7]
	v_pk_fma_f32 v[6:7], v[14:15], v[176:177], v[4:5] op_sel:[0,0,1] op_sel_hi:[1,1,0] neg_lo:[0,0,1] neg_hi:[0,0,1]
	v_pk_fma_f32 v[4:5], v[14:15], v[176:177], v[4:5] op_sel:[0,0,1] op_sel_hi:[1,0,0]
	s_waitcnt vmcnt(1)
	v_mov_b32_e32 v4, v185
	v_mov_b32_e32 v7, v5
	v_pk_mul_f32 v[4:5], v[16:17], v[4:5] op_sel_hi:[1,0]
	v_pk_add_f32 v[2:3], v[2:3], v[6:7]
	s_waitcnt vmcnt(0)
	v_pk_fma_f32 v[6:7], v[16:17], v[184:185], v[4:5] op_sel:[0,0,1] op_sel_hi:[1,1,0] neg_lo:[0,0,1] neg_hi:[0,0,1]
	v_pk_fma_f32 v[4:5], v[16:17], v[184:185], v[4:5] op_sel:[0,0,1] op_sel_hi:[1,0,0]
	v_mov_b32_e32 v7, v5
	v_pk_add_f32 v[2:3], v[2:3], v[6:7]
	v_pk_add_f32 v[2:3], v[18:19], v[2:3] neg_lo:[0,1] neg_hi:[0,1]
	buffer_store_dword v3, off, s[0:3], 0 offset:52
	buffer_store_dword v2, off, s[0:3], 0 offset:48
	s_and_saveexec_b64 s[4:5], vcc
	s_cbranch_execz .LBB46_285
; %bb.284:
	buffer_load_dword v2, off, s[0:3], 0 offset:40
	buffer_load_dword v3, off, s[0:3], 0 offset:44
	v_mov_b32_e32 v4, 0
	buffer_store_dword v4, off, s[0:3], 0 offset:40
	buffer_store_dword v4, off, s[0:3], 0 offset:44
	s_waitcnt vmcnt(2)
	ds_write_b64 v89, v[2:3]
.LBB46_285:
	s_or_b64 exec, exec, s[4:5]
	s_waitcnt lgkmcnt(0)
	; wave barrier
	s_waitcnt lgkmcnt(0)
	buffer_load_dword v172, off, s[0:3], 0 offset:52
	buffer_load_dword v189, off, s[0:3], 0 offset:60
	;; [unrolled: 1-line block ×58, first 2 shown]
	v_mov_b32_e32 v188, 0
	ds_read_b128 v[22:25], v188 offset:432
	ds_read_b128 v[18:21], v188 offset:448
	ds_read_b128 v[14:17], v188 offset:464
	ds_read_b128 v[10:13], v188 offset:480
	ds_read_b128 v[6:9], v188 offset:496
	buffer_load_dword v242, off, s[0:3], 0 offset:276
	buffer_load_dword v243, off, s[0:3], 0 offset:272
	;; [unrolled: 1-line block ×6, first 2 shown]
	v_cmp_lt_u32_e32 vcc, 4, v0
	s_waitcnt vmcnt(62) lgkmcnt(4)
	v_mul_f32_e32 v2, v22, v172
	v_mul_f32_e32 v3, v24, v189
	s_waitcnt vmcnt(61) lgkmcnt(3)
	v_mul_f32_e32 v4, v18, v74
	s_waitcnt vmcnt(60)
	v_mul_f32_e32 v5, v20, v190
	s_waitcnt vmcnt(59) lgkmcnt(2)
	v_mul_f32_e32 v26, v14, v191
	s_waitcnt vmcnt(58)
	;; [unrolled: 4-line block ×3, first 2 shown]
	v_mul_f32_e32 v29, v12, v193
	s_waitcnt vmcnt(55)
	v_fmac_f32_e32 v2, v23, v205
	s_waitcnt vmcnt(54)
	v_fmac_f32_e32 v3, v25, v203
	v_add_f32_e32 v2, 0, v2
	s_waitcnt vmcnt(53)
	v_fmac_f32_e32 v4, v19, v204
	v_add_f32_e32 v2, v2, v3
	;; [unrolled: 3-line block ×7, first 2 shown]
	v_add_f32_e32 v2, v2, v29
	ds_read_b128 v[26:29], v188 offset:512
	s_waitcnt vmcnt(47) lgkmcnt(1)
	v_mul_f32_e32 v3, v6, v197
	s_waitcnt vmcnt(46)
	v_fmac_f32_e32 v3, v7, v196
	v_add_f32_e32 v2, v2, v3
	s_waitcnt vmcnt(45)
	v_mul_f32_e32 v3, v8, v195
	buffer_load_dword v248, off, s[0:3], 0 offset:300
	buffer_load_dword v249, off, s[0:3], 0 offset:296
	;; [unrolled: 1-line block ×4, first 2 shown]
	s_waitcnt vmcnt(46)
	v_fmac_f32_e32 v3, v9, v200
	ds_read_b128 v[30:33], v188 offset:528
	ds_read_b128 v[34:37], v188 offset:544
	v_add_f32_e32 v2, v2, v3
	s_waitcnt vmcnt(44) lgkmcnt(2)
	v_mul_f32_e32 v3, v26, v207
	v_fmac_f32_e32 v3, v27, v206
	v_add_f32_e32 v2, v2, v3
	s_waitcnt vmcnt(42)
	v_mul_f32_e32 v3, v28, v209
	v_fmac_f32_e32 v3, v29, v208
	v_add_f32_e32 v2, v2, v3
	s_waitcnt vmcnt(40) lgkmcnt(1)
	v_mul_f32_e32 v3, v30, v211
	v_fmac_f32_e32 v3, v31, v210
	v_add_f32_e32 v2, v2, v3
	s_waitcnt vmcnt(38)
	v_mul_f32_e32 v3, v32, v213
	v_fmac_f32_e32 v3, v33, v212
	ds_read_b128 v[38:41], v188 offset:560
	ds_read_b128 v[42:45], v188 offset:576
	v_add_f32_e32 v2, v2, v3
	s_waitcnt vmcnt(36) lgkmcnt(2)
	v_mul_f32_e32 v3, v34, v215
	v_fmac_f32_e32 v3, v35, v214
	v_add_f32_e32 v2, v2, v3
	s_waitcnt vmcnt(34)
	v_mul_f32_e32 v3, v36, v217
	v_fmac_f32_e32 v3, v37, v216
	v_add_f32_e32 v2, v2, v3
	s_waitcnt vmcnt(32) lgkmcnt(1)
	v_mul_f32_e32 v3, v38, v219
	v_fmac_f32_e32 v3, v39, v218
	v_add_f32_e32 v2, v2, v3
	s_waitcnt vmcnt(30)
	v_mul_f32_e32 v3, v40, v221
	;; [unrolled: 18-line block ×4, first 2 shown]
	v_fmac_f32_e32 v3, v57, v236
	ds_read_b128 v[62:65], v188 offset:656
	ds_read_b128 v[66:69], v188 offset:672
	v_add_f32_e32 v2, v2, v3
	s_waitcnt vmcnt(12) lgkmcnt(2)
	v_mul_f32_e32 v3, v58, v239
	v_fmac_f32_e32 v3, v59, v238
	v_add_f32_e32 v2, v2, v3
	s_waitcnt vmcnt(10)
	v_mul_f32_e32 v3, v60, v241
	v_fmac_f32_e32 v3, v61, v240
	v_add_f32_e32 v2, v2, v3
	s_waitcnt vmcnt(9) lgkmcnt(1)
	v_mul_f32_e32 v3, v62, v242
	s_waitcnt vmcnt(8)
	v_fmac_f32_e32 v3, v63, v243
	v_add_f32_e32 v2, v2, v3
	s_waitcnt vmcnt(7)
	v_mul_f32_e32 v3, v64, v244
	s_waitcnt vmcnt(6)
	v_fmac_f32_e32 v3, v65, v245
	s_waitcnt vmcnt(5) lgkmcnt(0)
	v_mul_f32_e32 v73, v66, v246
	v_add_f32_e32 v72, v2, v3
	s_waitcnt vmcnt(4)
	v_fmac_f32_e32 v73, v67, v247
	ds_read_b128 v[2:5], v188 offset:688
	v_add_f32_e32 v77, v72, v73
	buffer_load_dword v73, off, s[0:3], 0 offset:316
	buffer_load_dword v72, off, s[0:3], 0 offset:312
	;; [unrolled: 1-line block ×16, first 2 shown]
	v_mul_f32_e32 v23, v23, v172
	v_fma_f32 v22, v22, v205, -v23
	v_mul_f32_e32 v23, v25, v189
	v_add_f32_e32 v22, 0, v22
	v_fma_f32 v23, v24, v203, -v23
	v_mul_f32_e32 v19, v19, v74
	v_add_f32_e32 v22, v22, v23
	;; [unrolled: 3-line block ×9, first 2 shown]
	v_fma_f32 v7, v8, v200, -v7
	v_add_f32_e32 v6, v6, v7
	v_mul_f32_e32 v7, v27, v207
	v_fma_f32 v7, v26, v206, -v7
	v_add_f32_e32 v6, v6, v7
	v_mul_f32_e32 v7, v29, v209
	;; [unrolled: 3-line block ×21, first 2 shown]
	v_fma_f32 v7, v66, v247, -v7
	s_waitcnt vmcnt(19)
	v_mul_f32_e32 v173, v68, v248
	s_waitcnt vmcnt(17) lgkmcnt(0)
	v_mul_f32_e32 v75, v2, v250
	v_add_f32_e32 v76, v6, v7
	v_mul_f32_e32 v6, v69, v248
	s_waitcnt vmcnt(15)
	v_mov_b32_e32 v20, v73
	v_fmac_f32_e32 v173, v69, v249
	v_fmac_f32_e32 v75, v3, v251
	v_fma_f32 v172, v68, v249, -v6
	v_mul_f32_e32 v3, v3, v250
	v_pk_mul_f32 v[20:21], v[4:5], v[20:21] op_sel_hi:[1,0]
	v_fma_f32 v74, v2, v251, -v3
	v_pk_add_f32 v[18:19], v[76:77], v[172:173]
	s_waitcnt vmcnt(14)
	v_pk_fma_f32 v[22:23], v[4:5], v[72:73], v[20:21] op_sel:[0,0,1] op_sel_hi:[1,1,0] neg_lo:[0,0,1] neg_hi:[0,0,1]
	v_pk_fma_f32 v[4:5], v[4:5], v[72:73], v[20:21] op_sel:[0,0,1] op_sel_hi:[1,0,0]
	ds_read_b128 v[6:9], v188 offset:704
	ds_read_b128 v[10:13], v188 offset:720
	;; [unrolled: 1-line block ×3, first 2 shown]
	ds_read_b64 v[2:3], v188 offset:752
	v_pk_add_f32 v[18:19], v[18:19], v[74:75]
	v_mov_b32_e32 v23, v5
	v_pk_add_f32 v[4:5], v[18:19], v[22:23]
	s_waitcnt vmcnt(13)
	v_mov_b32_e32 v18, v187
	s_waitcnt lgkmcnt(3)
	v_pk_mul_f32 v[18:19], v[6:7], v[18:19] op_sel_hi:[1,0]
	s_waitcnt vmcnt(12)
	v_pk_fma_f32 v[20:21], v[6:7], v[186:187], v[18:19] op_sel:[0,0,1] op_sel_hi:[1,1,0] neg_lo:[0,0,1] neg_hi:[0,0,1]
	v_pk_fma_f32 v[6:7], v[6:7], v[186:187], v[18:19] op_sel:[0,0,1] op_sel_hi:[1,0,0]
	s_waitcnt vmcnt(11)
	v_mov_b32_e32 v6, v185
	v_mov_b32_e32 v21, v7
	v_pk_mul_f32 v[6:7], v[8:9], v[6:7] op_sel_hi:[1,0]
	s_waitcnt vmcnt(10)
	v_pk_fma_f32 v[18:19], v[8:9], v[184:185], v[6:7] op_sel:[0,0,1] op_sel_hi:[1,1,0] neg_lo:[0,0,1] neg_hi:[0,0,1]
	v_pk_fma_f32 v[6:7], v[8:9], v[184:185], v[6:7] op_sel:[0,0,1] op_sel_hi:[1,0,0]
	s_waitcnt vmcnt(9)
	v_mov_b32_e32 v6, v183
	v_mov_b32_e32 v19, v7
	s_waitcnt lgkmcnt(2)
	v_pk_mul_f32 v[6:7], v[10:11], v[6:7] op_sel_hi:[1,0]
	s_waitcnt vmcnt(8)
	v_pk_fma_f32 v[8:9], v[10:11], v[182:183], v[6:7] op_sel:[0,0,1] op_sel_hi:[1,1,0] neg_lo:[0,0,1] neg_hi:[0,0,1]
	v_pk_fma_f32 v[6:7], v[10:11], v[182:183], v[6:7] op_sel:[0,0,1] op_sel_hi:[1,0,0]
	v_pk_add_f32 v[4:5], v[4:5], v[20:21]
	s_waitcnt vmcnt(7)
	v_mov_b32_e32 v6, v181
	v_pk_add_f32 v[4:5], v[4:5], v[18:19]
	v_mov_b32_e32 v9, v7
	v_pk_mul_f32 v[6:7], v[12:13], v[6:7] op_sel_hi:[1,0]
	v_pk_add_f32 v[4:5], v[4:5], v[8:9]
	s_waitcnt vmcnt(6)
	v_pk_fma_f32 v[8:9], v[12:13], v[180:181], v[6:7] op_sel:[0,0,1] op_sel_hi:[1,1,0] neg_lo:[0,0,1] neg_hi:[0,0,1]
	v_pk_fma_f32 v[6:7], v[12:13], v[180:181], v[6:7] op_sel:[0,0,1] op_sel_hi:[1,0,0]
	s_waitcnt vmcnt(5)
	v_mov_b32_e32 v6, v179
	v_mov_b32_e32 v9, v7
	s_waitcnt lgkmcnt(1)
	v_pk_mul_f32 v[6:7], v[14:15], v[6:7] op_sel_hi:[1,0]
	v_pk_add_f32 v[4:5], v[4:5], v[8:9]
	s_waitcnt vmcnt(4)
	v_pk_fma_f32 v[8:9], v[14:15], v[178:179], v[6:7] op_sel:[0,0,1] op_sel_hi:[1,1,0] neg_lo:[0,0,1] neg_hi:[0,0,1]
	v_pk_fma_f32 v[6:7], v[14:15], v[178:179], v[6:7] op_sel:[0,0,1] op_sel_hi:[1,0,0]
	s_waitcnt vmcnt(3)
	v_mov_b32_e32 v6, v177
	v_mov_b32_e32 v9, v7
	v_pk_mul_f32 v[6:7], v[16:17], v[6:7] op_sel_hi:[1,0]
	v_pk_add_f32 v[4:5], v[4:5], v[8:9]
	s_waitcnt vmcnt(2)
	v_pk_fma_f32 v[8:9], v[16:17], v[176:177], v[6:7] op_sel:[0,0,1] op_sel_hi:[1,1,0] neg_lo:[0,0,1] neg_hi:[0,0,1]
	v_pk_fma_f32 v[6:7], v[16:17], v[176:177], v[6:7] op_sel:[0,0,1] op_sel_hi:[1,0,0]
	s_waitcnt vmcnt(1)
	v_mov_b32_e32 v6, v175
	v_mov_b32_e32 v9, v7
	s_waitcnt lgkmcnt(0)
	v_pk_mul_f32 v[6:7], v[2:3], v[6:7] op_sel_hi:[1,0]
	v_pk_add_f32 v[4:5], v[4:5], v[8:9]
	s_waitcnt vmcnt(0)
	v_pk_fma_f32 v[8:9], v[2:3], v[174:175], v[6:7] op_sel:[0,0,1] op_sel_hi:[1,1,0] neg_lo:[0,0,1] neg_hi:[0,0,1]
	v_pk_fma_f32 v[2:3], v[2:3], v[174:175], v[6:7] op_sel:[0,0,1] op_sel_hi:[1,0,0]
	v_mov_b32_e32 v9, v3
	v_pk_add_f32 v[2:3], v[4:5], v[8:9]
	v_pk_add_f32 v[2:3], v[70:71], v[2:3] neg_lo:[0,1] neg_hi:[0,1]
	buffer_store_dword v3, off, s[0:3], 0 offset:44
	buffer_store_dword v2, off, s[0:3], 0 offset:40
	s_and_saveexec_b64 s[4:5], vcc
	s_cbranch_execz .LBB46_287
; %bb.286:
	buffer_load_dword v2, off, s[0:3], 0 offset:32
	buffer_load_dword v3, off, s[0:3], 0 offset:36
	s_waitcnt vmcnt(0)
	ds_write_b64 v89, v[2:3]
	buffer_store_dword v188, off, s[0:3], 0 offset:32
	buffer_store_dword v188, off, s[0:3], 0 offset:36
.LBB46_287:
	s_or_b64 exec, exec, s[4:5]
	s_waitcnt lgkmcnt(0)
	; wave barrier
	s_waitcnt lgkmcnt(0)
	buffer_load_dword v172, off, s[0:3], 0 offset:44
	buffer_load_dword v174, off, s[0:3], 0 offset:52
	;; [unrolled: 1-line block ×24, first 2 shown]
	ds_read2_b64 v[22:25], v188 offset0:53 offset1:54
	ds_read2_b64 v[18:21], v188 offset0:55 offset1:56
	;; [unrolled: 1-line block ×4, first 2 shown]
	buffer_load_dword v212, off, s[0:3], 0 offset:128
	buffer_load_dword v213, off, s[0:3], 0 offset:132
	ds_read2_b64 v[10:13], v188 offset0:61 offset1:62
	ds_read2_b64 v[2:5], v188 offset0:63 offset1:64
	buffer_load_dword v214, off, s[0:3], 0 offset:136
	buffer_load_dword v215, off, s[0:3], 0 offset:140
	;; [unrolled: 1-line block ×44, first 2 shown]
	v_cmp_lt_u32_e32 vcc, 3, v0
	s_waitcnt vmcnt(62) lgkmcnt(5)
	v_mul_f32_e32 v28, v22, v172
	v_mul_f32_e32 v29, v24, v174
	s_waitcnt lgkmcnt(4)
	v_mul_f32_e32 v31, v20, v176
	s_waitcnt lgkmcnt(3)
	v_mul_f32_e32 v32, v14, v189
	v_mul_f32_e32 v33, v16, v194
	v_mul_f32_e32 v30, v18, v195
	s_waitcnt lgkmcnt(2)
	v_mul_f32_e32 v34, v6, v196
	v_mul_f32_e32 v35, v8, v197
	s_waitcnt vmcnt(61)
	v_fmac_f32_e32 v30, v19, v198
	s_waitcnt vmcnt(60)
	v_fmac_f32_e32 v29, v25, v199
	;; [unrolled: 2-line block ×3, first 2 shown]
	v_add_f32_e32 v28, 0, v28
	v_add_f32_e32 v28, v28, v29
	;; [unrolled: 1-line block ×3, first 2 shown]
	s_waitcnt vmcnt(55)
	v_fmac_f32_e32 v31, v21, v204
	v_fmac_f32_e32 v32, v15, v203
	v_add_f32_e32 v28, v28, v31
	v_fmac_f32_e32 v33, v17, v202
	v_add_f32_e32 v28, v28, v32
	;; [unrolled: 2-line block ×3, first 2 shown]
	s_waitcnt vmcnt(51)
	v_fmac_f32_e32 v35, v9, v208
	v_add_f32_e32 v28, v28, v34
	s_waitcnt vmcnt(50) lgkmcnt(1)
	v_mul_f32_e32 v29, v10, v209
	v_add_f32_e32 v28, v28, v35
	v_fmac_f32_e32 v29, v11, v207
	v_add_f32_e32 v28, v28, v29
	s_waitcnt vmcnt(49)
	v_mul_f32_e32 v29, v12, v210
	v_fmac_f32_e32 v29, v13, v206
	v_add_f32_e32 v28, v28, v29
	s_waitcnt vmcnt(48) lgkmcnt(0)
	v_mul_f32_e32 v29, v2, v211
	v_fmac_f32_e32 v29, v3, v205
	v_add_f32_e32 v32, v28, v29
	ds_read2_b64 v[28:31], v188 offset0:65 offset1:66
	s_waitcnt vmcnt(44)
	v_mul_f32_e32 v33, v4, v213
	v_fmac_f32_e32 v33, v5, v212
	v_add_f32_e32 v36, v32, v33
	ds_read2_b64 v[32:35], v188 offset0:67 offset1:68
	s_waitcnt vmcnt(42) lgkmcnt(1)
	v_mul_f32_e32 v37, v28, v215
	v_fmac_f32_e32 v37, v29, v214
	v_add_f32_e32 v36, v36, v37
	s_waitcnt vmcnt(40)
	v_mul_f32_e32 v37, v30, v217
	v_fmac_f32_e32 v37, v31, v216
	v_add_f32_e32 v36, v36, v37
	s_waitcnt vmcnt(38) lgkmcnt(0)
	v_mul_f32_e32 v37, v32, v219
	v_fmac_f32_e32 v37, v33, v218
	v_add_f32_e32 v40, v36, v37
	ds_read2_b64 v[36:39], v188 offset0:69 offset1:70
	s_waitcnt vmcnt(36)
	v_mul_f32_e32 v41, v34, v221
	v_fmac_f32_e32 v41, v35, v220
	v_add_f32_e32 v44, v40, v41
	ds_read2_b64 v[40:43], v188 offset0:71 offset1:72
	s_waitcnt vmcnt(34) lgkmcnt(1)
	v_mul_f32_e32 v45, v36, v223
	;; [unrolled: 18-line block ×4, first 2 shown]
	v_fmac_f32_e32 v61, v53, v238
	v_add_f32_e32 v60, v60, v61
	s_waitcnt vmcnt(16)
	v_mul_f32_e32 v61, v54, v241
	v_fmac_f32_e32 v61, v55, v240
	v_add_f32_e32 v60, v60, v61
	s_waitcnt vmcnt(14) lgkmcnt(0)
	v_mul_f32_e32 v61, v56, v243
	v_fmac_f32_e32 v61, v57, v242
	v_add_f32_e32 v64, v60, v61
	ds_read2_b64 v[60:63], v188 offset0:81 offset1:82
	s_waitcnt vmcnt(12)
	v_mul_f32_e32 v65, v58, v245
	v_fmac_f32_e32 v65, v59, v244
	v_add_f32_e32 v68, v64, v65
	ds_read2_b64 v[64:67], v188 offset0:83 offset1:84
	buffer_load_dword v77, off, s[0:3], 0 offset:316
	buffer_load_dword v76, off, s[0:3], 0 offset:312
	s_waitcnt vmcnt(12) lgkmcnt(1)
	v_mul_f32_e32 v69, v60, v247
	v_fmac_f32_e32 v69, v61, v246
	v_add_f32_e32 v68, v68, v69
	s_waitcnt vmcnt(10)
	v_mul_f32_e32 v69, v62, v249
	v_fmac_f32_e32 v69, v63, v248
	v_add_f32_e32 v68, v68, v69
	s_waitcnt vmcnt(8) lgkmcnt(0)
	v_mul_f32_e32 v69, v64, v251
	v_fmac_f32_e32 v69, v65, v250
	s_waitcnt vmcnt(6)
	v_mul_f32_e32 v73, v66, v253
	v_add_f32_e32 v72, v68, v69
	v_fmac_f32_e32 v73, v67, v252
	ds_read2_b64 v[68:71], v188 offset0:85 offset1:86
	v_add_f32_e32 v173, v72, v73
	ds_read2_b64 v[72:75], v188 offset0:87 offset1:88
	buffer_load_dword v179, off, s[0:3], 0 offset:348
	buffer_load_dword v178, off, s[0:3], 0 offset:344
	;; [unrolled: 1-line block ×14, first 2 shown]
	v_mul_f32_e32 v23, v23, v172
	v_fma_f32 v22, v22, v200, -v23
	v_mul_f32_e32 v23, v25, v174
	v_add_f32_e32 v22, 0, v22
	v_fma_f32 v23, v24, v199, -v23
	v_mul_f32_e32 v19, v19, v195
	v_add_f32_e32 v22, v22, v23
	;; [unrolled: 3-line block ×7, first 2 shown]
	v_fma_f32 v7, v8, v208, -v7
	v_add_f32_e32 v6, v6, v7
	v_mul_f32_e32 v7, v11, v209
	v_fma_f32 v7, v10, v207, -v7
	v_add_f32_e32 v6, v6, v7
	v_mul_f32_e32 v7, v13, v210
	v_fma_f32 v7, v12, v206, -v7
	v_mul_f32_e32 v3, v3, v211
	v_add_f32_e32 v6, v6, v7
	v_fma_f32 v2, v2, v205, -v3
	v_mul_f32_e32 v3, v5, v213
	v_add_f32_e32 v2, v6, v2
	v_fma_f32 v3, v4, v212, -v3
	v_add_f32_e32 v2, v2, v3
	v_mul_f32_e32 v3, v29, v215
	v_fma_f32 v3, v28, v214, -v3
	v_add_f32_e32 v2, v2, v3
	v_mul_f32_e32 v3, v31, v217
	;; [unrolled: 3-line block ×20, first 2 shown]
	v_fma_f32 v3, v66, v252, -v3
	s_waitcnt vmcnt(15)
	v_mov_b32_e32 v16, v77
	s_waitcnt lgkmcnt(1)
	v_mul_f32_e32 v175, v68, v255
	v_add_f32_e32 v172, v2, v3
	v_mul_f32_e32 v2, v69, v255
	s_waitcnt lgkmcnt(0)
	v_pk_mul_f32 v[16:17], v[72:73], v[16:17] op_sel_hi:[1,0]
	v_fmac_f32_e32 v175, v69, v254
	v_mul_f32_e32 v177, v70, v78
	v_fma_f32 v174, v68, v254, -v2
	v_mul_f32_e32 v2, v71, v78
	s_waitcnt vmcnt(14)
	v_pk_fma_f32 v[18:19], v[72:73], v[76:77], v[16:17] op_sel:[0,0,1] op_sel_hi:[1,1,0] neg_lo:[0,0,1] neg_hi:[0,0,1]
	v_pk_fma_f32 v[16:17], v[72:73], v[76:77], v[16:17] op_sel:[0,0,1] op_sel_hi:[1,0,0]
	v_fmac_f32_e32 v177, v71, v1
	v_fma_f32 v176, v70, v1, -v2
	v_pk_add_f32 v[14:15], v[172:173], v[174:175]
	s_waitcnt vmcnt(7)
	v_mov_b32_e32 v16, v185
	ds_read2_b64 v[2:5], v188 offset0:89 offset1:90
	ds_read2_b64 v[6:9], v188 offset0:91 offset1:92
	;; [unrolled: 1-line block ×3, first 2 shown]
	v_pk_add_f32 v[14:15], v[14:15], v[176:177]
	v_mov_b32_e32 v19, v17
	v_pk_mul_f32 v[16:17], v[74:75], v[16:17] op_sel_hi:[1,0]
	v_pk_add_f32 v[14:15], v[14:15], v[18:19]
	s_waitcnt vmcnt(6)
	v_pk_fma_f32 v[18:19], v[74:75], v[184:185], v[16:17] op_sel:[0,0,1] op_sel_hi:[1,1,0] neg_lo:[0,0,1] neg_hi:[0,0,1]
	v_pk_fma_f32 v[16:17], v[74:75], v[184:185], v[16:17] op_sel:[0,0,1] op_sel_hi:[1,0,0]
	v_mov_b32_e32 v16, v183
	v_mov_b32_e32 v19, v17
	s_waitcnt lgkmcnt(2)
	v_pk_mul_f32 v[16:17], v[2:3], v[16:17] op_sel_hi:[1,0]
	v_pk_add_f32 v[14:15], v[14:15], v[18:19]
	v_pk_fma_f32 v[18:19], v[2:3], v[182:183], v[16:17] op_sel:[0,0,1] op_sel_hi:[1,1,0] neg_lo:[0,0,1] neg_hi:[0,0,1]
	v_pk_fma_f32 v[2:3], v[2:3], v[182:183], v[16:17] op_sel:[0,0,1] op_sel_hi:[1,0,0]
	v_mov_b32_e32 v19, v3
	v_pk_add_f32 v[2:3], v[14:15], v[18:19]
	v_mov_b32_e32 v14, v181
	v_pk_mul_f32 v[14:15], v[4:5], v[14:15] op_sel_hi:[1,0]
	v_pk_fma_f32 v[16:17], v[4:5], v[180:181], v[14:15] op_sel:[0,0,1] op_sel_hi:[1,1,0] neg_lo:[0,0,1] neg_hi:[0,0,1]
	v_pk_fma_f32 v[4:5], v[4:5], v[180:181], v[14:15] op_sel:[0,0,1] op_sel_hi:[1,0,0]
	v_mov_b32_e32 v4, v179
	v_mov_b32_e32 v17, v5
	s_waitcnt lgkmcnt(1)
	v_pk_mul_f32 v[4:5], v[6:7], v[4:5] op_sel_hi:[1,0]
	v_pk_fma_f32 v[14:15], v[6:7], v[178:179], v[4:5] op_sel:[0,0,1] op_sel_hi:[1,1,0] neg_lo:[0,0,1] neg_hi:[0,0,1]
	v_pk_fma_f32 v[4:5], v[6:7], v[178:179], v[4:5] op_sel:[0,0,1] op_sel_hi:[1,0,0]
	s_waitcnt vmcnt(1)
	v_mov_b32_e32 v4, v193
	v_mov_b32_e32 v15, v5
	v_pk_mul_f32 v[4:5], v[8:9], v[4:5] op_sel_hi:[1,0]
	s_waitcnt vmcnt(0)
	v_pk_fma_f32 v[6:7], v[8:9], v[192:193], v[4:5] op_sel:[0,0,1] op_sel_hi:[1,1,0] neg_lo:[0,0,1] neg_hi:[0,0,1]
	v_pk_fma_f32 v[4:5], v[8:9], v[192:193], v[4:5] op_sel:[0,0,1] op_sel_hi:[1,0,0]
	v_pk_add_f32 v[2:3], v[2:3], v[16:17]
	v_mov_b32_e32 v4, v191
	v_pk_add_f32 v[2:3], v[2:3], v[14:15]
	v_mov_b32_e32 v7, v5
	s_waitcnt lgkmcnt(0)
	v_pk_mul_f32 v[4:5], v[10:11], v[4:5] op_sel_hi:[1,0]
	v_pk_add_f32 v[2:3], v[2:3], v[6:7]
	v_pk_fma_f32 v[6:7], v[10:11], v[190:191], v[4:5] op_sel:[0,0,1] op_sel_hi:[1,1,0] neg_lo:[0,0,1] neg_hi:[0,0,1]
	v_pk_fma_f32 v[4:5], v[10:11], v[190:191], v[4:5] op_sel:[0,0,1] op_sel_hi:[1,0,0]
	v_mov_b32_e32 v4, v187
	v_mov_b32_e32 v7, v5
	v_pk_mul_f32 v[4:5], v[12:13], v[4:5] op_sel_hi:[1,0]
	v_pk_add_f32 v[2:3], v[2:3], v[6:7]
	v_pk_fma_f32 v[6:7], v[12:13], v[186:187], v[4:5] op_sel:[0,0,1] op_sel_hi:[1,1,0] neg_lo:[0,0,1] neg_hi:[0,0,1]
	v_pk_fma_f32 v[4:5], v[12:13], v[186:187], v[4:5] op_sel:[0,0,1] op_sel_hi:[1,0,0]
	v_mov_b32_e32 v7, v5
	v_pk_add_f32 v[2:3], v[2:3], v[6:7]
	v_pk_add_f32 v[2:3], v[26:27], v[2:3] neg_lo:[0,1] neg_hi:[0,1]
	buffer_store_dword v3, off, s[0:3], 0 offset:36
	buffer_store_dword v2, off, s[0:3], 0 offset:32
	s_and_saveexec_b64 s[4:5], vcc
	s_cbranch_execz .LBB46_289
; %bb.288:
	buffer_load_dword v2, off, s[0:3], 0 offset:24
	buffer_load_dword v3, off, s[0:3], 0 offset:28
	v_mov_b32_e32 v1, 0
	buffer_store_dword v1, off, s[0:3], 0 offset:24
	buffer_store_dword v1, off, s[0:3], 0 offset:28
	s_waitcnt vmcnt(2)
	ds_write_b64 v89, v[2:3]
.LBB46_289:
	s_or_b64 exec, exec, s[4:5]
	s_waitcnt lgkmcnt(0)
	; wave barrier
	s_waitcnt lgkmcnt(0)
	buffer_load_dword v1, off, s[0:3], 0 offset:36
	buffer_load_dword v29, off, s[0:3], 0 offset:44
	;; [unrolled: 1-line block ×56, first 2 shown]
	v_mov_b32_e32 v28, 0
	ds_read_b128 v[4:7], v28 offset:416
	ds_read_b128 v[8:11], v28 offset:432
	;; [unrolled: 1-line block ×6, first 2 shown]
	buffer_load_dword v241, off, s[0:3], 0 offset:248
	buffer_load_dword v242, off, s[0:3], 0 offset:252
	;; [unrolled: 1-line block ×16, first 2 shown]
	v_cmp_lt_u32_e32 vcc, 2, v0
	s_waitcnt vmcnt(62) lgkmcnt(5)
	v_mul_f32_e32 v30, v4, v1
	v_mul_f32_e32 v31, v6, v29
	s_waitcnt lgkmcnt(4)
	v_mul_f32_e32 v33, v10, v78
	s_waitcnt lgkmcnt(3)
	v_mul_f32_e32 v34, v12, v79
	v_mul_f32_e32 v35, v14, v172
	;; [unrolled: 1-line block ×3, first 2 shown]
	s_waitcnt lgkmcnt(2)
	v_mul_f32_e32 v36, v16, v176
	v_mul_f32_e32 v37, v18, v194
	s_waitcnt lgkmcnt(1)
	v_mul_f32_e32 v38, v20, v195
	v_fmac_f32_e32 v32, v9, v196
	s_waitcnt vmcnt(61)
	v_fmac_f32_e32 v31, v7, v197
	s_waitcnt vmcnt(60)
	v_fmac_f32_e32 v30, v5, v198
	v_add_f32_e32 v30, 0, v30
	v_add_f32_e32 v30, v30, v31
	;; [unrolled: 1-line block ×3, first 2 shown]
	s_waitcnt vmcnt(56)
	v_fmac_f32_e32 v33, v11, v202
	v_fmac_f32_e32 v34, v13, v201
	v_add_f32_e32 v30, v30, v33
	v_fmac_f32_e32 v35, v15, v200
	v_add_f32_e32 v30, v30, v34
	;; [unrolled: 2-line block ×3, first 2 shown]
	s_waitcnt vmcnt(52)
	v_fmac_f32_e32 v37, v19, v206
	v_add_f32_e32 v30, v30, v36
	v_add_f32_e32 v30, v30, v37
	v_fmac_f32_e32 v38, v21, v205
	s_waitcnt vmcnt(51)
	v_mul_f32_e32 v31, v22, v207
	v_add_f32_e32 v30, v30, v38
	v_fmac_f32_e32 v31, v23, v204
	v_add_f32_e32 v30, v30, v31
	s_waitcnt vmcnt(50) lgkmcnt(0)
	v_mul_f32_e32 v31, v24, v208
	v_fmac_f32_e32 v31, v25, v203
	v_add_f32_e32 v34, v30, v31
	ds_read_b128 v[30:33], v28 offset:512
	s_waitcnt vmcnt(46)
	v_mul_f32_e32 v35, v26, v210
	v_fmac_f32_e32 v35, v27, v209
	v_add_f32_e32 v38, v34, v35
	ds_read_b128 v[34:37], v28 offset:528
	s_waitcnt vmcnt(44) lgkmcnt(1)
	v_mul_f32_e32 v39, v30, v212
	v_fmac_f32_e32 v39, v31, v211
	v_add_f32_e32 v38, v38, v39
	s_waitcnt vmcnt(42)
	v_mul_f32_e32 v39, v32, v214
	v_fmac_f32_e32 v39, v33, v213
	v_add_f32_e32 v38, v38, v39
	s_waitcnt vmcnt(40) lgkmcnt(0)
	v_mul_f32_e32 v39, v34, v216
	v_fmac_f32_e32 v39, v35, v215
	v_add_f32_e32 v42, v38, v39
	ds_read_b128 v[38:41], v28 offset:544
	s_waitcnt vmcnt(38)
	v_mul_f32_e32 v43, v36, v218
	v_fmac_f32_e32 v43, v37, v217
	v_add_f32_e32 v46, v42, v43
	ds_read_b128 v[42:45], v28 offset:560
	s_waitcnt vmcnt(36) lgkmcnt(1)
	v_mul_f32_e32 v47, v38, v220
	v_fmac_f32_e32 v47, v39, v219
	v_add_f32_e32 v46, v46, v47
	s_waitcnt vmcnt(34)
	v_mul_f32_e32 v47, v40, v222
	;; [unrolled: 18-line block ×5, first 2 shown]
	v_fmac_f32_e32 v71, v65, v245
	v_add_f32_e32 v70, v70, v71
	s_waitcnt vmcnt(8) lgkmcnt(0)
	v_mul_f32_e32 v71, v66, v248
	v_fmac_f32_e32 v71, v67, v247
	s_waitcnt vmcnt(6)
	v_mul_f32_e32 v75, v68, v250
	v_add_f32_e32 v74, v70, v71
	v_fmac_f32_e32 v75, v69, v249
	ds_read_b128 v[70:73], v28 offset:672
	v_add_f32_e32 v81, v74, v75
	ds_read_b128 v[74:77], v28 offset:688
	buffer_load_dword v179, off, s[0:3], 0 offset:340
	buffer_load_dword v178, off, s[0:3], 0 offset:336
	buffer_load_dword v181, off, s[0:3], 0 offset:332
	buffer_load_dword v180, off, s[0:3], 0 offset:328
	buffer_load_dword v183, off, s[0:3], 0 offset:324
	buffer_load_dword v182, off, s[0:3], 0 offset:320
	buffer_load_dword v185, off, s[0:3], 0 offset:316
	buffer_load_dword v184, off, s[0:3], 0 offset:312
	buffer_load_dword v187, off, s[0:3], 0 offset:372
	buffer_load_dword v186, off, s[0:3], 0 offset:368
	buffer_load_dword v189, off, s[0:3], 0 offset:364
	buffer_load_dword v188, off, s[0:3], 0 offset:360
	buffer_load_dword v191, off, s[0:3], 0 offset:356
	buffer_load_dword v190, off, s[0:3], 0 offset:352
	buffer_load_dword v193, off, s[0:3], 0 offset:348
	buffer_load_dword v192, off, s[0:3], 0 offset:344
	v_mul_f32_e32 v1, v5, v1
	v_fma_f32 v1, v4, v198, -v1
	v_mul_f32_e32 v4, v7, v29
	v_add_f32_e32 v1, 0, v1
	v_fma_f32 v4, v6, v197, -v4
	v_add_f32_e32 v1, v1, v4
	v_mul_f32_e32 v4, v9, v174
	v_fma_f32 v4, v8, v196, -v4
	v_add_f32_e32 v1, v1, v4
	v_mul_f32_e32 v4, v11, v78
	;; [unrolled: 3-line block ×30, first 2 shown]
	v_fma_f32 v4, v68, v249, -v4
	v_add_f32_e32 v1, v1, v4
	s_waitcnt vmcnt(20) lgkmcnt(1)
	v_mul_f32_e32 v4, v71, v252
	v_mul_f32_e32 v173, v70, v252
	v_fma_f32 v4, v70, v251, -v4
	s_waitcnt vmcnt(9)
	v_mov_b32_e32 v20, v185
	v_fmac_f32_e32 v173, v71, v251
	v_mul_f32_e32 v175, v72, v254
	v_add_f32_e32 v172, v1, v4
	v_mul_f32_e32 v1, v73, v254
	s_waitcnt lgkmcnt(0)
	v_pk_mul_f32 v[20:21], v[76:77], v[20:21] op_sel_hi:[1,0]
	v_add_f32_e32 v173, v81, v173
	v_fmac_f32_e32 v175, v73, v253
	v_mul_f32_e32 v177, v74, v80
	v_fma_f32 v174, v72, v253, -v1
	v_mul_f32_e32 v1, v75, v80
	ds_read_b128 v[4:7], v28 offset:704
	ds_read_b128 v[8:11], v28 offset:720
	;; [unrolled: 1-line block ×3, first 2 shown]
	ds_read_b64 v[16:17], v28 offset:752
	s_waitcnt vmcnt(8)
	v_pk_fma_f32 v[22:23], v[76:77], v[184:185], v[20:21] op_sel:[0,0,1] op_sel_hi:[1,1,0] neg_lo:[0,0,1] neg_hi:[0,0,1]
	v_pk_fma_f32 v[20:21], v[76:77], v[184:185], v[20:21] op_sel:[0,0,1] op_sel_hi:[1,0,0]
	v_fmac_f32_e32 v177, v75, v255
	v_fma_f32 v176, v74, v255, -v1
	v_pk_add_f32 v[18:19], v[172:173], v[174:175]
	v_mov_b32_e32 v20, v183
	v_pk_add_f32 v[18:19], v[18:19], v[176:177]
	v_mov_b32_e32 v23, v21
	s_waitcnt lgkmcnt(3)
	v_pk_mul_f32 v[20:21], v[4:5], v[20:21] op_sel_hi:[1,0]
	v_pk_add_f32 v[18:19], v[18:19], v[22:23]
	v_pk_fma_f32 v[22:23], v[4:5], v[182:183], v[20:21] op_sel:[0,0,1] op_sel_hi:[1,1,0] neg_lo:[0,0,1] neg_hi:[0,0,1]
	v_pk_fma_f32 v[4:5], v[4:5], v[182:183], v[20:21] op_sel:[0,0,1] op_sel_hi:[1,0,0]
	v_mov_b32_e32 v23, v5
	v_pk_add_f32 v[4:5], v[18:19], v[22:23]
	v_mov_b32_e32 v18, v181
	v_pk_mul_f32 v[18:19], v[6:7], v[18:19] op_sel_hi:[1,0]
	v_pk_fma_f32 v[20:21], v[6:7], v[180:181], v[18:19] op_sel:[0,0,1] op_sel_hi:[1,1,0] neg_lo:[0,0,1] neg_hi:[0,0,1]
	v_pk_fma_f32 v[6:7], v[6:7], v[180:181], v[18:19] op_sel:[0,0,1] op_sel_hi:[1,0,0]
	v_mov_b32_e32 v6, v179
	v_mov_b32_e32 v21, v7
	s_waitcnt lgkmcnt(2)
	v_pk_mul_f32 v[6:7], v[8:9], v[6:7] op_sel_hi:[1,0]
	v_pk_fma_f32 v[18:19], v[8:9], v[178:179], v[6:7] op_sel:[0,0,1] op_sel_hi:[1,1,0] neg_lo:[0,0,1] neg_hi:[0,0,1]
	v_pk_fma_f32 v[6:7], v[8:9], v[178:179], v[6:7] op_sel:[0,0,1] op_sel_hi:[1,0,0]
	s_waitcnt vmcnt(1)
	v_mov_b32_e32 v6, v193
	v_mov_b32_e32 v19, v7
	v_pk_mul_f32 v[6:7], v[10:11], v[6:7] op_sel_hi:[1,0]
	s_waitcnt vmcnt(0)
	v_pk_fma_f32 v[8:9], v[10:11], v[192:193], v[6:7] op_sel:[0,0,1] op_sel_hi:[1,1,0] neg_lo:[0,0,1] neg_hi:[0,0,1]
	v_pk_fma_f32 v[6:7], v[10:11], v[192:193], v[6:7] op_sel:[0,0,1] op_sel_hi:[1,0,0]
	v_pk_add_f32 v[4:5], v[4:5], v[20:21]
	v_mov_b32_e32 v6, v191
	v_pk_add_f32 v[4:5], v[4:5], v[18:19]
	v_mov_b32_e32 v9, v7
	s_waitcnt lgkmcnt(1)
	v_pk_mul_f32 v[6:7], v[12:13], v[6:7] op_sel_hi:[1,0]
	v_pk_add_f32 v[4:5], v[4:5], v[8:9]
	v_pk_fma_f32 v[8:9], v[12:13], v[190:191], v[6:7] op_sel:[0,0,1] op_sel_hi:[1,1,0] neg_lo:[0,0,1] neg_hi:[0,0,1]
	v_pk_fma_f32 v[6:7], v[12:13], v[190:191], v[6:7] op_sel:[0,0,1] op_sel_hi:[1,0,0]
	v_mov_b32_e32 v6, v189
	v_mov_b32_e32 v9, v7
	v_pk_mul_f32 v[6:7], v[14:15], v[6:7] op_sel_hi:[1,0]
	v_pk_add_f32 v[4:5], v[4:5], v[8:9]
	v_pk_fma_f32 v[8:9], v[14:15], v[188:189], v[6:7] op_sel:[0,0,1] op_sel_hi:[1,1,0] neg_lo:[0,0,1] neg_hi:[0,0,1]
	v_pk_fma_f32 v[6:7], v[14:15], v[188:189], v[6:7] op_sel:[0,0,1] op_sel_hi:[1,0,0]
	v_mov_b32_e32 v6, v187
	v_mov_b32_e32 v9, v7
	s_waitcnt lgkmcnt(0)
	v_pk_mul_f32 v[6:7], v[16:17], v[6:7] op_sel_hi:[1,0]
	v_pk_add_f32 v[4:5], v[4:5], v[8:9]
	v_pk_fma_f32 v[8:9], v[16:17], v[186:187], v[6:7] op_sel:[0,0,1] op_sel_hi:[1,1,0] neg_lo:[0,0,1] neg_hi:[0,0,1]
	v_pk_fma_f32 v[6:7], v[16:17], v[186:187], v[6:7] op_sel:[0,0,1] op_sel_hi:[1,0,0]
	v_mov_b32_e32 v9, v7
	v_pk_add_f32 v[4:5], v[4:5], v[8:9]
	v_pk_add_f32 v[2:3], v[2:3], v[4:5] neg_lo:[0,1] neg_hi:[0,1]
	buffer_store_dword v3, off, s[0:3], 0 offset:28
	buffer_store_dword v2, off, s[0:3], 0 offset:24
	s_and_saveexec_b64 s[4:5], vcc
	s_cbranch_execz .LBB46_291
; %bb.290:
	buffer_load_dword v2, off, s[0:3], 0 offset:16
	buffer_load_dword v3, off, s[0:3], 0 offset:20
	s_waitcnt vmcnt(0)
	ds_write_b64 v89, v[2:3]
	buffer_store_dword v28, off, s[0:3], 0 offset:16
	buffer_store_dword v28, off, s[0:3], 0 offset:20
.LBB46_291:
	s_or_b64 exec, exec, s[4:5]
	s_waitcnt lgkmcnt(0)
	; wave barrier
	s_waitcnt lgkmcnt(0)
	buffer_load_dword v1, off, s[0:3], 0 offset:28
	buffer_load_dword v29, off, s[0:3], 0 offset:36
	buffer_load_dword v78, off, s[0:3], 0 offset:52
	buffer_load_dword v79, off, s[0:3], 0 offset:60
	buffer_load_dword v80, off, s[0:3], 0 offset:68
	buffer_load_dword v81, off, s[0:3], 0 offset:44
	buffer_load_dword v172, off, s[0:3], 0 offset:76
	buffer_load_dword v174, off, s[0:3], 0 offset:84
	buffer_load_dword v182, off, s[0:3], 0 offset:92
	buffer_load_dword v194, off, s[0:3], 0 offset:40
	buffer_load_dword v195, off, s[0:3], 0 offset:32
	buffer_load_dword v196, off, s[0:3], 0 offset:24
	buffer_load_dword v197, off, s[0:3], 0 offset:72
	buffer_load_dword v198, off, s[0:3], 0 offset:64
	buffer_load_dword v199, off, s[0:3], 0 offset:56
	buffer_load_dword v200, off, s[0:3], 0 offset:48
	buffer_load_dword v201, off, s[0:3], 0 offset:104
	buffer_load_dword v202, off, s[0:3], 0 offset:96
	buffer_load_dword v203, off, s[0:3], 0 offset:88
	buffer_load_dword v204, off, s[0:3], 0 offset:80
	buffer_load_dword v205, off, s[0:3], 0 offset:100
	buffer_load_dword v206, off, s[0:3], 0 offset:108
	buffer_load_dword v26, off, s[0:3], 0 offset:16
	buffer_load_dword v27, off, s[0:3], 0 offset:20
	buffer_load_dword v207, off, s[0:3], 0 offset:112
	buffer_load_dword v208, off, s[0:3], 0 offset:116
	ds_read2_b64 v[22:25], v28 offset0:51 offset1:52
	ds_read2_b64 v[18:21], v28 offset0:53 offset1:54
	;; [unrolled: 1-line block ×6, first 2 shown]
	buffer_load_dword v209, off, s[0:3], 0 offset:120
	buffer_load_dword v210, off, s[0:3], 0 offset:124
	;; [unrolled: 1-line block ×42, first 2 shown]
	v_cmp_lt_u32_e32 vcc, 1, v0
	s_waitcnt vmcnt(62) lgkmcnt(5)
	v_mul_f32_e32 v30, v22, v1
	v_mul_f32_e32 v31, v24, v29
	s_waitcnt lgkmcnt(4)
	v_mul_f32_e32 v33, v20, v78
	s_waitcnt lgkmcnt(3)
	v_mul_f32_e32 v34, v14, v79
	v_mul_f32_e32 v35, v16, v80
	;; [unrolled: 1-line block ×3, first 2 shown]
	s_waitcnt vmcnt(61) lgkmcnt(2)
	v_mul_f32_e32 v36, v10, v172
	s_waitcnt vmcnt(60)
	v_mul_f32_e32 v37, v12, v174
	s_waitcnt vmcnt(59) lgkmcnt(1)
	v_mul_f32_e32 v38, v6, v182
	s_waitcnt vmcnt(58)
	v_fmac_f32_e32 v32, v19, v194
	s_waitcnt vmcnt(57)
	v_fmac_f32_e32 v31, v25, v195
	;; [unrolled: 2-line block ×3, first 2 shown]
	v_add_f32_e32 v30, 0, v30
	v_add_f32_e32 v30, v30, v31
	;; [unrolled: 1-line block ×3, first 2 shown]
	s_waitcnt vmcnt(52)
	v_fmac_f32_e32 v33, v21, v200
	v_fmac_f32_e32 v34, v15, v199
	v_add_f32_e32 v30, v30, v33
	v_fmac_f32_e32 v35, v17, v198
	v_add_f32_e32 v30, v30, v34
	;; [unrolled: 2-line block ×3, first 2 shown]
	s_waitcnt vmcnt(48)
	v_fmac_f32_e32 v37, v13, v204
	v_add_f32_e32 v30, v30, v36
	v_fmac_f32_e32 v38, v7, v203
	v_add_f32_e32 v30, v30, v37
	s_waitcnt vmcnt(47)
	v_mul_f32_e32 v31, v8, v205
	v_add_f32_e32 v30, v30, v38
	v_fmac_f32_e32 v31, v9, v202
	v_add_f32_e32 v30, v30, v31
	s_waitcnt vmcnt(46) lgkmcnt(0)
	v_mul_f32_e32 v31, v2, v206
	v_fmac_f32_e32 v31, v3, v201
	v_add_f32_e32 v34, v30, v31
	ds_read2_b64 v[30:33], v28 offset0:63 offset1:64
	s_waitcnt vmcnt(42)
	v_mul_f32_e32 v35, v4, v208
	v_fmac_f32_e32 v35, v5, v207
	buffer_load_dword v251, off, s[0:3], 0 offset:288
	buffer_load_dword v252, off, s[0:3], 0 offset:292
	v_add_f32_e32 v38, v34, v35
	buffer_load_dword v253, off, s[0:3], 0 offset:296
	buffer_load_dword v254, off, s[0:3], 0 offset:300
	ds_read2_b64 v[34:37], v28 offset0:65 offset1:66
	s_waitcnt vmcnt(44) lgkmcnt(1)
	v_mul_f32_e32 v39, v30, v210
	v_fmac_f32_e32 v39, v31, v209
	v_add_f32_e32 v38, v38, v39
	s_waitcnt vmcnt(42)
	v_mul_f32_e32 v39, v32, v212
	v_fmac_f32_e32 v39, v33, v211
	v_add_f32_e32 v38, v38, v39
	s_waitcnt vmcnt(40) lgkmcnt(0)
	v_mul_f32_e32 v39, v34, v214
	v_fmac_f32_e32 v39, v35, v213
	buffer_load_dword v255, off, s[0:3], 0 offset:304
	buffer_load_dword v82, off, s[0:3], 0 offset:308
	v_add_f32_e32 v42, v38, v39
	ds_read2_b64 v[38:41], v28 offset0:67 offset1:68
	s_waitcnt vmcnt(40)
	v_mul_f32_e32 v43, v36, v216
	v_fmac_f32_e32 v43, v37, v215
	v_add_f32_e32 v46, v42, v43
	ds_read2_b64 v[42:45], v28 offset0:69 offset1:70
	s_waitcnt vmcnt(38) lgkmcnt(1)
	v_mul_f32_e32 v47, v38, v218
	v_fmac_f32_e32 v47, v39, v217
	v_add_f32_e32 v46, v46, v47
	s_waitcnt vmcnt(36)
	v_mul_f32_e32 v47, v40, v220
	v_fmac_f32_e32 v47, v41, v219
	v_add_f32_e32 v46, v46, v47
	s_waitcnt vmcnt(34) lgkmcnt(0)
	v_mul_f32_e32 v47, v42, v222
	v_fmac_f32_e32 v47, v43, v221
	v_add_f32_e32 v50, v46, v47
	ds_read2_b64 v[46:49], v28 offset0:71 offset1:72
	s_waitcnt vmcnt(32)
	v_mul_f32_e32 v51, v44, v224
	v_fmac_f32_e32 v51, v45, v223
	v_add_f32_e32 v54, v50, v51
	ds_read2_b64 v[50:53], v28 offset0:73 offset1:74
	s_waitcnt vmcnt(30) lgkmcnt(1)
	v_mul_f32_e32 v55, v46, v226
	v_fmac_f32_e32 v55, v47, v225
	v_add_f32_e32 v54, v54, v55
	s_waitcnt vmcnt(28)
	v_mul_f32_e32 v55, v48, v228
	v_fmac_f32_e32 v55, v49, v227
	v_add_f32_e32 v54, v54, v55
	s_waitcnt vmcnt(26) lgkmcnt(0)
	v_mul_f32_e32 v55, v50, v230
	v_fmac_f32_e32 v55, v51, v229
	;; [unrolled: 18-line block ×4, first 2 shown]
	s_waitcnt vmcnt(8)
	v_mul_f32_e32 v75, v68, v248
	v_add_f32_e32 v74, v70, v71
	v_fmac_f32_e32 v75, v69, v247
	ds_read2_b64 v[70:73], v28 offset0:83 offset1:84
	v_add_f32_e32 v83, v74, v75
	ds_read2_b64 v[74:77], v28 offset0:85 offset1:86
	buffer_load_dword v177, off, s[0:3], 0 offset:332
	buffer_load_dword v176, off, s[0:3], 0 offset:328
	;; [unrolled: 1-line block ×16, first 2 shown]
	v_mul_f32_e32 v1, v23, v1
	v_fma_f32 v1, v22, v196, -v1
	v_mul_f32_e32 v22, v25, v29
	v_add_f32_e32 v1, 0, v1
	v_fma_f32 v22, v24, v195, -v22
	v_mul_f32_e32 v19, v19, v81
	v_add_f32_e32 v1, v1, v22
	v_fma_f32 v18, v18, v194, -v19
	v_add_f32_e32 v1, v1, v18
	v_mul_f32_e32 v18, v21, v78
	v_fma_f32 v18, v20, v200, -v18
	v_mul_f32_e32 v15, v15, v79
	v_add_f32_e32 v1, v1, v18
	v_fma_f32 v14, v14, v199, -v15
	v_add_f32_e32 v1, v1, v14
	v_mul_f32_e32 v14, v17, v80
	;; [unrolled: 6-line block ×5, first 2 shown]
	v_fma_f32 v2, v4, v207, -v2
	v_add_f32_e32 v1, v1, v2
	v_mul_f32_e32 v2, v31, v210
	v_fma_f32 v2, v30, v209, -v2
	v_add_f32_e32 v1, v1, v2
	v_mul_f32_e32 v2, v33, v212
	;; [unrolled: 3-line block ×20, first 2 shown]
	v_fma_f32 v2, v68, v247, -v2
	v_add_f32_e32 v1, v1, v2
	s_waitcnt vmcnt(22) lgkmcnt(1)
	v_mul_f32_e32 v2, v71, v250
	v_fma_f32 v2, v70, v249, -v2
	v_mul_f32_e32 v173, v70, v250
	v_add_f32_e32 v1, v1, v2
	s_waitcnt vmcnt(20)
	v_mul_f32_e32 v2, v73, v252
	v_fmac_f32_e32 v173, v71, v249
	v_fma_f32 v2, v72, v251, -v2
	v_add_f32_e32 v83, v83, v173
	v_mul_f32_e32 v173, v72, v252
	v_add_f32_e32 v172, v1, v2
	ds_read2_b64 v[2:5], v28 offset0:87 offset1:88
	ds_read2_b64 v[6:9], v28 offset0:89 offset1:90
	;; [unrolled: 1-line block ×4, first 2 shown]
	v_fmac_f32_e32 v173, v73, v251
	s_waitcnt vmcnt(18) lgkmcnt(4)
	v_mul_f32_e32 v175, v74, v254
	v_mul_f32_e32 v1, v75, v254
	s_waitcnt vmcnt(11)
	v_mov_b32_e32 v20, v181
	v_add_f32_e32 v173, v83, v173
	v_fmac_f32_e32 v175, v75, v253
	v_mul_f32_e32 v183, v76, v82
	v_fma_f32 v174, v74, v253, -v1
	v_mul_f32_e32 v1, v77, v82
	s_waitcnt lgkmcnt(3)
	v_pk_mul_f32 v[20:21], v[2:3], v[20:21] op_sel_hi:[1,0]
	v_fmac_f32_e32 v183, v77, v255
	v_fma_f32 v182, v76, v255, -v1
	v_pk_add_f32 v[18:19], v[172:173], v[174:175]
	s_waitcnt vmcnt(10)
	v_pk_fma_f32 v[22:23], v[2:3], v[180:181], v[20:21] op_sel:[0,0,1] op_sel_hi:[1,1,0] neg_lo:[0,0,1] neg_hi:[0,0,1]
	v_pk_fma_f32 v[2:3], v[2:3], v[180:181], v[20:21] op_sel:[0,0,1] op_sel_hi:[1,0,0]
	v_pk_add_f32 v[18:19], v[18:19], v[182:183]
	v_mov_b32_e32 v23, v3
	v_pk_add_f32 v[2:3], v[18:19], v[22:23]
	v_mov_b32_e32 v18, v179
	v_pk_mul_f32 v[18:19], v[4:5], v[18:19] op_sel_hi:[1,0]
	v_pk_fma_f32 v[20:21], v[4:5], v[178:179], v[18:19] op_sel:[0,0,1] op_sel_hi:[1,1,0] neg_lo:[0,0,1] neg_hi:[0,0,1]
	v_pk_fma_f32 v[4:5], v[4:5], v[178:179], v[18:19] op_sel:[0,0,1] op_sel_hi:[1,0,0]
	v_mov_b32_e32 v4, v177
	v_mov_b32_e32 v21, v5
	s_waitcnt lgkmcnt(2)
	v_pk_mul_f32 v[4:5], v[6:7], v[4:5] op_sel_hi:[1,0]
	v_pk_fma_f32 v[18:19], v[6:7], v[176:177], v[4:5] op_sel:[0,0,1] op_sel_hi:[1,1,0] neg_lo:[0,0,1] neg_hi:[0,0,1]
	v_pk_fma_f32 v[4:5], v[6:7], v[176:177], v[4:5] op_sel:[0,0,1] op_sel_hi:[1,0,0]
	s_waitcnt vmcnt(3)
	v_mov_b32_e32 v4, v191
	v_mov_b32_e32 v19, v5
	v_pk_mul_f32 v[4:5], v[8:9], v[4:5] op_sel_hi:[1,0]
	s_waitcnt vmcnt(2)
	v_pk_fma_f32 v[6:7], v[8:9], v[190:191], v[4:5] op_sel:[0,0,1] op_sel_hi:[1,1,0] neg_lo:[0,0,1] neg_hi:[0,0,1]
	v_pk_fma_f32 v[4:5], v[8:9], v[190:191], v[4:5] op_sel:[0,0,1] op_sel_hi:[1,0,0]
	v_pk_add_f32 v[2:3], v[2:3], v[20:21]
	v_mov_b32_e32 v4, v189
	v_pk_add_f32 v[2:3], v[2:3], v[18:19]
	v_mov_b32_e32 v7, v5
	s_waitcnt lgkmcnt(1)
	v_pk_mul_f32 v[4:5], v[10:11], v[4:5] op_sel_hi:[1,0]
	v_pk_add_f32 v[2:3], v[2:3], v[6:7]
	v_pk_fma_f32 v[6:7], v[10:11], v[188:189], v[4:5] op_sel:[0,0,1] op_sel_hi:[1,1,0] neg_lo:[0,0,1] neg_hi:[0,0,1]
	v_pk_fma_f32 v[4:5], v[10:11], v[188:189], v[4:5] op_sel:[0,0,1] op_sel_hi:[1,0,0]
	v_mov_b32_e32 v4, v187
	v_mov_b32_e32 v7, v5
	v_pk_mul_f32 v[4:5], v[12:13], v[4:5] op_sel_hi:[1,0]
	v_pk_add_f32 v[2:3], v[2:3], v[6:7]
	v_pk_fma_f32 v[6:7], v[12:13], v[186:187], v[4:5] op_sel:[0,0,1] op_sel_hi:[1,1,0] neg_lo:[0,0,1] neg_hi:[0,0,1]
	v_pk_fma_f32 v[4:5], v[12:13], v[186:187], v[4:5] op_sel:[0,0,1] op_sel_hi:[1,0,0]
	v_mov_b32_e32 v4, v185
	v_mov_b32_e32 v7, v5
	s_waitcnt lgkmcnt(0)
	v_pk_mul_f32 v[4:5], v[14:15], v[4:5] op_sel_hi:[1,0]
	v_pk_add_f32 v[2:3], v[2:3], v[6:7]
	v_pk_fma_f32 v[6:7], v[14:15], v[184:185], v[4:5] op_sel:[0,0,1] op_sel_hi:[1,1,0] neg_lo:[0,0,1] neg_hi:[0,0,1]
	v_pk_fma_f32 v[4:5], v[14:15], v[184:185], v[4:5] op_sel:[0,0,1] op_sel_hi:[1,0,0]
	s_waitcnt vmcnt(1)
	v_mov_b32_e32 v4, v193
	v_mov_b32_e32 v7, v5
	v_pk_mul_f32 v[4:5], v[16:17], v[4:5] op_sel_hi:[1,0]
	v_pk_add_f32 v[2:3], v[2:3], v[6:7]
	s_waitcnt vmcnt(0)
	v_pk_fma_f32 v[6:7], v[16:17], v[192:193], v[4:5] op_sel:[0,0,1] op_sel_hi:[1,1,0] neg_lo:[0,0,1] neg_hi:[0,0,1]
	v_pk_fma_f32 v[4:5], v[16:17], v[192:193], v[4:5] op_sel:[0,0,1] op_sel_hi:[1,0,0]
	v_mov_b32_e32 v7, v5
	v_pk_add_f32 v[2:3], v[2:3], v[6:7]
	v_pk_add_f32 v[2:3], v[26:27], v[2:3] neg_lo:[0,1] neg_hi:[0,1]
	buffer_store_dword v3, off, s[0:3], 0 offset:20
	buffer_store_dword v2, off, s[0:3], 0 offset:16
	s_and_saveexec_b64 s[4:5], vcc
	s_cbranch_execz .LBB46_293
; %bb.292:
	buffer_load_dword v2, off, s[0:3], 0 offset:8
	buffer_load_dword v3, off, s[0:3], 0 offset:12
	v_mov_b32_e32 v1, 0
	buffer_store_dword v1, off, s[0:3], 0 offset:8
	buffer_store_dword v1, off, s[0:3], 0 offset:12
	s_waitcnt vmcnt(2)
	ds_write_b64 v89, v[2:3]
.LBB46_293:
	s_or_b64 exec, exec, s[4:5]
	v_mov_b32_e32 v196, 0
	s_waitcnt lgkmcnt(0)
	; wave barrier
	s_waitcnt lgkmcnt(0)
	ds_read_b128 v[14:17], v196 offset:400
	ds_read_b128 v[10:13], v196 offset:416
	ds_read_b128 v[6:9], v196 offset:432
	ds_read_b128 v[2:5], v196 offset:448
	buffer_load_dword v172, off, s[0:3], 0 offset:8
	buffer_load_dword v173, off, s[0:3], 0 offset:12
	;; [unrolled: 1-line block ×18, first 2 shown]
	v_cmp_ne_u32_e32 vcc, 0, v0
	s_waitcnt vmcnt(14) lgkmcnt(3)
	v_mul_f32_e32 v1, v14, v197
	v_fmac_f32_e32 v1, v15, v174
	s_waitcnt vmcnt(12)
	v_mul_f32_e32 v18, v16, v199
	v_add_f32_e32 v1, 0, v1
	v_fmac_f32_e32 v18, v17, v176
	v_add_f32_e32 v1, v1, v18
	s_waitcnt vmcnt(10) lgkmcnt(2)
	v_mul_f32_e32 v18, v10, v201
	v_fmac_f32_e32 v18, v11, v180
	v_add_f32_e32 v1, v1, v18
	s_waitcnt vmcnt(8)
	v_mul_f32_e32 v18, v12, v203
	v_fmac_f32_e32 v18, v13, v198
	v_add_f32_e32 v1, v1, v18
	s_waitcnt vmcnt(6) lgkmcnt(1)
	v_mul_f32_e32 v18, v6, v205
	v_fmac_f32_e32 v18, v7, v200
	v_add_f32_e32 v1, v1, v18
	s_waitcnt vmcnt(4)
	v_mul_f32_e32 v18, v8, v206
	;; [unrolled: 8-line block ×3, first 2 shown]
	v_fmac_f32_e32 v18, v5, v208
	v_add_f32_e32 v1, v1, v18
	ds_read_b128 v[18:21], v196 offset:464
	buffer_load_dword v210, off, s[0:3], 0 offset:80
	buffer_load_dword v211, off, s[0:3], 0 offset:84
	;; [unrolled: 1-line block ×4, first 2 shown]
	v_mul_f32_e32 v15, v15, v197
	v_fma_f32 v14, v14, v174, -v15
	v_mul_f32_e32 v15, v17, v199
	v_add_f32_e32 v14, 0, v14
	v_fma_f32 v15, v16, v176, -v15
	v_mul_f32_e32 v11, v11, v201
	v_add_f32_e32 v14, v14, v15
	v_fma_f32 v10, v10, v180, -v11
	v_mul_f32_e32 v11, v13, v203
	v_add_f32_e32 v10, v14, v10
	v_fma_f32 v11, v12, v198, -v11
	v_mul_f32_e32 v7, v7, v205
	v_add_f32_e32 v10, v10, v11
	v_fma_f32 v6, v6, v200, -v7
	v_mul_f32_e32 v7, v9, v206
	v_add_f32_e32 v6, v10, v6
	v_fma_f32 v7, v8, v202, -v7
	v_mul_f32_e32 v3, v3, v207
	v_add_f32_e32 v6, v6, v7
	v_fma_f32 v2, v2, v204, -v3
	v_mul_f32_e32 v3, v5, v209
	v_add_f32_e32 v2, v6, v2
	v_fma_f32 v3, v4, v208, -v3
	v_add_f32_e32 v2, v2, v3
	s_waitcnt vmcnt(2) lgkmcnt(0)
	v_mul_f32_e32 v22, v18, v211
	v_fmac_f32_e32 v22, v19, v210
	v_add_f32_e32 v1, v1, v22
	s_waitcnt vmcnt(0)
	v_mul_f32_e32 v22, v20, v213
	v_fmac_f32_e32 v22, v21, v212
	v_add_f32_e32 v1, v1, v22
	ds_read_b128 v[22:25], v196 offset:480
	buffer_load_dword v214, off, s[0:3], 0 offset:96
	buffer_load_dword v215, off, s[0:3], 0 offset:100
	buffer_load_dword v216, off, s[0:3], 0 offset:104
	buffer_load_dword v217, off, s[0:3], 0 offset:108
	ds_read_b128 v[30:33], v196 offset:496
	buffer_load_dword v218, off, s[0:3], 0 offset:112
	buffer_load_dword v219, off, s[0:3], 0 offset:116
	buffer_load_dword v220, off, s[0:3], 0 offset:120
	buffer_load_dword v221, off, s[0:3], 0 offset:124
	;; [unrolled: 5-line block ×12, first 2 shown]
	ds_read_b128 v[74:77], v196 offset:672
	buffer_load_dword v84, off, s[0:3], 0 offset:288
	buffer_load_dword v85, off, s[0:3], 0 offset:292
	v_mul_f32_e32 v3, v19, v211
	v_fma_f32 v3, v18, v210, -v3
	v_add_f32_e32 v2, v2, v3
	v_mul_f32_e32 v3, v21, v213
	v_fma_f32 v3, v20, v212, -v3
	v_add_f32_e32 v2, v2, v3
	s_waitcnt vmcnt(48) lgkmcnt(12)
	v_mul_f32_e32 v26, v22, v215
	v_fmac_f32_e32 v26, v23, v214
	v_add_f32_e32 v1, v1, v26
	s_waitcnt vmcnt(46)
	v_mul_f32_e32 v26, v24, v217
	v_fmac_f32_e32 v26, v25, v216
	v_add_f32_e32 v1, v1, v26
	s_waitcnt vmcnt(44) lgkmcnt(11)
	v_mul_f32_e32 v26, v30, v219
	v_fmac_f32_e32 v26, v31, v218
	v_add_f32_e32 v1, v1, v26
	s_waitcnt vmcnt(42)
	v_mul_f32_e32 v26, v32, v221
	v_fmac_f32_e32 v26, v33, v220
	v_add_f32_e32 v1, v1, v26
	s_waitcnt vmcnt(40) lgkmcnt(10)
	v_mul_f32_e32 v26, v34, v223
	v_fmac_f32_e32 v26, v35, v222
	v_add_f32_e32 v1, v1, v26
	s_waitcnt vmcnt(38)
	v_mul_f32_e32 v26, v36, v225
	v_fmac_f32_e32 v26, v37, v224
	v_add_f32_e32 v1, v1, v26
	s_waitcnt vmcnt(36) lgkmcnt(9)
	v_mul_f32_e32 v26, v38, v227
	v_fmac_f32_e32 v26, v39, v226
	v_add_f32_e32 v1, v1, v26
	s_waitcnt vmcnt(34)
	v_mul_f32_e32 v26, v40, v229
	v_fmac_f32_e32 v26, v41, v228
	v_add_f32_e32 v1, v1, v26
	s_waitcnt vmcnt(32) lgkmcnt(8)
	v_mul_f32_e32 v26, v42, v231
	v_fmac_f32_e32 v26, v43, v230
	v_add_f32_e32 v1, v1, v26
	s_waitcnt vmcnt(30)
	v_mul_f32_e32 v26, v44, v233
	v_fmac_f32_e32 v26, v45, v232
	v_add_f32_e32 v1, v1, v26
	s_waitcnt vmcnt(28) lgkmcnt(7)
	v_mul_f32_e32 v26, v46, v235
	v_fmac_f32_e32 v26, v47, v234
	v_add_f32_e32 v1, v1, v26
	s_waitcnt vmcnt(26)
	v_mul_f32_e32 v26, v48, v237
	v_fmac_f32_e32 v26, v49, v236
	v_add_f32_e32 v1, v1, v26
	s_waitcnt vmcnt(24) lgkmcnt(6)
	v_mul_f32_e32 v26, v50, v239
	v_fmac_f32_e32 v26, v51, v238
	v_add_f32_e32 v1, v1, v26
	s_waitcnt vmcnt(22)
	v_mul_f32_e32 v26, v52, v241
	v_fmac_f32_e32 v26, v53, v240
	v_add_f32_e32 v1, v1, v26
	s_waitcnt vmcnt(20) lgkmcnt(5)
	v_mul_f32_e32 v26, v54, v243
	v_fmac_f32_e32 v26, v55, v242
	v_add_f32_e32 v1, v1, v26
	s_waitcnt vmcnt(18)
	v_mul_f32_e32 v26, v56, v245
	v_fmac_f32_e32 v26, v57, v244
	v_add_f32_e32 v1, v1, v26
	s_waitcnt vmcnt(16) lgkmcnt(4)
	v_mul_f32_e32 v26, v58, v247
	v_fmac_f32_e32 v26, v59, v246
	v_add_f32_e32 v1, v1, v26
	s_waitcnt vmcnt(14)
	v_mul_f32_e32 v26, v60, v249
	v_fmac_f32_e32 v26, v61, v248
	v_add_f32_e32 v1, v1, v26
	s_waitcnt vmcnt(12) lgkmcnt(3)
	v_mul_f32_e32 v26, v62, v251
	v_fmac_f32_e32 v26, v63, v250
	v_add_f32_e32 v1, v1, v26
	s_waitcnt vmcnt(10)
	v_mul_f32_e32 v26, v64, v78
	v_fmac_f32_e32 v26, v65, v252
	v_add_f32_e32 v1, v1, v26
	s_waitcnt vmcnt(8) lgkmcnt(2)
	v_mul_f32_e32 v26, v66, v80
	v_fmac_f32_e32 v26, v67, v79
	v_add_f32_e32 v1, v1, v26
	s_waitcnt vmcnt(6)
	v_mul_f32_e32 v26, v68, v82
	v_fmac_f32_e32 v26, v69, v81
	v_add_f32_e32 v1, v1, v26
	s_waitcnt vmcnt(4) lgkmcnt(1)
	v_mul_f32_e32 v26, v70, v253
	v_fmac_f32_e32 v26, v71, v83
	v_add_f32_e32 v1, v1, v26
	s_waitcnt vmcnt(2)
	v_mul_f32_e32 v26, v72, v255
	v_fmac_f32_e32 v26, v73, v254
	v_add_f32_e32 v1, v1, v26
	s_waitcnt vmcnt(0) lgkmcnt(0)
	v_mul_f32_e32 v26, v74, v85
	v_fmac_f32_e32 v26, v75, v84
	v_add_f32_e32 v175, v1, v26
	buffer_load_dword v1, off, s[0:3], 0 offset:296
	buffer_load_dword v86, off, s[0:3], 0 offset:300
	ds_read_b128 v[26:29], v196 offset:688
	buffer_load_dword v87, off, s[0:3], 0 offset:304
	buffer_load_dword v88, off, s[0:3], 0 offset:308
	;; [unrolled: 1-line block ×18, first 2 shown]
	v_mul_f32_e32 v3, v23, v215
	v_fma_f32 v3, v22, v214, -v3
	v_add_f32_e32 v2, v2, v3
	v_mul_f32_e32 v3, v25, v217
	v_fma_f32 v3, v24, v216, -v3
	v_add_f32_e32 v2, v2, v3
	v_mul_f32_e32 v3, v31, v219
	v_fma_f32 v3, v30, v218, -v3
	v_add_f32_e32 v2, v2, v3
	v_mul_f32_e32 v3, v33, v221
	v_fma_f32 v3, v32, v220, -v3
	v_add_f32_e32 v2, v2, v3
	v_mul_f32_e32 v3, v35, v223
	v_fma_f32 v3, v34, v222, -v3
	v_add_f32_e32 v2, v2, v3
	v_mul_f32_e32 v3, v37, v225
	v_fma_f32 v3, v36, v224, -v3
	v_add_f32_e32 v2, v2, v3
	v_mul_f32_e32 v3, v39, v227
	v_fma_f32 v3, v38, v226, -v3
	v_add_f32_e32 v2, v2, v3
	v_mul_f32_e32 v3, v41, v229
	v_fma_f32 v3, v40, v228, -v3
	v_add_f32_e32 v2, v2, v3
	v_mul_f32_e32 v3, v43, v231
	v_fma_f32 v3, v42, v230, -v3
	v_add_f32_e32 v2, v2, v3
	v_mul_f32_e32 v3, v45, v233
	v_fma_f32 v3, v44, v232, -v3
	v_add_f32_e32 v2, v2, v3
	v_mul_f32_e32 v3, v47, v235
	v_fma_f32 v3, v46, v234, -v3
	v_add_f32_e32 v2, v2, v3
	v_mul_f32_e32 v3, v49, v237
	v_fma_f32 v3, v48, v236, -v3
	v_add_f32_e32 v2, v2, v3
	v_mul_f32_e32 v3, v51, v239
	v_fma_f32 v3, v50, v238, -v3
	v_add_f32_e32 v2, v2, v3
	v_mul_f32_e32 v3, v53, v241
	v_fma_f32 v3, v52, v240, -v3
	v_add_f32_e32 v2, v2, v3
	v_mul_f32_e32 v3, v55, v243
	v_fma_f32 v3, v54, v242, -v3
	v_add_f32_e32 v2, v2, v3
	v_mul_f32_e32 v3, v57, v245
	v_fma_f32 v3, v56, v244, -v3
	v_add_f32_e32 v2, v2, v3
	v_mul_f32_e32 v3, v59, v247
	v_fma_f32 v3, v58, v246, -v3
	v_add_f32_e32 v2, v2, v3
	v_mul_f32_e32 v3, v61, v249
	v_fma_f32 v3, v60, v248, -v3
	v_add_f32_e32 v2, v2, v3
	v_mul_f32_e32 v3, v63, v251
	v_fma_f32 v3, v62, v250, -v3
	v_add_f32_e32 v2, v2, v3
	v_mul_f32_e32 v3, v65, v78
	v_fma_f32 v3, v64, v252, -v3
	v_add_f32_e32 v2, v2, v3
	v_mul_f32_e32 v3, v67, v80
	v_fma_f32 v3, v66, v79, -v3
	v_add_f32_e32 v2, v2, v3
	v_mul_f32_e32 v3, v69, v82
	v_fma_f32 v3, v68, v81, -v3
	v_add_f32_e32 v2, v2, v3
	v_mul_f32_e32 v3, v71, v253
	v_fma_f32 v3, v70, v83, -v3
	v_add_f32_e32 v2, v2, v3
	v_mul_f32_e32 v3, v73, v255
	v_fma_f32 v3, v72, v254, -v3
	v_add_f32_e32 v2, v2, v3
	v_mul_f32_e32 v3, v75, v85
	v_fma_f32 v3, v74, v84, -v3
	s_waitcnt vmcnt(15)
	v_mov_b32_e32 v18, v179
	v_add_f32_e32 v174, v2, v3
	v_mul_f32_e32 v177, v76, v86
	v_mul_f32_e32 v2, v77, v86
	s_waitcnt lgkmcnt(0)
	v_pk_mul_f32 v[18:19], v[28:29], v[18:19] op_sel_hi:[1,0]
	v_fmac_f32_e32 v177, v77, v1
	v_mul_f32_e32 v181, v26, v88
	v_fma_f32 v176, v76, v1, -v2
	v_mul_f32_e32 v1, v27, v88
	ds_read_b128 v[2:5], v196 offset:704
	ds_read_b128 v[6:9], v196 offset:720
	;; [unrolled: 1-line block ×3, first 2 shown]
	ds_read_b64 v[14:15], v196 offset:752
	s_waitcnt vmcnt(14)
	v_pk_fma_f32 v[20:21], v[28:29], v[178:179], v[18:19] op_sel:[0,0,1] op_sel_hi:[1,1,0] neg_lo:[0,0,1] neg_hi:[0,0,1]
	v_pk_fma_f32 v[18:19], v[28:29], v[178:179], v[18:19] op_sel:[0,0,1] op_sel_hi:[1,0,0]
	v_fmac_f32_e32 v181, v27, v87
	v_fma_f32 v180, v26, v87, -v1
	v_pk_add_f32 v[16:17], v[174:175], v[176:177]
	s_waitcnt vmcnt(13)
	v_mov_b32_e32 v18, v195
	v_pk_add_f32 v[16:17], v[16:17], v[180:181]
	v_mov_b32_e32 v21, v19
	s_waitcnt lgkmcnt(3)
	v_pk_mul_f32 v[18:19], v[2:3], v[18:19] op_sel_hi:[1,0]
	v_pk_add_f32 v[16:17], v[16:17], v[20:21]
	s_waitcnt vmcnt(12)
	v_pk_fma_f32 v[20:21], v[2:3], v[194:195], v[18:19] op_sel:[0,0,1] op_sel_hi:[1,1,0] neg_lo:[0,0,1] neg_hi:[0,0,1]
	v_pk_fma_f32 v[2:3], v[2:3], v[194:195], v[18:19] op_sel:[0,0,1] op_sel_hi:[1,0,0]
	v_mov_b32_e32 v21, v3
	v_pk_add_f32 v[2:3], v[16:17], v[20:21]
	s_waitcnt vmcnt(11)
	v_mov_b32_e32 v16, v193
	v_pk_mul_f32 v[16:17], v[4:5], v[16:17] op_sel_hi:[1,0]
	s_waitcnt vmcnt(10)
	v_pk_fma_f32 v[18:19], v[4:5], v[192:193], v[16:17] op_sel:[0,0,1] op_sel_hi:[1,1,0] neg_lo:[0,0,1] neg_hi:[0,0,1]
	v_pk_fma_f32 v[4:5], v[4:5], v[192:193], v[16:17] op_sel:[0,0,1] op_sel_hi:[1,0,0]
	s_waitcnt vmcnt(9)
	v_mov_b32_e32 v4, v191
	v_mov_b32_e32 v19, v5
	s_waitcnt lgkmcnt(2)
	v_pk_mul_f32 v[4:5], v[6:7], v[4:5] op_sel_hi:[1,0]
	s_waitcnt vmcnt(8)
	v_pk_fma_f32 v[16:17], v[6:7], v[190:191], v[4:5] op_sel:[0,0,1] op_sel_hi:[1,1,0] neg_lo:[0,0,1] neg_hi:[0,0,1]
	v_pk_fma_f32 v[4:5], v[6:7], v[190:191], v[4:5] op_sel:[0,0,1] op_sel_hi:[1,0,0]
	s_waitcnt vmcnt(7)
	v_mov_b32_e32 v4, v189
	v_mov_b32_e32 v17, v5
	v_pk_mul_f32 v[4:5], v[8:9], v[4:5] op_sel_hi:[1,0]
	s_waitcnt vmcnt(6)
	v_pk_fma_f32 v[6:7], v[8:9], v[188:189], v[4:5] op_sel:[0,0,1] op_sel_hi:[1,1,0] neg_lo:[0,0,1] neg_hi:[0,0,1]
	v_pk_fma_f32 v[4:5], v[8:9], v[188:189], v[4:5] op_sel:[0,0,1] op_sel_hi:[1,0,0]
	v_pk_add_f32 v[2:3], v[2:3], v[18:19]
	s_waitcnt vmcnt(5)
	v_mov_b32_e32 v4, v187
	v_pk_add_f32 v[2:3], v[2:3], v[16:17]
	v_mov_b32_e32 v7, v5
	s_waitcnt lgkmcnt(1)
	v_pk_mul_f32 v[4:5], v[10:11], v[4:5] op_sel_hi:[1,0]
	v_pk_add_f32 v[2:3], v[2:3], v[6:7]
	s_waitcnt vmcnt(4)
	v_pk_fma_f32 v[6:7], v[10:11], v[186:187], v[4:5] op_sel:[0,0,1] op_sel_hi:[1,1,0] neg_lo:[0,0,1] neg_hi:[0,0,1]
	v_pk_fma_f32 v[4:5], v[10:11], v[186:187], v[4:5] op_sel:[0,0,1] op_sel_hi:[1,0,0]
	s_waitcnt vmcnt(3)
	v_mov_b32_e32 v4, v185
	v_mov_b32_e32 v7, v5
	v_pk_mul_f32 v[4:5], v[12:13], v[4:5] op_sel_hi:[1,0]
	v_pk_add_f32 v[2:3], v[2:3], v[6:7]
	s_waitcnt vmcnt(2)
	v_pk_fma_f32 v[6:7], v[12:13], v[184:185], v[4:5] op_sel:[0,0,1] op_sel_hi:[1,1,0] neg_lo:[0,0,1] neg_hi:[0,0,1]
	v_pk_fma_f32 v[4:5], v[12:13], v[184:185], v[4:5] op_sel:[0,0,1] op_sel_hi:[1,0,0]
	s_waitcnt vmcnt(1)
	v_mov_b32_e32 v4, v183
	v_mov_b32_e32 v7, v5
	s_waitcnt lgkmcnt(0)
	v_pk_mul_f32 v[4:5], v[14:15], v[4:5] op_sel_hi:[1,0]
	v_pk_add_f32 v[2:3], v[2:3], v[6:7]
	s_waitcnt vmcnt(0)
	v_pk_fma_f32 v[6:7], v[14:15], v[182:183], v[4:5] op_sel:[0,0,1] op_sel_hi:[1,1,0] neg_lo:[0,0,1] neg_hi:[0,0,1]
	v_pk_fma_f32 v[4:5], v[14:15], v[182:183], v[4:5] op_sel:[0,0,1] op_sel_hi:[1,0,0]
	v_mov_b32_e32 v7, v5
	v_pk_add_f32 v[2:3], v[2:3], v[6:7]
	v_pk_add_f32 v[2:3], v[172:173], v[2:3] neg_lo:[0,1] neg_hi:[0,1]
	buffer_store_dword v3, off, s[0:3], 0 offset:12
	buffer_store_dword v2, off, s[0:3], 0 offset:8
	s_and_saveexec_b64 s[4:5], vcc
	s_cbranch_execz .LBB46_295
; %bb.294:
	buffer_load_dword v2, off, s[0:3], 0
	buffer_load_dword v3, off, s[0:3], 0 offset:4
	s_waitcnt vmcnt(0)
	ds_write_b64 v89, v[2:3]
	buffer_store_dword v196, off, s[0:3], 0
	buffer_store_dword v196, off, s[0:3], 0 offset:4
.LBB46_295:
	s_or_b64 exec, exec, s[4:5]
	s_waitcnt lgkmcnt(0)
	; wave barrier
	s_waitcnt lgkmcnt(0)
	buffer_load_dword v78, off, s[0:3], 0 offset:12
	buffer_load_dword v79, off, s[0:3], 0 offset:20
	;; [unrolled: 1-line block ×30, first 2 shown]
	buffer_load_dword v24, off, s[0:3], 0
	buffer_load_dword v25, off, s[0:3], 0 offset:4
	ds_read2_b64 v[20:23], v196 offset0:49 offset1:50
	ds_read2_b64 v[16:19], v196 offset0:51 offset1:52
	;; [unrolled: 1-line block ×6, first 2 shown]
	buffer_load_dword v214, off, s[0:3], 0 offset:128
	buffer_load_dword v215, off, s[0:3], 0 offset:132
	;; [unrolled: 1-line block ×32, first 2 shown]
	s_and_b64 vcc, exec, s[20:21]
	s_waitcnt vmcnt(62) lgkmcnt(5)
	v_mul_f32_e32 v30, v20, v78
	v_mul_f32_e32 v31, v22, v79
	s_waitcnt vmcnt(61) lgkmcnt(4)
	v_mul_f32_e32 v33, v18, v29
	s_waitcnt vmcnt(60) lgkmcnt(3)
	v_mul_f32_e32 v34, v12, v28
	s_waitcnt vmcnt(59)
	v_mul_f32_e32 v35, v14, v26
	s_waitcnt vmcnt(58)
	v_mul_f32_e32 v32, v16, v80
	s_waitcnt vmcnt(57) lgkmcnt(2)
	v_mul_f32_e32 v36, v8, v27
	s_waitcnt vmcnt(56)
	v_mul_f32_e32 v37, v10, v81
	s_waitcnt vmcnt(55) lgkmcnt(1)
	v_mul_f32_e32 v38, v4, v82
	s_waitcnt vmcnt(54)
	v_mul_f32_e32 v39, v6, v83
	s_waitcnt vmcnt(53)
	v_fmac_f32_e32 v32, v17, v84
	s_waitcnt vmcnt(52)
	v_fmac_f32_e32 v31, v23, v85
	;; [unrolled: 2-line block ×3, first 2 shown]
	v_add_f32_e32 v30, 0, v30
	v_add_f32_e32 v30, v30, v31
	;; [unrolled: 1-line block ×3, first 2 shown]
	s_waitcnt vmcnt(47)
	v_fmac_f32_e32 v33, v19, v182
	v_fmac_f32_e32 v34, v13, v89
	v_add_f32_e32 v30, v30, v33
	v_fmac_f32_e32 v35, v15, v88
	v_add_f32_e32 v30, v30, v34
	;; [unrolled: 2-line block ×3, first 2 shown]
	s_waitcnt vmcnt(43)
	v_fmac_f32_e32 v37, v11, v204
	v_add_f32_e32 v30, v30, v36
	v_fmac_f32_e32 v38, v5, v197
	v_add_f32_e32 v30, v30, v37
	;; [unrolled: 2-line block ×3, first 2 shown]
	s_waitcnt vmcnt(42) lgkmcnt(0)
	v_mul_f32_e32 v31, v0, v205
	v_add_f32_e32 v30, v30, v39
	v_fmac_f32_e32 v31, v1, v184
	v_add_f32_e32 v34, v30, v31
	ds_read2_b64 v[30:33], v196 offset0:61 offset1:62
	buffer_load_dword v246, off, s[0:3], 0 offset:256
	buffer_load_dword v247, off, s[0:3], 0 offset:260
	s_waitcnt vmcnt(43)
	v_mul_f32_e32 v35, v2, v206
	s_waitcnt vmcnt(36)
	v_fmac_f32_e32 v35, v3, v213
	v_add_f32_e32 v38, v34, v35
	ds_read2_b64 v[34:37], v196 offset0:63 offset1:64
	buffer_load_dword v248, off, s[0:3], 0 offset:264
	buffer_load_dword v249, off, s[0:3], 0 offset:268
	;; [unrolled: 1-line block ×8, first 2 shown]
	s_waitcnt lgkmcnt(1)
	v_mul_f32_e32 v39, v30, v208
	v_fmac_f32_e32 v39, v31, v207
	v_add_f32_e32 v38, v38, v39
	v_mul_f32_e32 v39, v32, v210
	v_fmac_f32_e32 v39, v33, v209
	v_add_f32_e32 v38, v38, v39
	s_waitcnt lgkmcnt(0)
	v_mul_f32_e32 v39, v34, v212
	v_fmac_f32_e32 v39, v35, v211
	v_add_f32_e32 v42, v38, v39
	buffer_load_dword v90, off, s[0:3], 0 offset:296
	buffer_load_dword v91, off, s[0:3], 0 offset:300
	buffer_load_dword v92, off, s[0:3], 0 offset:304
	buffer_load_dword v93, off, s[0:3], 0 offset:308
	ds_read2_b64 v[38:41], v196 offset0:65 offset1:66
	s_waitcnt vmcnt(44)
	v_mul_f32_e32 v43, v36, v215
	v_fmac_f32_e32 v43, v37, v214
	v_add_f32_e32 v46, v42, v43
	ds_read2_b64 v[42:45], v196 offset0:67 offset1:68
	s_waitcnt vmcnt(42) lgkmcnt(1)
	v_mul_f32_e32 v47, v38, v217
	v_fmac_f32_e32 v47, v39, v216
	v_add_f32_e32 v46, v46, v47
	s_waitcnt vmcnt(40)
	v_mul_f32_e32 v47, v40, v219
	v_fmac_f32_e32 v47, v41, v218
	v_add_f32_e32 v46, v46, v47
	s_waitcnt vmcnt(38) lgkmcnt(0)
	v_mul_f32_e32 v47, v42, v221
	v_fmac_f32_e32 v47, v43, v220
	v_add_f32_e32 v50, v46, v47
	ds_read2_b64 v[46:49], v196 offset0:69 offset1:70
	s_waitcnt vmcnt(36)
	v_mul_f32_e32 v51, v44, v223
	v_fmac_f32_e32 v51, v45, v222
	v_add_f32_e32 v54, v50, v51
	ds_read2_b64 v[50:53], v196 offset0:71 offset1:72
	s_waitcnt vmcnt(34) lgkmcnt(1)
	v_mul_f32_e32 v55, v46, v225
	v_fmac_f32_e32 v55, v47, v224
	v_add_f32_e32 v54, v54, v55
	s_waitcnt vmcnt(32)
	v_mul_f32_e32 v55, v48, v227
	v_fmac_f32_e32 v55, v49, v226
	v_add_f32_e32 v54, v54, v55
	s_waitcnt vmcnt(30) lgkmcnt(0)
	v_mul_f32_e32 v55, v50, v229
	v_fmac_f32_e32 v55, v51, v228
	v_add_f32_e32 v58, v54, v55
	;; [unrolled: 18-line block ×4, first 2 shown]
	ds_read2_b64 v[70:73], v196 offset0:81 offset1:82
	v_mul_f32_e32 v21, v21, v78
	v_fma_f32 v20, v20, v86, -v21
	v_mul_f32_e32 v21, v23, v79
	v_add_f32_e32 v20, 0, v20
	s_waitcnt vmcnt(12)
	v_mul_f32_e32 v75, v68, v247
	v_fmac_f32_e32 v75, v69, v246
	v_add_f32_e32 v172, v74, v75
	ds_read2_b64 v[74:77], v196 offset0:83 offset1:84
	buffer_load_dword v181, off, s[0:3], 0 offset:316
	buffer_load_dword v180, off, s[0:3], 0 offset:312
	s_waitcnt vmcnt(12) lgkmcnt(1)
	v_mul_f32_e32 v173, v70, v249
	v_fmac_f32_e32 v173, v71, v248
	v_add_f32_e32 v172, v172, v173
	s_waitcnt vmcnt(10)
	v_mul_f32_e32 v173, v72, v251
	v_fmac_f32_e32 v173, v73, v250
	v_add_f32_e32 v172, v172, v173
	s_waitcnt vmcnt(8) lgkmcnt(0)
	v_mul_f32_e32 v173, v74, v253
	v_fmac_f32_e32 v173, v75, v252
	s_waitcnt vmcnt(6)
	v_mul_f32_e32 v177, v76, v255
	v_add_f32_e32 v176, v172, v173
	v_fmac_f32_e32 v177, v77, v254
	ds_read2_b64 v[172:175], v196 offset0:85 offset1:86
	v_add_f32_e32 v183, v176, v177
	ds_read2_b64 v[176:179], v196 offset0:87 offset1:88
	buffer_load_dword v189, off, s[0:3], 0 offset:348
	buffer_load_dword v188, off, s[0:3], 0 offset:344
	;; [unrolled: 1-line block ×14, first 2 shown]
	v_fma_f32 v21, v22, v85, -v21
	v_mul_f32_e32 v17, v17, v80
	v_add_f32_e32 v20, v20, v21
	v_fma_f32 v16, v16, v84, -v17
	v_mul_f32_e32 v17, v19, v29
	v_add_f32_e32 v16, v20, v16
	;; [unrolled: 3-line block ×10, first 2 shown]
	v_fma_f32 v1, v2, v213, -v1
	v_add_f32_e32 v0, v0, v1
	v_mul_f32_e32 v1, v31, v208
	v_fma_f32 v1, v30, v207, -v1
	v_add_f32_e32 v0, v0, v1
	v_mul_f32_e32 v1, v33, v210
	v_fma_f32 v1, v32, v209, -v1
	v_add_f32_e32 v0, v0, v1
	v_mul_f32_e32 v1, v35, v212
	v_fma_f32 v1, v34, v211, -v1
	v_add_f32_e32 v0, v0, v1
	v_mul_f32_e32 v1, v37, v215
	v_fma_f32 v1, v36, v214, -v1
	v_add_f32_e32 v0, v0, v1
	v_mul_f32_e32 v1, v39, v217
	v_fma_f32 v1, v38, v216, -v1
	v_add_f32_e32 v0, v0, v1
	v_mul_f32_e32 v1, v41, v219
	v_fma_f32 v1, v40, v218, -v1
	v_add_f32_e32 v0, v0, v1
	v_mul_f32_e32 v1, v43, v221
	v_fma_f32 v1, v42, v220, -v1
	v_add_f32_e32 v0, v0, v1
	v_mul_f32_e32 v1, v45, v223
	v_fma_f32 v1, v44, v222, -v1
	v_add_f32_e32 v0, v0, v1
	v_mul_f32_e32 v1, v47, v225
	v_fma_f32 v1, v46, v224, -v1
	v_add_f32_e32 v0, v0, v1
	v_mul_f32_e32 v1, v49, v227
	v_fma_f32 v1, v48, v226, -v1
	v_add_f32_e32 v0, v0, v1
	v_mul_f32_e32 v1, v51, v229
	v_fma_f32 v1, v50, v228, -v1
	v_add_f32_e32 v0, v0, v1
	v_mul_f32_e32 v1, v53, v231
	v_fma_f32 v1, v52, v230, -v1
	v_add_f32_e32 v0, v0, v1
	v_mul_f32_e32 v1, v55, v233
	v_fma_f32 v1, v54, v232, -v1
	v_add_f32_e32 v0, v0, v1
	v_mul_f32_e32 v1, v57, v235
	v_fma_f32 v1, v56, v234, -v1
	v_add_f32_e32 v0, v0, v1
	v_mul_f32_e32 v1, v59, v237
	v_fma_f32 v1, v58, v236, -v1
	v_add_f32_e32 v0, v0, v1
	v_mul_f32_e32 v1, v61, v239
	v_fma_f32 v1, v60, v238, -v1
	v_add_f32_e32 v0, v0, v1
	v_mul_f32_e32 v1, v63, v241
	v_fma_f32 v1, v62, v240, -v1
	v_add_f32_e32 v0, v0, v1
	v_mul_f32_e32 v1, v65, v243
	v_fma_f32 v1, v64, v242, -v1
	v_add_f32_e32 v0, v0, v1
	v_mul_f32_e32 v1, v67, v245
	v_fma_f32 v1, v66, v244, -v1
	v_add_f32_e32 v0, v0, v1
	v_mul_f32_e32 v1, v69, v247
	v_fma_f32 v1, v68, v246, -v1
	v_add_f32_e32 v0, v0, v1
	v_mul_f32_e32 v1, v71, v249
	v_fma_f32 v1, v70, v248, -v1
	v_add_f32_e32 v0, v0, v1
	v_mul_f32_e32 v1, v73, v251
	v_fma_f32 v1, v72, v250, -v1
	v_add_f32_e32 v0, v0, v1
	v_mul_f32_e32 v1, v75, v253
	v_fma_f32 v1, v74, v252, -v1
	v_add_f32_e32 v0, v0, v1
	v_mul_f32_e32 v1, v77, v255
	v_fma_f32 v1, v76, v254, -v1
	s_waitcnt vmcnt(15)
	v_mov_b32_e32 v14, v181
	s_waitcnt lgkmcnt(1)
	v_mul_f32_e32 v185, v172, v91
	v_add_f32_e32 v182, v0, v1
	v_mul_f32_e32 v0, v173, v91
	s_waitcnt lgkmcnt(0)
	v_pk_mul_f32 v[14:15], v[176:177], v[14:15] op_sel_hi:[1,0]
	v_fmac_f32_e32 v185, v173, v90
	v_mul_f32_e32 v187, v174, v93
	v_fma_f32 v184, v172, v90, -v0
	v_mul_f32_e32 v0, v175, v93
	s_waitcnt vmcnt(14)
	v_pk_fma_f32 v[16:17], v[176:177], v[180:181], v[14:15] op_sel:[0,0,1] op_sel_hi:[1,1,0] neg_lo:[0,0,1] neg_hi:[0,0,1]
	v_pk_fma_f32 v[14:15], v[176:177], v[180:181], v[14:15] op_sel:[0,0,1] op_sel_hi:[1,0,0]
	v_fmac_f32_e32 v187, v175, v92
	v_fma_f32 v186, v174, v92, -v0
	v_pk_add_f32 v[12:13], v[182:183], v[184:185]
	s_waitcnt vmcnt(7)
	v_mov_b32_e32 v14, v195
	ds_read2_b64 v[0:3], v196 offset0:89 offset1:90
	ds_read2_b64 v[4:7], v196 offset0:91 offset1:92
	;; [unrolled: 1-line block ×3, first 2 shown]
	v_pk_add_f32 v[12:13], v[12:13], v[186:187]
	v_mov_b32_e32 v17, v15
	v_pk_mul_f32 v[14:15], v[178:179], v[14:15] op_sel_hi:[1,0]
	v_pk_add_f32 v[12:13], v[12:13], v[16:17]
	s_waitcnt vmcnt(6)
	v_pk_fma_f32 v[16:17], v[178:179], v[194:195], v[14:15] op_sel:[0,0,1] op_sel_hi:[1,1,0] neg_lo:[0,0,1] neg_hi:[0,0,1]
	v_pk_fma_f32 v[14:15], v[178:179], v[194:195], v[14:15] op_sel:[0,0,1] op_sel_hi:[1,0,0]
	v_mov_b32_e32 v14, v193
	v_mov_b32_e32 v17, v15
	s_waitcnt lgkmcnt(2)
	v_pk_mul_f32 v[14:15], v[0:1], v[14:15] op_sel_hi:[1,0]
	v_pk_add_f32 v[12:13], v[12:13], v[16:17]
	v_pk_fma_f32 v[16:17], v[0:1], v[192:193], v[14:15] op_sel:[0,0,1] op_sel_hi:[1,1,0] neg_lo:[0,0,1] neg_hi:[0,0,1]
	v_pk_fma_f32 v[0:1], v[0:1], v[192:193], v[14:15] op_sel:[0,0,1] op_sel_hi:[1,0,0]
	v_mov_b32_e32 v17, v1
	v_pk_add_f32 v[0:1], v[12:13], v[16:17]
	v_mov_b32_e32 v12, v191
	v_pk_mul_f32 v[12:13], v[2:3], v[12:13] op_sel_hi:[1,0]
	v_pk_fma_f32 v[14:15], v[2:3], v[190:191], v[12:13] op_sel:[0,0,1] op_sel_hi:[1,1,0] neg_lo:[0,0,1] neg_hi:[0,0,1]
	v_pk_fma_f32 v[2:3], v[2:3], v[190:191], v[12:13] op_sel:[0,0,1] op_sel_hi:[1,0,0]
	v_mov_b32_e32 v2, v189
	v_mov_b32_e32 v15, v3
	s_waitcnt lgkmcnt(1)
	v_pk_mul_f32 v[2:3], v[4:5], v[2:3] op_sel_hi:[1,0]
	v_pk_fma_f32 v[12:13], v[4:5], v[188:189], v[2:3] op_sel:[0,0,1] op_sel_hi:[1,1,0] neg_lo:[0,0,1] neg_hi:[0,0,1]
	v_pk_fma_f32 v[2:3], v[4:5], v[188:189], v[2:3] op_sel:[0,0,1] op_sel_hi:[1,0,0]
	s_waitcnt vmcnt(1)
	v_mov_b32_e32 v2, v203
	v_mov_b32_e32 v13, v3
	v_pk_mul_f32 v[2:3], v[6:7], v[2:3] op_sel_hi:[1,0]
	s_waitcnt vmcnt(0)
	v_pk_fma_f32 v[4:5], v[6:7], v[202:203], v[2:3] op_sel:[0,0,1] op_sel_hi:[1,1,0] neg_lo:[0,0,1] neg_hi:[0,0,1]
	v_pk_fma_f32 v[2:3], v[6:7], v[202:203], v[2:3] op_sel:[0,0,1] op_sel_hi:[1,0,0]
	v_pk_add_f32 v[0:1], v[0:1], v[14:15]
	v_mov_b32_e32 v2, v201
	v_pk_add_f32 v[0:1], v[0:1], v[12:13]
	v_mov_b32_e32 v5, v3
	s_waitcnt lgkmcnt(0)
	v_pk_mul_f32 v[2:3], v[8:9], v[2:3] op_sel_hi:[1,0]
	v_pk_add_f32 v[0:1], v[0:1], v[4:5]
	v_pk_fma_f32 v[4:5], v[8:9], v[200:201], v[2:3] op_sel:[0,0,1] op_sel_hi:[1,1,0] neg_lo:[0,0,1] neg_hi:[0,0,1]
	v_pk_fma_f32 v[2:3], v[8:9], v[200:201], v[2:3] op_sel:[0,0,1] op_sel_hi:[1,0,0]
	v_mov_b32_e32 v2, v199
	v_mov_b32_e32 v5, v3
	v_pk_mul_f32 v[2:3], v[10:11], v[2:3] op_sel_hi:[1,0]
	v_pk_add_f32 v[0:1], v[0:1], v[4:5]
	v_pk_fma_f32 v[4:5], v[10:11], v[198:199], v[2:3] op_sel:[0,0,1] op_sel_hi:[1,1,0] neg_lo:[0,0,1] neg_hi:[0,0,1]
	v_pk_fma_f32 v[2:3], v[10:11], v[198:199], v[2:3] op_sel:[0,0,1] op_sel_hi:[1,0,0]
	v_mov_b32_e32 v5, v3
	v_pk_add_f32 v[0:1], v[0:1], v[4:5]
	v_pk_add_f32 v[0:1], v[24:25], v[0:1] neg_lo:[0,1] neg_hi:[0,1]
	buffer_store_dword v1, off, s[0:3], 0 offset:4
	buffer_store_dword v0, off, s[0:3], 0
	s_cbranch_vccz .LBB46_389
; %bb.296:
	v_pk_mov_b32 v[0:1], s[10:11], s[10:11] op_sel:[0,1]
	flat_load_dword v0, v[0:1] offset:180
	s_waitcnt vmcnt(0) lgkmcnt(0)
	v_add_u32_e32 v0, -1, v0
	v_cmp_ne_u32_e32 vcc, 45, v0
	s_and_saveexec_b64 s[4:5], vcc
	s_cbranch_execz .LBB46_298
; %bb.297:
	v_mov_b32_e32 v1, 0
	v_lshl_add_u32 v0, v0, 3, v1
	buffer_load_dword v1, v0, s[0:3], 0 offen
	buffer_load_dword v2, v0, s[0:3], 0 offen offset:4
	buffer_load_dword v3, off, s[0:3], 0 offset:360
	buffer_load_dword v4, off, s[0:3], 0 offset:364
	s_waitcnt vmcnt(3)
	buffer_store_dword v1, off, s[0:3], 0 offset:360
	s_waitcnt vmcnt(3)
	buffer_store_dword v2, off, s[0:3], 0 offset:364
	s_waitcnt vmcnt(3)
	buffer_store_dword v3, v0, s[0:3], 0 offen
	s_waitcnt vmcnt(3)
	buffer_store_dword v4, v0, s[0:3], 0 offen offset:4
.LBB46_298:
	s_or_b64 exec, exec, s[4:5]
	v_pk_mov_b32 v[0:1], s[10:11], s[10:11] op_sel:[0,1]
	flat_load_dword v0, v[0:1] offset:176
	s_waitcnt vmcnt(0) lgkmcnt(0)
	v_add_u32_e32 v0, -1, v0
	v_cmp_ne_u32_e32 vcc, 44, v0
	s_and_saveexec_b64 s[4:5], vcc
	s_cbranch_execz .LBB46_300
; %bb.299:
	v_mov_b32_e32 v1, 0
	v_lshl_add_u32 v0, v0, 3, v1
	buffer_load_dword v1, v0, s[0:3], 0 offen
	buffer_load_dword v2, v0, s[0:3], 0 offen offset:4
	buffer_load_dword v3, off, s[0:3], 0 offset:356
	buffer_load_dword v4, off, s[0:3], 0 offset:352
	s_waitcnt vmcnt(3)
	buffer_store_dword v1, off, s[0:3], 0 offset:352
	s_waitcnt vmcnt(3)
	buffer_store_dword v2, off, s[0:3], 0 offset:356
	s_waitcnt vmcnt(3)
	buffer_store_dword v3, v0, s[0:3], 0 offen offset:4
	s_waitcnt vmcnt(3)
	buffer_store_dword v4, v0, s[0:3], 0 offen
.LBB46_300:
	s_or_b64 exec, exec, s[4:5]
	v_pk_mov_b32 v[0:1], s[10:11], s[10:11] op_sel:[0,1]
	flat_load_dword v0, v[0:1] offset:172
	s_waitcnt vmcnt(0) lgkmcnt(0)
	v_add_u32_e32 v0, -1, v0
	v_cmp_ne_u32_e32 vcc, 43, v0
	s_and_saveexec_b64 s[4:5], vcc
	s_cbranch_execz .LBB46_302
; %bb.301:
	v_mov_b32_e32 v1, 0
	v_lshl_add_u32 v0, v0, 3, v1
	buffer_load_dword v1, v0, s[0:3], 0 offen
	buffer_load_dword v2, v0, s[0:3], 0 offen offset:4
	buffer_load_dword v3, off, s[0:3], 0 offset:344
	buffer_load_dword v4, off, s[0:3], 0 offset:348
	s_waitcnt vmcnt(3)
	buffer_store_dword v1, off, s[0:3], 0 offset:344
	s_waitcnt vmcnt(3)
	buffer_store_dword v2, off, s[0:3], 0 offset:348
	s_waitcnt vmcnt(3)
	buffer_store_dword v3, v0, s[0:3], 0 offen
	s_waitcnt vmcnt(3)
	buffer_store_dword v4, v0, s[0:3], 0 offen offset:4
.LBB46_302:
	s_or_b64 exec, exec, s[4:5]
	v_pk_mov_b32 v[0:1], s[10:11], s[10:11] op_sel:[0,1]
	flat_load_dword v0, v[0:1] offset:168
	s_waitcnt vmcnt(0) lgkmcnt(0)
	v_add_u32_e32 v0, -1, v0
	v_cmp_ne_u32_e32 vcc, 42, v0
	s_and_saveexec_b64 s[4:5], vcc
	s_cbranch_execz .LBB46_304
; %bb.303:
	v_mov_b32_e32 v1, 0
	v_lshl_add_u32 v0, v0, 3, v1
	buffer_load_dword v1, v0, s[0:3], 0 offen
	buffer_load_dword v2, v0, s[0:3], 0 offen offset:4
	buffer_load_dword v3, off, s[0:3], 0 offset:340
	buffer_load_dword v4, off, s[0:3], 0 offset:336
	s_waitcnt vmcnt(3)
	buffer_store_dword v1, off, s[0:3], 0 offset:336
	s_waitcnt vmcnt(3)
	buffer_store_dword v2, off, s[0:3], 0 offset:340
	s_waitcnt vmcnt(3)
	buffer_store_dword v3, v0, s[0:3], 0 offen offset:4
	s_waitcnt vmcnt(3)
	buffer_store_dword v4, v0, s[0:3], 0 offen
.LBB46_304:
	s_or_b64 exec, exec, s[4:5]
	;; [unrolled: 48-line block ×22, first 2 shown]
	v_pk_mov_b32 v[0:1], s[10:11], s[10:11] op_sel:[0,1]
	flat_load_dword v0, v[0:1] offset:4
	s_waitcnt vmcnt(0) lgkmcnt(0)
	v_add_u32_e32 v0, -1, v0
	v_cmp_ne_u32_e32 vcc, 1, v0
	s_and_saveexec_b64 s[4:5], vcc
	s_cbranch_execz .LBB46_386
; %bb.385:
	v_mov_b32_e32 v1, 0
	v_lshl_add_u32 v0, v0, 3, v1
	buffer_load_dword v1, v0, s[0:3], 0 offen
	buffer_load_dword v2, v0, s[0:3], 0 offen offset:4
	buffer_load_dword v3, off, s[0:3], 0 offset:8
	buffer_load_dword v4, off, s[0:3], 0 offset:12
	s_waitcnt vmcnt(3)
	buffer_store_dword v1, off, s[0:3], 0 offset:8
	s_waitcnt vmcnt(3)
	buffer_store_dword v2, off, s[0:3], 0 offset:12
	s_waitcnt vmcnt(3)
	buffer_store_dword v3, v0, s[0:3], 0 offen
	s_waitcnt vmcnt(3)
	buffer_store_dword v4, v0, s[0:3], 0 offen offset:4
.LBB46_386:
	s_or_b64 exec, exec, s[4:5]
	v_pk_mov_b32 v[0:1], s[10:11], s[10:11] op_sel:[0,1]
	flat_load_dword v2, v[0:1]
	s_nop 0
	buffer_load_dword v0, off, s[0:3], 0
	buffer_load_dword v1, off, s[0:3], 0 offset:4
	s_waitcnt vmcnt(0) lgkmcnt(0)
	v_add_u32_e32 v2, -1, v2
	v_cmp_ne_u32_e32 vcc, 0, v2
	s_and_saveexec_b64 s[4:5], vcc
	s_cbranch_execz .LBB46_388
; %bb.387:
	v_mov_b32_e32 v3, 0
	v_lshl_add_u32 v2, v2, 3, v3
	buffer_load_dword v3, v2, s[0:3], 0 offen offset:4
	buffer_load_dword v4, v2, s[0:3], 0 offen
	s_waitcnt vmcnt(1)
	buffer_store_dword v3, off, s[0:3], 0 offset:4
	s_waitcnt vmcnt(1)
	buffer_store_dword v4, off, s[0:3], 0
	buffer_store_dword v1, v2, s[0:3], 0 offen offset:4
	buffer_store_dword v0, v2, s[0:3], 0 offen
	buffer_load_dword v0, off, s[0:3], 0
	s_nop 0
	buffer_load_dword v1, off, s[0:3], 0 offset:4
.LBB46_388:
	s_or_b64 exec, exec, s[4:5]
.LBB46_389:
	buffer_load_dword v2, off, s[0:3], 0 offset:8
	buffer_load_dword v3, off, s[0:3], 0 offset:12
	;; [unrolled: 1-line block ×92, first 2 shown]
	s_waitcnt vmcnt(62)
	global_store_dwordx2 v[162:163], v[0:1], off
	global_store_dwordx2 v[164:165], v[2:3], off
	v_accvgpr_read_b32 v0, a0
	v_accvgpr_read_b32 v1, a1
	global_store_dwordx2 v[0:1], v[4:5], off
	v_accvgpr_read_b32 v0, a2
	v_accvgpr_read_b32 v1, a3
	;; [unrolled: 3-line block ×8, first 2 shown]
	global_store_dwordx2 v[0:1], v[18:19], off
	global_store_dwordx2 v[94:95], v[20:21], off
	;; [unrolled: 1-line block ×7, first 2 shown]
	s_waitcnt vmcnt(62)
	global_store_dwordx2 v[106:107], v[32:33], off
	global_store_dwordx2 v[108:109], v[34:35], off
	;; [unrolled: 1-line block ×8, first 2 shown]
	s_waitcnt vmcnt(62)
	global_store_dwordx2 v[122:123], v[48:49], off
	global_store_dwordx2 v[124:125], v[50:51], off
	;; [unrolled: 1-line block ×4, first 2 shown]
	s_waitcnt vmcnt(62)
	global_store_dwordx2 v[130:131], v[56:57], off
	global_store_dwordx2 v[132:133], v[58:59], off
	s_waitcnt vmcnt(62)
	global_store_dwordx2 v[134:135], v[60:61], off
	s_waitcnt vmcnt(61)
	;; [unrolled: 2-line block ×17, first 2 shown]
	global_store_dwordx2 v[170:171], v[186:187], off
	s_endpgm
	.section	.rodata,"a",@progbits
	.p2align	6, 0x0
	.amdhsa_kernel _ZN9rocsolver6v33100L18getri_kernel_smallILi47E19rocblas_complex_numIfEPS3_EEvT1_iilPiilS6_bb
		.amdhsa_group_segment_fixed_size 760
		.amdhsa_private_segment_fixed_size 384
		.amdhsa_kernarg_size 60
		.amdhsa_user_sgpr_count 8
		.amdhsa_user_sgpr_private_segment_buffer 1
		.amdhsa_user_sgpr_dispatch_ptr 0
		.amdhsa_user_sgpr_queue_ptr 0
		.amdhsa_user_sgpr_kernarg_segment_ptr 1
		.amdhsa_user_sgpr_dispatch_id 0
		.amdhsa_user_sgpr_flat_scratch_init 1
		.amdhsa_user_sgpr_kernarg_preload_length 0
		.amdhsa_user_sgpr_kernarg_preload_offset 0
		.amdhsa_user_sgpr_private_segment_size 0
		.amdhsa_uses_dynamic_stack 0
		.amdhsa_system_sgpr_private_segment_wavefront_offset 1
		.amdhsa_system_sgpr_workgroup_id_x 1
		.amdhsa_system_sgpr_workgroup_id_y 0
		.amdhsa_system_sgpr_workgroup_id_z 0
		.amdhsa_system_sgpr_workgroup_info 0
		.amdhsa_system_vgpr_workitem_id 0
		.amdhsa_next_free_vgpr 272
		.amdhsa_next_free_sgpr 23
		.amdhsa_accum_offset 256
		.amdhsa_reserve_vcc 1
		.amdhsa_reserve_flat_scratch 1
		.amdhsa_float_round_mode_32 0
		.amdhsa_float_round_mode_16_64 0
		.amdhsa_float_denorm_mode_32 3
		.amdhsa_float_denorm_mode_16_64 3
		.amdhsa_dx10_clamp 1
		.amdhsa_ieee_mode 1
		.amdhsa_fp16_overflow 0
		.amdhsa_tg_split 0
		.amdhsa_exception_fp_ieee_invalid_op 0
		.amdhsa_exception_fp_denorm_src 0
		.amdhsa_exception_fp_ieee_div_zero 0
		.amdhsa_exception_fp_ieee_overflow 0
		.amdhsa_exception_fp_ieee_underflow 0
		.amdhsa_exception_fp_ieee_inexact 0
		.amdhsa_exception_int_div_zero 0
	.end_amdhsa_kernel
	.section	.text._ZN9rocsolver6v33100L18getri_kernel_smallILi47E19rocblas_complex_numIfEPS3_EEvT1_iilPiilS6_bb,"axG",@progbits,_ZN9rocsolver6v33100L18getri_kernel_smallILi47E19rocblas_complex_numIfEPS3_EEvT1_iilPiilS6_bb,comdat
.Lfunc_end46:
	.size	_ZN9rocsolver6v33100L18getri_kernel_smallILi47E19rocblas_complex_numIfEPS3_EEvT1_iilPiilS6_bb, .Lfunc_end46-_ZN9rocsolver6v33100L18getri_kernel_smallILi47E19rocblas_complex_numIfEPS3_EEvT1_iilPiilS6_bb
                                        ; -- End function
	.section	.AMDGPU.csdata,"",@progbits
; Kernel info:
; codeLenInByte = 89036
; NumSgprs: 29
; NumVgprs: 256
; NumAgprs: 16
; TotalNumVgprs: 272
; ScratchSize: 384
; MemoryBound: 0
; FloatMode: 240
; IeeeMode: 1
; LDSByteSize: 760 bytes/workgroup (compile time only)
; SGPRBlocks: 3
; VGPRBlocks: 33
; NumSGPRsForWavesPerEU: 29
; NumVGPRsForWavesPerEU: 272
; AccumOffset: 256
; Occupancy: 1
; WaveLimiterHint : 1
; COMPUTE_PGM_RSRC2:SCRATCH_EN: 1
; COMPUTE_PGM_RSRC2:USER_SGPR: 8
; COMPUTE_PGM_RSRC2:TRAP_HANDLER: 0
; COMPUTE_PGM_RSRC2:TGID_X_EN: 1
; COMPUTE_PGM_RSRC2:TGID_Y_EN: 0
; COMPUTE_PGM_RSRC2:TGID_Z_EN: 0
; COMPUTE_PGM_RSRC2:TIDIG_COMP_CNT: 0
; COMPUTE_PGM_RSRC3_GFX90A:ACCUM_OFFSET: 63
; COMPUTE_PGM_RSRC3_GFX90A:TG_SPLIT: 0
	.section	.text._ZN9rocsolver6v33100L18getri_kernel_smallILi48E19rocblas_complex_numIfEPS3_EEvT1_iilPiilS6_bb,"axG",@progbits,_ZN9rocsolver6v33100L18getri_kernel_smallILi48E19rocblas_complex_numIfEPS3_EEvT1_iilPiilS6_bb,comdat
	.globl	_ZN9rocsolver6v33100L18getri_kernel_smallILi48E19rocblas_complex_numIfEPS3_EEvT1_iilPiilS6_bb ; -- Begin function _ZN9rocsolver6v33100L18getri_kernel_smallILi48E19rocblas_complex_numIfEPS3_EEvT1_iilPiilS6_bb
	.p2align	8
	.type	_ZN9rocsolver6v33100L18getri_kernel_smallILi48E19rocblas_complex_numIfEPS3_EEvT1_iilPiilS6_bb,@function
_ZN9rocsolver6v33100L18getri_kernel_smallILi48E19rocblas_complex_numIfEPS3_EEvT1_iilPiilS6_bb: ; @_ZN9rocsolver6v33100L18getri_kernel_smallILi48E19rocblas_complex_numIfEPS3_EEvT1_iilPiilS6_bb
; %bb.0:
	s_add_u32 flat_scratch_lo, s6, s9
	s_addc_u32 flat_scratch_hi, s7, 0
	s_add_u32 s0, s0, s9
	s_addc_u32 s1, s1, 0
	v_cmp_gt_u32_e32 vcc, 48, v0
	s_and_saveexec_b64 s[6:7], vcc
	s_cbranch_execz .LBB47_206
; %bb.1:
	s_load_dword s22, s[4:5], 0x38
	s_load_dwordx4 s[16:19], s[4:5], 0x10
	s_load_dwordx4 s[12:15], s[4:5], 0x28
                                        ; implicit-def: $sgpr10_sgpr11
	s_waitcnt lgkmcnt(0)
	s_bitcmp1_b32 s22, 8
	s_cselect_b64 s[20:21], -1, 0
	s_ashr_i32 s9, s8, 31
	s_bfe_u32 s6, s22, 0x10008
	s_cmp_eq_u32 s6, 0
	s_cbranch_scc1 .LBB47_3
; %bb.2:
	s_load_dword s6, s[4:5], 0x20
	s_mul_i32 s7, s8, s13
	s_mul_hi_u32 s10, s8, s12
	s_mul_i32 s11, s9, s12
	s_add_i32 s10, s10, s7
	s_add_i32 s11, s10, s11
	s_mul_i32 s10, s8, s12
	s_waitcnt lgkmcnt(0)
	s_ashr_i32 s7, s6, 31
	s_lshl_b64 s[10:11], s[10:11], 2
	s_add_u32 s10, s18, s10
	s_addc_u32 s11, s19, s11
	s_lshl_b64 s[6:7], s[6:7], 2
	s_add_u32 s10, s10, s6
	s_addc_u32 s11, s11, s7
.LBB47_3:
	s_load_dwordx4 s[4:7], s[4:5], 0x0
	s_mul_i32 s12, s8, s17
	s_mul_hi_u32 s13, s8, s16
	s_add_i32 s17, s13, s12
	v_lshlrev_b32_e32 v6, 3, v0
	s_waitcnt lgkmcnt(0)
	s_ashr_i32 s13, s6, 31
	s_mov_b32 s12, s6
	s_mul_i32 s6, s9, s16
	s_add_i32 s17, s17, s6
	s_mul_i32 s16, s8, s16
	s_lshl_b64 s[16:17], s[16:17], 3
	s_add_u32 s6, s4, s16
	s_addc_u32 s16, s5, s17
	s_lshl_b64 s[4:5], s[12:13], 3
	s_add_u32 s4, s6, s4
	s_addc_u32 s5, s16, s5
	s_add_i32 s6, s7, s7
	v_add_u32_e32 v2, s6, v0
	v_ashrrev_i32_e32 v3, 31, v2
	v_lshlrev_b64 v[4:5], 3, v[2:3]
	v_add_u32_e32 v2, s7, v2
	v_mov_b32_e32 v1, s5
	v_add_co_u32_e32 v12, vcc, s4, v4
	v_ashrrev_i32_e32 v3, 31, v2
	v_addc_co_u32_e32 v13, vcc, v1, v5, vcc
	v_lshlrev_b64 v[4:5], 3, v[2:3]
	v_add_u32_e32 v2, s7, v2
	v_add_co_u32_e32 v14, vcc, s4, v4
	v_ashrrev_i32_e32 v3, 31, v2
	v_addc_co_u32_e32 v15, vcc, v1, v5, vcc
	v_lshlrev_b64 v[4:5], 3, v[2:3]
	v_add_u32_e32 v2, s7, v2
	;; [unrolled: 5-line block ×38, first 2 shown]
	v_add_co_u32_e32 v154, vcc, s4, v4
	v_ashrrev_i32_e32 v3, 31, v2
	v_addc_co_u32_e32 v155, vcc, v1, v5, vcc
	v_lshlrev_b64 v[4:5], 3, v[2:3]
	v_add_co_u32_e32 v156, vcc, s4, v4
	v_add_u32_e32 v2, s7, v2
	v_addc_co_u32_e32 v157, vcc, v1, v5, vcc
	v_ashrrev_i32_e32 v3, 31, v2
	v_lshlrev_b64 v[4:5], 3, v[2:3]
	global_load_dwordx2 v[8:9], v6, s[4:5]
	v_mov_b32_e32 v3, s5
	v_add_co_u32_e32 v164, vcc, s4, v6
	s_ashr_i32 s13, s7, 31
	s_mov_b32 s12, s7
	v_addc_co_u32_e32 v165, vcc, 0, v3, vcc
	s_lshl_b64 s[12:13], s[12:13], 3
	v_mov_b32_e32 v3, s13
	v_add_co_u32_e32 v166, vcc, s12, v164
	v_addc_co_u32_e32 v167, vcc, v165, v3, vcc
	global_load_dwordx2 v[10:11], v[166:167], off
	v_add_co_u32_e32 v158, vcc, s4, v4
	v_addc_co_u32_e32 v159, vcc, v1, v5, vcc
	global_load_dwordx2 v[4:5], v[12:13], off
	v_add_u32_e32 v2, s7, v2
	v_accvgpr_write_b32 a2, v14
	v_accvgpr_write_b32 a0, v12
	v_ashrrev_i32_e32 v3, 31, v2
	v_accvgpr_write_b32 a3, v15
	global_load_dwordx2 v[14:15], v[14:15], off
	v_accvgpr_write_b32 a4, v16
	v_accvgpr_write_b32 a1, v13
	v_accvgpr_write_b32 a5, v17
	global_load_dwordx2 v[16:17], v[16:17], off
	v_lshlrev_b64 v[12:13], 3, v[2:3]
	v_add_u32_e32 v2, s7, v2
	v_add_co_u32_e32 v160, vcc, s4, v12
	v_ashrrev_i32_e32 v3, 31, v2
	v_accvgpr_write_b32 a6, v18
	v_accvgpr_write_b32 a8, v20
	;; [unrolled: 1-line block ×3, first 2 shown]
	v_addc_co_u32_e32 v161, vcc, v1, v13, vcc
	v_accvgpr_write_b32 a7, v19
	global_load_dwordx2 v[12:13], v[18:19], off
	v_accvgpr_write_b32 a9, v21
	global_load_dwordx2 v[20:21], v[20:21], off
	;; [unrolled: 2-line block ×3, first 2 shown]
	v_lshlrev_b64 v[18:19], 3, v[2:3]
	v_add_u32_e32 v2, s7, v2
	v_add_co_u32_e32 v162, vcc, s4, v18
	v_accvgpr_write_b32 a12, v24
	v_accvgpr_write_b32 a14, v26
	v_ashrrev_i32_e32 v3, 31, v2
	v_accvgpr_write_b32 a16, v28
	v_accvgpr_write_b32 a18, v30
	v_addc_co_u32_e32 v163, vcc, v1, v19, vcc
	v_accvgpr_write_b32 a13, v25
	global_load_dwordx2 v[18:19], v[24:25], off
	v_accvgpr_write_b32 a15, v27
	global_load_dwordx2 v[24:25], v[26:27], off
	;; [unrolled: 2-line block ×4, first 2 shown]
	v_lshlrev_b64 v[30:31], 3, v[2:3]
	v_add_u32_e32 v2, s7, v2
	v_add_co_u32_e32 v168, vcc, s4, v30
	v_ashrrev_i32_e32 v3, 31, v2
	v_addc_co_u32_e32 v169, vcc, v1, v31, vcc
	v_lshlrev_b64 v[46:47], 3, v[2:3]
	v_add_u32_e32 v2, s7, v2
	v_add_co_u32_e32 v170, vcc, s4, v46
	v_ashrrev_i32_e32 v3, 31, v2
	v_addc_co_u32_e32 v171, vcc, v1, v47, vcc
	v_lshlrev_b64 v[2:3], 3, v[2:3]
	v_add_co_u32_e32 v172, vcc, s4, v2
	global_load_dwordx2 v[32:33], v[98:99], off
	global_load_dwordx2 v[34:35], v[100:101], off
	;; [unrolled: 1-line block ×20, first 2 shown]
	v_addc_co_u32_e32 v173, vcc, v1, v3, vcc
	global_load_dwordx2 v[2:3], v[138:139], off
	global_load_dwordx2 v[70:71], v[172:173], off
	;; [unrolled: 1-line block ×10, first 2 shown]
	s_bitcmp0_b32 s22, 0
	s_waitcnt vmcnt(41)
	buffer_store_dword v9, off, s[0:3], 0 offset:4
	buffer_store_dword v8, off, s[0:3], 0
	global_load_dwordx2 v[8:9], v[144:145], off
	s_mov_b64 s[6:7], -1
	s_waitcnt vmcnt(43)
	buffer_store_dword v11, off, s[0:3], 0 offset:12
	buffer_store_dword v10, off, s[0:3], 0 offset:8
	global_load_dwordx2 v[10:11], v[148:149], off
	s_waitcnt vmcnt(45)
	buffer_store_dword v5, off, s[0:3], 0 offset:20
	buffer_store_dword v4, off, s[0:3], 0 offset:16
	global_load_dwordx2 v[4:5], v[152:153], off
	s_waitcnt vmcnt(47)
	buffer_store_dword v15, off, s[0:3], 0 offset:28
	buffer_store_dword v14, off, s[0:3], 0 offset:24
	global_load_dwordx2 v[14:15], v[156:157], off
	s_waitcnt vmcnt(49)
	buffer_store_dword v17, off, s[0:3], 0 offset:36
	buffer_store_dword v16, off, s[0:3], 0 offset:32
	global_load_dwordx2 v[16:17], v[160:161], off
	s_waitcnt vmcnt(51)
	buffer_store_dword v13, off, s[0:3], 0 offset:44
	buffer_store_dword v12, off, s[0:3], 0 offset:40
	global_load_dwordx2 v[12:13], v[168:169], off
	s_waitcnt vmcnt(53)
	buffer_store_dword v21, off, s[0:3], 0 offset:52
	buffer_store_dword v20, off, s[0:3], 0 offset:48
	s_waitcnt vmcnt(54)
	buffer_store_dword v23, off, s[0:3], 0 offset:60
	buffer_store_dword v22, off, s[0:3], 0 offset:56
	;; [unrolled: 3-line block ×11, first 2 shown]
	buffer_store_dword v40, off, s[0:3], 0 offset:136
	buffer_store_dword v41, off, s[0:3], 0 offset:140
	s_waitcnt vmcnt(62)
	buffer_store_dword v42, off, s[0:3], 0 offset:144
	buffer_store_dword v43, off, s[0:3], 0 offset:148
	;; [unrolled: 1-line block ×8, first 2 shown]
	s_waitcnt vmcnt(62)
	buffer_store_dword v52, off, s[0:3], 0 offset:176
	buffer_store_dword v53, off, s[0:3], 0 offset:180
	;; [unrolled: 1-line block ×16, first 2 shown]
	s_waitcnt vmcnt(62)
	buffer_store_dword v66, off, s[0:3], 0 offset:240
	buffer_store_dword v67, off, s[0:3], 0 offset:244
	;; [unrolled: 1-line block ×14, first 2 shown]
	s_waitcnt vmcnt(62)
	buffer_store_dword v11, off, s[0:3], 0 offset:300
	buffer_store_dword v10, off, s[0:3], 0 offset:296
	;; [unrolled: 1-line block ×22, first 2 shown]
	s_cbranch_scc1 .LBB47_204
; %bb.4:
	v_cmp_eq_u32_e64 s[4:5], 0, v0
	s_and_saveexec_b64 s[6:7], s[4:5]
	s_cbranch_execz .LBB47_6
; %bb.5:
	v_mov_b32_e32 v1, 0
	ds_write_b32 v1, v1 offset:768
.LBB47_6:
	s_or_b64 exec, exec, s[6:7]
	v_mov_b32_e32 v1, 0
	v_lshl_add_u32 v7, v0, 3, v1
	s_waitcnt lgkmcnt(0)
	; wave barrier
	s_waitcnt lgkmcnt(0)
	buffer_load_dword v1, v7, s[0:3], 0 offen
	buffer_load_dword v2, v7, s[0:3], 0 offen offset:4
	s_waitcnt vmcnt(1)
	v_cmp_eq_f32_e32 vcc, 0, v1
	s_waitcnt vmcnt(0)
	v_cmp_eq_f32_e64 s[6:7], 0, v2
	s_and_b64 s[6:7], vcc, s[6:7]
	s_and_saveexec_b64 s[12:13], s[6:7]
	s_cbranch_execz .LBB47_10
; %bb.7:
	v_mov_b32_e32 v1, 0
	ds_read_b32 v3, v1 offset:768
	v_add_u32_e32 v2, 1, v0
	s_waitcnt lgkmcnt(0)
	v_readfirstlane_b32 s6, v3
	s_cmp_eq_u32 s6, 0
	s_cselect_b64 s[16:17], -1, 0
	v_cmp_gt_i32_e32 vcc, s6, v2
	s_or_b64 s[16:17], s[16:17], vcc
	s_and_b64 exec, exec, s[16:17]
	s_cbranch_execz .LBB47_10
; %bb.8:
	s_mov_b64 s[16:17], 0
	v_mov_b32_e32 v3, s6
.LBB47_9:                               ; =>This Inner Loop Header: Depth=1
	ds_cmpst_rtn_b32 v3, v1, v3, v2 offset:768
	s_waitcnt lgkmcnt(0)
	v_cmp_ne_u32_e32 vcc, 0, v3
	v_cmp_le_i32_e64 s[6:7], v3, v2
	s_and_b64 s[6:7], vcc, s[6:7]
	s_and_b64 s[6:7], exec, s[6:7]
	s_or_b64 s[16:17], s[6:7], s[16:17]
	s_andn2_b64 exec, exec, s[16:17]
	s_cbranch_execnz .LBB47_9
.LBB47_10:
	s_or_b64 exec, exec, s[12:13]
	v_mov_b32_e32 v2, 0
	s_waitcnt lgkmcnt(0)
	; wave barrier
	ds_read_b32 v1, v2 offset:768
	s_and_saveexec_b64 s[6:7], s[4:5]
	s_cbranch_execz .LBB47_12
; %bb.11:
	s_lshl_b64 s[12:13], s[8:9], 2
	s_add_u32 s12, s14, s12
	s_addc_u32 s13, s15, s13
	s_waitcnt lgkmcnt(0)
	global_store_dword v2, v1, s[12:13]
.LBB47_12:
	s_or_b64 exec, exec, s[6:7]
	s_waitcnt lgkmcnt(0)
	v_cmp_ne_u32_e32 vcc, 0, v1
	s_mov_b64 s[6:7], 0
	s_cbranch_vccnz .LBB47_204
; %bb.13:
	buffer_load_dword v8, v7, s[0:3], 0 offen offset:4
	buffer_load_dword v3, v7, s[0:3], 0 offen
	s_waitcnt vmcnt(1)
	v_cmp_gt_f32_e32 vcc, 0, v8
	v_cndmask_b32_e64 v1, v8, -v8, vcc
	s_waitcnt vmcnt(0)
	v_cmp_gt_f32_e32 vcc, 0, v3
	v_cndmask_b32_e64 v2, v3, -v3, vcc
	v_cmp_ngt_f32_e32 vcc, v2, v1
                                        ; implicit-def: $vgpr1
                                        ; implicit-def: $vgpr2
	s_and_saveexec_b64 s[6:7], vcc
	s_xor_b64 s[6:7], exec, s[6:7]
                                        ; implicit-def: $vgpr4_vgpr5
	s_cbranch_execz .LBB47_15
; %bb.14:
	v_div_scale_f32 v1, s[12:13], v8, v8, v3
	v_rcp_f32_e32 v2, v1
	v_div_scale_f32 v4, vcc, v3, v8, v3
	v_fma_f32 v5, -v1, v2, 1.0
	v_fmac_f32_e32 v2, v5, v2
	v_mul_f32_e32 v5, v4, v2
	v_fma_f32 v9, -v1, v5, v4
	v_fmac_f32_e32 v5, v9, v2
	v_fma_f32 v1, -v1, v5, v4
	v_div_fmas_f32 v1, v1, v2, v5
	v_div_fixup_f32 v2, v1, v8, v3
	v_fmac_f32_e32 v8, v3, v2
	v_div_scale_f32 v1, s[12:13], v8, v8, -1.0
	v_rcp_f32_e32 v3, v1
	v_fma_f32 v4, -v1, v3, 1.0
	v_fmac_f32_e32 v3, v4, v3
	v_div_scale_f32 v4, vcc, -1.0, v8, -1.0
	v_mul_f32_e32 v5, v4, v3
	v_fma_f32 v9, -v1, v5, v4
	v_fmac_f32_e32 v5, v9, v3
	v_fma_f32 v1, -v1, v5, v4
	v_div_fmas_f32 v1, v1, v3, v5
	v_div_fixup_f32 v1, v1, v8, -1.0
	v_mul_f32_e32 v2, v2, v1
	v_xor_b32_e32 v4, 0x80000000, v2
                                        ; implicit-def: $vgpr3
                                        ; implicit-def: $vgpr8
.LBB47_15:
	s_andn2_saveexec_b64 s[6:7], s[6:7]
	s_cbranch_execz .LBB47_17
; %bb.16:
	v_div_scale_f32 v1, s[12:13], v3, v3, v8
	v_rcp_f32_e32 v2, v1
	v_div_scale_f32 v4, vcc, v8, v3, v8
	v_fma_f32 v5, -v1, v2, 1.0
	v_fmac_f32_e32 v2, v5, v2
	v_mul_f32_e32 v5, v4, v2
	v_fma_f32 v9, -v1, v5, v4
	v_fmac_f32_e32 v5, v9, v2
	v_fma_f32 v1, -v1, v5, v4
	v_div_fmas_f32 v1, v1, v2, v5
	v_div_fixup_f32 v1, v1, v3, v8
	v_fmac_f32_e32 v3, v8, v1
	v_div_scale_f32 v2, s[12:13], v3, v3, 1.0
	v_rcp_f32_e32 v4, v2
	v_fma_f32 v5, -v2, v4, 1.0
	v_fmac_f32_e32 v4, v5, v4
	v_div_scale_f32 v5, vcc, 1.0, v3, 1.0
	v_mul_f32_e32 v8, v5, v4
	v_fma_f32 v9, -v2, v8, v5
	v_fmac_f32_e32 v8, v9, v4
	v_fma_f32 v2, -v2, v8, v5
	v_div_fmas_f32 v2, v2, v4, v8
	v_div_fixup_f32 v4, v2, v3, 1.0
	v_xor_b32_e32 v2, 0x80000000, v4
	v_mul_f32_e64 v1, v1, -v4
.LBB47_17:
	s_or_b64 exec, exec, s[6:7]
	buffer_store_dword v1, v7, s[0:3], 0 offen offset:4
	buffer_store_dword v4, v7, s[0:3], 0 offen
	buffer_load_dword v5, off, s[0:3], 0 offset:12
	s_nop 0
	buffer_load_dword v4, off, s[0:3], 0 offset:8
	v_xor_b32_e32 v3, 0x80000000, v1
	v_add_u32_e32 v1, 0x180, v6
	s_waitcnt vmcnt(0)
	ds_write2_b64 v6, v[2:3], v[4:5] offset1:48
	s_waitcnt lgkmcnt(0)
	; wave barrier
	s_waitcnt lgkmcnt(0)
	s_and_saveexec_b64 s[6:7], s[4:5]
	s_cbranch_execz .LBB47_19
; %bb.18:
	buffer_load_dword v8, v7, s[0:3], 0 offen offset:4
	buffer_load_dword v9, v7, s[0:3], 0 offen
	ds_read_b64 v[2:3], v1
	v_mov_b32_e32 v4, 0
	ds_read_b64 v[4:5], v4 offset:8
	s_waitcnt vmcnt(1) lgkmcnt(1)
	v_mul_f32_e32 v10, v3, v8
	v_mul_f32_e32 v8, v2, v8
	s_waitcnt vmcnt(0)
	v_fmac_f32_e32 v8, v3, v9
	v_fma_f32 v2, v2, v9, -v10
	v_add_f32_e32 v3, 0, v8
	v_add_f32_e32 v2, 0, v2
	s_waitcnt lgkmcnt(0)
	v_mul_f32_e32 v8, v3, v5
	v_mul_f32_e32 v5, v2, v5
	v_fma_f32 v2, v2, v4, -v8
	v_fmac_f32_e32 v5, v3, v4
	buffer_store_dword v2, off, s[0:3], 0 offset:8
	buffer_store_dword v5, off, s[0:3], 0 offset:12
.LBB47_19:
	s_or_b64 exec, exec, s[6:7]
	s_waitcnt lgkmcnt(0)
	; wave barrier
	buffer_load_dword v2, off, s[0:3], 0 offset:16
	buffer_load_dword v3, off, s[0:3], 0 offset:20
	v_cmp_gt_u32_e32 vcc, 2, v0
	s_waitcnt vmcnt(0)
	ds_write_b64 v1, v[2:3]
	s_waitcnt lgkmcnt(0)
	; wave barrier
	s_waitcnt lgkmcnt(0)
	s_and_saveexec_b64 s[6:7], vcc
	s_cbranch_execz .LBB47_23
; %bb.20:
	buffer_load_dword v4, v7, s[0:3], 0 offen offset:4
	buffer_load_dword v5, v7, s[0:3], 0 offen
	ds_read_b64 v[2:3], v1
	s_waitcnt vmcnt(1) lgkmcnt(0)
	v_mul_f32_e32 v7, v3, v4
	v_mul_f32_e32 v4, v2, v4
	s_waitcnt vmcnt(0)
	v_fma_f32 v2, v2, v5, -v7
	v_fmac_f32_e32 v4, v3, v5
	v_add_f32_e32 v3, 0, v2
	v_add_f32_e32 v2, 0, v4
	s_and_saveexec_b64 s[12:13], s[4:5]
	s_cbranch_execz .LBB47_22
; %bb.21:
	buffer_load_dword v7, off, s[0:3], 0 offset:12
	buffer_load_dword v8, off, s[0:3], 0 offset:8
	v_mov_b32_e32 v4, 0
	ds_read_b64 v[4:5], v4 offset:392
	s_waitcnt vmcnt(1) lgkmcnt(0)
	v_mul_f32_e32 v9, v4, v7
	v_mul_f32_e32 v7, v5, v7
	s_waitcnt vmcnt(0)
	v_fmac_f32_e32 v9, v5, v8
	v_fma_f32 v4, v4, v8, -v7
	v_add_f32_e32 v2, v2, v9
	v_add_f32_e32 v3, v3, v4
.LBB47_22:
	s_or_b64 exec, exec, s[12:13]
	v_mov_b32_e32 v4, 0
	ds_read_b64 v[4:5], v4 offset:16
	s_waitcnt lgkmcnt(0)
	v_mul_f32_e32 v7, v2, v5
	v_mul_f32_e32 v5, v3, v5
	v_fma_f32 v3, v3, v4, -v7
	v_fmac_f32_e32 v5, v2, v4
	buffer_store_dword v3, off, s[0:3], 0 offset:16
	buffer_store_dword v5, off, s[0:3], 0 offset:20
.LBB47_23:
	s_or_b64 exec, exec, s[6:7]
	s_waitcnt lgkmcnt(0)
	; wave barrier
	buffer_load_dword v2, off, s[0:3], 0 offset:24
	buffer_load_dword v3, off, s[0:3], 0 offset:28
	v_cmp_gt_u32_e32 vcc, 3, v0
	s_waitcnt vmcnt(0)
	ds_write_b64 v1, v[2:3]
	v_add_u32_e32 v2, -1, v0
	s_waitcnt lgkmcnt(0)
	; wave barrier
	s_waitcnt lgkmcnt(0)
	s_and_saveexec_b64 s[4:5], vcc
	s_cbranch_execz .LBB47_27
; %bb.24:
	v_add_u32_e32 v4, -1, v0
	v_add_u32_e32 v5, 0x180, v6
	v_add_u32_e32 v7, 0, v6
	s_mov_b64 s[6:7], 0
	v_mov_b32_e32 v3, 0
	v_mov_b32_e32 v8, 0
.LBB47_25:                              ; =>This Inner Loop Header: Depth=1
	buffer_load_dword v9, v7, s[0:3], 0 offen offset:4
	buffer_load_dword v12, v7, s[0:3], 0 offen
	ds_read_b64 v[10:11], v5
	v_add_u32_e32 v4, 1, v4
	v_cmp_lt_u32_e32 vcc, 1, v4
	v_add_u32_e32 v5, 8, v5
	v_add_u32_e32 v7, 8, v7
	s_or_b64 s[6:7], vcc, s[6:7]
	s_waitcnt vmcnt(1) lgkmcnt(0)
	v_mul_f32_e32 v13, v11, v9
	v_mul_f32_e32 v9, v10, v9
	s_waitcnt vmcnt(0)
	v_fma_f32 v10, v10, v12, -v13
	v_fmac_f32_e32 v9, v11, v12
	v_add_f32_e32 v8, v8, v10
	v_add_f32_e32 v3, v3, v9
	s_andn2_b64 exec, exec, s[6:7]
	s_cbranch_execnz .LBB47_25
; %bb.26:
	s_or_b64 exec, exec, s[6:7]
	v_mov_b32_e32 v4, 0
	ds_read_b64 v[4:5], v4 offset:24
	s_waitcnt lgkmcnt(0)
	v_mul_f32_e32 v7, v3, v5
	v_mul_f32_e32 v5, v8, v5
	v_fma_f32 v7, v8, v4, -v7
	v_fmac_f32_e32 v5, v3, v4
	buffer_store_dword v7, off, s[0:3], 0 offset:24
	buffer_store_dword v5, off, s[0:3], 0 offset:28
.LBB47_27:
	s_or_b64 exec, exec, s[4:5]
	s_waitcnt lgkmcnt(0)
	; wave barrier
	buffer_load_dword v4, off, s[0:3], 0 offset:32
	buffer_load_dword v5, off, s[0:3], 0 offset:36
	v_cmp_gt_u32_e32 vcc, 4, v0
	s_waitcnt vmcnt(0)
	ds_write_b64 v1, v[4:5]
	s_waitcnt lgkmcnt(0)
	; wave barrier
	s_waitcnt lgkmcnt(0)
	s_and_saveexec_b64 s[4:5], vcc
	s_cbranch_execz .LBB47_31
; %bb.28:
	v_add_u32_e32 v4, -1, v0
	v_add_u32_e32 v5, 0x180, v6
	v_add_u32_e32 v7, 0, v6
	s_mov_b64 s[6:7], 0
	v_mov_b32_e32 v3, 0
	v_mov_b32_e32 v8, 0
.LBB47_29:                              ; =>This Inner Loop Header: Depth=1
	buffer_load_dword v9, v7, s[0:3], 0 offen offset:4
	buffer_load_dword v12, v7, s[0:3], 0 offen
	ds_read_b64 v[10:11], v5
	v_add_u32_e32 v4, 1, v4
	v_cmp_lt_u32_e32 vcc, 2, v4
	v_add_u32_e32 v5, 8, v5
	v_add_u32_e32 v7, 8, v7
	s_or_b64 s[6:7], vcc, s[6:7]
	s_waitcnt vmcnt(1) lgkmcnt(0)
	v_mul_f32_e32 v13, v11, v9
	v_mul_f32_e32 v9, v10, v9
	s_waitcnt vmcnt(0)
	v_fma_f32 v10, v10, v12, -v13
	v_fmac_f32_e32 v9, v11, v12
	v_add_f32_e32 v8, v8, v10
	v_add_f32_e32 v3, v3, v9
	s_andn2_b64 exec, exec, s[6:7]
	s_cbranch_execnz .LBB47_29
; %bb.30:
	s_or_b64 exec, exec, s[6:7]
	v_mov_b32_e32 v4, 0
	ds_read_b64 v[4:5], v4 offset:32
	s_waitcnt lgkmcnt(0)
	v_mul_f32_e32 v7, v3, v5
	v_mul_f32_e32 v5, v8, v5
	v_fma_f32 v7, v8, v4, -v7
	v_fmac_f32_e32 v5, v3, v4
	buffer_store_dword v7, off, s[0:3], 0 offset:32
	buffer_store_dword v5, off, s[0:3], 0 offset:36
.LBB47_31:
	s_or_b64 exec, exec, s[4:5]
	s_waitcnt lgkmcnt(0)
	; wave barrier
	buffer_load_dword v4, off, s[0:3], 0 offset:40
	buffer_load_dword v5, off, s[0:3], 0 offset:44
	v_cmp_gt_u32_e32 vcc, 5, v0
	s_waitcnt vmcnt(0)
	ds_write_b64 v1, v[4:5]
	s_waitcnt lgkmcnt(0)
	; wave barrier
	s_waitcnt lgkmcnt(0)
	s_and_saveexec_b64 s[4:5], vcc
	s_cbranch_execz .LBB47_35
; %bb.32:
	v_add_u32_e32 v4, -1, v0
	v_add_u32_e32 v5, 0x180, v6
	v_add_u32_e32 v7, 0, v6
	s_mov_b64 s[6:7], 0
	v_mov_b32_e32 v3, 0
	v_mov_b32_e32 v8, 0
.LBB47_33:                              ; =>This Inner Loop Header: Depth=1
	buffer_load_dword v9, v7, s[0:3], 0 offen offset:4
	buffer_load_dword v12, v7, s[0:3], 0 offen
	ds_read_b64 v[10:11], v5
	v_add_u32_e32 v4, 1, v4
	v_cmp_lt_u32_e32 vcc, 3, v4
	v_add_u32_e32 v5, 8, v5
	v_add_u32_e32 v7, 8, v7
	s_or_b64 s[6:7], vcc, s[6:7]
	s_waitcnt vmcnt(1) lgkmcnt(0)
	v_mul_f32_e32 v13, v11, v9
	v_mul_f32_e32 v9, v10, v9
	s_waitcnt vmcnt(0)
	v_fma_f32 v10, v10, v12, -v13
	v_fmac_f32_e32 v9, v11, v12
	v_add_f32_e32 v8, v8, v10
	v_add_f32_e32 v3, v3, v9
	s_andn2_b64 exec, exec, s[6:7]
	s_cbranch_execnz .LBB47_33
; %bb.34:
	s_or_b64 exec, exec, s[6:7]
	v_mov_b32_e32 v4, 0
	ds_read_b64 v[4:5], v4 offset:40
	s_waitcnt lgkmcnt(0)
	v_mul_f32_e32 v7, v3, v5
	v_mul_f32_e32 v5, v8, v5
	v_fma_f32 v7, v8, v4, -v7
	v_fmac_f32_e32 v5, v3, v4
	buffer_store_dword v7, off, s[0:3], 0 offset:40
	buffer_store_dword v5, off, s[0:3], 0 offset:44
.LBB47_35:
	s_or_b64 exec, exec, s[4:5]
	s_waitcnt lgkmcnt(0)
	; wave barrier
	buffer_load_dword v4, off, s[0:3], 0 offset:48
	buffer_load_dword v5, off, s[0:3], 0 offset:52
	v_cmp_gt_u32_e32 vcc, 6, v0
	s_waitcnt vmcnt(0)
	ds_write_b64 v1, v[4:5]
	s_waitcnt lgkmcnt(0)
	; wave barrier
	s_waitcnt lgkmcnt(0)
	s_and_saveexec_b64 s[4:5], vcc
	s_cbranch_execz .LBB47_39
; %bb.36:
	v_add_u32_e32 v4, -1, v0
	v_add_u32_e32 v5, 0x180, v6
	v_add_u32_e32 v7, 0, v6
	s_mov_b64 s[6:7], 0
	v_mov_b32_e32 v3, 0
	v_mov_b32_e32 v8, 0
.LBB47_37:                              ; =>This Inner Loop Header: Depth=1
	buffer_load_dword v9, v7, s[0:3], 0 offen offset:4
	buffer_load_dword v12, v7, s[0:3], 0 offen
	ds_read_b64 v[10:11], v5
	v_add_u32_e32 v4, 1, v4
	v_cmp_lt_u32_e32 vcc, 4, v4
	v_add_u32_e32 v5, 8, v5
	v_add_u32_e32 v7, 8, v7
	s_or_b64 s[6:7], vcc, s[6:7]
	s_waitcnt vmcnt(1) lgkmcnt(0)
	v_mul_f32_e32 v13, v11, v9
	v_mul_f32_e32 v9, v10, v9
	s_waitcnt vmcnt(0)
	v_fma_f32 v10, v10, v12, -v13
	v_fmac_f32_e32 v9, v11, v12
	v_add_f32_e32 v8, v8, v10
	v_add_f32_e32 v3, v3, v9
	s_andn2_b64 exec, exec, s[6:7]
	s_cbranch_execnz .LBB47_37
; %bb.38:
	s_or_b64 exec, exec, s[6:7]
	v_mov_b32_e32 v4, 0
	ds_read_b64 v[4:5], v4 offset:48
	s_waitcnt lgkmcnt(0)
	v_mul_f32_e32 v7, v3, v5
	v_mul_f32_e32 v5, v8, v5
	v_fma_f32 v7, v8, v4, -v7
	v_fmac_f32_e32 v5, v3, v4
	buffer_store_dword v7, off, s[0:3], 0 offset:48
	buffer_store_dword v5, off, s[0:3], 0 offset:52
.LBB47_39:
	s_or_b64 exec, exec, s[4:5]
	s_waitcnt lgkmcnt(0)
	; wave barrier
	buffer_load_dword v4, off, s[0:3], 0 offset:56
	buffer_load_dword v5, off, s[0:3], 0 offset:60
	v_cmp_gt_u32_e32 vcc, 7, v0
	s_waitcnt vmcnt(0)
	ds_write_b64 v1, v[4:5]
	s_waitcnt lgkmcnt(0)
	; wave barrier
	s_waitcnt lgkmcnt(0)
	s_and_saveexec_b64 s[4:5], vcc
	s_cbranch_execz .LBB47_43
; %bb.40:
	v_add_u32_e32 v4, -1, v0
	v_add_u32_e32 v5, 0x180, v6
	v_add_u32_e32 v7, 0, v6
	s_mov_b64 s[6:7], 0
	v_mov_b32_e32 v3, 0
	v_mov_b32_e32 v8, 0
.LBB47_41:                              ; =>This Inner Loop Header: Depth=1
	buffer_load_dword v9, v7, s[0:3], 0 offen offset:4
	buffer_load_dword v12, v7, s[0:3], 0 offen
	ds_read_b64 v[10:11], v5
	v_add_u32_e32 v4, 1, v4
	v_cmp_lt_u32_e32 vcc, 5, v4
	v_add_u32_e32 v5, 8, v5
	v_add_u32_e32 v7, 8, v7
	s_or_b64 s[6:7], vcc, s[6:7]
	s_waitcnt vmcnt(1) lgkmcnt(0)
	v_mul_f32_e32 v13, v11, v9
	v_mul_f32_e32 v9, v10, v9
	s_waitcnt vmcnt(0)
	v_fma_f32 v10, v10, v12, -v13
	v_fmac_f32_e32 v9, v11, v12
	v_add_f32_e32 v8, v8, v10
	v_add_f32_e32 v3, v3, v9
	s_andn2_b64 exec, exec, s[6:7]
	s_cbranch_execnz .LBB47_41
; %bb.42:
	s_or_b64 exec, exec, s[6:7]
	v_mov_b32_e32 v4, 0
	ds_read_b64 v[4:5], v4 offset:56
	s_waitcnt lgkmcnt(0)
	v_mul_f32_e32 v7, v3, v5
	v_mul_f32_e32 v5, v8, v5
	v_fma_f32 v7, v8, v4, -v7
	v_fmac_f32_e32 v5, v3, v4
	buffer_store_dword v7, off, s[0:3], 0 offset:56
	buffer_store_dword v5, off, s[0:3], 0 offset:60
.LBB47_43:
	s_or_b64 exec, exec, s[4:5]
	s_waitcnt lgkmcnt(0)
	; wave barrier
	buffer_load_dword v4, off, s[0:3], 0 offset:64
	buffer_load_dword v5, off, s[0:3], 0 offset:68
	v_cmp_gt_u32_e32 vcc, 8, v0
	s_waitcnt vmcnt(0)
	ds_write_b64 v1, v[4:5]
	s_waitcnt lgkmcnt(0)
	; wave barrier
	s_waitcnt lgkmcnt(0)
	s_and_saveexec_b64 s[4:5], vcc
	s_cbranch_execz .LBB47_47
; %bb.44:
	v_add_u32_e32 v4, -1, v0
	v_add_u32_e32 v5, 0x180, v6
	v_add_u32_e32 v7, 0, v6
	s_mov_b64 s[6:7], 0
	v_mov_b32_e32 v3, 0
	v_mov_b32_e32 v8, 0
.LBB47_45:                              ; =>This Inner Loop Header: Depth=1
	buffer_load_dword v9, v7, s[0:3], 0 offen offset:4
	buffer_load_dword v12, v7, s[0:3], 0 offen
	ds_read_b64 v[10:11], v5
	v_add_u32_e32 v4, 1, v4
	v_cmp_lt_u32_e32 vcc, 6, v4
	v_add_u32_e32 v5, 8, v5
	v_add_u32_e32 v7, 8, v7
	s_or_b64 s[6:7], vcc, s[6:7]
	s_waitcnt vmcnt(1) lgkmcnt(0)
	v_mul_f32_e32 v13, v11, v9
	v_mul_f32_e32 v9, v10, v9
	s_waitcnt vmcnt(0)
	v_fma_f32 v10, v10, v12, -v13
	v_fmac_f32_e32 v9, v11, v12
	v_add_f32_e32 v8, v8, v10
	v_add_f32_e32 v3, v3, v9
	s_andn2_b64 exec, exec, s[6:7]
	s_cbranch_execnz .LBB47_45
; %bb.46:
	s_or_b64 exec, exec, s[6:7]
	v_mov_b32_e32 v4, 0
	ds_read_b64 v[4:5], v4 offset:64
	s_waitcnt lgkmcnt(0)
	v_mul_f32_e32 v7, v3, v5
	v_mul_f32_e32 v5, v8, v5
	v_fma_f32 v7, v8, v4, -v7
	v_fmac_f32_e32 v5, v3, v4
	buffer_store_dword v7, off, s[0:3], 0 offset:64
	buffer_store_dword v5, off, s[0:3], 0 offset:68
.LBB47_47:
	s_or_b64 exec, exec, s[4:5]
	s_waitcnt lgkmcnt(0)
	; wave barrier
	buffer_load_dword v4, off, s[0:3], 0 offset:72
	buffer_load_dword v5, off, s[0:3], 0 offset:76
	v_cmp_gt_u32_e32 vcc, 9, v0
	s_waitcnt vmcnt(0)
	ds_write_b64 v1, v[4:5]
	s_waitcnt lgkmcnt(0)
	; wave barrier
	s_waitcnt lgkmcnt(0)
	s_and_saveexec_b64 s[4:5], vcc
	s_cbranch_execz .LBB47_51
; %bb.48:
	v_add_u32_e32 v4, -1, v0
	v_add_u32_e32 v5, 0x180, v6
	v_add_u32_e32 v7, 0, v6
	s_mov_b64 s[6:7], 0
	v_mov_b32_e32 v3, 0
	v_mov_b32_e32 v8, 0
.LBB47_49:                              ; =>This Inner Loop Header: Depth=1
	buffer_load_dword v9, v7, s[0:3], 0 offen offset:4
	buffer_load_dword v12, v7, s[0:3], 0 offen
	ds_read_b64 v[10:11], v5
	v_add_u32_e32 v4, 1, v4
	v_cmp_lt_u32_e32 vcc, 7, v4
	v_add_u32_e32 v5, 8, v5
	v_add_u32_e32 v7, 8, v7
	s_or_b64 s[6:7], vcc, s[6:7]
	s_waitcnt vmcnt(1) lgkmcnt(0)
	v_mul_f32_e32 v13, v11, v9
	v_mul_f32_e32 v9, v10, v9
	s_waitcnt vmcnt(0)
	v_fma_f32 v10, v10, v12, -v13
	v_fmac_f32_e32 v9, v11, v12
	v_add_f32_e32 v8, v8, v10
	v_add_f32_e32 v3, v3, v9
	s_andn2_b64 exec, exec, s[6:7]
	s_cbranch_execnz .LBB47_49
; %bb.50:
	s_or_b64 exec, exec, s[6:7]
	v_mov_b32_e32 v4, 0
	ds_read_b64 v[4:5], v4 offset:72
	s_waitcnt lgkmcnt(0)
	v_mul_f32_e32 v7, v3, v5
	v_mul_f32_e32 v5, v8, v5
	v_fma_f32 v7, v8, v4, -v7
	v_fmac_f32_e32 v5, v3, v4
	buffer_store_dword v7, off, s[0:3], 0 offset:72
	buffer_store_dword v5, off, s[0:3], 0 offset:76
.LBB47_51:
	s_or_b64 exec, exec, s[4:5]
	s_waitcnt lgkmcnt(0)
	; wave barrier
	buffer_load_dword v4, off, s[0:3], 0 offset:80
	buffer_load_dword v5, off, s[0:3], 0 offset:84
	v_cmp_gt_u32_e32 vcc, 10, v0
	s_waitcnt vmcnt(0)
	ds_write_b64 v1, v[4:5]
	s_waitcnt lgkmcnt(0)
	; wave barrier
	s_waitcnt lgkmcnt(0)
	s_and_saveexec_b64 s[4:5], vcc
	s_cbranch_execz .LBB47_55
; %bb.52:
	v_add_u32_e32 v4, -1, v0
	v_add_u32_e32 v5, 0x180, v6
	v_add_u32_e32 v7, 0, v6
	s_mov_b64 s[6:7], 0
	v_mov_b32_e32 v3, 0
	v_mov_b32_e32 v8, 0
.LBB47_53:                              ; =>This Inner Loop Header: Depth=1
	buffer_load_dword v9, v7, s[0:3], 0 offen offset:4
	buffer_load_dword v12, v7, s[0:3], 0 offen
	ds_read_b64 v[10:11], v5
	v_add_u32_e32 v4, 1, v4
	v_cmp_lt_u32_e32 vcc, 8, v4
	v_add_u32_e32 v5, 8, v5
	v_add_u32_e32 v7, 8, v7
	s_or_b64 s[6:7], vcc, s[6:7]
	s_waitcnt vmcnt(1) lgkmcnt(0)
	v_mul_f32_e32 v13, v11, v9
	v_mul_f32_e32 v9, v10, v9
	s_waitcnt vmcnt(0)
	v_fma_f32 v10, v10, v12, -v13
	v_fmac_f32_e32 v9, v11, v12
	v_add_f32_e32 v8, v8, v10
	v_add_f32_e32 v3, v3, v9
	s_andn2_b64 exec, exec, s[6:7]
	s_cbranch_execnz .LBB47_53
; %bb.54:
	s_or_b64 exec, exec, s[6:7]
	v_mov_b32_e32 v4, 0
	ds_read_b64 v[4:5], v4 offset:80
	s_waitcnt lgkmcnt(0)
	v_mul_f32_e32 v7, v3, v5
	v_mul_f32_e32 v5, v8, v5
	v_fma_f32 v7, v8, v4, -v7
	v_fmac_f32_e32 v5, v3, v4
	buffer_store_dword v7, off, s[0:3], 0 offset:80
	buffer_store_dword v5, off, s[0:3], 0 offset:84
.LBB47_55:
	s_or_b64 exec, exec, s[4:5]
	s_waitcnt lgkmcnt(0)
	; wave barrier
	buffer_load_dword v4, off, s[0:3], 0 offset:88
	buffer_load_dword v5, off, s[0:3], 0 offset:92
	v_cmp_gt_u32_e32 vcc, 11, v0
	s_waitcnt vmcnt(0)
	ds_write_b64 v1, v[4:5]
	s_waitcnt lgkmcnt(0)
	; wave barrier
	s_waitcnt lgkmcnt(0)
	s_and_saveexec_b64 s[4:5], vcc
	s_cbranch_execz .LBB47_59
; %bb.56:
	v_add_u32_e32 v4, -1, v0
	v_add_u32_e32 v5, 0x180, v6
	v_add_u32_e32 v7, 0, v6
	s_mov_b64 s[6:7], 0
	v_mov_b32_e32 v3, 0
	v_mov_b32_e32 v8, 0
.LBB47_57:                              ; =>This Inner Loop Header: Depth=1
	buffer_load_dword v9, v7, s[0:3], 0 offen offset:4
	buffer_load_dword v12, v7, s[0:3], 0 offen
	ds_read_b64 v[10:11], v5
	v_add_u32_e32 v4, 1, v4
	v_cmp_lt_u32_e32 vcc, 9, v4
	v_add_u32_e32 v5, 8, v5
	v_add_u32_e32 v7, 8, v7
	s_or_b64 s[6:7], vcc, s[6:7]
	s_waitcnt vmcnt(1) lgkmcnt(0)
	v_mul_f32_e32 v13, v11, v9
	v_mul_f32_e32 v9, v10, v9
	s_waitcnt vmcnt(0)
	v_fma_f32 v10, v10, v12, -v13
	v_fmac_f32_e32 v9, v11, v12
	v_add_f32_e32 v8, v8, v10
	v_add_f32_e32 v3, v3, v9
	s_andn2_b64 exec, exec, s[6:7]
	s_cbranch_execnz .LBB47_57
; %bb.58:
	s_or_b64 exec, exec, s[6:7]
	v_mov_b32_e32 v4, 0
	ds_read_b64 v[4:5], v4 offset:88
	s_waitcnt lgkmcnt(0)
	v_mul_f32_e32 v7, v3, v5
	v_mul_f32_e32 v5, v8, v5
	v_fma_f32 v7, v8, v4, -v7
	v_fmac_f32_e32 v5, v3, v4
	buffer_store_dword v7, off, s[0:3], 0 offset:88
	buffer_store_dword v5, off, s[0:3], 0 offset:92
.LBB47_59:
	s_or_b64 exec, exec, s[4:5]
	s_waitcnt lgkmcnt(0)
	; wave barrier
	buffer_load_dword v4, off, s[0:3], 0 offset:96
	buffer_load_dword v5, off, s[0:3], 0 offset:100
	v_cmp_gt_u32_e32 vcc, 12, v0
	s_waitcnt vmcnt(0)
	ds_write_b64 v1, v[4:5]
	s_waitcnt lgkmcnt(0)
	; wave barrier
	s_waitcnt lgkmcnt(0)
	s_and_saveexec_b64 s[4:5], vcc
	s_cbranch_execz .LBB47_63
; %bb.60:
	v_add_u32_e32 v4, -1, v0
	v_add_u32_e32 v5, 0x180, v6
	v_add_u32_e32 v7, 0, v6
	s_mov_b64 s[6:7], 0
	v_mov_b32_e32 v3, 0
	v_mov_b32_e32 v8, 0
.LBB47_61:                              ; =>This Inner Loop Header: Depth=1
	buffer_load_dword v9, v7, s[0:3], 0 offen offset:4
	buffer_load_dword v12, v7, s[0:3], 0 offen
	ds_read_b64 v[10:11], v5
	v_add_u32_e32 v4, 1, v4
	v_cmp_lt_u32_e32 vcc, 10, v4
	v_add_u32_e32 v5, 8, v5
	v_add_u32_e32 v7, 8, v7
	s_or_b64 s[6:7], vcc, s[6:7]
	s_waitcnt vmcnt(1) lgkmcnt(0)
	v_mul_f32_e32 v13, v11, v9
	v_mul_f32_e32 v9, v10, v9
	s_waitcnt vmcnt(0)
	v_fma_f32 v10, v10, v12, -v13
	v_fmac_f32_e32 v9, v11, v12
	v_add_f32_e32 v8, v8, v10
	v_add_f32_e32 v3, v3, v9
	s_andn2_b64 exec, exec, s[6:7]
	s_cbranch_execnz .LBB47_61
; %bb.62:
	s_or_b64 exec, exec, s[6:7]
	v_mov_b32_e32 v4, 0
	ds_read_b64 v[4:5], v4 offset:96
	s_waitcnt lgkmcnt(0)
	v_mul_f32_e32 v7, v3, v5
	v_mul_f32_e32 v5, v8, v5
	v_fma_f32 v7, v8, v4, -v7
	v_fmac_f32_e32 v5, v3, v4
	buffer_store_dword v7, off, s[0:3], 0 offset:96
	buffer_store_dword v5, off, s[0:3], 0 offset:100
.LBB47_63:
	s_or_b64 exec, exec, s[4:5]
	s_waitcnt lgkmcnt(0)
	; wave barrier
	buffer_load_dword v4, off, s[0:3], 0 offset:104
	buffer_load_dword v5, off, s[0:3], 0 offset:108
	v_cmp_gt_u32_e32 vcc, 13, v0
	s_waitcnt vmcnt(0)
	ds_write_b64 v1, v[4:5]
	s_waitcnt lgkmcnt(0)
	; wave barrier
	s_waitcnt lgkmcnt(0)
	s_and_saveexec_b64 s[4:5], vcc
	s_cbranch_execz .LBB47_67
; %bb.64:
	v_add_u32_e32 v4, -1, v0
	v_add_u32_e32 v5, 0x180, v6
	v_add_u32_e32 v7, 0, v6
	s_mov_b64 s[6:7], 0
	v_mov_b32_e32 v3, 0
	v_mov_b32_e32 v8, 0
.LBB47_65:                              ; =>This Inner Loop Header: Depth=1
	buffer_load_dword v9, v7, s[0:3], 0 offen offset:4
	buffer_load_dword v12, v7, s[0:3], 0 offen
	ds_read_b64 v[10:11], v5
	v_add_u32_e32 v4, 1, v4
	v_cmp_lt_u32_e32 vcc, 11, v4
	v_add_u32_e32 v5, 8, v5
	v_add_u32_e32 v7, 8, v7
	s_or_b64 s[6:7], vcc, s[6:7]
	s_waitcnt vmcnt(1) lgkmcnt(0)
	v_mul_f32_e32 v13, v11, v9
	v_mul_f32_e32 v9, v10, v9
	s_waitcnt vmcnt(0)
	v_fma_f32 v10, v10, v12, -v13
	v_fmac_f32_e32 v9, v11, v12
	v_add_f32_e32 v8, v8, v10
	v_add_f32_e32 v3, v3, v9
	s_andn2_b64 exec, exec, s[6:7]
	s_cbranch_execnz .LBB47_65
; %bb.66:
	s_or_b64 exec, exec, s[6:7]
	v_mov_b32_e32 v4, 0
	ds_read_b64 v[4:5], v4 offset:104
	s_waitcnt lgkmcnt(0)
	v_mul_f32_e32 v7, v3, v5
	v_mul_f32_e32 v5, v8, v5
	v_fma_f32 v7, v8, v4, -v7
	v_fmac_f32_e32 v5, v3, v4
	buffer_store_dword v7, off, s[0:3], 0 offset:104
	buffer_store_dword v5, off, s[0:3], 0 offset:108
.LBB47_67:
	s_or_b64 exec, exec, s[4:5]
	s_waitcnt lgkmcnt(0)
	; wave barrier
	buffer_load_dword v4, off, s[0:3], 0 offset:112
	buffer_load_dword v5, off, s[0:3], 0 offset:116
	v_cmp_gt_u32_e32 vcc, 14, v0
	s_waitcnt vmcnt(0)
	ds_write_b64 v1, v[4:5]
	s_waitcnt lgkmcnt(0)
	; wave barrier
	s_waitcnt lgkmcnt(0)
	s_and_saveexec_b64 s[4:5], vcc
	s_cbranch_execz .LBB47_71
; %bb.68:
	v_add_u32_e32 v4, -1, v0
	v_add_u32_e32 v5, 0x180, v6
	v_add_u32_e32 v7, 0, v6
	s_mov_b64 s[6:7], 0
	v_mov_b32_e32 v3, 0
	v_mov_b32_e32 v8, 0
.LBB47_69:                              ; =>This Inner Loop Header: Depth=1
	buffer_load_dword v9, v7, s[0:3], 0 offen offset:4
	buffer_load_dword v12, v7, s[0:3], 0 offen
	ds_read_b64 v[10:11], v5
	v_add_u32_e32 v4, 1, v4
	v_cmp_lt_u32_e32 vcc, 12, v4
	v_add_u32_e32 v5, 8, v5
	v_add_u32_e32 v7, 8, v7
	s_or_b64 s[6:7], vcc, s[6:7]
	s_waitcnt vmcnt(1) lgkmcnt(0)
	v_mul_f32_e32 v13, v11, v9
	v_mul_f32_e32 v9, v10, v9
	s_waitcnt vmcnt(0)
	v_fma_f32 v10, v10, v12, -v13
	v_fmac_f32_e32 v9, v11, v12
	v_add_f32_e32 v8, v8, v10
	v_add_f32_e32 v3, v3, v9
	s_andn2_b64 exec, exec, s[6:7]
	s_cbranch_execnz .LBB47_69
; %bb.70:
	s_or_b64 exec, exec, s[6:7]
	v_mov_b32_e32 v4, 0
	ds_read_b64 v[4:5], v4 offset:112
	s_waitcnt lgkmcnt(0)
	v_mul_f32_e32 v7, v3, v5
	v_mul_f32_e32 v5, v8, v5
	v_fma_f32 v7, v8, v4, -v7
	v_fmac_f32_e32 v5, v3, v4
	buffer_store_dword v7, off, s[0:3], 0 offset:112
	buffer_store_dword v5, off, s[0:3], 0 offset:116
.LBB47_71:
	s_or_b64 exec, exec, s[4:5]
	s_waitcnt lgkmcnt(0)
	; wave barrier
	buffer_load_dword v4, off, s[0:3], 0 offset:120
	buffer_load_dword v5, off, s[0:3], 0 offset:124
	v_cmp_gt_u32_e32 vcc, 15, v0
	s_waitcnt vmcnt(0)
	ds_write_b64 v1, v[4:5]
	s_waitcnt lgkmcnt(0)
	; wave barrier
	s_waitcnt lgkmcnt(0)
	s_and_saveexec_b64 s[4:5], vcc
	s_cbranch_execz .LBB47_75
; %bb.72:
	v_add_u32_e32 v4, -1, v0
	v_add_u32_e32 v5, 0x180, v6
	v_add_u32_e32 v7, 0, v6
	s_mov_b64 s[6:7], 0
	v_mov_b32_e32 v3, 0
	v_mov_b32_e32 v8, 0
.LBB47_73:                              ; =>This Inner Loop Header: Depth=1
	buffer_load_dword v9, v7, s[0:3], 0 offen offset:4
	buffer_load_dword v12, v7, s[0:3], 0 offen
	ds_read_b64 v[10:11], v5
	v_add_u32_e32 v4, 1, v4
	v_cmp_lt_u32_e32 vcc, 13, v4
	v_add_u32_e32 v5, 8, v5
	v_add_u32_e32 v7, 8, v7
	s_or_b64 s[6:7], vcc, s[6:7]
	s_waitcnt vmcnt(1) lgkmcnt(0)
	v_mul_f32_e32 v13, v11, v9
	v_mul_f32_e32 v9, v10, v9
	s_waitcnt vmcnt(0)
	v_fma_f32 v10, v10, v12, -v13
	v_fmac_f32_e32 v9, v11, v12
	v_add_f32_e32 v8, v8, v10
	v_add_f32_e32 v3, v3, v9
	s_andn2_b64 exec, exec, s[6:7]
	s_cbranch_execnz .LBB47_73
; %bb.74:
	s_or_b64 exec, exec, s[6:7]
	v_mov_b32_e32 v4, 0
	ds_read_b64 v[4:5], v4 offset:120
	s_waitcnt lgkmcnt(0)
	v_mul_f32_e32 v7, v3, v5
	v_mul_f32_e32 v5, v8, v5
	v_fma_f32 v7, v8, v4, -v7
	v_fmac_f32_e32 v5, v3, v4
	buffer_store_dword v7, off, s[0:3], 0 offset:120
	buffer_store_dword v5, off, s[0:3], 0 offset:124
.LBB47_75:
	s_or_b64 exec, exec, s[4:5]
	s_waitcnt lgkmcnt(0)
	; wave barrier
	buffer_load_dword v4, off, s[0:3], 0 offset:128
	buffer_load_dword v5, off, s[0:3], 0 offset:132
	v_cmp_gt_u32_e32 vcc, 16, v0
	s_waitcnt vmcnt(0)
	ds_write_b64 v1, v[4:5]
	s_waitcnt lgkmcnt(0)
	; wave barrier
	s_waitcnt lgkmcnt(0)
	s_and_saveexec_b64 s[4:5], vcc
	s_cbranch_execz .LBB47_79
; %bb.76:
	v_add_u32_e32 v4, -1, v0
	v_add_u32_e32 v5, 0x180, v6
	v_add_u32_e32 v7, 0, v6
	s_mov_b64 s[6:7], 0
	v_mov_b32_e32 v3, 0
	v_mov_b32_e32 v8, 0
.LBB47_77:                              ; =>This Inner Loop Header: Depth=1
	buffer_load_dword v9, v7, s[0:3], 0 offen offset:4
	buffer_load_dword v12, v7, s[0:3], 0 offen
	ds_read_b64 v[10:11], v5
	v_add_u32_e32 v4, 1, v4
	v_cmp_lt_u32_e32 vcc, 14, v4
	v_add_u32_e32 v5, 8, v5
	v_add_u32_e32 v7, 8, v7
	s_or_b64 s[6:7], vcc, s[6:7]
	s_waitcnt vmcnt(1) lgkmcnt(0)
	v_mul_f32_e32 v13, v11, v9
	v_mul_f32_e32 v9, v10, v9
	s_waitcnt vmcnt(0)
	v_fma_f32 v10, v10, v12, -v13
	v_fmac_f32_e32 v9, v11, v12
	v_add_f32_e32 v8, v8, v10
	v_add_f32_e32 v3, v3, v9
	s_andn2_b64 exec, exec, s[6:7]
	s_cbranch_execnz .LBB47_77
; %bb.78:
	s_or_b64 exec, exec, s[6:7]
	v_mov_b32_e32 v4, 0
	ds_read_b64 v[4:5], v4 offset:128
	s_waitcnt lgkmcnt(0)
	v_mul_f32_e32 v7, v3, v5
	v_mul_f32_e32 v5, v8, v5
	v_fma_f32 v7, v8, v4, -v7
	v_fmac_f32_e32 v5, v3, v4
	buffer_store_dword v7, off, s[0:3], 0 offset:128
	buffer_store_dword v5, off, s[0:3], 0 offset:132
.LBB47_79:
	s_or_b64 exec, exec, s[4:5]
	s_waitcnt lgkmcnt(0)
	; wave barrier
	buffer_load_dword v4, off, s[0:3], 0 offset:136
	buffer_load_dword v5, off, s[0:3], 0 offset:140
	v_cmp_gt_u32_e32 vcc, 17, v0
	s_waitcnt vmcnt(0)
	ds_write_b64 v1, v[4:5]
	s_waitcnt lgkmcnt(0)
	; wave barrier
	s_waitcnt lgkmcnt(0)
	s_and_saveexec_b64 s[4:5], vcc
	s_cbranch_execz .LBB47_83
; %bb.80:
	v_add_u32_e32 v4, -1, v0
	v_add_u32_e32 v5, 0x180, v6
	v_add_u32_e32 v7, 0, v6
	s_mov_b64 s[6:7], 0
	v_mov_b32_e32 v3, 0
	v_mov_b32_e32 v8, 0
.LBB47_81:                              ; =>This Inner Loop Header: Depth=1
	buffer_load_dword v9, v7, s[0:3], 0 offen offset:4
	buffer_load_dword v12, v7, s[0:3], 0 offen
	ds_read_b64 v[10:11], v5
	v_add_u32_e32 v4, 1, v4
	v_cmp_lt_u32_e32 vcc, 15, v4
	v_add_u32_e32 v5, 8, v5
	v_add_u32_e32 v7, 8, v7
	s_or_b64 s[6:7], vcc, s[6:7]
	s_waitcnt vmcnt(1) lgkmcnt(0)
	v_mul_f32_e32 v13, v11, v9
	v_mul_f32_e32 v9, v10, v9
	s_waitcnt vmcnt(0)
	v_fma_f32 v10, v10, v12, -v13
	v_fmac_f32_e32 v9, v11, v12
	v_add_f32_e32 v8, v8, v10
	v_add_f32_e32 v3, v3, v9
	s_andn2_b64 exec, exec, s[6:7]
	s_cbranch_execnz .LBB47_81
; %bb.82:
	s_or_b64 exec, exec, s[6:7]
	v_mov_b32_e32 v4, 0
	ds_read_b64 v[4:5], v4 offset:136
	s_waitcnt lgkmcnt(0)
	v_mul_f32_e32 v7, v3, v5
	v_mul_f32_e32 v5, v8, v5
	v_fma_f32 v7, v8, v4, -v7
	v_fmac_f32_e32 v5, v3, v4
	buffer_store_dword v7, off, s[0:3], 0 offset:136
	buffer_store_dword v5, off, s[0:3], 0 offset:140
.LBB47_83:
	s_or_b64 exec, exec, s[4:5]
	s_waitcnt lgkmcnt(0)
	; wave barrier
	buffer_load_dword v4, off, s[0:3], 0 offset:144
	buffer_load_dword v5, off, s[0:3], 0 offset:148
	v_cmp_gt_u32_e32 vcc, 18, v0
	s_waitcnt vmcnt(0)
	ds_write_b64 v1, v[4:5]
	s_waitcnt lgkmcnt(0)
	; wave barrier
	s_waitcnt lgkmcnt(0)
	s_and_saveexec_b64 s[4:5], vcc
	s_cbranch_execz .LBB47_87
; %bb.84:
	v_add_u32_e32 v4, -1, v0
	v_add_u32_e32 v5, 0x180, v6
	v_add_u32_e32 v7, 0, v6
	s_mov_b64 s[6:7], 0
	v_mov_b32_e32 v3, 0
	v_mov_b32_e32 v8, 0
.LBB47_85:                              ; =>This Inner Loop Header: Depth=1
	buffer_load_dword v9, v7, s[0:3], 0 offen offset:4
	buffer_load_dword v12, v7, s[0:3], 0 offen
	ds_read_b64 v[10:11], v5
	v_add_u32_e32 v4, 1, v4
	v_cmp_lt_u32_e32 vcc, 16, v4
	v_add_u32_e32 v5, 8, v5
	v_add_u32_e32 v7, 8, v7
	s_or_b64 s[6:7], vcc, s[6:7]
	s_waitcnt vmcnt(1) lgkmcnt(0)
	v_mul_f32_e32 v13, v11, v9
	v_mul_f32_e32 v9, v10, v9
	s_waitcnt vmcnt(0)
	v_fma_f32 v10, v10, v12, -v13
	v_fmac_f32_e32 v9, v11, v12
	v_add_f32_e32 v8, v8, v10
	v_add_f32_e32 v3, v3, v9
	s_andn2_b64 exec, exec, s[6:7]
	s_cbranch_execnz .LBB47_85
; %bb.86:
	s_or_b64 exec, exec, s[6:7]
	v_mov_b32_e32 v4, 0
	ds_read_b64 v[4:5], v4 offset:144
	s_waitcnt lgkmcnt(0)
	v_mul_f32_e32 v7, v3, v5
	v_mul_f32_e32 v5, v8, v5
	v_fma_f32 v7, v8, v4, -v7
	v_fmac_f32_e32 v5, v3, v4
	buffer_store_dword v7, off, s[0:3], 0 offset:144
	buffer_store_dword v5, off, s[0:3], 0 offset:148
.LBB47_87:
	s_or_b64 exec, exec, s[4:5]
	s_waitcnt lgkmcnt(0)
	; wave barrier
	buffer_load_dword v4, off, s[0:3], 0 offset:152
	buffer_load_dword v5, off, s[0:3], 0 offset:156
	v_cmp_gt_u32_e32 vcc, 19, v0
	s_waitcnt vmcnt(0)
	ds_write_b64 v1, v[4:5]
	s_waitcnt lgkmcnt(0)
	; wave barrier
	s_waitcnt lgkmcnt(0)
	s_and_saveexec_b64 s[4:5], vcc
	s_cbranch_execz .LBB47_91
; %bb.88:
	v_add_u32_e32 v4, -1, v0
	v_add_u32_e32 v5, 0x180, v6
	v_add_u32_e32 v7, 0, v6
	s_mov_b64 s[6:7], 0
	v_mov_b32_e32 v3, 0
	v_mov_b32_e32 v8, 0
.LBB47_89:                              ; =>This Inner Loop Header: Depth=1
	buffer_load_dword v9, v7, s[0:3], 0 offen offset:4
	buffer_load_dword v12, v7, s[0:3], 0 offen
	ds_read_b64 v[10:11], v5
	v_add_u32_e32 v4, 1, v4
	v_cmp_lt_u32_e32 vcc, 17, v4
	v_add_u32_e32 v5, 8, v5
	v_add_u32_e32 v7, 8, v7
	s_or_b64 s[6:7], vcc, s[6:7]
	s_waitcnt vmcnt(1) lgkmcnt(0)
	v_mul_f32_e32 v13, v11, v9
	v_mul_f32_e32 v9, v10, v9
	s_waitcnt vmcnt(0)
	v_fma_f32 v10, v10, v12, -v13
	v_fmac_f32_e32 v9, v11, v12
	v_add_f32_e32 v8, v8, v10
	v_add_f32_e32 v3, v3, v9
	s_andn2_b64 exec, exec, s[6:7]
	s_cbranch_execnz .LBB47_89
; %bb.90:
	s_or_b64 exec, exec, s[6:7]
	v_mov_b32_e32 v4, 0
	ds_read_b64 v[4:5], v4 offset:152
	s_waitcnt lgkmcnt(0)
	v_mul_f32_e32 v7, v3, v5
	v_mul_f32_e32 v5, v8, v5
	v_fma_f32 v7, v8, v4, -v7
	v_fmac_f32_e32 v5, v3, v4
	buffer_store_dword v7, off, s[0:3], 0 offset:152
	buffer_store_dword v5, off, s[0:3], 0 offset:156
.LBB47_91:
	s_or_b64 exec, exec, s[4:5]
	s_waitcnt lgkmcnt(0)
	; wave barrier
	buffer_load_dword v4, off, s[0:3], 0 offset:160
	buffer_load_dword v5, off, s[0:3], 0 offset:164
	v_cmp_gt_u32_e32 vcc, 20, v0
	s_waitcnt vmcnt(0)
	ds_write_b64 v1, v[4:5]
	s_waitcnt lgkmcnt(0)
	; wave barrier
	s_waitcnt lgkmcnt(0)
	s_and_saveexec_b64 s[4:5], vcc
	s_cbranch_execz .LBB47_95
; %bb.92:
	v_add_u32_e32 v4, -1, v0
	v_add_u32_e32 v5, 0x180, v6
	v_add_u32_e32 v7, 0, v6
	s_mov_b64 s[6:7], 0
	v_mov_b32_e32 v3, 0
	v_mov_b32_e32 v8, 0
.LBB47_93:                              ; =>This Inner Loop Header: Depth=1
	buffer_load_dword v9, v7, s[0:3], 0 offen offset:4
	buffer_load_dword v12, v7, s[0:3], 0 offen
	ds_read_b64 v[10:11], v5
	v_add_u32_e32 v4, 1, v4
	v_cmp_lt_u32_e32 vcc, 18, v4
	v_add_u32_e32 v5, 8, v5
	v_add_u32_e32 v7, 8, v7
	s_or_b64 s[6:7], vcc, s[6:7]
	s_waitcnt vmcnt(1) lgkmcnt(0)
	v_mul_f32_e32 v13, v11, v9
	v_mul_f32_e32 v9, v10, v9
	s_waitcnt vmcnt(0)
	v_fma_f32 v10, v10, v12, -v13
	v_fmac_f32_e32 v9, v11, v12
	v_add_f32_e32 v8, v8, v10
	v_add_f32_e32 v3, v3, v9
	s_andn2_b64 exec, exec, s[6:7]
	s_cbranch_execnz .LBB47_93
; %bb.94:
	s_or_b64 exec, exec, s[6:7]
	v_mov_b32_e32 v4, 0
	ds_read_b64 v[4:5], v4 offset:160
	s_waitcnt lgkmcnt(0)
	v_mul_f32_e32 v7, v3, v5
	v_mul_f32_e32 v5, v8, v5
	v_fma_f32 v7, v8, v4, -v7
	v_fmac_f32_e32 v5, v3, v4
	buffer_store_dword v7, off, s[0:3], 0 offset:160
	buffer_store_dword v5, off, s[0:3], 0 offset:164
.LBB47_95:
	s_or_b64 exec, exec, s[4:5]
	s_waitcnt lgkmcnt(0)
	; wave barrier
	buffer_load_dword v4, off, s[0:3], 0 offset:168
	buffer_load_dword v5, off, s[0:3], 0 offset:172
	v_cmp_gt_u32_e32 vcc, 21, v0
	s_waitcnt vmcnt(0)
	ds_write_b64 v1, v[4:5]
	s_waitcnt lgkmcnt(0)
	; wave barrier
	s_waitcnt lgkmcnt(0)
	s_and_saveexec_b64 s[4:5], vcc
	s_cbranch_execz .LBB47_99
; %bb.96:
	v_add_u32_e32 v4, -1, v0
	v_add_u32_e32 v5, 0x180, v6
	v_add_u32_e32 v7, 0, v6
	s_mov_b64 s[6:7], 0
	v_mov_b32_e32 v3, 0
	v_mov_b32_e32 v8, 0
.LBB47_97:                              ; =>This Inner Loop Header: Depth=1
	buffer_load_dword v9, v7, s[0:3], 0 offen offset:4
	buffer_load_dword v12, v7, s[0:3], 0 offen
	ds_read_b64 v[10:11], v5
	v_add_u32_e32 v4, 1, v4
	v_cmp_lt_u32_e32 vcc, 19, v4
	v_add_u32_e32 v5, 8, v5
	v_add_u32_e32 v7, 8, v7
	s_or_b64 s[6:7], vcc, s[6:7]
	s_waitcnt vmcnt(1) lgkmcnt(0)
	v_mul_f32_e32 v13, v11, v9
	v_mul_f32_e32 v9, v10, v9
	s_waitcnt vmcnt(0)
	v_fma_f32 v10, v10, v12, -v13
	v_fmac_f32_e32 v9, v11, v12
	v_add_f32_e32 v8, v8, v10
	v_add_f32_e32 v3, v3, v9
	s_andn2_b64 exec, exec, s[6:7]
	s_cbranch_execnz .LBB47_97
; %bb.98:
	s_or_b64 exec, exec, s[6:7]
	v_mov_b32_e32 v4, 0
	ds_read_b64 v[4:5], v4 offset:168
	s_waitcnt lgkmcnt(0)
	v_mul_f32_e32 v7, v3, v5
	v_mul_f32_e32 v5, v8, v5
	v_fma_f32 v7, v8, v4, -v7
	v_fmac_f32_e32 v5, v3, v4
	buffer_store_dword v7, off, s[0:3], 0 offset:168
	buffer_store_dword v5, off, s[0:3], 0 offset:172
.LBB47_99:
	s_or_b64 exec, exec, s[4:5]
	s_waitcnt lgkmcnt(0)
	; wave barrier
	buffer_load_dword v4, off, s[0:3], 0 offset:176
	buffer_load_dword v5, off, s[0:3], 0 offset:180
	v_cmp_gt_u32_e32 vcc, 22, v0
	s_waitcnt vmcnt(0)
	ds_write_b64 v1, v[4:5]
	s_waitcnt lgkmcnt(0)
	; wave barrier
	s_waitcnt lgkmcnt(0)
	s_and_saveexec_b64 s[4:5], vcc
	s_cbranch_execz .LBB47_103
; %bb.100:
	v_add_u32_e32 v4, -1, v0
	v_add_u32_e32 v5, 0x180, v6
	v_add_u32_e32 v7, 0, v6
	s_mov_b64 s[6:7], 0
	v_mov_b32_e32 v3, 0
	v_mov_b32_e32 v8, 0
.LBB47_101:                             ; =>This Inner Loop Header: Depth=1
	buffer_load_dword v9, v7, s[0:3], 0 offen offset:4
	buffer_load_dword v12, v7, s[0:3], 0 offen
	ds_read_b64 v[10:11], v5
	v_add_u32_e32 v4, 1, v4
	v_cmp_lt_u32_e32 vcc, 20, v4
	v_add_u32_e32 v5, 8, v5
	v_add_u32_e32 v7, 8, v7
	s_or_b64 s[6:7], vcc, s[6:7]
	s_waitcnt vmcnt(1) lgkmcnt(0)
	v_mul_f32_e32 v13, v11, v9
	v_mul_f32_e32 v9, v10, v9
	s_waitcnt vmcnt(0)
	v_fma_f32 v10, v10, v12, -v13
	v_fmac_f32_e32 v9, v11, v12
	v_add_f32_e32 v8, v8, v10
	v_add_f32_e32 v3, v3, v9
	s_andn2_b64 exec, exec, s[6:7]
	s_cbranch_execnz .LBB47_101
; %bb.102:
	s_or_b64 exec, exec, s[6:7]
	v_mov_b32_e32 v4, 0
	ds_read_b64 v[4:5], v4 offset:176
	s_waitcnt lgkmcnt(0)
	v_mul_f32_e32 v7, v3, v5
	v_mul_f32_e32 v5, v8, v5
	v_fma_f32 v7, v8, v4, -v7
	v_fmac_f32_e32 v5, v3, v4
	buffer_store_dword v7, off, s[0:3], 0 offset:176
	buffer_store_dword v5, off, s[0:3], 0 offset:180
.LBB47_103:
	s_or_b64 exec, exec, s[4:5]
	s_waitcnt lgkmcnt(0)
	; wave barrier
	buffer_load_dword v4, off, s[0:3], 0 offset:184
	buffer_load_dword v5, off, s[0:3], 0 offset:188
	v_cmp_gt_u32_e32 vcc, 23, v0
	s_waitcnt vmcnt(0)
	ds_write_b64 v1, v[4:5]
	s_waitcnt lgkmcnt(0)
	; wave barrier
	s_waitcnt lgkmcnt(0)
	s_and_saveexec_b64 s[4:5], vcc
	s_cbranch_execz .LBB47_107
; %bb.104:
	v_add_u32_e32 v4, -1, v0
	v_add_u32_e32 v5, 0x180, v6
	v_add_u32_e32 v7, 0, v6
	s_mov_b64 s[6:7], 0
	v_mov_b32_e32 v3, 0
	v_mov_b32_e32 v8, 0
.LBB47_105:                             ; =>This Inner Loop Header: Depth=1
	buffer_load_dword v9, v7, s[0:3], 0 offen offset:4
	buffer_load_dword v12, v7, s[0:3], 0 offen
	ds_read_b64 v[10:11], v5
	v_add_u32_e32 v4, 1, v4
	v_cmp_lt_u32_e32 vcc, 21, v4
	v_add_u32_e32 v5, 8, v5
	v_add_u32_e32 v7, 8, v7
	s_or_b64 s[6:7], vcc, s[6:7]
	s_waitcnt vmcnt(1) lgkmcnt(0)
	v_mul_f32_e32 v13, v11, v9
	v_mul_f32_e32 v9, v10, v9
	s_waitcnt vmcnt(0)
	v_fma_f32 v10, v10, v12, -v13
	v_fmac_f32_e32 v9, v11, v12
	v_add_f32_e32 v8, v8, v10
	v_add_f32_e32 v3, v3, v9
	s_andn2_b64 exec, exec, s[6:7]
	s_cbranch_execnz .LBB47_105
; %bb.106:
	s_or_b64 exec, exec, s[6:7]
	v_mov_b32_e32 v4, 0
	ds_read_b64 v[4:5], v4 offset:184
	s_waitcnt lgkmcnt(0)
	v_mul_f32_e32 v7, v3, v5
	v_mul_f32_e32 v5, v8, v5
	v_fma_f32 v7, v8, v4, -v7
	v_fmac_f32_e32 v5, v3, v4
	buffer_store_dword v7, off, s[0:3], 0 offset:184
	buffer_store_dword v5, off, s[0:3], 0 offset:188
.LBB47_107:
	s_or_b64 exec, exec, s[4:5]
	s_waitcnt lgkmcnt(0)
	; wave barrier
	buffer_load_dword v4, off, s[0:3], 0 offset:192
	buffer_load_dword v5, off, s[0:3], 0 offset:196
	v_cmp_gt_u32_e32 vcc, 24, v0
	s_waitcnt vmcnt(0)
	ds_write_b64 v1, v[4:5]
	s_waitcnt lgkmcnt(0)
	; wave barrier
	s_waitcnt lgkmcnt(0)
	s_and_saveexec_b64 s[4:5], vcc
	s_cbranch_execz .LBB47_111
; %bb.108:
	v_add_u32_e32 v4, -1, v0
	v_add_u32_e32 v5, 0x180, v6
	v_add_u32_e32 v7, 0, v6
	s_mov_b64 s[6:7], 0
	v_mov_b32_e32 v3, 0
	v_mov_b32_e32 v8, 0
.LBB47_109:                             ; =>This Inner Loop Header: Depth=1
	buffer_load_dword v9, v7, s[0:3], 0 offen offset:4
	buffer_load_dword v12, v7, s[0:3], 0 offen
	ds_read_b64 v[10:11], v5
	v_add_u32_e32 v4, 1, v4
	v_cmp_lt_u32_e32 vcc, 22, v4
	v_add_u32_e32 v5, 8, v5
	v_add_u32_e32 v7, 8, v7
	s_or_b64 s[6:7], vcc, s[6:7]
	s_waitcnt vmcnt(1) lgkmcnt(0)
	v_mul_f32_e32 v13, v11, v9
	v_mul_f32_e32 v9, v10, v9
	s_waitcnt vmcnt(0)
	v_fma_f32 v10, v10, v12, -v13
	v_fmac_f32_e32 v9, v11, v12
	v_add_f32_e32 v8, v8, v10
	v_add_f32_e32 v3, v3, v9
	s_andn2_b64 exec, exec, s[6:7]
	s_cbranch_execnz .LBB47_109
; %bb.110:
	s_or_b64 exec, exec, s[6:7]
	v_mov_b32_e32 v4, 0
	ds_read_b64 v[4:5], v4 offset:192
	s_waitcnt lgkmcnt(0)
	v_mul_f32_e32 v7, v3, v5
	v_mul_f32_e32 v5, v8, v5
	v_fma_f32 v7, v8, v4, -v7
	v_fmac_f32_e32 v5, v3, v4
	buffer_store_dword v7, off, s[0:3], 0 offset:192
	buffer_store_dword v5, off, s[0:3], 0 offset:196
.LBB47_111:
	s_or_b64 exec, exec, s[4:5]
	s_waitcnt lgkmcnt(0)
	; wave barrier
	buffer_load_dword v4, off, s[0:3], 0 offset:200
	buffer_load_dword v5, off, s[0:3], 0 offset:204
	v_cmp_gt_u32_e32 vcc, 25, v0
	s_waitcnt vmcnt(0)
	ds_write_b64 v1, v[4:5]
	s_waitcnt lgkmcnt(0)
	; wave barrier
	s_waitcnt lgkmcnt(0)
	s_and_saveexec_b64 s[4:5], vcc
	s_cbranch_execz .LBB47_115
; %bb.112:
	v_add_u32_e32 v4, -1, v0
	v_add_u32_e32 v5, 0x180, v6
	v_add_u32_e32 v7, 0, v6
	s_mov_b64 s[6:7], 0
	v_mov_b32_e32 v3, 0
	v_mov_b32_e32 v8, 0
.LBB47_113:                             ; =>This Inner Loop Header: Depth=1
	buffer_load_dword v9, v7, s[0:3], 0 offen offset:4
	buffer_load_dword v12, v7, s[0:3], 0 offen
	ds_read_b64 v[10:11], v5
	v_add_u32_e32 v4, 1, v4
	v_cmp_lt_u32_e32 vcc, 23, v4
	v_add_u32_e32 v5, 8, v5
	v_add_u32_e32 v7, 8, v7
	s_or_b64 s[6:7], vcc, s[6:7]
	s_waitcnt vmcnt(1) lgkmcnt(0)
	v_mul_f32_e32 v13, v11, v9
	v_mul_f32_e32 v9, v10, v9
	s_waitcnt vmcnt(0)
	v_fma_f32 v10, v10, v12, -v13
	v_fmac_f32_e32 v9, v11, v12
	v_add_f32_e32 v8, v8, v10
	v_add_f32_e32 v3, v3, v9
	s_andn2_b64 exec, exec, s[6:7]
	s_cbranch_execnz .LBB47_113
; %bb.114:
	s_or_b64 exec, exec, s[6:7]
	v_mov_b32_e32 v4, 0
	ds_read_b64 v[4:5], v4 offset:200
	s_waitcnt lgkmcnt(0)
	v_mul_f32_e32 v7, v3, v5
	v_mul_f32_e32 v5, v8, v5
	v_fma_f32 v7, v8, v4, -v7
	v_fmac_f32_e32 v5, v3, v4
	buffer_store_dword v7, off, s[0:3], 0 offset:200
	buffer_store_dword v5, off, s[0:3], 0 offset:204
.LBB47_115:
	s_or_b64 exec, exec, s[4:5]
	s_waitcnt lgkmcnt(0)
	; wave barrier
	buffer_load_dword v4, off, s[0:3], 0 offset:208
	buffer_load_dword v5, off, s[0:3], 0 offset:212
	v_cmp_gt_u32_e32 vcc, 26, v0
	s_waitcnt vmcnt(0)
	ds_write_b64 v1, v[4:5]
	s_waitcnt lgkmcnt(0)
	; wave barrier
	s_waitcnt lgkmcnt(0)
	s_and_saveexec_b64 s[4:5], vcc
	s_cbranch_execz .LBB47_119
; %bb.116:
	v_add_u32_e32 v4, -1, v0
	v_add_u32_e32 v5, 0x180, v6
	v_add_u32_e32 v7, 0, v6
	s_mov_b64 s[6:7], 0
	v_mov_b32_e32 v3, 0
	v_mov_b32_e32 v8, 0
.LBB47_117:                             ; =>This Inner Loop Header: Depth=1
	buffer_load_dword v9, v7, s[0:3], 0 offen offset:4
	buffer_load_dword v12, v7, s[0:3], 0 offen
	ds_read_b64 v[10:11], v5
	v_add_u32_e32 v4, 1, v4
	v_cmp_lt_u32_e32 vcc, 24, v4
	v_add_u32_e32 v5, 8, v5
	v_add_u32_e32 v7, 8, v7
	s_or_b64 s[6:7], vcc, s[6:7]
	s_waitcnt vmcnt(1) lgkmcnt(0)
	v_mul_f32_e32 v13, v11, v9
	v_mul_f32_e32 v9, v10, v9
	s_waitcnt vmcnt(0)
	v_fma_f32 v10, v10, v12, -v13
	v_fmac_f32_e32 v9, v11, v12
	v_add_f32_e32 v8, v8, v10
	v_add_f32_e32 v3, v3, v9
	s_andn2_b64 exec, exec, s[6:7]
	s_cbranch_execnz .LBB47_117
; %bb.118:
	s_or_b64 exec, exec, s[6:7]
	v_mov_b32_e32 v4, 0
	ds_read_b64 v[4:5], v4 offset:208
	s_waitcnt lgkmcnt(0)
	v_mul_f32_e32 v7, v3, v5
	v_mul_f32_e32 v5, v8, v5
	v_fma_f32 v7, v8, v4, -v7
	v_fmac_f32_e32 v5, v3, v4
	buffer_store_dword v7, off, s[0:3], 0 offset:208
	buffer_store_dword v5, off, s[0:3], 0 offset:212
.LBB47_119:
	s_or_b64 exec, exec, s[4:5]
	s_waitcnt lgkmcnt(0)
	; wave barrier
	buffer_load_dword v4, off, s[0:3], 0 offset:216
	buffer_load_dword v5, off, s[0:3], 0 offset:220
	v_cmp_gt_u32_e32 vcc, 27, v0
	s_waitcnt vmcnt(0)
	ds_write_b64 v1, v[4:5]
	s_waitcnt lgkmcnt(0)
	; wave barrier
	s_waitcnt lgkmcnt(0)
	s_and_saveexec_b64 s[4:5], vcc
	s_cbranch_execz .LBB47_123
; %bb.120:
	v_add_u32_e32 v4, -1, v0
	v_add_u32_e32 v5, 0x180, v6
	v_add_u32_e32 v7, 0, v6
	s_mov_b64 s[6:7], 0
	v_mov_b32_e32 v3, 0
	v_mov_b32_e32 v8, 0
.LBB47_121:                             ; =>This Inner Loop Header: Depth=1
	buffer_load_dword v9, v7, s[0:3], 0 offen offset:4
	buffer_load_dword v12, v7, s[0:3], 0 offen
	ds_read_b64 v[10:11], v5
	v_add_u32_e32 v4, 1, v4
	v_cmp_lt_u32_e32 vcc, 25, v4
	v_add_u32_e32 v5, 8, v5
	v_add_u32_e32 v7, 8, v7
	s_or_b64 s[6:7], vcc, s[6:7]
	s_waitcnt vmcnt(1) lgkmcnt(0)
	v_mul_f32_e32 v13, v11, v9
	v_mul_f32_e32 v9, v10, v9
	s_waitcnt vmcnt(0)
	v_fma_f32 v10, v10, v12, -v13
	v_fmac_f32_e32 v9, v11, v12
	v_add_f32_e32 v8, v8, v10
	v_add_f32_e32 v3, v3, v9
	s_andn2_b64 exec, exec, s[6:7]
	s_cbranch_execnz .LBB47_121
; %bb.122:
	s_or_b64 exec, exec, s[6:7]
	v_mov_b32_e32 v4, 0
	ds_read_b64 v[4:5], v4 offset:216
	s_waitcnt lgkmcnt(0)
	v_mul_f32_e32 v7, v3, v5
	v_mul_f32_e32 v5, v8, v5
	v_fma_f32 v7, v8, v4, -v7
	v_fmac_f32_e32 v5, v3, v4
	buffer_store_dword v7, off, s[0:3], 0 offset:216
	buffer_store_dword v5, off, s[0:3], 0 offset:220
.LBB47_123:
	s_or_b64 exec, exec, s[4:5]
	s_waitcnt lgkmcnt(0)
	; wave barrier
	buffer_load_dword v4, off, s[0:3], 0 offset:224
	buffer_load_dword v5, off, s[0:3], 0 offset:228
	v_cmp_gt_u32_e32 vcc, 28, v0
	s_waitcnt vmcnt(0)
	ds_write_b64 v1, v[4:5]
	s_waitcnt lgkmcnt(0)
	; wave barrier
	s_waitcnt lgkmcnt(0)
	s_and_saveexec_b64 s[4:5], vcc
	s_cbranch_execz .LBB47_127
; %bb.124:
	v_add_u32_e32 v4, -1, v0
	v_add_u32_e32 v5, 0x180, v6
	v_add_u32_e32 v7, 0, v6
	s_mov_b64 s[6:7], 0
	v_mov_b32_e32 v3, 0
	v_mov_b32_e32 v8, 0
.LBB47_125:                             ; =>This Inner Loop Header: Depth=1
	buffer_load_dword v9, v7, s[0:3], 0 offen offset:4
	buffer_load_dword v12, v7, s[0:3], 0 offen
	ds_read_b64 v[10:11], v5
	v_add_u32_e32 v4, 1, v4
	v_cmp_lt_u32_e32 vcc, 26, v4
	v_add_u32_e32 v5, 8, v5
	v_add_u32_e32 v7, 8, v7
	s_or_b64 s[6:7], vcc, s[6:7]
	s_waitcnt vmcnt(1) lgkmcnt(0)
	v_mul_f32_e32 v13, v11, v9
	v_mul_f32_e32 v9, v10, v9
	s_waitcnt vmcnt(0)
	v_fma_f32 v10, v10, v12, -v13
	v_fmac_f32_e32 v9, v11, v12
	v_add_f32_e32 v8, v8, v10
	v_add_f32_e32 v3, v3, v9
	s_andn2_b64 exec, exec, s[6:7]
	s_cbranch_execnz .LBB47_125
; %bb.126:
	s_or_b64 exec, exec, s[6:7]
	v_mov_b32_e32 v4, 0
	ds_read_b64 v[4:5], v4 offset:224
	s_waitcnt lgkmcnt(0)
	v_mul_f32_e32 v7, v3, v5
	v_mul_f32_e32 v5, v8, v5
	v_fma_f32 v7, v8, v4, -v7
	v_fmac_f32_e32 v5, v3, v4
	buffer_store_dword v7, off, s[0:3], 0 offset:224
	buffer_store_dword v5, off, s[0:3], 0 offset:228
.LBB47_127:
	s_or_b64 exec, exec, s[4:5]
	s_waitcnt lgkmcnt(0)
	; wave barrier
	buffer_load_dword v4, off, s[0:3], 0 offset:232
	buffer_load_dword v5, off, s[0:3], 0 offset:236
	v_cmp_gt_u32_e32 vcc, 29, v0
	s_waitcnt vmcnt(0)
	ds_write_b64 v1, v[4:5]
	s_waitcnt lgkmcnt(0)
	; wave barrier
	s_waitcnt lgkmcnt(0)
	s_and_saveexec_b64 s[4:5], vcc
	s_cbranch_execz .LBB47_131
; %bb.128:
	v_add_u32_e32 v4, -1, v0
	v_add_u32_e32 v5, 0x180, v6
	v_add_u32_e32 v7, 0, v6
	s_mov_b64 s[6:7], 0
	v_mov_b32_e32 v3, 0
	v_mov_b32_e32 v8, 0
.LBB47_129:                             ; =>This Inner Loop Header: Depth=1
	buffer_load_dword v9, v7, s[0:3], 0 offen offset:4
	buffer_load_dword v12, v7, s[0:3], 0 offen
	ds_read_b64 v[10:11], v5
	v_add_u32_e32 v4, 1, v4
	v_cmp_lt_u32_e32 vcc, 27, v4
	v_add_u32_e32 v5, 8, v5
	v_add_u32_e32 v7, 8, v7
	s_or_b64 s[6:7], vcc, s[6:7]
	s_waitcnt vmcnt(1) lgkmcnt(0)
	v_mul_f32_e32 v13, v11, v9
	v_mul_f32_e32 v9, v10, v9
	s_waitcnt vmcnt(0)
	v_fma_f32 v10, v10, v12, -v13
	v_fmac_f32_e32 v9, v11, v12
	v_add_f32_e32 v8, v8, v10
	v_add_f32_e32 v3, v3, v9
	s_andn2_b64 exec, exec, s[6:7]
	s_cbranch_execnz .LBB47_129
; %bb.130:
	s_or_b64 exec, exec, s[6:7]
	v_mov_b32_e32 v4, 0
	ds_read_b64 v[4:5], v4 offset:232
	s_waitcnt lgkmcnt(0)
	v_mul_f32_e32 v7, v3, v5
	v_mul_f32_e32 v5, v8, v5
	v_fma_f32 v7, v8, v4, -v7
	v_fmac_f32_e32 v5, v3, v4
	buffer_store_dword v7, off, s[0:3], 0 offset:232
	buffer_store_dword v5, off, s[0:3], 0 offset:236
.LBB47_131:
	s_or_b64 exec, exec, s[4:5]
	s_waitcnt lgkmcnt(0)
	; wave barrier
	buffer_load_dword v4, off, s[0:3], 0 offset:240
	buffer_load_dword v5, off, s[0:3], 0 offset:244
	v_cmp_gt_u32_e32 vcc, 30, v0
	s_waitcnt vmcnt(0)
	ds_write_b64 v1, v[4:5]
	s_waitcnt lgkmcnt(0)
	; wave barrier
	s_waitcnt lgkmcnt(0)
	s_and_saveexec_b64 s[4:5], vcc
	s_cbranch_execz .LBB47_135
; %bb.132:
	v_add_u32_e32 v4, -1, v0
	v_add_u32_e32 v5, 0x180, v6
	v_add_u32_e32 v7, 0, v6
	s_mov_b64 s[6:7], 0
	v_mov_b32_e32 v3, 0
	v_mov_b32_e32 v8, 0
.LBB47_133:                             ; =>This Inner Loop Header: Depth=1
	buffer_load_dword v9, v7, s[0:3], 0 offen offset:4
	buffer_load_dword v12, v7, s[0:3], 0 offen
	ds_read_b64 v[10:11], v5
	v_add_u32_e32 v4, 1, v4
	v_cmp_lt_u32_e32 vcc, 28, v4
	v_add_u32_e32 v5, 8, v5
	v_add_u32_e32 v7, 8, v7
	s_or_b64 s[6:7], vcc, s[6:7]
	s_waitcnt vmcnt(1) lgkmcnt(0)
	v_mul_f32_e32 v13, v11, v9
	v_mul_f32_e32 v9, v10, v9
	s_waitcnt vmcnt(0)
	v_fma_f32 v10, v10, v12, -v13
	v_fmac_f32_e32 v9, v11, v12
	v_add_f32_e32 v8, v8, v10
	v_add_f32_e32 v3, v3, v9
	s_andn2_b64 exec, exec, s[6:7]
	s_cbranch_execnz .LBB47_133
; %bb.134:
	s_or_b64 exec, exec, s[6:7]
	v_mov_b32_e32 v4, 0
	ds_read_b64 v[4:5], v4 offset:240
	s_waitcnt lgkmcnt(0)
	v_mul_f32_e32 v7, v3, v5
	v_mul_f32_e32 v5, v8, v5
	v_fma_f32 v7, v8, v4, -v7
	v_fmac_f32_e32 v5, v3, v4
	buffer_store_dword v7, off, s[0:3], 0 offset:240
	buffer_store_dword v5, off, s[0:3], 0 offset:244
.LBB47_135:
	s_or_b64 exec, exec, s[4:5]
	s_waitcnt lgkmcnt(0)
	; wave barrier
	buffer_load_dword v4, off, s[0:3], 0 offset:248
	buffer_load_dword v5, off, s[0:3], 0 offset:252
	v_cmp_gt_u32_e32 vcc, 31, v0
	s_waitcnt vmcnt(0)
	ds_write_b64 v1, v[4:5]
	s_waitcnt lgkmcnt(0)
	; wave barrier
	s_waitcnt lgkmcnt(0)
	s_and_saveexec_b64 s[4:5], vcc
	s_cbranch_execz .LBB47_139
; %bb.136:
	v_add_u32_e32 v4, -1, v0
	v_add_u32_e32 v5, 0x180, v6
	v_add_u32_e32 v7, 0, v6
	s_mov_b64 s[6:7], 0
	v_mov_b32_e32 v3, 0
	v_mov_b32_e32 v8, 0
.LBB47_137:                             ; =>This Inner Loop Header: Depth=1
	buffer_load_dword v9, v7, s[0:3], 0 offen offset:4
	buffer_load_dword v12, v7, s[0:3], 0 offen
	ds_read_b64 v[10:11], v5
	v_add_u32_e32 v4, 1, v4
	v_cmp_lt_u32_e32 vcc, 29, v4
	v_add_u32_e32 v5, 8, v5
	v_add_u32_e32 v7, 8, v7
	s_or_b64 s[6:7], vcc, s[6:7]
	s_waitcnt vmcnt(1) lgkmcnt(0)
	v_mul_f32_e32 v13, v11, v9
	v_mul_f32_e32 v9, v10, v9
	s_waitcnt vmcnt(0)
	v_fma_f32 v10, v10, v12, -v13
	v_fmac_f32_e32 v9, v11, v12
	v_add_f32_e32 v8, v8, v10
	v_add_f32_e32 v3, v3, v9
	s_andn2_b64 exec, exec, s[6:7]
	s_cbranch_execnz .LBB47_137
; %bb.138:
	s_or_b64 exec, exec, s[6:7]
	v_mov_b32_e32 v4, 0
	ds_read_b64 v[4:5], v4 offset:248
	s_waitcnt lgkmcnt(0)
	v_mul_f32_e32 v7, v3, v5
	v_mul_f32_e32 v5, v8, v5
	v_fma_f32 v7, v8, v4, -v7
	v_fmac_f32_e32 v5, v3, v4
	buffer_store_dword v7, off, s[0:3], 0 offset:248
	buffer_store_dword v5, off, s[0:3], 0 offset:252
.LBB47_139:
	s_or_b64 exec, exec, s[4:5]
	s_waitcnt lgkmcnt(0)
	; wave barrier
	buffer_load_dword v4, off, s[0:3], 0 offset:256
	buffer_load_dword v5, off, s[0:3], 0 offset:260
	v_cmp_gt_u32_e32 vcc, 32, v0
	s_waitcnt vmcnt(0)
	ds_write_b64 v1, v[4:5]
	s_waitcnt lgkmcnt(0)
	; wave barrier
	s_waitcnt lgkmcnt(0)
	s_and_saveexec_b64 s[4:5], vcc
	s_cbranch_execz .LBB47_143
; %bb.140:
	v_add_u32_e32 v4, -1, v0
	v_add_u32_e32 v5, 0x180, v6
	v_add_u32_e32 v7, 0, v6
	s_mov_b64 s[6:7], 0
	v_mov_b32_e32 v3, 0
	v_mov_b32_e32 v8, 0
.LBB47_141:                             ; =>This Inner Loop Header: Depth=1
	buffer_load_dword v9, v7, s[0:3], 0 offen offset:4
	buffer_load_dword v12, v7, s[0:3], 0 offen
	ds_read_b64 v[10:11], v5
	v_add_u32_e32 v4, 1, v4
	v_cmp_lt_u32_e32 vcc, 30, v4
	v_add_u32_e32 v5, 8, v5
	v_add_u32_e32 v7, 8, v7
	s_or_b64 s[6:7], vcc, s[6:7]
	s_waitcnt vmcnt(1) lgkmcnt(0)
	v_mul_f32_e32 v13, v11, v9
	v_mul_f32_e32 v9, v10, v9
	s_waitcnt vmcnt(0)
	v_fma_f32 v10, v10, v12, -v13
	v_fmac_f32_e32 v9, v11, v12
	v_add_f32_e32 v8, v8, v10
	v_add_f32_e32 v3, v3, v9
	s_andn2_b64 exec, exec, s[6:7]
	s_cbranch_execnz .LBB47_141
; %bb.142:
	s_or_b64 exec, exec, s[6:7]
	v_mov_b32_e32 v4, 0
	ds_read_b64 v[4:5], v4 offset:256
	s_waitcnt lgkmcnt(0)
	v_mul_f32_e32 v7, v3, v5
	v_mul_f32_e32 v5, v8, v5
	v_fma_f32 v7, v8, v4, -v7
	v_fmac_f32_e32 v5, v3, v4
	buffer_store_dword v7, off, s[0:3], 0 offset:256
	buffer_store_dword v5, off, s[0:3], 0 offset:260
.LBB47_143:
	s_or_b64 exec, exec, s[4:5]
	s_waitcnt lgkmcnt(0)
	; wave barrier
	buffer_load_dword v4, off, s[0:3], 0 offset:264
	buffer_load_dword v5, off, s[0:3], 0 offset:268
	v_cmp_gt_u32_e32 vcc, 33, v0
	s_waitcnt vmcnt(0)
	ds_write_b64 v1, v[4:5]
	s_waitcnt lgkmcnt(0)
	; wave barrier
	s_waitcnt lgkmcnt(0)
	s_and_saveexec_b64 s[4:5], vcc
	s_cbranch_execz .LBB47_147
; %bb.144:
	v_add_u32_e32 v4, -1, v0
	v_add_u32_e32 v5, 0x180, v6
	v_add_u32_e32 v7, 0, v6
	s_mov_b64 s[6:7], 0
	v_mov_b32_e32 v3, 0
	v_mov_b32_e32 v8, 0
.LBB47_145:                             ; =>This Inner Loop Header: Depth=1
	buffer_load_dword v9, v7, s[0:3], 0 offen offset:4
	buffer_load_dword v12, v7, s[0:3], 0 offen
	ds_read_b64 v[10:11], v5
	v_add_u32_e32 v4, 1, v4
	v_cmp_lt_u32_e32 vcc, 31, v4
	v_add_u32_e32 v5, 8, v5
	v_add_u32_e32 v7, 8, v7
	s_or_b64 s[6:7], vcc, s[6:7]
	s_waitcnt vmcnt(1) lgkmcnt(0)
	v_mul_f32_e32 v13, v11, v9
	v_mul_f32_e32 v9, v10, v9
	s_waitcnt vmcnt(0)
	v_fma_f32 v10, v10, v12, -v13
	v_fmac_f32_e32 v9, v11, v12
	v_add_f32_e32 v8, v8, v10
	v_add_f32_e32 v3, v3, v9
	s_andn2_b64 exec, exec, s[6:7]
	s_cbranch_execnz .LBB47_145
; %bb.146:
	s_or_b64 exec, exec, s[6:7]
	v_mov_b32_e32 v4, 0
	ds_read_b64 v[4:5], v4 offset:264
	s_waitcnt lgkmcnt(0)
	v_mul_f32_e32 v7, v3, v5
	v_mul_f32_e32 v5, v8, v5
	v_fma_f32 v7, v8, v4, -v7
	v_fmac_f32_e32 v5, v3, v4
	buffer_store_dword v7, off, s[0:3], 0 offset:264
	buffer_store_dword v5, off, s[0:3], 0 offset:268
.LBB47_147:
	s_or_b64 exec, exec, s[4:5]
	s_waitcnt lgkmcnt(0)
	; wave barrier
	buffer_load_dword v4, off, s[0:3], 0 offset:272
	buffer_load_dword v5, off, s[0:3], 0 offset:276
	v_cmp_gt_u32_e32 vcc, 34, v0
	s_waitcnt vmcnt(0)
	ds_write_b64 v1, v[4:5]
	s_waitcnt lgkmcnt(0)
	; wave barrier
	s_waitcnt lgkmcnt(0)
	s_and_saveexec_b64 s[4:5], vcc
	s_cbranch_execz .LBB47_151
; %bb.148:
	v_add_u32_e32 v4, -1, v0
	v_add_u32_e32 v5, 0x180, v6
	v_add_u32_e32 v7, 0, v6
	s_mov_b64 s[6:7], 0
	v_mov_b32_e32 v3, 0
	v_mov_b32_e32 v8, 0
.LBB47_149:                             ; =>This Inner Loop Header: Depth=1
	buffer_load_dword v9, v7, s[0:3], 0 offen offset:4
	buffer_load_dword v12, v7, s[0:3], 0 offen
	ds_read_b64 v[10:11], v5
	v_add_u32_e32 v4, 1, v4
	v_cmp_lt_u32_e32 vcc, 32, v4
	v_add_u32_e32 v5, 8, v5
	v_add_u32_e32 v7, 8, v7
	s_or_b64 s[6:7], vcc, s[6:7]
	s_waitcnt vmcnt(1) lgkmcnt(0)
	v_mul_f32_e32 v13, v11, v9
	v_mul_f32_e32 v9, v10, v9
	s_waitcnt vmcnt(0)
	v_fma_f32 v10, v10, v12, -v13
	v_fmac_f32_e32 v9, v11, v12
	v_add_f32_e32 v8, v8, v10
	v_add_f32_e32 v3, v3, v9
	s_andn2_b64 exec, exec, s[6:7]
	s_cbranch_execnz .LBB47_149
; %bb.150:
	s_or_b64 exec, exec, s[6:7]
	v_mov_b32_e32 v4, 0
	ds_read_b64 v[4:5], v4 offset:272
	s_waitcnt lgkmcnt(0)
	v_mul_f32_e32 v7, v3, v5
	v_mul_f32_e32 v5, v8, v5
	v_fma_f32 v7, v8, v4, -v7
	v_fmac_f32_e32 v5, v3, v4
	buffer_store_dword v7, off, s[0:3], 0 offset:272
	buffer_store_dword v5, off, s[0:3], 0 offset:276
.LBB47_151:
	s_or_b64 exec, exec, s[4:5]
	s_waitcnt lgkmcnt(0)
	; wave barrier
	buffer_load_dword v4, off, s[0:3], 0 offset:280
	buffer_load_dword v5, off, s[0:3], 0 offset:284
	v_cmp_gt_u32_e32 vcc, 35, v0
	s_waitcnt vmcnt(0)
	ds_write_b64 v1, v[4:5]
	s_waitcnt lgkmcnt(0)
	; wave barrier
	s_waitcnt lgkmcnt(0)
	s_and_saveexec_b64 s[4:5], vcc
	s_cbranch_execz .LBB47_155
; %bb.152:
	v_add_u32_e32 v4, -1, v0
	v_add_u32_e32 v5, 0x180, v6
	v_add_u32_e32 v7, 0, v6
	s_mov_b64 s[6:7], 0
	v_mov_b32_e32 v3, 0
	v_mov_b32_e32 v8, 0
.LBB47_153:                             ; =>This Inner Loop Header: Depth=1
	buffer_load_dword v9, v7, s[0:3], 0 offen offset:4
	buffer_load_dword v12, v7, s[0:3], 0 offen
	ds_read_b64 v[10:11], v5
	v_add_u32_e32 v4, 1, v4
	v_cmp_lt_u32_e32 vcc, 33, v4
	v_add_u32_e32 v5, 8, v5
	v_add_u32_e32 v7, 8, v7
	s_or_b64 s[6:7], vcc, s[6:7]
	s_waitcnt vmcnt(1) lgkmcnt(0)
	v_mul_f32_e32 v13, v11, v9
	v_mul_f32_e32 v9, v10, v9
	s_waitcnt vmcnt(0)
	v_fma_f32 v10, v10, v12, -v13
	v_fmac_f32_e32 v9, v11, v12
	v_add_f32_e32 v8, v8, v10
	v_add_f32_e32 v3, v3, v9
	s_andn2_b64 exec, exec, s[6:7]
	s_cbranch_execnz .LBB47_153
; %bb.154:
	s_or_b64 exec, exec, s[6:7]
	v_mov_b32_e32 v4, 0
	ds_read_b64 v[4:5], v4 offset:280
	s_waitcnt lgkmcnt(0)
	v_mul_f32_e32 v7, v3, v5
	v_mul_f32_e32 v5, v8, v5
	v_fma_f32 v7, v8, v4, -v7
	v_fmac_f32_e32 v5, v3, v4
	buffer_store_dword v7, off, s[0:3], 0 offset:280
	buffer_store_dword v5, off, s[0:3], 0 offset:284
.LBB47_155:
	s_or_b64 exec, exec, s[4:5]
	s_waitcnt lgkmcnt(0)
	; wave barrier
	buffer_load_dword v4, off, s[0:3], 0 offset:288
	buffer_load_dword v5, off, s[0:3], 0 offset:292
	v_cmp_gt_u32_e32 vcc, 36, v0
	s_waitcnt vmcnt(0)
	ds_write_b64 v1, v[4:5]
	s_waitcnt lgkmcnt(0)
	; wave barrier
	s_waitcnt lgkmcnt(0)
	s_and_saveexec_b64 s[4:5], vcc
	s_cbranch_execz .LBB47_159
; %bb.156:
	v_add_u32_e32 v4, -1, v0
	v_add_u32_e32 v5, 0x180, v6
	v_add_u32_e32 v7, 0, v6
	s_mov_b64 s[6:7], 0
	v_mov_b32_e32 v3, 0
	v_mov_b32_e32 v8, 0
.LBB47_157:                             ; =>This Inner Loop Header: Depth=1
	buffer_load_dword v9, v7, s[0:3], 0 offen offset:4
	buffer_load_dword v12, v7, s[0:3], 0 offen
	ds_read_b64 v[10:11], v5
	v_add_u32_e32 v4, 1, v4
	v_cmp_lt_u32_e32 vcc, 34, v4
	v_add_u32_e32 v5, 8, v5
	v_add_u32_e32 v7, 8, v7
	s_or_b64 s[6:7], vcc, s[6:7]
	s_waitcnt vmcnt(1) lgkmcnt(0)
	v_mul_f32_e32 v13, v11, v9
	v_mul_f32_e32 v9, v10, v9
	s_waitcnt vmcnt(0)
	v_fma_f32 v10, v10, v12, -v13
	v_fmac_f32_e32 v9, v11, v12
	v_add_f32_e32 v8, v8, v10
	v_add_f32_e32 v3, v3, v9
	s_andn2_b64 exec, exec, s[6:7]
	s_cbranch_execnz .LBB47_157
; %bb.158:
	s_or_b64 exec, exec, s[6:7]
	v_mov_b32_e32 v4, 0
	ds_read_b64 v[4:5], v4 offset:288
	s_waitcnt lgkmcnt(0)
	v_mul_f32_e32 v7, v3, v5
	v_mul_f32_e32 v5, v8, v5
	v_fma_f32 v7, v8, v4, -v7
	v_fmac_f32_e32 v5, v3, v4
	buffer_store_dword v7, off, s[0:3], 0 offset:288
	buffer_store_dword v5, off, s[0:3], 0 offset:292
.LBB47_159:
	s_or_b64 exec, exec, s[4:5]
	s_waitcnt lgkmcnt(0)
	; wave barrier
	buffer_load_dword v4, off, s[0:3], 0 offset:296
	buffer_load_dword v5, off, s[0:3], 0 offset:300
	v_cmp_gt_u32_e32 vcc, 37, v0
	s_waitcnt vmcnt(0)
	ds_write_b64 v1, v[4:5]
	s_waitcnt lgkmcnt(0)
	; wave barrier
	s_waitcnt lgkmcnt(0)
	s_and_saveexec_b64 s[4:5], vcc
	s_cbranch_execz .LBB47_163
; %bb.160:
	v_add_u32_e32 v4, -1, v0
	v_add_u32_e32 v5, 0x180, v6
	v_add_u32_e32 v7, 0, v6
	s_mov_b64 s[6:7], 0
	v_mov_b32_e32 v3, 0
	v_mov_b32_e32 v8, 0
.LBB47_161:                             ; =>This Inner Loop Header: Depth=1
	buffer_load_dword v9, v7, s[0:3], 0 offen offset:4
	buffer_load_dword v12, v7, s[0:3], 0 offen
	ds_read_b64 v[10:11], v5
	v_add_u32_e32 v4, 1, v4
	v_cmp_lt_u32_e32 vcc, 35, v4
	v_add_u32_e32 v5, 8, v5
	v_add_u32_e32 v7, 8, v7
	s_or_b64 s[6:7], vcc, s[6:7]
	s_waitcnt vmcnt(1) lgkmcnt(0)
	v_mul_f32_e32 v13, v11, v9
	v_mul_f32_e32 v9, v10, v9
	s_waitcnt vmcnt(0)
	v_fma_f32 v10, v10, v12, -v13
	v_fmac_f32_e32 v9, v11, v12
	v_add_f32_e32 v8, v8, v10
	v_add_f32_e32 v3, v3, v9
	s_andn2_b64 exec, exec, s[6:7]
	s_cbranch_execnz .LBB47_161
; %bb.162:
	s_or_b64 exec, exec, s[6:7]
	v_mov_b32_e32 v4, 0
	ds_read_b64 v[4:5], v4 offset:296
	s_waitcnt lgkmcnt(0)
	v_mul_f32_e32 v7, v3, v5
	v_mul_f32_e32 v5, v8, v5
	v_fma_f32 v7, v8, v4, -v7
	v_fmac_f32_e32 v5, v3, v4
	buffer_store_dword v7, off, s[0:3], 0 offset:296
	buffer_store_dword v5, off, s[0:3], 0 offset:300
.LBB47_163:
	s_or_b64 exec, exec, s[4:5]
	s_waitcnt lgkmcnt(0)
	; wave barrier
	buffer_load_dword v4, off, s[0:3], 0 offset:304
	buffer_load_dword v5, off, s[0:3], 0 offset:308
	v_cmp_gt_u32_e32 vcc, 38, v0
	s_waitcnt vmcnt(0)
	ds_write_b64 v1, v[4:5]
	s_waitcnt lgkmcnt(0)
	; wave barrier
	s_waitcnt lgkmcnt(0)
	s_and_saveexec_b64 s[4:5], vcc
	s_cbranch_execz .LBB47_167
; %bb.164:
	v_add_u32_e32 v4, -1, v0
	v_add_u32_e32 v5, 0x180, v6
	v_add_u32_e32 v7, 0, v6
	s_mov_b64 s[6:7], 0
	v_mov_b32_e32 v3, 0
	v_mov_b32_e32 v8, 0
.LBB47_165:                             ; =>This Inner Loop Header: Depth=1
	buffer_load_dword v9, v7, s[0:3], 0 offen offset:4
	buffer_load_dword v12, v7, s[0:3], 0 offen
	ds_read_b64 v[10:11], v5
	v_add_u32_e32 v4, 1, v4
	v_cmp_lt_u32_e32 vcc, 36, v4
	v_add_u32_e32 v5, 8, v5
	v_add_u32_e32 v7, 8, v7
	s_or_b64 s[6:7], vcc, s[6:7]
	s_waitcnt vmcnt(1) lgkmcnt(0)
	v_mul_f32_e32 v13, v11, v9
	v_mul_f32_e32 v9, v10, v9
	s_waitcnt vmcnt(0)
	v_fma_f32 v10, v10, v12, -v13
	v_fmac_f32_e32 v9, v11, v12
	v_add_f32_e32 v8, v8, v10
	v_add_f32_e32 v3, v3, v9
	s_andn2_b64 exec, exec, s[6:7]
	s_cbranch_execnz .LBB47_165
; %bb.166:
	s_or_b64 exec, exec, s[6:7]
	v_mov_b32_e32 v4, 0
	ds_read_b64 v[4:5], v4 offset:304
	s_waitcnt lgkmcnt(0)
	v_mul_f32_e32 v7, v3, v5
	v_mul_f32_e32 v5, v8, v5
	v_fma_f32 v7, v8, v4, -v7
	v_fmac_f32_e32 v5, v3, v4
	buffer_store_dword v7, off, s[0:3], 0 offset:304
	buffer_store_dword v5, off, s[0:3], 0 offset:308
.LBB47_167:
	s_or_b64 exec, exec, s[4:5]
	s_waitcnt lgkmcnt(0)
	; wave barrier
	buffer_load_dword v4, off, s[0:3], 0 offset:312
	buffer_load_dword v5, off, s[0:3], 0 offset:316
	v_cmp_gt_u32_e32 vcc, 39, v0
	s_waitcnt vmcnt(0)
	ds_write_b64 v1, v[4:5]
	s_waitcnt lgkmcnt(0)
	; wave barrier
	s_waitcnt lgkmcnt(0)
	s_and_saveexec_b64 s[4:5], vcc
	s_cbranch_execz .LBB47_171
; %bb.168:
	v_add_u32_e32 v4, -1, v0
	v_add_u32_e32 v5, 0x180, v6
	v_add_u32_e32 v7, 0, v6
	s_mov_b64 s[6:7], 0
	v_mov_b32_e32 v3, 0
	v_mov_b32_e32 v8, 0
.LBB47_169:                             ; =>This Inner Loop Header: Depth=1
	buffer_load_dword v9, v7, s[0:3], 0 offen offset:4
	buffer_load_dword v12, v7, s[0:3], 0 offen
	ds_read_b64 v[10:11], v5
	v_add_u32_e32 v4, 1, v4
	v_cmp_lt_u32_e32 vcc, 37, v4
	v_add_u32_e32 v5, 8, v5
	v_add_u32_e32 v7, 8, v7
	s_or_b64 s[6:7], vcc, s[6:7]
	s_waitcnt vmcnt(1) lgkmcnt(0)
	v_mul_f32_e32 v13, v11, v9
	v_mul_f32_e32 v9, v10, v9
	s_waitcnt vmcnt(0)
	v_fma_f32 v10, v10, v12, -v13
	v_fmac_f32_e32 v9, v11, v12
	v_add_f32_e32 v8, v8, v10
	v_add_f32_e32 v3, v3, v9
	s_andn2_b64 exec, exec, s[6:7]
	s_cbranch_execnz .LBB47_169
; %bb.170:
	s_or_b64 exec, exec, s[6:7]
	v_mov_b32_e32 v4, 0
	ds_read_b64 v[4:5], v4 offset:312
	s_waitcnt lgkmcnt(0)
	v_mul_f32_e32 v7, v3, v5
	v_mul_f32_e32 v5, v8, v5
	v_fma_f32 v7, v8, v4, -v7
	v_fmac_f32_e32 v5, v3, v4
	buffer_store_dword v7, off, s[0:3], 0 offset:312
	buffer_store_dword v5, off, s[0:3], 0 offset:316
.LBB47_171:
	s_or_b64 exec, exec, s[4:5]
	s_waitcnt lgkmcnt(0)
	; wave barrier
	buffer_load_dword v4, off, s[0:3], 0 offset:320
	buffer_load_dword v5, off, s[0:3], 0 offset:324
	v_cmp_gt_u32_e32 vcc, 40, v0
	s_waitcnt vmcnt(0)
	ds_write_b64 v1, v[4:5]
	s_waitcnt lgkmcnt(0)
	; wave barrier
	s_waitcnt lgkmcnt(0)
	s_and_saveexec_b64 s[4:5], vcc
	s_cbranch_execz .LBB47_175
; %bb.172:
	v_add_u32_e32 v4, -1, v0
	v_add_u32_e32 v5, 0x180, v6
	v_add_u32_e32 v7, 0, v6
	s_mov_b64 s[6:7], 0
	v_mov_b32_e32 v3, 0
	v_mov_b32_e32 v8, 0
.LBB47_173:                             ; =>This Inner Loop Header: Depth=1
	buffer_load_dword v9, v7, s[0:3], 0 offen offset:4
	buffer_load_dword v12, v7, s[0:3], 0 offen
	ds_read_b64 v[10:11], v5
	v_add_u32_e32 v4, 1, v4
	v_cmp_lt_u32_e32 vcc, 38, v4
	v_add_u32_e32 v5, 8, v5
	v_add_u32_e32 v7, 8, v7
	s_or_b64 s[6:7], vcc, s[6:7]
	s_waitcnt vmcnt(1) lgkmcnt(0)
	v_mul_f32_e32 v13, v11, v9
	v_mul_f32_e32 v9, v10, v9
	s_waitcnt vmcnt(0)
	v_fma_f32 v10, v10, v12, -v13
	v_fmac_f32_e32 v9, v11, v12
	v_add_f32_e32 v8, v8, v10
	v_add_f32_e32 v3, v3, v9
	s_andn2_b64 exec, exec, s[6:7]
	s_cbranch_execnz .LBB47_173
; %bb.174:
	s_or_b64 exec, exec, s[6:7]
	v_mov_b32_e32 v4, 0
	ds_read_b64 v[4:5], v4 offset:320
	s_waitcnt lgkmcnt(0)
	v_mul_f32_e32 v7, v3, v5
	v_mul_f32_e32 v5, v8, v5
	v_fma_f32 v7, v8, v4, -v7
	v_fmac_f32_e32 v5, v3, v4
	buffer_store_dword v7, off, s[0:3], 0 offset:320
	buffer_store_dword v5, off, s[0:3], 0 offset:324
.LBB47_175:
	s_or_b64 exec, exec, s[4:5]
	s_waitcnt lgkmcnt(0)
	; wave barrier
	buffer_load_dword v4, off, s[0:3], 0 offset:328
	buffer_load_dword v5, off, s[0:3], 0 offset:332
	v_cmp_gt_u32_e32 vcc, 41, v0
	s_waitcnt vmcnt(0)
	ds_write_b64 v1, v[4:5]
	s_waitcnt lgkmcnt(0)
	; wave barrier
	s_waitcnt lgkmcnt(0)
	s_and_saveexec_b64 s[4:5], vcc
	s_cbranch_execz .LBB47_179
; %bb.176:
	v_add_u32_e32 v4, -1, v0
	v_add_u32_e32 v5, 0x180, v6
	v_add_u32_e32 v7, 0, v6
	s_mov_b64 s[6:7], 0
	v_mov_b32_e32 v3, 0
	v_mov_b32_e32 v8, 0
.LBB47_177:                             ; =>This Inner Loop Header: Depth=1
	buffer_load_dword v9, v7, s[0:3], 0 offen offset:4
	buffer_load_dword v12, v7, s[0:3], 0 offen
	ds_read_b64 v[10:11], v5
	v_add_u32_e32 v4, 1, v4
	v_cmp_lt_u32_e32 vcc, 39, v4
	v_add_u32_e32 v5, 8, v5
	v_add_u32_e32 v7, 8, v7
	s_or_b64 s[6:7], vcc, s[6:7]
	s_waitcnt vmcnt(1) lgkmcnt(0)
	v_mul_f32_e32 v13, v11, v9
	v_mul_f32_e32 v9, v10, v9
	s_waitcnt vmcnt(0)
	v_fma_f32 v10, v10, v12, -v13
	v_fmac_f32_e32 v9, v11, v12
	v_add_f32_e32 v8, v8, v10
	v_add_f32_e32 v3, v3, v9
	s_andn2_b64 exec, exec, s[6:7]
	s_cbranch_execnz .LBB47_177
; %bb.178:
	s_or_b64 exec, exec, s[6:7]
	v_mov_b32_e32 v4, 0
	ds_read_b64 v[4:5], v4 offset:328
	s_waitcnt lgkmcnt(0)
	v_mul_f32_e32 v7, v3, v5
	v_mul_f32_e32 v5, v8, v5
	v_fma_f32 v7, v8, v4, -v7
	v_fmac_f32_e32 v5, v3, v4
	buffer_store_dword v7, off, s[0:3], 0 offset:328
	buffer_store_dword v5, off, s[0:3], 0 offset:332
.LBB47_179:
	s_or_b64 exec, exec, s[4:5]
	s_waitcnt lgkmcnt(0)
	; wave barrier
	buffer_load_dword v4, off, s[0:3], 0 offset:336
	buffer_load_dword v5, off, s[0:3], 0 offset:340
	v_cmp_gt_u32_e32 vcc, 42, v0
	s_waitcnt vmcnt(0)
	ds_write_b64 v1, v[4:5]
	s_waitcnt lgkmcnt(0)
	; wave barrier
	s_waitcnt lgkmcnt(0)
	s_and_saveexec_b64 s[4:5], vcc
	s_cbranch_execz .LBB47_183
; %bb.180:
	v_add_u32_e32 v4, -1, v0
	v_add_u32_e32 v5, 0x180, v6
	v_add_u32_e32 v7, 0, v6
	s_mov_b64 s[6:7], 0
	v_mov_b32_e32 v3, 0
	v_mov_b32_e32 v8, 0
.LBB47_181:                             ; =>This Inner Loop Header: Depth=1
	buffer_load_dword v9, v7, s[0:3], 0 offen offset:4
	buffer_load_dword v12, v7, s[0:3], 0 offen
	ds_read_b64 v[10:11], v5
	v_add_u32_e32 v4, 1, v4
	v_cmp_lt_u32_e32 vcc, 40, v4
	v_add_u32_e32 v5, 8, v5
	v_add_u32_e32 v7, 8, v7
	s_or_b64 s[6:7], vcc, s[6:7]
	s_waitcnt vmcnt(1) lgkmcnt(0)
	v_mul_f32_e32 v13, v11, v9
	v_mul_f32_e32 v9, v10, v9
	s_waitcnt vmcnt(0)
	v_fma_f32 v10, v10, v12, -v13
	v_fmac_f32_e32 v9, v11, v12
	v_add_f32_e32 v8, v8, v10
	v_add_f32_e32 v3, v3, v9
	s_andn2_b64 exec, exec, s[6:7]
	s_cbranch_execnz .LBB47_181
; %bb.182:
	s_or_b64 exec, exec, s[6:7]
	v_mov_b32_e32 v4, 0
	ds_read_b64 v[4:5], v4 offset:336
	s_waitcnt lgkmcnt(0)
	v_mul_f32_e32 v7, v3, v5
	v_mul_f32_e32 v5, v8, v5
	v_fma_f32 v7, v8, v4, -v7
	v_fmac_f32_e32 v5, v3, v4
	buffer_store_dword v7, off, s[0:3], 0 offset:336
	buffer_store_dword v5, off, s[0:3], 0 offset:340
.LBB47_183:
	s_or_b64 exec, exec, s[4:5]
	s_waitcnt lgkmcnt(0)
	; wave barrier
	buffer_load_dword v4, off, s[0:3], 0 offset:344
	buffer_load_dword v5, off, s[0:3], 0 offset:348
	v_cmp_gt_u32_e32 vcc, 43, v0
	s_waitcnt vmcnt(0)
	ds_write_b64 v1, v[4:5]
	s_waitcnt lgkmcnt(0)
	; wave barrier
	s_waitcnt lgkmcnt(0)
	s_and_saveexec_b64 s[4:5], vcc
	s_cbranch_execz .LBB47_187
; %bb.184:
	v_add_u32_e32 v4, -1, v0
	v_add_u32_e32 v5, 0x180, v6
	v_add_u32_e32 v7, 0, v6
	s_mov_b64 s[6:7], 0
	v_mov_b32_e32 v3, 0
	v_mov_b32_e32 v8, 0
.LBB47_185:                             ; =>This Inner Loop Header: Depth=1
	buffer_load_dword v9, v7, s[0:3], 0 offen offset:4
	buffer_load_dword v12, v7, s[0:3], 0 offen
	ds_read_b64 v[10:11], v5
	v_add_u32_e32 v4, 1, v4
	v_cmp_lt_u32_e32 vcc, 41, v4
	v_add_u32_e32 v5, 8, v5
	v_add_u32_e32 v7, 8, v7
	s_or_b64 s[6:7], vcc, s[6:7]
	s_waitcnt vmcnt(1) lgkmcnt(0)
	v_mul_f32_e32 v13, v11, v9
	v_mul_f32_e32 v9, v10, v9
	s_waitcnt vmcnt(0)
	v_fma_f32 v10, v10, v12, -v13
	v_fmac_f32_e32 v9, v11, v12
	v_add_f32_e32 v8, v8, v10
	v_add_f32_e32 v3, v3, v9
	s_andn2_b64 exec, exec, s[6:7]
	s_cbranch_execnz .LBB47_185
; %bb.186:
	s_or_b64 exec, exec, s[6:7]
	v_mov_b32_e32 v4, 0
	ds_read_b64 v[4:5], v4 offset:344
	s_waitcnt lgkmcnt(0)
	v_mul_f32_e32 v7, v3, v5
	v_mul_f32_e32 v5, v8, v5
	v_fma_f32 v7, v8, v4, -v7
	v_fmac_f32_e32 v5, v3, v4
	buffer_store_dword v7, off, s[0:3], 0 offset:344
	buffer_store_dword v5, off, s[0:3], 0 offset:348
.LBB47_187:
	s_or_b64 exec, exec, s[4:5]
	s_waitcnt lgkmcnt(0)
	; wave barrier
	buffer_load_dword v4, off, s[0:3], 0 offset:352
	buffer_load_dword v5, off, s[0:3], 0 offset:356
	v_cmp_gt_u32_e32 vcc, 44, v0
	s_waitcnt vmcnt(0)
	ds_write_b64 v1, v[4:5]
	s_waitcnt lgkmcnt(0)
	; wave barrier
	s_waitcnt lgkmcnt(0)
	s_and_saveexec_b64 s[4:5], vcc
	s_cbranch_execz .LBB47_191
; %bb.188:
	v_add_u32_e32 v4, -1, v0
	v_add_u32_e32 v5, 0x180, v6
	v_add_u32_e32 v7, 0, v6
	s_mov_b64 s[6:7], 0
	v_mov_b32_e32 v3, 0
	v_mov_b32_e32 v8, 0
.LBB47_189:                             ; =>This Inner Loop Header: Depth=1
	buffer_load_dword v9, v7, s[0:3], 0 offen offset:4
	buffer_load_dword v12, v7, s[0:3], 0 offen
	ds_read_b64 v[10:11], v5
	v_add_u32_e32 v4, 1, v4
	v_cmp_lt_u32_e32 vcc, 42, v4
	v_add_u32_e32 v5, 8, v5
	v_add_u32_e32 v7, 8, v7
	s_or_b64 s[6:7], vcc, s[6:7]
	s_waitcnt vmcnt(1) lgkmcnt(0)
	v_mul_f32_e32 v13, v11, v9
	v_mul_f32_e32 v9, v10, v9
	s_waitcnt vmcnt(0)
	v_fma_f32 v10, v10, v12, -v13
	v_fmac_f32_e32 v9, v11, v12
	v_add_f32_e32 v8, v8, v10
	v_add_f32_e32 v3, v3, v9
	s_andn2_b64 exec, exec, s[6:7]
	s_cbranch_execnz .LBB47_189
; %bb.190:
	s_or_b64 exec, exec, s[6:7]
	v_mov_b32_e32 v4, 0
	ds_read_b64 v[4:5], v4 offset:352
	s_waitcnt lgkmcnt(0)
	v_mul_f32_e32 v7, v3, v5
	v_mul_f32_e32 v5, v8, v5
	v_fma_f32 v7, v8, v4, -v7
	v_fmac_f32_e32 v5, v3, v4
	buffer_store_dword v7, off, s[0:3], 0 offset:352
	buffer_store_dword v5, off, s[0:3], 0 offset:356
.LBB47_191:
	s_or_b64 exec, exec, s[4:5]
	s_waitcnt lgkmcnt(0)
	; wave barrier
	buffer_load_dword v4, off, s[0:3], 0 offset:360
	buffer_load_dword v5, off, s[0:3], 0 offset:364
	v_cmp_gt_u32_e32 vcc, 45, v0
	s_waitcnt vmcnt(0)
	ds_write_b64 v1, v[4:5]
	s_waitcnt lgkmcnt(0)
	; wave barrier
	s_waitcnt lgkmcnt(0)
	s_and_saveexec_b64 s[4:5], vcc
	s_cbranch_execz .LBB47_195
; %bb.192:
	v_add_u32_e32 v4, -1, v0
	v_add_u32_e32 v5, 0x180, v6
	v_add_u32_e32 v7, 0, v6
	s_mov_b64 s[6:7], 0
	v_mov_b32_e32 v3, 0
	v_mov_b32_e32 v8, 0
.LBB47_193:                             ; =>This Inner Loop Header: Depth=1
	buffer_load_dword v9, v7, s[0:3], 0 offen offset:4
	buffer_load_dword v12, v7, s[0:3], 0 offen
	ds_read_b64 v[10:11], v5
	v_add_u32_e32 v4, 1, v4
	v_cmp_lt_u32_e32 vcc, 43, v4
	v_add_u32_e32 v5, 8, v5
	v_add_u32_e32 v7, 8, v7
	s_or_b64 s[6:7], vcc, s[6:7]
	s_waitcnt vmcnt(1) lgkmcnt(0)
	v_mul_f32_e32 v13, v11, v9
	v_mul_f32_e32 v9, v10, v9
	s_waitcnt vmcnt(0)
	v_fma_f32 v10, v10, v12, -v13
	v_fmac_f32_e32 v9, v11, v12
	v_add_f32_e32 v8, v8, v10
	v_add_f32_e32 v3, v3, v9
	s_andn2_b64 exec, exec, s[6:7]
	s_cbranch_execnz .LBB47_193
; %bb.194:
	s_or_b64 exec, exec, s[6:7]
	v_mov_b32_e32 v4, 0
	ds_read_b64 v[4:5], v4 offset:360
	s_waitcnt lgkmcnt(0)
	v_mul_f32_e32 v7, v3, v5
	v_mul_f32_e32 v5, v8, v5
	v_fma_f32 v7, v8, v4, -v7
	v_fmac_f32_e32 v5, v3, v4
	buffer_store_dword v7, off, s[0:3], 0 offset:360
	buffer_store_dword v5, off, s[0:3], 0 offset:364
.LBB47_195:
	s_or_b64 exec, exec, s[4:5]
	s_waitcnt lgkmcnt(0)
	; wave barrier
	buffer_load_dword v4, off, s[0:3], 0 offset:368
	buffer_load_dword v5, off, s[0:3], 0 offset:372
	v_cmp_gt_u32_e32 vcc, 46, v0
	s_waitcnt vmcnt(0)
	ds_write_b64 v1, v[4:5]
	s_waitcnt lgkmcnt(0)
	; wave barrier
	s_waitcnt lgkmcnt(0)
	s_and_saveexec_b64 s[4:5], vcc
	s_cbranch_execz .LBB47_199
; %bb.196:
	v_add_u32_e32 v4, -1, v0
	v_add_u32_e32 v5, 0x180, v6
	v_add_u32_e32 v7, 0, v6
	s_mov_b64 s[6:7], 0
	v_mov_b32_e32 v3, 0
	v_mov_b32_e32 v8, 0
.LBB47_197:                             ; =>This Inner Loop Header: Depth=1
	buffer_load_dword v9, v7, s[0:3], 0 offen offset:4
	buffer_load_dword v12, v7, s[0:3], 0 offen
	ds_read_b64 v[10:11], v5
	v_add_u32_e32 v4, 1, v4
	v_cmp_lt_u32_e32 vcc, 44, v4
	v_add_u32_e32 v5, 8, v5
	v_add_u32_e32 v7, 8, v7
	s_or_b64 s[6:7], vcc, s[6:7]
	s_waitcnt vmcnt(1) lgkmcnt(0)
	v_mul_f32_e32 v13, v11, v9
	v_mul_f32_e32 v9, v10, v9
	s_waitcnt vmcnt(0)
	v_fma_f32 v10, v10, v12, -v13
	v_fmac_f32_e32 v9, v11, v12
	v_add_f32_e32 v8, v8, v10
	v_add_f32_e32 v3, v3, v9
	s_andn2_b64 exec, exec, s[6:7]
	s_cbranch_execnz .LBB47_197
; %bb.198:
	s_or_b64 exec, exec, s[6:7]
	v_mov_b32_e32 v4, 0
	ds_read_b64 v[4:5], v4 offset:368
	s_waitcnt lgkmcnt(0)
	v_mul_f32_e32 v7, v3, v5
	v_mul_f32_e32 v5, v8, v5
	v_fma_f32 v7, v8, v4, -v7
	v_fmac_f32_e32 v5, v3, v4
	buffer_store_dword v7, off, s[0:3], 0 offset:368
	buffer_store_dword v5, off, s[0:3], 0 offset:372
.LBB47_199:
	s_or_b64 exec, exec, s[4:5]
	s_waitcnt lgkmcnt(0)
	; wave barrier
	buffer_load_dword v4, off, s[0:3], 0 offset:376
	buffer_load_dword v5, off, s[0:3], 0 offset:380
	v_cmp_ne_u32_e32 vcc, 47, v0
	s_waitcnt vmcnt(0)
	ds_write_b64 v1, v[4:5]
	s_waitcnt lgkmcnt(0)
	; wave barrier
	s_waitcnt lgkmcnt(0)
	s_and_saveexec_b64 s[4:5], vcc
	s_cbranch_execz .LBB47_203
; %bb.200:
	v_add_u32_e32 v3, 0x180, v6
	v_add_u32_e32 v4, 0, v6
	s_mov_b64 s[6:7], 0
	v_mov_b32_e32 v1, 0
	v_mov_b32_e32 v5, 0
.LBB47_201:                             ; =>This Inner Loop Header: Depth=1
	buffer_load_dword v8, v4, s[0:3], 0 offen offset:4
	buffer_load_dword v9, v4, s[0:3], 0 offen
	ds_read_b64 v[6:7], v3
	v_add_u32_e32 v2, 1, v2
	v_cmp_lt_u32_e32 vcc, 45, v2
	v_add_u32_e32 v3, 8, v3
	v_add_u32_e32 v4, 8, v4
	s_or_b64 s[6:7], vcc, s[6:7]
	s_waitcnt vmcnt(1) lgkmcnt(0)
	v_mul_f32_e32 v10, v7, v8
	v_mul_f32_e32 v8, v6, v8
	s_waitcnt vmcnt(0)
	v_fma_f32 v6, v6, v9, -v10
	v_fmac_f32_e32 v8, v7, v9
	v_add_f32_e32 v5, v5, v6
	v_add_f32_e32 v1, v1, v8
	s_andn2_b64 exec, exec, s[6:7]
	s_cbranch_execnz .LBB47_201
; %bb.202:
	s_or_b64 exec, exec, s[6:7]
	v_mov_b32_e32 v2, 0
	ds_read_b64 v[2:3], v2 offset:376
	s_waitcnt lgkmcnt(0)
	v_mul_f32_e32 v4, v1, v3
	v_mul_f32_e32 v3, v5, v3
	v_fma_f32 v4, v5, v2, -v4
	v_fmac_f32_e32 v3, v1, v2
	buffer_store_dword v4, off, s[0:3], 0 offset:376
	buffer_store_dword v3, off, s[0:3], 0 offset:380
.LBB47_203:
	s_or_b64 exec, exec, s[4:5]
	s_mov_b64 s[6:7], -1
	s_waitcnt lgkmcnt(0)
	; wave barrier
.LBB47_204:
	s_and_b64 vcc, exec, s[6:7]
	s_cbranch_vccz .LBB47_206
; %bb.205:
	s_lshl_b64 s[4:5], s[8:9], 2
	s_add_u32 s4, s14, s4
	s_addc_u32 s5, s15, s5
	v_mov_b32_e32 v1, 0
	global_load_dword v1, v1, s[4:5]
	s_waitcnt vmcnt(0)
	v_cmp_ne_u32_e32 vcc, 0, v1
	s_cbranch_vccz .LBB47_207
.LBB47_206:
	s_endpgm
.LBB47_207:
	v_mov_b32_e32 v1, 0x180
	v_lshl_add_u32 v1, v0, 3, v1
	v_accvgpr_write_b32 a20, v1
	v_cmp_eq_u32_e32 vcc, 47, v0
	s_and_saveexec_b64 s[4:5], vcc
	s_cbranch_execz .LBB47_209
; %bb.208:
	buffer_load_dword v2, off, s[0:3], 0 offset:368
	buffer_load_dword v3, off, s[0:3], 0 offset:372
	v_mov_b32_e32 v4, 0
	v_accvgpr_read_b32 v1, a20
	buffer_store_dword v4, off, s[0:3], 0 offset:368
	buffer_store_dword v4, off, s[0:3], 0 offset:372
	s_waitcnt vmcnt(2)
	ds_write_b64 v1, v[2:3]
.LBB47_209:
	s_or_b64 exec, exec, s[4:5]
	s_waitcnt lgkmcnt(0)
	; wave barrier
	s_waitcnt lgkmcnt(0)
	buffer_load_dword v5, off, s[0:3], 0 offset:380
	buffer_load_dword v4, off, s[0:3], 0 offset:376
	;; [unrolled: 1-line block ×4, first 2 shown]
	v_mov_b32_e32 v2, 0
	ds_read_b64 v[8:9], v2 offset:760
	v_cmp_lt_u32_e32 vcc, 45, v0
	s_waitcnt vmcnt(3)
	v_mov_b32_e32 v10, v5
	s_waitcnt lgkmcnt(0)
	v_pk_mul_f32 v[10:11], v[8:9], v[10:11] op_sel_hi:[1,0]
	s_waitcnt vmcnt(2)
	v_pk_fma_f32 v[12:13], v[8:9], v[4:5], v[10:11] op_sel:[0,0,1] op_sel_hi:[1,1,0] neg_lo:[0,0,1] neg_hi:[0,0,1]
	v_pk_fma_f32 v[4:5], v[8:9], v[4:5], v[10:11] op_sel:[0,0,1] op_sel_hi:[1,0,0]
	v_mov_b32_e32 v13, v5
	v_pk_add_f32 v[4:5], v[12:13], 0 op_sel_hi:[1,0]
	s_waitcnt vmcnt(0)
	v_pk_add_f32 v[4:5], v[6:7], v[4:5] neg_lo:[0,1] neg_hi:[0,1]
	buffer_store_dword v4, off, s[0:3], 0 offset:368
	buffer_store_dword v5, off, s[0:3], 0 offset:372
	s_and_saveexec_b64 s[4:5], vcc
	s_cbranch_execz .LBB47_211
; %bb.210:
	buffer_load_dword v4, off, s[0:3], 0 offset:360
	buffer_load_dword v5, off, s[0:3], 0 offset:364
	v_accvgpr_read_b32 v1, a20
	buffer_store_dword v2, off, s[0:3], 0 offset:360
	buffer_store_dword v2, off, s[0:3], 0 offset:364
	s_waitcnt vmcnt(2)
	ds_write_b64 v1, v[4:5]
.LBB47_211:
	s_or_b64 exec, exec, s[4:5]
	s_waitcnt lgkmcnt(0)
	; wave barrier
	s_waitcnt lgkmcnt(0)
	buffer_load_dword v7, off, s[0:3], 0 offset:372
	buffer_load_dword v9, off, s[0:3], 0 offset:380
	;; [unrolled: 1-line block ×6, first 2 shown]
	ds_read_b128 v[2:5], v2 offset:752
	v_cmp_lt_u32_e32 vcc, 44, v0
	s_waitcnt vmcnt(5)
	v_mov_b32_e32 v12, v7
	s_waitcnt vmcnt(4)
	v_mov_b32_e32 v14, v9
	s_waitcnt lgkmcnt(0)
	v_pk_mul_f32 v[12:13], v[2:3], v[12:13] op_sel_hi:[1,0]
	v_pk_mul_f32 v[14:15], v[4:5], v[14:15] op_sel_hi:[1,0]
	s_waitcnt vmcnt(3)
	v_pk_fma_f32 v[16:17], v[2:3], v[6:7], v[12:13] op_sel:[0,0,1] op_sel_hi:[1,1,0] neg_lo:[0,0,1] neg_hi:[0,0,1]
	v_pk_fma_f32 v[2:3], v[2:3], v[6:7], v[12:13] op_sel:[0,0,1] op_sel_hi:[1,0,0]
	s_waitcnt vmcnt(2)
	v_pk_fma_f32 v[6:7], v[4:5], v[8:9], v[14:15] op_sel:[0,0,1] op_sel_hi:[1,1,0] neg_lo:[0,0,1] neg_hi:[0,0,1]
	v_pk_fma_f32 v[4:5], v[4:5], v[8:9], v[14:15] op_sel:[0,0,1] op_sel_hi:[1,0,0]
	v_mov_b32_e32 v17, v3
	v_mov_b32_e32 v7, v5
	v_pk_add_f32 v[2:3], v[16:17], 0 op_sel_hi:[1,0]
	v_pk_add_f32 v[2:3], v[2:3], v[6:7]
	s_waitcnt vmcnt(0)
	v_pk_add_f32 v[2:3], v[10:11], v[2:3] neg_lo:[0,1] neg_hi:[0,1]
	buffer_store_dword v2, off, s[0:3], 0 offset:360
	buffer_store_dword v3, off, s[0:3], 0 offset:364
	s_and_saveexec_b64 s[4:5], vcc
	s_cbranch_execz .LBB47_213
; %bb.212:
	buffer_load_dword v2, off, s[0:3], 0 offset:352
	buffer_load_dword v3, off, s[0:3], 0 offset:356
	v_mov_b32_e32 v4, 0
	v_accvgpr_read_b32 v1, a20
	buffer_store_dword v4, off, s[0:3], 0 offset:352
	buffer_store_dword v4, off, s[0:3], 0 offset:356
	s_waitcnt vmcnt(2)
	ds_write_b64 v1, v[2:3]
.LBB47_213:
	s_or_b64 exec, exec, s[4:5]
	s_waitcnt lgkmcnt(0)
	; wave barrier
	s_waitcnt lgkmcnt(0)
	buffer_load_dword v9, off, s[0:3], 0 offset:364
	buffer_load_dword v11, off, s[0:3], 0 offset:372
	;; [unrolled: 1-line block ×8, first 2 shown]
	v_mov_b32_e32 v2, 0
	ds_read2_b64 v[4:7], v2 offset0:93 offset1:94
	ds_read_b64 v[16:17], v2 offset:760
	v_cmp_lt_u32_e32 vcc, 43, v0
	s_waitcnt vmcnt(7)
	v_mov_b32_e32 v18, v9
	s_waitcnt vmcnt(6)
	v_mov_b32_e32 v20, v11
	s_waitcnt lgkmcnt(1)
	v_pk_mul_f32 v[18:19], v[4:5], v[18:19] op_sel_hi:[1,0]
	s_waitcnt vmcnt(5)
	v_mov_b32_e32 v22, v13
	v_pk_mul_f32 v[20:21], v[6:7], v[20:21] op_sel_hi:[1,0]
	s_waitcnt vmcnt(4)
	v_pk_fma_f32 v[24:25], v[4:5], v[8:9], v[18:19] op_sel:[0,0,1] op_sel_hi:[1,1,0] neg_lo:[0,0,1] neg_hi:[0,0,1]
	v_pk_fma_f32 v[4:5], v[4:5], v[8:9], v[18:19] op_sel:[0,0,1] op_sel_hi:[1,0,0]
	s_waitcnt lgkmcnt(0)
	v_pk_mul_f32 v[22:23], v[16:17], v[22:23] op_sel_hi:[1,0]
	s_waitcnt vmcnt(3)
	v_pk_fma_f32 v[8:9], v[6:7], v[10:11], v[20:21] op_sel:[0,0,1] op_sel_hi:[1,1,0] neg_lo:[0,0,1] neg_hi:[0,0,1]
	v_pk_fma_f32 v[6:7], v[6:7], v[10:11], v[20:21] op_sel:[0,0,1] op_sel_hi:[1,0,0]
	v_mov_b32_e32 v25, v5
	s_waitcnt vmcnt(2)
	v_pk_fma_f32 v[10:11], v[16:17], v[12:13], v[22:23] op_sel:[0,0,1] op_sel_hi:[1,1,0] neg_lo:[0,0,1] neg_hi:[0,0,1]
	v_pk_fma_f32 v[12:13], v[16:17], v[12:13], v[22:23] op_sel:[0,0,1] op_sel_hi:[1,0,0]
	v_mov_b32_e32 v9, v7
	v_pk_add_f32 v[4:5], v[24:25], 0 op_sel_hi:[1,0]
	v_mov_b32_e32 v11, v13
	v_pk_add_f32 v[4:5], v[4:5], v[8:9]
	v_pk_add_f32 v[4:5], v[4:5], v[10:11]
	s_waitcnt vmcnt(0)
	v_pk_add_f32 v[4:5], v[14:15], v[4:5] neg_lo:[0,1] neg_hi:[0,1]
	buffer_store_dword v4, off, s[0:3], 0 offset:352
	buffer_store_dword v5, off, s[0:3], 0 offset:356
	s_and_saveexec_b64 s[4:5], vcc
	s_cbranch_execz .LBB47_215
; %bb.214:
	buffer_load_dword v4, off, s[0:3], 0 offset:344
	buffer_load_dword v5, off, s[0:3], 0 offset:348
	v_accvgpr_read_b32 v1, a20
	buffer_store_dword v2, off, s[0:3], 0 offset:344
	buffer_store_dword v2, off, s[0:3], 0 offset:348
	s_waitcnt vmcnt(2)
	ds_write_b64 v1, v[4:5]
.LBB47_215:
	s_or_b64 exec, exec, s[4:5]
	s_waitcnt lgkmcnt(0)
	; wave barrier
	s_waitcnt lgkmcnt(0)
	buffer_load_dword v13, off, s[0:3], 0 offset:356
	buffer_load_dword v15, off, s[0:3], 0 offset:364
	;; [unrolled: 1-line block ×10, first 2 shown]
	ds_read_b128 v[4:7], v2 offset:736
	ds_read_b128 v[8:11], v2 offset:752
	v_cmp_lt_u32_e32 vcc, 42, v0
	s_waitcnt vmcnt(9)
	v_mov_b32_e32 v2, v13
	s_waitcnt vmcnt(8)
	v_mov_b32_e32 v22, v15
	s_waitcnt lgkmcnt(1)
	v_pk_mul_f32 v[2:3], v[4:5], v[2:3] op_sel_hi:[1,0]
	s_waitcnt vmcnt(7)
	v_mov_b32_e32 v24, v17
	v_pk_mul_f32 v[22:23], v[6:7], v[22:23] op_sel_hi:[1,0]
	s_waitcnt vmcnt(5)
	v_pk_fma_f32 v[28:29], v[4:5], v[12:13], v[2:3] op_sel:[0,0,1] op_sel_hi:[1,1,0] neg_lo:[0,0,1] neg_hi:[0,0,1]
	v_pk_fma_f32 v[2:3], v[4:5], v[12:13], v[2:3] op_sel:[0,0,1] op_sel_hi:[1,0,0]
	v_mov_b32_e32 v26, v19
	s_waitcnt lgkmcnt(0)
	v_pk_mul_f32 v[24:25], v[8:9], v[24:25] op_sel_hi:[1,0]
	s_waitcnt vmcnt(4)
	v_pk_fma_f32 v[4:5], v[6:7], v[14:15], v[22:23] op_sel:[0,0,1] op_sel_hi:[1,1,0] neg_lo:[0,0,1] neg_hi:[0,0,1]
	v_pk_fma_f32 v[6:7], v[6:7], v[14:15], v[22:23] op_sel:[0,0,1] op_sel_hi:[1,0,0]
	v_mov_b32_e32 v29, v3
	v_pk_mul_f32 v[26:27], v[10:11], v[26:27] op_sel_hi:[1,0]
	s_waitcnt vmcnt(3)
	v_pk_fma_f32 v[12:13], v[8:9], v[16:17], v[24:25] op_sel:[0,0,1] op_sel_hi:[1,1,0] neg_lo:[0,0,1] neg_hi:[0,0,1]
	v_pk_fma_f32 v[8:9], v[8:9], v[16:17], v[24:25] op_sel:[0,0,1] op_sel_hi:[1,0,0]
	v_mov_b32_e32 v5, v7
	v_pk_add_f32 v[2:3], v[28:29], 0 op_sel_hi:[1,0]
	s_waitcnt vmcnt(2)
	v_pk_fma_f32 v[14:15], v[10:11], v[18:19], v[26:27] op_sel:[0,0,1] op_sel_hi:[1,1,0] neg_lo:[0,0,1] neg_hi:[0,0,1]
	v_pk_fma_f32 v[10:11], v[10:11], v[18:19], v[26:27] op_sel:[0,0,1] op_sel_hi:[1,0,0]
	v_mov_b32_e32 v13, v9
	v_pk_add_f32 v[2:3], v[2:3], v[4:5]
	v_mov_b32_e32 v15, v11
	v_pk_add_f32 v[2:3], v[2:3], v[12:13]
	v_pk_add_f32 v[2:3], v[2:3], v[14:15]
	s_waitcnt vmcnt(0)
	v_pk_add_f32 v[2:3], v[20:21], v[2:3] neg_lo:[0,1] neg_hi:[0,1]
	buffer_store_dword v2, off, s[0:3], 0 offset:344
	buffer_store_dword v3, off, s[0:3], 0 offset:348
	s_and_saveexec_b64 s[4:5], vcc
	s_cbranch_execz .LBB47_217
; %bb.216:
	buffer_load_dword v2, off, s[0:3], 0 offset:336
	buffer_load_dword v3, off, s[0:3], 0 offset:340
	v_mov_b32_e32 v4, 0
	v_accvgpr_read_b32 v1, a20
	buffer_store_dword v4, off, s[0:3], 0 offset:336
	buffer_store_dword v4, off, s[0:3], 0 offset:340
	s_waitcnt vmcnt(2)
	ds_write_b64 v1, v[2:3]
.LBB47_217:
	s_or_b64 exec, exec, s[4:5]
	s_waitcnt lgkmcnt(0)
	; wave barrier
	s_waitcnt lgkmcnt(0)
	buffer_load_dword v12, off, s[0:3], 0 offset:336
	buffer_load_dword v13, off, s[0:3], 0 offset:340
	;; [unrolled: 1-line block ×12, first 2 shown]
	v_mov_b32_e32 v2, 0
	ds_read2_b64 v[4:7], v2 offset0:91 offset1:92
	ds_read2_b64 v[8:11], v2 offset0:93 offset1:94
	ds_read_b64 v[24:25], v2 offset:760
	v_cmp_lt_u32_e32 vcc, 41, v0
	s_waitcnt vmcnt(8)
	v_mov_b32_e32 v26, v15
	s_waitcnt lgkmcnt(2)
	v_pk_mul_f32 v[26:27], v[4:5], v[26:27] op_sel_hi:[1,0]
	v_pk_fma_f32 v[28:29], v[4:5], v[14:15], v[26:27] op_sel:[0,0,1] op_sel_hi:[1,1,0] neg_lo:[0,0,1] neg_hi:[0,0,1]
	v_pk_fma_f32 v[4:5], v[4:5], v[14:15], v[26:27] op_sel:[0,0,1] op_sel_hi:[1,0,0]
	s_waitcnt vmcnt(6)
	v_mov_b32_e32 v14, v17
	v_pk_mul_f32 v[14:15], v[6:7], v[14:15] op_sel_hi:[1,0]
	v_pk_fma_f32 v[26:27], v[6:7], v[16:17], v[14:15] op_sel:[0,0,1] op_sel_hi:[1,1,0] neg_lo:[0,0,1] neg_hi:[0,0,1]
	v_pk_fma_f32 v[6:7], v[6:7], v[16:17], v[14:15] op_sel:[0,0,1] op_sel_hi:[1,0,0]
	s_waitcnt vmcnt(4)
	v_mov_b32_e32 v6, v19
	v_mov_b32_e32 v27, v7
	s_waitcnt lgkmcnt(1)
	v_pk_mul_f32 v[6:7], v[8:9], v[6:7] op_sel_hi:[1,0]
	v_pk_fma_f32 v[14:15], v[8:9], v[18:19], v[6:7] op_sel:[0,0,1] op_sel_hi:[1,1,0] neg_lo:[0,0,1] neg_hi:[0,0,1]
	v_pk_fma_f32 v[6:7], v[8:9], v[18:19], v[6:7] op_sel:[0,0,1] op_sel_hi:[1,0,0]
	s_waitcnt vmcnt(2)
	v_mov_b32_e32 v6, v21
	v_mov_b32_e32 v29, v5
	;; [unrolled: 1-line block ×3, first 2 shown]
	v_pk_mul_f32 v[6:7], v[10:11], v[6:7] op_sel_hi:[1,0]
	v_pk_add_f32 v[4:5], v[28:29], 0 op_sel_hi:[1,0]
	v_pk_fma_f32 v[8:9], v[10:11], v[20:21], v[6:7] op_sel:[0,0,1] op_sel_hi:[1,1,0] neg_lo:[0,0,1] neg_hi:[0,0,1]
	v_pk_fma_f32 v[6:7], v[10:11], v[20:21], v[6:7] op_sel:[0,0,1] op_sel_hi:[1,0,0]
	v_pk_add_f32 v[4:5], v[4:5], v[26:27]
	s_waitcnt vmcnt(0)
	v_mov_b32_e32 v6, v23
	v_pk_add_f32 v[4:5], v[4:5], v[14:15]
	v_mov_b32_e32 v9, v7
	s_waitcnt lgkmcnt(0)
	v_pk_mul_f32 v[6:7], v[24:25], v[6:7] op_sel_hi:[1,0]
	v_pk_add_f32 v[4:5], v[4:5], v[8:9]
	v_pk_fma_f32 v[8:9], v[24:25], v[22:23], v[6:7] op_sel:[0,0,1] op_sel_hi:[1,1,0] neg_lo:[0,0,1] neg_hi:[0,0,1]
	v_pk_fma_f32 v[6:7], v[24:25], v[22:23], v[6:7] op_sel:[0,0,1] op_sel_hi:[1,0,0]
	v_mov_b32_e32 v9, v7
	v_pk_add_f32 v[4:5], v[4:5], v[8:9]
	v_pk_add_f32 v[4:5], v[12:13], v[4:5] neg_lo:[0,1] neg_hi:[0,1]
	buffer_store_dword v4, off, s[0:3], 0 offset:336
	buffer_store_dword v5, off, s[0:3], 0 offset:340
	s_and_saveexec_b64 s[4:5], vcc
	s_cbranch_execz .LBB47_219
; %bb.218:
	buffer_load_dword v4, off, s[0:3], 0 offset:328
	buffer_load_dword v5, off, s[0:3], 0 offset:332
	v_accvgpr_read_b32 v1, a20
	buffer_store_dword v2, off, s[0:3], 0 offset:328
	buffer_store_dword v2, off, s[0:3], 0 offset:332
	s_waitcnt vmcnt(2)
	ds_write_b64 v1, v[4:5]
.LBB47_219:
	s_or_b64 exec, exec, s[4:5]
	s_waitcnt lgkmcnt(0)
	; wave barrier
	s_waitcnt lgkmcnt(0)
	buffer_load_dword v16, off, s[0:3], 0 offset:328
	buffer_load_dword v17, off, s[0:3], 0 offset:332
	;; [unrolled: 1-line block ×14, first 2 shown]
	ds_read_b128 v[4:7], v2 offset:720
	ds_read_b128 v[8:11], v2 offset:736
	;; [unrolled: 1-line block ×3, first 2 shown]
	v_cmp_lt_u32_e32 vcc, 40, v0
	s_waitcnt vmcnt(10)
	v_mov_b32_e32 v2, v19
	s_waitcnt lgkmcnt(2)
	v_pk_mul_f32 v[2:3], v[4:5], v[2:3] op_sel_hi:[1,0]
	v_pk_fma_f32 v[30:31], v[4:5], v[18:19], v[2:3] op_sel:[0,0,1] op_sel_hi:[1,1,0] neg_lo:[0,0,1] neg_hi:[0,0,1]
	v_pk_fma_f32 v[2:3], v[4:5], v[18:19], v[2:3] op_sel:[0,0,1] op_sel_hi:[1,0,0]
	s_waitcnt vmcnt(8)
	v_mov_b32_e32 v4, v21
	v_pk_mul_f32 v[4:5], v[6:7], v[4:5] op_sel_hi:[1,0]
	v_pk_fma_f32 v[18:19], v[6:7], v[20:21], v[4:5] op_sel:[0,0,1] op_sel_hi:[1,1,0] neg_lo:[0,0,1] neg_hi:[0,0,1]
	v_pk_fma_f32 v[4:5], v[6:7], v[20:21], v[4:5] op_sel:[0,0,1] op_sel_hi:[1,0,0]
	s_waitcnt vmcnt(6)
	v_mov_b32_e32 v4, v23
	v_mov_b32_e32 v19, v5
	s_waitcnt lgkmcnt(1)
	v_pk_mul_f32 v[4:5], v[8:9], v[4:5] op_sel_hi:[1,0]
	v_mov_b32_e32 v31, v3
	v_pk_fma_f32 v[6:7], v[8:9], v[22:23], v[4:5] op_sel:[0,0,1] op_sel_hi:[1,1,0] neg_lo:[0,0,1] neg_hi:[0,0,1]
	v_pk_fma_f32 v[4:5], v[8:9], v[22:23], v[4:5] op_sel:[0,0,1] op_sel_hi:[1,0,0]
	v_pk_add_f32 v[2:3], v[30:31], 0 op_sel_hi:[1,0]
	s_waitcnt vmcnt(4)
	v_mov_b32_e32 v4, v25
	v_pk_add_f32 v[2:3], v[2:3], v[18:19]
	v_mov_b32_e32 v7, v5
	v_pk_mul_f32 v[4:5], v[10:11], v[4:5] op_sel_hi:[1,0]
	v_pk_add_f32 v[2:3], v[2:3], v[6:7]
	v_pk_fma_f32 v[6:7], v[10:11], v[24:25], v[4:5] op_sel:[0,0,1] op_sel_hi:[1,1,0] neg_lo:[0,0,1] neg_hi:[0,0,1]
	v_pk_fma_f32 v[4:5], v[10:11], v[24:25], v[4:5] op_sel:[0,0,1] op_sel_hi:[1,0,0]
	s_waitcnt vmcnt(2)
	v_mov_b32_e32 v4, v27
	v_mov_b32_e32 v7, v5
	s_waitcnt lgkmcnt(0)
	v_pk_mul_f32 v[4:5], v[12:13], v[4:5] op_sel_hi:[1,0]
	v_pk_add_f32 v[2:3], v[2:3], v[6:7]
	v_pk_fma_f32 v[6:7], v[12:13], v[26:27], v[4:5] op_sel:[0,0,1] op_sel_hi:[1,1,0] neg_lo:[0,0,1] neg_hi:[0,0,1]
	v_pk_fma_f32 v[4:5], v[12:13], v[26:27], v[4:5] op_sel:[0,0,1] op_sel_hi:[1,0,0]
	s_waitcnt vmcnt(0)
	v_mov_b32_e32 v4, v29
	v_mov_b32_e32 v7, v5
	v_pk_mul_f32 v[4:5], v[14:15], v[4:5] op_sel_hi:[1,0]
	v_pk_add_f32 v[2:3], v[2:3], v[6:7]
	v_pk_fma_f32 v[6:7], v[14:15], v[28:29], v[4:5] op_sel:[0,0,1] op_sel_hi:[1,1,0] neg_lo:[0,0,1] neg_hi:[0,0,1]
	v_pk_fma_f32 v[4:5], v[14:15], v[28:29], v[4:5] op_sel:[0,0,1] op_sel_hi:[1,0,0]
	v_mov_b32_e32 v7, v5
	v_pk_add_f32 v[2:3], v[2:3], v[6:7]
	v_pk_add_f32 v[2:3], v[16:17], v[2:3] neg_lo:[0,1] neg_hi:[0,1]
	buffer_store_dword v2, off, s[0:3], 0 offset:328
	buffer_store_dword v3, off, s[0:3], 0 offset:332
	s_and_saveexec_b64 s[4:5], vcc
	s_cbranch_execz .LBB47_221
; %bb.220:
	buffer_load_dword v2, off, s[0:3], 0 offset:320
	buffer_load_dword v3, off, s[0:3], 0 offset:324
	v_mov_b32_e32 v4, 0
	v_accvgpr_read_b32 v1, a20
	buffer_store_dword v4, off, s[0:3], 0 offset:320
	buffer_store_dword v4, off, s[0:3], 0 offset:324
	s_waitcnt vmcnt(2)
	ds_write_b64 v1, v[2:3]
.LBB47_221:
	s_or_b64 exec, exec, s[4:5]
	s_waitcnt lgkmcnt(0)
	; wave barrier
	s_waitcnt lgkmcnt(0)
	buffer_load_dword v17, off, s[0:3], 0 offset:332
	buffer_load_dword v19, off, s[0:3], 0 offset:340
	;; [unrolled: 1-line block ×16, first 2 shown]
	v_mov_b32_e32 v2, 0
	ds_read2_b64 v[4:7], v2 offset0:89 offset1:90
	ds_read2_b64 v[8:11], v2 offset0:91 offset1:92
	;; [unrolled: 1-line block ×3, first 2 shown]
	ds_read_b64 v[32:33], v2 offset:760
	v_cmp_lt_u32_e32 vcc, 39, v0
	s_waitcnt vmcnt(15)
	v_mov_b32_e32 v34, v17
	s_waitcnt vmcnt(14)
	v_mov_b32_e32 v36, v19
	s_waitcnt lgkmcnt(3)
	v_pk_mul_f32 v[34:35], v[4:5], v[34:35] op_sel_hi:[1,0]
	s_waitcnt vmcnt(13)
	v_mov_b32_e32 v38, v21
	v_pk_mul_f32 v[36:37], v[6:7], v[36:37] op_sel_hi:[1,0]
	s_waitcnt vmcnt(12)
	v_mov_b32_e32 v40, v23
	s_waitcnt lgkmcnt(2)
	v_pk_mul_f32 v[38:39], v[8:9], v[38:39] op_sel_hi:[1,0]
	s_waitcnt vmcnt(8)
	v_pk_fma_f32 v[48:49], v[4:5], v[16:17], v[34:35] op_sel:[0,0,1] op_sel_hi:[1,1,0] neg_lo:[0,0,1] neg_hi:[0,0,1]
	v_pk_fma_f32 v[4:5], v[4:5], v[16:17], v[34:35] op_sel:[0,0,1] op_sel_hi:[1,0,0]
	s_waitcnt vmcnt(7)
	v_pk_fma_f32 v[16:17], v[6:7], v[18:19], v[36:37] op_sel:[0,0,1] op_sel_hi:[1,1,0] neg_lo:[0,0,1] neg_hi:[0,0,1]
	v_pk_fma_f32 v[6:7], v[6:7], v[18:19], v[36:37] op_sel:[0,0,1] op_sel_hi:[1,0,0]
	v_mov_b32_e32 v49, v5
	v_mov_b32_e32 v42, v25
	v_pk_mul_f32 v[40:41], v[10:11], v[40:41] op_sel_hi:[1,0]
	s_waitcnt vmcnt(6)
	v_pk_fma_f32 v[18:19], v[8:9], v[20:21], v[38:39] op_sel:[0,0,1] op_sel_hi:[1,1,0] neg_lo:[0,0,1] neg_hi:[0,0,1]
	v_pk_fma_f32 v[8:9], v[8:9], v[20:21], v[38:39] op_sel:[0,0,1] op_sel_hi:[1,0,0]
	v_mov_b32_e32 v17, v7
	v_pk_add_f32 v[4:5], v[48:49], 0 op_sel_hi:[1,0]
	v_mov_b32_e32 v44, v27
	s_waitcnt lgkmcnt(1)
	v_pk_mul_f32 v[42:43], v[12:13], v[42:43] op_sel_hi:[1,0]
	s_waitcnt vmcnt(5)
	v_pk_fma_f32 v[20:21], v[10:11], v[22:23], v[40:41] op_sel:[0,0,1] op_sel_hi:[1,1,0] neg_lo:[0,0,1] neg_hi:[0,0,1]
	v_pk_fma_f32 v[10:11], v[10:11], v[22:23], v[40:41] op_sel:[0,0,1] op_sel_hi:[1,0,0]
	v_mov_b32_e32 v19, v9
	v_pk_add_f32 v[4:5], v[4:5], v[16:17]
	v_mov_b32_e32 v46, v29
	v_pk_mul_f32 v[44:45], v[14:15], v[44:45] op_sel_hi:[1,0]
	s_waitcnt vmcnt(4)
	v_pk_fma_f32 v[22:23], v[12:13], v[24:25], v[42:43] op_sel:[0,0,1] op_sel_hi:[1,1,0] neg_lo:[0,0,1] neg_hi:[0,0,1]
	v_pk_fma_f32 v[12:13], v[12:13], v[24:25], v[42:43] op_sel:[0,0,1] op_sel_hi:[1,0,0]
	v_mov_b32_e32 v21, v11
	v_pk_add_f32 v[4:5], v[4:5], v[18:19]
	s_waitcnt lgkmcnt(0)
	v_pk_mul_f32 v[46:47], v[32:33], v[46:47] op_sel_hi:[1,0]
	s_waitcnt vmcnt(3)
	v_pk_fma_f32 v[24:25], v[14:15], v[26:27], v[44:45] op_sel:[0,0,1] op_sel_hi:[1,1,0] neg_lo:[0,0,1] neg_hi:[0,0,1]
	v_pk_fma_f32 v[14:15], v[14:15], v[26:27], v[44:45] op_sel:[0,0,1] op_sel_hi:[1,0,0]
	v_mov_b32_e32 v23, v13
	v_pk_add_f32 v[4:5], v[4:5], v[20:21]
	s_waitcnt vmcnt(2)
	v_pk_fma_f32 v[26:27], v[32:33], v[28:29], v[46:47] op_sel:[0,0,1] op_sel_hi:[1,1,0] neg_lo:[0,0,1] neg_hi:[0,0,1]
	v_pk_fma_f32 v[28:29], v[32:33], v[28:29], v[46:47] op_sel:[0,0,1] op_sel_hi:[1,0,0]
	v_mov_b32_e32 v25, v15
	v_pk_add_f32 v[4:5], v[4:5], v[22:23]
	v_mov_b32_e32 v27, v29
	v_pk_add_f32 v[4:5], v[4:5], v[24:25]
	v_pk_add_f32 v[4:5], v[4:5], v[26:27]
	s_waitcnt vmcnt(0)
	v_pk_add_f32 v[4:5], v[30:31], v[4:5] neg_lo:[0,1] neg_hi:[0,1]
	buffer_store_dword v4, off, s[0:3], 0 offset:320
	buffer_store_dword v5, off, s[0:3], 0 offset:324
	s_and_saveexec_b64 s[4:5], vcc
	s_cbranch_execz .LBB47_223
; %bb.222:
	buffer_load_dword v4, off, s[0:3], 0 offset:312
	buffer_load_dword v5, off, s[0:3], 0 offset:316
	v_accvgpr_read_b32 v1, a20
	buffer_store_dword v2, off, s[0:3], 0 offset:312
	buffer_store_dword v2, off, s[0:3], 0 offset:316
	s_waitcnt vmcnt(2)
	ds_write_b64 v1, v[4:5]
.LBB47_223:
	s_or_b64 exec, exec, s[4:5]
	s_waitcnt lgkmcnt(0)
	; wave barrier
	s_waitcnt lgkmcnt(0)
	buffer_load_dword v21, off, s[0:3], 0 offset:324
	buffer_load_dword v23, off, s[0:3], 0 offset:332
	;; [unrolled: 1-line block ×18, first 2 shown]
	ds_read_b128 v[4:7], v2 offset:704
	ds_read_b128 v[8:11], v2 offset:720
	;; [unrolled: 1-line block ×4, first 2 shown]
	v_cmp_lt_u32_e32 vcc, 38, v0
	s_waitcnt vmcnt(17)
	v_mov_b32_e32 v2, v21
	s_waitcnt vmcnt(16)
	v_mov_b32_e32 v38, v23
	s_waitcnt lgkmcnt(3)
	v_pk_mul_f32 v[2:3], v[4:5], v[2:3] op_sel_hi:[1,0]
	s_waitcnt vmcnt(15)
	v_mov_b32_e32 v40, v25
	v_pk_mul_f32 v[38:39], v[6:7], v[38:39] op_sel_hi:[1,0]
	s_waitcnt vmcnt(14)
	v_mov_b32_e32 v42, v27
	s_waitcnt lgkmcnt(2)
	v_pk_mul_f32 v[40:41], v[8:9], v[40:41] op_sel_hi:[1,0]
	s_waitcnt vmcnt(13)
	v_mov_b32_e32 v44, v29
	s_waitcnt vmcnt(9)
	v_pk_fma_f32 v[52:53], v[4:5], v[20:21], v[2:3] op_sel:[0,0,1] op_sel_hi:[1,1,0] neg_lo:[0,0,1] neg_hi:[0,0,1]
	v_pk_fma_f32 v[2:3], v[4:5], v[20:21], v[2:3] op_sel:[0,0,1] op_sel_hi:[1,0,0]
	s_waitcnt vmcnt(8)
	v_pk_fma_f32 v[4:5], v[6:7], v[22:23], v[38:39] op_sel:[0,0,1] op_sel_hi:[1,1,0] neg_lo:[0,0,1] neg_hi:[0,0,1]
	v_pk_fma_f32 v[6:7], v[6:7], v[22:23], v[38:39] op_sel:[0,0,1] op_sel_hi:[1,0,0]
	v_mov_b32_e32 v53, v3
	v_pk_mul_f32 v[42:43], v[10:11], v[42:43] op_sel_hi:[1,0]
	s_waitcnt vmcnt(7)
	v_pk_fma_f32 v[20:21], v[8:9], v[24:25], v[40:41] op_sel:[0,0,1] op_sel_hi:[1,1,0] neg_lo:[0,0,1] neg_hi:[0,0,1]
	v_pk_fma_f32 v[8:9], v[8:9], v[24:25], v[40:41] op_sel:[0,0,1] op_sel_hi:[1,0,0]
	v_mov_b32_e32 v5, v7
	v_pk_add_f32 v[2:3], v[52:53], 0 op_sel_hi:[1,0]
	v_mov_b32_e32 v46, v31
	s_waitcnt lgkmcnt(1)
	v_pk_mul_f32 v[44:45], v[12:13], v[44:45] op_sel_hi:[1,0]
	s_waitcnt vmcnt(6)
	v_pk_fma_f32 v[22:23], v[10:11], v[26:27], v[42:43] op_sel:[0,0,1] op_sel_hi:[1,1,0] neg_lo:[0,0,1] neg_hi:[0,0,1]
	v_pk_fma_f32 v[10:11], v[10:11], v[26:27], v[42:43] op_sel:[0,0,1] op_sel_hi:[1,0,0]
	v_mov_b32_e32 v21, v9
	v_pk_add_f32 v[2:3], v[2:3], v[4:5]
	v_mov_b32_e32 v48, v33
	v_pk_mul_f32 v[46:47], v[14:15], v[46:47] op_sel_hi:[1,0]
	s_waitcnt vmcnt(5)
	v_pk_fma_f32 v[24:25], v[12:13], v[28:29], v[44:45] op_sel:[0,0,1] op_sel_hi:[1,1,0] neg_lo:[0,0,1] neg_hi:[0,0,1]
	v_pk_fma_f32 v[12:13], v[12:13], v[28:29], v[44:45] op_sel:[0,0,1] op_sel_hi:[1,0,0]
	v_mov_b32_e32 v23, v11
	v_pk_add_f32 v[2:3], v[2:3], v[20:21]
	v_mov_b32_e32 v50, v35
	s_waitcnt lgkmcnt(0)
	v_pk_mul_f32 v[48:49], v[16:17], v[48:49] op_sel_hi:[1,0]
	s_waitcnt vmcnt(4)
	v_pk_fma_f32 v[26:27], v[14:15], v[30:31], v[46:47] op_sel:[0,0,1] op_sel_hi:[1,1,0] neg_lo:[0,0,1] neg_hi:[0,0,1]
	v_pk_fma_f32 v[14:15], v[14:15], v[30:31], v[46:47] op_sel:[0,0,1] op_sel_hi:[1,0,0]
	v_mov_b32_e32 v25, v13
	v_pk_add_f32 v[2:3], v[2:3], v[22:23]
	v_pk_mul_f32 v[50:51], v[18:19], v[50:51] op_sel_hi:[1,0]
	s_waitcnt vmcnt(3)
	v_pk_fma_f32 v[28:29], v[16:17], v[32:33], v[48:49] op_sel:[0,0,1] op_sel_hi:[1,1,0] neg_lo:[0,0,1] neg_hi:[0,0,1]
	v_pk_fma_f32 v[16:17], v[16:17], v[32:33], v[48:49] op_sel:[0,0,1] op_sel_hi:[1,0,0]
	v_mov_b32_e32 v27, v15
	v_pk_add_f32 v[2:3], v[2:3], v[24:25]
	s_waitcnt vmcnt(2)
	v_pk_fma_f32 v[30:31], v[18:19], v[34:35], v[50:51] op_sel:[0,0,1] op_sel_hi:[1,1,0] neg_lo:[0,0,1] neg_hi:[0,0,1]
	v_pk_fma_f32 v[18:19], v[18:19], v[34:35], v[50:51] op_sel:[0,0,1] op_sel_hi:[1,0,0]
	v_mov_b32_e32 v29, v17
	v_pk_add_f32 v[2:3], v[2:3], v[26:27]
	v_mov_b32_e32 v31, v19
	v_pk_add_f32 v[2:3], v[2:3], v[28:29]
	v_pk_add_f32 v[2:3], v[2:3], v[30:31]
	s_waitcnt vmcnt(0)
	v_pk_add_f32 v[2:3], v[36:37], v[2:3] neg_lo:[0,1] neg_hi:[0,1]
	buffer_store_dword v2, off, s[0:3], 0 offset:312
	buffer_store_dword v3, off, s[0:3], 0 offset:316
	s_and_saveexec_b64 s[4:5], vcc
	s_cbranch_execz .LBB47_225
; %bb.224:
	buffer_load_dword v2, off, s[0:3], 0 offset:304
	buffer_load_dword v3, off, s[0:3], 0 offset:308
	v_mov_b32_e32 v4, 0
	v_accvgpr_read_b32 v1, a20
	buffer_store_dword v4, off, s[0:3], 0 offset:304
	buffer_store_dword v4, off, s[0:3], 0 offset:308
	s_waitcnt vmcnt(2)
	ds_write_b64 v1, v[2:3]
.LBB47_225:
	s_or_b64 exec, exec, s[4:5]
	s_waitcnt lgkmcnt(0)
	; wave barrier
	s_waitcnt lgkmcnt(0)
	buffer_load_dword v3, off, s[0:3], 0 offset:316
	buffer_load_dword v21, off, s[0:3], 0 offset:324
	;; [unrolled: 1-line block ×20, first 2 shown]
	v_mov_b32_e32 v2, 0
	ds_read2_b64 v[4:7], v2 offset0:87 offset1:88
	ds_read2_b64 v[8:11], v2 offset0:89 offset1:90
	;; [unrolled: 1-line block ×4, first 2 shown]
	ds_read_b64 v[38:39], v2 offset:760
	v_cmp_lt_u32_e32 vcc, 37, v0
	s_waitcnt vmcnt(19) lgkmcnt(4)
	v_mul_f32_e32 v41, v4, v3
	v_mul_f32_e32 v3, v5, v3
	s_waitcnt vmcnt(18)
	v_mov_b32_e32 v42, v21
	s_waitcnt vmcnt(17)
	v_mov_b32_e32 v44, v23
	;; [unrolled: 2-line block ×8, first 2 shown]
	s_waitcnt vmcnt(10)
	v_fmac_f32_e32 v41, v5, v40
	v_fma_f32 v40, v4, v40, -v3
	v_pk_mul_f32 v[4:5], v[6:7], v[42:43] op_sel_hi:[1,0]
	s_waitcnt lgkmcnt(3)
	v_pk_mul_f32 v[42:43], v[8:9], v[44:45] op_sel_hi:[1,0]
	v_pk_mul_f32 v[44:45], v[10:11], v[46:47] op_sel_hi:[1,0]
	s_waitcnt lgkmcnt(2)
	v_pk_mul_f32 v[46:47], v[12:13], v[48:49] op_sel_hi:[1,0]
	;; [unrolled: 3-line block ×4, first 2 shown]
	s_waitcnt vmcnt(9)
	v_pk_fma_f32 v[56:57], v[6:7], v[20:21], v[4:5] op_sel:[0,0,1] op_sel_hi:[1,1,0] neg_lo:[0,0,1] neg_hi:[0,0,1]
	v_pk_fma_f32 v[4:5], v[6:7], v[20:21], v[4:5] op_sel:[0,0,1] op_sel_hi:[1,0,0]
	v_pk_add_f32 v[40:41], v[40:41], 0 op_sel_hi:[1,0]
	s_waitcnt vmcnt(8)
	v_pk_fma_f32 v[6:7], v[8:9], v[22:23], v[42:43] op_sel:[0,0,1] op_sel_hi:[1,1,0] neg_lo:[0,0,1] neg_hi:[0,0,1]
	v_pk_fma_f32 v[8:9], v[8:9], v[22:23], v[42:43] op_sel:[0,0,1] op_sel_hi:[1,0,0]
	v_mov_b32_e32 v57, v5
	s_waitcnt vmcnt(7)
	v_pk_fma_f32 v[20:21], v[10:11], v[24:25], v[44:45] op_sel:[0,0,1] op_sel_hi:[1,1,0] neg_lo:[0,0,1] neg_hi:[0,0,1]
	v_pk_fma_f32 v[10:11], v[10:11], v[24:25], v[44:45] op_sel:[0,0,1] op_sel_hi:[1,0,0]
	v_mov_b32_e32 v7, v9
	v_pk_add_f32 v[4:5], v[40:41], v[56:57]
	s_waitcnt vmcnt(6)
	v_pk_fma_f32 v[22:23], v[12:13], v[26:27], v[46:47] op_sel:[0,0,1] op_sel_hi:[1,1,0] neg_lo:[0,0,1] neg_hi:[0,0,1]
	v_pk_fma_f32 v[12:13], v[12:13], v[26:27], v[46:47] op_sel:[0,0,1] op_sel_hi:[1,0,0]
	v_mov_b32_e32 v21, v11
	v_pk_add_f32 v[4:5], v[4:5], v[6:7]
	;; [unrolled: 5-line block ×5, first 2 shown]
	v_pk_fma_f32 v[30:31], v[38:39], v[34:35], v[54:55] op_sel:[0,0,1] op_sel_hi:[1,1,0] neg_lo:[0,0,1] neg_hi:[0,0,1]
	v_pk_fma_f32 v[32:33], v[38:39], v[34:35], v[54:55] op_sel:[0,0,1] op_sel_hi:[1,0,0]
	v_mov_b32_e32 v29, v19
	v_pk_add_f32 v[4:5], v[4:5], v[26:27]
	v_mov_b32_e32 v31, v33
	v_pk_add_f32 v[4:5], v[4:5], v[28:29]
	v_pk_add_f32 v[4:5], v[4:5], v[30:31]
	s_waitcnt vmcnt(0)
	v_pk_add_f32 v[4:5], v[36:37], v[4:5] neg_lo:[0,1] neg_hi:[0,1]
	buffer_store_dword v4, off, s[0:3], 0 offset:304
	buffer_store_dword v5, off, s[0:3], 0 offset:308
	s_and_saveexec_b64 s[4:5], vcc
	s_cbranch_execz .LBB47_227
; %bb.226:
	buffer_load_dword v4, off, s[0:3], 0 offset:296
	buffer_load_dword v5, off, s[0:3], 0 offset:300
	v_accvgpr_read_b32 v1, a20
	buffer_store_dword v2, off, s[0:3], 0 offset:296
	buffer_store_dword v2, off, s[0:3], 0 offset:300
	s_waitcnt vmcnt(2)
	ds_write_b64 v1, v[4:5]
.LBB47_227:
	s_or_b64 exec, exec, s[4:5]
	s_waitcnt lgkmcnt(0)
	; wave barrier
	s_waitcnt lgkmcnt(0)
	buffer_load_dword v42, off, s[0:3], 0 offset:308
	buffer_load_dword v44, off, s[0:3], 0 offset:316
	;; [unrolled: 1-line block ×22, first 2 shown]
	ds_read_b128 v[4:7], v2 offset:688
	ds_read_b128 v[8:11], v2 offset:704
	;; [unrolled: 1-line block ×5, first 2 shown]
	v_cmp_lt_u32_e32 vcc, 36, v0
	s_waitcnt vmcnt(21) lgkmcnt(4)
	v_mul_f32_e32 v3, v4, v42
	s_waitcnt vmcnt(20)
	v_mul_f32_e32 v43, v6, v44
	v_mul_f32_e32 v2, v5, v42
	;; [unrolled: 1-line block ×3, first 2 shown]
	s_waitcnt vmcnt(19)
	v_mov_b32_e32 v44, v25
	s_waitcnt vmcnt(18)
	v_mov_b32_e32 v46, v27
	;; [unrolled: 2-line block ×5, first 2 shown]
	v_mov_b32_e32 v50, v31
	s_waitcnt vmcnt(11)
	v_fmac_f32_e32 v3, v5, v45
	v_fma_f32 v2, v4, v45, -v2
	s_waitcnt lgkmcnt(3)
	v_pk_mul_f32 v[4:5], v[8:9], v[44:45] op_sel_hi:[1,0]
	s_waitcnt vmcnt(10)
	v_fmac_f32_e32 v43, v7, v47
	v_fma_f32 v42, v6, v47, -v42
	v_pk_mul_f32 v[6:7], v[10:11], v[46:47] op_sel_hi:[1,0]
	s_waitcnt lgkmcnt(2)
	v_pk_mul_f32 v[44:45], v[12:13], v[48:49] op_sel_hi:[1,0]
	s_waitcnt lgkmcnt(1)
	;; [unrolled: 2-line block ×3, first 2 shown]
	v_pk_mul_f32 v[52:53], v[20:21], v[56:57] op_sel_hi:[1,0]
	v_pk_add_f32 v[2:3], v[2:3], 0 op_sel_hi:[1,0]
	s_waitcnt vmcnt(9)
	v_pk_fma_f32 v[56:57], v[8:9], v[24:25], v[4:5] op_sel:[0,0,1] op_sel_hi:[1,1,0] neg_lo:[0,0,1] neg_hi:[0,0,1]
	v_pk_fma_f32 v[4:5], v[8:9], v[24:25], v[4:5] op_sel:[0,0,1] op_sel_hi:[1,0,0]
	s_waitcnt vmcnt(8)
	v_pk_fma_f32 v[8:9], v[10:11], v[26:27], v[6:7] op_sel:[0,0,1] op_sel_hi:[1,1,0] neg_lo:[0,0,1] neg_hi:[0,0,1]
	v_pk_fma_f32 v[6:7], v[10:11], v[26:27], v[6:7] op_sel:[0,0,1] op_sel_hi:[1,0,0]
	v_pk_add_f32 v[2:3], v[2:3], v[42:43]
	v_mov_b32_e32 v57, v5
	v_pk_mul_f32 v[46:47], v[14:15], v[50:51] op_sel_hi:[1,0]
	s_waitcnt vmcnt(7)
	v_pk_fma_f32 v[10:11], v[12:13], v[28:29], v[44:45] op_sel:[0,0,1] op_sel_hi:[1,1,0] neg_lo:[0,0,1] neg_hi:[0,0,1]
	v_pk_fma_f32 v[12:13], v[12:13], v[28:29], v[44:45] op_sel:[0,0,1] op_sel_hi:[1,0,0]
	v_mov_b32_e32 v9, v7
	v_pk_add_f32 v[2:3], v[2:3], v[56:57]
	v_mov_b32_e32 v54, v35
	s_waitcnt vmcnt(6)
	v_pk_fma_f32 v[24:25], v[14:15], v[30:31], v[46:47] op_sel:[0,0,1] op_sel_hi:[1,1,0] neg_lo:[0,0,1] neg_hi:[0,0,1]
	v_pk_fma_f32 v[14:15], v[14:15], v[30:31], v[46:47] op_sel:[0,0,1] op_sel_hi:[1,0,0]
	v_mov_b32_e32 v11, v13
	v_pk_add_f32 v[2:3], v[2:3], v[8:9]
	v_pk_mul_f32 v[50:51], v[18:19], v[54:55] op_sel_hi:[1,0]
	s_waitcnt vmcnt(5)
	v_pk_fma_f32 v[26:27], v[16:17], v[32:33], v[48:49] op_sel:[0,0,1] op_sel_hi:[1,1,0] neg_lo:[0,0,1] neg_hi:[0,0,1]
	v_pk_fma_f32 v[16:17], v[16:17], v[32:33], v[48:49] op_sel:[0,0,1] op_sel_hi:[1,0,0]
	v_mov_b32_e32 v25, v15
	v_pk_add_f32 v[2:3], v[2:3], v[10:11]
	v_mov_b32_e32 v58, v39
	s_waitcnt vmcnt(2)
	v_pk_fma_f32 v[28:29], v[18:19], v[34:35], v[50:51] op_sel:[0,0,1] op_sel_hi:[1,1,0] neg_lo:[0,0,1] neg_hi:[0,0,1]
	v_pk_fma_f32 v[18:19], v[18:19], v[34:35], v[50:51] op_sel:[0,0,1] op_sel_hi:[1,0,0]
	v_mov_b32_e32 v27, v17
	v_pk_add_f32 v[2:3], v[2:3], v[24:25]
	v_pk_mul_f32 v[54:55], v[22:23], v[58:59] op_sel_hi:[1,0]
	v_pk_fma_f32 v[30:31], v[20:21], v[36:37], v[52:53] op_sel:[0,0,1] op_sel_hi:[1,1,0] neg_lo:[0,0,1] neg_hi:[0,0,1]
	v_pk_fma_f32 v[20:21], v[20:21], v[36:37], v[52:53] op_sel:[0,0,1] op_sel_hi:[1,0,0]
	v_mov_b32_e32 v29, v19
	v_pk_add_f32 v[2:3], v[2:3], v[26:27]
	v_pk_fma_f32 v[32:33], v[22:23], v[38:39], v[54:55] op_sel:[0,0,1] op_sel_hi:[1,1,0] neg_lo:[0,0,1] neg_hi:[0,0,1]
	v_pk_fma_f32 v[22:23], v[22:23], v[38:39], v[54:55] op_sel:[0,0,1] op_sel_hi:[1,0,0]
	v_mov_b32_e32 v31, v21
	v_pk_add_f32 v[2:3], v[2:3], v[28:29]
	v_mov_b32_e32 v33, v23
	v_pk_add_f32 v[2:3], v[2:3], v[30:31]
	v_pk_add_f32 v[2:3], v[2:3], v[32:33]
	s_waitcnt vmcnt(0)
	v_pk_add_f32 v[2:3], v[40:41], v[2:3] neg_lo:[0,1] neg_hi:[0,1]
	buffer_store_dword v2, off, s[0:3], 0 offset:296
	buffer_store_dword v3, off, s[0:3], 0 offset:300
	s_and_saveexec_b64 s[4:5], vcc
	s_cbranch_execz .LBB47_229
; %bb.228:
	buffer_load_dword v2, off, s[0:3], 0 offset:288
	buffer_load_dword v3, off, s[0:3], 0 offset:292
	v_mov_b32_e32 v4, 0
	v_accvgpr_read_b32 v1, a20
	buffer_store_dword v4, off, s[0:3], 0 offset:288
	buffer_store_dword v4, off, s[0:3], 0 offset:292
	s_waitcnt vmcnt(2)
	ds_write_b64 v1, v[2:3]
.LBB47_229:
	s_or_b64 exec, exec, s[4:5]
	s_waitcnt lgkmcnt(0)
	; wave barrier
	s_waitcnt lgkmcnt(0)
	buffer_load_dword v3, off, s[0:3], 0 offset:300
	buffer_load_dword v44, off, s[0:3], 0 offset:308
	;; [unrolled: 1-line block ×24, first 2 shown]
	v_mov_b32_e32 v2, 0
	ds_read2_b64 v[4:7], v2 offset0:85 offset1:86
	ds_read2_b64 v[8:11], v2 offset0:87 offset1:88
	;; [unrolled: 1-line block ×5, first 2 shown]
	ds_read_b64 v[42:43], v2 offset:760
	v_cmp_lt_u32_e32 vcc, 35, v0
	s_waitcnt vmcnt(23) lgkmcnt(5)
	v_mul_f32_e32 v57, v4, v3
	v_mul_f32_e32 v3, v5, v3
	s_waitcnt vmcnt(22)
	v_mul_f32_e32 v45, v6, v44
	s_waitcnt vmcnt(21) lgkmcnt(4)
	v_mul_f32_e32 v47, v8, v46
	v_mul_f32_e32 v44, v7, v44
	;; [unrolled: 1-line block ×3, first 2 shown]
	s_waitcnt vmcnt(20)
	v_mov_b32_e32 v48, v25
	s_waitcnt vmcnt(19)
	v_mov_b32_e32 v50, v27
	;; [unrolled: 2-line block ×5, first 2 shown]
	s_waitcnt vmcnt(12)
	v_fmac_f32_e32 v57, v5, v49
	v_fma_f32 v3, v4, v49, -v3
	v_mov_b32_e32 v58, v35
	s_waitcnt vmcnt(11)
	v_fmac_f32_e32 v45, v7, v51
	s_waitcnt vmcnt(10)
	v_fmac_f32_e32 v47, v9, v53
	v_fma_f32 v44, v6, v51, -v44
	v_fma_f32 v46, v8, v53, -v46
	v_pk_mul_f32 v[4:5], v[10:11], v[48:49] op_sel_hi:[1,0]
	s_waitcnt lgkmcnt(3)
	v_pk_mul_f32 v[6:7], v[12:13], v[50:51] op_sel_hi:[1,0]
	v_pk_mul_f32 v[8:9], v[14:15], v[52:53] op_sel_hi:[1,0]
	s_waitcnt lgkmcnt(2)
	v_pk_mul_f32 v[48:49], v[16:17], v[54:55] op_sel_hi:[1,0]
	v_pk_mul_f32 v[50:51], v[18:19], v[56:57] op_sel_hi:[1,0]
	v_add_f32_e32 v57, 0, v57
	v_add_f32_e32 v56, 0, v3
	s_waitcnt lgkmcnt(1)
	v_pk_mul_f32 v[52:53], v[20:21], v[58:59] op_sel_hi:[1,0]
	s_waitcnt vmcnt(9)
	v_pk_fma_f32 v[58:59], v[10:11], v[24:25], v[4:5] op_sel:[0,0,1] op_sel_hi:[1,1,0] neg_lo:[0,0,1] neg_hi:[0,0,1]
	v_pk_fma_f32 v[4:5], v[10:11], v[24:25], v[4:5] op_sel:[0,0,1] op_sel_hi:[1,0,0]
	s_waitcnt vmcnt(8)
	v_pk_fma_f32 v[10:11], v[12:13], v[26:27], v[6:7] op_sel:[0,0,1] op_sel_hi:[1,1,0] neg_lo:[0,0,1] neg_hi:[0,0,1]
	v_pk_fma_f32 v[6:7], v[12:13], v[26:27], v[6:7] op_sel:[0,0,1] op_sel_hi:[1,0,0]
	;; [unrolled: 3-line block ×4, first 2 shown]
	v_pk_add_f32 v[30:31], v[56:57], v[44:45]
	v_mov_b32_e32 v59, v5
	v_pk_add_f32 v[4:5], v[30:31], v[46:47]
	v_mov_b32_e32 v11, v7
	v_pk_add_f32 v[4:5], v[4:5], v[58:59]
	v_mov_b32_e32 v13, v9
	v_pk_add_f32 v[4:5], v[4:5], v[10:11]
	v_mov_b32_e32 v60, v37
	s_waitcnt vmcnt(2)
	v_pk_fma_f32 v[24:25], v[18:19], v[32:33], v[50:51] op_sel:[0,0,1] op_sel_hi:[1,1,0] neg_lo:[0,0,1] neg_hi:[0,0,1]
	v_pk_fma_f32 v[18:19], v[18:19], v[32:33], v[50:51] op_sel:[0,0,1] op_sel_hi:[1,0,0]
	v_mov_b32_e32 v15, v17
	v_pk_add_f32 v[4:5], v[4:5], v[12:13]
	v_mov_b32_e32 v62, v39
	v_pk_mul_f32 v[54:55], v[22:23], v[60:61] op_sel_hi:[1,0]
	v_pk_fma_f32 v[26:27], v[20:21], v[34:35], v[52:53] op_sel:[0,0,1] op_sel_hi:[1,1,0] neg_lo:[0,0,1] neg_hi:[0,0,1]
	v_pk_fma_f32 v[20:21], v[20:21], v[34:35], v[52:53] op_sel:[0,0,1] op_sel_hi:[1,0,0]
	v_mov_b32_e32 v25, v19
	v_pk_add_f32 v[4:5], v[4:5], v[14:15]
	v_pk_fma_f32 v[28:29], v[22:23], v[36:37], v[54:55] op_sel:[0,0,1] op_sel_hi:[1,1,0] neg_lo:[0,0,1] neg_hi:[0,0,1]
	v_pk_fma_f32 v[22:23], v[22:23], v[36:37], v[54:55] op_sel:[0,0,1] op_sel_hi:[1,0,0]
	v_mov_b32_e32 v27, v21
	v_pk_add_f32 v[4:5], v[4:5], v[24:25]
	s_waitcnt lgkmcnt(0)
	v_pk_mul_f32 v[6:7], v[42:43], v[62:63] op_sel_hi:[1,0]
	v_mov_b32_e32 v29, v23
	v_pk_add_f32 v[4:5], v[4:5], v[26:27]
	v_pk_fma_f32 v[8:9], v[42:43], v[38:39], v[6:7] op_sel:[0,0,1] op_sel_hi:[1,1,0] neg_lo:[0,0,1] neg_hi:[0,0,1]
	v_pk_fma_f32 v[6:7], v[42:43], v[38:39], v[6:7] op_sel:[0,0,1] op_sel_hi:[1,0,0]
	v_pk_add_f32 v[4:5], v[4:5], v[28:29]
	v_mov_b32_e32 v9, v7
	v_pk_add_f32 v[4:5], v[4:5], v[8:9]
	s_waitcnt vmcnt(0)
	v_pk_add_f32 v[4:5], v[40:41], v[4:5] neg_lo:[0,1] neg_hi:[0,1]
	buffer_store_dword v5, off, s[0:3], 0 offset:292
	buffer_store_dword v4, off, s[0:3], 0 offset:288
	s_and_saveexec_b64 s[4:5], vcc
	s_cbranch_execz .LBB47_231
; %bb.230:
	buffer_load_dword v4, off, s[0:3], 0 offset:280
	buffer_load_dword v5, off, s[0:3], 0 offset:284
	v_accvgpr_read_b32 v1, a20
	buffer_store_dword v2, off, s[0:3], 0 offset:280
	buffer_store_dword v2, off, s[0:3], 0 offset:284
	s_waitcnt vmcnt(2)
	ds_write_b64 v1, v[4:5]
.LBB47_231:
	s_or_b64 exec, exec, s[4:5]
	s_waitcnt lgkmcnt(0)
	; wave barrier
	s_waitcnt lgkmcnt(0)
	buffer_load_dword v46, off, s[0:3], 0 offset:292
	buffer_load_dword v48, off, s[0:3], 0 offset:300
	;; [unrolled: 1-line block ×26, first 2 shown]
	ds_read_b128 v[4:7], v2 offset:672
	ds_read_b128 v[8:11], v2 offset:688
	;; [unrolled: 1-line block ×6, first 2 shown]
	v_cmp_lt_u32_e32 vcc, 34, v0
	s_waitcnt vmcnt(25) lgkmcnt(5)
	v_mul_f32_e32 v59, v4, v46
	v_mul_f32_e32 v2, v5, v46
	s_waitcnt vmcnt(24)
	v_mul_f32_e32 v60, v6, v48
	s_waitcnt vmcnt(23) lgkmcnt(4)
	v_mul_f32_e32 v3, v8, v49
	s_waitcnt vmcnt(22)
	v_mul_f32_e32 v47, v10, v50
	v_mul_f32_e32 v46, v7, v48
	;; [unrolled: 1-line block ×4, first 2 shown]
	s_waitcnt vmcnt(21)
	v_mov_b32_e32 v48, v29
	s_waitcnt vmcnt(20)
	v_mov_b32_e32 v50, v31
	;; [unrolled: 2-line block ×3, first 2 shown]
	s_waitcnt vmcnt(15)
	v_fmac_f32_e32 v59, v5, v51
	v_fma_f32 v62, v4, v51, -v2
	v_mov_b32_e32 v52, v33
	s_waitcnt vmcnt(14)
	v_fmac_f32_e32 v60, v7, v53
	s_waitcnt vmcnt(13)
	v_fmac_f32_e32 v3, v9, v55
	;; [unrolled: 2-line block ×3, first 2 shown]
	v_fma_f32 v63, v6, v53, -v46
	v_fma_f32 v2, v8, v55, -v49
	;; [unrolled: 1-line block ×3, first 2 shown]
	s_waitcnt lgkmcnt(3)
	v_pk_mul_f32 v[4:5], v[12:13], v[48:49] op_sel_hi:[1,0]
	v_pk_mul_f32 v[6:7], v[14:15], v[50:51] op_sel_hi:[1,0]
	s_waitcnt lgkmcnt(2)
	v_pk_mul_f32 v[10:11], v[18:19], v[54:55] op_sel_hi:[1,0]
	v_add_f32_e32 v54, 0, v59
	v_add_f32_e32 v55, 0, v62
	v_pk_mul_f32 v[8:9], v[16:17], v[52:53] op_sel_hi:[1,0]
	s_waitcnt vmcnt(11)
	v_pk_fma_f32 v[52:53], v[12:13], v[28:29], v[4:5] op_sel:[0,0,1] op_sel_hi:[1,1,0] neg_lo:[0,0,1] neg_hi:[0,0,1]
	v_pk_fma_f32 v[4:5], v[12:13], v[28:29], v[4:5] op_sel:[0,0,1] op_sel_hi:[1,0,0]
	s_waitcnt vmcnt(10)
	v_pk_fma_f32 v[12:13], v[14:15], v[30:31], v[6:7] op_sel:[0,0,1] op_sel_hi:[1,1,0] neg_lo:[0,0,1] neg_hi:[0,0,1]
	v_pk_fma_f32 v[6:7], v[14:15], v[30:31], v[6:7] op_sel:[0,0,1] op_sel_hi:[1,0,0]
	v_add_f32_e32 v31, v54, v60
	v_add_f32_e32 v30, v55, v63
	v_pk_add_f32 v[2:3], v[30:31], v[2:3]
	v_mov_b32_e32 v53, v5
	v_pk_add_f32 v[2:3], v[2:3], v[46:47]
	v_mov_b32_e32 v56, v37
	s_waitcnt vmcnt(9)
	v_pk_fma_f32 v[14:15], v[16:17], v[32:33], v[8:9] op_sel:[0,0,1] op_sel_hi:[1,1,0] neg_lo:[0,0,1] neg_hi:[0,0,1]
	v_pk_fma_f32 v[8:9], v[16:17], v[32:33], v[8:9] op_sel:[0,0,1] op_sel_hi:[1,0,0]
	v_mov_b32_e32 v13, v7
	v_pk_add_f32 v[2:3], v[2:3], v[52:53]
	v_mov_b32_e32 v58, v39
	s_waitcnt lgkmcnt(1)
	v_pk_mul_f32 v[48:49], v[20:21], v[56:57] op_sel_hi:[1,0]
	s_waitcnt vmcnt(5)
	v_pk_fma_f32 v[16:17], v[18:19], v[34:35], v[10:11] op_sel:[0,0,1] op_sel_hi:[1,1,0] neg_lo:[0,0,1] neg_hi:[0,0,1]
	v_pk_fma_f32 v[10:11], v[18:19], v[34:35], v[10:11] op_sel:[0,0,1] op_sel_hi:[1,0,0]
	v_mov_b32_e32 v15, v9
	v_pk_add_f32 v[2:3], v[2:3], v[12:13]
	s_waitcnt vmcnt(4)
	v_mov_b32_e32 v4, v41
	v_pk_mul_f32 v[50:51], v[22:23], v[58:59] op_sel_hi:[1,0]
	v_pk_fma_f32 v[18:19], v[20:21], v[36:37], v[48:49] op_sel:[0,0,1] op_sel_hi:[1,1,0] neg_lo:[0,0,1] neg_hi:[0,0,1]
	v_pk_fma_f32 v[20:21], v[20:21], v[36:37], v[48:49] op_sel:[0,0,1] op_sel_hi:[1,0,0]
	v_mov_b32_e32 v17, v11
	v_pk_add_f32 v[2:3], v[2:3], v[14:15]
	s_waitcnt lgkmcnt(0)
	v_pk_mul_f32 v[4:5], v[24:25], v[4:5] op_sel_hi:[1,0]
	v_pk_fma_f32 v[28:29], v[22:23], v[38:39], v[50:51] op_sel:[0,0,1] op_sel_hi:[1,1,0] neg_lo:[0,0,1] neg_hi:[0,0,1]
	v_pk_fma_f32 v[22:23], v[22:23], v[38:39], v[50:51] op_sel:[0,0,1] op_sel_hi:[1,0,0]
	v_mov_b32_e32 v19, v21
	v_pk_add_f32 v[2:3], v[2:3], v[16:17]
	v_pk_fma_f32 v[6:7], v[24:25], v[40:41], v[4:5] op_sel:[0,0,1] op_sel_hi:[1,1,0] neg_lo:[0,0,1] neg_hi:[0,0,1]
	v_pk_fma_f32 v[4:5], v[24:25], v[40:41], v[4:5] op_sel:[0,0,1] op_sel_hi:[1,0,0]
	v_mov_b32_e32 v29, v23
	v_pk_add_f32 v[2:3], v[2:3], v[18:19]
	s_waitcnt vmcnt(3)
	v_mov_b32_e32 v4, v43
	v_pk_add_f32 v[2:3], v[2:3], v[28:29]
	v_mov_b32_e32 v7, v5
	v_pk_mul_f32 v[4:5], v[26:27], v[4:5] op_sel_hi:[1,0]
	v_pk_add_f32 v[2:3], v[2:3], v[6:7]
	s_waitcnt vmcnt(2)
	v_pk_fma_f32 v[6:7], v[26:27], v[42:43], v[4:5] op_sel:[0,0,1] op_sel_hi:[1,1,0] neg_lo:[0,0,1] neg_hi:[0,0,1]
	v_pk_fma_f32 v[4:5], v[26:27], v[42:43], v[4:5] op_sel:[0,0,1] op_sel_hi:[1,0,0]
	v_mov_b32_e32 v7, v5
	v_pk_add_f32 v[2:3], v[2:3], v[6:7]
	s_waitcnt vmcnt(0)
	v_pk_add_f32 v[2:3], v[44:45], v[2:3] neg_lo:[0,1] neg_hi:[0,1]
	buffer_store_dword v3, off, s[0:3], 0 offset:284
	buffer_store_dword v2, off, s[0:3], 0 offset:280
	s_and_saveexec_b64 s[4:5], vcc
	s_cbranch_execz .LBB47_233
; %bb.232:
	buffer_load_dword v2, off, s[0:3], 0 offset:272
	buffer_load_dword v3, off, s[0:3], 0 offset:276
	v_mov_b32_e32 v4, 0
	v_accvgpr_read_b32 v1, a20
	buffer_store_dword v4, off, s[0:3], 0 offset:272
	buffer_store_dword v4, off, s[0:3], 0 offset:276
	s_waitcnt vmcnt(2)
	ds_write_b64 v1, v[2:3]
.LBB47_233:
	s_or_b64 exec, exec, s[4:5]
	s_waitcnt lgkmcnt(0)
	; wave barrier
	s_waitcnt lgkmcnt(0)
	buffer_load_dword v3, off, s[0:3], 0 offset:284
	buffer_load_dword v48, off, s[0:3], 0 offset:292
	;; [unrolled: 1-line block ×28, first 2 shown]
	v_mov_b32_e32 v2, 0
	ds_read2_b64 v[4:7], v2 offset0:83 offset1:84
	ds_read2_b64 v[8:11], v2 offset0:85 offset1:86
	;; [unrolled: 1-line block ×6, first 2 shown]
	ds_read_b64 v[46:47], v2 offset:760
	v_cmp_lt_u32_e32 vcc, 33, v0
	s_waitcnt vmcnt(27) lgkmcnt(6)
	v_mul_f32_e32 v63, v4, v3
	v_mul_f32_e32 v3, v5, v3
	s_waitcnt vmcnt(26)
	v_mul_f32_e32 v64, v6, v48
	s_waitcnt vmcnt(24) lgkmcnt(5)
	v_mul_f32_e32 v49, v10, v52
	s_waitcnt vmcnt(23) lgkmcnt(4)
	v_mul_f32_e32 v51, v12, v53
	v_mul_f32_e32 v66, v11, v52
	;; [unrolled: 1-line block ×3, first 2 shown]
	s_waitcnt vmcnt(22)
	v_mov_b32_e32 v52, v29
	v_mul_f32_e32 v65, v8, v50
	v_mul_f32_e32 v48, v7, v48
	;; [unrolled: 1-line block ×3, first 2 shown]
	s_waitcnt vmcnt(17)
	v_fmac_f32_e32 v63, v5, v55
	v_fma_f32 v3, v4, v55, -v3
	v_pk_mul_f32 v[4:5], v[14:15], v[52:53] op_sel_hi:[1,0]
	s_waitcnt vmcnt(16)
	v_fmac_f32_e32 v64, v7, v57
	s_waitcnt vmcnt(13)
	v_fmac_f32_e32 v51, v13, v62
	v_fma_f32 v55, v6, v57, -v48
	v_fma_f32 v57, v8, v59, -v50
	;; [unrolled: 1-line block ×3, first 2 shown]
	v_add_f32_e32 v52, 0, v63
	v_add_f32_e32 v3, 0, v3
	s_waitcnt vmcnt(12)
	v_pk_fma_f32 v[12:13], v[14:15], v[28:29], v[4:5] op_sel:[0,0,1] op_sel_hi:[1,1,0] neg_lo:[0,0,1] neg_hi:[0,0,1]
	v_pk_fma_f32 v[4:5], v[14:15], v[28:29], v[4:5] op_sel:[0,0,1] op_sel_hi:[1,0,0]
	v_fmac_f32_e32 v65, v9, v59
	v_add_f32_e32 v4, v52, v64
	v_add_f32_e32 v3, v3, v55
	v_mov_b32_e32 v54, v31
	v_fmac_f32_e32 v49, v11, v61
	v_fma_f32 v48, v10, v61, -v66
	v_mov_b32_e32 v13, v5
	v_add_f32_e32 v5, v4, v65
	v_add_f32_e32 v4, v3, v57
	v_mov_b32_e32 v56, v33
	s_waitcnt lgkmcnt(3)
	v_pk_mul_f32 v[6:7], v[16:17], v[54:55] op_sel_hi:[1,0]
	v_pk_add_f32 v[4:5], v[4:5], v[48:49]
	v_mov_b32_e32 v58, v35
	v_mov_b32_e32 v60, v37
	v_pk_mul_f32 v[8:9], v[18:19], v[56:57] op_sel_hi:[1,0]
	s_waitcnt vmcnt(11)
	v_pk_fma_f32 v[14:15], v[16:17], v[30:31], v[6:7] op_sel:[0,0,1] op_sel_hi:[1,1,0] neg_lo:[0,0,1] neg_hi:[0,0,1]
	v_pk_fma_f32 v[6:7], v[16:17], v[30:31], v[6:7] op_sel:[0,0,1] op_sel_hi:[1,0,0]
	v_pk_add_f32 v[4:5], v[4:5], v[50:51]
	s_waitcnt lgkmcnt(2)
	v_pk_mul_f32 v[10:11], v[20:21], v[58:59] op_sel_hi:[1,0]
	s_waitcnt vmcnt(7)
	v_pk_fma_f32 v[16:17], v[18:19], v[32:33], v[8:9] op_sel:[0,0,1] op_sel_hi:[1,1,0] neg_lo:[0,0,1] neg_hi:[0,0,1]
	v_pk_fma_f32 v[8:9], v[18:19], v[32:33], v[8:9] op_sel:[0,0,1] op_sel_hi:[1,0,0]
	v_mov_b32_e32 v15, v7
	v_pk_add_f32 v[4:5], v[4:5], v[12:13]
	v_pk_mul_f32 v[6:7], v[22:23], v[60:61] op_sel_hi:[1,0]
	v_pk_fma_f32 v[18:19], v[20:21], v[34:35], v[10:11] op_sel:[0,0,1] op_sel_hi:[1,1,0] neg_lo:[0,0,1] neg_hi:[0,0,1]
	v_pk_fma_f32 v[10:11], v[20:21], v[34:35], v[10:11] op_sel:[0,0,1] op_sel_hi:[1,0,0]
	v_mov_b32_e32 v17, v9
	v_pk_add_f32 v[4:5], v[4:5], v[14:15]
	v_pk_fma_f32 v[8:9], v[22:23], v[36:37], v[6:7] op_sel:[0,0,1] op_sel_hi:[1,1,0] neg_lo:[0,0,1] neg_hi:[0,0,1]
	v_pk_fma_f32 v[6:7], v[22:23], v[36:37], v[6:7] op_sel:[0,0,1] op_sel_hi:[1,0,0]
	v_mov_b32_e32 v19, v11
	v_pk_add_f32 v[4:5], v[4:5], v[16:17]
	s_waitcnt vmcnt(6)
	v_mov_b32_e32 v6, v39
	v_pk_add_f32 v[4:5], v[4:5], v[18:19]
	v_mov_b32_e32 v9, v7
	s_waitcnt lgkmcnt(1)
	v_pk_mul_f32 v[6:7], v[24:25], v[6:7] op_sel_hi:[1,0]
	v_pk_add_f32 v[4:5], v[4:5], v[8:9]
	v_pk_fma_f32 v[8:9], v[24:25], v[38:39], v[6:7] op_sel:[0,0,1] op_sel_hi:[1,1,0] neg_lo:[0,0,1] neg_hi:[0,0,1]
	v_pk_fma_f32 v[6:7], v[24:25], v[38:39], v[6:7] op_sel:[0,0,1] op_sel_hi:[1,0,0]
	s_waitcnt vmcnt(5)
	v_mov_b32_e32 v6, v41
	v_mov_b32_e32 v9, v7
	v_pk_mul_f32 v[6:7], v[26:27], v[6:7] op_sel_hi:[1,0]
	v_pk_add_f32 v[4:5], v[4:5], v[8:9]
	s_waitcnt vmcnt(3)
	v_pk_fma_f32 v[8:9], v[26:27], v[40:41], v[6:7] op_sel:[0,0,1] op_sel_hi:[1,1,0] neg_lo:[0,0,1] neg_hi:[0,0,1]
	v_pk_fma_f32 v[6:7], v[26:27], v[40:41], v[6:7] op_sel:[0,0,1] op_sel_hi:[1,0,0]
	s_waitcnt vmcnt(2)
	v_mov_b32_e32 v6, v43
	v_mov_b32_e32 v9, v7
	s_waitcnt lgkmcnt(0)
	v_pk_mul_f32 v[6:7], v[46:47], v[6:7] op_sel_hi:[1,0]
	v_pk_add_f32 v[4:5], v[4:5], v[8:9]
	v_pk_fma_f32 v[8:9], v[46:47], v[42:43], v[6:7] op_sel:[0,0,1] op_sel_hi:[1,1,0] neg_lo:[0,0,1] neg_hi:[0,0,1]
	v_pk_fma_f32 v[6:7], v[46:47], v[42:43], v[6:7] op_sel:[0,0,1] op_sel_hi:[1,0,0]
	v_mov_b32_e32 v9, v7
	v_pk_add_f32 v[4:5], v[4:5], v[8:9]
	s_waitcnt vmcnt(0)
	v_pk_add_f32 v[4:5], v[44:45], v[4:5] neg_lo:[0,1] neg_hi:[0,1]
	buffer_store_dword v5, off, s[0:3], 0 offset:276
	buffer_store_dword v4, off, s[0:3], 0 offset:272
	s_and_saveexec_b64 s[4:5], vcc
	s_cbranch_execz .LBB47_235
; %bb.234:
	buffer_load_dword v4, off, s[0:3], 0 offset:264
	buffer_load_dword v5, off, s[0:3], 0 offset:268
	v_accvgpr_read_b32 v1, a20
	buffer_store_dword v2, off, s[0:3], 0 offset:264
	buffer_store_dword v2, off, s[0:3], 0 offset:268
	s_waitcnt vmcnt(2)
	ds_write_b64 v1, v[4:5]
.LBB47_235:
	s_or_b64 exec, exec, s[4:5]
	s_waitcnt lgkmcnt(0)
	; wave barrier
	s_waitcnt lgkmcnt(0)
	buffer_load_dword v50, off, s[0:3], 0 offset:276
	buffer_load_dword v52, off, s[0:3], 0 offset:284
	;; [unrolled: 1-line block ×30, first 2 shown]
	ds_read_b128 v[4:7], v2 offset:656
	ds_read_b128 v[8:11], v2 offset:672
	;; [unrolled: 1-line block ×7, first 2 shown]
	v_cmp_lt_u32_e32 vcc, 32, v0
	s_waitcnt vmcnt(29) lgkmcnt(6)
	v_mul_f32_e32 v63, v4, v50
	s_waitcnt vmcnt(28)
	v_mul_f32_e32 v64, v6, v52
	s_waitcnt vmcnt(27) lgkmcnt(5)
	v_mul_f32_e32 v65, v8, v53
	v_mul_f32_e32 v53, v9, v53
	s_waitcnt vmcnt(26)
	v_mul_f32_e32 v66, v10, v54
	s_waitcnt vmcnt(25) lgkmcnt(4)
	v_mul_f32_e32 v3, v12, v55
	v_mul_f32_e32 v2, v5, v50
	;; [unrolled: 1-line block ×5, first 2 shown]
	s_waitcnt vmcnt(23)
	v_mov_b32_e32 v52, v33
	s_waitcnt vmcnt(22)
	v_mov_b32_e32 v54, v35
	s_waitcnt vmcnt(18)
	v_fma_f32 v53, v8, v59, -v53
	v_fmac_f32_e32 v63, v5, v57
	v_fmac_f32_e32 v64, v7, v58
	s_waitcnt vmcnt(17)
	v_fmac_f32_e32 v66, v11, v60
	v_fma_f32 v11, v4, v57, -v2
	v_fma_f32 v57, v6, v58, -v50
	s_waitcnt lgkmcnt(3)
	v_pk_mul_f32 v[4:5], v[16:17], v[52:53] op_sel_hi:[1,0]
	v_pk_mul_f32 v[6:7], v[18:19], v[54:55] op_sel_hi:[1,0]
	s_waitcnt vmcnt(16)
	v_fmac_f32_e32 v3, v13, v61
	v_fma_f32 v58, v10, v60, -v67
	v_fma_f32 v2, v12, v61, -v55
	v_add_f32_e32 v52, 0, v63
	v_add_f32_e32 v54, 0, v11
	s_waitcnt vmcnt(14)
	v_pk_fma_f32 v[10:11], v[16:17], v[32:33], v[4:5] op_sel:[0,0,1] op_sel_hi:[1,1,0] neg_lo:[0,0,1] neg_hi:[0,0,1]
	v_pk_fma_f32 v[4:5], v[16:17], v[32:33], v[4:5] op_sel:[0,0,1] op_sel_hi:[1,0,0]
	s_waitcnt vmcnt(10)
	v_pk_fma_f32 v[12:13], v[18:19], v[34:35], v[6:7] op_sel:[0,0,1] op_sel_hi:[1,1,0] neg_lo:[0,0,1] neg_hi:[0,0,1]
	v_pk_fma_f32 v[6:7], v[18:19], v[34:35], v[6:7] op_sel:[0,0,1] op_sel_hi:[1,0,0]
	v_fmac_f32_e32 v65, v9, v59
	v_add_f32_e32 v4, v52, v64
	v_add_f32_e32 v6, v54, v57
	;; [unrolled: 1-line block ×4, first 2 shown]
	v_mul_f32_e32 v51, v14, v56
	v_mul_f32_e32 v68, v15, v56
	v_mov_b32_e32 v11, v5
	v_add_f32_e32 v5, v4, v66
	v_add_f32_e32 v4, v6, v58
	v_mov_b32_e32 v56, v37
	v_fmac_f32_e32 v51, v15, v62
	v_fma_f32 v50, v14, v62, -v68
	v_pk_add_f32 v[2:3], v[4:5], v[2:3]
	s_waitcnt vmcnt(9)
	v_mov_b32_e32 v4, v41
	s_waitcnt lgkmcnt(2)
	v_pk_mul_f32 v[8:9], v[20:21], v[56:57] op_sel_hi:[1,0]
	v_pk_add_f32 v[2:3], v[2:3], v[50:51]
	v_pk_mul_f32 v[4:5], v[22:23], v[4:5] op_sel_hi:[1,0]
	v_pk_fma_f32 v[14:15], v[20:21], v[36:37], v[8:9] op_sel:[0,0,1] op_sel_hi:[1,1,0] neg_lo:[0,0,1] neg_hi:[0,0,1]
	v_pk_fma_f32 v[8:9], v[20:21], v[36:37], v[8:9] op_sel:[0,0,1] op_sel_hi:[1,0,0]
	v_mov_b32_e32 v13, v7
	v_pk_add_f32 v[2:3], v[2:3], v[10:11]
	v_pk_fma_f32 v[6:7], v[22:23], v[40:41], v[4:5] op_sel:[0,0,1] op_sel_hi:[1,1,0] neg_lo:[0,0,1] neg_hi:[0,0,1]
	v_pk_fma_f32 v[4:5], v[22:23], v[40:41], v[4:5] op_sel:[0,0,1] op_sel_hi:[1,0,0]
	v_mov_b32_e32 v15, v9
	v_pk_add_f32 v[2:3], v[2:3], v[12:13]
	s_waitcnt vmcnt(8)
	v_mov_b32_e32 v4, v39
	v_pk_add_f32 v[2:3], v[2:3], v[14:15]
	v_mov_b32_e32 v7, v5
	s_waitcnt lgkmcnt(1)
	v_pk_mul_f32 v[4:5], v[24:25], v[4:5] op_sel_hi:[1,0]
	v_pk_add_f32 v[2:3], v[2:3], v[6:7]
	v_pk_fma_f32 v[6:7], v[24:25], v[38:39], v[4:5] op_sel:[0,0,1] op_sel_hi:[1,1,0] neg_lo:[0,0,1] neg_hi:[0,0,1]
	v_pk_fma_f32 v[4:5], v[24:25], v[38:39], v[4:5] op_sel:[0,0,1] op_sel_hi:[1,0,0]
	s_waitcnt vmcnt(7)
	v_mov_b32_e32 v4, v43
	v_mov_b32_e32 v7, v5
	v_pk_mul_f32 v[4:5], v[26:27], v[4:5] op_sel_hi:[1,0]
	v_pk_add_f32 v[2:3], v[2:3], v[6:7]
	s_waitcnt vmcnt(4)
	v_pk_fma_f32 v[6:7], v[26:27], v[42:43], v[4:5] op_sel:[0,0,1] op_sel_hi:[1,1,0] neg_lo:[0,0,1] neg_hi:[0,0,1]
	v_pk_fma_f32 v[4:5], v[26:27], v[42:43], v[4:5] op_sel:[0,0,1] op_sel_hi:[1,0,0]
	s_waitcnt vmcnt(3)
	v_mov_b32_e32 v4, v47
	v_mov_b32_e32 v7, v5
	s_waitcnt lgkmcnt(0)
	v_pk_mul_f32 v[4:5], v[28:29], v[4:5] op_sel_hi:[1,0]
	v_pk_add_f32 v[2:3], v[2:3], v[6:7]
	v_pk_fma_f32 v[6:7], v[28:29], v[46:47], v[4:5] op_sel:[0,0,1] op_sel_hi:[1,1,0] neg_lo:[0,0,1] neg_hi:[0,0,1]
	v_pk_fma_f32 v[4:5], v[28:29], v[46:47], v[4:5] op_sel:[0,0,1] op_sel_hi:[1,0,0]
	s_waitcnt vmcnt(0)
	v_mov_b32_e32 v4, v45
	v_mov_b32_e32 v7, v5
	v_pk_mul_f32 v[4:5], v[30:31], v[4:5] op_sel_hi:[1,0]
	v_pk_add_f32 v[2:3], v[2:3], v[6:7]
	v_pk_fma_f32 v[6:7], v[30:31], v[44:45], v[4:5] op_sel:[0,0,1] op_sel_hi:[1,1,0] neg_lo:[0,0,1] neg_hi:[0,0,1]
	v_pk_fma_f32 v[4:5], v[30:31], v[44:45], v[4:5] op_sel:[0,0,1] op_sel_hi:[1,0,0]
	v_mov_b32_e32 v7, v5
	v_pk_add_f32 v[2:3], v[2:3], v[6:7]
	v_pk_add_f32 v[2:3], v[48:49], v[2:3] neg_lo:[0,1] neg_hi:[0,1]
	buffer_store_dword v3, off, s[0:3], 0 offset:268
	buffer_store_dword v2, off, s[0:3], 0 offset:264
	s_and_saveexec_b64 s[4:5], vcc
	s_cbranch_execz .LBB47_237
; %bb.236:
	buffer_load_dword v2, off, s[0:3], 0 offset:256
	buffer_load_dword v3, off, s[0:3], 0 offset:260
	v_mov_b32_e32 v4, 0
	v_accvgpr_read_b32 v1, a20
	buffer_store_dword v4, off, s[0:3], 0 offset:256
	buffer_store_dword v4, off, s[0:3], 0 offset:260
	s_waitcnt vmcnt(2)
	ds_write_b64 v1, v[2:3]
.LBB47_237:
	s_or_b64 exec, exec, s[4:5]
	v_mov_b32_e32 v4, 0
	s_waitcnt lgkmcnt(0)
	; wave barrier
	s_waitcnt lgkmcnt(0)
	ds_read2_b64 v[6:9], v4 offset0:81 offset1:82
	buffer_load_dword v2, off, s[0:3], 0 offset:256
	buffer_load_dword v3, off, s[0:3], 0 offset:260
	;; [unrolled: 1-line block ×16, first 2 shown]
	v_cmp_lt_u32_e32 vcc, 31, v0
	s_waitcnt vmcnt(12) lgkmcnt(0)
	v_mul_f32_e32 v10, v6, v22
	v_fmac_f32_e32 v10, v7, v5
	s_waitcnt vmcnt(10)
	v_mul_f32_e32 v11, v8, v26
	v_add_f32_e32 v10, 0, v10
	v_fmac_f32_e32 v11, v9, v24
	v_add_f32_e32 v14, v10, v11
	ds_read2_b64 v[10:13], v4 offset0:83 offset1:84
	v_mul_f32_e32 v7, v7, v22
	v_fma_f32 v5, v6, v5, -v7
	v_mul_f32_e32 v6, v9, v26
	v_add_f32_e32 v5, 0, v5
	s_waitcnt vmcnt(8) lgkmcnt(0)
	v_mul_f32_e32 v15, v10, v45
	v_fmac_f32_e32 v15, v11, v44
	v_add_f32_e32 v14, v14, v15
	s_waitcnt vmcnt(6)
	v_mul_f32_e32 v15, v12, v47
	v_fmac_f32_e32 v15, v13, v46
	v_add_f32_e32 v18, v14, v15
	ds_read2_b64 v[14:17], v4 offset0:85 offset1:86
	v_fma_f32 v6, v8, v24, -v6
	v_add_f32_e32 v5, v5, v6
	v_mul_f32_e32 v6, v11, v45
	v_fma_f32 v6, v10, v44, -v6
	s_waitcnt vmcnt(4) lgkmcnt(0)
	v_mul_f32_e32 v19, v14, v49
	v_fmac_f32_e32 v19, v15, v48
	v_add_f32_e32 v23, v18, v19
	ds_read2_b64 v[18:21], v4 offset0:87 offset1:88
	buffer_load_dword v29, off, s[0:3], 0 offset:324
	buffer_load_dword v28, off, s[0:3], 0 offset:320
	buffer_load_dword v31, off, s[0:3], 0 offset:332
	buffer_load_dword v30, off, s[0:3], 0 offset:328
	buffer_load_dword v33, off, s[0:3], 0 offset:340
	buffer_load_dword v32, off, s[0:3], 0 offset:336
	buffer_load_dword v35, off, s[0:3], 0 offset:348
	buffer_load_dword v34, off, s[0:3], 0 offset:344
	buffer_load_dword v37, off, s[0:3], 0 offset:356
	buffer_load_dword v36, off, s[0:3], 0 offset:352
	buffer_load_dword v39, off, s[0:3], 0 offset:364
	buffer_load_dword v38, off, s[0:3], 0 offset:360
	buffer_load_dword v41, off, s[0:3], 0 offset:372
	buffer_load_dword v40, off, s[0:3], 0 offset:368
	buffer_load_dword v43, off, s[0:3], 0 offset:380
	buffer_load_dword v42, off, s[0:3], 0 offset:376
	v_add_f32_e32 v5, v5, v6
	v_mul_f32_e32 v6, v13, v47
	v_fma_f32 v6, v12, v46, -v6
	v_add_f32_e32 v5, v5, v6
	v_mul_f32_e32 v6, v15, v49
	v_fma_f32 v6, v14, v48, -v6
	s_waitcnt vmcnt(18)
	v_mul_f32_e32 v25, v16, v51
	v_add_f32_e32 v22, v5, v6
	v_mul_f32_e32 v5, v17, v51
	v_fmac_f32_e32 v25, v17, v50
	v_fma_f32 v24, v16, v50, -v5
	s_waitcnt vmcnt(16) lgkmcnt(0)
	v_mul_f32_e32 v27, v18, v53
	v_mul_f32_e32 v5, v19, v53
	v_pk_add_f32 v[22:23], v[22:23], v[24:25]
	v_fmac_f32_e32 v27, v19, v52
	v_fma_f32 v26, v18, v52, -v5
	v_pk_add_f32 v[22:23], v[22:23], v[26:27]
	ds_read2_b64 v[6:9], v4 offset0:89 offset1:90
	ds_read2_b64 v[10:13], v4 offset0:91 offset1:92
	;; [unrolled: 1-line block ×3, first 2 shown]
	ds_read_b64 v[18:19], v4 offset:760
	s_waitcnt vmcnt(15)
	v_mov_b32_e32 v24, v29
	v_pk_mul_f32 v[24:25], v[20:21], v[24:25] op_sel_hi:[1,0]
	s_waitcnt vmcnt(14)
	v_pk_fma_f32 v[26:27], v[20:21], v[28:29], v[24:25] op_sel:[0,0,1] op_sel_hi:[1,1,0] neg_lo:[0,0,1] neg_hi:[0,0,1]
	v_pk_fma_f32 v[20:21], v[20:21], v[28:29], v[24:25] op_sel:[0,0,1] op_sel_hi:[1,0,0]
	v_mov_b32_e32 v27, v21
	v_pk_add_f32 v[20:21], v[22:23], v[26:27]
	s_waitcnt vmcnt(13)
	v_mov_b32_e32 v22, v31
	s_waitcnt lgkmcnt(3)
	v_pk_mul_f32 v[22:23], v[6:7], v[22:23] op_sel_hi:[1,0]
	s_waitcnt vmcnt(12)
	v_pk_fma_f32 v[24:25], v[6:7], v[30:31], v[22:23] op_sel:[0,0,1] op_sel_hi:[1,1,0] neg_lo:[0,0,1] neg_hi:[0,0,1]
	v_pk_fma_f32 v[6:7], v[6:7], v[30:31], v[22:23] op_sel:[0,0,1] op_sel_hi:[1,0,0]
	v_mov_b32_e32 v25, v7
	v_pk_add_f32 v[6:7], v[20:21], v[24:25]
	s_waitcnt vmcnt(11)
	v_mov_b32_e32 v20, v33
	v_pk_mul_f32 v[20:21], v[8:9], v[20:21] op_sel_hi:[1,0]
	s_waitcnt vmcnt(10)
	v_pk_fma_f32 v[22:23], v[8:9], v[32:33], v[20:21] op_sel:[0,0,1] op_sel_hi:[1,1,0] neg_lo:[0,0,1] neg_hi:[0,0,1]
	v_pk_fma_f32 v[8:9], v[8:9], v[32:33], v[20:21] op_sel:[0,0,1] op_sel_hi:[1,0,0]
	s_waitcnt vmcnt(9)
	v_mov_b32_e32 v8, v35
	v_mov_b32_e32 v23, v9
	s_waitcnt lgkmcnt(2)
	v_pk_mul_f32 v[8:9], v[10:11], v[8:9] op_sel_hi:[1,0]
	s_waitcnt vmcnt(8)
	v_pk_fma_f32 v[20:21], v[10:11], v[34:35], v[8:9] op_sel:[0,0,1] op_sel_hi:[1,1,0] neg_lo:[0,0,1] neg_hi:[0,0,1]
	v_pk_fma_f32 v[8:9], v[10:11], v[34:35], v[8:9] op_sel:[0,0,1] op_sel_hi:[1,0,0]
	s_waitcnt vmcnt(7)
	v_mov_b32_e32 v8, v37
	v_mov_b32_e32 v21, v9
	v_pk_mul_f32 v[8:9], v[12:13], v[8:9] op_sel_hi:[1,0]
	s_waitcnt vmcnt(6)
	v_pk_fma_f32 v[10:11], v[12:13], v[36:37], v[8:9] op_sel:[0,0,1] op_sel_hi:[1,1,0] neg_lo:[0,0,1] neg_hi:[0,0,1]
	v_pk_fma_f32 v[8:9], v[12:13], v[36:37], v[8:9] op_sel:[0,0,1] op_sel_hi:[1,0,0]
	v_pk_add_f32 v[6:7], v[6:7], v[22:23]
	s_waitcnt vmcnt(5)
	v_mov_b32_e32 v8, v39
	v_pk_add_f32 v[6:7], v[6:7], v[20:21]
	v_mov_b32_e32 v11, v9
	s_waitcnt lgkmcnt(1)
	v_pk_mul_f32 v[8:9], v[14:15], v[8:9] op_sel_hi:[1,0]
	v_pk_add_f32 v[6:7], v[6:7], v[10:11]
	s_waitcnt vmcnt(4)
	v_pk_fma_f32 v[10:11], v[14:15], v[38:39], v[8:9] op_sel:[0,0,1] op_sel_hi:[1,1,0] neg_lo:[0,0,1] neg_hi:[0,0,1]
	v_pk_fma_f32 v[8:9], v[14:15], v[38:39], v[8:9] op_sel:[0,0,1] op_sel_hi:[1,0,0]
	s_waitcnt vmcnt(3)
	v_mov_b32_e32 v8, v41
	v_mov_b32_e32 v11, v9
	v_pk_mul_f32 v[8:9], v[16:17], v[8:9] op_sel_hi:[1,0]
	v_pk_add_f32 v[6:7], v[6:7], v[10:11]
	s_waitcnt vmcnt(2)
	v_pk_fma_f32 v[10:11], v[16:17], v[40:41], v[8:9] op_sel:[0,0,1] op_sel_hi:[1,1,0] neg_lo:[0,0,1] neg_hi:[0,0,1]
	v_pk_fma_f32 v[8:9], v[16:17], v[40:41], v[8:9] op_sel:[0,0,1] op_sel_hi:[1,0,0]
	s_waitcnt vmcnt(1)
	v_mov_b32_e32 v8, v43
	v_mov_b32_e32 v11, v9
	s_waitcnt lgkmcnt(0)
	v_pk_mul_f32 v[8:9], v[18:19], v[8:9] op_sel_hi:[1,0]
	v_pk_add_f32 v[6:7], v[6:7], v[10:11]
	s_waitcnt vmcnt(0)
	v_pk_fma_f32 v[10:11], v[18:19], v[42:43], v[8:9] op_sel:[0,0,1] op_sel_hi:[1,1,0] neg_lo:[0,0,1] neg_hi:[0,0,1]
	v_pk_fma_f32 v[8:9], v[18:19], v[42:43], v[8:9] op_sel:[0,0,1] op_sel_hi:[1,0,0]
	v_mov_b32_e32 v11, v9
	v_pk_add_f32 v[6:7], v[6:7], v[10:11]
	v_pk_add_f32 v[2:3], v[2:3], v[6:7] neg_lo:[0,1] neg_hi:[0,1]
	buffer_store_dword v3, off, s[0:3], 0 offset:260
	buffer_store_dword v2, off, s[0:3], 0 offset:256
	s_and_saveexec_b64 s[4:5], vcc
	s_cbranch_execz .LBB47_239
; %bb.238:
	buffer_load_dword v2, off, s[0:3], 0 offset:248
	buffer_load_dword v3, off, s[0:3], 0 offset:252
	v_accvgpr_read_b32 v1, a20
	buffer_store_dword v4, off, s[0:3], 0 offset:248
	buffer_store_dword v4, off, s[0:3], 0 offset:252
	s_waitcnt vmcnt(2)
	ds_write_b64 v1, v[2:3]
.LBB47_239:
	s_or_b64 exec, exec, s[4:5]
	s_waitcnt lgkmcnt(0)
	; wave barrier
	s_waitcnt lgkmcnt(0)
	ds_read_b128 v[6:9], v4 offset:640
	ds_read_b128 v[10:13], v4 offset:656
	;; [unrolled: 1-line block ×4, first 2 shown]
	buffer_load_dword v2, off, s[0:3], 0 offset:248
	buffer_load_dword v3, off, s[0:3], 0 offset:252
	;; [unrolled: 1-line block ×20, first 2 shown]
	v_cmp_lt_u32_e32 vcc, 30, v0
	s_waitcnt vmcnt(16) lgkmcnt(3)
	v_mul_f32_e32 v22, v6, v26
	v_fmac_f32_e32 v22, v7, v5
	s_waitcnt vmcnt(14)
	v_mul_f32_e32 v23, v8, v30
	v_add_f32_e32 v22, 0, v22
	v_fmac_f32_e32 v23, v9, v28
	v_add_f32_e32 v22, v22, v23
	s_waitcnt vmcnt(12) lgkmcnt(2)
	v_mul_f32_e32 v23, v10, v49
	v_fmac_f32_e32 v23, v11, v48
	v_add_f32_e32 v22, v22, v23
	s_waitcnt vmcnt(10)
	v_mul_f32_e32 v23, v12, v51
	v_fmac_f32_e32 v23, v13, v50
	v_add_f32_e32 v22, v22, v23
	s_waitcnt vmcnt(8) lgkmcnt(1)
	v_mul_f32_e32 v23, v14, v53
	v_fmac_f32_e32 v23, v15, v52
	v_add_f32_e32 v22, v22, v23
	s_waitcnt vmcnt(6)
	v_mul_f32_e32 v23, v16, v55
	v_fmac_f32_e32 v23, v17, v54
	v_add_f32_e32 v27, v22, v23
	ds_read_b128 v[22:25], v4 offset:704
	buffer_load_dword v35, off, s[0:3], 0 offset:332
	buffer_load_dword v34, off, s[0:3], 0 offset:328
	;; [unrolled: 1-line block ×14, first 2 shown]
	v_mul_f32_e32 v7, v7, v26
	v_fma_f32 v5, v6, v5, -v7
	v_mul_f32_e32 v6, v9, v30
	v_add_f32_e32 v5, 0, v5
	v_fma_f32 v6, v8, v28, -v6
	v_add_f32_e32 v5, v5, v6
	v_mul_f32_e32 v6, v11, v49
	v_fma_f32 v6, v10, v48, -v6
	v_add_f32_e32 v5, v5, v6
	v_mul_f32_e32 v6, v13, v51
	;; [unrolled: 3-line block ×4, first 2 shown]
	v_fma_f32 v6, v16, v54, -v6
	v_add_f32_e32 v26, v5, v6
	s_waitcnt vmcnt(18) lgkmcnt(1)
	v_mul_f32_e32 v5, v19, v57
	v_mul_f32_e32 v29, v18, v57
	v_fma_f32 v28, v18, v56, -v5
	s_waitcnt vmcnt(15)
	v_mov_b32_e32 v18, v33
	v_fmac_f32_e32 v29, v19, v56
	v_mul_f32_e32 v31, v20, v59
	v_mul_f32_e32 v5, v21, v59
	s_waitcnt lgkmcnt(0)
	v_pk_mul_f32 v[18:19], v[22:23], v[18:19] op_sel_hi:[1,0]
	v_fmac_f32_e32 v31, v21, v58
	v_fma_f32 v30, v20, v58, -v5
	s_waitcnt vmcnt(14)
	v_pk_fma_f32 v[20:21], v[22:23], v[32:33], v[18:19] op_sel:[0,0,1] op_sel_hi:[1,1,0] neg_lo:[0,0,1] neg_hi:[0,0,1]
	v_pk_fma_f32 v[18:19], v[22:23], v[32:33], v[18:19] op_sel:[0,0,1] op_sel_hi:[1,0,0]
	ds_read_b128 v[6:9], v4 offset:720
	ds_read_b128 v[10:13], v4 offset:736
	;; [unrolled: 1-line block ×3, first 2 shown]
	v_pk_add_f32 v[4:5], v[26:27], v[28:29]
	v_pk_add_f32 v[4:5], v[4:5], v[30:31]
	v_mov_b32_e32 v21, v19
	v_pk_add_f32 v[4:5], v[4:5], v[20:21]
	s_waitcnt vmcnt(13)
	v_mov_b32_e32 v18, v35
	v_pk_mul_f32 v[18:19], v[24:25], v[18:19] op_sel_hi:[1,0]
	s_waitcnt vmcnt(12)
	v_pk_fma_f32 v[20:21], v[24:25], v[34:35], v[18:19] op_sel:[0,0,1] op_sel_hi:[1,1,0] neg_lo:[0,0,1] neg_hi:[0,0,1]
	v_pk_fma_f32 v[18:19], v[24:25], v[34:35], v[18:19] op_sel:[0,0,1] op_sel_hi:[1,0,0]
	s_waitcnt vmcnt(11)
	v_mov_b32_e32 v18, v37
	v_mov_b32_e32 v21, v19
	s_waitcnt lgkmcnt(2)
	v_pk_mul_f32 v[18:19], v[6:7], v[18:19] op_sel_hi:[1,0]
	v_pk_add_f32 v[4:5], v[4:5], v[20:21]
	s_waitcnt vmcnt(10)
	v_pk_fma_f32 v[20:21], v[6:7], v[36:37], v[18:19] op_sel:[0,0,1] op_sel_hi:[1,1,0] neg_lo:[0,0,1] neg_hi:[0,0,1]
	v_pk_fma_f32 v[6:7], v[6:7], v[36:37], v[18:19] op_sel:[0,0,1] op_sel_hi:[1,0,0]
	s_waitcnt vmcnt(9)
	v_mov_b32_e32 v6, v39
	v_mov_b32_e32 v21, v7
	v_pk_mul_f32 v[6:7], v[8:9], v[6:7] op_sel_hi:[1,0]
	s_waitcnt vmcnt(8)
	v_pk_fma_f32 v[18:19], v[8:9], v[38:39], v[6:7] op_sel:[0,0,1] op_sel_hi:[1,1,0] neg_lo:[0,0,1] neg_hi:[0,0,1]
	v_pk_fma_f32 v[6:7], v[8:9], v[38:39], v[6:7] op_sel:[0,0,1] op_sel_hi:[1,0,0]
	s_waitcnt vmcnt(7)
	v_mov_b32_e32 v6, v41
	v_mov_b32_e32 v19, v7
	s_waitcnt lgkmcnt(1)
	v_pk_mul_f32 v[6:7], v[10:11], v[6:7] op_sel_hi:[1,0]
	s_waitcnt vmcnt(6)
	v_pk_fma_f32 v[8:9], v[10:11], v[40:41], v[6:7] op_sel:[0,0,1] op_sel_hi:[1,1,0] neg_lo:[0,0,1] neg_hi:[0,0,1]
	v_pk_fma_f32 v[6:7], v[10:11], v[40:41], v[6:7] op_sel:[0,0,1] op_sel_hi:[1,0,0]
	v_pk_add_f32 v[4:5], v[4:5], v[20:21]
	s_waitcnt vmcnt(5)
	v_mov_b32_e32 v6, v43
	v_pk_add_f32 v[4:5], v[4:5], v[18:19]
	v_mov_b32_e32 v9, v7
	v_pk_mul_f32 v[6:7], v[12:13], v[6:7] op_sel_hi:[1,0]
	v_pk_add_f32 v[4:5], v[4:5], v[8:9]
	s_waitcnt vmcnt(4)
	v_pk_fma_f32 v[8:9], v[12:13], v[42:43], v[6:7] op_sel:[0,0,1] op_sel_hi:[1,1,0] neg_lo:[0,0,1] neg_hi:[0,0,1]
	v_pk_fma_f32 v[6:7], v[12:13], v[42:43], v[6:7] op_sel:[0,0,1] op_sel_hi:[1,0,0]
	s_waitcnt vmcnt(3)
	v_mov_b32_e32 v6, v45
	v_mov_b32_e32 v9, v7
	s_waitcnt lgkmcnt(0)
	v_pk_mul_f32 v[6:7], v[14:15], v[6:7] op_sel_hi:[1,0]
	v_pk_add_f32 v[4:5], v[4:5], v[8:9]
	s_waitcnt vmcnt(2)
	v_pk_fma_f32 v[8:9], v[14:15], v[44:45], v[6:7] op_sel:[0,0,1] op_sel_hi:[1,1,0] neg_lo:[0,0,1] neg_hi:[0,0,1]
	v_pk_fma_f32 v[6:7], v[14:15], v[44:45], v[6:7] op_sel:[0,0,1] op_sel_hi:[1,0,0]
	s_waitcnt vmcnt(1)
	v_mov_b32_e32 v6, v47
	v_mov_b32_e32 v9, v7
	v_pk_mul_f32 v[6:7], v[16:17], v[6:7] op_sel_hi:[1,0]
	v_pk_add_f32 v[4:5], v[4:5], v[8:9]
	s_waitcnt vmcnt(0)
	v_pk_fma_f32 v[8:9], v[16:17], v[46:47], v[6:7] op_sel:[0,0,1] op_sel_hi:[1,1,0] neg_lo:[0,0,1] neg_hi:[0,0,1]
	v_pk_fma_f32 v[6:7], v[16:17], v[46:47], v[6:7] op_sel:[0,0,1] op_sel_hi:[1,0,0]
	v_mov_b32_e32 v9, v7
	v_pk_add_f32 v[4:5], v[4:5], v[8:9]
	v_pk_add_f32 v[2:3], v[2:3], v[4:5] neg_lo:[0,1] neg_hi:[0,1]
	buffer_store_dword v3, off, s[0:3], 0 offset:252
	buffer_store_dword v2, off, s[0:3], 0 offset:248
	s_and_saveexec_b64 s[4:5], vcc
	s_cbranch_execz .LBB47_241
; %bb.240:
	buffer_load_dword v2, off, s[0:3], 0 offset:240
	buffer_load_dword v3, off, s[0:3], 0 offset:244
	v_mov_b32_e32 v4, 0
	v_accvgpr_read_b32 v1, a20
	buffer_store_dword v4, off, s[0:3], 0 offset:240
	buffer_store_dword v4, off, s[0:3], 0 offset:244
	s_waitcnt vmcnt(2)
	ds_write_b64 v1, v[2:3]
.LBB47_241:
	s_or_b64 exec, exec, s[4:5]
	v_mov_b32_e32 v4, 0
	s_waitcnt lgkmcnt(0)
	; wave barrier
	s_waitcnt lgkmcnt(0)
	ds_read2_b64 v[6:9], v4 offset0:79 offset1:80
	buffer_load_dword v2, off, s[0:3], 0 offset:240
	buffer_load_dword v3, off, s[0:3], 0 offset:244
	;; [unrolled: 1-line block ×16, first 2 shown]
	v_cmp_lt_u32_e32 vcc, 29, v0
	s_waitcnt vmcnt(12) lgkmcnt(0)
	v_mul_f32_e32 v10, v6, v26
	v_fmac_f32_e32 v10, v7, v5
	s_waitcnt vmcnt(10)
	v_mul_f32_e32 v11, v8, v30
	v_add_f32_e32 v10, 0, v10
	v_fmac_f32_e32 v11, v9, v28
	v_add_f32_e32 v14, v10, v11
	ds_read2_b64 v[10:13], v4 offset0:81 offset1:82
	v_mul_f32_e32 v7, v7, v26
	v_fma_f32 v5, v6, v5, -v7
	v_mul_f32_e32 v6, v9, v30
	v_add_f32_e32 v5, 0, v5
	s_waitcnt vmcnt(8) lgkmcnt(0)
	v_mul_f32_e32 v15, v10, v49
	v_fmac_f32_e32 v15, v11, v48
	v_add_f32_e32 v14, v14, v15
	s_waitcnt vmcnt(6)
	v_mul_f32_e32 v15, v12, v51
	v_fmac_f32_e32 v15, v13, v50
	v_add_f32_e32 v18, v14, v15
	ds_read2_b64 v[14:17], v4 offset0:83 offset1:84
	v_fma_f32 v6, v8, v28, -v6
	v_add_f32_e32 v5, v5, v6
	v_mul_f32_e32 v6, v11, v49
	v_fma_f32 v6, v10, v48, -v6
	s_waitcnt vmcnt(4) lgkmcnt(0)
	v_mul_f32_e32 v19, v14, v53
	v_fmac_f32_e32 v19, v15, v52
	v_add_f32_e32 v18, v18, v19
	s_waitcnt vmcnt(2)
	v_mul_f32_e32 v19, v16, v55
	v_fmac_f32_e32 v19, v17, v54
	v_add_f32_e32 v22, v18, v19
	ds_read2_b64 v[18:21], v4 offset0:85 offset1:86
	buffer_load_dword v58, off, s[0:3], 0 offset:304
	buffer_load_dword v59, off, s[0:3], 0 offset:308
	v_add_f32_e32 v5, v5, v6
	v_mul_f32_e32 v6, v13, v51
	v_fma_f32 v6, v12, v50, -v6
	s_waitcnt vmcnt(2) lgkmcnt(0)
	v_mul_f32_e32 v23, v18, v57
	v_fmac_f32_e32 v23, v19, v56
	v_add_f32_e32 v27, v22, v23
	ds_read2_b64 v[22:25], v4 offset0:87 offset1:88
	buffer_load_dword v60, off, s[0:3], 0 offset:312
	buffer_load_dword v61, off, s[0:3], 0 offset:316
	;; [unrolled: 1-line block ×18, first 2 shown]
	v_add_f32_e32 v5, v5, v6
	v_mul_f32_e32 v6, v15, v53
	v_fma_f32 v6, v14, v52, -v6
	v_add_f32_e32 v5, v5, v6
	v_mul_f32_e32 v6, v17, v55
	v_fma_f32 v6, v16, v54, -v6
	;; [unrolled: 3-line block ×3, first 2 shown]
	v_add_f32_e32 v26, v5, v6
	ds_read2_b64 v[6:9], v4 offset0:89 offset1:90
	ds_read2_b64 v[10:13], v4 offset0:91 offset1:92
	;; [unrolled: 1-line block ×3, first 2 shown]
	ds_read_b64 v[18:19], v4 offset:760
	s_waitcnt vmcnt(18)
	v_mul_f32_e32 v5, v21, v59
	v_fma_f32 v28, v20, v58, -v5
	v_mul_f32_e32 v29, v20, v59
	v_fmac_f32_e32 v29, v21, v58
	v_pk_add_f32 v[20:21], v[26:27], v[28:29]
	s_waitcnt vmcnt(16) lgkmcnt(4)
	v_mul_f32_e32 v5, v23, v61
	v_mul_f32_e32 v31, v22, v61
	v_fma_f32 v30, v22, v60, -v5
	s_waitcnt vmcnt(15)
	v_mov_b32_e32 v22, v33
	v_fmac_f32_e32 v31, v23, v60
	v_pk_mul_f32 v[22:23], v[24:25], v[22:23] op_sel_hi:[1,0]
	s_waitcnt vmcnt(14)
	v_pk_fma_f32 v[26:27], v[24:25], v[32:33], v[22:23] op_sel:[0,0,1] op_sel_hi:[1,1,0] neg_lo:[0,0,1] neg_hi:[0,0,1]
	v_pk_fma_f32 v[22:23], v[24:25], v[32:33], v[22:23] op_sel:[0,0,1] op_sel_hi:[1,0,0]
	s_waitcnt vmcnt(13)
	v_mov_b32_e32 v22, v35
	v_mov_b32_e32 v27, v23
	s_waitcnt lgkmcnt(3)
	v_pk_mul_f32 v[22:23], v[6:7], v[22:23] op_sel_hi:[1,0]
	v_pk_add_f32 v[20:21], v[20:21], v[30:31]
	s_waitcnt vmcnt(12)
	v_pk_fma_f32 v[24:25], v[6:7], v[34:35], v[22:23] op_sel:[0,0,1] op_sel_hi:[1,1,0] neg_lo:[0,0,1] neg_hi:[0,0,1]
	v_pk_fma_f32 v[6:7], v[6:7], v[34:35], v[22:23] op_sel:[0,0,1] op_sel_hi:[1,0,0]
	v_pk_add_f32 v[20:21], v[20:21], v[26:27]
	v_mov_b32_e32 v25, v7
	v_pk_add_f32 v[6:7], v[20:21], v[24:25]
	s_waitcnt vmcnt(11)
	v_mov_b32_e32 v20, v37
	v_pk_mul_f32 v[20:21], v[8:9], v[20:21] op_sel_hi:[1,0]
	s_waitcnt vmcnt(10)
	v_pk_fma_f32 v[22:23], v[8:9], v[36:37], v[20:21] op_sel:[0,0,1] op_sel_hi:[1,1,0] neg_lo:[0,0,1] neg_hi:[0,0,1]
	v_pk_fma_f32 v[8:9], v[8:9], v[36:37], v[20:21] op_sel:[0,0,1] op_sel_hi:[1,0,0]
	s_waitcnt vmcnt(9)
	v_mov_b32_e32 v8, v39
	v_mov_b32_e32 v23, v9
	s_waitcnt lgkmcnt(2)
	v_pk_mul_f32 v[8:9], v[10:11], v[8:9] op_sel_hi:[1,0]
	s_waitcnt vmcnt(8)
	v_pk_fma_f32 v[20:21], v[10:11], v[38:39], v[8:9] op_sel:[0,0,1] op_sel_hi:[1,1,0] neg_lo:[0,0,1] neg_hi:[0,0,1]
	v_pk_fma_f32 v[8:9], v[10:11], v[38:39], v[8:9] op_sel:[0,0,1] op_sel_hi:[1,0,0]
	s_waitcnt vmcnt(7)
	v_mov_b32_e32 v8, v41
	v_mov_b32_e32 v21, v9
	v_pk_mul_f32 v[8:9], v[12:13], v[8:9] op_sel_hi:[1,0]
	s_waitcnt vmcnt(6)
	v_pk_fma_f32 v[10:11], v[12:13], v[40:41], v[8:9] op_sel:[0,0,1] op_sel_hi:[1,1,0] neg_lo:[0,0,1] neg_hi:[0,0,1]
	v_pk_fma_f32 v[8:9], v[12:13], v[40:41], v[8:9] op_sel:[0,0,1] op_sel_hi:[1,0,0]
	v_pk_add_f32 v[6:7], v[6:7], v[22:23]
	s_waitcnt vmcnt(5)
	v_mov_b32_e32 v8, v43
	v_pk_add_f32 v[6:7], v[6:7], v[20:21]
	v_mov_b32_e32 v11, v9
	s_waitcnt lgkmcnt(1)
	v_pk_mul_f32 v[8:9], v[14:15], v[8:9] op_sel_hi:[1,0]
	v_pk_add_f32 v[6:7], v[6:7], v[10:11]
	s_waitcnt vmcnt(4)
	v_pk_fma_f32 v[10:11], v[14:15], v[42:43], v[8:9] op_sel:[0,0,1] op_sel_hi:[1,1,0] neg_lo:[0,0,1] neg_hi:[0,0,1]
	v_pk_fma_f32 v[8:9], v[14:15], v[42:43], v[8:9] op_sel:[0,0,1] op_sel_hi:[1,0,0]
	s_waitcnt vmcnt(3)
	v_mov_b32_e32 v8, v45
	v_mov_b32_e32 v11, v9
	v_pk_mul_f32 v[8:9], v[16:17], v[8:9] op_sel_hi:[1,0]
	v_pk_add_f32 v[6:7], v[6:7], v[10:11]
	s_waitcnt vmcnt(2)
	v_pk_fma_f32 v[10:11], v[16:17], v[44:45], v[8:9] op_sel:[0,0,1] op_sel_hi:[1,1,0] neg_lo:[0,0,1] neg_hi:[0,0,1]
	v_pk_fma_f32 v[8:9], v[16:17], v[44:45], v[8:9] op_sel:[0,0,1] op_sel_hi:[1,0,0]
	s_waitcnt vmcnt(1)
	v_mov_b32_e32 v8, v47
	v_mov_b32_e32 v11, v9
	s_waitcnt lgkmcnt(0)
	v_pk_mul_f32 v[8:9], v[18:19], v[8:9] op_sel_hi:[1,0]
	v_pk_add_f32 v[6:7], v[6:7], v[10:11]
	s_waitcnt vmcnt(0)
	v_pk_fma_f32 v[10:11], v[18:19], v[46:47], v[8:9] op_sel:[0,0,1] op_sel_hi:[1,1,0] neg_lo:[0,0,1] neg_hi:[0,0,1]
	v_pk_fma_f32 v[8:9], v[18:19], v[46:47], v[8:9] op_sel:[0,0,1] op_sel_hi:[1,0,0]
	v_mov_b32_e32 v11, v9
	v_pk_add_f32 v[6:7], v[6:7], v[10:11]
	v_pk_add_f32 v[2:3], v[2:3], v[6:7] neg_lo:[0,1] neg_hi:[0,1]
	buffer_store_dword v3, off, s[0:3], 0 offset:244
	buffer_store_dword v2, off, s[0:3], 0 offset:240
	s_and_saveexec_b64 s[4:5], vcc
	s_cbranch_execz .LBB47_243
; %bb.242:
	buffer_load_dword v2, off, s[0:3], 0 offset:232
	buffer_load_dword v3, off, s[0:3], 0 offset:236
	v_accvgpr_read_b32 v1, a20
	buffer_store_dword v4, off, s[0:3], 0 offset:232
	buffer_store_dword v4, off, s[0:3], 0 offset:236
	s_waitcnt vmcnt(2)
	ds_write_b64 v1, v[2:3]
.LBB47_243:
	s_or_b64 exec, exec, s[4:5]
	s_waitcnt lgkmcnt(0)
	; wave barrier
	s_waitcnt lgkmcnt(0)
	ds_read_b128 v[6:9], v4 offset:624
	ds_read_b128 v[10:13], v4 offset:640
	;; [unrolled: 1-line block ×4, first 2 shown]
	buffer_load_dword v2, off, s[0:3], 0 offset:232
	buffer_load_dword v3, off, s[0:3], 0 offset:236
	;; [unrolled: 1-line block ×18, first 2 shown]
	v_cmp_lt_u32_e32 vcc, 28, v0
	s_waitcnt vmcnt(14) lgkmcnt(3)
	v_mul_f32_e32 v22, v6, v30
	v_fmac_f32_e32 v22, v7, v5
	s_waitcnt vmcnt(12)
	v_mul_f32_e32 v23, v8, v34
	v_add_f32_e32 v22, 0, v22
	v_fmac_f32_e32 v23, v9, v32
	v_add_f32_e32 v22, v22, v23
	s_waitcnt vmcnt(10) lgkmcnt(2)
	v_mul_f32_e32 v23, v10, v53
	v_fmac_f32_e32 v23, v11, v52
	v_add_f32_e32 v22, v22, v23
	s_waitcnt vmcnt(8)
	v_mul_f32_e32 v23, v12, v55
	v_fmac_f32_e32 v23, v13, v54
	v_add_f32_e32 v22, v22, v23
	s_waitcnt vmcnt(6) lgkmcnt(1)
	v_mul_f32_e32 v23, v14, v57
	v_fmac_f32_e32 v23, v15, v56
	v_add_f32_e32 v22, v22, v23
	s_waitcnt vmcnt(4)
	v_mul_f32_e32 v23, v16, v59
	;; [unrolled: 8-line block ×3, first 2 shown]
	v_fmac_f32_e32 v23, v21, v62
	v_add_f32_e32 v31, v22, v23
	ds_read_b128 v[22:25], v4 offset:688
	buffer_load_dword v64, off, s[0:3], 0 offset:304
	buffer_load_dword v65, off, s[0:3], 0 offset:308
	;; [unrolled: 1-line block ×6, first 2 shown]
	ds_read_b128 v[26:29], v4 offset:704
	buffer_load_dword v39, off, s[0:3], 0 offset:332
	buffer_load_dword v38, off, s[0:3], 0 offset:328
	;; [unrolled: 1-line block ×14, first 2 shown]
	v_mul_f32_e32 v7, v7, v30
	v_fma_f32 v5, v6, v5, -v7
	v_mul_f32_e32 v6, v9, v34
	v_add_f32_e32 v5, 0, v5
	v_fma_f32 v6, v8, v32, -v6
	v_add_f32_e32 v5, v5, v6
	v_mul_f32_e32 v6, v11, v53
	v_fma_f32 v6, v10, v52, -v6
	v_add_f32_e32 v5, v5, v6
	v_mul_f32_e32 v6, v13, v55
	;; [unrolled: 3-line block ×6, first 2 shown]
	v_fma_f32 v6, v20, v62, -v6
	v_add_f32_e32 v30, v5, v6
	ds_read_b128 v[6:9], v4 offset:720
	ds_read_b128 v[10:13], v4 offset:736
	;; [unrolled: 1-line block ×3, first 2 shown]
	s_waitcnt vmcnt(18) lgkmcnt(4)
	v_mul_f32_e32 v33, v22, v65
	s_waitcnt vmcnt(15)
	v_mov_b32_e32 v18, v37
	v_mul_f32_e32 v5, v23, v65
	s_waitcnt lgkmcnt(3)
	v_pk_mul_f32 v[18:19], v[26:27], v[18:19] op_sel_hi:[1,0]
	v_fmac_f32_e32 v33, v23, v64
	v_mul_f32_e32 v35, v24, v67
	v_fma_f32 v32, v22, v64, -v5
	v_mul_f32_e32 v5, v25, v67
	s_waitcnt vmcnt(14)
	v_pk_fma_f32 v[20:21], v[26:27], v[36:37], v[18:19] op_sel:[0,0,1] op_sel_hi:[1,1,0] neg_lo:[0,0,1] neg_hi:[0,0,1]
	v_pk_fma_f32 v[18:19], v[26:27], v[36:37], v[18:19] op_sel:[0,0,1] op_sel_hi:[1,0,0]
	v_fmac_f32_e32 v35, v25, v66
	v_fma_f32 v34, v24, v66, -v5
	v_pk_add_f32 v[4:5], v[30:31], v[32:33]
	s_waitcnt vmcnt(13)
	v_mov_b32_e32 v18, v39
	v_pk_add_f32 v[4:5], v[4:5], v[34:35]
	v_mov_b32_e32 v21, v19
	v_pk_mul_f32 v[18:19], v[28:29], v[18:19] op_sel_hi:[1,0]
	v_pk_add_f32 v[4:5], v[4:5], v[20:21]
	s_waitcnt vmcnt(12)
	v_pk_fma_f32 v[20:21], v[28:29], v[38:39], v[18:19] op_sel:[0,0,1] op_sel_hi:[1,1,0] neg_lo:[0,0,1] neg_hi:[0,0,1]
	v_pk_fma_f32 v[18:19], v[28:29], v[38:39], v[18:19] op_sel:[0,0,1] op_sel_hi:[1,0,0]
	s_waitcnt vmcnt(11)
	v_mov_b32_e32 v18, v41
	v_mov_b32_e32 v21, v19
	s_waitcnt lgkmcnt(2)
	v_pk_mul_f32 v[18:19], v[6:7], v[18:19] op_sel_hi:[1,0]
	v_pk_add_f32 v[4:5], v[4:5], v[20:21]
	s_waitcnt vmcnt(10)
	v_pk_fma_f32 v[20:21], v[6:7], v[40:41], v[18:19] op_sel:[0,0,1] op_sel_hi:[1,1,0] neg_lo:[0,0,1] neg_hi:[0,0,1]
	v_pk_fma_f32 v[6:7], v[6:7], v[40:41], v[18:19] op_sel:[0,0,1] op_sel_hi:[1,0,0]
	s_waitcnt vmcnt(9)
	v_mov_b32_e32 v6, v43
	v_mov_b32_e32 v21, v7
	v_pk_mul_f32 v[6:7], v[8:9], v[6:7] op_sel_hi:[1,0]
	s_waitcnt vmcnt(8)
	v_pk_fma_f32 v[18:19], v[8:9], v[42:43], v[6:7] op_sel:[0,0,1] op_sel_hi:[1,1,0] neg_lo:[0,0,1] neg_hi:[0,0,1]
	v_pk_fma_f32 v[6:7], v[8:9], v[42:43], v[6:7] op_sel:[0,0,1] op_sel_hi:[1,0,0]
	s_waitcnt vmcnt(7)
	v_mov_b32_e32 v6, v45
	v_mov_b32_e32 v19, v7
	s_waitcnt lgkmcnt(1)
	v_pk_mul_f32 v[6:7], v[10:11], v[6:7] op_sel_hi:[1,0]
	s_waitcnt vmcnt(6)
	v_pk_fma_f32 v[8:9], v[10:11], v[44:45], v[6:7] op_sel:[0,0,1] op_sel_hi:[1,1,0] neg_lo:[0,0,1] neg_hi:[0,0,1]
	v_pk_fma_f32 v[6:7], v[10:11], v[44:45], v[6:7] op_sel:[0,0,1] op_sel_hi:[1,0,0]
	v_pk_add_f32 v[4:5], v[4:5], v[20:21]
	s_waitcnt vmcnt(5)
	v_mov_b32_e32 v6, v47
	v_pk_add_f32 v[4:5], v[4:5], v[18:19]
	v_mov_b32_e32 v9, v7
	v_pk_mul_f32 v[6:7], v[12:13], v[6:7] op_sel_hi:[1,0]
	v_pk_add_f32 v[4:5], v[4:5], v[8:9]
	s_waitcnt vmcnt(4)
	v_pk_fma_f32 v[8:9], v[12:13], v[46:47], v[6:7] op_sel:[0,0,1] op_sel_hi:[1,1,0] neg_lo:[0,0,1] neg_hi:[0,0,1]
	v_pk_fma_f32 v[6:7], v[12:13], v[46:47], v[6:7] op_sel:[0,0,1] op_sel_hi:[1,0,0]
	s_waitcnt vmcnt(3)
	v_mov_b32_e32 v6, v49
	v_mov_b32_e32 v9, v7
	s_waitcnt lgkmcnt(0)
	v_pk_mul_f32 v[6:7], v[14:15], v[6:7] op_sel_hi:[1,0]
	v_pk_add_f32 v[4:5], v[4:5], v[8:9]
	s_waitcnt vmcnt(2)
	v_pk_fma_f32 v[8:9], v[14:15], v[48:49], v[6:7] op_sel:[0,0,1] op_sel_hi:[1,1,0] neg_lo:[0,0,1] neg_hi:[0,0,1]
	v_pk_fma_f32 v[6:7], v[14:15], v[48:49], v[6:7] op_sel:[0,0,1] op_sel_hi:[1,0,0]
	s_waitcnt vmcnt(1)
	v_mov_b32_e32 v6, v51
	v_mov_b32_e32 v9, v7
	v_pk_mul_f32 v[6:7], v[16:17], v[6:7] op_sel_hi:[1,0]
	v_pk_add_f32 v[4:5], v[4:5], v[8:9]
	s_waitcnt vmcnt(0)
	v_pk_fma_f32 v[8:9], v[16:17], v[50:51], v[6:7] op_sel:[0,0,1] op_sel_hi:[1,1,0] neg_lo:[0,0,1] neg_hi:[0,0,1]
	v_pk_fma_f32 v[6:7], v[16:17], v[50:51], v[6:7] op_sel:[0,0,1] op_sel_hi:[1,0,0]
	v_mov_b32_e32 v9, v7
	v_pk_add_f32 v[4:5], v[4:5], v[8:9]
	v_pk_add_f32 v[2:3], v[2:3], v[4:5] neg_lo:[0,1] neg_hi:[0,1]
	buffer_store_dword v3, off, s[0:3], 0 offset:236
	buffer_store_dword v2, off, s[0:3], 0 offset:232
	s_and_saveexec_b64 s[4:5], vcc
	s_cbranch_execz .LBB47_245
; %bb.244:
	buffer_load_dword v2, off, s[0:3], 0 offset:224
	buffer_load_dword v3, off, s[0:3], 0 offset:228
	v_mov_b32_e32 v4, 0
	v_accvgpr_read_b32 v1, a20
	buffer_store_dword v4, off, s[0:3], 0 offset:224
	buffer_store_dword v4, off, s[0:3], 0 offset:228
	s_waitcnt vmcnt(2)
	ds_write_b64 v1, v[2:3]
.LBB47_245:
	s_or_b64 exec, exec, s[4:5]
	v_mov_b32_e32 v4, 0
	s_waitcnt lgkmcnt(0)
	; wave barrier
	s_waitcnt lgkmcnt(0)
	ds_read2_b64 v[6:9], v4 offset0:77 offset1:78
	buffer_load_dword v2, off, s[0:3], 0 offset:224
	buffer_load_dword v3, off, s[0:3], 0 offset:228
	;; [unrolled: 1-line block ×16, first 2 shown]
	v_cmp_lt_u32_e32 vcc, 27, v0
	s_waitcnt vmcnt(12) lgkmcnt(0)
	v_mul_f32_e32 v10, v6, v30
	v_fmac_f32_e32 v10, v7, v5
	s_waitcnt vmcnt(10)
	v_mul_f32_e32 v11, v8, v34
	v_add_f32_e32 v10, 0, v10
	v_fmac_f32_e32 v11, v9, v32
	v_add_f32_e32 v14, v10, v11
	ds_read2_b64 v[10:13], v4 offset0:79 offset1:80
	v_mul_f32_e32 v7, v7, v30
	v_fma_f32 v5, v6, v5, -v7
	v_mul_f32_e32 v6, v9, v34
	v_add_f32_e32 v5, 0, v5
	s_waitcnt vmcnt(8) lgkmcnt(0)
	v_mul_f32_e32 v15, v10, v53
	v_fmac_f32_e32 v15, v11, v52
	v_add_f32_e32 v14, v14, v15
	s_waitcnt vmcnt(6)
	v_mul_f32_e32 v15, v12, v55
	v_fmac_f32_e32 v15, v13, v54
	v_add_f32_e32 v18, v14, v15
	ds_read2_b64 v[14:17], v4 offset0:81 offset1:82
	v_fma_f32 v6, v8, v32, -v6
	v_add_f32_e32 v5, v5, v6
	v_mul_f32_e32 v6, v11, v53
	v_fma_f32 v6, v10, v52, -v6
	s_waitcnt vmcnt(4) lgkmcnt(0)
	v_mul_f32_e32 v19, v14, v57
	v_fmac_f32_e32 v19, v15, v56
	v_add_f32_e32 v18, v18, v19
	s_waitcnt vmcnt(2)
	v_mul_f32_e32 v19, v16, v59
	v_fmac_f32_e32 v19, v17, v58
	v_add_f32_e32 v22, v18, v19
	ds_read2_b64 v[18:21], v4 offset0:83 offset1:84
	buffer_load_dword v62, off, s[0:3], 0 offset:288
	buffer_load_dword v63, off, s[0:3], 0 offset:292
	v_add_f32_e32 v5, v5, v6
	v_mul_f32_e32 v6, v13, v55
	v_fma_f32 v6, v12, v54, -v6
	s_waitcnt vmcnt(2) lgkmcnt(0)
	v_mul_f32_e32 v23, v18, v61
	v_fmac_f32_e32 v23, v19, v60
	v_add_f32_e32 v22, v22, v23
	v_add_f32_e32 v5, v5, v6
	v_mul_f32_e32 v6, v15, v57
	v_fma_f32 v6, v14, v56, -v6
	v_add_f32_e32 v5, v5, v6
	v_mul_f32_e32 v6, v17, v59
	v_fma_f32 v6, v16, v58, -v6
	;; [unrolled: 3-line block ×3, first 2 shown]
	v_add_f32_e32 v5, v5, v6
	s_waitcnt vmcnt(0)
	v_mul_f32_e32 v23, v20, v63
	v_fmac_f32_e32 v23, v21, v62
	v_add_f32_e32 v26, v22, v23
	ds_read2_b64 v[22:25], v4 offset0:85 offset1:86
	buffer_load_dword v64, off, s[0:3], 0 offset:296
	buffer_load_dword v65, off, s[0:3], 0 offset:300
	;; [unrolled: 1-line block ×4, first 2 shown]
	v_mul_f32_e32 v6, v21, v63
	v_fma_f32 v6, v20, v62, -v6
	v_add_f32_e32 v5, v5, v6
	s_waitcnt vmcnt(2) lgkmcnt(0)
	v_mul_f32_e32 v27, v22, v65
	v_fmac_f32_e32 v27, v23, v64
	v_add_f32_e32 v31, v26, v27
	ds_read2_b64 v[26:29], v4 offset0:87 offset1:88
	buffer_load_dword v68, off, s[0:3], 0 offset:312
	buffer_load_dword v69, off, s[0:3], 0 offset:316
	;; [unrolled: 1-line block ×18, first 2 shown]
	v_mul_f32_e32 v6, v23, v65
	v_fma_f32 v6, v22, v64, -v6
	s_waitcnt vmcnt(18)
	v_mul_f32_e32 v33, v24, v67
	v_add_f32_e32 v30, v5, v6
	v_mul_f32_e32 v5, v25, v67
	v_fmac_f32_e32 v33, v25, v66
	v_fma_f32 v32, v24, v66, -v5
	ds_read2_b64 v[6:9], v4 offset0:89 offset1:90
	ds_read2_b64 v[10:13], v4 offset0:91 offset1:92
	;; [unrolled: 1-line block ×3, first 2 shown]
	ds_read_b64 v[18:19], v4 offset:760
	v_pk_add_f32 v[20:21], v[30:31], v[32:33]
	s_waitcnt vmcnt(15)
	v_mov_b32_e32 v22, v37
	s_waitcnt lgkmcnt(4)
	v_pk_mul_f32 v[22:23], v[28:29], v[22:23] op_sel_hi:[1,0]
	s_waitcnt vmcnt(14)
	v_pk_fma_f32 v[24:25], v[28:29], v[36:37], v[22:23] op_sel:[0,0,1] op_sel_hi:[1,1,0] neg_lo:[0,0,1] neg_hi:[0,0,1]
	v_pk_fma_f32 v[22:23], v[28:29], v[36:37], v[22:23] op_sel:[0,0,1] op_sel_hi:[1,0,0]
	s_waitcnt vmcnt(13)
	v_mov_b32_e32 v22, v39
	v_mov_b32_e32 v25, v23
	s_waitcnt lgkmcnt(3)
	v_pk_mul_f32 v[22:23], v[6:7], v[22:23] op_sel_hi:[1,0]
	v_mul_f32_e32 v35, v26, v69
	v_mul_f32_e32 v5, v27, v69
	v_fmac_f32_e32 v35, v27, v68
	v_fma_f32 v34, v26, v68, -v5
	v_pk_add_f32 v[20:21], v[20:21], v[34:35]
	v_pk_add_f32 v[20:21], v[20:21], v[24:25]
	s_waitcnt vmcnt(12)
	v_pk_fma_f32 v[24:25], v[6:7], v[38:39], v[22:23] op_sel:[0,0,1] op_sel_hi:[1,1,0] neg_lo:[0,0,1] neg_hi:[0,0,1]
	v_pk_fma_f32 v[6:7], v[6:7], v[38:39], v[22:23] op_sel:[0,0,1] op_sel_hi:[1,0,0]
	v_mov_b32_e32 v25, v7
	v_pk_add_f32 v[6:7], v[20:21], v[24:25]
	s_waitcnt vmcnt(11)
	v_mov_b32_e32 v20, v41
	v_pk_mul_f32 v[20:21], v[8:9], v[20:21] op_sel_hi:[1,0]
	s_waitcnt vmcnt(10)
	v_pk_fma_f32 v[22:23], v[8:9], v[40:41], v[20:21] op_sel:[0,0,1] op_sel_hi:[1,1,0] neg_lo:[0,0,1] neg_hi:[0,0,1]
	v_pk_fma_f32 v[8:9], v[8:9], v[40:41], v[20:21] op_sel:[0,0,1] op_sel_hi:[1,0,0]
	s_waitcnt vmcnt(9)
	v_mov_b32_e32 v8, v43
	v_mov_b32_e32 v23, v9
	s_waitcnt lgkmcnt(2)
	v_pk_mul_f32 v[8:9], v[10:11], v[8:9] op_sel_hi:[1,0]
	s_waitcnt vmcnt(8)
	v_pk_fma_f32 v[20:21], v[10:11], v[42:43], v[8:9] op_sel:[0,0,1] op_sel_hi:[1,1,0] neg_lo:[0,0,1] neg_hi:[0,0,1]
	v_pk_fma_f32 v[8:9], v[10:11], v[42:43], v[8:9] op_sel:[0,0,1] op_sel_hi:[1,0,0]
	s_waitcnt vmcnt(7)
	v_mov_b32_e32 v8, v45
	v_mov_b32_e32 v21, v9
	v_pk_mul_f32 v[8:9], v[12:13], v[8:9] op_sel_hi:[1,0]
	s_waitcnt vmcnt(6)
	v_pk_fma_f32 v[10:11], v[12:13], v[44:45], v[8:9] op_sel:[0,0,1] op_sel_hi:[1,1,0] neg_lo:[0,0,1] neg_hi:[0,0,1]
	v_pk_fma_f32 v[8:9], v[12:13], v[44:45], v[8:9] op_sel:[0,0,1] op_sel_hi:[1,0,0]
	v_pk_add_f32 v[6:7], v[6:7], v[22:23]
	s_waitcnt vmcnt(5)
	v_mov_b32_e32 v8, v47
	v_pk_add_f32 v[6:7], v[6:7], v[20:21]
	v_mov_b32_e32 v11, v9
	s_waitcnt lgkmcnt(1)
	v_pk_mul_f32 v[8:9], v[14:15], v[8:9] op_sel_hi:[1,0]
	v_pk_add_f32 v[6:7], v[6:7], v[10:11]
	s_waitcnt vmcnt(4)
	v_pk_fma_f32 v[10:11], v[14:15], v[46:47], v[8:9] op_sel:[0,0,1] op_sel_hi:[1,1,0] neg_lo:[0,0,1] neg_hi:[0,0,1]
	v_pk_fma_f32 v[8:9], v[14:15], v[46:47], v[8:9] op_sel:[0,0,1] op_sel_hi:[1,0,0]
	s_waitcnt vmcnt(3)
	v_mov_b32_e32 v8, v49
	v_mov_b32_e32 v11, v9
	v_pk_mul_f32 v[8:9], v[16:17], v[8:9] op_sel_hi:[1,0]
	v_pk_add_f32 v[6:7], v[6:7], v[10:11]
	s_waitcnt vmcnt(2)
	v_pk_fma_f32 v[10:11], v[16:17], v[48:49], v[8:9] op_sel:[0,0,1] op_sel_hi:[1,1,0] neg_lo:[0,0,1] neg_hi:[0,0,1]
	v_pk_fma_f32 v[8:9], v[16:17], v[48:49], v[8:9] op_sel:[0,0,1] op_sel_hi:[1,0,0]
	s_waitcnt vmcnt(1)
	v_mov_b32_e32 v8, v51
	v_mov_b32_e32 v11, v9
	s_waitcnt lgkmcnt(0)
	v_pk_mul_f32 v[8:9], v[18:19], v[8:9] op_sel_hi:[1,0]
	v_pk_add_f32 v[6:7], v[6:7], v[10:11]
	s_waitcnt vmcnt(0)
	v_pk_fma_f32 v[10:11], v[18:19], v[50:51], v[8:9] op_sel:[0,0,1] op_sel_hi:[1,1,0] neg_lo:[0,0,1] neg_hi:[0,0,1]
	v_pk_fma_f32 v[8:9], v[18:19], v[50:51], v[8:9] op_sel:[0,0,1] op_sel_hi:[1,0,0]
	v_mov_b32_e32 v11, v9
	v_pk_add_f32 v[6:7], v[6:7], v[10:11]
	v_pk_add_f32 v[2:3], v[2:3], v[6:7] neg_lo:[0,1] neg_hi:[0,1]
	buffer_store_dword v3, off, s[0:3], 0 offset:228
	buffer_store_dword v2, off, s[0:3], 0 offset:224
	s_and_saveexec_b64 s[4:5], vcc
	s_cbranch_execz .LBB47_247
; %bb.246:
	buffer_load_dword v2, off, s[0:3], 0 offset:216
	buffer_load_dword v3, off, s[0:3], 0 offset:220
	v_accvgpr_read_b32 v1, a20
	buffer_store_dword v4, off, s[0:3], 0 offset:216
	buffer_store_dword v4, off, s[0:3], 0 offset:220
	s_waitcnt vmcnt(2)
	ds_write_b64 v1, v[2:3]
.LBB47_247:
	s_or_b64 exec, exec, s[4:5]
	s_waitcnt lgkmcnt(0)
	; wave barrier
	s_waitcnt lgkmcnt(0)
	buffer_load_dword v2, off, s[0:3], 0 offset:228
	buffer_load_dword v3, off, s[0:3], 0 offset:236
	;; [unrolled: 1-line block ×26, first 2 shown]
	ds_read_b128 v[6:9], v4 offset:608
	ds_read_b128 v[10:13], v4 offset:624
	;; [unrolled: 1-line block ×6, first 2 shown]
	buffer_load_dword v33, off, s[0:3], 0 offset:340
	buffer_load_dword v32, off, s[0:3], 0 offset:336
	;; [unrolled: 1-line block ×16, first 2 shown]
	v_cmp_lt_u32_e32 vcc, 26, v0
	s_waitcnt vmcnt(41) lgkmcnt(5)
	v_mul_f32_e32 v71, v6, v2
	s_waitcnt vmcnt(40)
	v_mul_f32_e32 v72, v8, v3
	v_mul_f32_e32 v2, v7, v2
	s_waitcnt vmcnt(39) lgkmcnt(4)
	v_mul_f32_e32 v73, v10, v5
	v_mul_f32_e32 v3, v9, v3
	s_waitcnt vmcnt(38)
	v_mul_f32_e32 v74, v12, v48
	s_waitcnt vmcnt(37) lgkmcnt(3)
	v_mul_f32_e32 v75, v14, v50
	s_waitcnt vmcnt(36)
	v_mul_f32_e32 v76, v16, v52
	s_waitcnt vmcnt(35) lgkmcnt(2)
	;; [unrolled: 4-line block ×3, first 2 shown]
	v_mul_f32_e32 v175, v22, v56
	s_waitcnt vmcnt(32)
	v_mul_f32_e32 v176, v24, v57
	s_waitcnt vmcnt(29)
	v_fmac_f32_e32 v71, v7, v53
	s_waitcnt vmcnt(28)
	v_fmac_f32_e32 v72, v9, v60
	v_fma_f32 v2, v6, v53, -v2
	v_add_f32_e32 v6, 0, v71
	s_waitcnt vmcnt(27)
	v_fmac_f32_e32 v73, v11, v61
	v_fma_f32 v3, v8, v60, -v3
	v_add_f32_e32 v2, 0, v2
	v_add_f32_e32 v6, v6, v72
	s_waitcnt vmcnt(26)
	v_fmac_f32_e32 v74, v13, v62
	v_add_f32_e32 v2, v2, v3
	v_add_f32_e32 v3, v6, v73
	s_waitcnt vmcnt(25)
	v_fmac_f32_e32 v75, v15, v63
	v_add_f32_e32 v3, v3, v74
	s_waitcnt vmcnt(24)
	v_fmac_f32_e32 v76, v17, v64
	;; [unrolled: 3-line block ×5, first 2 shown]
	v_add_f32_e32 v3, v3, v174
	v_mul_f32_e32 v5, v11, v5
	s_waitcnt vmcnt(20)
	v_fmac_f32_e32 v176, v25, v68
	v_add_f32_e32 v3, v3, v175
	v_fma_f32 v5, v10, v61, -v5
	v_add_f32_e32 v53, v3, v176
	v_mul_f32_e32 v3, v13, v48
	v_add_f32_e32 v2, v2, v5
	v_fma_f32 v3, v12, v62, -v3
	v_add_f32_e32 v2, v2, v3
	v_mul_f32_e32 v3, v15, v50
	v_fma_f32 v3, v14, v63, -v3
	v_add_f32_e32 v2, v2, v3
	v_mul_f32_e32 v3, v17, v52
	;; [unrolled: 3-line block ×6, first 2 shown]
	v_fma_f32 v3, v24, v68, -v3
	v_add_f32_e32 v52, v2, v3
	s_waitcnt lgkmcnt(0)
	v_mul_f32_e32 v2, v27, v58
	s_waitcnt vmcnt(19)
	v_fma_f32 v48, v26, v69, -v2
	v_mul_f32_e32 v2, v29, v59
	s_waitcnt vmcnt(18)
	v_fma_f32 v50, v28, v70, -v2
	ds_read_b128 v[6:9], v4 offset:704
	ds_read_b128 v[10:13], v4 offset:720
	;; [unrolled: 1-line block ×4, first 2 shown]
	v_mul_f32_e32 v49, v26, v58
	s_waitcnt vmcnt(11)
	v_mov_b32_e32 v20, v37
	v_mul_f32_e32 v51, v28, v59
	v_fmac_f32_e32 v49, v27, v69
	s_waitcnt lgkmcnt(3)
	v_pk_mul_f32 v[20:21], v[6:7], v[20:21] op_sel_hi:[1,0]
	v_fmac_f32_e32 v51, v29, v70
	v_pk_add_f32 v[18:19], v[52:53], v[48:49]
	s_waitcnt vmcnt(10)
	v_pk_fma_f32 v[22:23], v[6:7], v[36:37], v[20:21] op_sel:[0,0,1] op_sel_hi:[1,1,0] neg_lo:[0,0,1] neg_hi:[0,0,1]
	v_pk_fma_f32 v[6:7], v[6:7], v[36:37], v[20:21] op_sel:[0,0,1] op_sel_hi:[1,0,0]
	v_pk_add_f32 v[18:19], v[18:19], v[50:51]
	v_mov_b32_e32 v23, v7
	v_pk_add_f32 v[6:7], v[18:19], v[22:23]
	v_mov_b32_e32 v18, v35
	v_pk_mul_f32 v[18:19], v[8:9], v[18:19] op_sel_hi:[1,0]
	v_pk_fma_f32 v[20:21], v[8:9], v[34:35], v[18:19] op_sel:[0,0,1] op_sel_hi:[1,1,0] neg_lo:[0,0,1] neg_hi:[0,0,1]
	v_pk_fma_f32 v[8:9], v[8:9], v[34:35], v[18:19] op_sel:[0,0,1] op_sel_hi:[1,0,0]
	v_mov_b32_e32 v8, v33
	v_mov_b32_e32 v21, v9
	s_waitcnt lgkmcnt(2)
	v_pk_mul_f32 v[8:9], v[10:11], v[8:9] op_sel_hi:[1,0]
	v_pk_fma_f32 v[18:19], v[10:11], v[32:33], v[8:9] op_sel:[0,0,1] op_sel_hi:[1,1,0] neg_lo:[0,0,1] neg_hi:[0,0,1]
	v_pk_fma_f32 v[8:9], v[10:11], v[32:33], v[8:9] op_sel:[0,0,1] op_sel_hi:[1,0,0]
	s_waitcnt vmcnt(3)
	v_mov_b32_e32 v8, v45
	v_mov_b32_e32 v19, v9
	v_pk_mul_f32 v[8:9], v[12:13], v[8:9] op_sel_hi:[1,0]
	s_waitcnt vmcnt(2)
	v_pk_fma_f32 v[10:11], v[12:13], v[44:45], v[8:9] op_sel:[0,0,1] op_sel_hi:[1,1,0] neg_lo:[0,0,1] neg_hi:[0,0,1]
	v_pk_fma_f32 v[8:9], v[12:13], v[44:45], v[8:9] op_sel:[0,0,1] op_sel_hi:[1,0,0]
	v_pk_add_f32 v[6:7], v[6:7], v[20:21]
	v_mov_b32_e32 v8, v43
	v_pk_add_f32 v[6:7], v[6:7], v[18:19]
	v_mov_b32_e32 v11, v9
	s_waitcnt lgkmcnt(1)
	v_pk_mul_f32 v[8:9], v[14:15], v[8:9] op_sel_hi:[1,0]
	v_pk_add_f32 v[6:7], v[6:7], v[10:11]
	v_pk_fma_f32 v[10:11], v[14:15], v[42:43], v[8:9] op_sel:[0,0,1] op_sel_hi:[1,1,0] neg_lo:[0,0,1] neg_hi:[0,0,1]
	v_pk_fma_f32 v[8:9], v[14:15], v[42:43], v[8:9] op_sel:[0,0,1] op_sel_hi:[1,0,0]
	v_mov_b32_e32 v8, v41
	v_mov_b32_e32 v11, v9
	v_pk_mul_f32 v[8:9], v[16:17], v[8:9] op_sel_hi:[1,0]
	v_pk_add_f32 v[6:7], v[6:7], v[10:11]
	v_pk_fma_f32 v[10:11], v[16:17], v[40:41], v[8:9] op_sel:[0,0,1] op_sel_hi:[1,1,0] neg_lo:[0,0,1] neg_hi:[0,0,1]
	v_pk_fma_f32 v[8:9], v[16:17], v[40:41], v[8:9] op_sel:[0,0,1] op_sel_hi:[1,0,0]
	v_mov_b32_e32 v8, v39
	v_mov_b32_e32 v11, v9
	s_waitcnt lgkmcnt(0)
	v_pk_mul_f32 v[8:9], v[2:3], v[8:9] op_sel_hi:[1,0]
	v_pk_add_f32 v[6:7], v[6:7], v[10:11]
	v_pk_fma_f32 v[10:11], v[2:3], v[38:39], v[8:9] op_sel:[0,0,1] op_sel_hi:[1,1,0] neg_lo:[0,0,1] neg_hi:[0,0,1]
	v_pk_fma_f32 v[2:3], v[2:3], v[38:39], v[8:9] op_sel:[0,0,1] op_sel_hi:[1,0,0]
	v_mov_b32_e32 v11, v3
	v_pk_add_f32 v[2:3], v[6:7], v[10:11]
	s_waitcnt vmcnt(1)
	v_mov_b32_e32 v6, v47
	v_pk_mul_f32 v[6:7], v[4:5], v[6:7] op_sel_hi:[1,0]
	s_waitcnt vmcnt(0)
	v_pk_fma_f32 v[8:9], v[4:5], v[46:47], v[6:7] op_sel:[0,0,1] op_sel_hi:[1,1,0] neg_lo:[0,0,1] neg_hi:[0,0,1]
	v_pk_fma_f32 v[4:5], v[4:5], v[46:47], v[6:7] op_sel:[0,0,1] op_sel_hi:[1,0,0]
	v_mov_b32_e32 v9, v5
	v_pk_add_f32 v[2:3], v[2:3], v[8:9]
	v_pk_add_f32 v[2:3], v[30:31], v[2:3] neg_lo:[0,1] neg_hi:[0,1]
	buffer_store_dword v3, off, s[0:3], 0 offset:220
	buffer_store_dword v2, off, s[0:3], 0 offset:216
	s_and_saveexec_b64 s[4:5], vcc
	s_cbranch_execz .LBB47_249
; %bb.248:
	buffer_load_dword v2, off, s[0:3], 0 offset:208
	buffer_load_dword v3, off, s[0:3], 0 offset:212
	v_mov_b32_e32 v4, 0
	v_accvgpr_read_b32 v1, a20
	buffer_store_dword v4, off, s[0:3], 0 offset:208
	buffer_store_dword v4, off, s[0:3], 0 offset:212
	s_waitcnt vmcnt(2)
	ds_write_b64 v1, v[2:3]
.LBB47_249:
	s_or_b64 exec, exec, s[4:5]
	s_waitcnt lgkmcnt(0)
	; wave barrier
	s_waitcnt lgkmcnt(0)
	buffer_load_dword v3, off, s[0:3], 0 offset:220
	buffer_load_dword v54, off, s[0:3], 0 offset:228
	;; [unrolled: 1-line block ×44, first 2 shown]
	v_mov_b32_e32 v2, 0
	ds_read2_b64 v[4:7], v2 offset0:75 offset1:76
	ds_read2_b64 v[8:11], v2 offset0:77 offset1:78
	;; [unrolled: 1-line block ×8, first 2 shown]
	v_cmp_lt_u32_e32 vcc, 25, v0
	s_waitcnt vmcnt(43) lgkmcnt(7)
	v_mul_f32_e32 v59, v4, v3
	v_mul_f32_e32 v3, v5, v3
	s_waitcnt vmcnt(42)
	v_mul_f32_e32 v178, v6, v54
	s_waitcnt vmcnt(41) lgkmcnt(6)
	v_mul_f32_e32 v179, v8, v56
	s_waitcnt vmcnt(40)
	v_mul_f32_e32 v180, v10, v58
	s_waitcnt vmcnt(39) lgkmcnt(5)
	;; [unrolled: 4-line block ×5, first 2 shown]
	v_mul_f32_e32 v187, v24, v66
	s_waitcnt vmcnt(32)
	v_mul_f32_e32 v55, v26, v67
	s_waitcnt vmcnt(30)
	v_fma_f32 v3, v4, v69, -v3
	v_mul_f32_e32 v4, v7, v54
	v_add_f32_e32 v3, 0, v3
	s_waitcnt vmcnt(29)
	v_fma_f32 v4, v6, v70, -v4
	v_add_f32_e32 v3, v3, v4
	v_mul_f32_e32 v4, v9, v56
	s_waitcnt vmcnt(28)
	v_fma_f32 v4, v8, v71, -v4
	v_add_f32_e32 v3, v3, v4
	v_mul_f32_e32 v4, v11, v58
	;; [unrolled: 4-line block ×4, first 2 shown]
	s_waitcnt vmcnt(25)
	v_fma_f32 v4, v14, v74, -v4
	v_fmac_f32_e32 v59, v5, v69
	v_add_f32_e32 v3, v3, v4
	v_mul_f32_e32 v4, v17, v62
	v_fmac_f32_e32 v178, v7, v70
	v_add_f32_e32 v5, 0, v59
	s_waitcnt vmcnt(24)
	v_fma_f32 v4, v16, v75, -v4
	v_fmac_f32_e32 v179, v9, v71
	v_add_f32_e32 v5, v5, v178
	v_add_f32_e32 v3, v3, v4
	v_mul_f32_e32 v4, v19, v63
	v_fmac_f32_e32 v180, v11, v72
	v_add_f32_e32 v5, v5, v179
	s_waitcnt vmcnt(23)
	v_fma_f32 v4, v18, v76, -v4
	v_fmac_f32_e32 v181, v13, v73
	v_add_f32_e32 v5, v5, v180
	;; [unrolled: 8-line block ×4, first 2 shown]
	v_add_f32_e32 v3, v3, v4
	v_mul_f32_e32 v4, v25, v66
	v_fmac_f32_e32 v186, v23, v174
	v_add_f32_e32 v5, v5, v185
	s_waitcnt vmcnt(20)
	v_fma_f32 v4, v24, v175, -v4
	s_waitcnt vmcnt(13)
	v_mov_b32_e32 v16, v41
	v_fmac_f32_e32 v187, v25, v175
	v_add_f32_e32 v5, v5, v186
	v_add_f32_e32 v58, v3, v4
	v_mul_f32_e32 v3, v27, v67
	s_waitcnt lgkmcnt(1)
	v_pk_mul_f32 v[16:17], v[30:31], v[16:17] op_sel_hi:[1,0]
	v_mul_f32_e32 v57, v28, v68
	v_fmac_f32_e32 v55, v27, v176
	v_add_f32_e32 v59, v5, v187
	v_fma_f32 v54, v26, v176, -v3
	v_mul_f32_e32 v3, v29, v68
	s_waitcnt vmcnt(12)
	v_pk_fma_f32 v[18:19], v[30:31], v[40:41], v[16:17] op_sel:[0,0,1] op_sel_hi:[1,1,0] neg_lo:[0,0,1] neg_hi:[0,0,1]
	v_pk_fma_f32 v[16:17], v[30:31], v[40:41], v[16:17] op_sel:[0,0,1] op_sel_hi:[1,0,0]
	v_fmac_f32_e32 v57, v29, v177
	v_fma_f32 v56, v28, v177, -v3
	v_pk_add_f32 v[14:15], v[58:59], v[54:55]
	v_mov_b32_e32 v16, v39
	v_pk_add_f32 v[14:15], v[14:15], v[56:57]
	v_mov_b32_e32 v19, v17
	s_waitcnt lgkmcnt(0)
	v_pk_mul_f32 v[16:17], v[32:33], v[16:17] op_sel_hi:[1,0]
	v_pk_add_f32 v[14:15], v[14:15], v[18:19]
	v_pk_fma_f32 v[18:19], v[32:33], v[38:39], v[16:17] op_sel:[0,0,1] op_sel_hi:[1,1,0] neg_lo:[0,0,1] neg_hi:[0,0,1]
	v_pk_fma_f32 v[16:17], v[32:33], v[38:39], v[16:17] op_sel:[0,0,1] op_sel_hi:[1,0,0]
	s_waitcnt vmcnt(5)
	v_mov_b32_e32 v16, v49
	ds_read2_b64 v[4:7], v2 offset0:91 offset1:92
	ds_read2_b64 v[8:11], v2 offset0:93 offset1:94
	ds_read_b64 v[12:13], v2 offset:760
	v_mov_b32_e32 v19, v17
	v_pk_mul_f32 v[16:17], v[34:35], v[16:17] op_sel_hi:[1,0]
	v_pk_add_f32 v[14:15], v[14:15], v[18:19]
	s_waitcnt vmcnt(4)
	v_pk_fma_f32 v[18:19], v[34:35], v[48:49], v[16:17] op_sel:[0,0,1] op_sel_hi:[1,1,0] neg_lo:[0,0,1] neg_hi:[0,0,1]
	v_pk_fma_f32 v[16:17], v[34:35], v[48:49], v[16:17] op_sel:[0,0,1] op_sel_hi:[1,0,0]
	v_mov_b32_e32 v16, v47
	v_mov_b32_e32 v19, v17
	s_waitcnt lgkmcnt(2)
	v_pk_mul_f32 v[16:17], v[4:5], v[16:17] op_sel_hi:[1,0]
	v_pk_add_f32 v[14:15], v[14:15], v[18:19]
	v_pk_fma_f32 v[18:19], v[4:5], v[46:47], v[16:17] op_sel:[0,0,1] op_sel_hi:[1,1,0] neg_lo:[0,0,1] neg_hi:[0,0,1]
	v_pk_fma_f32 v[4:5], v[4:5], v[46:47], v[16:17] op_sel:[0,0,1] op_sel_hi:[1,0,0]
	v_mov_b32_e32 v19, v5
	v_pk_add_f32 v[4:5], v[14:15], v[18:19]
	v_mov_b32_e32 v14, v45
	v_pk_mul_f32 v[14:15], v[6:7], v[14:15] op_sel_hi:[1,0]
	v_pk_fma_f32 v[16:17], v[6:7], v[44:45], v[14:15] op_sel:[0,0,1] op_sel_hi:[1,1,0] neg_lo:[0,0,1] neg_hi:[0,0,1]
	v_pk_fma_f32 v[6:7], v[6:7], v[44:45], v[14:15] op_sel:[0,0,1] op_sel_hi:[1,0,0]
	v_mov_b32_e32 v6, v43
	v_mov_b32_e32 v17, v7
	s_waitcnt lgkmcnt(1)
	v_pk_mul_f32 v[6:7], v[8:9], v[6:7] op_sel_hi:[1,0]
	v_pk_fma_f32 v[14:15], v[8:9], v[42:43], v[6:7] op_sel:[0,0,1] op_sel_hi:[1,1,0] neg_lo:[0,0,1] neg_hi:[0,0,1]
	v_pk_fma_f32 v[6:7], v[8:9], v[42:43], v[6:7] op_sel:[0,0,1] op_sel_hi:[1,0,0]
	s_waitcnt vmcnt(1)
	v_mov_b32_e32 v6, v53
	v_mov_b32_e32 v15, v7
	v_pk_mul_f32 v[6:7], v[10:11], v[6:7] op_sel_hi:[1,0]
	s_waitcnt vmcnt(0)
	v_pk_fma_f32 v[8:9], v[10:11], v[52:53], v[6:7] op_sel:[0,0,1] op_sel_hi:[1,1,0] neg_lo:[0,0,1] neg_hi:[0,0,1]
	v_pk_fma_f32 v[6:7], v[10:11], v[52:53], v[6:7] op_sel:[0,0,1] op_sel_hi:[1,0,0]
	v_pk_add_f32 v[4:5], v[4:5], v[16:17]
	v_mov_b32_e32 v6, v51
	v_pk_add_f32 v[4:5], v[4:5], v[14:15]
	v_mov_b32_e32 v9, v7
	s_waitcnt lgkmcnt(0)
	v_pk_mul_f32 v[6:7], v[12:13], v[6:7] op_sel_hi:[1,0]
	v_pk_add_f32 v[4:5], v[4:5], v[8:9]
	v_pk_fma_f32 v[8:9], v[12:13], v[50:51], v[6:7] op_sel:[0,0,1] op_sel_hi:[1,1,0] neg_lo:[0,0,1] neg_hi:[0,0,1]
	v_pk_fma_f32 v[6:7], v[12:13], v[50:51], v[6:7] op_sel:[0,0,1] op_sel_hi:[1,0,0]
	v_mov_b32_e32 v9, v7
	v_pk_add_f32 v[4:5], v[4:5], v[8:9]
	v_pk_add_f32 v[4:5], v[36:37], v[4:5] neg_lo:[0,1] neg_hi:[0,1]
	buffer_store_dword v5, off, s[0:3], 0 offset:212
	buffer_store_dword v4, off, s[0:3], 0 offset:208
	s_and_saveexec_b64 s[4:5], vcc
	s_cbranch_execz .LBB47_251
; %bb.250:
	buffer_load_dword v4, off, s[0:3], 0 offset:200
	buffer_load_dword v5, off, s[0:3], 0 offset:204
	v_accvgpr_read_b32 v1, a20
	buffer_store_dword v2, off, s[0:3], 0 offset:200
	buffer_store_dword v2, off, s[0:3], 0 offset:204
	s_waitcnt vmcnt(2)
	ds_write_b64 v1, v[4:5]
.LBB47_251:
	s_or_b64 exec, exec, s[4:5]
	s_waitcnt lgkmcnt(0)
	; wave barrier
	s_waitcnt lgkmcnt(0)
	buffer_load_dword v3, off, s[0:3], 0 offset:212
	buffer_load_dword v54, off, s[0:3], 0 offset:220
	;; [unrolled: 1-line block ×30, first 2 shown]
	ds_read_b128 v[4:7], v2 offset:592
	ds_read_b128 v[8:11], v2 offset:608
	;; [unrolled: 1-line block ×6, first 2 shown]
	buffer_load_dword v39, off, s[0:3], 0 offset:324
	buffer_load_dword v38, off, s[0:3], 0 offset:320
	ds_read_b128 v[28:31], v2 offset:688
	ds_read_b128 v[32:35], v2 offset:704
	buffer_load_dword v41, off, s[0:3], 0 offset:356
	buffer_load_dword v40, off, s[0:3], 0 offset:352
	;; [unrolled: 1-line block ×14, first 2 shown]
	v_cmp_lt_u32_e32 vcc, 24, v0
	s_waitcnt vmcnt(45) lgkmcnt(7)
	v_mul_f32_e32 v57, v4, v3
	v_mul_f32_e32 v3, v5, v3
	s_waitcnt vmcnt(44)
	v_mul_f32_e32 v59, v6, v54
	s_waitcnt vmcnt(43) lgkmcnt(6)
	v_mul_f32_e32 v180, v8, v56
	s_waitcnt vmcnt(42)
	v_mul_f32_e32 v181, v10, v58
	s_waitcnt vmcnt(41) lgkmcnt(5)
	;; [unrolled: 4-line block ×5, first 2 shown]
	v_mul_f32_e32 v188, v24, v66
	s_waitcnt vmcnt(34)
	v_mul_f32_e32 v189, v26, v67
	s_waitcnt vmcnt(32)
	v_fma_f32 v3, v4, v69, -v3
	v_mul_f32_e32 v4, v7, v54
	v_add_f32_e32 v3, 0, v3
	s_waitcnt vmcnt(31)
	v_fma_f32 v4, v6, v70, -v4
	v_add_f32_e32 v3, v3, v4
	v_mul_f32_e32 v4, v9, v56
	s_waitcnt vmcnt(30)
	v_fma_f32 v4, v8, v71, -v4
	v_add_f32_e32 v3, v3, v4
	v_mul_f32_e32 v4, v11, v58
	s_waitcnt vmcnt(29)
	v_fma_f32 v4, v10, v72, -v4
	v_add_f32_e32 v3, v3, v4
	v_mul_f32_e32 v4, v13, v60
	s_waitcnt vmcnt(28)
	v_fma_f32 v4, v12, v73, -v4
	v_add_f32_e32 v3, v3, v4
	v_mul_f32_e32 v4, v15, v61
	s_waitcnt vmcnt(27)
	v_fma_f32 v4, v14, v74, -v4
	v_add_f32_e32 v3, v3, v4
	v_mul_f32_e32 v4, v17, v62
	v_fmac_f32_e32 v57, v5, v69
	s_waitcnt vmcnt(26)
	v_fma_f32 v4, v16, v75, -v4
	v_fmac_f32_e32 v59, v7, v70
	v_add_f32_e32 v57, 0, v57
	v_add_f32_e32 v3, v3, v4
	v_mul_f32_e32 v4, v19, v63
	v_fmac_f32_e32 v180, v9, v71
	v_add_f32_e32 v57, v57, v59
	s_waitcnt vmcnt(25)
	v_fma_f32 v4, v18, v76, -v4
	v_fmac_f32_e32 v181, v11, v72
	v_add_f32_e32 v57, v57, v180
	v_add_f32_e32 v3, v3, v4
	v_mul_f32_e32 v4, v21, v64
	v_fmac_f32_e32 v182, v13, v73
	v_add_f32_e32 v57, v57, v181
	;; [unrolled: 8-line block ×5, first 2 shown]
	s_waitcnt vmcnt(21)
	v_fma_f32 v4, v26, v176, -v4
	s_waitcnt vmcnt(15)
	v_mov_b32_e32 v16, v39
	s_waitcnt lgkmcnt(1)
	v_mul_f32_e32 v55, v28, v68
	v_fmac_f32_e32 v189, v27, v176
	v_add_f32_e32 v57, v57, v188
	v_add_f32_e32 v56, v3, v4
	v_mul_f32_e32 v3, v29, v68
	s_waitcnt lgkmcnt(0)
	v_pk_mul_f32 v[16:17], v[32:33], v[16:17] op_sel_hi:[1,0]
	v_fmac_f32_e32 v55, v29, v177
	v_add_f32_e32 v57, v57, v189
	v_mul_f32_e32 v59, v30, v178
	v_fma_f32 v54, v28, v177, -v3
	v_mul_f32_e32 v3, v31, v178
	s_waitcnt vmcnt(14)
	v_pk_fma_f32 v[18:19], v[32:33], v[38:39], v[16:17] op_sel:[0,0,1] op_sel_hi:[1,1,0] neg_lo:[0,0,1] neg_hi:[0,0,1]
	v_pk_fma_f32 v[16:17], v[32:33], v[38:39], v[16:17] op_sel:[0,0,1] op_sel_hi:[1,0,0]
	v_fmac_f32_e32 v59, v31, v179
	v_fma_f32 v58, v30, v179, -v3
	ds_read_b128 v[4:7], v2 offset:720
	ds_read_b128 v[8:11], v2 offset:736
	;; [unrolled: 1-line block ×3, first 2 shown]
	v_pk_add_f32 v[2:3], v[56:57], v[54:55]
	s_waitcnt vmcnt(7)
	v_mov_b32_e32 v16, v47
	v_pk_add_f32 v[2:3], v[2:3], v[58:59]
	v_mov_b32_e32 v19, v17
	v_pk_mul_f32 v[16:17], v[34:35], v[16:17] op_sel_hi:[1,0]
	v_pk_add_f32 v[2:3], v[2:3], v[18:19]
	s_waitcnt vmcnt(6)
	v_pk_fma_f32 v[18:19], v[34:35], v[46:47], v[16:17] op_sel:[0,0,1] op_sel_hi:[1,1,0] neg_lo:[0,0,1] neg_hi:[0,0,1]
	v_pk_fma_f32 v[16:17], v[34:35], v[46:47], v[16:17] op_sel:[0,0,1] op_sel_hi:[1,0,0]
	v_mov_b32_e32 v16, v45
	v_mov_b32_e32 v19, v17
	s_waitcnt lgkmcnt(2)
	v_pk_mul_f32 v[16:17], v[4:5], v[16:17] op_sel_hi:[1,0]
	v_pk_add_f32 v[2:3], v[2:3], v[18:19]
	v_pk_fma_f32 v[18:19], v[4:5], v[44:45], v[16:17] op_sel:[0,0,1] op_sel_hi:[1,1,0] neg_lo:[0,0,1] neg_hi:[0,0,1]
	v_pk_fma_f32 v[4:5], v[4:5], v[44:45], v[16:17] op_sel:[0,0,1] op_sel_hi:[1,0,0]
	v_mov_b32_e32 v4, v43
	v_mov_b32_e32 v19, v5
	v_pk_mul_f32 v[4:5], v[6:7], v[4:5] op_sel_hi:[1,0]
	v_pk_fma_f32 v[16:17], v[6:7], v[42:43], v[4:5] op_sel:[0,0,1] op_sel_hi:[1,1,0] neg_lo:[0,0,1] neg_hi:[0,0,1]
	v_pk_fma_f32 v[4:5], v[6:7], v[42:43], v[4:5] op_sel:[0,0,1] op_sel_hi:[1,0,0]
	v_mov_b32_e32 v4, v41
	v_mov_b32_e32 v17, v5
	s_waitcnt lgkmcnt(1)
	v_pk_mul_f32 v[4:5], v[8:9], v[4:5] op_sel_hi:[1,0]
	v_pk_fma_f32 v[6:7], v[8:9], v[40:41], v[4:5] op_sel:[0,0,1] op_sel_hi:[1,1,0] neg_lo:[0,0,1] neg_hi:[0,0,1]
	v_pk_fma_f32 v[4:5], v[8:9], v[40:41], v[4:5] op_sel:[0,0,1] op_sel_hi:[1,0,0]
	v_pk_add_f32 v[2:3], v[2:3], v[18:19]
	s_waitcnt vmcnt(1)
	v_mov_b32_e32 v4, v53
	v_pk_add_f32 v[2:3], v[2:3], v[16:17]
	v_mov_b32_e32 v7, v5
	v_pk_mul_f32 v[4:5], v[10:11], v[4:5] op_sel_hi:[1,0]
	v_pk_add_f32 v[2:3], v[2:3], v[6:7]
	s_waitcnt vmcnt(0)
	v_pk_fma_f32 v[6:7], v[10:11], v[52:53], v[4:5] op_sel:[0,0,1] op_sel_hi:[1,1,0] neg_lo:[0,0,1] neg_hi:[0,0,1]
	v_pk_fma_f32 v[4:5], v[10:11], v[52:53], v[4:5] op_sel:[0,0,1] op_sel_hi:[1,0,0]
	v_mov_b32_e32 v4, v51
	v_mov_b32_e32 v7, v5
	s_waitcnt lgkmcnt(0)
	v_pk_mul_f32 v[4:5], v[12:13], v[4:5] op_sel_hi:[1,0]
	v_pk_add_f32 v[2:3], v[2:3], v[6:7]
	v_pk_fma_f32 v[6:7], v[12:13], v[50:51], v[4:5] op_sel:[0,0,1] op_sel_hi:[1,1,0] neg_lo:[0,0,1] neg_hi:[0,0,1]
	v_pk_fma_f32 v[4:5], v[12:13], v[50:51], v[4:5] op_sel:[0,0,1] op_sel_hi:[1,0,0]
	v_mov_b32_e32 v4, v49
	v_mov_b32_e32 v7, v5
	v_pk_mul_f32 v[4:5], v[14:15], v[4:5] op_sel_hi:[1,0]
	v_pk_add_f32 v[2:3], v[2:3], v[6:7]
	v_pk_fma_f32 v[6:7], v[14:15], v[48:49], v[4:5] op_sel:[0,0,1] op_sel_hi:[1,1,0] neg_lo:[0,0,1] neg_hi:[0,0,1]
	v_pk_fma_f32 v[4:5], v[14:15], v[48:49], v[4:5] op_sel:[0,0,1] op_sel_hi:[1,0,0]
	v_mov_b32_e32 v7, v5
	v_pk_add_f32 v[2:3], v[2:3], v[6:7]
	v_pk_add_f32 v[2:3], v[36:37], v[2:3] neg_lo:[0,1] neg_hi:[0,1]
	buffer_store_dword v3, off, s[0:3], 0 offset:204
	buffer_store_dword v2, off, s[0:3], 0 offset:200
	s_and_saveexec_b64 s[4:5], vcc
	s_cbranch_execz .LBB47_253
; %bb.252:
	buffer_load_dword v2, off, s[0:3], 0 offset:192
	buffer_load_dword v3, off, s[0:3], 0 offset:196
	v_mov_b32_e32 v4, 0
	v_accvgpr_read_b32 v1, a20
	buffer_store_dword v4, off, s[0:3], 0 offset:192
	buffer_store_dword v4, off, s[0:3], 0 offset:196
	s_waitcnt vmcnt(2)
	ds_write_b64 v1, v[2:3]
.LBB47_253:
	s_or_b64 exec, exec, s[4:5]
	s_waitcnt lgkmcnt(0)
	; wave barrier
	s_waitcnt lgkmcnt(0)
	buffer_load_dword v3, off, s[0:3], 0 offset:204
	buffer_load_dword v52, off, s[0:3], 0 offset:212
	;; [unrolled: 1-line block ×32, first 2 shown]
	v_mov_b32_e32 v2, 0
	buffer_load_dword v39, off, s[0:3], 0 offset:348
	buffer_load_dword v38, off, s[0:3], 0 offset:344
	;; [unrolled: 1-line block ×13, first 2 shown]
	ds_read2_b64 v[4:7], v2 offset0:73 offset1:74
	ds_read2_b64 v[8:11], v2 offset0:75 offset1:76
	;; [unrolled: 1-line block ×8, first 2 shown]
	v_cmp_lt_u32_e32 vcc, 23, v0
	s_waitcnt vmcnt(44) lgkmcnt(7)
	v_mul_f32_e32 v46, v4, v3
	s_waitcnt vmcnt(43)
	v_mul_f32_e32 v53, v6, v52
	s_waitcnt vmcnt(42) lgkmcnt(6)
	v_mul_f32_e32 v54, v8, v56
	s_waitcnt vmcnt(41)
	v_mul_f32_e32 v55, v10, v58
	;; [unrolled: 4-line block ×6, first 2 shown]
	s_waitcnt vmcnt(32) lgkmcnt(1)
	v_mul_f32_e32 v188, v28, v68
	s_waitcnt vmcnt(31)
	v_fmac_f32_e32 v46, v5, v69
	s_waitcnt vmcnt(30)
	v_fmac_f32_e32 v53, v7, v70
	v_add_f32_e32 v46, 0, v46
	s_waitcnt vmcnt(29)
	v_fmac_f32_e32 v54, v9, v71
	v_add_f32_e32 v46, v46, v53
	;; [unrolled: 3-line block ×12, first 2 shown]
	v_add_f32_e32 v53, v46, v188
	buffer_load_dword v55, off, s[0:3], 0 offset:364
	buffer_load_dword v54, off, s[0:3], 0 offset:360
	;; [unrolled: 1-line block ×3, first 2 shown]
	v_mul_f32_e32 v3, v5, v3
	v_fma_f32 v3, v4, v69, -v3
	v_mul_f32_e32 v4, v7, v52
	v_add_f32_e32 v3, 0, v3
	v_fma_f32 v4, v6, v70, -v4
	v_add_f32_e32 v3, v3, v4
	v_mul_f32_e32 v4, v9, v56
	v_fma_f32 v4, v8, v71, -v4
	v_add_f32_e32 v3, v3, v4
	v_mul_f32_e32 v4, v11, v58
	;; [unrolled: 3-line block ×11, first 2 shown]
	v_fma_f32 v4, v28, v177, -v4
	s_waitcnt vmcnt(9)
	v_mov_b32_e32 v20, v45
	v_mul_f32_e32 v57, v30, v178
	v_add_f32_e32 v52, v3, v4
	v_mul_f32_e32 v3, v31, v178
	s_waitcnt lgkmcnt(0)
	v_pk_mul_f32 v[20:21], v[34:35], v[20:21] op_sel_hi:[1,0]
	v_fmac_f32_e32 v57, v31, v179
	v_mul_f32_e32 v59, v32, v180
	v_fma_f32 v56, v30, v179, -v3
	v_mul_f32_e32 v3, v33, v180
	ds_read2_b64 v[4:7], v2 offset0:89 offset1:90
	ds_read2_b64 v[8:11], v2 offset0:91 offset1:92
	;; [unrolled: 1-line block ×3, first 2 shown]
	ds_read_b64 v[16:17], v2 offset:760
	s_waitcnt vmcnt(8)
	v_pk_fma_f32 v[22:23], v[34:35], v[44:45], v[20:21] op_sel:[0,0,1] op_sel_hi:[1,1,0] neg_lo:[0,0,1] neg_hi:[0,0,1]
	v_pk_fma_f32 v[20:21], v[34:35], v[44:45], v[20:21] op_sel:[0,0,1] op_sel_hi:[1,0,0]
	v_fmac_f32_e32 v59, v33, v181
	v_fma_f32 v58, v32, v181, -v3
	v_pk_add_f32 v[18:19], v[52:53], v[56:57]
	v_mov_b32_e32 v20, v43
	v_pk_add_f32 v[18:19], v[18:19], v[58:59]
	v_mov_b32_e32 v23, v21
	s_waitcnt lgkmcnt(3)
	v_pk_mul_f32 v[20:21], v[4:5], v[20:21] op_sel_hi:[1,0]
	v_pk_add_f32 v[18:19], v[18:19], v[22:23]
	v_pk_fma_f32 v[22:23], v[4:5], v[42:43], v[20:21] op_sel:[0,0,1] op_sel_hi:[1,1,0] neg_lo:[0,0,1] neg_hi:[0,0,1]
	v_pk_fma_f32 v[4:5], v[4:5], v[42:43], v[20:21] op_sel:[0,0,1] op_sel_hi:[1,0,0]
	v_mov_b32_e32 v23, v5
	v_pk_add_f32 v[4:5], v[18:19], v[22:23]
	v_mov_b32_e32 v18, v41
	v_pk_mul_f32 v[18:19], v[6:7], v[18:19] op_sel_hi:[1,0]
	v_pk_fma_f32 v[20:21], v[6:7], v[40:41], v[18:19] op_sel:[0,0,1] op_sel_hi:[1,1,0] neg_lo:[0,0,1] neg_hi:[0,0,1]
	v_pk_fma_f32 v[6:7], v[6:7], v[40:41], v[18:19] op_sel:[0,0,1] op_sel_hi:[1,0,0]
	v_mov_b32_e32 v6, v39
	v_mov_b32_e32 v21, v7
	s_waitcnt lgkmcnt(2)
	v_pk_mul_f32 v[6:7], v[8:9], v[6:7] op_sel_hi:[1,0]
	v_pk_fma_f32 v[18:19], v[8:9], v[38:39], v[6:7] op_sel:[0,0,1] op_sel_hi:[1,1,0] neg_lo:[0,0,1] neg_hi:[0,0,1]
	v_pk_fma_f32 v[6:7], v[8:9], v[38:39], v[6:7] op_sel:[0,0,1] op_sel_hi:[1,0,0]
	s_waitcnt vmcnt(7)
	v_mov_b32_e32 v6, v47
	v_mov_b32_e32 v19, v7
	v_pk_mul_f32 v[6:7], v[10:11], v[6:7] op_sel_hi:[1,0]
	v_pk_add_f32 v[4:5], v[4:5], v[20:21]
	v_pk_add_f32 v[4:5], v[4:5], v[18:19]
	s_waitcnt vmcnt(0)
	v_pk_fma_f32 v[8:9], v[10:11], v[46:47], v[6:7] op_sel:[0,0,1] op_sel_hi:[1,1,0] neg_lo:[0,0,1] neg_hi:[0,0,1]
	v_pk_fma_f32 v[6:7], v[10:11], v[46:47], v[6:7] op_sel:[0,0,1] op_sel_hi:[1,0,0]
	v_mov_b32_e32 v6, v55
	v_mov_b32_e32 v9, v7
	s_waitcnt lgkmcnt(1)
	v_pk_mul_f32 v[6:7], v[12:13], v[6:7] op_sel_hi:[1,0]
	v_pk_add_f32 v[4:5], v[4:5], v[8:9]
	v_pk_fma_f32 v[8:9], v[12:13], v[54:55], v[6:7] op_sel:[0,0,1] op_sel_hi:[1,1,0] neg_lo:[0,0,1] neg_hi:[0,0,1]
	v_pk_fma_f32 v[6:7], v[12:13], v[54:55], v[6:7] op_sel:[0,0,1] op_sel_hi:[1,0,0]
	v_mov_b32_e32 v6, v51
	v_mov_b32_e32 v9, v7
	v_pk_mul_f32 v[6:7], v[14:15], v[6:7] op_sel_hi:[1,0]
	v_pk_add_f32 v[4:5], v[4:5], v[8:9]
	v_pk_fma_f32 v[8:9], v[14:15], v[50:51], v[6:7] op_sel:[0,0,1] op_sel_hi:[1,1,0] neg_lo:[0,0,1] neg_hi:[0,0,1]
	v_pk_fma_f32 v[6:7], v[14:15], v[50:51], v[6:7] op_sel:[0,0,1] op_sel_hi:[1,0,0]
	v_mov_b32_e32 v6, v49
	v_mov_b32_e32 v9, v7
	s_waitcnt lgkmcnt(0)
	v_pk_mul_f32 v[6:7], v[16:17], v[6:7] op_sel_hi:[1,0]
	v_pk_add_f32 v[4:5], v[4:5], v[8:9]
	v_pk_fma_f32 v[8:9], v[16:17], v[48:49], v[6:7] op_sel:[0,0,1] op_sel_hi:[1,1,0] neg_lo:[0,0,1] neg_hi:[0,0,1]
	v_pk_fma_f32 v[6:7], v[16:17], v[48:49], v[6:7] op_sel:[0,0,1] op_sel_hi:[1,0,0]
	v_mov_b32_e32 v9, v7
	v_pk_add_f32 v[4:5], v[4:5], v[8:9]
	v_pk_add_f32 v[4:5], v[36:37], v[4:5] neg_lo:[0,1] neg_hi:[0,1]
	buffer_store_dword v5, off, s[0:3], 0 offset:196
	buffer_store_dword v4, off, s[0:3], 0 offset:192
	s_and_saveexec_b64 s[4:5], vcc
	s_cbranch_execz .LBB47_255
; %bb.254:
	buffer_load_dword v4, off, s[0:3], 0 offset:184
	buffer_load_dword v5, off, s[0:3], 0 offset:188
	v_accvgpr_read_b32 v1, a20
	buffer_store_dword v2, off, s[0:3], 0 offset:184
	buffer_store_dword v2, off, s[0:3], 0 offset:188
	s_waitcnt vmcnt(2)
	ds_write_b64 v1, v[4:5]
.LBB47_255:
	s_or_b64 exec, exec, s[4:5]
	s_waitcnt lgkmcnt(0)
	; wave barrier
	s_waitcnt lgkmcnt(0)
	buffer_load_dword v3, off, s[0:3], 0 offset:196
	buffer_load_dword v52, off, s[0:3], 0 offset:204
	;; [unrolled: 1-line block ×34, first 2 shown]
	ds_read_b128 v[4:7], v2 offset:576
	ds_read_b128 v[8:11], v2 offset:592
	;; [unrolled: 1-line block ×8, first 2 shown]
	buffer_load_dword v39, off, s[0:3], 0 offset:340
	buffer_load_dword v38, off, s[0:3], 0 offset:336
	;; [unrolled: 1-line block ×9, first 2 shown]
	v_cmp_lt_u32_e32 vcc, 22, v0
	s_waitcnt vmcnt(42) lgkmcnt(7)
	v_mul_f32_e32 v44, v4, v3
	s_waitcnt vmcnt(41)
	v_mul_f32_e32 v48, v6, v52
	s_waitcnt vmcnt(40) lgkmcnt(6)
	v_mul_f32_e32 v49, v8, v54
	s_waitcnt vmcnt(39)
	v_mul_f32_e32 v50, v10, v56
	;; [unrolled: 4-line block ×6, first 2 shown]
	s_waitcnt vmcnt(30) lgkmcnt(1)
	v_mul_f32_e32 v186, v28, v68
	v_mul_f32_e32 v3, v5, v3
	s_waitcnt vmcnt(28)
	v_fmac_f32_e32 v44, v5, v70
	s_waitcnt vmcnt(27)
	v_fmac_f32_e32 v48, v7, v71
	v_add_f32_e32 v44, 0, v44
	s_waitcnt vmcnt(26)
	v_fmac_f32_e32 v49, v9, v72
	v_add_f32_e32 v44, v44, v48
	;; [unrolled: 3-line block ×12, first 2 shown]
	v_add_f32_e32 v53, v44, v186
	buffer_load_dword v49, off, s[0:3], 0 offset:364
	buffer_load_dword v48, off, s[0:3], 0 offset:360
	;; [unrolled: 1-line block ×7, first 2 shown]
	v_fma_f32 v3, v4, v70, -v3
	v_mul_f32_e32 v4, v7, v52
	v_add_f32_e32 v3, 0, v3
	v_fma_f32 v4, v6, v71, -v4
	v_add_f32_e32 v3, v3, v4
	v_mul_f32_e32 v4, v9, v54
	v_fma_f32 v4, v8, v72, -v4
	v_add_f32_e32 v3, v3, v4
	v_mul_f32_e32 v4, v11, v56
	;; [unrolled: 3-line block ×12, first 2 shown]
	s_waitcnt vmcnt(22)
	v_fma_f32 v4, v30, v179, -v4
	v_add_f32_e32 v52, v3, v4
	ds_read_b128 v[4:7], v2 offset:704
	ds_read_b128 v[8:11], v2 offset:720
	;; [unrolled: 1-line block ×4, first 2 shown]
	s_waitcnt vmcnt(11)
	v_mov_b32_e32 v20, v43
	s_waitcnt lgkmcnt(3)
	v_pk_mul_f32 v[20:21], v[4:5], v[20:21] op_sel_hi:[1,0]
	s_waitcnt vmcnt(10)
	v_pk_fma_f32 v[22:23], v[4:5], v[42:43], v[20:21] op_sel:[0,0,1] op_sel_hi:[1,1,0] neg_lo:[0,0,1] neg_hi:[0,0,1]
	v_pk_fma_f32 v[4:5], v[4:5], v[42:43], v[20:21] op_sel:[0,0,1] op_sel_hi:[1,0,0]
	v_mov_b32_e32 v4, v41
	v_mul_f32_e32 v187, v30, v69
	v_mov_b32_e32 v23, v5
	v_pk_mul_f32 v[4:5], v[6:7], v[4:5] op_sel_hi:[1,0]
	v_fmac_f32_e32 v187, v31, v179
	v_mul_f32_e32 v55, v32, v180
	v_mul_f32_e32 v3, v33, v180
	v_pk_fma_f32 v[20:21], v[6:7], v[40:41], v[4:5] op_sel:[0,0,1] op_sel_hi:[1,1,0] neg_lo:[0,0,1] neg_hi:[0,0,1]
	v_pk_fma_f32 v[4:5], v[6:7], v[40:41], v[4:5] op_sel:[0,0,1] op_sel_hi:[1,0,0]
	v_add_f32_e32 v53, v53, v187
	v_fmac_f32_e32 v55, v33, v181
	v_mul_f32_e32 v57, v34, v182
	v_fma_f32 v54, v32, v181, -v3
	v_mul_f32_e32 v3, v35, v182
	v_mov_b32_e32 v4, v39
	v_fmac_f32_e32 v57, v35, v183
	v_fma_f32 v56, v34, v183, -v3
	v_pk_add_f32 v[2:3], v[52:53], v[54:55]
	v_mov_b32_e32 v21, v5
	s_waitcnt lgkmcnt(2)
	v_pk_mul_f32 v[4:5], v[8:9], v[4:5] op_sel_hi:[1,0]
	v_pk_add_f32 v[2:3], v[2:3], v[56:57]
	v_pk_fma_f32 v[6:7], v[8:9], v[38:39], v[4:5] op_sel:[0,0,1] op_sel_hi:[1,1,0] neg_lo:[0,0,1] neg_hi:[0,0,1]
	v_pk_fma_f32 v[4:5], v[8:9], v[38:39], v[4:5] op_sel:[0,0,1] op_sel_hi:[1,0,0]
	v_pk_add_f32 v[2:3], v[2:3], v[22:23]
	s_waitcnt vmcnt(9)
	v_mov_b32_e32 v4, v45
	v_pk_add_f32 v[2:3], v[2:3], v[20:21]
	v_mov_b32_e32 v7, v5
	v_pk_mul_f32 v[4:5], v[10:11], v[4:5] op_sel_hi:[1,0]
	v_pk_add_f32 v[2:3], v[2:3], v[6:7]
	s_waitcnt vmcnt(2)
	v_pk_fma_f32 v[6:7], v[10:11], v[44:45], v[4:5] op_sel:[0,0,1] op_sel_hi:[1,1,0] neg_lo:[0,0,1] neg_hi:[0,0,1]
	v_pk_fma_f32 v[4:5], v[10:11], v[44:45], v[4:5] op_sel:[0,0,1] op_sel_hi:[1,0,0]
	v_mov_b32_e32 v4, v51
	v_mov_b32_e32 v7, v5
	s_waitcnt lgkmcnt(1)
	v_pk_mul_f32 v[4:5], v[12:13], v[4:5] op_sel_hi:[1,0]
	v_pk_add_f32 v[2:3], v[2:3], v[6:7]
	v_pk_fma_f32 v[6:7], v[12:13], v[50:51], v[4:5] op_sel:[0,0,1] op_sel_hi:[1,1,0] neg_lo:[0,0,1] neg_hi:[0,0,1]
	v_pk_fma_f32 v[4:5], v[12:13], v[50:51], v[4:5] op_sel:[0,0,1] op_sel_hi:[1,0,0]
	v_mov_b32_e32 v4, v49
	v_mov_b32_e32 v7, v5
	v_pk_mul_f32 v[4:5], v[14:15], v[4:5] op_sel_hi:[1,0]
	v_pk_add_f32 v[2:3], v[2:3], v[6:7]
	v_pk_fma_f32 v[6:7], v[14:15], v[48:49], v[4:5] op_sel:[0,0,1] op_sel_hi:[1,1,0] neg_lo:[0,0,1] neg_hi:[0,0,1]
	v_pk_fma_f32 v[4:5], v[14:15], v[48:49], v[4:5] op_sel:[0,0,1] op_sel_hi:[1,0,0]
	v_mov_b32_e32 v4, v47
	v_mov_b32_e32 v7, v5
	s_waitcnt lgkmcnt(0)
	v_pk_mul_f32 v[4:5], v[16:17], v[4:5] op_sel_hi:[1,0]
	v_pk_add_f32 v[2:3], v[2:3], v[6:7]
	v_pk_fma_f32 v[6:7], v[16:17], v[46:47], v[4:5] op_sel:[0,0,1] op_sel_hi:[1,1,0] neg_lo:[0,0,1] neg_hi:[0,0,1]
	v_pk_fma_f32 v[4:5], v[16:17], v[46:47], v[4:5] op_sel:[0,0,1] op_sel_hi:[1,0,0]
	s_waitcnt vmcnt(1)
	v_mov_b32_e32 v4, v59
	v_mov_b32_e32 v7, v5
	v_pk_mul_f32 v[4:5], v[18:19], v[4:5] op_sel_hi:[1,0]
	v_pk_add_f32 v[2:3], v[2:3], v[6:7]
	s_waitcnt vmcnt(0)
	v_pk_fma_f32 v[6:7], v[18:19], v[58:59], v[4:5] op_sel:[0,0,1] op_sel_hi:[1,1,0] neg_lo:[0,0,1] neg_hi:[0,0,1]
	v_pk_fma_f32 v[4:5], v[18:19], v[58:59], v[4:5] op_sel:[0,0,1] op_sel_hi:[1,0,0]
	v_mov_b32_e32 v7, v5
	v_pk_add_f32 v[2:3], v[2:3], v[6:7]
	v_pk_add_f32 v[2:3], v[36:37], v[2:3] neg_lo:[0,1] neg_hi:[0,1]
	buffer_store_dword v3, off, s[0:3], 0 offset:188
	buffer_store_dword v2, off, s[0:3], 0 offset:184
	s_and_saveexec_b64 s[4:5], vcc
	s_cbranch_execz .LBB47_257
; %bb.256:
	buffer_load_dword v2, off, s[0:3], 0 offset:176
	buffer_load_dword v3, off, s[0:3], 0 offset:180
	v_mov_b32_e32 v4, 0
	v_accvgpr_read_b32 v1, a20
	buffer_store_dword v4, off, s[0:3], 0 offset:176
	buffer_store_dword v4, off, s[0:3], 0 offset:180
	s_waitcnt vmcnt(2)
	ds_write_b64 v1, v[2:3]
.LBB47_257:
	s_or_b64 exec, exec, s[4:5]
	s_waitcnt lgkmcnt(0)
	; wave barrier
	s_waitcnt lgkmcnt(0)
	buffer_load_dword v5, off, s[0:3], 0 offset:188
	buffer_load_dword v58, off, s[0:3], 0 offset:196
	;; [unrolled: 1-line block ×36, first 2 shown]
	v_mov_b32_e32 v4, 0
	buffer_load_dword v47, off, s[0:3], 0 offset:332
	buffer_load_dword v46, off, s[0:3], 0 offset:328
	;; [unrolled: 1-line block ×5, first 2 shown]
	ds_read2_b64 v[6:9], v4 offset0:71 offset1:72
	ds_read2_b64 v[10:13], v4 offset0:73 offset1:74
	ds_read2_b64 v[14:17], v4 offset0:75 offset1:76
	ds_read2_b64 v[18:21], v4 offset0:77 offset1:78
	ds_read2_b64 v[22:25], v4 offset0:79 offset1:80
	ds_read2_b64 v[26:29], v4 offset0:81 offset1:82
	ds_read2_b64 v[30:33], v4 offset0:83 offset1:84
	ds_read2_b64 v[34:37], v4 offset0:85 offset1:86
	v_cmp_lt_u32_e32 vcc, 21, v0
	s_waitcnt vmcnt(40) lgkmcnt(7)
	v_mul_f32_e32 v38, v6, v5
	s_waitcnt vmcnt(39)
	v_mul_f32_e32 v39, v8, v58
	s_waitcnt vmcnt(38) lgkmcnt(6)
	v_mul_f32_e32 v40, v10, v60
	s_waitcnt vmcnt(37)
	v_mul_f32_e32 v41, v12, v62
	;; [unrolled: 4-line block ×7, first 2 shown]
	s_waitcnt vmcnt(26) lgkmcnt(0)
	v_mul_f32_e32 v59, v34, v174
	s_waitcnt vmcnt(25)
	v_fmac_f32_e32 v38, v7, v175
	s_waitcnt vmcnt(24)
	v_fmac_f32_e32 v39, v9, v176
	v_add_f32_e32 v38, 0, v38
	s_waitcnt vmcnt(23)
	v_fmac_f32_e32 v40, v11, v177
	v_add_f32_e32 v38, v38, v39
	;; [unrolled: 3-line block ×13, first 2 shown]
	v_add_f32_e32 v42, v38, v56
	buffer_load_dword v53, off, s[0:3], 0 offset:364
	buffer_load_dword v52, off, s[0:3], 0 offset:360
	;; [unrolled: 1-line block ×7, first 2 shown]
	s_waitcnt vmcnt(18)
	v_fmac_f32_e32 v59, v35, v189
	ds_read2_b64 v[38:41], v4 offset0:87 offset1:88
	v_add_f32_e32 v59, v42, v59
	ds_read2_b64 v[42:45], v4 offset0:89 offset1:90
	buffer_load_dword v65, off, s[0:3], 0 offset:380
	buffer_load_dword v64, off, s[0:3], 0 offset:376
	;; [unrolled: 1-line block ×4, first 2 shown]
	v_mul_f32_e32 v5, v7, v5
	v_fma_f32 v5, v6, v175, -v5
	v_mul_f32_e32 v6, v9, v58
	v_add_f32_e32 v5, 0, v5
	v_fma_f32 v6, v8, v176, -v6
	v_add_f32_e32 v5, v5, v6
	v_mul_f32_e32 v6, v11, v60
	v_fma_f32 v6, v10, v177, -v6
	v_add_f32_e32 v5, v5, v6
	v_mul_f32_e32 v6, v13, v62
	;; [unrolled: 3-line block ×13, first 2 shown]
	v_fma_f32 v6, v34, v189, -v6
	s_waitcnt vmcnt(13)
	v_mov_b32_e32 v18, v49
	v_mul_f32_e32 v61, v36, v190
	v_add_f32_e32 v58, v5, v6
	v_mul_f32_e32 v5, v37, v190
	s_waitcnt lgkmcnt(1)
	v_pk_mul_f32 v[18:19], v[40:41], v[18:19] op_sel_hi:[1,0]
	v_fmac_f32_e32 v61, v37, v191
	v_mul_f32_e32 v63, v38, v192
	v_fma_f32 v60, v36, v191, -v5
	v_mul_f32_e32 v5, v39, v192
	s_waitcnt vmcnt(12)
	v_pk_fma_f32 v[20:21], v[40:41], v[48:49], v[18:19] op_sel:[0,0,1] op_sel_hi:[1,1,0] neg_lo:[0,0,1] neg_hi:[0,0,1]
	v_pk_fma_f32 v[18:19], v[40:41], v[48:49], v[18:19] op_sel:[0,0,1] op_sel_hi:[1,0,0]
	v_fmac_f32_e32 v63, v39, v193
	v_fma_f32 v62, v38, v193, -v5
	v_pk_add_f32 v[16:17], v[58:59], v[60:61]
	v_mov_b32_e32 v18, v47
	v_pk_add_f32 v[16:17], v[16:17], v[62:63]
	v_mov_b32_e32 v21, v19
	s_waitcnt lgkmcnt(0)
	v_pk_mul_f32 v[18:19], v[42:43], v[18:19] op_sel_hi:[1,0]
	v_pk_add_f32 v[16:17], v[16:17], v[20:21]
	v_pk_fma_f32 v[20:21], v[42:43], v[46:47], v[18:19] op_sel:[0,0,1] op_sel_hi:[1,1,0] neg_lo:[0,0,1] neg_hi:[0,0,1]
	v_pk_fma_f32 v[18:19], v[42:43], v[46:47], v[18:19] op_sel:[0,0,1] op_sel_hi:[1,0,0]
	s_waitcnt vmcnt(11)
	v_mov_b32_e32 v18, v51
	ds_read2_b64 v[6:9], v4 offset0:91 offset1:92
	ds_read2_b64 v[10:13], v4 offset0:93 offset1:94
	ds_read_b64 v[14:15], v4 offset:760
	v_mov_b32_e32 v21, v19
	v_pk_mul_f32 v[18:19], v[44:45], v[18:19] op_sel_hi:[1,0]
	v_pk_add_f32 v[16:17], v[16:17], v[20:21]
	s_waitcnt vmcnt(4)
	v_pk_fma_f32 v[20:21], v[44:45], v[50:51], v[18:19] op_sel:[0,0,1] op_sel_hi:[1,1,0] neg_lo:[0,0,1] neg_hi:[0,0,1]
	v_pk_fma_f32 v[18:19], v[44:45], v[50:51], v[18:19] op_sel:[0,0,1] op_sel_hi:[1,0,0]
	v_mov_b32_e32 v18, v57
	v_mov_b32_e32 v21, v19
	s_waitcnt lgkmcnt(2)
	v_pk_mul_f32 v[18:19], v[6:7], v[18:19] op_sel_hi:[1,0]
	v_pk_add_f32 v[16:17], v[16:17], v[20:21]
	v_pk_fma_f32 v[20:21], v[6:7], v[56:57], v[18:19] op_sel:[0,0,1] op_sel_hi:[1,1,0] neg_lo:[0,0,1] neg_hi:[0,0,1]
	v_pk_fma_f32 v[6:7], v[6:7], v[56:57], v[18:19] op_sel:[0,0,1] op_sel_hi:[1,0,0]
	v_mov_b32_e32 v21, v7
	v_pk_add_f32 v[6:7], v[16:17], v[20:21]
	v_mov_b32_e32 v16, v55
	v_pk_mul_f32 v[16:17], v[8:9], v[16:17] op_sel_hi:[1,0]
	v_pk_fma_f32 v[18:19], v[8:9], v[54:55], v[16:17] op_sel:[0,0,1] op_sel_hi:[1,1,0] neg_lo:[0,0,1] neg_hi:[0,0,1]
	v_pk_fma_f32 v[8:9], v[8:9], v[54:55], v[16:17] op_sel:[0,0,1] op_sel_hi:[1,0,0]
	v_mov_b32_e32 v8, v53
	v_mov_b32_e32 v19, v9
	s_waitcnt lgkmcnt(1)
	v_pk_mul_f32 v[8:9], v[10:11], v[8:9] op_sel_hi:[1,0]
	v_pk_fma_f32 v[16:17], v[10:11], v[52:53], v[8:9] op_sel:[0,0,1] op_sel_hi:[1,1,0] neg_lo:[0,0,1] neg_hi:[0,0,1]
	v_pk_fma_f32 v[8:9], v[10:11], v[52:53], v[8:9] op_sel:[0,0,1] op_sel_hi:[1,0,0]
	s_waitcnt vmcnt(1)
	v_mov_b32_e32 v8, v67
	v_mov_b32_e32 v17, v9
	v_pk_mul_f32 v[8:9], v[12:13], v[8:9] op_sel_hi:[1,0]
	s_waitcnt vmcnt(0)
	v_pk_fma_f32 v[10:11], v[12:13], v[66:67], v[8:9] op_sel:[0,0,1] op_sel_hi:[1,1,0] neg_lo:[0,0,1] neg_hi:[0,0,1]
	v_pk_fma_f32 v[8:9], v[12:13], v[66:67], v[8:9] op_sel:[0,0,1] op_sel_hi:[1,0,0]
	v_pk_add_f32 v[6:7], v[6:7], v[18:19]
	v_mov_b32_e32 v8, v65
	v_pk_add_f32 v[6:7], v[6:7], v[16:17]
	v_mov_b32_e32 v11, v9
	s_waitcnt lgkmcnt(0)
	v_pk_mul_f32 v[8:9], v[14:15], v[8:9] op_sel_hi:[1,0]
	v_pk_add_f32 v[6:7], v[6:7], v[10:11]
	v_pk_fma_f32 v[10:11], v[14:15], v[64:65], v[8:9] op_sel:[0,0,1] op_sel_hi:[1,1,0] neg_lo:[0,0,1] neg_hi:[0,0,1]
	v_pk_fma_f32 v[8:9], v[14:15], v[64:65], v[8:9] op_sel:[0,0,1] op_sel_hi:[1,0,0]
	v_mov_b32_e32 v11, v9
	v_pk_add_f32 v[6:7], v[6:7], v[10:11]
	v_pk_add_f32 v[2:3], v[2:3], v[6:7] neg_lo:[0,1] neg_hi:[0,1]
	buffer_store_dword v3, off, s[0:3], 0 offset:180
	buffer_store_dword v2, off, s[0:3], 0 offset:176
	s_and_saveexec_b64 s[4:5], vcc
	s_cbranch_execz .LBB47_259
; %bb.258:
	buffer_load_dword v2, off, s[0:3], 0 offset:168
	buffer_load_dword v3, off, s[0:3], 0 offset:172
	v_accvgpr_read_b32 v1, a20
	buffer_store_dword v4, off, s[0:3], 0 offset:168
	buffer_store_dword v4, off, s[0:3], 0 offset:172
	s_waitcnt vmcnt(2)
	ds_write_b64 v1, v[2:3]
.LBB47_259:
	s_or_b64 exec, exec, s[4:5]
	s_waitcnt lgkmcnt(0)
	; wave barrier
	s_waitcnt lgkmcnt(0)
	buffer_load_dword v2, off, s[0:3], 0 offset:180
	buffer_load_dword v3, off, s[0:3], 0 offset:188
	buffer_load_dword v5, off, s[0:3], 0 offset:196
	buffer_load_dword v58, off, s[0:3], 0 offset:204
	buffer_load_dword v60, off, s[0:3], 0 offset:212
	buffer_load_dword v62, off, s[0:3], 0 offset:220
	buffer_load_dword v70, off, s[0:3], 0 offset:228
	buffer_load_dword v71, off, s[0:3], 0 offset:236
	buffer_load_dword v72, off, s[0:3], 0 offset:244
	buffer_load_dword v73, off, s[0:3], 0 offset:252
	buffer_load_dword v74, off, s[0:3], 0 offset:260
	buffer_load_dword v75, off, s[0:3], 0 offset:268
	buffer_load_dword v76, off, s[0:3], 0 offset:276
	buffer_load_dword v77, off, s[0:3], 0 offset:284
	buffer_load_dword v174, off, s[0:3], 0 offset:292
	buffer_load_dword v175, off, s[0:3], 0 offset:176
	buffer_load_dword v176, off, s[0:3], 0 offset:184
	buffer_load_dword v177, off, s[0:3], 0 offset:192
	buffer_load_dword v178, off, s[0:3], 0 offset:200
	buffer_load_dword v179, off, s[0:3], 0 offset:208
	buffer_load_dword v180, off, s[0:3], 0 offset:216
	buffer_load_dword v181, off, s[0:3], 0 offset:224
	buffer_load_dword v182, off, s[0:3], 0 offset:232
	buffer_load_dword v183, off, s[0:3], 0 offset:240
	buffer_load_dword v184, off, s[0:3], 0 offset:248
	buffer_load_dword v185, off, s[0:3], 0 offset:256
	buffer_load_dword v186, off, s[0:3], 0 offset:264
	buffer_load_dword v187, off, s[0:3], 0 offset:272
	buffer_load_dword v188, off, s[0:3], 0 offset:280
	buffer_load_dword v189, off, s[0:3], 0 offset:288
	buffer_load_dword v190, off, s[0:3], 0 offset:300
	buffer_load_dword v191, off, s[0:3], 0 offset:296
	buffer_load_dword v192, off, s[0:3], 0 offset:308
	buffer_load_dword v193, off, s[0:3], 0 offset:304
	buffer_load_dword v194, off, s[0:3], 0 offset:316
	buffer_load_dword v195, off, s[0:3], 0 offset:312
	buffer_load_dword v46, off, s[0:3], 0 offset:168
	buffer_load_dword v47, off, s[0:3], 0 offset:172
	ds_read_b128 v[6:9], v4 offset:560
	ds_read_b128 v[10:13], v4 offset:576
	;; [unrolled: 1-line block ×8, first 2 shown]
	buffer_load_dword v49, off, s[0:3], 0 offset:324
	buffer_load_dword v48, off, s[0:3], 0 offset:320
	;; [unrolled: 1-line block ×4, first 2 shown]
	v_cmp_lt_u32_e32 vcc, 20, v0
	s_waitcnt vmcnt(41) lgkmcnt(7)
	v_mul_f32_e32 v38, v6, v2
	s_waitcnt vmcnt(40)
	v_mul_f32_e32 v39, v8, v3
	s_waitcnt vmcnt(39) lgkmcnt(6)
	v_mul_f32_e32 v40, v10, v5
	s_waitcnt vmcnt(38)
	v_mul_f32_e32 v41, v12, v58
	;; [unrolled: 4-line block ×7, first 2 shown]
	s_waitcnt vmcnt(27) lgkmcnt(0)
	v_mul_f32_e32 v59, v34, v174
	s_waitcnt vmcnt(26)
	v_fmac_f32_e32 v38, v7, v175
	s_waitcnt vmcnt(25)
	v_fmac_f32_e32 v39, v9, v176
	v_add_f32_e32 v38, 0, v38
	s_waitcnt vmcnt(24)
	v_fmac_f32_e32 v40, v11, v177
	v_add_f32_e32 v38, v38, v39
	;; [unrolled: 3-line block ×13, first 2 shown]
	v_add_f32_e32 v38, v38, v57
	buffer_load_dword v53, off, s[0:3], 0 offset:348
	buffer_load_dword v52, off, s[0:3], 0 offset:344
	;; [unrolled: 1-line block ×6, first 2 shown]
	s_waitcnt vmcnt(18)
	v_fmac_f32_e32 v59, v35, v189
	s_waitcnt vmcnt(17)
	v_mul_f32_e32 v43, v36, v190
	v_add_f32_e32 v42, v38, v59
	s_waitcnt vmcnt(16)
	v_fmac_f32_e32 v43, v37, v191
	ds_read_b128 v[38:41], v4 offset:688
	v_add_f32_e32 v59, v42, v43
	ds_read_b128 v[42:45], v4 offset:704
	buffer_load_dword v65, off, s[0:3], 0 offset:380
	buffer_load_dword v64, off, s[0:3], 0 offset:376
	;; [unrolled: 1-line block ×6, first 2 shown]
	v_mul_f32_e32 v2, v7, v2
	v_fma_f32 v2, v6, v175, -v2
	v_mul_f32_e32 v3, v9, v3
	v_add_f32_e32 v2, 0, v2
	v_fma_f32 v3, v8, v176, -v3
	v_add_f32_e32 v2, v2, v3
	v_mul_f32_e32 v3, v11, v5
	v_fma_f32 v3, v10, v177, -v3
	v_add_f32_e32 v2, v2, v3
	v_mul_f32_e32 v3, v13, v58
	;; [unrolled: 3-line block ×14, first 2 shown]
	v_fma_f32 v3, v36, v191, -v3
	s_waitcnt vmcnt(15)
	v_mov_b32_e32 v16, v49
	s_waitcnt lgkmcnt(1)
	v_mul_f32_e32 v61, v38, v192
	v_add_f32_e32 v58, v2, v3
	v_mul_f32_e32 v2, v39, v192
	s_waitcnt lgkmcnt(0)
	v_pk_mul_f32 v[16:17], v[42:43], v[16:17] op_sel_hi:[1,0]
	v_fmac_f32_e32 v61, v39, v193
	v_mul_f32_e32 v63, v40, v194
	v_fma_f32 v60, v38, v193, -v2
	v_mul_f32_e32 v2, v41, v194
	s_waitcnt vmcnt(14)
	v_pk_fma_f32 v[18:19], v[42:43], v[48:49], v[16:17] op_sel:[0,0,1] op_sel_hi:[1,1,0] neg_lo:[0,0,1] neg_hi:[0,0,1]
	v_pk_fma_f32 v[16:17], v[42:43], v[48:49], v[16:17] op_sel:[0,0,1] op_sel_hi:[1,0,0]
	v_fmac_f32_e32 v63, v41, v195
	v_fma_f32 v62, v40, v195, -v2
	v_pk_add_f32 v[14:15], v[58:59], v[60:61]
	ds_read_b128 v[6:9], v4 offset:720
	ds_read_b128 v[10:13], v4 offset:736
	;; [unrolled: 1-line block ×3, first 2 shown]
	v_pk_add_f32 v[14:15], v[14:15], v[62:63]
	v_mov_b32_e32 v19, v17
	v_pk_add_f32 v[14:15], v[14:15], v[18:19]
	s_waitcnt vmcnt(7)
	v_mov_b32_e32 v16, v57
	v_pk_mul_f32 v[16:17], v[44:45], v[16:17] op_sel_hi:[1,0]
	s_waitcnt vmcnt(6)
	v_pk_fma_f32 v[18:19], v[44:45], v[56:57], v[16:17] op_sel:[0,0,1] op_sel_hi:[1,1,0] neg_lo:[0,0,1] neg_hi:[0,0,1]
	v_pk_fma_f32 v[16:17], v[44:45], v[56:57], v[16:17] op_sel:[0,0,1] op_sel_hi:[1,0,0]
	v_mov_b32_e32 v16, v55
	v_mov_b32_e32 v19, v17
	s_waitcnt lgkmcnt(2)
	v_pk_mul_f32 v[16:17], v[6:7], v[16:17] op_sel_hi:[1,0]
	v_pk_add_f32 v[14:15], v[14:15], v[18:19]
	v_pk_fma_f32 v[18:19], v[6:7], v[54:55], v[16:17] op_sel:[0,0,1] op_sel_hi:[1,1,0] neg_lo:[0,0,1] neg_hi:[0,0,1]
	v_pk_fma_f32 v[6:7], v[6:7], v[54:55], v[16:17] op_sel:[0,0,1] op_sel_hi:[1,0,0]
	v_mov_b32_e32 v19, v7
	v_pk_add_f32 v[6:7], v[14:15], v[18:19]
	v_mov_b32_e32 v14, v53
	v_pk_mul_f32 v[14:15], v[8:9], v[14:15] op_sel_hi:[1,0]
	v_pk_fma_f32 v[16:17], v[8:9], v[52:53], v[14:15] op_sel:[0,0,1] op_sel_hi:[1,1,0] neg_lo:[0,0,1] neg_hi:[0,0,1]
	v_pk_fma_f32 v[8:9], v[8:9], v[52:53], v[14:15] op_sel:[0,0,1] op_sel_hi:[1,0,0]
	v_mov_b32_e32 v8, v51
	v_mov_b32_e32 v17, v9
	s_waitcnt lgkmcnt(1)
	v_pk_mul_f32 v[8:9], v[10:11], v[8:9] op_sel_hi:[1,0]
	v_pk_fma_f32 v[14:15], v[10:11], v[50:51], v[8:9] op_sel:[0,0,1] op_sel_hi:[1,1,0] neg_lo:[0,0,1] neg_hi:[0,0,1]
	v_pk_fma_f32 v[8:9], v[10:11], v[50:51], v[8:9] op_sel:[0,0,1] op_sel_hi:[1,0,0]
	s_waitcnt vmcnt(1)
	v_mov_b32_e32 v8, v69
	v_mov_b32_e32 v15, v9
	v_pk_mul_f32 v[8:9], v[12:13], v[8:9] op_sel_hi:[1,0]
	s_waitcnt vmcnt(0)
	v_pk_fma_f32 v[10:11], v[12:13], v[68:69], v[8:9] op_sel:[0,0,1] op_sel_hi:[1,1,0] neg_lo:[0,0,1] neg_hi:[0,0,1]
	v_pk_fma_f32 v[8:9], v[12:13], v[68:69], v[8:9] op_sel:[0,0,1] op_sel_hi:[1,0,0]
	v_pk_add_f32 v[6:7], v[6:7], v[16:17]
	v_mov_b32_e32 v8, v67
	v_pk_add_f32 v[6:7], v[6:7], v[14:15]
	v_mov_b32_e32 v11, v9
	s_waitcnt lgkmcnt(0)
	v_pk_mul_f32 v[8:9], v[2:3], v[8:9] op_sel_hi:[1,0]
	v_pk_add_f32 v[6:7], v[6:7], v[10:11]
	v_pk_fma_f32 v[10:11], v[2:3], v[66:67], v[8:9] op_sel:[0,0,1] op_sel_hi:[1,1,0] neg_lo:[0,0,1] neg_hi:[0,0,1]
	v_pk_fma_f32 v[2:3], v[2:3], v[66:67], v[8:9] op_sel:[0,0,1] op_sel_hi:[1,0,0]
	v_mov_b32_e32 v11, v3
	v_pk_add_f32 v[2:3], v[6:7], v[10:11]
	v_mov_b32_e32 v6, v65
	v_pk_mul_f32 v[6:7], v[4:5], v[6:7] op_sel_hi:[1,0]
	v_pk_fma_f32 v[8:9], v[4:5], v[64:65], v[6:7] op_sel:[0,0,1] op_sel_hi:[1,1,0] neg_lo:[0,0,1] neg_hi:[0,0,1]
	v_pk_fma_f32 v[4:5], v[4:5], v[64:65], v[6:7] op_sel:[0,0,1] op_sel_hi:[1,0,0]
	v_mov_b32_e32 v9, v5
	v_pk_add_f32 v[2:3], v[2:3], v[8:9]
	v_pk_add_f32 v[2:3], v[46:47], v[2:3] neg_lo:[0,1] neg_hi:[0,1]
	buffer_store_dword v3, off, s[0:3], 0 offset:172
	buffer_store_dword v2, off, s[0:3], 0 offset:168
	s_and_saveexec_b64 s[4:5], vcc
	s_cbranch_execz .LBB47_261
; %bb.260:
	buffer_load_dword v2, off, s[0:3], 0 offset:160
	buffer_load_dword v3, off, s[0:3], 0 offset:164
	v_mov_b32_e32 v4, 0
	v_accvgpr_read_b32 v1, a20
	buffer_store_dword v4, off, s[0:3], 0 offset:160
	buffer_store_dword v4, off, s[0:3], 0 offset:164
	s_waitcnt vmcnt(2)
	ds_write_b64 v1, v[2:3]
.LBB47_261:
	s_or_b64 exec, exec, s[4:5]
	s_waitcnt lgkmcnt(0)
	; wave barrier
	s_waitcnt lgkmcnt(0)
	buffer_load_dword v5, off, s[0:3], 0 offset:172
	buffer_load_dword v54, off, s[0:3], 0 offset:180
	;; [unrolled: 1-line block ×40, first 2 shown]
	v_mov_b32_e32 v4, 0
	ds_read2_b64 v[6:9], v4 offset0:69 offset1:70
	ds_read2_b64 v[10:13], v4 offset0:71 offset1:72
	;; [unrolled: 1-line block ×8, first 2 shown]
	v_cmp_lt_u32_e32 vcc, 19, v0
	s_waitcnt vmcnt(39) lgkmcnt(7)
	v_mul_f32_e32 v38, v6, v5
	s_waitcnt vmcnt(38)
	v_mul_f32_e32 v39, v8, v54
	s_waitcnt vmcnt(37) lgkmcnt(6)
	v_mul_f32_e32 v40, v10, v56
	s_waitcnt vmcnt(36)
	v_mul_f32_e32 v41, v12, v58
	s_waitcnt vmcnt(35) lgkmcnt(5)
	v_mul_f32_e32 v42, v14, v68
	s_waitcnt vmcnt(34)
	v_mul_f32_e32 v43, v16, v69
	s_waitcnt vmcnt(33) lgkmcnt(4)
	v_mul_f32_e32 v44, v18, v70
	s_waitcnt vmcnt(32)
	v_mul_f32_e32 v45, v20, v71
	s_waitcnt vmcnt(31) lgkmcnt(3)
	v_mul_f32_e32 v46, v22, v72
	s_waitcnt vmcnt(30)
	v_mul_f32_e32 v47, v24, v73
	s_waitcnt vmcnt(29) lgkmcnt(2)
	v_mul_f32_e32 v48, v26, v74
	s_waitcnt vmcnt(28)
	v_mul_f32_e32 v49, v28, v75
	s_waitcnt vmcnt(27) lgkmcnt(1)
	v_mul_f32_e32 v50, v30, v76
	s_waitcnt vmcnt(26)
	v_mul_f32_e32 v51, v32, v77
	s_waitcnt vmcnt(25) lgkmcnt(0)
	v_mul_f32_e32 v52, v34, v174
	s_waitcnt vmcnt(24)
	v_mul_f32_e32 v53, v36, v175
	s_waitcnt vmcnt(23)
	v_fmac_f32_e32 v38, v7, v176
	s_waitcnt vmcnt(22)
	v_fmac_f32_e32 v39, v9, v177
	v_add_f32_e32 v38, 0, v38
	s_waitcnt vmcnt(21)
	v_fmac_f32_e32 v40, v11, v178
	v_add_f32_e32 v38, v38, v39
	s_waitcnt vmcnt(20)
	v_fmac_f32_e32 v41, v13, v179
	v_add_f32_e32 v38, v38, v40
	s_waitcnt vmcnt(19)
	v_fmac_f32_e32 v42, v15, v180
	v_add_f32_e32 v38, v38, v41
	s_waitcnt vmcnt(18)
	v_fmac_f32_e32 v43, v17, v181
	v_add_f32_e32 v38, v38, v42
	s_waitcnt vmcnt(17)
	v_fmac_f32_e32 v44, v19, v182
	v_add_f32_e32 v38, v38, v43
	s_waitcnt vmcnt(16)
	v_fmac_f32_e32 v45, v21, v183
	v_add_f32_e32 v38, v38, v44
	s_waitcnt vmcnt(15)
	v_fmac_f32_e32 v46, v23, v184
	v_add_f32_e32 v38, v38, v45
	s_waitcnt vmcnt(14)
	v_fmac_f32_e32 v47, v25, v185
	v_add_f32_e32 v38, v38, v46
	s_waitcnt vmcnt(13)
	v_fmac_f32_e32 v48, v27, v186
	v_add_f32_e32 v38, v38, v47
	s_waitcnt vmcnt(12)
	v_fmac_f32_e32 v49, v29, v187
	v_add_f32_e32 v38, v38, v48
	s_waitcnt vmcnt(11)
	v_fmac_f32_e32 v50, v31, v188
	v_add_f32_e32 v38, v38, v49
	s_waitcnt vmcnt(10)
	v_fmac_f32_e32 v51, v33, v189
	v_add_f32_e32 v38, v38, v50
	s_waitcnt vmcnt(9)
	v_fmac_f32_e32 v52, v35, v190
	v_add_f32_e32 v38, v38, v51
	v_add_f32_e32 v38, v38, v52
	s_waitcnt vmcnt(8)
	v_fmac_f32_e32 v53, v37, v191
	v_add_f32_e32 v55, v38, v53
	ds_read2_b64 v[38:41], v4 offset0:85 offset1:86
	buffer_load_dword v47, off, s[0:3], 0 offset:324
	buffer_load_dword v49, off, s[0:3], 0 offset:348
	;; [unrolled: 1-line block ×8, first 2 shown]
	ds_read2_b64 v[42:45], v4 offset0:87 offset1:88
	buffer_load_dword v61, off, s[0:3], 0 offset:380
	buffer_load_dword v60, off, s[0:3], 0 offset:376
	;; [unrolled: 1-line block ×8, first 2 shown]
	v_mul_f32_e32 v5, v7, v5
	v_fma_f32 v5, v6, v176, -v5
	v_mul_f32_e32 v6, v9, v54
	v_add_f32_e32 v5, 0, v5
	v_fma_f32 v6, v8, v177, -v6
	v_add_f32_e32 v5, v5, v6
	v_mul_f32_e32 v6, v11, v56
	v_fma_f32 v6, v10, v178, -v6
	v_add_f32_e32 v5, v5, v6
	v_mul_f32_e32 v6, v13, v58
	;; [unrolled: 3-line block ×14, first 2 shown]
	v_fma_f32 v6, v36, v191, -v6
	s_waitcnt vmcnt(23) lgkmcnt(1)
	v_mul_f32_e32 v57, v38, v192
	v_add_f32_e32 v5, v5, v6
	v_mul_f32_e32 v6, v39, v192
	s_waitcnt vmcnt(22)
	v_fmac_f32_e32 v57, v39, v193
	v_fma_f32 v6, v38, v193, -v6
	v_add_f32_e32 v55, v55, v57
	s_waitcnt vmcnt(21)
	v_mul_f32_e32 v57, v40, v194
	v_add_f32_e32 v54, v5, v6
	v_mul_f32_e32 v5, v41, v194
	s_waitcnt vmcnt(20)
	v_fmac_f32_e32 v57, v41, v195
	s_waitcnt vmcnt(19) lgkmcnt(0)
	v_mul_f32_e32 v59, v42, v196
	v_fma_f32 v56, v40, v195, -v5
	v_mul_f32_e32 v5, v43, v196
	ds_read2_b64 v[6:9], v4 offset0:89 offset1:90
	ds_read2_b64 v[10:13], v4 offset0:91 offset1:92
	;; [unrolled: 1-line block ×3, first 2 shown]
	ds_read_b64 v[18:19], v4 offset:760
	s_waitcnt vmcnt(18)
	v_fmac_f32_e32 v59, v43, v197
	v_fma_f32 v58, v42, v197, -v5
	v_pk_add_f32 v[20:21], v[54:55], v[56:57]
	v_pk_add_f32 v[20:21], v[20:21], v[58:59]
	s_waitcnt vmcnt(15)
	v_mov_b32_e32 v22, v47
	v_pk_mul_f32 v[22:23], v[44:45], v[22:23] op_sel_hi:[1,0]
	s_waitcnt vmcnt(8)
	v_pk_fma_f32 v[24:25], v[44:45], v[46:47], v[22:23] op_sel:[0,0,1] op_sel_hi:[1,1,0] neg_lo:[0,0,1] neg_hi:[0,0,1]
	v_pk_fma_f32 v[22:23], v[44:45], v[46:47], v[22:23] op_sel:[0,0,1] op_sel_hi:[1,0,0]
	v_mov_b32_e32 v22, v53
	v_mov_b32_e32 v25, v23
	s_waitcnt lgkmcnt(3)
	v_pk_mul_f32 v[22:23], v[6:7], v[22:23] op_sel_hi:[1,0]
	v_pk_add_f32 v[20:21], v[20:21], v[24:25]
	v_pk_fma_f32 v[24:25], v[6:7], v[52:53], v[22:23] op_sel:[0,0,1] op_sel_hi:[1,1,0] neg_lo:[0,0,1] neg_hi:[0,0,1]
	v_pk_fma_f32 v[6:7], v[6:7], v[52:53], v[22:23] op_sel:[0,0,1] op_sel_hi:[1,0,0]
	v_mov_b32_e32 v25, v7
	v_pk_add_f32 v[6:7], v[20:21], v[24:25]
	v_mov_b32_e32 v20, v51
	v_pk_mul_f32 v[20:21], v[8:9], v[20:21] op_sel_hi:[1,0]
	v_pk_fma_f32 v[22:23], v[8:9], v[50:51], v[20:21] op_sel:[0,0,1] op_sel_hi:[1,1,0] neg_lo:[0,0,1] neg_hi:[0,0,1]
	v_pk_fma_f32 v[8:9], v[8:9], v[50:51], v[20:21] op_sel:[0,0,1] op_sel_hi:[1,0,0]
	v_mov_b32_e32 v8, v49
	v_mov_b32_e32 v23, v9
	s_waitcnt lgkmcnt(2)
	v_pk_mul_f32 v[8:9], v[10:11], v[8:9] op_sel_hi:[1,0]
	v_pk_fma_f32 v[20:21], v[10:11], v[48:49], v[8:9] op_sel:[0,0,1] op_sel_hi:[1,1,0] neg_lo:[0,0,1] neg_hi:[0,0,1]
	v_pk_fma_f32 v[8:9], v[10:11], v[48:49], v[8:9] op_sel:[0,0,1] op_sel_hi:[1,0,0]
	s_waitcnt vmcnt(1)
	v_mov_b32_e32 v8, v67
	v_mov_b32_e32 v21, v9
	v_pk_mul_f32 v[8:9], v[12:13], v[8:9] op_sel_hi:[1,0]
	s_waitcnt vmcnt(0)
	v_pk_fma_f32 v[10:11], v[12:13], v[66:67], v[8:9] op_sel:[0,0,1] op_sel_hi:[1,1,0] neg_lo:[0,0,1] neg_hi:[0,0,1]
	v_pk_fma_f32 v[8:9], v[12:13], v[66:67], v[8:9] op_sel:[0,0,1] op_sel_hi:[1,0,0]
	v_pk_add_f32 v[6:7], v[6:7], v[22:23]
	v_mov_b32_e32 v8, v65
	v_pk_add_f32 v[6:7], v[6:7], v[20:21]
	v_mov_b32_e32 v11, v9
	s_waitcnt lgkmcnt(1)
	v_pk_mul_f32 v[8:9], v[14:15], v[8:9] op_sel_hi:[1,0]
	v_pk_add_f32 v[6:7], v[6:7], v[10:11]
	v_pk_fma_f32 v[10:11], v[14:15], v[64:65], v[8:9] op_sel:[0,0,1] op_sel_hi:[1,1,0] neg_lo:[0,0,1] neg_hi:[0,0,1]
	v_pk_fma_f32 v[8:9], v[14:15], v[64:65], v[8:9] op_sel:[0,0,1] op_sel_hi:[1,0,0]
	v_mov_b32_e32 v8, v63
	v_mov_b32_e32 v11, v9
	v_pk_mul_f32 v[8:9], v[16:17], v[8:9] op_sel_hi:[1,0]
	v_pk_add_f32 v[6:7], v[6:7], v[10:11]
	v_pk_fma_f32 v[10:11], v[16:17], v[62:63], v[8:9] op_sel:[0,0,1] op_sel_hi:[1,1,0] neg_lo:[0,0,1] neg_hi:[0,0,1]
	v_pk_fma_f32 v[8:9], v[16:17], v[62:63], v[8:9] op_sel:[0,0,1] op_sel_hi:[1,0,0]
	v_mov_b32_e32 v8, v61
	v_mov_b32_e32 v11, v9
	s_waitcnt lgkmcnt(0)
	v_pk_mul_f32 v[8:9], v[18:19], v[8:9] op_sel_hi:[1,0]
	v_pk_add_f32 v[6:7], v[6:7], v[10:11]
	v_pk_fma_f32 v[10:11], v[18:19], v[60:61], v[8:9] op_sel:[0,0,1] op_sel_hi:[1,1,0] neg_lo:[0,0,1] neg_hi:[0,0,1]
	v_pk_fma_f32 v[8:9], v[18:19], v[60:61], v[8:9] op_sel:[0,0,1] op_sel_hi:[1,0,0]
	v_mov_b32_e32 v11, v9
	v_pk_add_f32 v[6:7], v[6:7], v[10:11]
	v_pk_add_f32 v[2:3], v[2:3], v[6:7] neg_lo:[0,1] neg_hi:[0,1]
	buffer_store_dword v3, off, s[0:3], 0 offset:164
	buffer_store_dword v2, off, s[0:3], 0 offset:160
	s_and_saveexec_b64 s[4:5], vcc
	s_cbranch_execz .LBB47_263
; %bb.262:
	buffer_load_dword v2, off, s[0:3], 0 offset:152
	buffer_load_dword v3, off, s[0:3], 0 offset:156
	v_accvgpr_read_b32 v1, a20
	buffer_store_dword v4, off, s[0:3], 0 offset:152
	buffer_store_dword v4, off, s[0:3], 0 offset:156
	s_waitcnt vmcnt(2)
	ds_write_b64 v1, v[2:3]
.LBB47_263:
	s_or_b64 exec, exec, s[4:5]
	s_waitcnt lgkmcnt(0)
	; wave barrier
	s_waitcnt lgkmcnt(0)
	buffer_load_dword v5, off, s[0:3], 0 offset:164
	buffer_load_dword v46, off, s[0:3], 0 offset:172
	;; [unrolled: 1-line block ×42, first 2 shown]
	ds_read_b128 v[6:9], v4 offset:544
	ds_read_b128 v[10:13], v4 offset:560
	;; [unrolled: 1-line block ×8, first 2 shown]
	v_cmp_lt_u32_e32 vcc, 18, v0
	s_waitcnt vmcnt(41) lgkmcnt(7)
	v_mul_f32_e32 v38, v6, v5
	s_waitcnt vmcnt(40)
	v_mul_f32_e32 v39, v8, v46
	s_waitcnt vmcnt(39) lgkmcnt(6)
	v_mul_f32_e32 v40, v10, v48
	s_waitcnt vmcnt(38)
	v_mul_f32_e32 v41, v12, v56
	;; [unrolled: 4-line block ×7, first 2 shown]
	s_waitcnt vmcnt(27) lgkmcnt(0)
	v_mul_f32_e32 v54, v34, v174
	s_waitcnt vmcnt(26)
	v_fmac_f32_e32 v38, v7, v175
	s_waitcnt vmcnt(25)
	v_fmac_f32_e32 v39, v9, v176
	v_add_f32_e32 v38, 0, v38
	s_waitcnt vmcnt(24)
	v_fmac_f32_e32 v40, v11, v177
	v_add_f32_e32 v38, v38, v39
	;; [unrolled: 3-line block ×14, first 2 shown]
	s_waitcnt vmcnt(11)
	v_mul_f32_e32 v43, v36, v190
	v_add_f32_e32 v42, v38, v54
	s_waitcnt vmcnt(10)
	v_fmac_f32_e32 v43, v37, v191
	ds_read_b128 v[38:41], v4 offset:672
	v_add_f32_e32 v47, v42, v43
	ds_read_b128 v[42:45], v4 offset:688
	buffer_load_dword v51, off, s[0:3], 0 offset:324
	buffer_load_dword v53, off, s[0:3], 0 offset:340
	;; [unrolled: 1-line block ×16, first 2 shown]
	v_mul_f32_e32 v5, v7, v5
	v_fma_f32 v5, v6, v175, -v5
	v_mul_f32_e32 v6, v9, v46
	v_add_f32_e32 v5, 0, v5
	v_fma_f32 v6, v8, v176, -v6
	v_add_f32_e32 v5, v5, v6
	v_mul_f32_e32 v6, v11, v48
	v_fma_f32 v6, v10, v177, -v6
	v_add_f32_e32 v5, v5, v6
	v_mul_f32_e32 v6, v13, v56
	;; [unrolled: 3-line block ×14, first 2 shown]
	v_fma_f32 v6, v36, v191, -v6
	v_add_f32_e32 v5, v5, v6
	s_waitcnt vmcnt(25) lgkmcnt(1)
	v_mul_f32_e32 v6, v39, v192
	s_waitcnt vmcnt(24)
	v_fma_f32 v6, v38, v193, -v6
	v_add_f32_e32 v5, v5, v6
	s_waitcnt vmcnt(23)
	v_mul_f32_e32 v6, v41, v194
	s_waitcnt vmcnt(22)
	v_fma_f32 v6, v40, v195, -v6
	v_add_f32_e32 v46, v5, v6
	ds_read_b128 v[6:9], v4 offset:704
	ds_read_b128 v[10:13], v4 offset:720
	;; [unrolled: 1-line block ×4, first 2 shown]
	v_mul_f32_e32 v49, v38, v192
	v_fmac_f32_e32 v49, v39, v193
	v_add_f32_e32 v47, v47, v49
	v_mul_f32_e32 v49, v40, v194
	v_fmac_f32_e32 v49, v41, v195
	v_add_f32_e32 v47, v47, v49
	s_waitcnt vmcnt(21) lgkmcnt(4)
	v_mul_f32_e32 v49, v42, v196
	v_mul_f32_e32 v5, v43, v196
	s_waitcnt vmcnt(20)
	v_fmac_f32_e32 v49, v43, v197
	s_waitcnt vmcnt(19)
	v_mul_f32_e32 v57, v44, v198
	v_fma_f32 v48, v42, v197, -v5
	v_mul_f32_e32 v5, v45, v198
	s_waitcnt vmcnt(18)
	v_fmac_f32_e32 v57, v45, v199
	v_fma_f32 v56, v44, v199, -v5
	v_pk_add_f32 v[4:5], v[46:47], v[48:49]
	v_pk_add_f32 v[4:5], v[4:5], v[56:57]
	s_waitcnt vmcnt(15)
	v_mov_b32_e32 v22, v51
	s_waitcnt lgkmcnt(3)
	v_pk_mul_f32 v[22:23], v[6:7], v[22:23] op_sel_hi:[1,0]
	s_waitcnt vmcnt(10)
	v_pk_fma_f32 v[24:25], v[6:7], v[50:51], v[22:23] op_sel:[0,0,1] op_sel_hi:[1,1,0] neg_lo:[0,0,1] neg_hi:[0,0,1]
	v_pk_fma_f32 v[6:7], v[6:7], v[50:51], v[22:23] op_sel:[0,0,1] op_sel_hi:[1,0,0]
	v_mov_b32_e32 v6, v55
	v_mov_b32_e32 v25, v7
	v_pk_mul_f32 v[6:7], v[8:9], v[6:7] op_sel_hi:[1,0]
	v_pk_fma_f32 v[22:23], v[8:9], v[54:55], v[6:7] op_sel:[0,0,1] op_sel_hi:[1,1,0] neg_lo:[0,0,1] neg_hi:[0,0,1]
	v_pk_fma_f32 v[6:7], v[8:9], v[54:55], v[6:7] op_sel:[0,0,1] op_sel_hi:[1,0,0]
	v_mov_b32_e32 v6, v53
	v_mov_b32_e32 v23, v7
	s_waitcnt lgkmcnt(2)
	v_pk_mul_f32 v[6:7], v[10:11], v[6:7] op_sel_hi:[1,0]
	v_pk_fma_f32 v[8:9], v[10:11], v[52:53], v[6:7] op_sel:[0,0,1] op_sel_hi:[1,1,0] neg_lo:[0,0,1] neg_hi:[0,0,1]
	v_pk_fma_f32 v[6:7], v[10:11], v[52:53], v[6:7] op_sel:[0,0,1] op_sel_hi:[1,0,0]
	v_pk_add_f32 v[4:5], v[4:5], v[24:25]
	s_waitcnt vmcnt(3)
	v_mov_b32_e32 v6, v65
	v_pk_add_f32 v[4:5], v[4:5], v[22:23]
	v_mov_b32_e32 v9, v7
	v_pk_mul_f32 v[6:7], v[12:13], v[6:7] op_sel_hi:[1,0]
	v_pk_add_f32 v[4:5], v[4:5], v[8:9]
	s_waitcnt vmcnt(2)
	v_pk_fma_f32 v[8:9], v[12:13], v[64:65], v[6:7] op_sel:[0,0,1] op_sel_hi:[1,1,0] neg_lo:[0,0,1] neg_hi:[0,0,1]
	v_pk_fma_f32 v[6:7], v[12:13], v[64:65], v[6:7] op_sel:[0,0,1] op_sel_hi:[1,0,0]
	v_mov_b32_e32 v6, v63
	v_mov_b32_e32 v9, v7
	s_waitcnt lgkmcnt(1)
	v_pk_mul_f32 v[6:7], v[14:15], v[6:7] op_sel_hi:[1,0]
	v_pk_add_f32 v[4:5], v[4:5], v[8:9]
	v_pk_fma_f32 v[8:9], v[14:15], v[62:63], v[6:7] op_sel:[0,0,1] op_sel_hi:[1,1,0] neg_lo:[0,0,1] neg_hi:[0,0,1]
	v_pk_fma_f32 v[6:7], v[14:15], v[62:63], v[6:7] op_sel:[0,0,1] op_sel_hi:[1,0,0]
	v_mov_b32_e32 v6, v61
	v_mov_b32_e32 v9, v7
	v_pk_mul_f32 v[6:7], v[16:17], v[6:7] op_sel_hi:[1,0]
	v_pk_add_f32 v[4:5], v[4:5], v[8:9]
	v_pk_fma_f32 v[8:9], v[16:17], v[60:61], v[6:7] op_sel:[0,0,1] op_sel_hi:[1,1,0] neg_lo:[0,0,1] neg_hi:[0,0,1]
	v_pk_fma_f32 v[6:7], v[16:17], v[60:61], v[6:7] op_sel:[0,0,1] op_sel_hi:[1,0,0]
	v_mov_b32_e32 v6, v59
	v_mov_b32_e32 v9, v7
	s_waitcnt lgkmcnt(0)
	v_pk_mul_f32 v[6:7], v[18:19], v[6:7] op_sel_hi:[1,0]
	v_pk_add_f32 v[4:5], v[4:5], v[8:9]
	v_pk_fma_f32 v[8:9], v[18:19], v[58:59], v[6:7] op_sel:[0,0,1] op_sel_hi:[1,1,0] neg_lo:[0,0,1] neg_hi:[0,0,1]
	v_pk_fma_f32 v[6:7], v[18:19], v[58:59], v[6:7] op_sel:[0,0,1] op_sel_hi:[1,0,0]
	s_waitcnt vmcnt(1)
	v_mov_b32_e32 v6, v67
	v_mov_b32_e32 v9, v7
	v_pk_mul_f32 v[6:7], v[20:21], v[6:7] op_sel_hi:[1,0]
	v_pk_add_f32 v[4:5], v[4:5], v[8:9]
	s_waitcnt vmcnt(0)
	v_pk_fma_f32 v[8:9], v[20:21], v[66:67], v[6:7] op_sel:[0,0,1] op_sel_hi:[1,1,0] neg_lo:[0,0,1] neg_hi:[0,0,1]
	v_pk_fma_f32 v[6:7], v[20:21], v[66:67], v[6:7] op_sel:[0,0,1] op_sel_hi:[1,0,0]
	v_mov_b32_e32 v9, v7
	v_pk_add_f32 v[4:5], v[4:5], v[8:9]
	v_pk_add_f32 v[2:3], v[2:3], v[4:5] neg_lo:[0,1] neg_hi:[0,1]
	buffer_store_dword v3, off, s[0:3], 0 offset:156
	buffer_store_dword v2, off, s[0:3], 0 offset:152
	s_and_saveexec_b64 s[4:5], vcc
	s_cbranch_execz .LBB47_265
; %bb.264:
	buffer_load_dword v2, off, s[0:3], 0 offset:144
	buffer_load_dword v3, off, s[0:3], 0 offset:148
	v_mov_b32_e32 v4, 0
	v_accvgpr_read_b32 v1, a20
	buffer_store_dword v4, off, s[0:3], 0 offset:144
	buffer_store_dword v4, off, s[0:3], 0 offset:148
	s_waitcnt vmcnt(2)
	ds_write_b64 v1, v[2:3]
.LBB47_265:
	s_or_b64 exec, exec, s[4:5]
	s_waitcnt lgkmcnt(0)
	; wave barrier
	s_waitcnt lgkmcnt(0)
	buffer_load_dword v5, off, s[0:3], 0 offset:156
	buffer_load_dword v54, off, s[0:3], 0 offset:164
	;; [unrolled: 1-line block ×44, first 2 shown]
	v_mov_b32_e32 v4, 0
	ds_read2_b64 v[6:9], v4 offset0:67 offset1:68
	ds_read2_b64 v[10:13], v4 offset0:69 offset1:70
	;; [unrolled: 1-line block ×8, first 2 shown]
	v_cmp_lt_u32_e32 vcc, 17, v0
	s_waitcnt vmcnt(43) lgkmcnt(7)
	v_mul_f32_e32 v38, v6, v5
	s_waitcnt vmcnt(42)
	v_mul_f32_e32 v39, v8, v54
	s_waitcnt vmcnt(41) lgkmcnt(6)
	v_mul_f32_e32 v40, v10, v60
	s_waitcnt vmcnt(40)
	v_mul_f32_e32 v41, v12, v62
	;; [unrolled: 4-line block ×7, first 2 shown]
	s_waitcnt vmcnt(29)
	v_fmac_f32_e32 v38, v7, v182
	s_waitcnt vmcnt(28)
	v_fmac_f32_e32 v39, v9, v183
	v_add_f32_e32 v38, 0, v38
	s_waitcnt vmcnt(27)
	v_fmac_f32_e32 v40, v11, v184
	v_add_f32_e32 v38, v38, v39
	s_waitcnt vmcnt(26)
	v_fmac_f32_e32 v41, v13, v185
	v_add_f32_e32 v38, v38, v40
	s_waitcnt vmcnt(25)
	v_fmac_f32_e32 v42, v15, v186
	v_add_f32_e32 v38, v38, v41
	s_waitcnt vmcnt(24)
	v_fmac_f32_e32 v43, v17, v187
	v_add_f32_e32 v38, v38, v42
	s_waitcnt vmcnt(23)
	v_fmac_f32_e32 v44, v19, v188
	v_add_f32_e32 v38, v38, v43
	s_waitcnt vmcnt(22)
	v_fmac_f32_e32 v45, v21, v189
	v_add_f32_e32 v38, v38, v44
	s_waitcnt vmcnt(21)
	v_fmac_f32_e32 v46, v23, v190
	v_add_f32_e32 v38, v38, v45
	s_waitcnt vmcnt(20)
	v_fmac_f32_e32 v47, v25, v191
	v_add_f32_e32 v38, v38, v46
	s_waitcnt vmcnt(19)
	v_fmac_f32_e32 v48, v27, v192
	v_add_f32_e32 v38, v38, v47
	s_waitcnt vmcnt(18)
	v_fmac_f32_e32 v49, v29, v193
	v_add_f32_e32 v38, v38, v48
	s_waitcnt vmcnt(17)
	v_fmac_f32_e32 v50, v31, v194
	v_add_f32_e32 v38, v38, v49
	v_add_f32_e32 v38, v38, v50
	s_waitcnt vmcnt(16)
	v_fmac_f32_e32 v51, v33, v195
	s_waitcnt vmcnt(15) lgkmcnt(0)
	v_mul_f32_e32 v39, v34, v196
	v_add_f32_e32 v38, v38, v51
	s_waitcnt vmcnt(14)
	v_fmac_f32_e32 v39, v35, v197
	v_add_f32_e32 v42, v38, v39
	ds_read2_b64 v[38:41], v4 offset0:83 offset1:84
	s_waitcnt vmcnt(13)
	v_mul_f32_e32 v43, v36, v198
	s_waitcnt vmcnt(12)
	v_fmac_f32_e32 v43, v37, v199
	v_add_f32_e32 v46, v42, v43
	ds_read2_b64 v[42:45], v4 offset0:85 offset1:86
	s_waitcnt vmcnt(11) lgkmcnt(1)
	v_mul_f32_e32 v47, v38, v200
	s_waitcnt vmcnt(10)
	v_fmac_f32_e32 v47, v39, v201
	v_add_f32_e32 v46, v46, v47
	s_waitcnt vmcnt(9)
	v_mul_f32_e32 v47, v40, v202
	s_waitcnt vmcnt(8)
	v_fmac_f32_e32 v47, v41, v203
	v_add_f32_e32 v46, v46, v47
	s_waitcnt vmcnt(7) lgkmcnt(0)
	v_mul_f32_e32 v47, v42, v204
	s_waitcnt vmcnt(6)
	v_fmac_f32_e32 v47, v43, v205
	v_add_f32_e32 v55, v46, v47
	ds_read2_b64 v[46:49], v4 offset0:87 offset1:88
	buffer_load_dword v57, off, s[0:3], 0 offset:332
	buffer_load_dword v56, off, s[0:3], 0 offset:328
	;; [unrolled: 1-line block ×4, first 2 shown]
	ds_read2_b64 v[50:53], v4 offset0:89 offset1:90
	buffer_load_dword v65, off, s[0:3], 0 offset:364
	buffer_load_dword v64, off, s[0:3], 0 offset:360
	;; [unrolled: 1-line block ×12, first 2 shown]
	v_mul_f32_e32 v5, v7, v5
	v_fma_f32 v5, v6, v182, -v5
	v_mul_f32_e32 v6, v9, v54
	v_add_f32_e32 v5, 0, v5
	v_fma_f32 v6, v8, v183, -v6
	v_add_f32_e32 v5, v5, v6
	v_mul_f32_e32 v6, v11, v60
	v_fma_f32 v6, v10, v184, -v6
	v_add_f32_e32 v5, v5, v6
	v_mul_f32_e32 v6, v13, v62
	;; [unrolled: 3-line block ×17, first 2 shown]
	v_fma_f32 v6, v42, v205, -v6
	s_waitcnt vmcnt(21)
	v_mul_f32_e32 v61, v44, v206
	v_add_f32_e32 v54, v5, v6
	v_mul_f32_e32 v5, v45, v206
	s_waitcnt vmcnt(20)
	v_fmac_f32_e32 v61, v45, v207
	s_waitcnt vmcnt(19) lgkmcnt(1)
	v_mul_f32_e32 v63, v46, v208
	v_fma_f32 v60, v44, v207, -v5
	v_mul_f32_e32 v5, v47, v208
	s_waitcnt vmcnt(18)
	v_fmac_f32_e32 v63, v47, v209
	v_fma_f32 v62, v46, v209, -v5
	v_pk_add_f32 v[16:17], v[54:55], v[60:61]
	v_pk_add_f32 v[16:17], v[16:17], v[62:63]
	ds_read2_b64 v[6:9], v4 offset0:91 offset1:92
	ds_read2_b64 v[10:13], v4 offset0:93 offset1:94
	ds_read_b64 v[14:15], v4 offset:760
	s_waitcnt vmcnt(13)
	v_mov_b32_e32 v18, v59
	v_pk_mul_f32 v[18:19], v[48:49], v[18:19] op_sel_hi:[1,0]
	s_waitcnt vmcnt(12)
	v_pk_fma_f32 v[20:21], v[48:49], v[58:59], v[18:19] op_sel:[0,0,1] op_sel_hi:[1,1,0] neg_lo:[0,0,1] neg_hi:[0,0,1]
	v_pk_fma_f32 v[18:19], v[48:49], v[58:59], v[18:19] op_sel:[0,0,1] op_sel_hi:[1,0,0]
	v_mov_b32_e32 v18, v57
	v_mov_b32_e32 v21, v19
	s_waitcnt lgkmcnt(3)
	v_pk_mul_f32 v[18:19], v[50:51], v[18:19] op_sel_hi:[1,0]
	v_pk_add_f32 v[16:17], v[16:17], v[20:21]
	v_pk_fma_f32 v[20:21], v[50:51], v[56:57], v[18:19] op_sel:[0,0,1] op_sel_hi:[1,1,0] neg_lo:[0,0,1] neg_hi:[0,0,1]
	v_pk_fma_f32 v[18:19], v[50:51], v[56:57], v[18:19] op_sel:[0,0,1] op_sel_hi:[1,0,0]
	s_waitcnt vmcnt(5)
	v_mov_b32_e32 v18, v71
	v_mov_b32_e32 v21, v19
	v_pk_mul_f32 v[18:19], v[52:53], v[18:19] op_sel_hi:[1,0]
	v_pk_add_f32 v[16:17], v[16:17], v[20:21]
	s_waitcnt vmcnt(4)
	v_pk_fma_f32 v[20:21], v[52:53], v[70:71], v[18:19] op_sel:[0,0,1] op_sel_hi:[1,1,0] neg_lo:[0,0,1] neg_hi:[0,0,1]
	v_pk_fma_f32 v[18:19], v[52:53], v[70:71], v[18:19] op_sel:[0,0,1] op_sel_hi:[1,0,0]
	v_mov_b32_e32 v18, v69
	v_mov_b32_e32 v21, v19
	s_waitcnt lgkmcnt(2)
	v_pk_mul_f32 v[18:19], v[6:7], v[18:19] op_sel_hi:[1,0]
	v_pk_add_f32 v[16:17], v[16:17], v[20:21]
	v_pk_fma_f32 v[20:21], v[6:7], v[68:69], v[18:19] op_sel:[0,0,1] op_sel_hi:[1,1,0] neg_lo:[0,0,1] neg_hi:[0,0,1]
	v_pk_fma_f32 v[6:7], v[6:7], v[68:69], v[18:19] op_sel:[0,0,1] op_sel_hi:[1,0,0]
	v_mov_b32_e32 v21, v7
	v_pk_add_f32 v[6:7], v[16:17], v[20:21]
	v_mov_b32_e32 v16, v67
	v_pk_mul_f32 v[16:17], v[8:9], v[16:17] op_sel_hi:[1,0]
	v_pk_fma_f32 v[18:19], v[8:9], v[66:67], v[16:17] op_sel:[0,0,1] op_sel_hi:[1,1,0] neg_lo:[0,0,1] neg_hi:[0,0,1]
	v_pk_fma_f32 v[8:9], v[8:9], v[66:67], v[16:17] op_sel:[0,0,1] op_sel_hi:[1,0,0]
	v_mov_b32_e32 v8, v65
	v_mov_b32_e32 v19, v9
	s_waitcnt lgkmcnt(1)
	v_pk_mul_f32 v[8:9], v[10:11], v[8:9] op_sel_hi:[1,0]
	v_pk_fma_f32 v[16:17], v[10:11], v[64:65], v[8:9] op_sel:[0,0,1] op_sel_hi:[1,1,0] neg_lo:[0,0,1] neg_hi:[0,0,1]
	v_pk_fma_f32 v[8:9], v[10:11], v[64:65], v[8:9] op_sel:[0,0,1] op_sel_hi:[1,0,0]
	s_waitcnt vmcnt(1)
	v_mov_b32_e32 v8, v75
	v_mov_b32_e32 v17, v9
	v_pk_mul_f32 v[8:9], v[12:13], v[8:9] op_sel_hi:[1,0]
	s_waitcnt vmcnt(0)
	v_pk_fma_f32 v[10:11], v[12:13], v[74:75], v[8:9] op_sel:[0,0,1] op_sel_hi:[1,1,0] neg_lo:[0,0,1] neg_hi:[0,0,1]
	v_pk_fma_f32 v[8:9], v[12:13], v[74:75], v[8:9] op_sel:[0,0,1] op_sel_hi:[1,0,0]
	v_pk_add_f32 v[6:7], v[6:7], v[18:19]
	v_mov_b32_e32 v8, v73
	v_pk_add_f32 v[6:7], v[6:7], v[16:17]
	v_mov_b32_e32 v11, v9
	s_waitcnt lgkmcnt(0)
	v_pk_mul_f32 v[8:9], v[14:15], v[8:9] op_sel_hi:[1,0]
	v_pk_add_f32 v[6:7], v[6:7], v[10:11]
	v_pk_fma_f32 v[10:11], v[14:15], v[72:73], v[8:9] op_sel:[0,0,1] op_sel_hi:[1,1,0] neg_lo:[0,0,1] neg_hi:[0,0,1]
	v_pk_fma_f32 v[8:9], v[14:15], v[72:73], v[8:9] op_sel:[0,0,1] op_sel_hi:[1,0,0]
	v_mov_b32_e32 v11, v9
	v_pk_add_f32 v[6:7], v[6:7], v[10:11]
	v_pk_add_f32 v[2:3], v[2:3], v[6:7] neg_lo:[0,1] neg_hi:[0,1]
	buffer_store_dword v3, off, s[0:3], 0 offset:148
	buffer_store_dword v2, off, s[0:3], 0 offset:144
	s_and_saveexec_b64 s[4:5], vcc
	s_cbranch_execz .LBB47_267
; %bb.266:
	buffer_load_dword v2, off, s[0:3], 0 offset:136
	buffer_load_dword v3, off, s[0:3], 0 offset:140
	v_accvgpr_read_b32 v1, a20
	buffer_store_dword v4, off, s[0:3], 0 offset:136
	buffer_store_dword v4, off, s[0:3], 0 offset:140
	s_waitcnt vmcnt(2)
	ds_write_b64 v1, v[2:3]
.LBB47_267:
	s_or_b64 exec, exec, s[4:5]
	s_waitcnt lgkmcnt(0)
	; wave barrier
	s_waitcnt lgkmcnt(0)
	buffer_load_dword v5, off, s[0:3], 0 offset:148
	buffer_load_dword v56, off, s[0:3], 0 offset:156
	;; [unrolled: 1-line block ×46, first 2 shown]
	ds_read_b128 v[6:9], v4 offset:528
	ds_read_b128 v[10:13], v4 offset:544
	;; [unrolled: 1-line block ×8, first 2 shown]
	v_cmp_lt_u32_e32 vcc, 16, v0
	s_waitcnt vmcnt(45) lgkmcnt(7)
	v_mul_f32_e32 v38, v6, v5
	s_waitcnt vmcnt(44)
	v_mul_f32_e32 v39, v8, v56
	s_waitcnt vmcnt(43) lgkmcnt(6)
	v_mul_f32_e32 v40, v10, v58
	s_waitcnt vmcnt(42)
	v_mul_f32_e32 v41, v12, v60
	;; [unrolled: 4-line block ×6, first 2 shown]
	s_waitcnt vmcnt(33) lgkmcnt(1)
	v_mul_f32_e32 v50, v30, v180
	s_waitcnt vmcnt(32)
	v_fmac_f32_e32 v38, v7, v181
	s_waitcnt vmcnt(31)
	v_fmac_f32_e32 v39, v9, v182
	v_add_f32_e32 v38, 0, v38
	s_waitcnt vmcnt(30)
	v_fmac_f32_e32 v40, v11, v183
	v_add_f32_e32 v38, v38, v39
	s_waitcnt vmcnt(29)
	v_fmac_f32_e32 v41, v13, v184
	v_add_f32_e32 v38, v38, v40
	s_waitcnt vmcnt(28)
	v_fmac_f32_e32 v42, v15, v185
	v_add_f32_e32 v38, v38, v41
	s_waitcnt vmcnt(27)
	v_fmac_f32_e32 v43, v17, v186
	v_add_f32_e32 v38, v38, v42
	s_waitcnt vmcnt(26)
	v_fmac_f32_e32 v44, v19, v187
	v_add_f32_e32 v38, v38, v43
	s_waitcnt vmcnt(25)
	v_fmac_f32_e32 v45, v21, v188
	v_add_f32_e32 v38, v38, v44
	s_waitcnt vmcnt(24)
	v_fmac_f32_e32 v46, v23, v189
	v_add_f32_e32 v38, v38, v45
	s_waitcnt vmcnt(23)
	v_fmac_f32_e32 v47, v25, v190
	v_add_f32_e32 v38, v38, v46
	s_waitcnt vmcnt(22)
	v_fmac_f32_e32 v48, v27, v191
	v_add_f32_e32 v38, v38, v47
	s_waitcnt vmcnt(21)
	v_fmac_f32_e32 v49, v29, v192
	v_add_f32_e32 v38, v38, v48
	s_waitcnt vmcnt(20)
	v_fmac_f32_e32 v50, v31, v193
	v_add_f32_e32 v38, v38, v49
	s_waitcnt vmcnt(19)
	v_mul_f32_e32 v39, v32, v194
	v_add_f32_e32 v38, v38, v50
	s_waitcnt vmcnt(18)
	v_fmac_f32_e32 v39, v33, v195
	v_add_f32_e32 v38, v38, v39
	s_waitcnt vmcnt(17) lgkmcnt(0)
	v_mul_f32_e32 v39, v34, v196
	s_waitcnt vmcnt(16)
	v_fmac_f32_e32 v39, v35, v197
	v_add_f32_e32 v42, v38, v39
	ds_read_b128 v[38:41], v4 offset:656
	s_waitcnt vmcnt(15)
	v_mul_f32_e32 v43, v36, v198
	s_waitcnt vmcnt(14)
	v_fmac_f32_e32 v43, v37, v199
	v_add_f32_e32 v46, v42, v43
	ds_read_b128 v[42:45], v4 offset:672
	buffer_load_dword v55, off, s[0:3], 0 offset:324
	buffer_load_dword v54, off, s[0:3], 0 offset:320
	s_waitcnt vmcnt(15) lgkmcnt(1)
	v_mul_f32_e32 v47, v38, v200
	s_waitcnt vmcnt(14)
	v_fmac_f32_e32 v47, v39, v201
	v_add_f32_e32 v46, v46, v47
	s_waitcnt vmcnt(13)
	v_mul_f32_e32 v47, v40, v202
	s_waitcnt vmcnt(12)
	v_fmac_f32_e32 v47, v41, v203
	v_add_f32_e32 v46, v46, v47
	s_waitcnt vmcnt(11) lgkmcnt(0)
	v_mul_f32_e32 v47, v42, v204
	s_waitcnt vmcnt(10)
	v_fmac_f32_e32 v47, v43, v205
	s_waitcnt vmcnt(9)
	v_mul_f32_e32 v51, v44, v206
	v_add_f32_e32 v50, v46, v47
	s_waitcnt vmcnt(8)
	v_fmac_f32_e32 v51, v45, v207
	ds_read_b128 v[46:49], v4 offset:688
	v_add_f32_e32 v57, v50, v51
	ds_read_b128 v[50:53], v4 offset:704
	buffer_load_dword v63, off, s[0:3], 0 offset:356
	buffer_load_dword v62, off, s[0:3], 0 offset:352
	;; [unrolled: 1-line block ×14, first 2 shown]
	v_mul_f32_e32 v5, v7, v5
	v_fma_f32 v5, v6, v181, -v5
	v_mul_f32_e32 v6, v9, v56
	v_add_f32_e32 v5, 0, v5
	v_fma_f32 v6, v8, v182, -v6
	v_add_f32_e32 v5, v5, v6
	v_mul_f32_e32 v6, v11, v58
	v_fma_f32 v6, v10, v183, -v6
	v_add_f32_e32 v5, v5, v6
	v_mul_f32_e32 v6, v13, v60
	;; [unrolled: 3-line block ×18, first 2 shown]
	v_fma_f32 v6, v44, v207, -v6
	s_waitcnt vmcnt(21) lgkmcnt(1)
	v_mul_f32_e32 v59, v46, v208
	v_add_f32_e32 v56, v5, v6
	v_mul_f32_e32 v5, v47, v208
	s_waitcnt vmcnt(20)
	v_fmac_f32_e32 v59, v47, v209
	s_waitcnt vmcnt(15)
	v_mov_b32_e32 v18, v55
	s_waitcnt lgkmcnt(0)
	v_pk_mul_f32 v[18:19], v[50:51], v[18:19] op_sel_hi:[1,0]
	v_mul_f32_e32 v61, v48, v210
	v_fma_f32 v58, v46, v209, -v5
	v_mul_f32_e32 v5, v49, v210
	s_waitcnt vmcnt(14)
	v_pk_fma_f32 v[20:21], v[50:51], v[54:55], v[18:19] op_sel:[0,0,1] op_sel_hi:[1,1,0] neg_lo:[0,0,1] neg_hi:[0,0,1]
	v_pk_fma_f32 v[18:19], v[50:51], v[54:55], v[18:19] op_sel:[0,0,1] op_sel_hi:[1,0,0]
	v_fmac_f32_e32 v61, v49, v211
	v_fma_f32 v60, v48, v211, -v5
	ds_read_b128 v[6:9], v4 offset:720
	ds_read_b128 v[10:13], v4 offset:736
	;; [unrolled: 1-line block ×3, first 2 shown]
	v_pk_add_f32 v[4:5], v[56:57], v[58:59]
	s_waitcnt vmcnt(7)
	v_mov_b32_e32 v18, v69
	v_pk_add_f32 v[4:5], v[4:5], v[60:61]
	v_mov_b32_e32 v21, v19
	v_pk_mul_f32 v[18:19], v[52:53], v[18:19] op_sel_hi:[1,0]
	v_pk_add_f32 v[4:5], v[4:5], v[20:21]
	s_waitcnt vmcnt(6)
	v_pk_fma_f32 v[20:21], v[52:53], v[68:69], v[18:19] op_sel:[0,0,1] op_sel_hi:[1,1,0] neg_lo:[0,0,1] neg_hi:[0,0,1]
	v_pk_fma_f32 v[18:19], v[52:53], v[68:69], v[18:19] op_sel:[0,0,1] op_sel_hi:[1,0,0]
	v_mov_b32_e32 v18, v67
	v_mov_b32_e32 v21, v19
	s_waitcnt lgkmcnt(2)
	v_pk_mul_f32 v[18:19], v[6:7], v[18:19] op_sel_hi:[1,0]
	v_pk_add_f32 v[4:5], v[4:5], v[20:21]
	v_pk_fma_f32 v[20:21], v[6:7], v[66:67], v[18:19] op_sel:[0,0,1] op_sel_hi:[1,1,0] neg_lo:[0,0,1] neg_hi:[0,0,1]
	v_pk_fma_f32 v[6:7], v[6:7], v[66:67], v[18:19] op_sel:[0,0,1] op_sel_hi:[1,0,0]
	v_mov_b32_e32 v6, v65
	v_mov_b32_e32 v21, v7
	v_pk_mul_f32 v[6:7], v[8:9], v[6:7] op_sel_hi:[1,0]
	v_pk_fma_f32 v[18:19], v[8:9], v[64:65], v[6:7] op_sel:[0,0,1] op_sel_hi:[1,1,0] neg_lo:[0,0,1] neg_hi:[0,0,1]
	v_pk_fma_f32 v[6:7], v[8:9], v[64:65], v[6:7] op_sel:[0,0,1] op_sel_hi:[1,0,0]
	v_mov_b32_e32 v6, v63
	v_mov_b32_e32 v19, v7
	s_waitcnt lgkmcnt(1)
	v_pk_mul_f32 v[6:7], v[10:11], v[6:7] op_sel_hi:[1,0]
	v_pk_fma_f32 v[8:9], v[10:11], v[62:63], v[6:7] op_sel:[0,0,1] op_sel_hi:[1,1,0] neg_lo:[0,0,1] neg_hi:[0,0,1]
	v_pk_fma_f32 v[6:7], v[10:11], v[62:63], v[6:7] op_sel:[0,0,1] op_sel_hi:[1,0,0]
	v_pk_add_f32 v[4:5], v[4:5], v[20:21]
	s_waitcnt vmcnt(1)
	v_mov_b32_e32 v6, v75
	v_pk_add_f32 v[4:5], v[4:5], v[18:19]
	v_mov_b32_e32 v9, v7
	v_pk_mul_f32 v[6:7], v[12:13], v[6:7] op_sel_hi:[1,0]
	v_pk_add_f32 v[4:5], v[4:5], v[8:9]
	s_waitcnt vmcnt(0)
	v_pk_fma_f32 v[8:9], v[12:13], v[74:75], v[6:7] op_sel:[0,0,1] op_sel_hi:[1,1,0] neg_lo:[0,0,1] neg_hi:[0,0,1]
	v_pk_fma_f32 v[6:7], v[12:13], v[74:75], v[6:7] op_sel:[0,0,1] op_sel_hi:[1,0,0]
	v_mov_b32_e32 v6, v73
	v_mov_b32_e32 v9, v7
	s_waitcnt lgkmcnt(0)
	v_pk_mul_f32 v[6:7], v[14:15], v[6:7] op_sel_hi:[1,0]
	v_pk_add_f32 v[4:5], v[4:5], v[8:9]
	v_pk_fma_f32 v[8:9], v[14:15], v[72:73], v[6:7] op_sel:[0,0,1] op_sel_hi:[1,1,0] neg_lo:[0,0,1] neg_hi:[0,0,1]
	v_pk_fma_f32 v[6:7], v[14:15], v[72:73], v[6:7] op_sel:[0,0,1] op_sel_hi:[1,0,0]
	v_mov_b32_e32 v6, v71
	v_mov_b32_e32 v9, v7
	v_pk_mul_f32 v[6:7], v[16:17], v[6:7] op_sel_hi:[1,0]
	v_pk_add_f32 v[4:5], v[4:5], v[8:9]
	v_pk_fma_f32 v[8:9], v[16:17], v[70:71], v[6:7] op_sel:[0,0,1] op_sel_hi:[1,1,0] neg_lo:[0,0,1] neg_hi:[0,0,1]
	v_pk_fma_f32 v[6:7], v[16:17], v[70:71], v[6:7] op_sel:[0,0,1] op_sel_hi:[1,0,0]
	v_mov_b32_e32 v9, v7
	v_pk_add_f32 v[4:5], v[4:5], v[8:9]
	v_pk_add_f32 v[2:3], v[2:3], v[4:5] neg_lo:[0,1] neg_hi:[0,1]
	buffer_store_dword v3, off, s[0:3], 0 offset:140
	buffer_store_dword v2, off, s[0:3], 0 offset:136
	s_and_saveexec_b64 s[4:5], vcc
	s_cbranch_execz .LBB47_269
; %bb.268:
	buffer_load_dword v2, off, s[0:3], 0 offset:128
	buffer_load_dword v3, off, s[0:3], 0 offset:132
	v_mov_b32_e32 v4, 0
	v_accvgpr_read_b32 v1, a20
	buffer_store_dword v4, off, s[0:3], 0 offset:128
	buffer_store_dword v4, off, s[0:3], 0 offset:132
	s_waitcnt vmcnt(2)
	ds_write_b64 v1, v[2:3]
.LBB47_269:
	s_or_b64 exec, exec, s[4:5]
	s_waitcnt lgkmcnt(0)
	; wave barrier
	s_waitcnt lgkmcnt(0)
	buffer_load_dword v5, off, s[0:3], 0 offset:140
	buffer_load_dword v54, off, s[0:3], 0 offset:148
	;; [unrolled: 1-line block ×48, first 2 shown]
	v_mov_b32_e32 v4, 0
	ds_read2_b64 v[6:9], v4 offset0:65 offset1:66
	ds_read2_b64 v[10:13], v4 offset0:67 offset1:68
	;; [unrolled: 1-line block ×6, first 2 shown]
	v_cmp_lt_u32_e32 vcc, 15, v0
	s_waitcnt vmcnt(47) lgkmcnt(5)
	v_mul_f32_e32 v30, v6, v5
	s_waitcnt vmcnt(46)
	v_mul_f32_e32 v31, v8, v54
	s_waitcnt vmcnt(45) lgkmcnt(4)
	v_mul_f32_e32 v32, v10, v56
	s_waitcnt vmcnt(44)
	v_mul_f32_e32 v33, v12, v58
	;; [unrolled: 4-line block ×6, first 2 shown]
	s_waitcnt vmcnt(35)
	v_fmac_f32_e32 v30, v7, v180
	s_waitcnt vmcnt(34)
	v_fmac_f32_e32 v31, v9, v181
	v_add_f32_e32 v30, 0, v30
	s_waitcnt vmcnt(33)
	v_fmac_f32_e32 v32, v11, v182
	v_add_f32_e32 v30, v30, v31
	s_waitcnt vmcnt(32)
	v_fmac_f32_e32 v33, v13, v183
	v_add_f32_e32 v30, v30, v32
	s_waitcnt vmcnt(31)
	v_fmac_f32_e32 v34, v15, v184
	v_add_f32_e32 v30, v30, v33
	s_waitcnt vmcnt(30)
	v_fmac_f32_e32 v35, v17, v185
	v_add_f32_e32 v30, v30, v34
	s_waitcnt vmcnt(29)
	v_fmac_f32_e32 v36, v19, v186
	v_add_f32_e32 v30, v30, v35
	s_waitcnt vmcnt(28)
	v_fmac_f32_e32 v37, v21, v187
	v_add_f32_e32 v30, v30, v36
	s_waitcnt vmcnt(27)
	v_fmac_f32_e32 v38, v23, v188
	v_add_f32_e32 v30, v30, v37
	v_add_f32_e32 v34, v30, v38
	ds_read2_b64 v[30:33], v4 offset0:77 offset1:78
	s_waitcnt vmcnt(26)
	v_fmac_f32_e32 v39, v25, v189
	s_waitcnt vmcnt(25)
	v_fmac_f32_e32 v40, v27, v190
	v_add_f32_e32 v34, v34, v39
	s_waitcnt vmcnt(24)
	v_fmac_f32_e32 v41, v29, v191
	v_add_f32_e32 v34, v34, v40
	v_add_f32_e32 v38, v34, v41
	ds_read2_b64 v[34:37], v4 offset0:79 offset1:80
	s_waitcnt vmcnt(23) lgkmcnt(1)
	v_mul_f32_e32 v39, v30, v192
	s_waitcnt vmcnt(22)
	v_fmac_f32_e32 v39, v31, v193
	v_add_f32_e32 v38, v38, v39
	s_waitcnt vmcnt(21)
	v_mul_f32_e32 v39, v32, v194
	s_waitcnt vmcnt(20)
	v_fmac_f32_e32 v39, v33, v195
	v_add_f32_e32 v38, v38, v39
	s_waitcnt vmcnt(19) lgkmcnt(0)
	v_mul_f32_e32 v39, v34, v196
	s_waitcnt vmcnt(18)
	v_fmac_f32_e32 v39, v35, v197
	v_add_f32_e32 v42, v38, v39
	ds_read2_b64 v[38:41], v4 offset0:81 offset1:82
	s_waitcnt vmcnt(17)
	v_mul_f32_e32 v43, v36, v198
	s_waitcnt vmcnt(16)
	v_fmac_f32_e32 v43, v37, v199
	v_add_f32_e32 v46, v42, v43
	ds_read2_b64 v[42:45], v4 offset0:83 offset1:84
	s_waitcnt vmcnt(15) lgkmcnt(1)
	v_mul_f32_e32 v47, v38, v200
	s_waitcnt vmcnt(14)
	v_fmac_f32_e32 v47, v39, v201
	v_add_f32_e32 v46, v46, v47
	s_waitcnt vmcnt(13)
	v_mul_f32_e32 v47, v40, v202
	s_waitcnt vmcnt(12)
	v_fmac_f32_e32 v47, v41, v203
	v_add_f32_e32 v46, v46, v47
	s_waitcnt vmcnt(11) lgkmcnt(0)
	v_mul_f32_e32 v47, v42, v204
	s_waitcnt vmcnt(10)
	v_fmac_f32_e32 v47, v43, v205
	s_waitcnt vmcnt(9)
	v_mul_f32_e32 v51, v44, v206
	v_add_f32_e32 v50, v46, v47
	s_waitcnt vmcnt(8)
	v_fmac_f32_e32 v51, v45, v207
	ds_read2_b64 v[46:49], v4 offset0:85 offset1:86
	v_add_f32_e32 v55, v50, v51
	ds_read2_b64 v[50:53], v4 offset0:87 offset1:88
	buffer_load_dword v61, off, s[0:3], 0 offset:348
	buffer_load_dword v60, off, s[0:3], 0 offset:344
	;; [unrolled: 1-line block ×16, first 2 shown]
	v_mul_f32_e32 v5, v7, v5
	v_fma_f32 v5, v6, v180, -v5
	v_mul_f32_e32 v6, v9, v54
	v_add_f32_e32 v5, 0, v5
	v_fma_f32 v6, v8, v181, -v6
	v_add_f32_e32 v5, v5, v6
	v_mul_f32_e32 v6, v11, v56
	v_fma_f32 v6, v10, v182, -v6
	v_add_f32_e32 v5, v5, v6
	v_mul_f32_e32 v6, v13, v58
	;; [unrolled: 3-line block ×18, first 2 shown]
	v_fma_f32 v6, v44, v207, -v6
	s_waitcnt vmcnt(22) lgkmcnt(1)
	v_mul_f32_e32 v57, v46, v209
	v_add_f32_e32 v5, v5, v6
	v_mul_f32_e32 v6, v47, v209
	v_fmac_f32_e32 v57, v47, v208
	v_fma_f32 v6, v46, v208, -v6
	v_add_f32_e32 v55, v55, v57
	s_waitcnt vmcnt(19)
	v_mul_f32_e32 v57, v48, v210
	v_add_f32_e32 v54, v5, v6
	v_mul_f32_e32 v5, v49, v210
	s_waitcnt vmcnt(18)
	v_fmac_f32_e32 v57, v49, v211
	s_waitcnt vmcnt(17) lgkmcnt(0)
	v_mul_f32_e32 v59, v50, v212
	s_waitcnt vmcnt(9)
	v_mov_b32_e32 v22, v67
	v_pk_mul_f32 v[22:23], v[52:53], v[22:23] op_sel_hi:[1,0]
	v_fma_f32 v56, v48, v211, -v5
	v_mul_f32_e32 v5, v51, v212
	ds_read2_b64 v[6:9], v4 offset0:89 offset1:90
	ds_read2_b64 v[10:13], v4 offset0:91 offset1:92
	;; [unrolled: 1-line block ×3, first 2 shown]
	ds_read_b64 v[18:19], v4 offset:760
	s_waitcnt vmcnt(8)
	v_pk_fma_f32 v[24:25], v[52:53], v[66:67], v[22:23] op_sel:[0,0,1] op_sel_hi:[1,1,0] neg_lo:[0,0,1] neg_hi:[0,0,1]
	v_pk_fma_f32 v[22:23], v[52:53], v[66:67], v[22:23] op_sel:[0,0,1] op_sel_hi:[1,0,0]
	v_fmac_f32_e32 v59, v51, v213
	v_fma_f32 v58, v50, v213, -v5
	v_pk_add_f32 v[20:21], v[54:55], v[56:57]
	v_mov_b32_e32 v22, v65
	v_pk_add_f32 v[20:21], v[20:21], v[58:59]
	v_mov_b32_e32 v25, v23
	s_waitcnt lgkmcnt(3)
	v_pk_mul_f32 v[22:23], v[6:7], v[22:23] op_sel_hi:[1,0]
	v_pk_add_f32 v[20:21], v[20:21], v[24:25]
	v_pk_fma_f32 v[24:25], v[6:7], v[64:65], v[22:23] op_sel:[0,0,1] op_sel_hi:[1,1,0] neg_lo:[0,0,1] neg_hi:[0,0,1]
	v_pk_fma_f32 v[6:7], v[6:7], v[64:65], v[22:23] op_sel:[0,0,1] op_sel_hi:[1,0,0]
	v_mov_b32_e32 v25, v7
	v_pk_add_f32 v[6:7], v[20:21], v[24:25]
	v_mov_b32_e32 v20, v63
	v_pk_mul_f32 v[20:21], v[8:9], v[20:21] op_sel_hi:[1,0]
	v_pk_fma_f32 v[22:23], v[8:9], v[62:63], v[20:21] op_sel:[0,0,1] op_sel_hi:[1,1,0] neg_lo:[0,0,1] neg_hi:[0,0,1]
	v_pk_fma_f32 v[8:9], v[8:9], v[62:63], v[20:21] op_sel:[0,0,1] op_sel_hi:[1,0,0]
	v_mov_b32_e32 v8, v61
	v_mov_b32_e32 v23, v9
	s_waitcnt lgkmcnt(2)
	v_pk_mul_f32 v[8:9], v[10:11], v[8:9] op_sel_hi:[1,0]
	v_pk_fma_f32 v[20:21], v[10:11], v[60:61], v[8:9] op_sel:[0,0,1] op_sel_hi:[1,1,0] neg_lo:[0,0,1] neg_hi:[0,0,1]
	v_pk_fma_f32 v[8:9], v[10:11], v[60:61], v[8:9] op_sel:[0,0,1] op_sel_hi:[1,0,0]
	s_waitcnt vmcnt(1)
	v_mov_b32_e32 v8, v75
	v_mov_b32_e32 v21, v9
	v_pk_mul_f32 v[8:9], v[12:13], v[8:9] op_sel_hi:[1,0]
	s_waitcnt vmcnt(0)
	v_pk_fma_f32 v[10:11], v[12:13], v[74:75], v[8:9] op_sel:[0,0,1] op_sel_hi:[1,1,0] neg_lo:[0,0,1] neg_hi:[0,0,1]
	v_pk_fma_f32 v[8:9], v[12:13], v[74:75], v[8:9] op_sel:[0,0,1] op_sel_hi:[1,0,0]
	v_pk_add_f32 v[6:7], v[6:7], v[22:23]
	v_mov_b32_e32 v8, v73
	v_pk_add_f32 v[6:7], v[6:7], v[20:21]
	v_mov_b32_e32 v11, v9
	s_waitcnt lgkmcnt(1)
	v_pk_mul_f32 v[8:9], v[14:15], v[8:9] op_sel_hi:[1,0]
	v_pk_add_f32 v[6:7], v[6:7], v[10:11]
	v_pk_fma_f32 v[10:11], v[14:15], v[72:73], v[8:9] op_sel:[0,0,1] op_sel_hi:[1,1,0] neg_lo:[0,0,1] neg_hi:[0,0,1]
	v_pk_fma_f32 v[8:9], v[14:15], v[72:73], v[8:9] op_sel:[0,0,1] op_sel_hi:[1,0,0]
	v_mov_b32_e32 v8, v71
	v_mov_b32_e32 v11, v9
	v_pk_mul_f32 v[8:9], v[16:17], v[8:9] op_sel_hi:[1,0]
	v_pk_add_f32 v[6:7], v[6:7], v[10:11]
	v_pk_fma_f32 v[10:11], v[16:17], v[70:71], v[8:9] op_sel:[0,0,1] op_sel_hi:[1,1,0] neg_lo:[0,0,1] neg_hi:[0,0,1]
	v_pk_fma_f32 v[8:9], v[16:17], v[70:71], v[8:9] op_sel:[0,0,1] op_sel_hi:[1,0,0]
	v_mov_b32_e32 v8, v69
	v_mov_b32_e32 v11, v9
	s_waitcnt lgkmcnt(0)
	v_pk_mul_f32 v[8:9], v[18:19], v[8:9] op_sel_hi:[1,0]
	v_pk_add_f32 v[6:7], v[6:7], v[10:11]
	v_pk_fma_f32 v[10:11], v[18:19], v[68:69], v[8:9] op_sel:[0,0,1] op_sel_hi:[1,1,0] neg_lo:[0,0,1] neg_hi:[0,0,1]
	v_pk_fma_f32 v[8:9], v[18:19], v[68:69], v[8:9] op_sel:[0,0,1] op_sel_hi:[1,0,0]
	v_mov_b32_e32 v11, v9
	v_pk_add_f32 v[6:7], v[6:7], v[10:11]
	v_pk_add_f32 v[2:3], v[2:3], v[6:7] neg_lo:[0,1] neg_hi:[0,1]
	buffer_store_dword v3, off, s[0:3], 0 offset:132
	buffer_store_dword v2, off, s[0:3], 0 offset:128
	s_and_saveexec_b64 s[4:5], vcc
	s_cbranch_execz .LBB47_271
; %bb.270:
	buffer_load_dword v2, off, s[0:3], 0 offset:120
	buffer_load_dword v3, off, s[0:3], 0 offset:124
	v_accvgpr_read_b32 v1, a20
	buffer_store_dword v4, off, s[0:3], 0 offset:120
	buffer_store_dword v4, off, s[0:3], 0 offset:124
	s_waitcnt vmcnt(2)
	ds_write_b64 v1, v[2:3]
.LBB47_271:
	s_or_b64 exec, exec, s[4:5]
	s_waitcnt lgkmcnt(0)
	; wave barrier
	s_waitcnt lgkmcnt(0)
	buffer_load_dword v5, off, s[0:3], 0 offset:132
	buffer_load_dword v54, off, s[0:3], 0 offset:140
	;; [unrolled: 1-line block ×48, first 2 shown]
	ds_read_b128 v[6:9], v4 offset:512
	ds_read_b128 v[10:13], v4 offset:528
	;; [unrolled: 1-line block ×6, first 2 shown]
	buffer_load_dword v214, off, s[0:3], 0 offset:312
	buffer_load_dword v215, off, s[0:3], 0 offset:316
	v_cmp_lt_u32_e32 vcc, 14, v0
	s_waitcnt vmcnt(49) lgkmcnt(5)
	v_mul_f32_e32 v30, v6, v5
	s_waitcnt vmcnt(48)
	v_mul_f32_e32 v31, v8, v54
	s_waitcnt vmcnt(47) lgkmcnt(4)
	v_mul_f32_e32 v32, v10, v56
	s_waitcnt vmcnt(46)
	v_mul_f32_e32 v33, v12, v64
	s_waitcnt vmcnt(45) lgkmcnt(3)
	v_mul_f32_e32 v34, v14, v76
	s_waitcnt vmcnt(44)
	v_mul_f32_e32 v35, v16, v77
	s_waitcnt vmcnt(43) lgkmcnt(2)
	v_mul_f32_e32 v36, v18, v174
	s_waitcnt vmcnt(42)
	v_mul_f32_e32 v37, v20, v175
	s_waitcnt vmcnt(41) lgkmcnt(1)
	v_mul_f32_e32 v38, v22, v176
	s_waitcnt vmcnt(40)
	v_mul_f32_e32 v39, v24, v177
	s_waitcnt vmcnt(39) lgkmcnt(0)
	v_mul_f32_e32 v40, v26, v178
	s_waitcnt vmcnt(38)
	v_mul_f32_e32 v41, v28, v179
	s_waitcnt vmcnt(37)
	v_fmac_f32_e32 v30, v7, v180
	s_waitcnt vmcnt(36)
	v_fmac_f32_e32 v31, v9, v181
	v_add_f32_e32 v30, 0, v30
	s_waitcnt vmcnt(35)
	v_fmac_f32_e32 v32, v11, v182
	v_add_f32_e32 v30, v30, v31
	s_waitcnt vmcnt(34)
	v_fmac_f32_e32 v33, v13, v183
	v_add_f32_e32 v30, v30, v32
	s_waitcnt vmcnt(33)
	v_fmac_f32_e32 v34, v15, v184
	v_add_f32_e32 v30, v30, v33
	s_waitcnt vmcnt(32)
	v_fmac_f32_e32 v35, v17, v185
	v_add_f32_e32 v30, v30, v34
	s_waitcnt vmcnt(31)
	v_fmac_f32_e32 v36, v19, v186
	v_add_f32_e32 v30, v30, v35
	s_waitcnt vmcnt(30)
	v_fmac_f32_e32 v37, v21, v187
	v_add_f32_e32 v30, v30, v36
	s_waitcnt vmcnt(29)
	v_fmac_f32_e32 v38, v23, v188
	v_add_f32_e32 v30, v30, v37
	s_waitcnt vmcnt(28)
	v_fmac_f32_e32 v39, v25, v189
	v_add_f32_e32 v30, v30, v38
	v_add_f32_e32 v34, v30, v39
	ds_read_b128 v[30:33], v4 offset:608
	s_waitcnt vmcnt(27)
	v_fmac_f32_e32 v40, v27, v190
	v_add_f32_e32 v34, v34, v40
	s_waitcnt vmcnt(26)
	v_fmac_f32_e32 v41, v29, v191
	v_add_f32_e32 v38, v34, v41
	ds_read_b128 v[34:37], v4 offset:624
	s_waitcnt vmcnt(25) lgkmcnt(1)
	v_mul_f32_e32 v39, v30, v192
	s_waitcnt vmcnt(24)
	v_fmac_f32_e32 v39, v31, v193
	v_add_f32_e32 v38, v38, v39
	s_waitcnt vmcnt(23)
	v_mul_f32_e32 v39, v32, v194
	s_waitcnt vmcnt(22)
	v_fmac_f32_e32 v39, v33, v195
	v_add_f32_e32 v38, v38, v39
	s_waitcnt vmcnt(21) lgkmcnt(0)
	v_mul_f32_e32 v39, v34, v196
	s_waitcnt vmcnt(20)
	v_fmac_f32_e32 v39, v35, v197
	v_add_f32_e32 v42, v38, v39
	ds_read_b128 v[38:41], v4 offset:640
	s_waitcnt vmcnt(19)
	v_mul_f32_e32 v43, v36, v198
	s_waitcnt vmcnt(18)
	v_fmac_f32_e32 v43, v37, v199
	v_add_f32_e32 v46, v42, v43
	ds_read_b128 v[42:45], v4 offset:656
	s_waitcnt vmcnt(17) lgkmcnt(1)
	v_mul_f32_e32 v47, v38, v200
	s_waitcnt vmcnt(16)
	v_fmac_f32_e32 v47, v39, v201
	v_add_f32_e32 v46, v46, v47
	s_waitcnt vmcnt(15)
	v_mul_f32_e32 v47, v40, v202
	s_waitcnt vmcnt(14)
	v_fmac_f32_e32 v47, v41, v203
	v_add_f32_e32 v46, v46, v47
	s_waitcnt vmcnt(13) lgkmcnt(0)
	v_mul_f32_e32 v47, v42, v204
	s_waitcnt vmcnt(12)
	v_fmac_f32_e32 v47, v43, v205
	s_waitcnt vmcnt(11)
	v_mul_f32_e32 v51, v44, v206
	v_add_f32_e32 v50, v46, v47
	s_waitcnt vmcnt(10)
	v_fmac_f32_e32 v51, v45, v207
	ds_read_b128 v[46:49], v4 offset:672
	v_add_f32_e32 v55, v50, v51
	ds_read_b128 v[50:53], v4 offset:688
	buffer_load_dword v59, off, s[0:3], 0 offset:340
	buffer_load_dword v58, off, s[0:3], 0 offset:336
	;; [unrolled: 1-line block ×16, first 2 shown]
	v_mul_f32_e32 v5, v7, v5
	v_fma_f32 v5, v6, v180, -v5
	v_mul_f32_e32 v6, v9, v54
	v_add_f32_e32 v5, 0, v5
	v_fma_f32 v6, v8, v181, -v6
	v_add_f32_e32 v5, v5, v6
	v_mul_f32_e32 v6, v11, v56
	v_fma_f32 v6, v10, v182, -v6
	v_add_f32_e32 v5, v5, v6
	v_mul_f32_e32 v6, v13, v64
	;; [unrolled: 3-line block ×18, first 2 shown]
	v_fma_f32 v6, v44, v207, -v6
	v_add_f32_e32 v5, v5, v6
	s_waitcnt vmcnt(23) lgkmcnt(1)
	v_mul_f32_e32 v6, v47, v208
	s_waitcnt vmcnt(22)
	v_fma_f32 v6, v46, v209, -v6
	v_add_f32_e32 v5, v5, v6
	s_waitcnt vmcnt(20)
	v_mul_f32_e32 v6, v49, v211
	v_fma_f32 v6, v48, v210, -v6
	v_add_f32_e32 v54, v5, v6
	ds_read_b128 v[6:9], v4 offset:704
	ds_read_b128 v[10:13], v4 offset:720
	;; [unrolled: 1-line block ×4, first 2 shown]
	v_mul_f32_e32 v57, v46, v208
	v_fmac_f32_e32 v57, v47, v209
	v_add_f32_e32 v55, v55, v57
	v_mul_f32_e32 v57, v48, v211
	v_fmac_f32_e32 v57, v49, v210
	v_add_f32_e32 v55, v55, v57
	s_waitcnt vmcnt(18) lgkmcnt(4)
	v_mul_f32_e32 v57, v50, v213
	v_mul_f32_e32 v5, v51, v213
	v_fmac_f32_e32 v57, v51, v212
	s_waitcnt vmcnt(16)
	v_mul_f32_e32 v65, v52, v215
	s_waitcnt vmcnt(11)
	v_mov_b32_e32 v22, v63
	s_waitcnt lgkmcnt(3)
	v_pk_mul_f32 v[22:23], v[6:7], v[22:23] op_sel_hi:[1,0]
	s_waitcnt vmcnt(10)
	v_pk_fma_f32 v[24:25], v[6:7], v[62:63], v[22:23] op_sel:[0,0,1] op_sel_hi:[1,1,0] neg_lo:[0,0,1] neg_hi:[0,0,1]
	v_pk_fma_f32 v[6:7], v[6:7], v[62:63], v[22:23] op_sel:[0,0,1] op_sel_hi:[1,0,0]
	v_mov_b32_e32 v6, v61
	v_mov_b32_e32 v25, v7
	v_pk_mul_f32 v[6:7], v[8:9], v[6:7] op_sel_hi:[1,0]
	v_pk_fma_f32 v[22:23], v[8:9], v[60:61], v[6:7] op_sel:[0,0,1] op_sel_hi:[1,1,0] neg_lo:[0,0,1] neg_hi:[0,0,1]
	v_pk_fma_f32 v[6:7], v[8:9], v[60:61], v[6:7] op_sel:[0,0,1] op_sel_hi:[1,0,0]
	v_fma_f32 v56, v50, v212, -v5
	v_mul_f32_e32 v5, v53, v215
	v_mov_b32_e32 v6, v59
	v_fmac_f32_e32 v65, v53, v214
	v_fma_f32 v64, v52, v214, -v5
	v_pk_add_f32 v[4:5], v[54:55], v[56:57]
	v_mov_b32_e32 v23, v7
	s_waitcnt lgkmcnt(2)
	v_pk_mul_f32 v[6:7], v[10:11], v[6:7] op_sel_hi:[1,0]
	v_pk_add_f32 v[4:5], v[4:5], v[64:65]
	v_pk_fma_f32 v[8:9], v[10:11], v[58:59], v[6:7] op_sel:[0,0,1] op_sel_hi:[1,1,0] neg_lo:[0,0,1] neg_hi:[0,0,1]
	v_pk_fma_f32 v[6:7], v[10:11], v[58:59], v[6:7] op_sel:[0,0,1] op_sel_hi:[1,0,0]
	v_pk_add_f32 v[4:5], v[4:5], v[24:25]
	s_waitcnt vmcnt(3)
	v_mov_b32_e32 v6, v73
	v_pk_add_f32 v[4:5], v[4:5], v[22:23]
	v_mov_b32_e32 v9, v7
	v_pk_mul_f32 v[6:7], v[12:13], v[6:7] op_sel_hi:[1,0]
	v_pk_add_f32 v[4:5], v[4:5], v[8:9]
	s_waitcnt vmcnt(2)
	v_pk_fma_f32 v[8:9], v[12:13], v[72:73], v[6:7] op_sel:[0,0,1] op_sel_hi:[1,1,0] neg_lo:[0,0,1] neg_hi:[0,0,1]
	v_pk_fma_f32 v[6:7], v[12:13], v[72:73], v[6:7] op_sel:[0,0,1] op_sel_hi:[1,0,0]
	v_mov_b32_e32 v6, v71
	v_mov_b32_e32 v9, v7
	s_waitcnt lgkmcnt(1)
	v_pk_mul_f32 v[6:7], v[14:15], v[6:7] op_sel_hi:[1,0]
	v_pk_add_f32 v[4:5], v[4:5], v[8:9]
	v_pk_fma_f32 v[8:9], v[14:15], v[70:71], v[6:7] op_sel:[0,0,1] op_sel_hi:[1,1,0] neg_lo:[0,0,1] neg_hi:[0,0,1]
	v_pk_fma_f32 v[6:7], v[14:15], v[70:71], v[6:7] op_sel:[0,0,1] op_sel_hi:[1,0,0]
	v_mov_b32_e32 v6, v69
	v_mov_b32_e32 v9, v7
	v_pk_mul_f32 v[6:7], v[16:17], v[6:7] op_sel_hi:[1,0]
	v_pk_add_f32 v[4:5], v[4:5], v[8:9]
	v_pk_fma_f32 v[8:9], v[16:17], v[68:69], v[6:7] op_sel:[0,0,1] op_sel_hi:[1,1,0] neg_lo:[0,0,1] neg_hi:[0,0,1]
	v_pk_fma_f32 v[6:7], v[16:17], v[68:69], v[6:7] op_sel:[0,0,1] op_sel_hi:[1,0,0]
	v_mov_b32_e32 v6, v67
	v_mov_b32_e32 v9, v7
	s_waitcnt lgkmcnt(0)
	v_pk_mul_f32 v[6:7], v[18:19], v[6:7] op_sel_hi:[1,0]
	v_pk_add_f32 v[4:5], v[4:5], v[8:9]
	v_pk_fma_f32 v[8:9], v[18:19], v[66:67], v[6:7] op_sel:[0,0,1] op_sel_hi:[1,1,0] neg_lo:[0,0,1] neg_hi:[0,0,1]
	v_pk_fma_f32 v[6:7], v[18:19], v[66:67], v[6:7] op_sel:[0,0,1] op_sel_hi:[1,0,0]
	s_waitcnt vmcnt(1)
	v_mov_b32_e32 v6, v75
	v_mov_b32_e32 v9, v7
	v_pk_mul_f32 v[6:7], v[20:21], v[6:7] op_sel_hi:[1,0]
	v_pk_add_f32 v[4:5], v[4:5], v[8:9]
	s_waitcnt vmcnt(0)
	v_pk_fma_f32 v[8:9], v[20:21], v[74:75], v[6:7] op_sel:[0,0,1] op_sel_hi:[1,1,0] neg_lo:[0,0,1] neg_hi:[0,0,1]
	v_pk_fma_f32 v[6:7], v[20:21], v[74:75], v[6:7] op_sel:[0,0,1] op_sel_hi:[1,0,0]
	v_mov_b32_e32 v9, v7
	v_pk_add_f32 v[4:5], v[4:5], v[8:9]
	v_pk_add_f32 v[2:3], v[2:3], v[4:5] neg_lo:[0,1] neg_hi:[0,1]
	buffer_store_dword v3, off, s[0:3], 0 offset:124
	buffer_store_dword v2, off, s[0:3], 0 offset:120
	s_and_saveexec_b64 s[4:5], vcc
	s_cbranch_execz .LBB47_273
; %bb.272:
	buffer_load_dword v2, off, s[0:3], 0 offset:112
	buffer_load_dword v3, off, s[0:3], 0 offset:116
	v_mov_b32_e32 v4, 0
	v_accvgpr_read_b32 v1, a20
	buffer_store_dword v4, off, s[0:3], 0 offset:112
	buffer_store_dword v4, off, s[0:3], 0 offset:116
	s_waitcnt vmcnt(2)
	ds_write_b64 v1, v[2:3]
.LBB47_273:
	s_or_b64 exec, exec, s[4:5]
	s_waitcnt lgkmcnt(0)
	; wave barrier
	s_waitcnt lgkmcnt(0)
	buffer_load_dword v5, off, s[0:3], 0 offset:124
	buffer_load_dword v62, off, s[0:3], 0 offset:132
	;; [unrolled: 1-line block ×52, first 2 shown]
	v_mov_b32_e32 v4, 0
	ds_read2_b64 v[6:9], v4 offset0:63 offset1:64
	ds_read2_b64 v[10:13], v4 offset0:65 offset1:66
	;; [unrolled: 1-line block ×6, first 2 shown]
	v_cmp_lt_u32_e32 vcc, 13, v0
	s_waitcnt vmcnt(51) lgkmcnt(5)
	v_mul_f32_e32 v30, v6, v5
	s_waitcnt vmcnt(50)
	v_mul_f32_e32 v31, v8, v62
	s_waitcnt vmcnt(49) lgkmcnt(4)
	v_mul_f32_e32 v32, v10, v68
	s_waitcnt vmcnt(48)
	v_mul_f32_e32 v33, v12, v70
	;; [unrolled: 4-line block ×5, first 2 shown]
	s_waitcnt vmcnt(41) lgkmcnt(0)
	v_mul_f32_e32 v40, v26, v186
	s_waitcnt vmcnt(40)
	v_fmac_f32_e32 v30, v7, v187
	s_waitcnt vmcnt(39)
	v_fmac_f32_e32 v31, v9, v188
	v_add_f32_e32 v30, 0, v30
	s_waitcnt vmcnt(38)
	v_fmac_f32_e32 v32, v11, v189
	v_add_f32_e32 v30, v30, v31
	;; [unrolled: 3-line block ×9, first 2 shown]
	v_add_f32_e32 v30, v30, v39
	s_waitcnt vmcnt(30)
	v_fmac_f32_e32 v40, v27, v197
	v_add_f32_e32 v34, v30, v40
	ds_read2_b64 v[30:33], v4 offset0:75 offset1:76
	s_waitcnt vmcnt(29)
	v_mul_f32_e32 v35, v28, v198
	s_waitcnt vmcnt(28)
	v_fmac_f32_e32 v35, v29, v199
	v_add_f32_e32 v38, v34, v35
	ds_read2_b64 v[34:37], v4 offset0:77 offset1:78
	s_waitcnt vmcnt(27) lgkmcnt(1)
	v_mul_f32_e32 v39, v30, v200
	s_waitcnt vmcnt(26)
	v_fmac_f32_e32 v39, v31, v201
	v_add_f32_e32 v38, v38, v39
	s_waitcnt vmcnt(25)
	v_mul_f32_e32 v39, v32, v202
	s_waitcnt vmcnt(24)
	v_fmac_f32_e32 v39, v33, v203
	v_add_f32_e32 v38, v38, v39
	s_waitcnt vmcnt(23) lgkmcnt(0)
	v_mul_f32_e32 v39, v34, v204
	s_waitcnt vmcnt(22)
	v_fmac_f32_e32 v39, v35, v205
	v_add_f32_e32 v42, v38, v39
	ds_read2_b64 v[38:41], v4 offset0:79 offset1:80
	s_waitcnt vmcnt(21)
	v_mul_f32_e32 v43, v36, v206
	s_waitcnt vmcnt(20)
	v_fmac_f32_e32 v43, v37, v207
	v_add_f32_e32 v46, v42, v43
	ds_read2_b64 v[42:45], v4 offset0:81 offset1:82
	s_waitcnt vmcnt(19) lgkmcnt(1)
	v_mul_f32_e32 v47, v38, v208
	s_waitcnt vmcnt(18)
	v_fmac_f32_e32 v47, v39, v209
	v_add_f32_e32 v46, v46, v47
	s_waitcnt vmcnt(17)
	v_mul_f32_e32 v47, v40, v210
	s_waitcnt vmcnt(16)
	v_fmac_f32_e32 v47, v41, v211
	v_add_f32_e32 v46, v46, v47
	s_waitcnt vmcnt(14) lgkmcnt(0)
	v_mul_f32_e32 v47, v42, v213
	v_fmac_f32_e32 v47, v43, v212
	v_add_f32_e32 v50, v46, v47
	ds_read2_b64 v[46:49], v4 offset0:83 offset1:84
	s_waitcnt vmcnt(10)
	v_mul_f32_e32 v51, v44, v215
	v_fmac_f32_e32 v51, v45, v214
	v_add_f32_e32 v54, v50, v51
	ds_read2_b64 v[50:53], v4 offset0:85 offset1:86
	s_waitcnt vmcnt(8) lgkmcnt(1)
	v_mul_f32_e32 v55, v46, v217
	v_fmac_f32_e32 v55, v47, v216
	v_add_f32_e32 v54, v54, v55
	s_waitcnt vmcnt(6)
	v_mul_f32_e32 v55, v48, v219
	v_fmac_f32_e32 v55, v49, v218
	v_add_f32_e32 v54, v54, v55
	s_waitcnt vmcnt(4) lgkmcnt(0)
	v_mul_f32_e32 v55, v50, v221
	v_fmac_f32_e32 v55, v51, v220
	v_add_f32_e32 v63, v54, v55
	ds_read2_b64 v[54:57], v4 offset0:87 offset1:88
	buffer_load_dword v65, off, s[0:3], 0 offset:332
	buffer_load_dword v64, off, s[0:3], 0 offset:328
	;; [unrolled: 1-line block ×4, first 2 shown]
	ds_read2_b64 v[58:61], v4 offset0:89 offset1:90
	buffer_load_dword v73, off, s[0:3], 0 offset:364
	buffer_load_dword v72, off, s[0:3], 0 offset:360
	;; [unrolled: 1-line block ×12, first 2 shown]
	v_mul_f32_e32 v5, v7, v5
	v_fma_f32 v5, v6, v187, -v5
	v_mul_f32_e32 v6, v9, v62
	v_add_f32_e32 v5, 0, v5
	v_fma_f32 v6, v8, v188, -v6
	v_add_f32_e32 v5, v5, v6
	v_mul_f32_e32 v6, v11, v68
	v_fma_f32 v6, v10, v189, -v6
	v_add_f32_e32 v5, v5, v6
	v_mul_f32_e32 v6, v13, v70
	;; [unrolled: 3-line block ×21, first 2 shown]
	v_fma_f32 v6, v50, v220, -v6
	s_waitcnt vmcnt(18)
	v_mul_f32_e32 v69, v52, v223
	v_add_f32_e32 v62, v5, v6
	v_mul_f32_e32 v5, v53, v223
	v_fmac_f32_e32 v69, v53, v222
	s_waitcnt vmcnt(16) lgkmcnt(1)
	v_mul_f32_e32 v71, v54, v225
	v_fma_f32 v68, v52, v222, -v5
	v_mul_f32_e32 v5, v55, v225
	v_fmac_f32_e32 v71, v55, v224
	s_waitcnt vmcnt(13)
	v_mov_b32_e32 v18, v67
	v_pk_mul_f32 v[18:19], v[56:57], v[18:19] op_sel_hi:[1,0]
	s_waitcnt vmcnt(12)
	v_pk_fma_f32 v[20:21], v[56:57], v[66:67], v[18:19] op_sel:[0,0,1] op_sel_hi:[1,1,0] neg_lo:[0,0,1] neg_hi:[0,0,1]
	v_pk_fma_f32 v[18:19], v[56:57], v[66:67], v[18:19] op_sel:[0,0,1] op_sel_hi:[1,0,0]
	v_fma_f32 v70, v54, v224, -v5
	v_pk_add_f32 v[16:17], v[62:63], v[68:69]
	v_mov_b32_e32 v18, v65
	v_pk_add_f32 v[16:17], v[16:17], v[70:71]
	v_mov_b32_e32 v21, v19
	s_waitcnt lgkmcnt(0)
	v_pk_mul_f32 v[18:19], v[58:59], v[18:19] op_sel_hi:[1,0]
	v_pk_add_f32 v[16:17], v[16:17], v[20:21]
	v_pk_fma_f32 v[20:21], v[58:59], v[64:65], v[18:19] op_sel:[0,0,1] op_sel_hi:[1,1,0] neg_lo:[0,0,1] neg_hi:[0,0,1]
	v_pk_fma_f32 v[18:19], v[58:59], v[64:65], v[18:19] op_sel:[0,0,1] op_sel_hi:[1,0,0]
	s_waitcnt vmcnt(5)
	v_mov_b32_e32 v18, v175
	ds_read2_b64 v[6:9], v4 offset0:91 offset1:92
	ds_read2_b64 v[10:13], v4 offset0:93 offset1:94
	ds_read_b64 v[14:15], v4 offset:760
	v_mov_b32_e32 v21, v19
	v_pk_mul_f32 v[18:19], v[60:61], v[18:19] op_sel_hi:[1,0]
	v_pk_add_f32 v[16:17], v[16:17], v[20:21]
	s_waitcnt vmcnt(4)
	v_pk_fma_f32 v[20:21], v[60:61], v[174:175], v[18:19] op_sel:[0,0,1] op_sel_hi:[1,1,0] neg_lo:[0,0,1] neg_hi:[0,0,1]
	v_pk_fma_f32 v[18:19], v[60:61], v[174:175], v[18:19] op_sel:[0,0,1] op_sel_hi:[1,0,0]
	v_mov_b32_e32 v18, v77
	v_mov_b32_e32 v21, v19
	s_waitcnt lgkmcnt(2)
	v_pk_mul_f32 v[18:19], v[6:7], v[18:19] op_sel_hi:[1,0]
	v_pk_add_f32 v[16:17], v[16:17], v[20:21]
	v_pk_fma_f32 v[20:21], v[6:7], v[76:77], v[18:19] op_sel:[0,0,1] op_sel_hi:[1,1,0] neg_lo:[0,0,1] neg_hi:[0,0,1]
	v_pk_fma_f32 v[6:7], v[6:7], v[76:77], v[18:19] op_sel:[0,0,1] op_sel_hi:[1,0,0]
	v_mov_b32_e32 v21, v7
	v_pk_add_f32 v[6:7], v[16:17], v[20:21]
	v_mov_b32_e32 v16, v75
	v_pk_mul_f32 v[16:17], v[8:9], v[16:17] op_sel_hi:[1,0]
	v_pk_fma_f32 v[18:19], v[8:9], v[74:75], v[16:17] op_sel:[0,0,1] op_sel_hi:[1,1,0] neg_lo:[0,0,1] neg_hi:[0,0,1]
	v_pk_fma_f32 v[8:9], v[8:9], v[74:75], v[16:17] op_sel:[0,0,1] op_sel_hi:[1,0,0]
	v_mov_b32_e32 v8, v73
	v_mov_b32_e32 v19, v9
	s_waitcnt lgkmcnt(1)
	v_pk_mul_f32 v[8:9], v[10:11], v[8:9] op_sel_hi:[1,0]
	v_pk_fma_f32 v[16:17], v[10:11], v[72:73], v[8:9] op_sel:[0,0,1] op_sel_hi:[1,1,0] neg_lo:[0,0,1] neg_hi:[0,0,1]
	v_pk_fma_f32 v[8:9], v[10:11], v[72:73], v[8:9] op_sel:[0,0,1] op_sel_hi:[1,0,0]
	s_waitcnt vmcnt(1)
	v_mov_b32_e32 v8, v179
	v_mov_b32_e32 v17, v9
	v_pk_mul_f32 v[8:9], v[12:13], v[8:9] op_sel_hi:[1,0]
	s_waitcnt vmcnt(0)
	v_pk_fma_f32 v[10:11], v[12:13], v[178:179], v[8:9] op_sel:[0,0,1] op_sel_hi:[1,1,0] neg_lo:[0,0,1] neg_hi:[0,0,1]
	v_pk_fma_f32 v[8:9], v[12:13], v[178:179], v[8:9] op_sel:[0,0,1] op_sel_hi:[1,0,0]
	v_pk_add_f32 v[6:7], v[6:7], v[18:19]
	v_mov_b32_e32 v8, v177
	v_pk_add_f32 v[6:7], v[6:7], v[16:17]
	v_mov_b32_e32 v11, v9
	s_waitcnt lgkmcnt(0)
	v_pk_mul_f32 v[8:9], v[14:15], v[8:9] op_sel_hi:[1,0]
	v_pk_add_f32 v[6:7], v[6:7], v[10:11]
	v_pk_fma_f32 v[10:11], v[14:15], v[176:177], v[8:9] op_sel:[0,0,1] op_sel_hi:[1,1,0] neg_lo:[0,0,1] neg_hi:[0,0,1]
	v_pk_fma_f32 v[8:9], v[14:15], v[176:177], v[8:9] op_sel:[0,0,1] op_sel_hi:[1,0,0]
	v_mov_b32_e32 v11, v9
	v_pk_add_f32 v[6:7], v[6:7], v[10:11]
	v_pk_add_f32 v[2:3], v[2:3], v[6:7] neg_lo:[0,1] neg_hi:[0,1]
	buffer_store_dword v3, off, s[0:3], 0 offset:116
	buffer_store_dword v2, off, s[0:3], 0 offset:112
	s_and_saveexec_b64 s[4:5], vcc
	s_cbranch_execz .LBB47_275
; %bb.274:
	buffer_load_dword v2, off, s[0:3], 0 offset:104
	buffer_load_dword v3, off, s[0:3], 0 offset:108
	v_accvgpr_read_b32 v1, a20
	buffer_store_dword v4, off, s[0:3], 0 offset:104
	buffer_store_dword v4, off, s[0:3], 0 offset:108
	s_waitcnt vmcnt(2)
	ds_write_b64 v1, v[2:3]
.LBB47_275:
	s_or_b64 exec, exec, s[4:5]
	s_waitcnt lgkmcnt(0)
	; wave barrier
	s_waitcnt lgkmcnt(0)
	buffer_load_dword v5, off, s[0:3], 0 offset:116
	buffer_load_dword v64, off, s[0:3], 0 offset:124
	;; [unrolled: 1-line block ×42, first 2 shown]
	ds_read_b128 v[6:9], v4 offset:496
	ds_read_b128 v[10:13], v4 offset:512
	buffer_load_dword v216, off, s[0:3], 0 offset:272
	buffer_load_dword v217, off, s[0:3], 0 offset:276
	ds_read_b128 v[14:17], v4 offset:528
	ds_read_b128 v[18:21], v4 offset:544
	buffer_load_dword v218, off, s[0:3], 0 offset:280
	buffer_load_dword v219, off, s[0:3], 0 offset:284
	;; [unrolled: 1-line block ×4, first 2 shown]
	ds_read_b128 v[22:25], v4 offset:560
	ds_read_b128 v[26:29], v4 offset:576
	buffer_load_dword v222, off, s[0:3], 0 offset:296
	buffer_load_dword v223, off, s[0:3], 0 offset:300
	;; [unrolled: 1-line block ×6, first 2 shown]
	v_cmp_lt_u32_e32 vcc, 12, v0
	s_waitcnt vmcnt(53) lgkmcnt(5)
	v_mul_f32_e32 v30, v6, v5
	s_waitcnt vmcnt(52)
	v_mul_f32_e32 v31, v8, v64
	s_waitcnt vmcnt(51) lgkmcnt(4)
	v_mul_f32_e32 v32, v10, v66
	s_waitcnt vmcnt(50)
	v_mul_f32_e32 v33, v12, v68
	;; [unrolled: 4-line block ×5, first 2 shown]
	s_waitcnt vmcnt(43)
	v_fmac_f32_e32 v30, v7, v186
	s_waitcnt vmcnt(42)
	v_fmac_f32_e32 v31, v9, v187
	v_add_f32_e32 v30, 0, v30
	s_waitcnt vmcnt(41)
	v_fmac_f32_e32 v32, v11, v188
	v_add_f32_e32 v30, v30, v31
	;; [unrolled: 3-line block ×9, first 2 shown]
	s_waitcnt vmcnt(33) lgkmcnt(0)
	v_mul_f32_e32 v31, v26, v196
	v_add_f32_e32 v30, v30, v39
	s_waitcnt vmcnt(32)
	v_fmac_f32_e32 v31, v27, v197
	v_add_f32_e32 v34, v30, v31
	ds_read_b128 v[30:33], v4 offset:592
	s_waitcnt vmcnt(31)
	v_mul_f32_e32 v35, v28, v198
	s_waitcnt vmcnt(30)
	v_fmac_f32_e32 v35, v29, v199
	v_add_f32_e32 v38, v34, v35
	ds_read_b128 v[34:37], v4 offset:608
	s_waitcnt vmcnt(29) lgkmcnt(1)
	v_mul_f32_e32 v39, v30, v200
	s_waitcnt vmcnt(28)
	v_fmac_f32_e32 v39, v31, v201
	v_add_f32_e32 v38, v38, v39
	s_waitcnt vmcnt(27)
	v_mul_f32_e32 v39, v32, v202
	s_waitcnt vmcnt(26)
	v_fmac_f32_e32 v39, v33, v203
	v_add_f32_e32 v38, v38, v39
	s_waitcnt vmcnt(25) lgkmcnt(0)
	v_mul_f32_e32 v39, v34, v204
	s_waitcnt vmcnt(24)
	v_fmac_f32_e32 v39, v35, v205
	v_add_f32_e32 v42, v38, v39
	ds_read_b128 v[38:41], v4 offset:624
	s_waitcnt vmcnt(23)
	v_mul_f32_e32 v43, v36, v206
	s_waitcnt vmcnt(22)
	v_fmac_f32_e32 v43, v37, v207
	v_add_f32_e32 v46, v42, v43
	ds_read_b128 v[42:45], v4 offset:640
	s_waitcnt vmcnt(21) lgkmcnt(1)
	v_mul_f32_e32 v47, v38, v208
	s_waitcnt vmcnt(20)
	v_fmac_f32_e32 v47, v39, v209
	v_add_f32_e32 v46, v46, v47
	s_waitcnt vmcnt(18)
	v_mul_f32_e32 v47, v40, v211
	v_fmac_f32_e32 v47, v41, v210
	v_add_f32_e32 v46, v46, v47
	s_waitcnt vmcnt(15) lgkmcnt(0)
	v_mul_f32_e32 v47, v42, v212
	s_waitcnt vmcnt(14)
	v_fmac_f32_e32 v47, v43, v213
	v_add_f32_e32 v50, v46, v47
	ds_read_b128 v[46:49], v4 offset:656
	s_waitcnt vmcnt(12)
	v_mul_f32_e32 v51, v44, v215
	v_fmac_f32_e32 v51, v45, v214
	v_add_f32_e32 v54, v50, v51
	ds_read_b128 v[50:53], v4 offset:672
	buffer_load_dword v63, off, s[0:3], 0 offset:324
	buffer_load_dword v62, off, s[0:3], 0 offset:320
	s_waitcnt vmcnt(12) lgkmcnt(1)
	v_mul_f32_e32 v55, v46, v217
	v_fmac_f32_e32 v55, v47, v216
	v_add_f32_e32 v54, v54, v55
	s_waitcnt vmcnt(10)
	v_mul_f32_e32 v55, v48, v219
	v_fmac_f32_e32 v55, v49, v218
	v_add_f32_e32 v54, v54, v55
	s_waitcnt vmcnt(8) lgkmcnt(0)
	v_mul_f32_e32 v55, v50, v221
	v_fmac_f32_e32 v55, v51, v220
	s_waitcnt vmcnt(6)
	v_mul_f32_e32 v59, v52, v223
	v_add_f32_e32 v58, v54, v55
	v_fmac_f32_e32 v59, v53, v222
	ds_read_b128 v[54:57], v4 offset:688
	v_add_f32_e32 v65, v58, v59
	ds_read_b128 v[58:61], v4 offset:704
	buffer_load_dword v71, off, s[0:3], 0 offset:356
	buffer_load_dword v70, off, s[0:3], 0 offset:352
	buffer_load_dword v73, off, s[0:3], 0 offset:348
	buffer_load_dword v72, off, s[0:3], 0 offset:344
	buffer_load_dword v75, off, s[0:3], 0 offset:340
	buffer_load_dword v74, off, s[0:3], 0 offset:336
	buffer_load_dword v77, off, s[0:3], 0 offset:332
	buffer_load_dword v76, off, s[0:3], 0 offset:328
	buffer_load_dword v175, off, s[0:3], 0 offset:380
	buffer_load_dword v174, off, s[0:3], 0 offset:376
	buffer_load_dword v177, off, s[0:3], 0 offset:372
	buffer_load_dword v176, off, s[0:3], 0 offset:368
	buffer_load_dword v179, off, s[0:3], 0 offset:364
	buffer_load_dword v178, off, s[0:3], 0 offset:360
	v_mul_f32_e32 v5, v7, v5
	v_fma_f32 v5, v6, v186, -v5
	v_mul_f32_e32 v6, v9, v64
	v_add_f32_e32 v5, 0, v5
	v_fma_f32 v6, v8, v187, -v6
	v_add_f32_e32 v5, v5, v6
	v_mul_f32_e32 v6, v11, v66
	v_fma_f32 v6, v10, v188, -v6
	v_add_f32_e32 v5, v5, v6
	v_mul_f32_e32 v6, v13, v68
	;; [unrolled: 3-line block ×22, first 2 shown]
	v_fma_f32 v6, v52, v222, -v6
	s_waitcnt vmcnt(15)
	v_mov_b32_e32 v18, v63
	s_waitcnt lgkmcnt(1)
	v_mul_f32_e32 v67, v54, v225
	v_add_f32_e32 v64, v5, v6
	v_mul_f32_e32 v5, v55, v225
	s_waitcnt lgkmcnt(0)
	v_pk_mul_f32 v[18:19], v[58:59], v[18:19] op_sel_hi:[1,0]
	v_fmac_f32_e32 v67, v55, v224
	v_mul_f32_e32 v69, v56, v227
	v_fma_f32 v66, v54, v224, -v5
	v_mul_f32_e32 v5, v57, v227
	s_waitcnt vmcnt(14)
	v_pk_fma_f32 v[20:21], v[58:59], v[62:63], v[18:19] op_sel:[0,0,1] op_sel_hi:[1,1,0] neg_lo:[0,0,1] neg_hi:[0,0,1]
	v_pk_fma_f32 v[18:19], v[58:59], v[62:63], v[18:19] op_sel:[0,0,1] op_sel_hi:[1,0,0]
	v_fmac_f32_e32 v69, v57, v226
	v_fma_f32 v68, v56, v226, -v5
	ds_read_b128 v[6:9], v4 offset:720
	ds_read_b128 v[10:13], v4 offset:736
	;; [unrolled: 1-line block ×3, first 2 shown]
	v_pk_add_f32 v[4:5], v[64:65], v[66:67]
	s_waitcnt vmcnt(7)
	v_mov_b32_e32 v18, v77
	v_pk_add_f32 v[4:5], v[4:5], v[68:69]
	v_mov_b32_e32 v21, v19
	v_pk_mul_f32 v[18:19], v[60:61], v[18:19] op_sel_hi:[1,0]
	v_pk_add_f32 v[4:5], v[4:5], v[20:21]
	s_waitcnt vmcnt(6)
	v_pk_fma_f32 v[20:21], v[60:61], v[76:77], v[18:19] op_sel:[0,0,1] op_sel_hi:[1,1,0] neg_lo:[0,0,1] neg_hi:[0,0,1]
	v_pk_fma_f32 v[18:19], v[60:61], v[76:77], v[18:19] op_sel:[0,0,1] op_sel_hi:[1,0,0]
	v_mov_b32_e32 v18, v75
	v_mov_b32_e32 v21, v19
	s_waitcnt lgkmcnt(2)
	v_pk_mul_f32 v[18:19], v[6:7], v[18:19] op_sel_hi:[1,0]
	v_pk_add_f32 v[4:5], v[4:5], v[20:21]
	v_pk_fma_f32 v[20:21], v[6:7], v[74:75], v[18:19] op_sel:[0,0,1] op_sel_hi:[1,1,0] neg_lo:[0,0,1] neg_hi:[0,0,1]
	v_pk_fma_f32 v[6:7], v[6:7], v[74:75], v[18:19] op_sel:[0,0,1] op_sel_hi:[1,0,0]
	v_mov_b32_e32 v6, v73
	v_mov_b32_e32 v21, v7
	v_pk_mul_f32 v[6:7], v[8:9], v[6:7] op_sel_hi:[1,0]
	v_pk_fma_f32 v[18:19], v[8:9], v[72:73], v[6:7] op_sel:[0,0,1] op_sel_hi:[1,1,0] neg_lo:[0,0,1] neg_hi:[0,0,1]
	v_pk_fma_f32 v[6:7], v[8:9], v[72:73], v[6:7] op_sel:[0,0,1] op_sel_hi:[1,0,0]
	v_mov_b32_e32 v6, v71
	v_mov_b32_e32 v19, v7
	s_waitcnt lgkmcnt(1)
	v_pk_mul_f32 v[6:7], v[10:11], v[6:7] op_sel_hi:[1,0]
	v_pk_fma_f32 v[8:9], v[10:11], v[70:71], v[6:7] op_sel:[0,0,1] op_sel_hi:[1,1,0] neg_lo:[0,0,1] neg_hi:[0,0,1]
	v_pk_fma_f32 v[6:7], v[10:11], v[70:71], v[6:7] op_sel:[0,0,1] op_sel_hi:[1,0,0]
	v_pk_add_f32 v[4:5], v[4:5], v[20:21]
	s_waitcnt vmcnt(1)
	v_mov_b32_e32 v6, v179
	v_pk_add_f32 v[4:5], v[4:5], v[18:19]
	v_mov_b32_e32 v9, v7
	v_pk_mul_f32 v[6:7], v[12:13], v[6:7] op_sel_hi:[1,0]
	v_pk_add_f32 v[4:5], v[4:5], v[8:9]
	s_waitcnt vmcnt(0)
	v_pk_fma_f32 v[8:9], v[12:13], v[178:179], v[6:7] op_sel:[0,0,1] op_sel_hi:[1,1,0] neg_lo:[0,0,1] neg_hi:[0,0,1]
	v_pk_fma_f32 v[6:7], v[12:13], v[178:179], v[6:7] op_sel:[0,0,1] op_sel_hi:[1,0,0]
	v_mov_b32_e32 v6, v177
	v_mov_b32_e32 v9, v7
	s_waitcnt lgkmcnt(0)
	v_pk_mul_f32 v[6:7], v[14:15], v[6:7] op_sel_hi:[1,0]
	v_pk_add_f32 v[4:5], v[4:5], v[8:9]
	v_pk_fma_f32 v[8:9], v[14:15], v[176:177], v[6:7] op_sel:[0,0,1] op_sel_hi:[1,1,0] neg_lo:[0,0,1] neg_hi:[0,0,1]
	v_pk_fma_f32 v[6:7], v[14:15], v[176:177], v[6:7] op_sel:[0,0,1] op_sel_hi:[1,0,0]
	v_mov_b32_e32 v6, v175
	v_mov_b32_e32 v9, v7
	v_pk_mul_f32 v[6:7], v[16:17], v[6:7] op_sel_hi:[1,0]
	v_pk_add_f32 v[4:5], v[4:5], v[8:9]
	v_pk_fma_f32 v[8:9], v[16:17], v[174:175], v[6:7] op_sel:[0,0,1] op_sel_hi:[1,1,0] neg_lo:[0,0,1] neg_hi:[0,0,1]
	v_pk_fma_f32 v[6:7], v[16:17], v[174:175], v[6:7] op_sel:[0,0,1] op_sel_hi:[1,0,0]
	v_mov_b32_e32 v9, v7
	v_pk_add_f32 v[4:5], v[4:5], v[8:9]
	v_pk_add_f32 v[2:3], v[2:3], v[4:5] neg_lo:[0,1] neg_hi:[0,1]
	buffer_store_dword v3, off, s[0:3], 0 offset:108
	buffer_store_dword v2, off, s[0:3], 0 offset:104
	s_and_saveexec_b64 s[4:5], vcc
	s_cbranch_execz .LBB47_277
; %bb.276:
	buffer_load_dword v2, off, s[0:3], 0 offset:96
	buffer_load_dword v3, off, s[0:3], 0 offset:100
	v_mov_b32_e32 v4, 0
	v_accvgpr_read_b32 v1, a20
	buffer_store_dword v4, off, s[0:3], 0 offset:96
	buffer_store_dword v4, off, s[0:3], 0 offset:100
	s_waitcnt vmcnt(2)
	ds_write_b64 v1, v[2:3]
.LBB47_277:
	s_or_b64 exec, exec, s[4:5]
	s_waitcnt lgkmcnt(0)
	; wave barrier
	s_waitcnt lgkmcnt(0)
	buffer_load_dword v5, off, s[0:3], 0 offset:108
	buffer_load_dword v62, off, s[0:3], 0 offset:116
	;; [unrolled: 1-line block ×56, first 2 shown]
	v_mov_b32_e32 v4, 0
	ds_read2_b64 v[6:9], v4 offset0:61 offset1:62
	ds_read2_b64 v[10:13], v4 offset0:63 offset1:64
	;; [unrolled: 1-line block ×6, first 2 shown]
	v_cmp_lt_u32_e32 vcc, 11, v0
	s_waitcnt vmcnt(55) lgkmcnt(5)
	v_mul_f32_e32 v30, v6, v5
	s_waitcnt vmcnt(54)
	v_mul_f32_e32 v31, v8, v62
	s_waitcnt vmcnt(53) lgkmcnt(4)
	v_mul_f32_e32 v32, v10, v64
	s_waitcnt vmcnt(52)
	v_mul_f32_e32 v33, v12, v66
	;; [unrolled: 4-line block ×4, first 2 shown]
	s_waitcnt vmcnt(47) lgkmcnt(1)
	v_mul_f32_e32 v38, v22, v184
	s_waitcnt vmcnt(46)
	v_fmac_f32_e32 v30, v7, v185
	s_waitcnt vmcnt(45)
	v_fmac_f32_e32 v31, v9, v186
	v_add_f32_e32 v30, 0, v30
	s_waitcnt vmcnt(44)
	v_fmac_f32_e32 v32, v11, v187
	v_add_f32_e32 v30, v30, v31
	;; [unrolled: 3-line block ×7, first 2 shown]
	v_add_f32_e32 v30, v30, v37
	s_waitcnt vmcnt(38)
	v_fmac_f32_e32 v38, v23, v193
	s_waitcnt vmcnt(37)
	v_mul_f32_e32 v31, v24, v194
	v_add_f32_e32 v30, v30, v38
	s_waitcnt vmcnt(36)
	v_fmac_f32_e32 v31, v25, v195
	v_add_f32_e32 v30, v30, v31
	s_waitcnt vmcnt(35) lgkmcnt(0)
	v_mul_f32_e32 v31, v26, v196
	s_waitcnt vmcnt(34)
	v_fmac_f32_e32 v31, v27, v197
	v_add_f32_e32 v34, v30, v31
	ds_read2_b64 v[30:33], v4 offset0:73 offset1:74
	s_waitcnt vmcnt(33)
	v_mul_f32_e32 v35, v28, v198
	s_waitcnt vmcnt(32)
	v_fmac_f32_e32 v35, v29, v199
	v_add_f32_e32 v38, v34, v35
	ds_read2_b64 v[34:37], v4 offset0:75 offset1:76
	s_waitcnt vmcnt(31) lgkmcnt(1)
	v_mul_f32_e32 v39, v30, v200
	s_waitcnt vmcnt(30)
	v_fmac_f32_e32 v39, v31, v201
	v_add_f32_e32 v38, v38, v39
	s_waitcnt vmcnt(29)
	v_mul_f32_e32 v39, v32, v202
	s_waitcnt vmcnt(28)
	v_fmac_f32_e32 v39, v33, v203
	v_add_f32_e32 v38, v38, v39
	s_waitcnt vmcnt(27) lgkmcnt(0)
	v_mul_f32_e32 v39, v34, v204
	s_waitcnt vmcnt(26)
	v_fmac_f32_e32 v39, v35, v205
	v_add_f32_e32 v42, v38, v39
	ds_read2_b64 v[38:41], v4 offset0:77 offset1:78
	s_waitcnt vmcnt(24)
	v_mul_f32_e32 v43, v36, v207
	v_fmac_f32_e32 v43, v37, v206
	v_add_f32_e32 v46, v42, v43
	ds_read2_b64 v[42:45], v4 offset0:79 offset1:80
	s_waitcnt vmcnt(20) lgkmcnt(1)
	v_mul_f32_e32 v47, v38, v209
	v_fmac_f32_e32 v47, v39, v208
	v_add_f32_e32 v46, v46, v47
	s_waitcnt vmcnt(18)
	v_mul_f32_e32 v47, v40, v211
	v_fmac_f32_e32 v47, v41, v210
	v_add_f32_e32 v46, v46, v47
	s_waitcnt vmcnt(16) lgkmcnt(0)
	v_mul_f32_e32 v47, v42, v213
	v_fmac_f32_e32 v47, v43, v212
	v_add_f32_e32 v50, v46, v47
	ds_read2_b64 v[46:49], v4 offset0:81 offset1:82
	s_waitcnt vmcnt(14)
	v_mul_f32_e32 v51, v44, v215
	v_fmac_f32_e32 v51, v45, v214
	v_add_f32_e32 v54, v50, v51
	ds_read2_b64 v[50:53], v4 offset0:83 offset1:84
	s_waitcnt vmcnt(12) lgkmcnt(1)
	v_mul_f32_e32 v55, v46, v217
	v_fmac_f32_e32 v55, v47, v216
	v_add_f32_e32 v54, v54, v55
	s_waitcnt vmcnt(10)
	v_mul_f32_e32 v55, v48, v219
	v_fmac_f32_e32 v55, v49, v218
	v_add_f32_e32 v54, v54, v55
	s_waitcnt vmcnt(8) lgkmcnt(0)
	v_mul_f32_e32 v55, v50, v221
	v_fmac_f32_e32 v55, v51, v220
	s_waitcnt vmcnt(6)
	v_mul_f32_e32 v59, v52, v223
	v_add_f32_e32 v58, v54, v55
	v_fmac_f32_e32 v59, v53, v222
	ds_read2_b64 v[54:57], v4 offset0:85 offset1:86
	v_add_f32_e32 v63, v58, v59
	ds_read2_b64 v[58:61], v4 offset0:87 offset1:88
	buffer_load_dword v69, off, s[0:3], 0 offset:348
	buffer_load_dword v68, off, s[0:3], 0 offset:344
	;; [unrolled: 1-line block ×16, first 2 shown]
	v_mul_f32_e32 v5, v7, v5
	v_fma_f32 v5, v6, v185, -v5
	v_mul_f32_e32 v6, v9, v62
	v_add_f32_e32 v5, 0, v5
	v_fma_f32 v6, v8, v186, -v6
	v_add_f32_e32 v5, v5, v6
	v_mul_f32_e32 v6, v11, v64
	v_fma_f32 v6, v10, v187, -v6
	v_add_f32_e32 v5, v5, v6
	v_mul_f32_e32 v6, v13, v66
	;; [unrolled: 3-line block ×22, first 2 shown]
	v_fma_f32 v6, v52, v222, -v6
	s_waitcnt vmcnt(20) lgkmcnt(1)
	v_mul_f32_e32 v65, v54, v225
	v_add_f32_e32 v5, v5, v6
	v_mul_f32_e32 v6, v55, v225
	v_fmac_f32_e32 v65, v55, v224
	v_fma_f32 v6, v54, v224, -v6
	s_waitcnt vmcnt(9)
	v_mov_b32_e32 v22, v75
	v_add_f32_e32 v63, v63, v65
	v_mul_f32_e32 v65, v56, v227
	v_add_f32_e32 v62, v5, v6
	v_mul_f32_e32 v5, v57, v227
	s_waitcnt lgkmcnt(0)
	v_pk_mul_f32 v[22:23], v[60:61], v[22:23] op_sel_hi:[1,0]
	v_fmac_f32_e32 v65, v57, v226
	v_mul_f32_e32 v67, v58, v229
	v_fma_f32 v64, v56, v226, -v5
	v_mul_f32_e32 v5, v59, v229
	ds_read2_b64 v[6:9], v4 offset0:89 offset1:90
	ds_read2_b64 v[10:13], v4 offset0:91 offset1:92
	;; [unrolled: 1-line block ×3, first 2 shown]
	ds_read_b64 v[18:19], v4 offset:760
	s_waitcnt vmcnt(8)
	v_pk_fma_f32 v[24:25], v[60:61], v[74:75], v[22:23] op_sel:[0,0,1] op_sel_hi:[1,1,0] neg_lo:[0,0,1] neg_hi:[0,0,1]
	v_pk_fma_f32 v[22:23], v[60:61], v[74:75], v[22:23] op_sel:[0,0,1] op_sel_hi:[1,0,0]
	v_fmac_f32_e32 v67, v59, v228
	v_fma_f32 v66, v58, v228, -v5
	v_pk_add_f32 v[20:21], v[62:63], v[64:65]
	v_mov_b32_e32 v22, v73
	v_pk_add_f32 v[20:21], v[20:21], v[66:67]
	v_mov_b32_e32 v25, v23
	s_waitcnt lgkmcnt(3)
	v_pk_mul_f32 v[22:23], v[6:7], v[22:23] op_sel_hi:[1,0]
	v_pk_add_f32 v[20:21], v[20:21], v[24:25]
	v_pk_fma_f32 v[24:25], v[6:7], v[72:73], v[22:23] op_sel:[0,0,1] op_sel_hi:[1,1,0] neg_lo:[0,0,1] neg_hi:[0,0,1]
	v_pk_fma_f32 v[6:7], v[6:7], v[72:73], v[22:23] op_sel:[0,0,1] op_sel_hi:[1,0,0]
	v_mov_b32_e32 v25, v7
	v_pk_add_f32 v[6:7], v[20:21], v[24:25]
	v_mov_b32_e32 v20, v71
	v_pk_mul_f32 v[20:21], v[8:9], v[20:21] op_sel_hi:[1,0]
	v_pk_fma_f32 v[22:23], v[8:9], v[70:71], v[20:21] op_sel:[0,0,1] op_sel_hi:[1,1,0] neg_lo:[0,0,1] neg_hi:[0,0,1]
	v_pk_fma_f32 v[8:9], v[8:9], v[70:71], v[20:21] op_sel:[0,0,1] op_sel_hi:[1,0,0]
	v_mov_b32_e32 v8, v69
	v_mov_b32_e32 v23, v9
	s_waitcnt lgkmcnt(2)
	v_pk_mul_f32 v[8:9], v[10:11], v[8:9] op_sel_hi:[1,0]
	v_pk_fma_f32 v[20:21], v[10:11], v[68:69], v[8:9] op_sel:[0,0,1] op_sel_hi:[1,1,0] neg_lo:[0,0,1] neg_hi:[0,0,1]
	v_pk_fma_f32 v[8:9], v[10:11], v[68:69], v[8:9] op_sel:[0,0,1] op_sel_hi:[1,0,0]
	s_waitcnt vmcnt(1)
	v_mov_b32_e32 v8, v179
	v_mov_b32_e32 v21, v9
	v_pk_mul_f32 v[8:9], v[12:13], v[8:9] op_sel_hi:[1,0]
	s_waitcnt vmcnt(0)
	v_pk_fma_f32 v[10:11], v[12:13], v[178:179], v[8:9] op_sel:[0,0,1] op_sel_hi:[1,1,0] neg_lo:[0,0,1] neg_hi:[0,0,1]
	v_pk_fma_f32 v[8:9], v[12:13], v[178:179], v[8:9] op_sel:[0,0,1] op_sel_hi:[1,0,0]
	v_pk_add_f32 v[6:7], v[6:7], v[22:23]
	v_mov_b32_e32 v8, v177
	v_pk_add_f32 v[6:7], v[6:7], v[20:21]
	v_mov_b32_e32 v11, v9
	s_waitcnt lgkmcnt(1)
	v_pk_mul_f32 v[8:9], v[14:15], v[8:9] op_sel_hi:[1,0]
	v_pk_add_f32 v[6:7], v[6:7], v[10:11]
	v_pk_fma_f32 v[10:11], v[14:15], v[176:177], v[8:9] op_sel:[0,0,1] op_sel_hi:[1,1,0] neg_lo:[0,0,1] neg_hi:[0,0,1]
	v_pk_fma_f32 v[8:9], v[14:15], v[176:177], v[8:9] op_sel:[0,0,1] op_sel_hi:[1,0,0]
	v_mov_b32_e32 v8, v175
	v_mov_b32_e32 v11, v9
	v_pk_mul_f32 v[8:9], v[16:17], v[8:9] op_sel_hi:[1,0]
	v_pk_add_f32 v[6:7], v[6:7], v[10:11]
	v_pk_fma_f32 v[10:11], v[16:17], v[174:175], v[8:9] op_sel:[0,0,1] op_sel_hi:[1,1,0] neg_lo:[0,0,1] neg_hi:[0,0,1]
	v_pk_fma_f32 v[8:9], v[16:17], v[174:175], v[8:9] op_sel:[0,0,1] op_sel_hi:[1,0,0]
	v_mov_b32_e32 v8, v77
	v_mov_b32_e32 v11, v9
	s_waitcnt lgkmcnt(0)
	v_pk_mul_f32 v[8:9], v[18:19], v[8:9] op_sel_hi:[1,0]
	v_pk_add_f32 v[6:7], v[6:7], v[10:11]
	v_pk_fma_f32 v[10:11], v[18:19], v[76:77], v[8:9] op_sel:[0,0,1] op_sel_hi:[1,1,0] neg_lo:[0,0,1] neg_hi:[0,0,1]
	v_pk_fma_f32 v[8:9], v[18:19], v[76:77], v[8:9] op_sel:[0,0,1] op_sel_hi:[1,0,0]
	v_mov_b32_e32 v11, v9
	v_pk_add_f32 v[6:7], v[6:7], v[10:11]
	v_pk_add_f32 v[2:3], v[2:3], v[6:7] neg_lo:[0,1] neg_hi:[0,1]
	buffer_store_dword v3, off, s[0:3], 0 offset:100
	buffer_store_dword v2, off, s[0:3], 0 offset:96
	s_and_saveexec_b64 s[4:5], vcc
	s_cbranch_execz .LBB47_279
; %bb.278:
	buffer_load_dword v2, off, s[0:3], 0 offset:88
	buffer_load_dword v3, off, s[0:3], 0 offset:92
	v_accvgpr_read_b32 v1, a20
	buffer_store_dword v4, off, s[0:3], 0 offset:88
	buffer_store_dword v4, off, s[0:3], 0 offset:92
	s_waitcnt vmcnt(2)
	ds_write_b64 v1, v[2:3]
.LBB47_279:
	s_or_b64 exec, exec, s[4:5]
	s_waitcnt lgkmcnt(0)
	; wave barrier
	s_waitcnt lgkmcnt(0)
	buffer_load_dword v5, off, s[0:3], 0 offset:100
	buffer_load_dword v62, off, s[0:3], 0 offset:108
	;; [unrolled: 1-line block ×36, first 2 shown]
	ds_read_b128 v[6:9], v4 offset:480
	ds_read_b128 v[10:13], v4 offset:496
	buffer_load_dword v210, off, s[0:3], 0 offset:232
	buffer_load_dword v211, off, s[0:3], 0 offset:236
	;; [unrolled: 1-line block ×4, first 2 shown]
	ds_read_b128 v[14:17], v4 offset:512
	ds_read_b128 v[18:21], v4 offset:528
	buffer_load_dword v214, off, s[0:3], 0 offset:248
	buffer_load_dword v215, off, s[0:3], 0 offset:252
	ds_read_b128 v[22:25], v4 offset:544
	ds_read_b128 v[26:29], v4 offset:560
	buffer_load_dword v216, off, s[0:3], 0 offset:256
	buffer_load_dword v217, off, s[0:3], 0 offset:260
	;; [unrolled: 1-line block ×16, first 2 shown]
	v_cmp_lt_u32_e32 vcc, 10, v0
	s_waitcnt vmcnt(57) lgkmcnt(5)
	v_mul_f32_e32 v30, v6, v5
	s_waitcnt vmcnt(56)
	v_mul_f32_e32 v31, v8, v62
	s_waitcnt vmcnt(55) lgkmcnt(4)
	v_mul_f32_e32 v32, v10, v64
	s_waitcnt vmcnt(54)
	v_mul_f32_e32 v33, v12, v72
	;; [unrolled: 4-line block ×4, first 2 shown]
	s_waitcnt vmcnt(49)
	v_fmac_f32_e32 v30, v7, v184
	s_waitcnt vmcnt(48)
	v_fmac_f32_e32 v31, v9, v185
	v_add_f32_e32 v30, 0, v30
	s_waitcnt vmcnt(47)
	v_fmac_f32_e32 v32, v11, v186
	v_add_f32_e32 v30, v30, v31
	;; [unrolled: 3-line block ×7, first 2 shown]
	s_waitcnt vmcnt(41) lgkmcnt(1)
	v_mul_f32_e32 v31, v22, v192
	v_add_f32_e32 v30, v30, v37
	s_waitcnt vmcnt(40)
	v_fmac_f32_e32 v31, v23, v193
	v_add_f32_e32 v30, v30, v31
	s_waitcnt vmcnt(39)
	v_mul_f32_e32 v31, v24, v194
	s_waitcnt vmcnt(38)
	v_fmac_f32_e32 v31, v25, v195
	v_add_f32_e32 v30, v30, v31
	s_waitcnt vmcnt(37) lgkmcnt(0)
	v_mul_f32_e32 v31, v26, v196
	s_waitcnt vmcnt(36)
	v_fmac_f32_e32 v31, v27, v197
	v_add_f32_e32 v34, v30, v31
	ds_read_b128 v[30:33], v4 offset:576
	s_waitcnt vmcnt(35)
	v_mul_f32_e32 v35, v28, v198
	s_waitcnt vmcnt(34)
	v_fmac_f32_e32 v35, v29, v199
	v_add_f32_e32 v38, v34, v35
	ds_read_b128 v[34:37], v4 offset:592
	s_waitcnt vmcnt(33) lgkmcnt(1)
	v_mul_f32_e32 v39, v30, v200
	s_waitcnt vmcnt(32)
	v_fmac_f32_e32 v39, v31, v201
	v_add_f32_e32 v38, v38, v39
	s_waitcnt vmcnt(31)
	v_mul_f32_e32 v39, v32, v202
	s_waitcnt vmcnt(30)
	v_fmac_f32_e32 v39, v33, v203
	v_add_f32_e32 v38, v38, v39
	s_waitcnt vmcnt(29) lgkmcnt(0)
	v_mul_f32_e32 v39, v34, v204
	s_waitcnt vmcnt(28)
	v_fmac_f32_e32 v39, v35, v205
	v_add_f32_e32 v42, v38, v39
	ds_read_b128 v[38:41], v4 offset:608
	s_waitcnt vmcnt(25)
	v_mul_f32_e32 v43, v36, v206
	s_waitcnt vmcnt(24)
	v_fmac_f32_e32 v43, v37, v207
	v_add_f32_e32 v46, v42, v43
	ds_read_b128 v[42:45], v4 offset:624
	s_waitcnt vmcnt(22) lgkmcnt(1)
	v_mul_f32_e32 v47, v38, v209
	v_fmac_f32_e32 v47, v39, v208
	v_add_f32_e32 v46, v46, v47
	s_waitcnt vmcnt(20)
	v_mul_f32_e32 v47, v40, v211
	v_fmac_f32_e32 v47, v41, v210
	v_add_f32_e32 v46, v46, v47
	s_waitcnt vmcnt(18) lgkmcnt(0)
	v_mul_f32_e32 v47, v42, v213
	v_fmac_f32_e32 v47, v43, v212
	v_add_f32_e32 v50, v46, v47
	ds_read_b128 v[46:49], v4 offset:640
	s_waitcnt vmcnt(16)
	v_mul_f32_e32 v51, v44, v215
	v_fmac_f32_e32 v51, v45, v214
	v_add_f32_e32 v54, v50, v51
	ds_read_b128 v[50:53], v4 offset:656
	s_waitcnt vmcnt(14) lgkmcnt(1)
	v_mul_f32_e32 v55, v46, v217
	v_fmac_f32_e32 v55, v47, v216
	v_add_f32_e32 v54, v54, v55
	s_waitcnt vmcnt(12)
	v_mul_f32_e32 v55, v48, v219
	v_fmac_f32_e32 v55, v49, v218
	v_add_f32_e32 v54, v54, v55
	s_waitcnt vmcnt(10) lgkmcnt(0)
	v_mul_f32_e32 v55, v50, v221
	v_fmac_f32_e32 v55, v51, v220
	s_waitcnt vmcnt(8)
	v_mul_f32_e32 v59, v52, v223
	v_add_f32_e32 v58, v54, v55
	v_fmac_f32_e32 v59, v53, v222
	ds_read_b128 v[54:57], v4 offset:672
	v_add_f32_e32 v63, v58, v59
	ds_read_b128 v[58:61], v4 offset:688
	buffer_load_dword v67, off, s[0:3], 0 offset:340
	buffer_load_dword v66, off, s[0:3], 0 offset:336
	;; [unrolled: 1-line block ×16, first 2 shown]
	v_mul_f32_e32 v5, v7, v5
	v_fma_f32 v5, v6, v184, -v5
	v_mul_f32_e32 v6, v9, v62
	v_add_f32_e32 v5, 0, v5
	v_fma_f32 v6, v8, v185, -v6
	v_add_f32_e32 v5, v5, v6
	v_mul_f32_e32 v6, v11, v64
	v_fma_f32 v6, v10, v186, -v6
	v_add_f32_e32 v5, v5, v6
	v_mul_f32_e32 v6, v13, v72
	;; [unrolled: 3-line block ×22, first 2 shown]
	v_fma_f32 v6, v52, v222, -v6
	v_add_f32_e32 v5, v5, v6
	s_waitcnt vmcnt(22) lgkmcnt(1)
	v_mul_f32_e32 v6, v55, v225
	v_fma_f32 v6, v54, v224, -v6
	v_add_f32_e32 v5, v5, v6
	s_waitcnt vmcnt(20)
	v_mul_f32_e32 v6, v57, v227
	v_fma_f32 v6, v56, v226, -v6
	v_add_f32_e32 v62, v5, v6
	ds_read_b128 v[6:9], v4 offset:704
	ds_read_b128 v[10:13], v4 offset:720
	;; [unrolled: 1-line block ×4, first 2 shown]
	s_waitcnt vmcnt(11)
	v_mov_b32_e32 v22, v71
	v_mul_f32_e32 v65, v54, v225
	s_waitcnt lgkmcnt(3)
	v_pk_mul_f32 v[22:23], v[6:7], v[22:23] op_sel_hi:[1,0]
	v_fmac_f32_e32 v65, v55, v224
	s_waitcnt vmcnt(10)
	v_pk_fma_f32 v[24:25], v[6:7], v[70:71], v[22:23] op_sel:[0,0,1] op_sel_hi:[1,1,0] neg_lo:[0,0,1] neg_hi:[0,0,1]
	v_pk_fma_f32 v[6:7], v[6:7], v[70:71], v[22:23] op_sel:[0,0,1] op_sel_hi:[1,0,0]
	v_add_f32_e32 v63, v63, v65
	v_mul_f32_e32 v65, v56, v227
	v_mov_b32_e32 v6, v69
	v_fmac_f32_e32 v65, v57, v226
	v_mov_b32_e32 v25, v7
	v_pk_mul_f32 v[6:7], v[8:9], v[6:7] op_sel_hi:[1,0]
	v_add_f32_e32 v63, v63, v65
	v_mul_f32_e32 v65, v58, v229
	v_mul_f32_e32 v5, v59, v229
	v_pk_fma_f32 v[22:23], v[8:9], v[68:69], v[6:7] op_sel:[0,0,1] op_sel_hi:[1,1,0] neg_lo:[0,0,1] neg_hi:[0,0,1]
	v_pk_fma_f32 v[6:7], v[8:9], v[68:69], v[6:7] op_sel:[0,0,1] op_sel_hi:[1,0,0]
	v_fmac_f32_e32 v65, v59, v228
	v_mul_f32_e32 v73, v60, v231
	v_fma_f32 v64, v58, v228, -v5
	v_mul_f32_e32 v5, v61, v231
	v_mov_b32_e32 v6, v67
	v_fmac_f32_e32 v73, v61, v230
	v_fma_f32 v72, v60, v230, -v5
	v_pk_add_f32 v[4:5], v[62:63], v[64:65]
	v_mov_b32_e32 v23, v7
	s_waitcnt lgkmcnt(2)
	v_pk_mul_f32 v[6:7], v[10:11], v[6:7] op_sel_hi:[1,0]
	v_pk_add_f32 v[4:5], v[4:5], v[72:73]
	v_pk_fma_f32 v[8:9], v[10:11], v[66:67], v[6:7] op_sel:[0,0,1] op_sel_hi:[1,1,0] neg_lo:[0,0,1] neg_hi:[0,0,1]
	v_pk_fma_f32 v[6:7], v[10:11], v[66:67], v[6:7] op_sel:[0,0,1] op_sel_hi:[1,0,0]
	v_pk_add_f32 v[4:5], v[4:5], v[24:25]
	s_waitcnt vmcnt(3)
	v_mov_b32_e32 v6, v177
	v_pk_add_f32 v[4:5], v[4:5], v[22:23]
	v_mov_b32_e32 v9, v7
	v_pk_mul_f32 v[6:7], v[12:13], v[6:7] op_sel_hi:[1,0]
	v_pk_add_f32 v[4:5], v[4:5], v[8:9]
	s_waitcnt vmcnt(2)
	v_pk_fma_f32 v[8:9], v[12:13], v[176:177], v[6:7] op_sel:[0,0,1] op_sel_hi:[1,1,0] neg_lo:[0,0,1] neg_hi:[0,0,1]
	v_pk_fma_f32 v[6:7], v[12:13], v[176:177], v[6:7] op_sel:[0,0,1] op_sel_hi:[1,0,0]
	v_mov_b32_e32 v6, v175
	v_mov_b32_e32 v9, v7
	s_waitcnt lgkmcnt(1)
	v_pk_mul_f32 v[6:7], v[14:15], v[6:7] op_sel_hi:[1,0]
	v_pk_add_f32 v[4:5], v[4:5], v[8:9]
	v_pk_fma_f32 v[8:9], v[14:15], v[174:175], v[6:7] op_sel:[0,0,1] op_sel_hi:[1,1,0] neg_lo:[0,0,1] neg_hi:[0,0,1]
	v_pk_fma_f32 v[6:7], v[14:15], v[174:175], v[6:7] op_sel:[0,0,1] op_sel_hi:[1,0,0]
	v_mov_b32_e32 v6, v77
	v_mov_b32_e32 v9, v7
	v_pk_mul_f32 v[6:7], v[16:17], v[6:7] op_sel_hi:[1,0]
	v_pk_add_f32 v[4:5], v[4:5], v[8:9]
	v_pk_fma_f32 v[8:9], v[16:17], v[76:77], v[6:7] op_sel:[0,0,1] op_sel_hi:[1,1,0] neg_lo:[0,0,1] neg_hi:[0,0,1]
	v_pk_fma_f32 v[6:7], v[16:17], v[76:77], v[6:7] op_sel:[0,0,1] op_sel_hi:[1,0,0]
	v_mov_b32_e32 v6, v75
	v_mov_b32_e32 v9, v7
	s_waitcnt lgkmcnt(0)
	v_pk_mul_f32 v[6:7], v[18:19], v[6:7] op_sel_hi:[1,0]
	v_pk_add_f32 v[4:5], v[4:5], v[8:9]
	v_pk_fma_f32 v[8:9], v[18:19], v[74:75], v[6:7] op_sel:[0,0,1] op_sel_hi:[1,1,0] neg_lo:[0,0,1] neg_hi:[0,0,1]
	v_pk_fma_f32 v[6:7], v[18:19], v[74:75], v[6:7] op_sel:[0,0,1] op_sel_hi:[1,0,0]
	s_waitcnt vmcnt(1)
	v_mov_b32_e32 v6, v179
	v_mov_b32_e32 v9, v7
	v_pk_mul_f32 v[6:7], v[20:21], v[6:7] op_sel_hi:[1,0]
	v_pk_add_f32 v[4:5], v[4:5], v[8:9]
	s_waitcnt vmcnt(0)
	v_pk_fma_f32 v[8:9], v[20:21], v[178:179], v[6:7] op_sel:[0,0,1] op_sel_hi:[1,1,0] neg_lo:[0,0,1] neg_hi:[0,0,1]
	v_pk_fma_f32 v[6:7], v[20:21], v[178:179], v[6:7] op_sel:[0,0,1] op_sel_hi:[1,0,0]
	v_mov_b32_e32 v9, v7
	v_pk_add_f32 v[4:5], v[4:5], v[8:9]
	v_pk_add_f32 v[2:3], v[2:3], v[4:5] neg_lo:[0,1] neg_hi:[0,1]
	buffer_store_dword v3, off, s[0:3], 0 offset:92
	buffer_store_dword v2, off, s[0:3], 0 offset:88
	s_and_saveexec_b64 s[4:5], vcc
	s_cbranch_execz .LBB47_281
; %bb.280:
	buffer_load_dword v2, off, s[0:3], 0 offset:80
	buffer_load_dword v3, off, s[0:3], 0 offset:84
	v_mov_b32_e32 v4, 0
	v_accvgpr_read_b32 v1, a20
	buffer_store_dword v4, off, s[0:3], 0 offset:80
	buffer_store_dword v4, off, s[0:3], 0 offset:84
	s_waitcnt vmcnt(2)
	ds_write_b64 v1, v[2:3]
.LBB47_281:
	s_or_b64 exec, exec, s[4:5]
	s_waitcnt lgkmcnt(0)
	; wave barrier
	s_waitcnt lgkmcnt(0)
	buffer_load_dword v17, off, s[0:3], 0 offset:92
	buffer_load_dword v70, off, s[0:3], 0 offset:100
	;; [unrolled: 1-line block ×56, first 2 shown]
	v_mov_b32_e32 v16, 0
	ds_read2_b64 v[2:5], v16 offset0:59 offset1:60
	buffer_load_dword v238, off, s[0:3], 0 offset:304
	buffer_load_dword v239, off, s[0:3], 0 offset:308
	;; [unrolled: 1-line block ×4, first 2 shown]
	ds_read2_b64 v[8:11], v16 offset0:61 offset1:62
	ds_read2_b64 v[12:15], v16 offset0:63 offset1:64
	;; [unrolled: 1-line block ×3, first 2 shown]
	v_cmp_lt_u32_e32 vcc, 9, v0
	s_waitcnt vmcnt(59) lgkmcnt(3)
	v_mul_f32_e32 v22, v2, v17
	s_waitcnt vmcnt(58)
	v_mul_f32_e32 v23, v4, v70
	s_waitcnt vmcnt(57) lgkmcnt(2)
	v_mul_f32_e32 v24, v8, v76
	s_waitcnt vmcnt(56)
	v_mul_f32_e32 v25, v10, v174
	;; [unrolled: 4-line block ×3, first 2 shown]
	s_waitcnt vmcnt(53) lgkmcnt(0)
	v_mul_f32_e32 v28, v18, v190
	s_waitcnt vmcnt(52)
	v_fmac_f32_e32 v22, v3, v191
	s_waitcnt vmcnt(51)
	v_fmac_f32_e32 v23, v5, v192
	v_add_f32_e32 v22, 0, v22
	s_waitcnt vmcnt(50)
	v_fmac_f32_e32 v24, v9, v193
	v_add_f32_e32 v22, v22, v23
	;; [unrolled: 3-line block ×6, first 2 shown]
	v_add_f32_e32 v26, v22, v28
	ds_read2_b64 v[22:25], v16 offset0:67 offset1:68
	s_waitcnt vmcnt(45)
	v_mul_f32_e32 v27, v20, v198
	s_waitcnt vmcnt(44)
	v_fmac_f32_e32 v27, v21, v199
	v_add_f32_e32 v30, v26, v27
	ds_read2_b64 v[26:29], v16 offset0:69 offset1:70
	s_waitcnt vmcnt(43) lgkmcnt(1)
	v_mul_f32_e32 v31, v22, v200
	s_waitcnt vmcnt(42)
	v_fmac_f32_e32 v31, v23, v201
	v_add_f32_e32 v30, v30, v31
	s_waitcnt vmcnt(41)
	v_mul_f32_e32 v31, v24, v202
	s_waitcnt vmcnt(40)
	v_fmac_f32_e32 v31, v25, v203
	v_add_f32_e32 v30, v30, v31
	s_waitcnt vmcnt(39) lgkmcnt(0)
	v_mul_f32_e32 v31, v26, v204
	s_waitcnt vmcnt(38)
	v_fmac_f32_e32 v31, v27, v205
	v_add_f32_e32 v34, v30, v31
	ds_read2_b64 v[30:33], v16 offset0:71 offset1:72
	s_waitcnt vmcnt(37)
	v_mul_f32_e32 v35, v28, v206
	s_waitcnt vmcnt(36)
	v_fmac_f32_e32 v35, v29, v207
	v_add_f32_e32 v38, v34, v35
	ds_read2_b64 v[34:37], v16 offset0:73 offset1:74
	s_waitcnt vmcnt(34) lgkmcnt(1)
	v_mul_f32_e32 v39, v30, v209
	v_fmac_f32_e32 v39, v31, v208
	v_add_f32_e32 v38, v38, v39
	s_waitcnt vmcnt(31)
	v_mul_f32_e32 v39, v32, v210
	s_waitcnt vmcnt(30)
	v_fmac_f32_e32 v39, v33, v211
	v_add_f32_e32 v38, v38, v39
	s_waitcnt vmcnt(28) lgkmcnt(0)
	v_mul_f32_e32 v39, v34, v213
	v_fmac_f32_e32 v39, v35, v212
	v_add_f32_e32 v42, v38, v39
	ds_read2_b64 v[38:41], v16 offset0:75 offset1:76
	s_waitcnt vmcnt(26)
	v_mul_f32_e32 v43, v36, v215
	v_fmac_f32_e32 v43, v37, v214
	v_add_f32_e32 v46, v42, v43
	ds_read2_b64 v[42:45], v16 offset0:77 offset1:78
	s_waitcnt vmcnt(24) lgkmcnt(1)
	v_mul_f32_e32 v47, v38, v217
	v_fmac_f32_e32 v47, v39, v216
	v_add_f32_e32 v46, v46, v47
	s_waitcnt vmcnt(22)
	v_mul_f32_e32 v47, v40, v219
	v_fmac_f32_e32 v47, v41, v218
	v_add_f32_e32 v46, v46, v47
	s_waitcnt vmcnt(20) lgkmcnt(0)
	v_mul_f32_e32 v47, v42, v221
	v_fmac_f32_e32 v47, v43, v220
	v_add_f32_e32 v50, v46, v47
	ds_read2_b64 v[46:49], v16 offset0:79 offset1:80
	s_waitcnt vmcnt(18)
	v_mul_f32_e32 v51, v44, v223
	v_fmac_f32_e32 v51, v45, v222
	v_add_f32_e32 v54, v50, v51
	ds_read2_b64 v[50:53], v16 offset0:81 offset1:82
	s_waitcnt vmcnt(16) lgkmcnt(1)
	v_mul_f32_e32 v55, v46, v225
	v_fmac_f32_e32 v55, v47, v224
	v_add_f32_e32 v54, v54, v55
	s_waitcnt vmcnt(14)
	v_mul_f32_e32 v55, v48, v227
	;; [unrolled: 18-line block ×3, first 2 shown]
	v_fmac_f32_e32 v63, v57, v234
	v_add_f32_e32 v62, v62, v63
	s_waitcnt vmcnt(4) lgkmcnt(0)
	v_mul_f32_e32 v63, v58, v237
	v_fmac_f32_e32 v63, v59, v236
	v_add_f32_e32 v71, v62, v63
	ds_read2_b64 v[62:65], v16 offset0:87 offset1:88
	buffer_load_dword v73, off, s[0:3], 0 offset:332
	buffer_load_dword v72, off, s[0:3], 0 offset:328
	;; [unrolled: 1-line block ×4, first 2 shown]
	ds_read2_b64 v[66:69], v16 offset0:89 offset1:90
	buffer_load_dword v177, off, s[0:3], 0 offset:364
	buffer_load_dword v176, off, s[0:3], 0 offset:360
	buffer_load_dword v179, off, s[0:3], 0 offset:356
	buffer_load_dword v178, off, s[0:3], 0 offset:352
	buffer_load_dword v181, off, s[0:3], 0 offset:348
	buffer_load_dword v180, off, s[0:3], 0 offset:344
	buffer_load_dword v183, off, s[0:3], 0 offset:340
	buffer_load_dword v182, off, s[0:3], 0 offset:336
	buffer_load_dword v185, off, s[0:3], 0 offset:380
	buffer_load_dword v184, off, s[0:3], 0 offset:376
	buffer_load_dword v187, off, s[0:3], 0 offset:372
	buffer_load_dword v186, off, s[0:3], 0 offset:368
	v_mul_f32_e32 v3, v3, v17
	v_fma_f32 v2, v2, v191, -v3
	v_mul_f32_e32 v3, v5, v70
	v_add_f32_e32 v2, 0, v2
	v_fma_f32 v3, v4, v192, -v3
	v_add_f32_e32 v2, v2, v3
	v_mul_f32_e32 v3, v9, v76
	v_fma_f32 v3, v8, v193, -v3
	v_add_f32_e32 v2, v2, v3
	v_mul_f32_e32 v3, v11, v174
	;; [unrolled: 3-line block ×25, first 2 shown]
	v_fma_f32 v3, v58, v236, -v3
	s_waitcnt vmcnt(13)
	v_mov_b32_e32 v18, v75
	v_mul_f32_e32 v77, v60, v239
	v_add_f32_e32 v70, v2, v3
	v_mul_f32_e32 v2, v61, v239
	s_waitcnt lgkmcnt(1)
	v_pk_mul_f32 v[18:19], v[64:65], v[18:19] op_sel_hi:[1,0]
	v_fmac_f32_e32 v77, v61, v238
	v_mul_f32_e32 v175, v62, v241
	v_fma_f32 v76, v60, v238, -v2
	v_mul_f32_e32 v2, v63, v241
	s_waitcnt vmcnt(12)
	v_pk_fma_f32 v[20:21], v[64:65], v[74:75], v[18:19] op_sel:[0,0,1] op_sel_hi:[1,1,0] neg_lo:[0,0,1] neg_hi:[0,0,1]
	v_pk_fma_f32 v[18:19], v[64:65], v[74:75], v[18:19] op_sel:[0,0,1] op_sel_hi:[1,0,0]
	v_fmac_f32_e32 v175, v63, v240
	v_fma_f32 v174, v62, v240, -v2
	v_pk_add_f32 v[14:15], v[70:71], v[76:77]
	v_mov_b32_e32 v18, v73
	v_pk_add_f32 v[14:15], v[14:15], v[174:175]
	v_mov_b32_e32 v21, v19
	s_waitcnt lgkmcnt(0)
	v_pk_mul_f32 v[18:19], v[66:67], v[18:19] op_sel_hi:[1,0]
	v_pk_add_f32 v[14:15], v[14:15], v[20:21]
	v_pk_fma_f32 v[20:21], v[66:67], v[72:73], v[18:19] op_sel:[0,0,1] op_sel_hi:[1,1,0] neg_lo:[0,0,1] neg_hi:[0,0,1]
	v_pk_fma_f32 v[18:19], v[66:67], v[72:73], v[18:19] op_sel:[0,0,1] op_sel_hi:[1,0,0]
	s_waitcnt vmcnt(5)
	v_mov_b32_e32 v18, v183
	ds_read2_b64 v[2:5], v16 offset0:91 offset1:92
	ds_read2_b64 v[8:11], v16 offset0:93 offset1:94
	ds_read_b64 v[12:13], v16 offset:760
	v_mov_b32_e32 v21, v19
	v_pk_mul_f32 v[18:19], v[68:69], v[18:19] op_sel_hi:[1,0]
	v_pk_add_f32 v[14:15], v[14:15], v[20:21]
	s_waitcnt vmcnt(4)
	v_pk_fma_f32 v[20:21], v[68:69], v[182:183], v[18:19] op_sel:[0,0,1] op_sel_hi:[1,1,0] neg_lo:[0,0,1] neg_hi:[0,0,1]
	v_pk_fma_f32 v[18:19], v[68:69], v[182:183], v[18:19] op_sel:[0,0,1] op_sel_hi:[1,0,0]
	v_mov_b32_e32 v18, v181
	v_mov_b32_e32 v21, v19
	s_waitcnt lgkmcnt(2)
	v_pk_mul_f32 v[18:19], v[2:3], v[18:19] op_sel_hi:[1,0]
	v_pk_add_f32 v[14:15], v[14:15], v[20:21]
	v_pk_fma_f32 v[20:21], v[2:3], v[180:181], v[18:19] op_sel:[0,0,1] op_sel_hi:[1,1,0] neg_lo:[0,0,1] neg_hi:[0,0,1]
	v_pk_fma_f32 v[2:3], v[2:3], v[180:181], v[18:19] op_sel:[0,0,1] op_sel_hi:[1,0,0]
	v_mov_b32_e32 v21, v3
	v_pk_add_f32 v[2:3], v[14:15], v[20:21]
	v_mov_b32_e32 v14, v179
	v_pk_mul_f32 v[14:15], v[4:5], v[14:15] op_sel_hi:[1,0]
	v_pk_fma_f32 v[18:19], v[4:5], v[178:179], v[14:15] op_sel:[0,0,1] op_sel_hi:[1,1,0] neg_lo:[0,0,1] neg_hi:[0,0,1]
	v_pk_fma_f32 v[4:5], v[4:5], v[178:179], v[14:15] op_sel:[0,0,1] op_sel_hi:[1,0,0]
	v_mov_b32_e32 v4, v177
	v_mov_b32_e32 v19, v5
	s_waitcnt lgkmcnt(1)
	v_pk_mul_f32 v[4:5], v[8:9], v[4:5] op_sel_hi:[1,0]
	v_pk_fma_f32 v[14:15], v[8:9], v[176:177], v[4:5] op_sel:[0,0,1] op_sel_hi:[1,1,0] neg_lo:[0,0,1] neg_hi:[0,0,1]
	v_pk_fma_f32 v[4:5], v[8:9], v[176:177], v[4:5] op_sel:[0,0,1] op_sel_hi:[1,0,0]
	s_waitcnt vmcnt(1)
	v_mov_b32_e32 v4, v187
	v_mov_b32_e32 v15, v5
	v_pk_mul_f32 v[4:5], v[10:11], v[4:5] op_sel_hi:[1,0]
	s_waitcnt vmcnt(0)
	v_pk_fma_f32 v[8:9], v[10:11], v[186:187], v[4:5] op_sel:[0,0,1] op_sel_hi:[1,1,0] neg_lo:[0,0,1] neg_hi:[0,0,1]
	v_pk_fma_f32 v[4:5], v[10:11], v[186:187], v[4:5] op_sel:[0,0,1] op_sel_hi:[1,0,0]
	v_pk_add_f32 v[2:3], v[2:3], v[18:19]
	v_mov_b32_e32 v4, v185
	v_pk_add_f32 v[2:3], v[2:3], v[14:15]
	v_mov_b32_e32 v9, v5
	s_waitcnt lgkmcnt(0)
	v_pk_mul_f32 v[4:5], v[12:13], v[4:5] op_sel_hi:[1,0]
	v_pk_add_f32 v[2:3], v[2:3], v[8:9]
	v_pk_fma_f32 v[8:9], v[12:13], v[184:185], v[4:5] op_sel:[0,0,1] op_sel_hi:[1,1,0] neg_lo:[0,0,1] neg_hi:[0,0,1]
	v_pk_fma_f32 v[4:5], v[12:13], v[184:185], v[4:5] op_sel:[0,0,1] op_sel_hi:[1,0,0]
	v_mov_b32_e32 v9, v5
	v_pk_add_f32 v[2:3], v[2:3], v[8:9]
	v_pk_add_f32 v[2:3], v[6:7], v[2:3] neg_lo:[0,1] neg_hi:[0,1]
	buffer_store_dword v3, off, s[0:3], 0 offset:84
	buffer_store_dword v2, off, s[0:3], 0 offset:80
	s_and_saveexec_b64 s[4:5], vcc
	s_cbranch_execz .LBB47_283
; %bb.282:
	buffer_load_dword v2, off, s[0:3], 0 offset:72
	buffer_load_dword v3, off, s[0:3], 0 offset:76
	v_accvgpr_read_b32 v1, a20
	buffer_store_dword v16, off, s[0:3], 0 offset:72
	buffer_store_dword v16, off, s[0:3], 0 offset:76
	s_waitcnt vmcnt(2)
	ds_write_b64 v1, v[2:3]
.LBB47_283:
	s_or_b64 exec, exec, s[4:5]
	s_waitcnt lgkmcnt(0)
	; wave barrier
	s_waitcnt lgkmcnt(0)
	buffer_load_dword v17, off, s[0:3], 0 offset:84
	buffer_load_dword v72, off, s[0:3], 0 offset:92
	;; [unrolled: 1-line block ×32, first 2 shown]
	ds_read_b128 v[18:21], v16 offset:464
	ds_read_b128 v[6:9], v16 offset:480
	buffer_load_dword v214, off, s[0:3], 0 offset:200
	buffer_load_dword v215, off, s[0:3], 0 offset:204
	ds_read_b128 v[10:13], v16 offset:496
	ds_read_b128 v[2:5], v16 offset:512
	buffer_load_dword v216, off, s[0:3], 0 offset:208
	buffer_load_dword v217, off, s[0:3], 0 offset:212
	;; [unrolled: 1-line block ×28, first 2 shown]
	v_cmp_lt_u32_e32 vcc, 8, v0
	s_waitcnt vmcnt(61) lgkmcnt(3)
	v_mul_f32_e32 v22, v18, v17
	s_waitcnt vmcnt(60)
	v_mul_f32_e32 v23, v20, v72
	s_waitcnt vmcnt(59) lgkmcnt(2)
	v_mul_f32_e32 v24, v6, v74
	s_waitcnt vmcnt(58)
	v_mul_f32_e32 v25, v8, v76
	;; [unrolled: 4-line block ×3, first 2 shown]
	s_waitcnt vmcnt(55) lgkmcnt(0)
	v_mul_f32_e32 v28, v2, v190
	s_waitcnt vmcnt(54)
	v_fmac_f32_e32 v22, v19, v191
	s_waitcnt vmcnt(53)
	v_fmac_f32_e32 v23, v21, v192
	v_add_f32_e32 v22, 0, v22
	s_waitcnt vmcnt(52)
	v_fmac_f32_e32 v24, v7, v193
	v_add_f32_e32 v22, v22, v23
	;; [unrolled: 3-line block ×6, first 2 shown]
	v_add_f32_e32 v26, v22, v28
	ds_read_b128 v[22:25], v16 offset:528
	s_waitcnt vmcnt(47)
	v_mul_f32_e32 v27, v4, v198
	s_waitcnt vmcnt(46)
	v_fmac_f32_e32 v27, v5, v199
	v_add_f32_e32 v30, v26, v27
	ds_read_b128 v[26:29], v16 offset:544
	s_waitcnt vmcnt(45) lgkmcnt(1)
	v_mul_f32_e32 v31, v22, v200
	s_waitcnt vmcnt(44)
	v_fmac_f32_e32 v31, v23, v201
	v_add_f32_e32 v30, v30, v31
	s_waitcnt vmcnt(43)
	v_mul_f32_e32 v31, v24, v202
	s_waitcnt vmcnt(42)
	v_fmac_f32_e32 v31, v25, v203
	v_add_f32_e32 v30, v30, v31
	s_waitcnt vmcnt(41) lgkmcnt(0)
	v_mul_f32_e32 v31, v26, v204
	s_waitcnt vmcnt(40)
	v_fmac_f32_e32 v31, v27, v205
	v_add_f32_e32 v34, v30, v31
	ds_read_b128 v[30:33], v16 offset:560
	s_waitcnt vmcnt(39)
	v_mul_f32_e32 v35, v28, v206
	s_waitcnt vmcnt(38)
	v_fmac_f32_e32 v35, v29, v207
	v_add_f32_e32 v38, v34, v35
	ds_read_b128 v[34:37], v16 offset:576
	s_waitcnt vmcnt(35) lgkmcnt(1)
	v_mul_f32_e32 v39, v30, v208
	s_waitcnt vmcnt(34)
	v_fmac_f32_e32 v39, v31, v209
	v_add_f32_e32 v38, v38, v39
	s_waitcnt vmcnt(32)
	v_mul_f32_e32 v39, v32, v211
	v_fmac_f32_e32 v39, v33, v210
	v_add_f32_e32 v38, v38, v39
	s_waitcnt vmcnt(30) lgkmcnt(0)
	v_mul_f32_e32 v39, v34, v213
	v_fmac_f32_e32 v39, v35, v212
	v_add_f32_e32 v42, v38, v39
	ds_read_b128 v[38:41], v16 offset:592
	s_waitcnt vmcnt(28)
	v_mul_f32_e32 v43, v36, v215
	v_fmac_f32_e32 v43, v37, v214
	v_add_f32_e32 v46, v42, v43
	ds_read_b128 v[42:45], v16 offset:608
	s_waitcnt vmcnt(26) lgkmcnt(1)
	v_mul_f32_e32 v47, v38, v217
	v_fmac_f32_e32 v47, v39, v216
	v_add_f32_e32 v46, v46, v47
	s_waitcnt vmcnt(24)
	v_mul_f32_e32 v47, v40, v219
	v_fmac_f32_e32 v47, v41, v218
	v_add_f32_e32 v46, v46, v47
	s_waitcnt vmcnt(22) lgkmcnt(0)
	v_mul_f32_e32 v47, v42, v221
	v_fmac_f32_e32 v47, v43, v220
	v_add_f32_e32 v50, v46, v47
	ds_read_b128 v[46:49], v16 offset:624
	s_waitcnt vmcnt(20)
	v_mul_f32_e32 v51, v44, v223
	v_fmac_f32_e32 v51, v45, v222
	v_add_f32_e32 v54, v50, v51
	ds_read_b128 v[50:53], v16 offset:640
	s_waitcnt vmcnt(18) lgkmcnt(1)
	v_mul_f32_e32 v55, v46, v225
	v_fmac_f32_e32 v55, v47, v224
	v_add_f32_e32 v54, v54, v55
	s_waitcnt vmcnt(16)
	v_mul_f32_e32 v55, v48, v227
	v_fmac_f32_e32 v55, v49, v226
	v_add_f32_e32 v54, v54, v55
	s_waitcnt vmcnt(14) lgkmcnt(0)
	v_mul_f32_e32 v55, v50, v229
	v_fmac_f32_e32 v55, v51, v228
	v_add_f32_e32 v58, v54, v55
	ds_read_b128 v[54:57], v16 offset:656
	s_waitcnt vmcnt(12)
	v_mul_f32_e32 v59, v52, v231
	v_fmac_f32_e32 v59, v53, v230
	v_add_f32_e32 v62, v58, v59
	ds_read_b128 v[58:61], v16 offset:672
	buffer_load_dword v71, off, s[0:3], 0 offset:324
	buffer_load_dword v70, off, s[0:3], 0 offset:320
	s_waitcnt vmcnt(12) lgkmcnt(1)
	v_mul_f32_e32 v63, v54, v233
	v_fmac_f32_e32 v63, v55, v232
	v_add_f32_e32 v62, v62, v63
	s_waitcnt vmcnt(10)
	v_mul_f32_e32 v63, v56, v235
	v_fmac_f32_e32 v63, v57, v234
	v_add_f32_e32 v62, v62, v63
	s_waitcnt vmcnt(8) lgkmcnt(0)
	v_mul_f32_e32 v63, v58, v237
	v_fmac_f32_e32 v63, v59, v236
	s_waitcnt vmcnt(6)
	v_mul_f32_e32 v67, v60, v239
	v_add_f32_e32 v66, v62, v63
	v_fmac_f32_e32 v67, v61, v238
	ds_read_b128 v[62:65], v16 offset:688
	v_add_f32_e32 v73, v66, v67
	ds_read_b128 v[66:69], v16 offset:704
	buffer_load_dword v175, off, s[0:3], 0 offset:356
	buffer_load_dword v174, off, s[0:3], 0 offset:352
	;; [unrolled: 1-line block ×14, first 2 shown]
	v_mul_f32_e32 v17, v19, v17
	v_fma_f32 v17, v18, v191, -v17
	v_mul_f32_e32 v18, v21, v72
	v_add_f32_e32 v17, 0, v17
	v_fma_f32 v18, v20, v192, -v18
	v_mul_f32_e32 v7, v7, v74
	v_add_f32_e32 v17, v17, v18
	;; [unrolled: 3-line block ×3, first 2 shown]
	v_fma_f32 v7, v8, v194, -v7
	v_add_f32_e32 v6, v6, v7
	v_mul_f32_e32 v7, v11, v188
	v_fma_f32 v7, v10, v195, -v7
	v_add_f32_e32 v6, v6, v7
	v_mul_f32_e32 v7, v13, v189
	v_fma_f32 v7, v12, v196, -v7
	v_mul_f32_e32 v3, v3, v190
	v_add_f32_e32 v6, v6, v7
	v_fma_f32 v2, v2, v197, -v3
	v_mul_f32_e32 v3, v5, v198
	v_add_f32_e32 v2, v6, v2
	v_fma_f32 v3, v4, v199, -v3
	v_add_f32_e32 v2, v2, v3
	v_mul_f32_e32 v3, v23, v200
	v_fma_f32 v3, v22, v201, -v3
	v_add_f32_e32 v2, v2, v3
	v_mul_f32_e32 v3, v25, v202
	;; [unrolled: 3-line block ×20, first 2 shown]
	v_fma_f32 v3, v60, v238, -v3
	s_waitcnt vmcnt(15)
	v_mov_b32_e32 v18, v71
	s_waitcnt lgkmcnt(1)
	v_mul_f32_e32 v75, v62, v241
	v_add_f32_e32 v72, v2, v3
	v_mul_f32_e32 v2, v63, v241
	s_waitcnt lgkmcnt(0)
	v_pk_mul_f32 v[18:19], v[66:67], v[18:19] op_sel_hi:[1,0]
	v_fmac_f32_e32 v75, v63, v240
	v_mul_f32_e32 v77, v64, v243
	v_fma_f32 v74, v62, v240, -v2
	v_mul_f32_e32 v2, v65, v243
	s_waitcnt vmcnt(14)
	v_pk_fma_f32 v[20:21], v[66:67], v[70:71], v[18:19] op_sel:[0,0,1] op_sel_hi:[1,1,0] neg_lo:[0,0,1] neg_hi:[0,0,1]
	v_pk_fma_f32 v[18:19], v[66:67], v[70:71], v[18:19] op_sel:[0,0,1] op_sel_hi:[1,0,0]
	v_fmac_f32_e32 v77, v65, v242
	v_fma_f32 v76, v64, v242, -v2
	ds_read_b128 v[2:5], v16 offset:720
	ds_read_b128 v[6:9], v16 offset:736
	;; [unrolled: 1-line block ×3, first 2 shown]
	v_pk_add_f32 v[16:17], v[72:73], v[74:75]
	s_waitcnt vmcnt(7)
	v_mov_b32_e32 v18, v181
	v_pk_add_f32 v[16:17], v[16:17], v[76:77]
	v_mov_b32_e32 v21, v19
	v_pk_mul_f32 v[18:19], v[68:69], v[18:19] op_sel_hi:[1,0]
	v_pk_add_f32 v[16:17], v[16:17], v[20:21]
	s_waitcnt vmcnt(6)
	v_pk_fma_f32 v[20:21], v[68:69], v[180:181], v[18:19] op_sel:[0,0,1] op_sel_hi:[1,1,0] neg_lo:[0,0,1] neg_hi:[0,0,1]
	v_pk_fma_f32 v[18:19], v[68:69], v[180:181], v[18:19] op_sel:[0,0,1] op_sel_hi:[1,0,0]
	v_mov_b32_e32 v18, v179
	v_mov_b32_e32 v21, v19
	s_waitcnt lgkmcnt(2)
	v_pk_mul_f32 v[18:19], v[2:3], v[18:19] op_sel_hi:[1,0]
	v_pk_add_f32 v[16:17], v[16:17], v[20:21]
	v_pk_fma_f32 v[20:21], v[2:3], v[178:179], v[18:19] op_sel:[0,0,1] op_sel_hi:[1,1,0] neg_lo:[0,0,1] neg_hi:[0,0,1]
	v_pk_fma_f32 v[2:3], v[2:3], v[178:179], v[18:19] op_sel:[0,0,1] op_sel_hi:[1,0,0]
	v_mov_b32_e32 v21, v3
	v_pk_add_f32 v[2:3], v[16:17], v[20:21]
	v_mov_b32_e32 v16, v177
	v_pk_mul_f32 v[16:17], v[4:5], v[16:17] op_sel_hi:[1,0]
	v_pk_fma_f32 v[18:19], v[4:5], v[176:177], v[16:17] op_sel:[0,0,1] op_sel_hi:[1,1,0] neg_lo:[0,0,1] neg_hi:[0,0,1]
	v_pk_fma_f32 v[4:5], v[4:5], v[176:177], v[16:17] op_sel:[0,0,1] op_sel_hi:[1,0,0]
	v_mov_b32_e32 v4, v175
	v_mov_b32_e32 v19, v5
	s_waitcnt lgkmcnt(1)
	v_pk_mul_f32 v[4:5], v[6:7], v[4:5] op_sel_hi:[1,0]
	v_pk_fma_f32 v[16:17], v[6:7], v[174:175], v[4:5] op_sel:[0,0,1] op_sel_hi:[1,1,0] neg_lo:[0,0,1] neg_hi:[0,0,1]
	v_pk_fma_f32 v[4:5], v[6:7], v[174:175], v[4:5] op_sel:[0,0,1] op_sel_hi:[1,0,0]
	s_waitcnt vmcnt(1)
	v_mov_b32_e32 v4, v187
	v_mov_b32_e32 v17, v5
	v_pk_mul_f32 v[4:5], v[8:9], v[4:5] op_sel_hi:[1,0]
	s_waitcnt vmcnt(0)
	v_pk_fma_f32 v[6:7], v[8:9], v[186:187], v[4:5] op_sel:[0,0,1] op_sel_hi:[1,1,0] neg_lo:[0,0,1] neg_hi:[0,0,1]
	v_pk_fma_f32 v[4:5], v[8:9], v[186:187], v[4:5] op_sel:[0,0,1] op_sel_hi:[1,0,0]
	v_pk_add_f32 v[2:3], v[2:3], v[18:19]
	v_mov_b32_e32 v4, v185
	v_pk_add_f32 v[2:3], v[2:3], v[16:17]
	v_mov_b32_e32 v7, v5
	s_waitcnt lgkmcnt(0)
	v_pk_mul_f32 v[4:5], v[10:11], v[4:5] op_sel_hi:[1,0]
	v_pk_add_f32 v[2:3], v[2:3], v[6:7]
	v_pk_fma_f32 v[6:7], v[10:11], v[184:185], v[4:5] op_sel:[0,0,1] op_sel_hi:[1,1,0] neg_lo:[0,0,1] neg_hi:[0,0,1]
	v_pk_fma_f32 v[4:5], v[10:11], v[184:185], v[4:5] op_sel:[0,0,1] op_sel_hi:[1,0,0]
	v_mov_b32_e32 v4, v183
	v_mov_b32_e32 v7, v5
	v_pk_mul_f32 v[4:5], v[12:13], v[4:5] op_sel_hi:[1,0]
	v_pk_add_f32 v[2:3], v[2:3], v[6:7]
	v_pk_fma_f32 v[6:7], v[12:13], v[182:183], v[4:5] op_sel:[0,0,1] op_sel_hi:[1,1,0] neg_lo:[0,0,1] neg_hi:[0,0,1]
	v_pk_fma_f32 v[4:5], v[12:13], v[182:183], v[4:5] op_sel:[0,0,1] op_sel_hi:[1,0,0]
	v_mov_b32_e32 v7, v5
	v_pk_add_f32 v[2:3], v[2:3], v[6:7]
	v_pk_add_f32 v[2:3], v[14:15], v[2:3] neg_lo:[0,1] neg_hi:[0,1]
	buffer_store_dword v3, off, s[0:3], 0 offset:76
	buffer_store_dword v2, off, s[0:3], 0 offset:72
	s_and_saveexec_b64 s[4:5], vcc
	s_cbranch_execz .LBB47_285
; %bb.284:
	buffer_load_dword v2, off, s[0:3], 0 offset:64
	buffer_load_dword v3, off, s[0:3], 0 offset:68
	v_mov_b32_e32 v4, 0
	v_accvgpr_read_b32 v1, a20
	buffer_store_dword v4, off, s[0:3], 0 offset:64
	buffer_store_dword v4, off, s[0:3], 0 offset:68
	s_waitcnt vmcnt(2)
	ds_write_b64 v1, v[2:3]
.LBB47_285:
	s_or_b64 exec, exec, s[4:5]
	s_waitcnt lgkmcnt(0)
	; wave barrier
	s_waitcnt lgkmcnt(0)
	buffer_load_dword v21, off, s[0:3], 0 offset:76
	buffer_load_dword v70, off, s[0:3], 0 offset:84
	;; [unrolled: 1-line block ×48, first 2 shown]
	v_mov_b32_e32 v20, 0
	ds_read2_b64 v[4:7], v20 offset0:57 offset1:58
	buffer_load_dword v230, off, s[0:3], 0 offset:256
	buffer_load_dword v231, off, s[0:3], 0 offset:260
	;; [unrolled: 1-line block ×8, first 2 shown]
	ds_read2_b64 v[8:11], v20 offset0:59 offset1:60
	ds_read2_b64 v[12:15], v20 offset0:61 offset1:62
	;; [unrolled: 1-line block ×3, first 2 shown]
	buffer_load_dword v238, off, s[0:3], 0 offset:288
	buffer_load_dword v239, off, s[0:3], 0 offset:292
	;; [unrolled: 1-line block ×8, first 2 shown]
	v_cmp_lt_u32_e32 vcc, 7, v0
	s_waitcnt vmcnt(62) lgkmcnt(3)
	v_mul_f32_e32 v22, v4, v21
	v_mul_f32_e32 v23, v6, v70
	s_waitcnt vmcnt(61) lgkmcnt(2)
	v_mul_f32_e32 v24, v8, v72
	s_waitcnt vmcnt(60)
	v_mul_f32_e32 v25, v10, v74
	s_waitcnt vmcnt(59) lgkmcnt(1)
	v_mul_f32_e32 v26, v12, v188
	s_waitcnt vmcnt(58)
	;; [unrolled: 4-line block ×3, first 2 shown]
	v_fmac_f32_e32 v22, v5, v191
	s_waitcnt vmcnt(55)
	v_fmac_f32_e32 v23, v7, v192
	v_add_f32_e32 v22, 0, v22
	s_waitcnt vmcnt(54)
	v_fmac_f32_e32 v24, v9, v193
	v_add_f32_e32 v22, v22, v23
	;; [unrolled: 3-line block ×6, first 2 shown]
	v_add_f32_e32 v26, v22, v28
	ds_read2_b64 v[22:25], v20 offset0:65 offset1:66
	s_waitcnt vmcnt(49)
	v_mul_f32_e32 v27, v18, v198
	s_waitcnt vmcnt(48)
	v_fmac_f32_e32 v27, v19, v199
	v_add_f32_e32 v30, v26, v27
	ds_read2_b64 v[26:29], v20 offset0:67 offset1:68
	s_waitcnt vmcnt(47) lgkmcnt(1)
	v_mul_f32_e32 v31, v22, v200
	s_waitcnt vmcnt(46)
	v_fmac_f32_e32 v31, v23, v201
	v_add_f32_e32 v30, v30, v31
	s_waitcnt vmcnt(45)
	v_mul_f32_e32 v31, v24, v202
	s_waitcnt vmcnt(44)
	v_fmac_f32_e32 v31, v25, v203
	v_add_f32_e32 v30, v30, v31
	s_waitcnt vmcnt(42) lgkmcnt(0)
	v_mul_f32_e32 v31, v26, v205
	v_fmac_f32_e32 v31, v27, v204
	v_add_f32_e32 v34, v30, v31
	ds_read2_b64 v[30:33], v20 offset0:69 offset1:70
	s_waitcnt vmcnt(38)
	v_mul_f32_e32 v35, v28, v207
	v_fmac_f32_e32 v35, v29, v206
	v_add_f32_e32 v38, v34, v35
	ds_read2_b64 v[34:37], v20 offset0:71 offset1:72
	s_waitcnt vmcnt(36) lgkmcnt(1)
	v_mul_f32_e32 v39, v30, v209
	v_fmac_f32_e32 v39, v31, v208
	v_add_f32_e32 v38, v38, v39
	s_waitcnt vmcnt(34)
	v_mul_f32_e32 v39, v32, v211
	v_fmac_f32_e32 v39, v33, v210
	v_add_f32_e32 v38, v38, v39
	s_waitcnt vmcnt(32) lgkmcnt(0)
	v_mul_f32_e32 v39, v34, v213
	v_fmac_f32_e32 v39, v35, v212
	v_add_f32_e32 v42, v38, v39
	ds_read2_b64 v[38:41], v20 offset0:73 offset1:74
	s_waitcnt vmcnt(30)
	v_mul_f32_e32 v43, v36, v215
	v_fmac_f32_e32 v43, v37, v214
	v_add_f32_e32 v46, v42, v43
	ds_read2_b64 v[42:45], v20 offset0:75 offset1:76
	s_waitcnt vmcnt(28) lgkmcnt(1)
	v_mul_f32_e32 v47, v38, v217
	v_fmac_f32_e32 v47, v39, v216
	v_add_f32_e32 v46, v46, v47
	s_waitcnt vmcnt(26)
	v_mul_f32_e32 v47, v40, v219
	;; [unrolled: 18-line block ×4, first 2 shown]
	v_fmac_f32_e32 v63, v57, v234
	v_add_f32_e32 v62, v62, v63
	s_waitcnt vmcnt(8) lgkmcnt(0)
	v_mul_f32_e32 v63, v58, v237
	v_fmac_f32_e32 v63, v59, v236
	s_waitcnt vmcnt(6)
	v_mul_f32_e32 v67, v60, v239
	v_add_f32_e32 v66, v62, v63
	v_fmac_f32_e32 v67, v61, v238
	ds_read2_b64 v[62:65], v20 offset0:85 offset1:86
	v_add_f32_e32 v71, v66, v67
	ds_read2_b64 v[66:69], v20 offset0:87 offset1:88
	buffer_load_dword v77, off, s[0:3], 0 offset:348
	buffer_load_dword v76, off, s[0:3], 0 offset:344
	;; [unrolled: 1-line block ×16, first 2 shown]
	v_mul_f32_e32 v5, v5, v21
	v_fma_f32 v4, v4, v191, -v5
	v_mul_f32_e32 v5, v7, v70
	v_add_f32_e32 v4, 0, v4
	v_fma_f32 v5, v6, v192, -v5
	v_add_f32_e32 v4, v4, v5
	v_mul_f32_e32 v5, v9, v72
	v_fma_f32 v5, v8, v193, -v5
	v_add_f32_e32 v4, v4, v5
	v_mul_f32_e32 v5, v11, v74
	;; [unrolled: 3-line block ×26, first 2 shown]
	v_fma_f32 v5, v60, v238, -v5
	v_add_f32_e32 v4, v4, v5
	s_waitcnt vmcnt(20) lgkmcnt(1)
	v_mul_f32_e32 v5, v63, v241
	v_mul_f32_e32 v73, v62, v241
	v_fma_f32 v5, v62, v240, -v5
	v_fmac_f32_e32 v73, v63, v240
	v_add_f32_e32 v70, v4, v5
	s_waitcnt vmcnt(18)
	v_mul_f32_e32 v4, v65, v243
	s_waitcnt vmcnt(9)
	v_mov_b32_e32 v22, v179
	v_add_f32_e32 v71, v71, v73
	v_mul_f32_e32 v73, v64, v243
	v_fma_f32 v72, v64, v242, -v4
	s_waitcnt lgkmcnt(0)
	v_mul_f32_e32 v4, v67, v245
	v_pk_mul_f32 v[22:23], v[68:69], v[22:23] op_sel_hi:[1,0]
	v_fmac_f32_e32 v73, v65, v242
	v_mul_f32_e32 v75, v66, v245
	v_fma_f32 v74, v66, v244, -v4
	ds_read2_b64 v[4:7], v20 offset0:89 offset1:90
	ds_read2_b64 v[8:11], v20 offset0:91 offset1:92
	;; [unrolled: 1-line block ×3, first 2 shown]
	ds_read_b64 v[16:17], v20 offset:760
	s_waitcnt vmcnt(8)
	v_pk_fma_f32 v[24:25], v[68:69], v[178:179], v[22:23] op_sel:[0,0,1] op_sel_hi:[1,1,0] neg_lo:[0,0,1] neg_hi:[0,0,1]
	v_pk_fma_f32 v[22:23], v[68:69], v[178:179], v[22:23] op_sel:[0,0,1] op_sel_hi:[1,0,0]
	v_fmac_f32_e32 v75, v67, v244
	v_pk_add_f32 v[18:19], v[70:71], v[72:73]
	v_mov_b32_e32 v22, v177
	v_pk_add_f32 v[18:19], v[18:19], v[74:75]
	v_mov_b32_e32 v25, v23
	s_waitcnt lgkmcnt(3)
	v_pk_mul_f32 v[22:23], v[4:5], v[22:23] op_sel_hi:[1,0]
	v_pk_add_f32 v[18:19], v[18:19], v[24:25]
	v_pk_fma_f32 v[24:25], v[4:5], v[176:177], v[22:23] op_sel:[0,0,1] op_sel_hi:[1,1,0] neg_lo:[0,0,1] neg_hi:[0,0,1]
	v_pk_fma_f32 v[4:5], v[4:5], v[176:177], v[22:23] op_sel:[0,0,1] op_sel_hi:[1,0,0]
	v_mov_b32_e32 v25, v5
	v_pk_add_f32 v[4:5], v[18:19], v[24:25]
	v_mov_b32_e32 v18, v175
	v_pk_mul_f32 v[18:19], v[6:7], v[18:19] op_sel_hi:[1,0]
	v_pk_fma_f32 v[22:23], v[6:7], v[174:175], v[18:19] op_sel:[0,0,1] op_sel_hi:[1,1,0] neg_lo:[0,0,1] neg_hi:[0,0,1]
	v_pk_fma_f32 v[6:7], v[6:7], v[174:175], v[18:19] op_sel:[0,0,1] op_sel_hi:[1,0,0]
	v_mov_b32_e32 v6, v77
	v_mov_b32_e32 v23, v7
	s_waitcnt lgkmcnt(2)
	v_pk_mul_f32 v[6:7], v[8:9], v[6:7] op_sel_hi:[1,0]
	v_pk_fma_f32 v[18:19], v[8:9], v[76:77], v[6:7] op_sel:[0,0,1] op_sel_hi:[1,1,0] neg_lo:[0,0,1] neg_hi:[0,0,1]
	v_pk_fma_f32 v[6:7], v[8:9], v[76:77], v[6:7] op_sel:[0,0,1] op_sel_hi:[1,0,0]
	s_waitcnt vmcnt(1)
	v_mov_b32_e32 v6, v187
	v_mov_b32_e32 v19, v7
	v_pk_mul_f32 v[6:7], v[10:11], v[6:7] op_sel_hi:[1,0]
	s_waitcnt vmcnt(0)
	v_pk_fma_f32 v[8:9], v[10:11], v[186:187], v[6:7] op_sel:[0,0,1] op_sel_hi:[1,1,0] neg_lo:[0,0,1] neg_hi:[0,0,1]
	v_pk_fma_f32 v[6:7], v[10:11], v[186:187], v[6:7] op_sel:[0,0,1] op_sel_hi:[1,0,0]
	v_pk_add_f32 v[4:5], v[4:5], v[22:23]
	v_mov_b32_e32 v6, v185
	v_pk_add_f32 v[4:5], v[4:5], v[18:19]
	v_mov_b32_e32 v9, v7
	s_waitcnt lgkmcnt(1)
	v_pk_mul_f32 v[6:7], v[12:13], v[6:7] op_sel_hi:[1,0]
	v_pk_add_f32 v[4:5], v[4:5], v[8:9]
	v_pk_fma_f32 v[8:9], v[12:13], v[184:185], v[6:7] op_sel:[0,0,1] op_sel_hi:[1,1,0] neg_lo:[0,0,1] neg_hi:[0,0,1]
	v_pk_fma_f32 v[6:7], v[12:13], v[184:185], v[6:7] op_sel:[0,0,1] op_sel_hi:[1,0,0]
	v_mov_b32_e32 v6, v183
	v_mov_b32_e32 v9, v7
	v_pk_mul_f32 v[6:7], v[14:15], v[6:7] op_sel_hi:[1,0]
	v_pk_add_f32 v[4:5], v[4:5], v[8:9]
	v_pk_fma_f32 v[8:9], v[14:15], v[182:183], v[6:7] op_sel:[0,0,1] op_sel_hi:[1,1,0] neg_lo:[0,0,1] neg_hi:[0,0,1]
	v_pk_fma_f32 v[6:7], v[14:15], v[182:183], v[6:7] op_sel:[0,0,1] op_sel_hi:[1,0,0]
	v_mov_b32_e32 v6, v181
	v_mov_b32_e32 v9, v7
	s_waitcnt lgkmcnt(0)
	v_pk_mul_f32 v[6:7], v[16:17], v[6:7] op_sel_hi:[1,0]
	v_pk_add_f32 v[4:5], v[4:5], v[8:9]
	v_pk_fma_f32 v[8:9], v[16:17], v[180:181], v[6:7] op_sel:[0,0,1] op_sel_hi:[1,1,0] neg_lo:[0,0,1] neg_hi:[0,0,1]
	v_pk_fma_f32 v[6:7], v[16:17], v[180:181], v[6:7] op_sel:[0,0,1] op_sel_hi:[1,0,0]
	v_mov_b32_e32 v9, v7
	v_pk_add_f32 v[4:5], v[4:5], v[8:9]
	v_pk_add_f32 v[2:3], v[2:3], v[4:5] neg_lo:[0,1] neg_hi:[0,1]
	buffer_store_dword v3, off, s[0:3], 0 offset:68
	buffer_store_dword v2, off, s[0:3], 0 offset:64
	s_and_saveexec_b64 s[4:5], vcc
	s_cbranch_execz .LBB47_287
; %bb.286:
	buffer_load_dword v2, off, s[0:3], 0 offset:56
	buffer_load_dword v3, off, s[0:3], 0 offset:60
	v_accvgpr_read_b32 v1, a20
	buffer_store_dword v20, off, s[0:3], 0 offset:56
	buffer_store_dword v20, off, s[0:3], 0 offset:60
	s_waitcnt vmcnt(2)
	ds_write_b64 v1, v[2:3]
.LBB47_287:
	s_or_b64 exec, exec, s[4:5]
	s_waitcnt lgkmcnt(0)
	; wave barrier
	s_waitcnt lgkmcnt(0)
	buffer_load_dword v21, off, s[0:3], 0 offset:68
	buffer_load_dword v70, off, s[0:3], 0 offset:76
	;; [unrolled: 1-line block ×26, first 2 shown]
	ds_read_b128 v[14:17], v20 offset:448
	ds_read_b128 v[6:9], v20 offset:464
	buffer_load_dword v208, off, s[0:3], 0 offset:160
	buffer_load_dword v209, off, s[0:3], 0 offset:164
	ds_read_b128 v[10:13], v20 offset:480
	ds_read_b128 v[2:5], v20 offset:496
	buffer_load_dword v210, off, s[0:3], 0 offset:168
	buffer_load_dword v211, off, s[0:3], 0 offset:172
	;; [unrolled: 1-line block ×32, first 2 shown]
	v_cmp_lt_u32_e32 vcc, 6, v0
	s_waitcnt vmcnt(59) lgkmcnt(3)
	v_mul_f32_e32 v22, v14, v21
	s_waitcnt vmcnt(58)
	v_mul_f32_e32 v23, v16, v70
	s_waitcnt vmcnt(57) lgkmcnt(2)
	v_mul_f32_e32 v24, v6, v72
	s_waitcnt vmcnt(56)
	v_mul_f32_e32 v25, v8, v176
	;; [unrolled: 4-line block ×4, first 2 shown]
	s_waitcnt vmcnt(51)
	v_fmac_f32_e32 v22, v15, v192
	s_waitcnt vmcnt(50)
	v_fmac_f32_e32 v23, v17, v193
	v_add_f32_e32 v22, 0, v22
	s_waitcnt vmcnt(49)
	v_fmac_f32_e32 v24, v7, v194
	v_add_f32_e32 v22, v22, v23
	;; [unrolled: 3-line block ×6, first 2 shown]
	v_add_f32_e32 v26, v22, v28
	ds_read_b128 v[22:25], v20 offset:512
	s_waitcnt vmcnt(44)
	v_fmac_f32_e32 v29, v5, v199
	buffer_load_dword v242, off, s[0:3], 0 offset:296
	buffer_load_dword v243, off, s[0:3], 0 offset:300
	v_add_f32_e32 v30, v26, v29
	buffer_load_dword v244, off, s[0:3], 0 offset:304
	buffer_load_dword v245, off, s[0:3], 0 offset:308
	ds_read_b128 v[26:29], v20 offset:528
	s_waitcnt vmcnt(47) lgkmcnt(1)
	v_mul_f32_e32 v31, v22, v200
	s_waitcnt vmcnt(46)
	v_fmac_f32_e32 v31, v23, v201
	v_add_f32_e32 v30, v30, v31
	s_waitcnt vmcnt(45)
	v_mul_f32_e32 v31, v24, v202
	s_waitcnt vmcnt(44)
	v_fmac_f32_e32 v31, v25, v203
	v_add_f32_e32 v30, v30, v31
	s_waitcnt vmcnt(41) lgkmcnt(0)
	v_mul_f32_e32 v31, v26, v204
	s_waitcnt vmcnt(40)
	v_fmac_f32_e32 v31, v27, v205
	buffer_load_dword v246, off, s[0:3], 0 offset:312
	buffer_load_dword v247, off, s[0:3], 0 offset:316
	v_add_f32_e32 v34, v30, v31
	ds_read_b128 v[30:33], v20 offset:544
	s_waitcnt vmcnt(40)
	v_mul_f32_e32 v35, v28, v207
	v_fmac_f32_e32 v35, v29, v206
	v_add_f32_e32 v38, v34, v35
	ds_read_b128 v[34:37], v20 offset:560
	s_waitcnt vmcnt(38) lgkmcnt(1)
	v_mul_f32_e32 v39, v30, v209
	v_fmac_f32_e32 v39, v31, v208
	v_add_f32_e32 v38, v38, v39
	s_waitcnt vmcnt(36)
	v_mul_f32_e32 v39, v32, v211
	v_fmac_f32_e32 v39, v33, v210
	v_add_f32_e32 v38, v38, v39
	s_waitcnt vmcnt(34) lgkmcnt(0)
	v_mul_f32_e32 v39, v34, v213
	v_fmac_f32_e32 v39, v35, v212
	v_add_f32_e32 v42, v38, v39
	ds_read_b128 v[38:41], v20 offset:576
	s_waitcnt vmcnt(32)
	v_mul_f32_e32 v43, v36, v215
	v_fmac_f32_e32 v43, v37, v214
	v_add_f32_e32 v46, v42, v43
	ds_read_b128 v[42:45], v20 offset:592
	s_waitcnt vmcnt(30) lgkmcnt(1)
	v_mul_f32_e32 v47, v38, v217
	v_fmac_f32_e32 v47, v39, v216
	v_add_f32_e32 v46, v46, v47
	s_waitcnt vmcnt(28)
	v_mul_f32_e32 v47, v40, v219
	v_fmac_f32_e32 v47, v41, v218
	v_add_f32_e32 v46, v46, v47
	s_waitcnt vmcnt(26) lgkmcnt(0)
	v_mul_f32_e32 v47, v42, v221
	v_fmac_f32_e32 v47, v43, v220
	v_add_f32_e32 v50, v46, v47
	ds_read_b128 v[46:49], v20 offset:608
	s_waitcnt vmcnt(24)
	v_mul_f32_e32 v51, v44, v223
	v_fmac_f32_e32 v51, v45, v222
	v_add_f32_e32 v54, v50, v51
	ds_read_b128 v[50:53], v20 offset:624
	s_waitcnt vmcnt(22) lgkmcnt(1)
	v_mul_f32_e32 v55, v46, v225
	v_fmac_f32_e32 v55, v47, v224
	v_add_f32_e32 v54, v54, v55
	s_waitcnt vmcnt(20)
	v_mul_f32_e32 v55, v48, v227
	v_fmac_f32_e32 v55, v49, v226
	v_add_f32_e32 v54, v54, v55
	s_waitcnt vmcnt(18) lgkmcnt(0)
	v_mul_f32_e32 v55, v50, v229
	v_fmac_f32_e32 v55, v51, v228
	v_add_f32_e32 v58, v54, v55
	ds_read_b128 v[54:57], v20 offset:640
	s_waitcnt vmcnt(16)
	v_mul_f32_e32 v59, v52, v231
	v_fmac_f32_e32 v59, v53, v230
	v_add_f32_e32 v62, v58, v59
	ds_read_b128 v[58:61], v20 offset:656
	s_waitcnt vmcnt(14) lgkmcnt(1)
	v_mul_f32_e32 v63, v54, v233
	v_fmac_f32_e32 v63, v55, v232
	v_add_f32_e32 v62, v62, v63
	s_waitcnt vmcnt(12)
	v_mul_f32_e32 v63, v56, v235
	v_fmac_f32_e32 v63, v57, v234
	v_add_f32_e32 v62, v62, v63
	s_waitcnt vmcnt(10) lgkmcnt(0)
	v_mul_f32_e32 v63, v58, v237
	v_fmac_f32_e32 v63, v59, v236
	s_waitcnt vmcnt(8)
	v_mul_f32_e32 v67, v60, v239
	v_add_f32_e32 v66, v62, v63
	v_fmac_f32_e32 v67, v61, v238
	ds_read_b128 v[62:65], v20 offset:672
	v_add_f32_e32 v71, v66, v67
	ds_read_b128 v[66:69], v20 offset:688
	buffer_load_dword v75, off, s[0:3], 0 offset:340
	buffer_load_dword v74, off, s[0:3], 0 offset:336
	;; [unrolled: 1-line block ×16, first 2 shown]
	v_mul_f32_e32 v15, v15, v21
	v_fma_f32 v14, v14, v192, -v15
	v_mul_f32_e32 v15, v17, v70
	v_add_f32_e32 v14, 0, v14
	v_fma_f32 v15, v16, v193, -v15
	v_mul_f32_e32 v7, v7, v72
	v_add_f32_e32 v14, v14, v15
	;; [unrolled: 3-line block ×3, first 2 shown]
	v_fma_f32 v7, v8, v195, -v7
	v_add_f32_e32 v6, v6, v7
	v_mul_f32_e32 v7, v11, v188
	v_fma_f32 v7, v10, v196, -v7
	v_add_f32_e32 v6, v6, v7
	v_mul_f32_e32 v7, v13, v189
	v_fma_f32 v7, v12, v197, -v7
	v_mul_f32_e32 v3, v3, v190
	v_add_f32_e32 v6, v6, v7
	v_fma_f32 v2, v2, v198, -v3
	v_mul_f32_e32 v3, v5, v191
	v_add_f32_e32 v2, v6, v2
	v_fma_f32 v3, v4, v199, -v3
	v_add_f32_e32 v2, v2, v3
	v_mul_f32_e32 v3, v23, v200
	v_fma_f32 v3, v22, v201, -v3
	v_add_f32_e32 v2, v2, v3
	v_mul_f32_e32 v3, v25, v202
	;; [unrolled: 3-line block ×20, first 2 shown]
	v_fma_f32 v3, v60, v238, -v3
	v_add_f32_e32 v2, v2, v3
	s_waitcnt vmcnt(22) lgkmcnt(1)
	v_mul_f32_e32 v3, v63, v241
	v_fma_f32 v3, v62, v240, -v3
	v_add_f32_e32 v2, v2, v3
	s_waitcnt vmcnt(20)
	v_mul_f32_e32 v3, v65, v243
	v_mul_f32_e32 v73, v62, v241
	v_fma_f32 v3, v64, v242, -v3
	v_fmac_f32_e32 v73, v63, v240
	v_add_f32_e32 v70, v2, v3
	s_waitcnt vmcnt(18) lgkmcnt(0)
	v_mul_f32_e32 v2, v67, v245
	v_add_f32_e32 v71, v71, v73
	v_mul_f32_e32 v73, v64, v243
	v_fma_f32 v72, v66, v244, -v2
	s_waitcnt vmcnt(16)
	v_mul_f32_e32 v2, v69, v247
	v_fmac_f32_e32 v73, v65, v242
	v_fma_f32 v176, v68, v246, -v2
	ds_read_b128 v[2:5], v20 offset:704
	ds_read_b128 v[6:9], v20 offset:720
	;; [unrolled: 1-line block ×4, first 2 shown]
	v_add_f32_e32 v71, v71, v73
	v_mul_f32_e32 v73, v66, v245
	s_waitcnt vmcnt(11)
	v_mov_b32_e32 v22, v175
	v_fmac_f32_e32 v73, v67, v244
	v_mul_f32_e32 v177, v68, v247
	s_waitcnt lgkmcnt(3)
	v_pk_mul_f32 v[22:23], v[2:3], v[22:23] op_sel_hi:[1,0]
	v_fmac_f32_e32 v177, v69, v246
	v_pk_add_f32 v[20:21], v[70:71], v[72:73]
	s_waitcnt vmcnt(10)
	v_pk_fma_f32 v[24:25], v[2:3], v[174:175], v[22:23] op_sel:[0,0,1] op_sel_hi:[1,1,0] neg_lo:[0,0,1] neg_hi:[0,0,1]
	v_pk_fma_f32 v[2:3], v[2:3], v[174:175], v[22:23] op_sel:[0,0,1] op_sel_hi:[1,0,0]
	v_pk_add_f32 v[20:21], v[20:21], v[176:177]
	v_mov_b32_e32 v25, v3
	v_pk_add_f32 v[2:3], v[20:21], v[24:25]
	v_mov_b32_e32 v20, v77
	v_pk_mul_f32 v[20:21], v[4:5], v[20:21] op_sel_hi:[1,0]
	v_pk_fma_f32 v[22:23], v[4:5], v[76:77], v[20:21] op_sel:[0,0,1] op_sel_hi:[1,1,0] neg_lo:[0,0,1] neg_hi:[0,0,1]
	v_pk_fma_f32 v[4:5], v[4:5], v[76:77], v[20:21] op_sel:[0,0,1] op_sel_hi:[1,0,0]
	v_mov_b32_e32 v4, v75
	v_mov_b32_e32 v23, v5
	s_waitcnt lgkmcnt(2)
	v_pk_mul_f32 v[4:5], v[6:7], v[4:5] op_sel_hi:[1,0]
	v_pk_fma_f32 v[20:21], v[6:7], v[74:75], v[4:5] op_sel:[0,0,1] op_sel_hi:[1,1,0] neg_lo:[0,0,1] neg_hi:[0,0,1]
	v_pk_fma_f32 v[4:5], v[6:7], v[74:75], v[4:5] op_sel:[0,0,1] op_sel_hi:[1,0,0]
	s_waitcnt vmcnt(3)
	v_mov_b32_e32 v4, v185
	v_mov_b32_e32 v21, v5
	v_pk_mul_f32 v[4:5], v[8:9], v[4:5] op_sel_hi:[1,0]
	s_waitcnt vmcnt(2)
	v_pk_fma_f32 v[6:7], v[8:9], v[184:185], v[4:5] op_sel:[0,0,1] op_sel_hi:[1,1,0] neg_lo:[0,0,1] neg_hi:[0,0,1]
	v_pk_fma_f32 v[4:5], v[8:9], v[184:185], v[4:5] op_sel:[0,0,1] op_sel_hi:[1,0,0]
	v_pk_add_f32 v[2:3], v[2:3], v[22:23]
	v_mov_b32_e32 v4, v183
	v_pk_add_f32 v[2:3], v[2:3], v[20:21]
	v_mov_b32_e32 v7, v5
	s_waitcnt lgkmcnt(1)
	v_pk_mul_f32 v[4:5], v[10:11], v[4:5] op_sel_hi:[1,0]
	v_pk_add_f32 v[2:3], v[2:3], v[6:7]
	v_pk_fma_f32 v[6:7], v[10:11], v[182:183], v[4:5] op_sel:[0,0,1] op_sel_hi:[1,1,0] neg_lo:[0,0,1] neg_hi:[0,0,1]
	v_pk_fma_f32 v[4:5], v[10:11], v[182:183], v[4:5] op_sel:[0,0,1] op_sel_hi:[1,0,0]
	v_mov_b32_e32 v4, v181
	v_mov_b32_e32 v7, v5
	v_pk_mul_f32 v[4:5], v[12:13], v[4:5] op_sel_hi:[1,0]
	v_pk_add_f32 v[2:3], v[2:3], v[6:7]
	v_pk_fma_f32 v[6:7], v[12:13], v[180:181], v[4:5] op_sel:[0,0,1] op_sel_hi:[1,1,0] neg_lo:[0,0,1] neg_hi:[0,0,1]
	v_pk_fma_f32 v[4:5], v[12:13], v[180:181], v[4:5] op_sel:[0,0,1] op_sel_hi:[1,0,0]
	v_mov_b32_e32 v4, v179
	v_mov_b32_e32 v7, v5
	s_waitcnt lgkmcnt(0)
	v_pk_mul_f32 v[4:5], v[14:15], v[4:5] op_sel_hi:[1,0]
	v_pk_add_f32 v[2:3], v[2:3], v[6:7]
	v_pk_fma_f32 v[6:7], v[14:15], v[178:179], v[4:5] op_sel:[0,0,1] op_sel_hi:[1,1,0] neg_lo:[0,0,1] neg_hi:[0,0,1]
	v_pk_fma_f32 v[4:5], v[14:15], v[178:179], v[4:5] op_sel:[0,0,1] op_sel_hi:[1,0,0]
	s_waitcnt vmcnt(1)
	v_mov_b32_e32 v4, v187
	v_mov_b32_e32 v7, v5
	v_pk_mul_f32 v[4:5], v[16:17], v[4:5] op_sel_hi:[1,0]
	v_pk_add_f32 v[2:3], v[2:3], v[6:7]
	s_waitcnt vmcnt(0)
	v_pk_fma_f32 v[6:7], v[16:17], v[186:187], v[4:5] op_sel:[0,0,1] op_sel_hi:[1,1,0] neg_lo:[0,0,1] neg_hi:[0,0,1]
	v_pk_fma_f32 v[4:5], v[16:17], v[186:187], v[4:5] op_sel:[0,0,1] op_sel_hi:[1,0,0]
	v_mov_b32_e32 v7, v5
	v_pk_add_f32 v[2:3], v[2:3], v[6:7]
	v_pk_add_f32 v[2:3], v[18:19], v[2:3] neg_lo:[0,1] neg_hi:[0,1]
	buffer_store_dword v3, off, s[0:3], 0 offset:60
	buffer_store_dword v2, off, s[0:3], 0 offset:56
	s_and_saveexec_b64 s[4:5], vcc
	s_cbranch_execz .LBB47_289
; %bb.288:
	buffer_load_dword v2, off, s[0:3], 0 offset:48
	buffer_load_dword v3, off, s[0:3], 0 offset:52
	v_mov_b32_e32 v4, 0
	v_accvgpr_read_b32 v1, a20
	buffer_store_dword v4, off, s[0:3], 0 offset:48
	buffer_store_dword v4, off, s[0:3], 0 offset:52
	s_waitcnt vmcnt(2)
	ds_write_b64 v1, v[2:3]
.LBB47_289:
	s_or_b64 exec, exec, s[4:5]
	s_waitcnt lgkmcnt(0)
	; wave barrier
	s_waitcnt lgkmcnt(0)
	buffer_load_dword v174, off, s[0:3], 0 offset:60
	buffer_load_dword v191, off, s[0:3], 0 offset:68
	;; [unrolled: 1-line block ×58, first 2 shown]
	v_mov_b32_e32 v190, 0
	ds_read2_b64 v[22:25], v190 offset0:55 offset1:56
	ds_read2_b64 v[18:21], v190 offset0:57 offset1:58
	;; [unrolled: 1-line block ×5, first 2 shown]
	buffer_load_dword v244, off, s[0:3], 0 offset:284
	buffer_load_dword v245, off, s[0:3], 0 offset:280
	;; [unrolled: 1-line block ×6, first 2 shown]
	v_cmp_lt_u32_e32 vcc, 5, v0
	s_waitcnt vmcnt(62) lgkmcnt(4)
	v_mul_f32_e32 v2, v22, v174
	v_mul_f32_e32 v3, v24, v191
	s_waitcnt vmcnt(61) lgkmcnt(3)
	v_mul_f32_e32 v4, v18, v74
	s_waitcnt vmcnt(60)
	v_mul_f32_e32 v5, v20, v192
	s_waitcnt vmcnt(59) lgkmcnt(2)
	v_mul_f32_e32 v26, v14, v193
	s_waitcnt vmcnt(58)
	;; [unrolled: 4-line block ×3, first 2 shown]
	v_mul_f32_e32 v29, v12, v195
	s_waitcnt vmcnt(55)
	v_fmac_f32_e32 v2, v23, v207
	s_waitcnt vmcnt(54)
	v_fmac_f32_e32 v3, v25, v205
	v_add_f32_e32 v2, 0, v2
	s_waitcnt vmcnt(53)
	v_fmac_f32_e32 v4, v19, v206
	v_add_f32_e32 v2, v2, v3
	;; [unrolled: 3-line block ×7, first 2 shown]
	v_add_f32_e32 v2, v2, v29
	ds_read2_b64 v[26:29], v190 offset0:65 offset1:66
	s_waitcnt vmcnt(47) lgkmcnt(1)
	v_mul_f32_e32 v3, v6, v199
	s_waitcnt vmcnt(46)
	v_fmac_f32_e32 v3, v7, v198
	v_add_f32_e32 v2, v2, v3
	s_waitcnt vmcnt(45)
	v_mul_f32_e32 v3, v8, v197
	buffer_load_dword v250, off, s[0:3], 0 offset:308
	buffer_load_dword v251, off, s[0:3], 0 offset:304
	;; [unrolled: 1-line block ×4, first 2 shown]
	s_waitcnt vmcnt(46)
	v_fmac_f32_e32 v3, v9, v202
	ds_read2_b64 v[30:33], v190 offset0:67 offset1:68
	ds_read2_b64 v[34:37], v190 offset0:69 offset1:70
	v_add_f32_e32 v2, v2, v3
	s_waitcnt vmcnt(44) lgkmcnt(2)
	v_mul_f32_e32 v3, v26, v209
	v_fmac_f32_e32 v3, v27, v208
	v_add_f32_e32 v2, v2, v3
	s_waitcnt vmcnt(42)
	v_mul_f32_e32 v3, v28, v211
	v_fmac_f32_e32 v3, v29, v210
	v_add_f32_e32 v2, v2, v3
	s_waitcnt vmcnt(40) lgkmcnt(1)
	v_mul_f32_e32 v3, v30, v213
	v_fmac_f32_e32 v3, v31, v212
	v_add_f32_e32 v2, v2, v3
	s_waitcnt vmcnt(38)
	v_mul_f32_e32 v3, v32, v215
	v_fmac_f32_e32 v3, v33, v214
	ds_read2_b64 v[38:41], v190 offset0:71 offset1:72
	ds_read2_b64 v[42:45], v190 offset0:73 offset1:74
	v_add_f32_e32 v2, v2, v3
	s_waitcnt vmcnt(36) lgkmcnt(2)
	v_mul_f32_e32 v3, v34, v217
	v_fmac_f32_e32 v3, v35, v216
	v_add_f32_e32 v2, v2, v3
	s_waitcnt vmcnt(34)
	v_mul_f32_e32 v3, v36, v219
	v_fmac_f32_e32 v3, v37, v218
	v_add_f32_e32 v2, v2, v3
	s_waitcnt vmcnt(32) lgkmcnt(1)
	v_mul_f32_e32 v3, v38, v221
	v_fmac_f32_e32 v3, v39, v220
	v_add_f32_e32 v2, v2, v3
	s_waitcnt vmcnt(30)
	v_mul_f32_e32 v3, v40, v223
	;; [unrolled: 18-line block ×4, first 2 shown]
	v_fmac_f32_e32 v3, v57, v238
	ds_read2_b64 v[62:65], v190 offset0:83 offset1:84
	ds_read2_b64 v[66:69], v190 offset0:85 offset1:86
	v_add_f32_e32 v2, v2, v3
	s_waitcnt vmcnt(12) lgkmcnt(2)
	v_mul_f32_e32 v3, v58, v241
	v_fmac_f32_e32 v3, v59, v240
	v_add_f32_e32 v2, v2, v3
	s_waitcnt vmcnt(10)
	v_mul_f32_e32 v3, v60, v243
	v_fmac_f32_e32 v3, v61, v242
	v_add_f32_e32 v2, v2, v3
	s_waitcnt vmcnt(9) lgkmcnt(1)
	v_mul_f32_e32 v3, v62, v244
	s_waitcnt vmcnt(8)
	v_fmac_f32_e32 v3, v63, v245
	v_add_f32_e32 v2, v2, v3
	s_waitcnt vmcnt(7)
	v_mul_f32_e32 v3, v64, v246
	s_waitcnt vmcnt(6)
	v_fmac_f32_e32 v3, v65, v247
	s_waitcnt vmcnt(5) lgkmcnt(0)
	v_mul_f32_e32 v73, v66, v248
	v_add_f32_e32 v72, v2, v3
	s_waitcnt vmcnt(4)
	v_fmac_f32_e32 v73, v67, v249
	ds_read2_b64 v[2:5], v190 offset0:87 offset1:88
	v_add_f32_e32 v77, v72, v73
	buffer_load_dword v73, off, s[0:3], 0 offset:324
	buffer_load_dword v72, off, s[0:3], 0 offset:320
	;; [unrolled: 1-line block ×16, first 2 shown]
	v_mul_f32_e32 v23, v23, v174
	v_fma_f32 v22, v22, v207, -v23
	v_mul_f32_e32 v23, v25, v191
	v_add_f32_e32 v22, 0, v22
	v_fma_f32 v23, v24, v205, -v23
	v_mul_f32_e32 v19, v19, v74
	v_add_f32_e32 v22, v22, v23
	v_fma_f32 v18, v18, v206, -v19
	v_mul_f32_e32 v19, v21, v192
	v_add_f32_e32 v18, v22, v18
	v_fma_f32 v19, v20, v203, -v19
	v_mul_f32_e32 v15, v15, v193
	v_add_f32_e32 v18, v18, v19
	v_fma_f32 v14, v14, v200, -v15
	v_mul_f32_e32 v15, v17, v194
	v_add_f32_e32 v14, v18, v14
	v_fma_f32 v15, v16, v196, -v15
	v_mul_f32_e32 v11, v11, v76
	v_add_f32_e32 v14, v14, v15
	v_fma_f32 v10, v10, v204, -v11
	v_mul_f32_e32 v11, v13, v195
	v_add_f32_e32 v10, v14, v10
	v_fma_f32 v11, v12, v201, -v11
	v_mul_f32_e32 v7, v7, v199
	v_add_f32_e32 v10, v10, v11
	v_fma_f32 v6, v6, v198, -v7
	v_mul_f32_e32 v7, v9, v197
	v_add_f32_e32 v6, v10, v6
	v_fma_f32 v7, v8, v202, -v7
	v_add_f32_e32 v6, v6, v7
	v_mul_f32_e32 v7, v27, v209
	v_fma_f32 v7, v26, v208, -v7
	v_add_f32_e32 v6, v6, v7
	v_mul_f32_e32 v7, v29, v211
	;; [unrolled: 3-line block ×21, first 2 shown]
	v_fma_f32 v7, v66, v249, -v7
	s_waitcnt vmcnt(19)
	v_mul_f32_e32 v175, v68, v250
	s_waitcnt vmcnt(17) lgkmcnt(0)
	v_mul_f32_e32 v75, v2, v252
	v_add_f32_e32 v76, v6, v7
	v_mul_f32_e32 v6, v69, v250
	s_waitcnt vmcnt(15)
	v_mov_b32_e32 v20, v73
	v_fmac_f32_e32 v175, v69, v251
	v_fmac_f32_e32 v75, v3, v253
	v_fma_f32 v174, v68, v251, -v6
	v_mul_f32_e32 v3, v3, v252
	v_pk_mul_f32 v[20:21], v[4:5], v[20:21] op_sel_hi:[1,0]
	v_fma_f32 v74, v2, v253, -v3
	v_pk_add_f32 v[18:19], v[76:77], v[174:175]
	s_waitcnt vmcnt(14)
	v_pk_fma_f32 v[22:23], v[4:5], v[72:73], v[20:21] op_sel:[0,0,1] op_sel_hi:[1,1,0] neg_lo:[0,0,1] neg_hi:[0,0,1]
	v_pk_fma_f32 v[4:5], v[4:5], v[72:73], v[20:21] op_sel:[0,0,1] op_sel_hi:[1,0,0]
	ds_read2_b64 v[6:9], v190 offset0:89 offset1:90
	ds_read2_b64 v[10:13], v190 offset0:91 offset1:92
	;; [unrolled: 1-line block ×3, first 2 shown]
	ds_read_b64 v[2:3], v190 offset:760
	v_pk_add_f32 v[18:19], v[18:19], v[74:75]
	v_mov_b32_e32 v23, v5
	v_pk_add_f32 v[4:5], v[18:19], v[22:23]
	s_waitcnt vmcnt(13)
	v_mov_b32_e32 v18, v189
	s_waitcnt lgkmcnt(3)
	v_pk_mul_f32 v[18:19], v[6:7], v[18:19] op_sel_hi:[1,0]
	s_waitcnt vmcnt(12)
	v_pk_fma_f32 v[20:21], v[6:7], v[188:189], v[18:19] op_sel:[0,0,1] op_sel_hi:[1,1,0] neg_lo:[0,0,1] neg_hi:[0,0,1]
	v_pk_fma_f32 v[6:7], v[6:7], v[188:189], v[18:19] op_sel:[0,0,1] op_sel_hi:[1,0,0]
	s_waitcnt vmcnt(11)
	v_mov_b32_e32 v6, v187
	v_mov_b32_e32 v21, v7
	v_pk_mul_f32 v[6:7], v[8:9], v[6:7] op_sel_hi:[1,0]
	s_waitcnt vmcnt(10)
	v_pk_fma_f32 v[18:19], v[8:9], v[186:187], v[6:7] op_sel:[0,0,1] op_sel_hi:[1,1,0] neg_lo:[0,0,1] neg_hi:[0,0,1]
	v_pk_fma_f32 v[6:7], v[8:9], v[186:187], v[6:7] op_sel:[0,0,1] op_sel_hi:[1,0,0]
	s_waitcnt vmcnt(9)
	v_mov_b32_e32 v6, v185
	v_mov_b32_e32 v19, v7
	s_waitcnt lgkmcnt(2)
	v_pk_mul_f32 v[6:7], v[10:11], v[6:7] op_sel_hi:[1,0]
	s_waitcnt vmcnt(8)
	v_pk_fma_f32 v[8:9], v[10:11], v[184:185], v[6:7] op_sel:[0,0,1] op_sel_hi:[1,1,0] neg_lo:[0,0,1] neg_hi:[0,0,1]
	v_pk_fma_f32 v[6:7], v[10:11], v[184:185], v[6:7] op_sel:[0,0,1] op_sel_hi:[1,0,0]
	v_pk_add_f32 v[4:5], v[4:5], v[20:21]
	s_waitcnt vmcnt(7)
	v_mov_b32_e32 v6, v183
	v_pk_add_f32 v[4:5], v[4:5], v[18:19]
	v_mov_b32_e32 v9, v7
	v_pk_mul_f32 v[6:7], v[12:13], v[6:7] op_sel_hi:[1,0]
	v_pk_add_f32 v[4:5], v[4:5], v[8:9]
	s_waitcnt vmcnt(6)
	v_pk_fma_f32 v[8:9], v[12:13], v[182:183], v[6:7] op_sel:[0,0,1] op_sel_hi:[1,1,0] neg_lo:[0,0,1] neg_hi:[0,0,1]
	v_pk_fma_f32 v[6:7], v[12:13], v[182:183], v[6:7] op_sel:[0,0,1] op_sel_hi:[1,0,0]
	s_waitcnt vmcnt(5)
	v_mov_b32_e32 v6, v181
	v_mov_b32_e32 v9, v7
	s_waitcnt lgkmcnt(1)
	v_pk_mul_f32 v[6:7], v[14:15], v[6:7] op_sel_hi:[1,0]
	v_pk_add_f32 v[4:5], v[4:5], v[8:9]
	s_waitcnt vmcnt(4)
	v_pk_fma_f32 v[8:9], v[14:15], v[180:181], v[6:7] op_sel:[0,0,1] op_sel_hi:[1,1,0] neg_lo:[0,0,1] neg_hi:[0,0,1]
	v_pk_fma_f32 v[6:7], v[14:15], v[180:181], v[6:7] op_sel:[0,0,1] op_sel_hi:[1,0,0]
	s_waitcnt vmcnt(3)
	v_mov_b32_e32 v6, v179
	v_mov_b32_e32 v9, v7
	v_pk_mul_f32 v[6:7], v[16:17], v[6:7] op_sel_hi:[1,0]
	v_pk_add_f32 v[4:5], v[4:5], v[8:9]
	s_waitcnt vmcnt(2)
	v_pk_fma_f32 v[8:9], v[16:17], v[178:179], v[6:7] op_sel:[0,0,1] op_sel_hi:[1,1,0] neg_lo:[0,0,1] neg_hi:[0,0,1]
	v_pk_fma_f32 v[6:7], v[16:17], v[178:179], v[6:7] op_sel:[0,0,1] op_sel_hi:[1,0,0]
	s_waitcnt vmcnt(1)
	v_mov_b32_e32 v6, v177
	v_mov_b32_e32 v9, v7
	s_waitcnt lgkmcnt(0)
	v_pk_mul_f32 v[6:7], v[2:3], v[6:7] op_sel_hi:[1,0]
	v_pk_add_f32 v[4:5], v[4:5], v[8:9]
	s_waitcnt vmcnt(0)
	v_pk_fma_f32 v[8:9], v[2:3], v[176:177], v[6:7] op_sel:[0,0,1] op_sel_hi:[1,1,0] neg_lo:[0,0,1] neg_hi:[0,0,1]
	v_pk_fma_f32 v[2:3], v[2:3], v[176:177], v[6:7] op_sel:[0,0,1] op_sel_hi:[1,0,0]
	v_mov_b32_e32 v9, v3
	v_pk_add_f32 v[2:3], v[4:5], v[8:9]
	v_pk_add_f32 v[2:3], v[70:71], v[2:3] neg_lo:[0,1] neg_hi:[0,1]
	buffer_store_dword v3, off, s[0:3], 0 offset:52
	buffer_store_dword v2, off, s[0:3], 0 offset:48
	s_and_saveexec_b64 s[4:5], vcc
	s_cbranch_execz .LBB47_291
; %bb.290:
	buffer_load_dword v2, off, s[0:3], 0 offset:40
	buffer_load_dword v3, off, s[0:3], 0 offset:44
	v_accvgpr_read_b32 v1, a20
	buffer_store_dword v190, off, s[0:3], 0 offset:40
	buffer_store_dword v190, off, s[0:3], 0 offset:44
	s_waitcnt vmcnt(2)
	ds_write_b64 v1, v[2:3]
.LBB47_291:
	s_or_b64 exec, exec, s[4:5]
	s_waitcnt lgkmcnt(0)
	; wave barrier
	s_waitcnt lgkmcnt(0)
	buffer_load_dword v174, off, s[0:3], 0 offset:52
	buffer_load_dword v176, off, s[0:3], 0 offset:60
	;; [unrolled: 1-line block ×24, first 2 shown]
	ds_read_b128 v[22:25], v190 offset:432
	ds_read_b128 v[18:21], v190 offset:448
	ds_read_b128 v[14:17], v190 offset:464
	ds_read_b128 v[6:9], v190 offset:480
	buffer_load_dword v214, off, s[0:3], 0 offset:136
	buffer_load_dword v215, off, s[0:3], 0 offset:140
	ds_read_b128 v[10:13], v190 offset:496
	ds_read_b128 v[2:5], v190 offset:512
	buffer_load_dword v216, off, s[0:3], 0 offset:144
	buffer_load_dword v217, off, s[0:3], 0 offset:148
	;; [unrolled: 1-line block ×44, first 2 shown]
	v_cmp_lt_u32_e32 vcc, 4, v0
	s_waitcnt vmcnt(62) lgkmcnt(5)
	v_mul_f32_e32 v28, v22, v174
	v_mul_f32_e32 v29, v24, v176
	s_waitcnt lgkmcnt(4)
	v_mul_f32_e32 v31, v20, v178
	s_waitcnt lgkmcnt(3)
	v_mul_f32_e32 v32, v14, v191
	v_mul_f32_e32 v33, v16, v196
	;; [unrolled: 1-line block ×3, first 2 shown]
	s_waitcnt lgkmcnt(2)
	v_mul_f32_e32 v34, v6, v198
	v_mul_f32_e32 v35, v8, v199
	s_waitcnt vmcnt(61)
	v_fmac_f32_e32 v30, v19, v200
	s_waitcnt vmcnt(60)
	v_fmac_f32_e32 v29, v25, v201
	;; [unrolled: 2-line block ×3, first 2 shown]
	v_add_f32_e32 v28, 0, v28
	v_add_f32_e32 v28, v28, v29
	;; [unrolled: 1-line block ×3, first 2 shown]
	s_waitcnt vmcnt(55)
	v_fmac_f32_e32 v31, v21, v206
	v_fmac_f32_e32 v32, v15, v205
	v_add_f32_e32 v28, v28, v31
	v_fmac_f32_e32 v33, v17, v204
	v_add_f32_e32 v28, v28, v32
	;; [unrolled: 2-line block ×3, first 2 shown]
	s_waitcnt vmcnt(51)
	v_fmac_f32_e32 v35, v9, v210
	v_add_f32_e32 v28, v28, v34
	s_waitcnt vmcnt(50) lgkmcnt(1)
	v_mul_f32_e32 v29, v10, v211
	v_add_f32_e32 v28, v28, v35
	v_fmac_f32_e32 v29, v11, v209
	v_add_f32_e32 v28, v28, v29
	s_waitcnt vmcnt(49)
	v_mul_f32_e32 v29, v12, v212
	v_fmac_f32_e32 v29, v13, v208
	v_add_f32_e32 v28, v28, v29
	s_waitcnt vmcnt(48) lgkmcnt(0)
	v_mul_f32_e32 v29, v2, v213
	v_fmac_f32_e32 v29, v3, v207
	v_add_f32_e32 v32, v28, v29
	ds_read_b128 v[28:31], v190 offset:528
	s_waitcnt vmcnt(44)
	v_mul_f32_e32 v33, v4, v215
	v_fmac_f32_e32 v33, v5, v214
	v_add_f32_e32 v36, v32, v33
	ds_read_b128 v[32:35], v190 offset:544
	s_waitcnt vmcnt(42) lgkmcnt(1)
	v_mul_f32_e32 v37, v28, v217
	v_fmac_f32_e32 v37, v29, v216
	v_add_f32_e32 v36, v36, v37
	s_waitcnt vmcnt(40)
	v_mul_f32_e32 v37, v30, v219
	v_fmac_f32_e32 v37, v31, v218
	v_add_f32_e32 v36, v36, v37
	s_waitcnt vmcnt(38) lgkmcnt(0)
	v_mul_f32_e32 v37, v32, v221
	v_fmac_f32_e32 v37, v33, v220
	v_add_f32_e32 v40, v36, v37
	ds_read_b128 v[36:39], v190 offset:560
	s_waitcnt vmcnt(36)
	v_mul_f32_e32 v41, v34, v223
	v_fmac_f32_e32 v41, v35, v222
	v_add_f32_e32 v44, v40, v41
	ds_read_b128 v[40:43], v190 offset:576
	s_waitcnt vmcnt(34) lgkmcnt(1)
	v_mul_f32_e32 v45, v36, v225
	;; [unrolled: 18-line block ×4, first 2 shown]
	v_fmac_f32_e32 v61, v53, v240
	v_add_f32_e32 v60, v60, v61
	s_waitcnt vmcnt(16)
	v_mul_f32_e32 v61, v54, v243
	v_fmac_f32_e32 v61, v55, v242
	v_add_f32_e32 v60, v60, v61
	s_waitcnt vmcnt(14) lgkmcnt(0)
	v_mul_f32_e32 v61, v56, v245
	v_fmac_f32_e32 v61, v57, v244
	v_add_f32_e32 v64, v60, v61
	ds_read_b128 v[60:63], v190 offset:656
	s_waitcnt vmcnt(12)
	v_mul_f32_e32 v65, v58, v247
	v_fmac_f32_e32 v65, v59, v246
	v_add_f32_e32 v68, v64, v65
	ds_read_b128 v[64:67], v190 offset:672
	buffer_load_dword v77, off, s[0:3], 0 offset:324
	buffer_load_dword v76, off, s[0:3], 0 offset:320
	s_waitcnt vmcnt(12) lgkmcnt(1)
	v_mul_f32_e32 v69, v60, v249
	v_fmac_f32_e32 v69, v61, v248
	v_add_f32_e32 v68, v68, v69
	s_waitcnt vmcnt(10)
	v_mul_f32_e32 v69, v62, v251
	v_fmac_f32_e32 v69, v63, v250
	v_add_f32_e32 v68, v68, v69
	s_waitcnt vmcnt(8) lgkmcnt(0)
	v_mul_f32_e32 v69, v64, v253
	v_fmac_f32_e32 v69, v65, v252
	s_waitcnt vmcnt(6)
	v_mul_f32_e32 v73, v66, v255
	v_add_f32_e32 v72, v68, v69
	v_fmac_f32_e32 v73, v67, v254
	ds_read_b128 v[68:71], v190 offset:688
	v_add_f32_e32 v175, v72, v73
	ds_read_b128 v[72:75], v190 offset:704
	buffer_load_dword v181, off, s[0:3], 0 offset:356
	buffer_load_dword v180, off, s[0:3], 0 offset:352
	;; [unrolled: 1-line block ×14, first 2 shown]
	v_mul_f32_e32 v23, v23, v174
	v_fma_f32 v22, v22, v202, -v23
	v_mul_f32_e32 v23, v25, v176
	v_add_f32_e32 v22, 0, v22
	v_fma_f32 v23, v24, v201, -v23
	v_mul_f32_e32 v19, v19, v197
	v_add_f32_e32 v22, v22, v23
	;; [unrolled: 3-line block ×7, first 2 shown]
	v_fma_f32 v7, v8, v210, -v7
	v_add_f32_e32 v6, v6, v7
	v_mul_f32_e32 v7, v11, v211
	v_fma_f32 v7, v10, v209, -v7
	v_add_f32_e32 v6, v6, v7
	v_mul_f32_e32 v7, v13, v212
	v_fma_f32 v7, v12, v208, -v7
	v_mul_f32_e32 v3, v3, v213
	v_add_f32_e32 v6, v6, v7
	v_fma_f32 v2, v2, v207, -v3
	v_mul_f32_e32 v3, v5, v215
	v_add_f32_e32 v2, v6, v2
	v_fma_f32 v3, v4, v214, -v3
	v_add_f32_e32 v2, v2, v3
	v_mul_f32_e32 v3, v29, v217
	v_fma_f32 v3, v28, v216, -v3
	v_add_f32_e32 v2, v2, v3
	v_mul_f32_e32 v3, v31, v219
	;; [unrolled: 3-line block ×20, first 2 shown]
	v_fma_f32 v3, v66, v254, -v3
	s_waitcnt vmcnt(15)
	v_mov_b32_e32 v16, v77
	s_waitcnt lgkmcnt(1)
	v_mul_f32_e32 v177, v68, v78
	v_add_f32_e32 v174, v2, v3
	v_mul_f32_e32 v2, v69, v78
	s_waitcnt lgkmcnt(0)
	v_pk_mul_f32 v[16:17], v[72:73], v[16:17] op_sel_hi:[1,0]
	v_fmac_f32_e32 v177, v69, v1
	v_mul_f32_e32 v179, v70, v80
	v_fma_f32 v176, v68, v1, -v2
	v_mul_f32_e32 v1, v71, v80
	s_waitcnt vmcnt(14)
	v_pk_fma_f32 v[18:19], v[72:73], v[76:77], v[16:17] op_sel:[0,0,1] op_sel_hi:[1,1,0] neg_lo:[0,0,1] neg_hi:[0,0,1]
	v_pk_fma_f32 v[16:17], v[72:73], v[76:77], v[16:17] op_sel:[0,0,1] op_sel_hi:[1,0,0]
	v_fmac_f32_e32 v179, v71, v79
	v_fma_f32 v178, v70, v79, -v1
	v_pk_add_f32 v[14:15], v[174:175], v[176:177]
	s_waitcnt vmcnt(7)
	v_mov_b32_e32 v16, v187
	ds_read_b128 v[2:5], v190 offset:720
	ds_read_b128 v[6:9], v190 offset:736
	ds_read_b128 v[10:13], v190 offset:752
	v_pk_add_f32 v[14:15], v[14:15], v[178:179]
	v_mov_b32_e32 v19, v17
	v_pk_mul_f32 v[16:17], v[74:75], v[16:17] op_sel_hi:[1,0]
	v_pk_add_f32 v[14:15], v[14:15], v[18:19]
	s_waitcnt vmcnt(6)
	v_pk_fma_f32 v[18:19], v[74:75], v[186:187], v[16:17] op_sel:[0,0,1] op_sel_hi:[1,1,0] neg_lo:[0,0,1] neg_hi:[0,0,1]
	v_pk_fma_f32 v[16:17], v[74:75], v[186:187], v[16:17] op_sel:[0,0,1] op_sel_hi:[1,0,0]
	v_mov_b32_e32 v16, v185
	v_mov_b32_e32 v19, v17
	s_waitcnt lgkmcnt(2)
	v_pk_mul_f32 v[16:17], v[2:3], v[16:17] op_sel_hi:[1,0]
	v_pk_add_f32 v[14:15], v[14:15], v[18:19]
	v_pk_fma_f32 v[18:19], v[2:3], v[184:185], v[16:17] op_sel:[0,0,1] op_sel_hi:[1,1,0] neg_lo:[0,0,1] neg_hi:[0,0,1]
	v_pk_fma_f32 v[2:3], v[2:3], v[184:185], v[16:17] op_sel:[0,0,1] op_sel_hi:[1,0,0]
	v_mov_b32_e32 v19, v3
	v_pk_add_f32 v[2:3], v[14:15], v[18:19]
	v_mov_b32_e32 v14, v183
	v_pk_mul_f32 v[14:15], v[4:5], v[14:15] op_sel_hi:[1,0]
	v_pk_fma_f32 v[16:17], v[4:5], v[182:183], v[14:15] op_sel:[0,0,1] op_sel_hi:[1,1,0] neg_lo:[0,0,1] neg_hi:[0,0,1]
	v_pk_fma_f32 v[4:5], v[4:5], v[182:183], v[14:15] op_sel:[0,0,1] op_sel_hi:[1,0,0]
	v_mov_b32_e32 v4, v181
	v_mov_b32_e32 v17, v5
	s_waitcnt lgkmcnt(1)
	v_pk_mul_f32 v[4:5], v[6:7], v[4:5] op_sel_hi:[1,0]
	v_pk_fma_f32 v[14:15], v[6:7], v[180:181], v[4:5] op_sel:[0,0,1] op_sel_hi:[1,1,0] neg_lo:[0,0,1] neg_hi:[0,0,1]
	v_pk_fma_f32 v[4:5], v[6:7], v[180:181], v[4:5] op_sel:[0,0,1] op_sel_hi:[1,0,0]
	s_waitcnt vmcnt(1)
	v_mov_b32_e32 v4, v195
	v_mov_b32_e32 v15, v5
	v_pk_mul_f32 v[4:5], v[8:9], v[4:5] op_sel_hi:[1,0]
	s_waitcnt vmcnt(0)
	v_pk_fma_f32 v[6:7], v[8:9], v[194:195], v[4:5] op_sel:[0,0,1] op_sel_hi:[1,1,0] neg_lo:[0,0,1] neg_hi:[0,0,1]
	v_pk_fma_f32 v[4:5], v[8:9], v[194:195], v[4:5] op_sel:[0,0,1] op_sel_hi:[1,0,0]
	v_pk_add_f32 v[2:3], v[2:3], v[16:17]
	v_mov_b32_e32 v4, v193
	v_pk_add_f32 v[2:3], v[2:3], v[14:15]
	v_mov_b32_e32 v7, v5
	s_waitcnt lgkmcnt(0)
	v_pk_mul_f32 v[4:5], v[10:11], v[4:5] op_sel_hi:[1,0]
	v_pk_add_f32 v[2:3], v[2:3], v[6:7]
	v_pk_fma_f32 v[6:7], v[10:11], v[192:193], v[4:5] op_sel:[0,0,1] op_sel_hi:[1,1,0] neg_lo:[0,0,1] neg_hi:[0,0,1]
	v_pk_fma_f32 v[4:5], v[10:11], v[192:193], v[4:5] op_sel:[0,0,1] op_sel_hi:[1,0,0]
	v_mov_b32_e32 v4, v189
	v_mov_b32_e32 v7, v5
	v_pk_mul_f32 v[4:5], v[12:13], v[4:5] op_sel_hi:[1,0]
	v_pk_add_f32 v[2:3], v[2:3], v[6:7]
	v_pk_fma_f32 v[6:7], v[12:13], v[188:189], v[4:5] op_sel:[0,0,1] op_sel_hi:[1,1,0] neg_lo:[0,0,1] neg_hi:[0,0,1]
	v_pk_fma_f32 v[4:5], v[12:13], v[188:189], v[4:5] op_sel:[0,0,1] op_sel_hi:[1,0,0]
	v_mov_b32_e32 v7, v5
	v_pk_add_f32 v[2:3], v[2:3], v[6:7]
	v_pk_add_f32 v[2:3], v[26:27], v[2:3] neg_lo:[0,1] neg_hi:[0,1]
	buffer_store_dword v3, off, s[0:3], 0 offset:44
	buffer_store_dword v2, off, s[0:3], 0 offset:40
	s_and_saveexec_b64 s[4:5], vcc
	s_cbranch_execz .LBB47_293
; %bb.292:
	buffer_load_dword v2, off, s[0:3], 0 offset:32
	buffer_load_dword v3, off, s[0:3], 0 offset:36
	v_mov_b32_e32 v1, 0
	v_accvgpr_read_b32 v4, a20
	buffer_store_dword v1, off, s[0:3], 0 offset:32
	buffer_store_dword v1, off, s[0:3], 0 offset:36
	s_waitcnt vmcnt(2)
	ds_write_b64 v4, v[2:3]
.LBB47_293:
	s_or_b64 exec, exec, s[4:5]
	s_waitcnt lgkmcnt(0)
	; wave barrier
	s_waitcnt lgkmcnt(0)
	buffer_load_dword v1, off, s[0:3], 0 offset:44
	buffer_load_dword v29, off, s[0:3], 0 offset:52
	;; [unrolled: 1-line block ×56, first 2 shown]
	v_mov_b32_e32 v28, 0
	ds_read2_b64 v[4:7], v28 offset0:53 offset1:54
	ds_read2_b64 v[8:11], v28 offset0:55 offset1:56
	;; [unrolled: 1-line block ×6, first 2 shown]
	buffer_load_dword v241, off, s[0:3], 0 offset:256
	buffer_load_dword v242, off, s[0:3], 0 offset:260
	;; [unrolled: 1-line block ×16, first 2 shown]
	v_cmp_lt_u32_e32 vcc, 3, v0
	s_waitcnt vmcnt(62) lgkmcnt(5)
	v_mul_f32_e32 v30, v4, v1
	v_mul_f32_e32 v31, v6, v29
	s_waitcnt lgkmcnt(4)
	v_mul_f32_e32 v33, v10, v78
	s_waitcnt lgkmcnt(3)
	v_mul_f32_e32 v34, v12, v79
	v_mul_f32_e32 v35, v14, v80
	;; [unrolled: 1-line block ×3, first 2 shown]
	s_waitcnt lgkmcnt(2)
	v_mul_f32_e32 v36, v16, v174
	v_mul_f32_e32 v37, v18, v176
	s_waitcnt lgkmcnt(1)
	v_mul_f32_e32 v38, v20, v178
	v_fmac_f32_e32 v32, v9, v196
	s_waitcnt vmcnt(61)
	v_fmac_f32_e32 v31, v7, v197
	s_waitcnt vmcnt(60)
	v_fmac_f32_e32 v30, v5, v198
	v_add_f32_e32 v30, 0, v30
	v_add_f32_e32 v30, v30, v31
	;; [unrolled: 1-line block ×3, first 2 shown]
	s_waitcnt vmcnt(56)
	v_fmac_f32_e32 v33, v11, v202
	v_fmac_f32_e32 v34, v13, v201
	v_add_f32_e32 v30, v30, v33
	v_fmac_f32_e32 v35, v15, v200
	v_add_f32_e32 v30, v30, v34
	v_fmac_f32_e32 v36, v17, v199
	v_add_f32_e32 v30, v30, v35
	s_waitcnt vmcnt(52)
	v_fmac_f32_e32 v37, v19, v206
	v_add_f32_e32 v30, v30, v36
	v_add_f32_e32 v30, v30, v37
	v_fmac_f32_e32 v38, v21, v205
	s_waitcnt vmcnt(51)
	v_mul_f32_e32 v31, v22, v207
	v_add_f32_e32 v30, v30, v38
	v_fmac_f32_e32 v31, v23, v204
	v_add_f32_e32 v30, v30, v31
	s_waitcnt vmcnt(50) lgkmcnt(0)
	v_mul_f32_e32 v31, v24, v208
	v_fmac_f32_e32 v31, v25, v203
	v_add_f32_e32 v34, v30, v31
	ds_read2_b64 v[30:33], v28 offset0:65 offset1:66
	s_waitcnt vmcnt(46)
	v_mul_f32_e32 v35, v26, v210
	v_fmac_f32_e32 v35, v27, v209
	v_add_f32_e32 v38, v34, v35
	ds_read2_b64 v[34:37], v28 offset0:67 offset1:68
	s_waitcnt vmcnt(44) lgkmcnt(1)
	v_mul_f32_e32 v39, v30, v212
	v_fmac_f32_e32 v39, v31, v211
	v_add_f32_e32 v38, v38, v39
	s_waitcnt vmcnt(42)
	v_mul_f32_e32 v39, v32, v214
	v_fmac_f32_e32 v39, v33, v213
	v_add_f32_e32 v38, v38, v39
	s_waitcnt vmcnt(40) lgkmcnt(0)
	v_mul_f32_e32 v39, v34, v216
	v_fmac_f32_e32 v39, v35, v215
	v_add_f32_e32 v42, v38, v39
	ds_read2_b64 v[38:41], v28 offset0:69 offset1:70
	s_waitcnt vmcnt(38)
	v_mul_f32_e32 v43, v36, v218
	v_fmac_f32_e32 v43, v37, v217
	v_add_f32_e32 v46, v42, v43
	ds_read2_b64 v[42:45], v28 offset0:71 offset1:72
	s_waitcnt vmcnt(36) lgkmcnt(1)
	v_mul_f32_e32 v47, v38, v220
	v_fmac_f32_e32 v47, v39, v219
	v_add_f32_e32 v46, v46, v47
	s_waitcnt vmcnt(34)
	v_mul_f32_e32 v47, v40, v222
	;; [unrolled: 18-line block ×5, first 2 shown]
	v_fmac_f32_e32 v71, v65, v245
	v_add_f32_e32 v70, v70, v71
	s_waitcnt vmcnt(8) lgkmcnt(0)
	v_mul_f32_e32 v71, v66, v248
	v_fmac_f32_e32 v71, v67, v247
	s_waitcnt vmcnt(6)
	v_mul_f32_e32 v75, v68, v250
	v_add_f32_e32 v74, v70, v71
	v_fmac_f32_e32 v75, v69, v249
	ds_read2_b64 v[70:73], v28 offset0:85 offset1:86
	v_add_f32_e32 v83, v74, v75
	ds_read2_b64 v[74:77], v28 offset0:87 offset1:88
	buffer_load_dword v181, off, s[0:3], 0 offset:348
	buffer_load_dword v180, off, s[0:3], 0 offset:344
	;; [unrolled: 1-line block ×16, first 2 shown]
	v_mul_f32_e32 v1, v5, v1
	v_fma_f32 v1, v4, v198, -v1
	v_mul_f32_e32 v4, v7, v29
	v_add_f32_e32 v1, 0, v1
	v_fma_f32 v4, v6, v197, -v4
	v_add_f32_e32 v1, v1, v4
	v_mul_f32_e32 v4, v9, v81
	v_fma_f32 v4, v8, v196, -v4
	v_add_f32_e32 v1, v1, v4
	v_mul_f32_e32 v4, v11, v78
	;; [unrolled: 3-line block ×30, first 2 shown]
	v_fma_f32 v4, v68, v249, -v4
	v_add_f32_e32 v1, v1, v4
	s_waitcnt vmcnt(20) lgkmcnt(1)
	v_mul_f32_e32 v4, v71, v252
	v_mul_f32_e32 v175, v70, v252
	v_fma_f32 v4, v70, v251, -v4
	s_waitcnt vmcnt(9)
	v_mov_b32_e32 v20, v187
	v_fmac_f32_e32 v175, v71, v251
	v_mul_f32_e32 v177, v72, v254
	v_add_f32_e32 v174, v1, v4
	v_mul_f32_e32 v1, v73, v254
	s_waitcnt lgkmcnt(0)
	v_pk_mul_f32 v[20:21], v[76:77], v[20:21] op_sel_hi:[1,0]
	v_add_f32_e32 v175, v83, v175
	v_fmac_f32_e32 v177, v73, v253
	v_mul_f32_e32 v179, v74, v82
	v_fma_f32 v176, v72, v253, -v1
	v_mul_f32_e32 v1, v75, v82
	ds_read2_b64 v[4:7], v28 offset0:89 offset1:90
	ds_read2_b64 v[8:11], v28 offset0:91 offset1:92
	;; [unrolled: 1-line block ×3, first 2 shown]
	ds_read_b64 v[16:17], v28 offset:760
	s_waitcnt vmcnt(8)
	v_pk_fma_f32 v[22:23], v[76:77], v[186:187], v[20:21] op_sel:[0,0,1] op_sel_hi:[1,1,0] neg_lo:[0,0,1] neg_hi:[0,0,1]
	v_pk_fma_f32 v[20:21], v[76:77], v[186:187], v[20:21] op_sel:[0,0,1] op_sel_hi:[1,0,0]
	v_fmac_f32_e32 v179, v75, v255
	v_fma_f32 v178, v74, v255, -v1
	v_pk_add_f32 v[18:19], v[174:175], v[176:177]
	v_mov_b32_e32 v20, v185
	v_pk_add_f32 v[18:19], v[18:19], v[178:179]
	v_mov_b32_e32 v23, v21
	s_waitcnt lgkmcnt(3)
	v_pk_mul_f32 v[20:21], v[4:5], v[20:21] op_sel_hi:[1,0]
	v_pk_add_f32 v[18:19], v[18:19], v[22:23]
	v_pk_fma_f32 v[22:23], v[4:5], v[184:185], v[20:21] op_sel:[0,0,1] op_sel_hi:[1,1,0] neg_lo:[0,0,1] neg_hi:[0,0,1]
	v_pk_fma_f32 v[4:5], v[4:5], v[184:185], v[20:21] op_sel:[0,0,1] op_sel_hi:[1,0,0]
	v_mov_b32_e32 v23, v5
	v_pk_add_f32 v[4:5], v[18:19], v[22:23]
	v_mov_b32_e32 v18, v183
	v_pk_mul_f32 v[18:19], v[6:7], v[18:19] op_sel_hi:[1,0]
	v_pk_fma_f32 v[20:21], v[6:7], v[182:183], v[18:19] op_sel:[0,0,1] op_sel_hi:[1,1,0] neg_lo:[0,0,1] neg_hi:[0,0,1]
	v_pk_fma_f32 v[6:7], v[6:7], v[182:183], v[18:19] op_sel:[0,0,1] op_sel_hi:[1,0,0]
	v_mov_b32_e32 v6, v181
	v_mov_b32_e32 v21, v7
	s_waitcnt lgkmcnt(2)
	v_pk_mul_f32 v[6:7], v[8:9], v[6:7] op_sel_hi:[1,0]
	v_pk_fma_f32 v[18:19], v[8:9], v[180:181], v[6:7] op_sel:[0,0,1] op_sel_hi:[1,1,0] neg_lo:[0,0,1] neg_hi:[0,0,1]
	v_pk_fma_f32 v[6:7], v[8:9], v[180:181], v[6:7] op_sel:[0,0,1] op_sel_hi:[1,0,0]
	s_waitcnt vmcnt(1)
	v_mov_b32_e32 v6, v195
	v_mov_b32_e32 v19, v7
	v_pk_mul_f32 v[6:7], v[10:11], v[6:7] op_sel_hi:[1,0]
	s_waitcnt vmcnt(0)
	v_pk_fma_f32 v[8:9], v[10:11], v[194:195], v[6:7] op_sel:[0,0,1] op_sel_hi:[1,1,0] neg_lo:[0,0,1] neg_hi:[0,0,1]
	v_pk_fma_f32 v[6:7], v[10:11], v[194:195], v[6:7] op_sel:[0,0,1] op_sel_hi:[1,0,0]
	v_pk_add_f32 v[4:5], v[4:5], v[20:21]
	v_mov_b32_e32 v6, v193
	v_pk_add_f32 v[4:5], v[4:5], v[18:19]
	v_mov_b32_e32 v9, v7
	s_waitcnt lgkmcnt(1)
	v_pk_mul_f32 v[6:7], v[12:13], v[6:7] op_sel_hi:[1,0]
	v_pk_add_f32 v[4:5], v[4:5], v[8:9]
	v_pk_fma_f32 v[8:9], v[12:13], v[192:193], v[6:7] op_sel:[0,0,1] op_sel_hi:[1,1,0] neg_lo:[0,0,1] neg_hi:[0,0,1]
	v_pk_fma_f32 v[6:7], v[12:13], v[192:193], v[6:7] op_sel:[0,0,1] op_sel_hi:[1,0,0]
	v_mov_b32_e32 v6, v191
	v_mov_b32_e32 v9, v7
	v_pk_mul_f32 v[6:7], v[14:15], v[6:7] op_sel_hi:[1,0]
	v_pk_add_f32 v[4:5], v[4:5], v[8:9]
	v_pk_fma_f32 v[8:9], v[14:15], v[190:191], v[6:7] op_sel:[0,0,1] op_sel_hi:[1,1,0] neg_lo:[0,0,1] neg_hi:[0,0,1]
	v_pk_fma_f32 v[6:7], v[14:15], v[190:191], v[6:7] op_sel:[0,0,1] op_sel_hi:[1,0,0]
	v_mov_b32_e32 v6, v189
	v_mov_b32_e32 v9, v7
	s_waitcnt lgkmcnt(0)
	v_pk_mul_f32 v[6:7], v[16:17], v[6:7] op_sel_hi:[1,0]
	v_pk_add_f32 v[4:5], v[4:5], v[8:9]
	v_pk_fma_f32 v[8:9], v[16:17], v[188:189], v[6:7] op_sel:[0,0,1] op_sel_hi:[1,1,0] neg_lo:[0,0,1] neg_hi:[0,0,1]
	v_pk_fma_f32 v[6:7], v[16:17], v[188:189], v[6:7] op_sel:[0,0,1] op_sel_hi:[1,0,0]
	v_mov_b32_e32 v9, v7
	v_pk_add_f32 v[4:5], v[4:5], v[8:9]
	v_pk_add_f32 v[2:3], v[2:3], v[4:5] neg_lo:[0,1] neg_hi:[0,1]
	buffer_store_dword v3, off, s[0:3], 0 offset:36
	buffer_store_dword v2, off, s[0:3], 0 offset:32
	s_and_saveexec_b64 s[4:5], vcc
	s_cbranch_execz .LBB47_295
; %bb.294:
	buffer_load_dword v2, off, s[0:3], 0 offset:24
	buffer_load_dword v3, off, s[0:3], 0 offset:28
	v_accvgpr_read_b32 v1, a20
	buffer_store_dword v28, off, s[0:3], 0 offset:24
	buffer_store_dword v28, off, s[0:3], 0 offset:28
	s_waitcnt vmcnt(2)
	ds_write_b64 v1, v[2:3]
.LBB47_295:
	s_or_b64 exec, exec, s[4:5]
	s_waitcnt lgkmcnt(0)
	; wave barrier
	s_waitcnt lgkmcnt(0)
	buffer_load_dword v1, off, s[0:3], 0 offset:36
	buffer_load_dword v29, off, s[0:3], 0 offset:44
	buffer_load_dword v78, off, s[0:3], 0 offset:60
	buffer_load_dword v79, off, s[0:3], 0 offset:68
	buffer_load_dword v80, off, s[0:3], 0 offset:76
	buffer_load_dword v81, off, s[0:3], 0 offset:52
	buffer_load_dword v82, off, s[0:3], 0 offset:84
	buffer_load_dword v83, off, s[0:3], 0 offset:92
	buffer_load_dword v174, off, s[0:3], 0 offset:100
	buffer_load_dword v176, off, s[0:3], 0 offset:48
	buffer_load_dword v184, off, s[0:3], 0 offset:40
	buffer_load_dword v196, off, s[0:3], 0 offset:32
	buffer_load_dword v197, off, s[0:3], 0 offset:80
	buffer_load_dword v198, off, s[0:3], 0 offset:72
	buffer_load_dword v199, off, s[0:3], 0 offset:64
	buffer_load_dword v200, off, s[0:3], 0 offset:56
	buffer_load_dword v201, off, s[0:3], 0 offset:112
	buffer_load_dword v202, off, s[0:3], 0 offset:104
	buffer_load_dword v203, off, s[0:3], 0 offset:96
	buffer_load_dword v204, off, s[0:3], 0 offset:88
	buffer_load_dword v205, off, s[0:3], 0 offset:108
	buffer_load_dword v206, off, s[0:3], 0 offset:116
	buffer_load_dword v26, off, s[0:3], 0 offset:24
	buffer_load_dword v27, off, s[0:3], 0 offset:28
	buffer_load_dword v207, off, s[0:3], 0 offset:120
	buffer_load_dword v208, off, s[0:3], 0 offset:124
	ds_read_b128 v[22:25], v28 offset:416
	ds_read_b128 v[18:21], v28 offset:432
	;; [unrolled: 1-line block ×6, first 2 shown]
	buffer_load_dword v209, off, s[0:3], 0 offset:128
	buffer_load_dword v210, off, s[0:3], 0 offset:132
	;; [unrolled: 1-line block ×42, first 2 shown]
	v_cmp_lt_u32_e32 vcc, 2, v0
	s_waitcnt vmcnt(62) lgkmcnt(5)
	v_mul_f32_e32 v30, v22, v1
	v_mul_f32_e32 v31, v24, v29
	s_waitcnt lgkmcnt(4)
	v_mul_f32_e32 v33, v20, v78
	s_waitcnt lgkmcnt(3)
	v_mul_f32_e32 v34, v14, v79
	v_mul_f32_e32 v35, v16, v80
	;; [unrolled: 1-line block ×3, first 2 shown]
	s_waitcnt vmcnt(61) lgkmcnt(2)
	v_mul_f32_e32 v36, v10, v82
	s_waitcnt vmcnt(60)
	v_mul_f32_e32 v37, v12, v83
	s_waitcnt vmcnt(59) lgkmcnt(1)
	v_mul_f32_e32 v38, v6, v174
	s_waitcnt vmcnt(58)
	v_fmac_f32_e32 v32, v19, v176
	s_waitcnt vmcnt(57)
	v_fmac_f32_e32 v31, v25, v184
	;; [unrolled: 2-line block ×3, first 2 shown]
	v_add_f32_e32 v30, 0, v30
	v_add_f32_e32 v30, v30, v31
	;; [unrolled: 1-line block ×3, first 2 shown]
	s_waitcnt vmcnt(52)
	v_fmac_f32_e32 v33, v21, v200
	v_fmac_f32_e32 v34, v15, v199
	v_add_f32_e32 v30, v30, v33
	v_fmac_f32_e32 v35, v17, v198
	v_add_f32_e32 v30, v30, v34
	;; [unrolled: 2-line block ×3, first 2 shown]
	s_waitcnt vmcnt(48)
	v_fmac_f32_e32 v37, v13, v204
	v_add_f32_e32 v30, v30, v36
	v_fmac_f32_e32 v38, v7, v203
	v_add_f32_e32 v30, v30, v37
	s_waitcnt vmcnt(47)
	v_mul_f32_e32 v31, v8, v205
	v_add_f32_e32 v30, v30, v38
	v_fmac_f32_e32 v31, v9, v202
	v_add_f32_e32 v30, v30, v31
	s_waitcnt vmcnt(46) lgkmcnt(0)
	v_mul_f32_e32 v31, v2, v206
	v_fmac_f32_e32 v31, v3, v201
	v_add_f32_e32 v34, v30, v31
	ds_read_b128 v[30:33], v28 offset:512
	s_waitcnt vmcnt(42)
	v_mul_f32_e32 v35, v4, v208
	v_fmac_f32_e32 v35, v5, v207
	buffer_load_dword v251, off, s[0:3], 0 offset:296
	buffer_load_dword v252, off, s[0:3], 0 offset:300
	v_add_f32_e32 v38, v34, v35
	buffer_load_dword v253, off, s[0:3], 0 offset:304
	buffer_load_dword v254, off, s[0:3], 0 offset:308
	ds_read_b128 v[34:37], v28 offset:528
	s_waitcnt vmcnt(44) lgkmcnt(1)
	v_mul_f32_e32 v39, v30, v210
	v_fmac_f32_e32 v39, v31, v209
	v_add_f32_e32 v38, v38, v39
	s_waitcnt vmcnt(42)
	v_mul_f32_e32 v39, v32, v212
	v_fmac_f32_e32 v39, v33, v211
	v_add_f32_e32 v38, v38, v39
	s_waitcnt vmcnt(40) lgkmcnt(0)
	v_mul_f32_e32 v39, v34, v214
	v_fmac_f32_e32 v39, v35, v213
	buffer_load_dword v255, off, s[0:3], 0 offset:312
	buffer_load_dword v84, off, s[0:3], 0 offset:316
	v_add_f32_e32 v42, v38, v39
	ds_read_b128 v[38:41], v28 offset:544
	s_waitcnt vmcnt(40)
	v_mul_f32_e32 v43, v36, v216
	v_fmac_f32_e32 v43, v37, v215
	v_add_f32_e32 v46, v42, v43
	ds_read_b128 v[42:45], v28 offset:560
	s_waitcnt vmcnt(38) lgkmcnt(1)
	v_mul_f32_e32 v47, v38, v218
	v_fmac_f32_e32 v47, v39, v217
	v_add_f32_e32 v46, v46, v47
	s_waitcnt vmcnt(36)
	v_mul_f32_e32 v47, v40, v220
	v_fmac_f32_e32 v47, v41, v219
	v_add_f32_e32 v46, v46, v47
	s_waitcnt vmcnt(34) lgkmcnt(0)
	v_mul_f32_e32 v47, v42, v222
	v_fmac_f32_e32 v47, v43, v221
	v_add_f32_e32 v50, v46, v47
	ds_read_b128 v[46:49], v28 offset:576
	s_waitcnt vmcnt(32)
	v_mul_f32_e32 v51, v44, v224
	v_fmac_f32_e32 v51, v45, v223
	v_add_f32_e32 v54, v50, v51
	ds_read_b128 v[50:53], v28 offset:592
	s_waitcnt vmcnt(30) lgkmcnt(1)
	v_mul_f32_e32 v55, v46, v226
	v_fmac_f32_e32 v55, v47, v225
	v_add_f32_e32 v54, v54, v55
	s_waitcnt vmcnt(28)
	v_mul_f32_e32 v55, v48, v228
	v_fmac_f32_e32 v55, v49, v227
	v_add_f32_e32 v54, v54, v55
	s_waitcnt vmcnt(26) lgkmcnt(0)
	v_mul_f32_e32 v55, v50, v230
	v_fmac_f32_e32 v55, v51, v229
	;; [unrolled: 18-line block ×4, first 2 shown]
	s_waitcnt vmcnt(8)
	v_mul_f32_e32 v75, v68, v248
	v_add_f32_e32 v74, v70, v71
	v_fmac_f32_e32 v75, v69, v247
	ds_read_b128 v[70:73], v28 offset:672
	v_add_f32_e32 v85, v74, v75
	ds_read_b128 v[74:77], v28 offset:688
	buffer_load_dword v179, off, s[0:3], 0 offset:340
	buffer_load_dword v178, off, s[0:3], 0 offset:336
	;; [unrolled: 1-line block ×16, first 2 shown]
	v_mul_f32_e32 v1, v23, v1
	v_fma_f32 v1, v22, v196, -v1
	v_mul_f32_e32 v22, v25, v29
	v_add_f32_e32 v1, 0, v1
	v_fma_f32 v22, v24, v184, -v22
	v_mul_f32_e32 v19, v19, v81
	v_add_f32_e32 v1, v1, v22
	v_fma_f32 v18, v18, v176, -v19
	v_add_f32_e32 v1, v1, v18
	v_mul_f32_e32 v18, v21, v78
	v_fma_f32 v18, v20, v200, -v18
	v_mul_f32_e32 v15, v15, v79
	v_add_f32_e32 v1, v1, v18
	v_fma_f32 v14, v14, v199, -v15
	v_add_f32_e32 v1, v1, v14
	v_mul_f32_e32 v14, v17, v80
	;; [unrolled: 6-line block ×5, first 2 shown]
	v_fma_f32 v2, v4, v207, -v2
	v_add_f32_e32 v1, v1, v2
	v_mul_f32_e32 v2, v31, v210
	v_fma_f32 v2, v30, v209, -v2
	v_add_f32_e32 v1, v1, v2
	v_mul_f32_e32 v2, v33, v212
	;; [unrolled: 3-line block ×20, first 2 shown]
	v_fma_f32 v2, v68, v247, -v2
	v_add_f32_e32 v1, v1, v2
	s_waitcnt vmcnt(22) lgkmcnt(1)
	v_mul_f32_e32 v2, v71, v250
	v_fma_f32 v2, v70, v249, -v2
	v_mul_f32_e32 v175, v70, v250
	v_add_f32_e32 v1, v1, v2
	s_waitcnt vmcnt(20)
	v_mul_f32_e32 v2, v73, v252
	v_fmac_f32_e32 v175, v71, v249
	v_fma_f32 v2, v72, v251, -v2
	v_add_f32_e32 v85, v85, v175
	v_mul_f32_e32 v175, v72, v252
	v_add_f32_e32 v174, v1, v2
	ds_read_b128 v[2:5], v28 offset:704
	ds_read_b128 v[6:9], v28 offset:720
	;; [unrolled: 1-line block ×4, first 2 shown]
	v_fmac_f32_e32 v175, v73, v251
	s_waitcnt vmcnt(18) lgkmcnt(4)
	v_mul_f32_e32 v177, v74, v254
	v_mul_f32_e32 v1, v75, v254
	s_waitcnt vmcnt(11)
	v_mov_b32_e32 v20, v183
	v_add_f32_e32 v175, v85, v175
	v_fmac_f32_e32 v177, v75, v253
	v_mul_f32_e32 v185, v76, v84
	v_fma_f32 v176, v74, v253, -v1
	v_mul_f32_e32 v1, v77, v84
	s_waitcnt lgkmcnt(3)
	v_pk_mul_f32 v[20:21], v[2:3], v[20:21] op_sel_hi:[1,0]
	v_fmac_f32_e32 v185, v77, v255
	v_fma_f32 v184, v76, v255, -v1
	v_pk_add_f32 v[18:19], v[174:175], v[176:177]
	s_waitcnt vmcnt(10)
	v_pk_fma_f32 v[22:23], v[2:3], v[182:183], v[20:21] op_sel:[0,0,1] op_sel_hi:[1,1,0] neg_lo:[0,0,1] neg_hi:[0,0,1]
	v_pk_fma_f32 v[2:3], v[2:3], v[182:183], v[20:21] op_sel:[0,0,1] op_sel_hi:[1,0,0]
	v_pk_add_f32 v[18:19], v[18:19], v[184:185]
	v_mov_b32_e32 v23, v3
	v_pk_add_f32 v[2:3], v[18:19], v[22:23]
	v_mov_b32_e32 v18, v181
	v_pk_mul_f32 v[18:19], v[4:5], v[18:19] op_sel_hi:[1,0]
	v_pk_fma_f32 v[20:21], v[4:5], v[180:181], v[18:19] op_sel:[0,0,1] op_sel_hi:[1,1,0] neg_lo:[0,0,1] neg_hi:[0,0,1]
	v_pk_fma_f32 v[4:5], v[4:5], v[180:181], v[18:19] op_sel:[0,0,1] op_sel_hi:[1,0,0]
	v_mov_b32_e32 v4, v179
	v_mov_b32_e32 v21, v5
	s_waitcnt lgkmcnt(2)
	v_pk_mul_f32 v[4:5], v[6:7], v[4:5] op_sel_hi:[1,0]
	v_pk_fma_f32 v[18:19], v[6:7], v[178:179], v[4:5] op_sel:[0,0,1] op_sel_hi:[1,1,0] neg_lo:[0,0,1] neg_hi:[0,0,1]
	v_pk_fma_f32 v[4:5], v[6:7], v[178:179], v[4:5] op_sel:[0,0,1] op_sel_hi:[1,0,0]
	s_waitcnt vmcnt(3)
	v_mov_b32_e32 v4, v193
	v_mov_b32_e32 v19, v5
	v_pk_mul_f32 v[4:5], v[8:9], v[4:5] op_sel_hi:[1,0]
	s_waitcnt vmcnt(2)
	v_pk_fma_f32 v[6:7], v[8:9], v[192:193], v[4:5] op_sel:[0,0,1] op_sel_hi:[1,1,0] neg_lo:[0,0,1] neg_hi:[0,0,1]
	v_pk_fma_f32 v[4:5], v[8:9], v[192:193], v[4:5] op_sel:[0,0,1] op_sel_hi:[1,0,0]
	v_pk_add_f32 v[2:3], v[2:3], v[20:21]
	v_mov_b32_e32 v4, v191
	v_pk_add_f32 v[2:3], v[2:3], v[18:19]
	v_mov_b32_e32 v7, v5
	s_waitcnt lgkmcnt(1)
	v_pk_mul_f32 v[4:5], v[10:11], v[4:5] op_sel_hi:[1,0]
	v_pk_add_f32 v[2:3], v[2:3], v[6:7]
	v_pk_fma_f32 v[6:7], v[10:11], v[190:191], v[4:5] op_sel:[0,0,1] op_sel_hi:[1,1,0] neg_lo:[0,0,1] neg_hi:[0,0,1]
	v_pk_fma_f32 v[4:5], v[10:11], v[190:191], v[4:5] op_sel:[0,0,1] op_sel_hi:[1,0,0]
	v_mov_b32_e32 v4, v189
	v_mov_b32_e32 v7, v5
	v_pk_mul_f32 v[4:5], v[12:13], v[4:5] op_sel_hi:[1,0]
	v_pk_add_f32 v[2:3], v[2:3], v[6:7]
	v_pk_fma_f32 v[6:7], v[12:13], v[188:189], v[4:5] op_sel:[0,0,1] op_sel_hi:[1,1,0] neg_lo:[0,0,1] neg_hi:[0,0,1]
	v_pk_fma_f32 v[4:5], v[12:13], v[188:189], v[4:5] op_sel:[0,0,1] op_sel_hi:[1,0,0]
	v_mov_b32_e32 v4, v187
	v_mov_b32_e32 v7, v5
	s_waitcnt lgkmcnt(0)
	v_pk_mul_f32 v[4:5], v[14:15], v[4:5] op_sel_hi:[1,0]
	v_pk_add_f32 v[2:3], v[2:3], v[6:7]
	v_pk_fma_f32 v[6:7], v[14:15], v[186:187], v[4:5] op_sel:[0,0,1] op_sel_hi:[1,1,0] neg_lo:[0,0,1] neg_hi:[0,0,1]
	v_pk_fma_f32 v[4:5], v[14:15], v[186:187], v[4:5] op_sel:[0,0,1] op_sel_hi:[1,0,0]
	s_waitcnt vmcnt(1)
	v_mov_b32_e32 v4, v195
	v_mov_b32_e32 v7, v5
	v_pk_mul_f32 v[4:5], v[16:17], v[4:5] op_sel_hi:[1,0]
	v_pk_add_f32 v[2:3], v[2:3], v[6:7]
	s_waitcnt vmcnt(0)
	v_pk_fma_f32 v[6:7], v[16:17], v[194:195], v[4:5] op_sel:[0,0,1] op_sel_hi:[1,1,0] neg_lo:[0,0,1] neg_hi:[0,0,1]
	v_pk_fma_f32 v[4:5], v[16:17], v[194:195], v[4:5] op_sel:[0,0,1] op_sel_hi:[1,0,0]
	v_mov_b32_e32 v7, v5
	v_pk_add_f32 v[2:3], v[2:3], v[6:7]
	v_pk_add_f32 v[2:3], v[26:27], v[2:3] neg_lo:[0,1] neg_hi:[0,1]
	buffer_store_dword v3, off, s[0:3], 0 offset:28
	buffer_store_dword v2, off, s[0:3], 0 offset:24
	s_and_saveexec_b64 s[4:5], vcc
	s_cbranch_execz .LBB47_297
; %bb.296:
	buffer_load_dword v2, off, s[0:3], 0 offset:16
	buffer_load_dword v3, off, s[0:3], 0 offset:20
	v_mov_b32_e32 v1, 0
	v_accvgpr_read_b32 v4, a20
	buffer_store_dword v1, off, s[0:3], 0 offset:16
	buffer_store_dword v1, off, s[0:3], 0 offset:20
	s_waitcnt vmcnt(2)
	ds_write_b64 v4, v[2:3]
.LBB47_297:
	s_or_b64 exec, exec, s[4:5]
	v_mov_b32_e32 v198, 0
	s_waitcnt lgkmcnt(0)
	; wave barrier
	s_waitcnt lgkmcnt(0)
	ds_read2_b64 v[2:5], v198 offset0:51 offset1:52
	buffer_load_dword v174, off, s[0:3], 0 offset:16
	buffer_load_dword v175, off, s[0:3], 0 offset:20
	;; [unrolled: 1-line block ×16, first 2 shown]
	v_cmp_lt_u32_e32 vcc, 1, v0
	s_waitcnt vmcnt(12) lgkmcnt(0)
	v_mul_f32_e32 v1, v2, v199
	v_fmac_f32_e32 v1, v3, v176
	s_waitcnt vmcnt(10)
	v_mul_f32_e32 v6, v4, v201
	v_add_f32_e32 v1, 0, v1
	v_fmac_f32_e32 v6, v5, v178
	v_add_f32_e32 v1, v1, v6
	ds_read2_b64 v[6:9], v198 offset0:53 offset1:54
	v_mul_f32_e32 v3, v3, v199
	v_fma_f32 v2, v2, v176, -v3
	v_mul_f32_e32 v3, v5, v201
	v_add_f32_e32 v2, 0, v2
	s_waitcnt vmcnt(8) lgkmcnt(0)
	v_mul_f32_e32 v10, v6, v203
	v_fmac_f32_e32 v10, v7, v182
	v_add_f32_e32 v1, v1, v10
	s_waitcnt vmcnt(6)
	v_mul_f32_e32 v10, v8, v205
	v_fmac_f32_e32 v10, v9, v200
	v_add_f32_e32 v1, v1, v10
	ds_read2_b64 v[10:13], v198 offset0:55 offset1:56
	v_fma_f32 v3, v4, v178, -v3
	v_add_f32_e32 v2, v2, v3
	v_mul_f32_e32 v3, v7, v203
	v_fma_f32 v3, v6, v182, -v3
	s_waitcnt vmcnt(4) lgkmcnt(0)
	v_mul_f32_e32 v14, v10, v207
	v_fmac_f32_e32 v14, v11, v202
	v_add_f32_e32 v1, v1, v14
	s_waitcnt vmcnt(2)
	v_mul_f32_e32 v14, v12, v208
	v_fmac_f32_e32 v14, v13, v204
	v_add_f32_e32 v1, v1, v14
	ds_read2_b64 v[14:17], v198 offset0:57 offset1:58
	buffer_load_dword v210, off, s[0:3], 0 offset:80
	buffer_load_dword v211, off, s[0:3], 0 offset:84
	v_add_f32_e32 v2, v2, v3
	v_mul_f32_e32 v3, v9, v205
	v_fma_f32 v3, v8, v200, -v3
	s_waitcnt vmcnt(2) lgkmcnt(0)
	v_mul_f32_e32 v18, v14, v209
	v_fmac_f32_e32 v18, v15, v206
	v_add_f32_e32 v1, v1, v18
	v_add_f32_e32 v2, v2, v3
	v_mul_f32_e32 v3, v11, v207
	v_fma_f32 v3, v10, v202, -v3
	v_add_f32_e32 v2, v2, v3
	v_mul_f32_e32 v3, v13, v208
	v_fma_f32 v3, v12, v204, -v3
	;; [unrolled: 3-line block ×3, first 2 shown]
	v_add_f32_e32 v2, v2, v3
	s_waitcnt vmcnt(0)
	v_mul_f32_e32 v18, v16, v211
	v_fmac_f32_e32 v18, v17, v210
	v_add_f32_e32 v1, v1, v18
	ds_read2_b64 v[18:21], v198 offset0:59 offset1:60
	buffer_load_dword v212, off, s[0:3], 0 offset:88
	buffer_load_dword v213, off, s[0:3], 0 offset:92
	;; [unrolled: 1-line block ×4, first 2 shown]
	v_mul_f32_e32 v3, v17, v211
	v_fma_f32 v3, v16, v210, -v3
	v_add_f32_e32 v2, v2, v3
	s_waitcnt vmcnt(2) lgkmcnt(0)
	v_mul_f32_e32 v22, v18, v213
	v_fmac_f32_e32 v22, v19, v212
	v_add_f32_e32 v1, v1, v22
	s_waitcnt vmcnt(0)
	v_mul_f32_e32 v22, v20, v215
	v_fmac_f32_e32 v22, v21, v214
	v_add_f32_e32 v1, v1, v22
	ds_read2_b64 v[22:25], v198 offset0:61 offset1:62
	buffer_load_dword v216, off, s[0:3], 0 offset:104
	buffer_load_dword v217, off, s[0:3], 0 offset:108
	buffer_load_dword v218, off, s[0:3], 0 offset:112
	buffer_load_dword v219, off, s[0:3], 0 offset:116
	ds_read2_b64 v[30:33], v198 offset0:63 offset1:64
	buffer_load_dword v220, off, s[0:3], 0 offset:120
	buffer_load_dword v221, off, s[0:3], 0 offset:124
	buffer_load_dword v222, off, s[0:3], 0 offset:128
	buffer_load_dword v223, off, s[0:3], 0 offset:132
	;; [unrolled: 5-line block ×12, first 2 shown]
	ds_read2_b64 v[74:77], v198 offset0:85 offset1:86
	buffer_load_dword v86, off, s[0:3], 0 offset:296
	buffer_load_dword v87, off, s[0:3], 0 offset:300
	v_mul_f32_e32 v3, v19, v213
	v_fma_f32 v3, v18, v212, -v3
	v_add_f32_e32 v2, v2, v3
	v_mul_f32_e32 v3, v21, v215
	v_fma_f32 v3, v20, v214, -v3
	v_add_f32_e32 v2, v2, v3
	s_waitcnt vmcnt(48) lgkmcnt(12)
	v_mul_f32_e32 v26, v22, v217
	v_fmac_f32_e32 v26, v23, v216
	v_add_f32_e32 v1, v1, v26
	s_waitcnt vmcnt(46)
	v_mul_f32_e32 v26, v24, v219
	v_fmac_f32_e32 v26, v25, v218
	v_add_f32_e32 v1, v1, v26
	s_waitcnt vmcnt(44) lgkmcnt(11)
	v_mul_f32_e32 v26, v30, v221
	v_fmac_f32_e32 v26, v31, v220
	v_add_f32_e32 v1, v1, v26
	s_waitcnt vmcnt(42)
	v_mul_f32_e32 v26, v32, v223
	v_fmac_f32_e32 v26, v33, v222
	;; [unrolled: 8-line block ×12, first 2 shown]
	v_add_f32_e32 v1, v1, v26
	s_waitcnt vmcnt(0) lgkmcnt(0)
	v_mul_f32_e32 v26, v74, v87
	v_fmac_f32_e32 v26, v75, v86
	v_add_f32_e32 v177, v1, v26
	buffer_load_dword v1, off, s[0:3], 0 offset:304
	buffer_load_dword v88, off, s[0:3], 0 offset:308
	ds_read2_b64 v[26:29], v198 offset0:87 offset1:88
	buffer_load_dword v89, off, s[0:3], 0 offset:312
	buffer_load_dword v90, off, s[0:3], 0 offset:316
	;; [unrolled: 1-line block ×18, first 2 shown]
	v_mul_f32_e32 v3, v23, v217
	v_fma_f32 v3, v22, v216, -v3
	v_add_f32_e32 v2, v2, v3
	v_mul_f32_e32 v3, v25, v219
	v_fma_f32 v3, v24, v218, -v3
	v_add_f32_e32 v2, v2, v3
	;; [unrolled: 3-line block ×24, first 2 shown]
	v_mul_f32_e32 v3, v75, v87
	v_fma_f32 v3, v74, v86, -v3
	s_waitcnt vmcnt(15)
	v_mov_b32_e32 v18, v181
	v_add_f32_e32 v176, v2, v3
	v_mul_f32_e32 v179, v76, v88
	v_mul_f32_e32 v2, v77, v88
	s_waitcnt lgkmcnt(0)
	v_pk_mul_f32 v[18:19], v[28:29], v[18:19] op_sel_hi:[1,0]
	v_fmac_f32_e32 v179, v77, v1
	v_mul_f32_e32 v183, v26, v90
	v_fma_f32 v178, v76, v1, -v2
	v_mul_f32_e32 v1, v27, v90
	ds_read2_b64 v[2:5], v198 offset0:89 offset1:90
	ds_read2_b64 v[6:9], v198 offset0:91 offset1:92
	;; [unrolled: 1-line block ×3, first 2 shown]
	ds_read_b64 v[14:15], v198 offset:760
	s_waitcnt vmcnt(14)
	v_pk_fma_f32 v[20:21], v[28:29], v[180:181], v[18:19] op_sel:[0,0,1] op_sel_hi:[1,1,0] neg_lo:[0,0,1] neg_hi:[0,0,1]
	v_pk_fma_f32 v[18:19], v[28:29], v[180:181], v[18:19] op_sel:[0,0,1] op_sel_hi:[1,0,0]
	v_fmac_f32_e32 v183, v27, v89
	v_fma_f32 v182, v26, v89, -v1
	v_pk_add_f32 v[16:17], v[176:177], v[178:179]
	s_waitcnt vmcnt(13)
	v_mov_b32_e32 v18, v197
	v_pk_add_f32 v[16:17], v[16:17], v[182:183]
	v_mov_b32_e32 v21, v19
	s_waitcnt lgkmcnt(3)
	v_pk_mul_f32 v[18:19], v[2:3], v[18:19] op_sel_hi:[1,0]
	v_pk_add_f32 v[16:17], v[16:17], v[20:21]
	s_waitcnt vmcnt(12)
	v_pk_fma_f32 v[20:21], v[2:3], v[196:197], v[18:19] op_sel:[0,0,1] op_sel_hi:[1,1,0] neg_lo:[0,0,1] neg_hi:[0,0,1]
	v_pk_fma_f32 v[2:3], v[2:3], v[196:197], v[18:19] op_sel:[0,0,1] op_sel_hi:[1,0,0]
	v_mov_b32_e32 v21, v3
	v_pk_add_f32 v[2:3], v[16:17], v[20:21]
	s_waitcnt vmcnt(11)
	v_mov_b32_e32 v16, v195
	v_pk_mul_f32 v[16:17], v[4:5], v[16:17] op_sel_hi:[1,0]
	s_waitcnt vmcnt(10)
	v_pk_fma_f32 v[18:19], v[4:5], v[194:195], v[16:17] op_sel:[0,0,1] op_sel_hi:[1,1,0] neg_lo:[0,0,1] neg_hi:[0,0,1]
	v_pk_fma_f32 v[4:5], v[4:5], v[194:195], v[16:17] op_sel:[0,0,1] op_sel_hi:[1,0,0]
	s_waitcnt vmcnt(9)
	v_mov_b32_e32 v4, v193
	v_mov_b32_e32 v19, v5
	s_waitcnt lgkmcnt(2)
	v_pk_mul_f32 v[4:5], v[6:7], v[4:5] op_sel_hi:[1,0]
	s_waitcnt vmcnt(8)
	v_pk_fma_f32 v[16:17], v[6:7], v[192:193], v[4:5] op_sel:[0,0,1] op_sel_hi:[1,1,0] neg_lo:[0,0,1] neg_hi:[0,0,1]
	v_pk_fma_f32 v[4:5], v[6:7], v[192:193], v[4:5] op_sel:[0,0,1] op_sel_hi:[1,0,0]
	s_waitcnt vmcnt(7)
	v_mov_b32_e32 v4, v191
	v_mov_b32_e32 v17, v5
	v_pk_mul_f32 v[4:5], v[8:9], v[4:5] op_sel_hi:[1,0]
	s_waitcnt vmcnt(6)
	v_pk_fma_f32 v[6:7], v[8:9], v[190:191], v[4:5] op_sel:[0,0,1] op_sel_hi:[1,1,0] neg_lo:[0,0,1] neg_hi:[0,0,1]
	v_pk_fma_f32 v[4:5], v[8:9], v[190:191], v[4:5] op_sel:[0,0,1] op_sel_hi:[1,0,0]
	v_pk_add_f32 v[2:3], v[2:3], v[18:19]
	s_waitcnt vmcnt(5)
	v_mov_b32_e32 v4, v189
	v_pk_add_f32 v[2:3], v[2:3], v[16:17]
	v_mov_b32_e32 v7, v5
	s_waitcnt lgkmcnt(1)
	v_pk_mul_f32 v[4:5], v[10:11], v[4:5] op_sel_hi:[1,0]
	v_pk_add_f32 v[2:3], v[2:3], v[6:7]
	s_waitcnt vmcnt(4)
	v_pk_fma_f32 v[6:7], v[10:11], v[188:189], v[4:5] op_sel:[0,0,1] op_sel_hi:[1,1,0] neg_lo:[0,0,1] neg_hi:[0,0,1]
	v_pk_fma_f32 v[4:5], v[10:11], v[188:189], v[4:5] op_sel:[0,0,1] op_sel_hi:[1,0,0]
	s_waitcnt vmcnt(3)
	v_mov_b32_e32 v4, v187
	v_mov_b32_e32 v7, v5
	v_pk_mul_f32 v[4:5], v[12:13], v[4:5] op_sel_hi:[1,0]
	v_pk_add_f32 v[2:3], v[2:3], v[6:7]
	s_waitcnt vmcnt(2)
	v_pk_fma_f32 v[6:7], v[12:13], v[186:187], v[4:5] op_sel:[0,0,1] op_sel_hi:[1,1,0] neg_lo:[0,0,1] neg_hi:[0,0,1]
	v_pk_fma_f32 v[4:5], v[12:13], v[186:187], v[4:5] op_sel:[0,0,1] op_sel_hi:[1,0,0]
	s_waitcnt vmcnt(1)
	v_mov_b32_e32 v4, v185
	v_mov_b32_e32 v7, v5
	s_waitcnt lgkmcnt(0)
	v_pk_mul_f32 v[4:5], v[14:15], v[4:5] op_sel_hi:[1,0]
	v_pk_add_f32 v[2:3], v[2:3], v[6:7]
	s_waitcnt vmcnt(0)
	v_pk_fma_f32 v[6:7], v[14:15], v[184:185], v[4:5] op_sel:[0,0,1] op_sel_hi:[1,1,0] neg_lo:[0,0,1] neg_hi:[0,0,1]
	v_pk_fma_f32 v[4:5], v[14:15], v[184:185], v[4:5] op_sel:[0,0,1] op_sel_hi:[1,0,0]
	v_mov_b32_e32 v7, v5
	v_pk_add_f32 v[2:3], v[2:3], v[6:7]
	v_pk_add_f32 v[2:3], v[174:175], v[2:3] neg_lo:[0,1] neg_hi:[0,1]
	buffer_store_dword v3, off, s[0:3], 0 offset:20
	buffer_store_dword v2, off, s[0:3], 0 offset:16
	s_and_saveexec_b64 s[4:5], vcc
	s_cbranch_execz .LBB47_299
; %bb.298:
	buffer_load_dword v2, off, s[0:3], 0 offset:8
	buffer_load_dword v3, off, s[0:3], 0 offset:12
	v_accvgpr_read_b32 v1, a20
	buffer_store_dword v198, off, s[0:3], 0 offset:8
	buffer_store_dword v198, off, s[0:3], 0 offset:12
	s_waitcnt vmcnt(2)
	ds_write_b64 v1, v[2:3]
.LBB47_299:
	s_or_b64 exec, exec, s[4:5]
	s_waitcnt lgkmcnt(0)
	; wave barrier
	s_waitcnt lgkmcnt(0)
	buffer_load_dword v1, off, s[0:3], 0 offset:20
	buffer_load_dword v78, off, s[0:3], 0 offset:28
	buffer_load_dword v79, off, s[0:3], 0 offset:44
	buffer_load_dword v80, off, s[0:3], 0 offset:52
	buffer_load_dword v81, off, s[0:3], 0 offset:60
	buffer_load_dword v82, off, s[0:3], 0 offset:36
	buffer_load_dword v83, off, s[0:3], 0 offset:68
	buffer_load_dword v84, off, s[0:3], 0 offset:76
	buffer_load_dword v85, off, s[0:3], 0 offset:84
	buffer_load_dword v86, off, s[0:3], 0 offset:92
	buffer_load_dword v87, off, s[0:3], 0 offset:32
	buffer_load_dword v88, off, s[0:3], 0 offset:24
	buffer_load_dword v89, off, s[0:3], 0 offset:16
	buffer_load_dword v90, off, s[0:3], 0 offset:64
	buffer_load_dword v91, off, s[0:3], 0 offset:56
	buffer_load_dword v182, off, s[0:3], 0 offset:48
	buffer_load_dword v184, off, s[0:3], 0 offset:40
	buffer_load_dword v186, off, s[0:3], 0 offset:96
	buffer_load_dword v199, off, s[0:3], 0 offset:88
	buffer_load_dword v204, off, s[0:3], 0 offset:80
	buffer_load_dword v205, off, s[0:3], 0 offset:72
	buffer_load_dword v206, off, s[0:3], 0 offset:100
	buffer_load_dword v207, off, s[0:3], 0 offset:108
	buffer_load_dword v208, off, s[0:3], 0 offset:112
	buffer_load_dword v209, off, s[0:3], 0 offset:116
	buffer_load_dword v210, off, s[0:3], 0 offset:120
	buffer_load_dword v211, off, s[0:3], 0 offset:124
	buffer_load_dword v212, off, s[0:3], 0 offset:128
	buffer_load_dword v213, off, s[0:3], 0 offset:132
	buffer_load_dword v214, off, s[0:3], 0 offset:104
	buffer_load_dword v26, off, s[0:3], 0 offset:8
	buffer_load_dword v27, off, s[0:3], 0 offset:12
	ds_read_b128 v[22:25], v198 offset:400
	ds_read_b128 v[18:21], v198 offset:416
	;; [unrolled: 1-line block ×6, first 2 shown]
	buffer_load_dword v215, off, s[0:3], 0 offset:136
	buffer_load_dword v216, off, s[0:3], 0 offset:140
	;; [unrolled: 1-line block ×32, first 2 shown]
	v_cmp_ne_u32_e32 vcc, 0, v0
	s_waitcnt vmcnt(62) lgkmcnt(5)
	v_mul_f32_e32 v28, v22, v1
	v_mul_f32_e32 v29, v24, v78
	s_waitcnt vmcnt(61) lgkmcnt(4)
	v_mul_f32_e32 v31, v20, v79
	s_waitcnt vmcnt(60) lgkmcnt(3)
	v_mul_f32_e32 v32, v14, v80
	s_waitcnt vmcnt(59)
	v_mul_f32_e32 v33, v16, v81
	s_waitcnt vmcnt(58)
	v_mul_f32_e32 v30, v18, v82
	s_waitcnt vmcnt(57) lgkmcnt(2)
	v_mul_f32_e32 v34, v10, v83
	s_waitcnt vmcnt(56)
	v_mul_f32_e32 v35, v12, v84
	s_waitcnt vmcnt(55) lgkmcnt(1)
	v_mul_f32_e32 v36, v6, v85
	s_waitcnt vmcnt(54)
	v_mul_f32_e32 v37, v8, v86
	s_waitcnt vmcnt(53)
	v_fmac_f32_e32 v30, v19, v87
	s_waitcnt vmcnt(52)
	v_fmac_f32_e32 v29, v25, v88
	;; [unrolled: 2-line block ×3, first 2 shown]
	v_add_f32_e32 v28, 0, v28
	v_add_f32_e32 v28, v28, v29
	;; [unrolled: 1-line block ×3, first 2 shown]
	s_waitcnt vmcnt(47)
	v_fmac_f32_e32 v31, v21, v184
	v_fmac_f32_e32 v32, v15, v182
	v_add_f32_e32 v28, v28, v31
	v_fmac_f32_e32 v33, v17, v91
	v_add_f32_e32 v28, v28, v32
	;; [unrolled: 2-line block ×3, first 2 shown]
	s_waitcnt vmcnt(43)
	v_fmac_f32_e32 v35, v13, v205
	v_add_f32_e32 v28, v28, v34
	v_fmac_f32_e32 v36, v7, v204
	v_add_f32_e32 v28, v28, v35
	;; [unrolled: 2-line block ×3, first 2 shown]
	s_waitcnt vmcnt(42) lgkmcnt(0)
	v_mul_f32_e32 v29, v2, v206
	v_add_f32_e32 v28, v28, v37
	v_fmac_f32_e32 v29, v3, v186
	v_add_f32_e32 v32, v28, v29
	ds_read_b128 v[28:31], v198 offset:496
	buffer_load_dword v247, off, s[0:3], 0 offset:264
	buffer_load_dword v248, off, s[0:3], 0 offset:268
	s_waitcnt vmcnt(43)
	v_mul_f32_e32 v33, v4, v207
	s_waitcnt vmcnt(36)
	v_fmac_f32_e32 v33, v5, v214
	v_add_f32_e32 v36, v32, v33
	ds_read_b128 v[32:35], v198 offset:512
	buffer_load_dword v249, off, s[0:3], 0 offset:272
	buffer_load_dword v250, off, s[0:3], 0 offset:276
	;; [unrolled: 1-line block ×8, first 2 shown]
	s_waitcnt lgkmcnt(1)
	v_mul_f32_e32 v37, v28, v209
	v_fmac_f32_e32 v37, v29, v208
	v_add_f32_e32 v36, v36, v37
	v_mul_f32_e32 v37, v30, v211
	v_fmac_f32_e32 v37, v31, v210
	v_add_f32_e32 v36, v36, v37
	s_waitcnt lgkmcnt(0)
	v_mul_f32_e32 v37, v32, v213
	v_fmac_f32_e32 v37, v33, v212
	v_add_f32_e32 v40, v36, v37
	buffer_load_dword v93, off, s[0:3], 0 offset:304
	buffer_load_dword v94, off, s[0:3], 0 offset:308
	;; [unrolled: 1-line block ×4, first 2 shown]
	ds_read_b128 v[36:39], v198 offset:528
	s_waitcnt vmcnt(44)
	v_mul_f32_e32 v41, v34, v216
	v_fmac_f32_e32 v41, v35, v215
	v_add_f32_e32 v44, v40, v41
	ds_read_b128 v[40:43], v198 offset:544
	s_waitcnt vmcnt(42) lgkmcnt(1)
	v_mul_f32_e32 v45, v36, v218
	v_fmac_f32_e32 v45, v37, v217
	v_add_f32_e32 v44, v44, v45
	s_waitcnt vmcnt(40)
	v_mul_f32_e32 v45, v38, v220
	v_fmac_f32_e32 v45, v39, v219
	v_add_f32_e32 v44, v44, v45
	s_waitcnt vmcnt(38) lgkmcnt(0)
	v_mul_f32_e32 v45, v40, v222
	v_fmac_f32_e32 v45, v41, v221
	v_add_f32_e32 v48, v44, v45
	ds_read_b128 v[44:47], v198 offset:560
	s_waitcnt vmcnt(36)
	v_mul_f32_e32 v49, v42, v224
	v_fmac_f32_e32 v49, v43, v223
	v_add_f32_e32 v52, v48, v49
	ds_read_b128 v[48:51], v198 offset:576
	s_waitcnt vmcnt(34) lgkmcnt(1)
	v_mul_f32_e32 v53, v44, v226
	v_fmac_f32_e32 v53, v45, v225
	v_add_f32_e32 v52, v52, v53
	s_waitcnt vmcnt(32)
	v_mul_f32_e32 v53, v46, v228
	v_fmac_f32_e32 v53, v47, v227
	v_add_f32_e32 v52, v52, v53
	s_waitcnt vmcnt(30) lgkmcnt(0)
	v_mul_f32_e32 v53, v48, v230
	v_fmac_f32_e32 v53, v49, v229
	v_add_f32_e32 v56, v52, v53
	;; [unrolled: 18-line block ×4, first 2 shown]
	ds_read_b128 v[68:71], v198 offset:656
	v_mul_f32_e32 v1, v23, v1
	v_fma_f32 v1, v22, v89, -v1
	v_mul_f32_e32 v22, v25, v78
	v_add_f32_e32 v1, 0, v1
	s_waitcnt vmcnt(12)
	v_mul_f32_e32 v73, v66, v248
	v_fmac_f32_e32 v73, v67, v247
	v_add_f32_e32 v76, v72, v73
	ds_read_b128 v[72:75], v198 offset:672
	v_fma_f32 v22, v24, v88, -v22
	s_waitcnt vmcnt(10) lgkmcnt(1)
	v_mul_f32_e32 v77, v68, v250
	v_fmac_f32_e32 v77, v69, v249
	v_add_f32_e32 v76, v76, v77
	s_waitcnt vmcnt(8)
	v_mul_f32_e32 v77, v70, v252
	v_fmac_f32_e32 v77, v71, v251
	v_add_f32_e32 v76, v76, v77
	s_waitcnt vmcnt(6) lgkmcnt(0)
	v_mul_f32_e32 v77, v72, v254
	v_fmac_f32_e32 v77, v73, v253
	v_add_f32_e32 v97, v76, v77
	buffer_load_dword v77, off, s[0:3], 0 offset:324
	buffer_load_dword v76, off, s[0:3], 0 offset:320
	s_waitcnt vmcnt(6)
	v_mul_f32_e32 v178, v74, v92
	v_fmac_f32_e32 v178, v75, v255
	ds_read_b128 v[174:177], v198 offset:688
	v_add_f32_e32 v183, v97, v178
	ds_read_b128 v[178:181], v198 offset:704
	buffer_load_dword v189, off, s[0:3], 0 offset:356
	buffer_load_dword v188, off, s[0:3], 0 offset:352
	;; [unrolled: 1-line block ×14, first 2 shown]
	v_mul_f32_e32 v19, v19, v82
	v_add_f32_e32 v1, v1, v22
	v_fma_f32 v18, v18, v87, -v19
	v_add_f32_e32 v1, v1, v18
	v_mul_f32_e32 v18, v21, v79
	v_fma_f32 v18, v20, v184, -v18
	v_mul_f32_e32 v15, v15, v80
	v_add_f32_e32 v1, v1, v18
	v_fma_f32 v14, v14, v182, -v15
	v_add_f32_e32 v1, v1, v14
	v_mul_f32_e32 v14, v17, v81
	v_fma_f32 v14, v16, v91, -v14
	;; [unrolled: 6-line block ×5, first 2 shown]
	v_add_f32_e32 v1, v1, v2
	v_mul_f32_e32 v2, v29, v209
	v_fma_f32 v2, v28, v208, -v2
	v_add_f32_e32 v1, v1, v2
	v_mul_f32_e32 v2, v31, v211
	v_fma_f32 v2, v30, v210, -v2
	;; [unrolled: 3-line block ×24, first 2 shown]
	s_waitcnt vmcnt(15)
	v_mov_b32_e32 v16, v77
	s_waitcnt lgkmcnt(1)
	v_mul_f32_e32 v185, v174, v94
	v_add_f32_e32 v182, v1, v2
	v_mul_f32_e32 v1, v175, v94
	s_waitcnt lgkmcnt(0)
	v_pk_mul_f32 v[16:17], v[178:179], v[16:17] op_sel_hi:[1,0]
	v_fmac_f32_e32 v185, v175, v93
	v_mul_f32_e32 v187, v176, v96
	v_fma_f32 v184, v174, v93, -v1
	v_mul_f32_e32 v1, v177, v96
	s_waitcnt vmcnt(14)
	v_pk_fma_f32 v[18:19], v[178:179], v[76:77], v[16:17] op_sel:[0,0,1] op_sel_hi:[1,1,0] neg_lo:[0,0,1] neg_hi:[0,0,1]
	v_pk_fma_f32 v[16:17], v[178:179], v[76:77], v[16:17] op_sel:[0,0,1] op_sel_hi:[1,0,0]
	v_fmac_f32_e32 v187, v177, v95
	v_fma_f32 v186, v176, v95, -v1
	v_pk_add_f32 v[14:15], v[182:183], v[184:185]
	s_waitcnt vmcnt(7)
	v_mov_b32_e32 v16, v195
	ds_read_b128 v[2:5], v198 offset:720
	ds_read_b128 v[6:9], v198 offset:736
	ds_read_b128 v[10:13], v198 offset:752
	v_pk_add_f32 v[14:15], v[14:15], v[186:187]
	v_mov_b32_e32 v19, v17
	v_pk_mul_f32 v[16:17], v[180:181], v[16:17] op_sel_hi:[1,0]
	v_pk_add_f32 v[14:15], v[14:15], v[18:19]
	s_waitcnt vmcnt(6)
	v_pk_fma_f32 v[18:19], v[180:181], v[194:195], v[16:17] op_sel:[0,0,1] op_sel_hi:[1,1,0] neg_lo:[0,0,1] neg_hi:[0,0,1]
	v_pk_fma_f32 v[16:17], v[180:181], v[194:195], v[16:17] op_sel:[0,0,1] op_sel_hi:[1,0,0]
	v_mov_b32_e32 v16, v193
	v_mov_b32_e32 v19, v17
	s_waitcnt lgkmcnt(2)
	v_pk_mul_f32 v[16:17], v[2:3], v[16:17] op_sel_hi:[1,0]
	v_pk_add_f32 v[14:15], v[14:15], v[18:19]
	v_pk_fma_f32 v[18:19], v[2:3], v[192:193], v[16:17] op_sel:[0,0,1] op_sel_hi:[1,1,0] neg_lo:[0,0,1] neg_hi:[0,0,1]
	v_pk_fma_f32 v[2:3], v[2:3], v[192:193], v[16:17] op_sel:[0,0,1] op_sel_hi:[1,0,0]
	v_mov_b32_e32 v19, v3
	v_pk_add_f32 v[2:3], v[14:15], v[18:19]
	v_mov_b32_e32 v14, v191
	v_pk_mul_f32 v[14:15], v[4:5], v[14:15] op_sel_hi:[1,0]
	v_pk_fma_f32 v[16:17], v[4:5], v[190:191], v[14:15] op_sel:[0,0,1] op_sel_hi:[1,1,0] neg_lo:[0,0,1] neg_hi:[0,0,1]
	v_pk_fma_f32 v[4:5], v[4:5], v[190:191], v[14:15] op_sel:[0,0,1] op_sel_hi:[1,0,0]
	v_mov_b32_e32 v4, v189
	v_mov_b32_e32 v17, v5
	s_waitcnt lgkmcnt(1)
	v_pk_mul_f32 v[4:5], v[6:7], v[4:5] op_sel_hi:[1,0]
	v_pk_fma_f32 v[14:15], v[6:7], v[188:189], v[4:5] op_sel:[0,0,1] op_sel_hi:[1,1,0] neg_lo:[0,0,1] neg_hi:[0,0,1]
	v_pk_fma_f32 v[4:5], v[6:7], v[188:189], v[4:5] op_sel:[0,0,1] op_sel_hi:[1,0,0]
	s_waitcnt vmcnt(1)
	v_mov_b32_e32 v4, v203
	v_mov_b32_e32 v15, v5
	v_pk_mul_f32 v[4:5], v[8:9], v[4:5] op_sel_hi:[1,0]
	s_waitcnt vmcnt(0)
	v_pk_fma_f32 v[6:7], v[8:9], v[202:203], v[4:5] op_sel:[0,0,1] op_sel_hi:[1,1,0] neg_lo:[0,0,1] neg_hi:[0,0,1]
	v_pk_fma_f32 v[4:5], v[8:9], v[202:203], v[4:5] op_sel:[0,0,1] op_sel_hi:[1,0,0]
	v_pk_add_f32 v[2:3], v[2:3], v[16:17]
	v_mov_b32_e32 v4, v201
	v_pk_add_f32 v[2:3], v[2:3], v[14:15]
	v_mov_b32_e32 v7, v5
	s_waitcnt lgkmcnt(0)
	v_pk_mul_f32 v[4:5], v[10:11], v[4:5] op_sel_hi:[1,0]
	v_pk_add_f32 v[2:3], v[2:3], v[6:7]
	v_pk_fma_f32 v[6:7], v[10:11], v[200:201], v[4:5] op_sel:[0,0,1] op_sel_hi:[1,1,0] neg_lo:[0,0,1] neg_hi:[0,0,1]
	v_pk_fma_f32 v[4:5], v[10:11], v[200:201], v[4:5] op_sel:[0,0,1] op_sel_hi:[1,0,0]
	v_mov_b32_e32 v4, v197
	v_mov_b32_e32 v7, v5
	v_pk_mul_f32 v[4:5], v[12:13], v[4:5] op_sel_hi:[1,0]
	v_pk_add_f32 v[2:3], v[2:3], v[6:7]
	v_pk_fma_f32 v[6:7], v[12:13], v[196:197], v[4:5] op_sel:[0,0,1] op_sel_hi:[1,1,0] neg_lo:[0,0,1] neg_hi:[0,0,1]
	v_pk_fma_f32 v[4:5], v[12:13], v[196:197], v[4:5] op_sel:[0,0,1] op_sel_hi:[1,0,0]
	v_mov_b32_e32 v7, v5
	v_pk_add_f32 v[2:3], v[2:3], v[6:7]
	v_pk_add_f32 v[2:3], v[26:27], v[2:3] neg_lo:[0,1] neg_hi:[0,1]
	buffer_store_dword v3, off, s[0:3], 0 offset:12
	buffer_store_dword v2, off, s[0:3], 0 offset:8
	s_and_saveexec_b64 s[4:5], vcc
	s_cbranch_execz .LBB47_301
; %bb.300:
	buffer_load_dword v2, off, s[0:3], 0
	buffer_load_dword v3, off, s[0:3], 0 offset:4
	v_mov_b32_e32 v0, 0
	v_accvgpr_read_b32 v1, a20
	buffer_store_dword v0, off, s[0:3], 0
	buffer_store_dword v0, off, s[0:3], 0 offset:4
	s_waitcnt vmcnt(2)
	ds_write_b64 v1, v[2:3]
.LBB47_301:
	s_or_b64 exec, exec, s[4:5]
	s_waitcnt lgkmcnt(0)
	; wave barrier
	s_waitcnt lgkmcnt(0)
	buffer_load_dword v32, off, s[0:3], 0 offset:12
	buffer_load_dword v31, off, s[0:3], 0 offset:20
	;; [unrolled: 1-line block ×30, first 2 shown]
	buffer_load_dword v24, off, s[0:3], 0
	buffer_load_dword v25, off, s[0:3], 0 offset:4
	buffer_load_dword v208, off, s[0:3], 0 offset:128
	;; [unrolled: 1-line block ×17, first 2 shown]
	v_mov_b32_e32 v26, 0
	ds_read2_b64 v[20:23], v26 offset0:49 offset1:50
	ds_read2_b64 v[16:19], v26 offset0:51 offset1:52
	;; [unrolled: 1-line block ×6, first 2 shown]
	buffer_load_dword v224, off, s[0:3], 0 offset:192
	buffer_load_dword v225, off, s[0:3], 0 offset:196
	;; [unrolled: 1-line block ×12, first 2 shown]
	s_and_b64 vcc, exec, s[20:21]
	s_waitcnt vmcnt(59) lgkmcnt(5)
	v_mul_f32_e32 v34, v20, v32
	s_waitcnt vmcnt(58)
	v_mul_f32_e32 v35, v22, v31
	s_waitcnt vmcnt(57) lgkmcnt(4)
	v_mul_f32_e32 v37, v18, v30
	s_waitcnt vmcnt(56) lgkmcnt(3)
	v_mul_f32_e32 v38, v12, v29
	s_waitcnt vmcnt(55)
	v_mul_f32_e32 v39, v14, v27
	s_waitcnt vmcnt(54)
	v_mul_f32_e32 v36, v16, v33
	s_waitcnt vmcnt(53) lgkmcnt(2)
	v_mul_f32_e32 v40, v8, v28
	s_waitcnt vmcnt(52)
	v_mul_f32_e32 v41, v10, v78
	s_waitcnt vmcnt(51) lgkmcnt(1)
	v_mul_f32_e32 v42, v4, v79
	s_waitcnt vmcnt(50)
	v_mul_f32_e32 v43, v6, v80
	s_waitcnt vmcnt(49)
	v_fmac_f32_e32 v36, v17, v81
	s_waitcnt vmcnt(48)
	v_fmac_f32_e32 v35, v23, v82
	;; [unrolled: 2-line block ×3, first 2 shown]
	v_add_f32_e32 v34, 0, v34
	v_add_f32_e32 v34, v34, v35
	;; [unrolled: 1-line block ×3, first 2 shown]
	s_waitcnt vmcnt(43)
	v_fmac_f32_e32 v37, v19, v87
	v_fmac_f32_e32 v38, v13, v86
	v_add_f32_e32 v34, v34, v37
	v_fmac_f32_e32 v39, v15, v85
	v_add_f32_e32 v34, v34, v38
	;; [unrolled: 2-line block ×3, first 2 shown]
	s_waitcnt vmcnt(39)
	v_fmac_f32_e32 v41, v11, v91
	v_add_f32_e32 v34, v34, v40
	v_fmac_f32_e32 v42, v5, v90
	v_add_f32_e32 v34, v34, v41
	v_fmac_f32_e32 v43, v7, v89
	v_add_f32_e32 v34, v34, v42
	s_waitcnt vmcnt(38) lgkmcnt(0)
	v_mul_f32_e32 v35, v0, v92
	v_add_f32_e32 v34, v34, v43
	v_fmac_f32_e32 v35, v1, v88
	v_add_f32_e32 v38, v34, v35
	ds_read2_b64 v[34:37], v26 offset0:61 offset1:62
	buffer_load_dword v236, off, s[0:3], 0 offset:240
	buffer_load_dword v237, off, s[0:3], 0 offset:244
	;; [unrolled: 1-line block ×4, first 2 shown]
	s_waitcnt vmcnt(35)
	v_mul_f32_e32 v39, v2, v188
	s_waitcnt vmcnt(34)
	v_fmac_f32_e32 v39, v3, v190
	v_add_f32_e32 v42, v38, v39
	ds_read2_b64 v[38:41], v26 offset0:63 offset1:64
	buffer_load_dword v240, off, s[0:3], 0 offset:256
	buffer_load_dword v241, off, s[0:3], 0 offset:260
	buffer_load_dword v242, off, s[0:3], 0 offset:264
	buffer_load_dword v243, off, s[0:3], 0 offset:268
	buffer_load_dword v244, off, s[0:3], 0 offset:272
	buffer_load_dword v245, off, s[0:3], 0 offset:276
	buffer_load_dword v246, off, s[0:3], 0 offset:280
	buffer_load_dword v247, off, s[0:3], 0 offset:284
	buffer_load_dword v248, off, s[0:3], 0 offset:288
	buffer_load_dword v249, off, s[0:3], 0 offset:292
	s_waitcnt lgkmcnt(1)
	v_mul_f32_e32 v43, v34, v94
	v_fmac_f32_e32 v43, v35, v93
	v_add_f32_e32 v42, v42, v43
	v_mul_f32_e32 v43, v36, v96
	v_fmac_f32_e32 v43, v37, v95
	v_add_f32_e32 v42, v42, v43
	s_waitcnt lgkmcnt(0)
	v_mul_f32_e32 v43, v38, v186
	v_fmac_f32_e32 v43, v39, v97
	v_add_f32_e32 v46, v42, v43
	buffer_load_dword v250, off, s[0:3], 0 offset:296
	buffer_load_dword v251, off, s[0:3], 0 offset:300
	;; [unrolled: 1-line block ×6, first 2 shown]
	ds_read2_b64 v[42:45], v26 offset0:65 offset1:66
	s_waitcnt vmcnt(46)
	v_mul_f32_e32 v47, v40, v209
	v_fmac_f32_e32 v47, v41, v208
	v_add_f32_e32 v50, v46, v47
	ds_read2_b64 v[46:49], v26 offset0:67 offset1:68
	s_waitcnt vmcnt(44) lgkmcnt(1)
	v_mul_f32_e32 v51, v42, v211
	v_fmac_f32_e32 v51, v43, v210
	v_add_f32_e32 v50, v50, v51
	s_waitcnt vmcnt(42)
	v_mul_f32_e32 v51, v44, v213
	v_fmac_f32_e32 v51, v45, v212
	v_add_f32_e32 v50, v50, v51
	s_waitcnt vmcnt(40) lgkmcnt(0)
	v_mul_f32_e32 v51, v46, v215
	v_fmac_f32_e32 v51, v47, v214
	v_add_f32_e32 v54, v50, v51
	ds_read2_b64 v[50:53], v26 offset0:69 offset1:70
	s_waitcnt vmcnt(38)
	v_mul_f32_e32 v55, v48, v217
	v_fmac_f32_e32 v55, v49, v216
	v_add_f32_e32 v58, v54, v55
	ds_read2_b64 v[54:57], v26 offset0:71 offset1:72
	s_waitcnt vmcnt(36) lgkmcnt(1)
	v_mul_f32_e32 v59, v50, v219
	v_fmac_f32_e32 v59, v51, v218
	v_add_f32_e32 v58, v58, v59
	s_waitcnt vmcnt(34)
	v_mul_f32_e32 v59, v52, v221
	v_fmac_f32_e32 v59, v53, v220
	v_add_f32_e32 v58, v58, v59
	s_waitcnt vmcnt(32) lgkmcnt(0)
	v_mul_f32_e32 v59, v54, v223
	v_fmac_f32_e32 v59, v55, v222
	v_add_f32_e32 v62, v58, v59
	;; [unrolled: 18-line block ×3, first 2 shown]
	ds_read2_b64 v[66:69], v26 offset0:77 offset1:78
	s_waitcnt vmcnt(22)
	v_mul_f32_e32 v71, v64, v233
	v_fmac_f32_e32 v71, v65, v232
	v_add_f32_e32 v74, v70, v71
	ds_read2_b64 v[70:73], v26 offset0:79 offset1:80
	s_waitcnt vmcnt(20) lgkmcnt(1)
	v_mul_f32_e32 v75, v66, v235
	v_fmac_f32_e32 v75, v67, v234
	v_add_f32_e32 v74, v74, v75
	v_mul_f32_e32 v21, v21, v32
	v_fma_f32 v20, v20, v83, -v21
	v_mul_f32_e32 v21, v23, v31
	v_add_f32_e32 v20, 0, v20
	v_fma_f32 v21, v22, v82, -v21
	v_mul_f32_e32 v17, v17, v33
	v_add_f32_e32 v20, v20, v21
	v_fma_f32 v16, v16, v81, -v17
	v_mul_f32_e32 v17, v19, v30
	s_waitcnt vmcnt(18)
	v_mul_f32_e32 v75, v68, v237
	v_fmac_f32_e32 v75, v69, v236
	v_add_f32_e32 v74, v74, v75
	s_waitcnt vmcnt(16) lgkmcnt(0)
	v_mul_f32_e32 v75, v70, v239
	v_fmac_f32_e32 v75, v71, v238
	v_add_f32_e32 v174, v74, v75
	ds_read2_b64 v[74:77], v26 offset0:81 offset1:82
	s_waitcnt vmcnt(14)
	v_mul_f32_e32 v175, v72, v241
	v_fmac_f32_e32 v175, v73, v240
	v_add_f32_e32 v178, v174, v175
	ds_read2_b64 v[174:177], v26 offset0:83 offset1:84
	s_waitcnt vmcnt(12) lgkmcnt(1)
	v_mul_f32_e32 v179, v74, v243
	v_fmac_f32_e32 v179, v75, v242
	v_add_f32_e32 v178, v178, v179
	s_waitcnt vmcnt(10)
	v_mul_f32_e32 v179, v76, v245
	v_fmac_f32_e32 v179, v77, v244
	v_add_f32_e32 v178, v178, v179
	s_waitcnt vmcnt(8) lgkmcnt(0)
	v_mul_f32_e32 v179, v174, v247
	v_fmac_f32_e32 v179, v175, v246
	s_waitcnt vmcnt(6)
	v_mul_f32_e32 v183, v176, v249
	v_add_f32_e32 v182, v178, v179
	v_fmac_f32_e32 v183, v177, v248
	ds_read2_b64 v[178:181], v26 offset0:85 offset1:86
	v_add_f32_e32 v187, v182, v183
	ds_read2_b64 v[182:185], v26 offset0:87 offset1:88
	buffer_load_dword v193, off, s[0:3], 0 offset:348
	buffer_load_dword v192, off, s[0:3], 0 offset:344
	;; [unrolled: 1-line block ×16, first 2 shown]
	v_add_f32_e32 v16, v20, v16
	v_fma_f32 v17, v18, v87, -v17
	v_mul_f32_e32 v13, v13, v29
	v_add_f32_e32 v16, v16, v17
	v_fma_f32 v12, v12, v86, -v13
	v_mul_f32_e32 v13, v15, v27
	;; [unrolled: 3-line block ×8, first 2 shown]
	v_add_f32_e32 v0, v4, v0
	v_fma_f32 v1, v2, v190, -v1
	v_add_f32_e32 v0, v0, v1
	v_mul_f32_e32 v1, v35, v94
	v_fma_f32 v1, v34, v93, -v1
	v_add_f32_e32 v0, v0, v1
	v_mul_f32_e32 v1, v37, v96
	;; [unrolled: 3-line block ×24, first 2 shown]
	v_fma_f32 v1, v176, v248, -v1
	v_add_f32_e32 v0, v0, v1
	s_waitcnt vmcnt(20) lgkmcnt(1)
	v_mul_f32_e32 v1, v179, v251
	v_mul_f32_e32 v189, v178, v251
	v_fma_f32 v1, v178, v250, -v1
	v_fmac_f32_e32 v189, v179, v250
	v_add_f32_e32 v186, v0, v1
	s_waitcnt vmcnt(18)
	v_mul_f32_e32 v0, v181, v253
	s_waitcnt vmcnt(9)
	v_mov_b32_e32 v16, v199
	v_add_f32_e32 v187, v187, v189
	v_mul_f32_e32 v189, v180, v253
	v_fma_f32 v188, v180, v252, -v0
	s_waitcnt lgkmcnt(0)
	v_mul_f32_e32 v0, v183, v255
	v_pk_mul_f32 v[16:17], v[184:185], v[16:17] op_sel_hi:[1,0]
	v_fmac_f32_e32 v189, v181, v252
	v_mul_f32_e32 v191, v182, v255
	v_fma_f32 v190, v182, v254, -v0
	ds_read2_b64 v[0:3], v26 offset0:89 offset1:90
	ds_read2_b64 v[4:7], v26 offset0:91 offset1:92
	;; [unrolled: 1-line block ×3, first 2 shown]
	ds_read_b64 v[12:13], v26 offset:760
	s_waitcnt vmcnt(8)
	v_pk_fma_f32 v[18:19], v[184:185], v[198:199], v[16:17] op_sel:[0,0,1] op_sel_hi:[1,1,0] neg_lo:[0,0,1] neg_hi:[0,0,1]
	v_pk_fma_f32 v[16:17], v[184:185], v[198:199], v[16:17] op_sel:[0,0,1] op_sel_hi:[1,0,0]
	v_fmac_f32_e32 v191, v183, v254
	v_pk_add_f32 v[14:15], v[186:187], v[188:189]
	v_mov_b32_e32 v16, v197
	v_pk_add_f32 v[14:15], v[14:15], v[190:191]
	v_mov_b32_e32 v19, v17
	s_waitcnt lgkmcnt(3)
	v_pk_mul_f32 v[16:17], v[0:1], v[16:17] op_sel_hi:[1,0]
	v_pk_add_f32 v[14:15], v[14:15], v[18:19]
	v_pk_fma_f32 v[18:19], v[0:1], v[196:197], v[16:17] op_sel:[0,0,1] op_sel_hi:[1,1,0] neg_lo:[0,0,1] neg_hi:[0,0,1]
	v_pk_fma_f32 v[0:1], v[0:1], v[196:197], v[16:17] op_sel:[0,0,1] op_sel_hi:[1,0,0]
	v_mov_b32_e32 v19, v1
	v_pk_add_f32 v[0:1], v[14:15], v[18:19]
	v_mov_b32_e32 v14, v195
	v_pk_mul_f32 v[14:15], v[2:3], v[14:15] op_sel_hi:[1,0]
	v_pk_fma_f32 v[16:17], v[2:3], v[194:195], v[14:15] op_sel:[0,0,1] op_sel_hi:[1,1,0] neg_lo:[0,0,1] neg_hi:[0,0,1]
	v_pk_fma_f32 v[2:3], v[2:3], v[194:195], v[14:15] op_sel:[0,0,1] op_sel_hi:[1,0,0]
	v_mov_b32_e32 v2, v193
	v_mov_b32_e32 v17, v3
	s_waitcnt lgkmcnt(2)
	v_pk_mul_f32 v[2:3], v[4:5], v[2:3] op_sel_hi:[1,0]
	v_pk_fma_f32 v[14:15], v[4:5], v[192:193], v[2:3] op_sel:[0,0,1] op_sel_hi:[1,1,0] neg_lo:[0,0,1] neg_hi:[0,0,1]
	v_pk_fma_f32 v[2:3], v[4:5], v[192:193], v[2:3] op_sel:[0,0,1] op_sel_hi:[1,0,0]
	s_waitcnt vmcnt(1)
	v_mov_b32_e32 v2, v207
	v_mov_b32_e32 v15, v3
	v_pk_mul_f32 v[2:3], v[6:7], v[2:3] op_sel_hi:[1,0]
	s_waitcnt vmcnt(0)
	v_pk_fma_f32 v[4:5], v[6:7], v[206:207], v[2:3] op_sel:[0,0,1] op_sel_hi:[1,1,0] neg_lo:[0,0,1] neg_hi:[0,0,1]
	v_pk_fma_f32 v[2:3], v[6:7], v[206:207], v[2:3] op_sel:[0,0,1] op_sel_hi:[1,0,0]
	v_pk_add_f32 v[0:1], v[0:1], v[16:17]
	v_mov_b32_e32 v2, v205
	v_pk_add_f32 v[0:1], v[0:1], v[14:15]
	v_mov_b32_e32 v5, v3
	s_waitcnt lgkmcnt(1)
	v_pk_mul_f32 v[2:3], v[8:9], v[2:3] op_sel_hi:[1,0]
	v_pk_add_f32 v[0:1], v[0:1], v[4:5]
	v_pk_fma_f32 v[4:5], v[8:9], v[204:205], v[2:3] op_sel:[0,0,1] op_sel_hi:[1,1,0] neg_lo:[0,0,1] neg_hi:[0,0,1]
	v_pk_fma_f32 v[2:3], v[8:9], v[204:205], v[2:3] op_sel:[0,0,1] op_sel_hi:[1,0,0]
	v_mov_b32_e32 v2, v203
	v_mov_b32_e32 v5, v3
	v_pk_mul_f32 v[2:3], v[10:11], v[2:3] op_sel_hi:[1,0]
	v_pk_add_f32 v[0:1], v[0:1], v[4:5]
	v_pk_fma_f32 v[4:5], v[10:11], v[202:203], v[2:3] op_sel:[0,0,1] op_sel_hi:[1,1,0] neg_lo:[0,0,1] neg_hi:[0,0,1]
	v_pk_fma_f32 v[2:3], v[10:11], v[202:203], v[2:3] op_sel:[0,0,1] op_sel_hi:[1,0,0]
	v_mov_b32_e32 v2, v201
	v_mov_b32_e32 v5, v3
	s_waitcnt lgkmcnt(0)
	v_pk_mul_f32 v[2:3], v[12:13], v[2:3] op_sel_hi:[1,0]
	v_pk_add_f32 v[0:1], v[0:1], v[4:5]
	v_pk_fma_f32 v[4:5], v[12:13], v[200:201], v[2:3] op_sel:[0,0,1] op_sel_hi:[1,1,0] neg_lo:[0,0,1] neg_hi:[0,0,1]
	v_pk_fma_f32 v[2:3], v[12:13], v[200:201], v[2:3] op_sel:[0,0,1] op_sel_hi:[1,0,0]
	v_mov_b32_e32 v5, v3
	v_pk_add_f32 v[0:1], v[0:1], v[4:5]
	v_pk_add_f32 v[0:1], v[24:25], v[0:1] neg_lo:[0,1] neg_hi:[0,1]
	buffer_store_dword v1, off, s[0:3], 0 offset:4
	buffer_store_dword v0, off, s[0:3], 0
	s_cbranch_vccz .LBB47_397
; %bb.302:
	v_pk_mov_b32 v[0:1], s[10:11], s[10:11] op_sel:[0,1]
	flat_load_dword v0, v[0:1] offset:184
	s_waitcnt vmcnt(0) lgkmcnt(0)
	v_add_u32_e32 v0, -1, v0
	v_cmp_ne_u32_e32 vcc, 46, v0
	s_and_saveexec_b64 s[4:5], vcc
	s_cbranch_execz .LBB47_304
; %bb.303:
	v_mov_b32_e32 v1, 0
	v_lshl_add_u32 v0, v0, 3, v1
	buffer_load_dword v1, v0, s[0:3], 0 offen
	buffer_load_dword v2, v0, s[0:3], 0 offen offset:4
	buffer_load_dword v3, off, s[0:3], 0 offset:372
	buffer_load_dword v4, off, s[0:3], 0 offset:368
	s_waitcnt vmcnt(3)
	buffer_store_dword v1, off, s[0:3], 0 offset:368
	s_waitcnt vmcnt(3)
	buffer_store_dword v2, off, s[0:3], 0 offset:372
	s_waitcnt vmcnt(3)
	buffer_store_dword v3, v0, s[0:3], 0 offen offset:4
	s_waitcnt vmcnt(3)
	buffer_store_dword v4, v0, s[0:3], 0 offen
.LBB47_304:
	s_or_b64 exec, exec, s[4:5]
	v_pk_mov_b32 v[0:1], s[10:11], s[10:11] op_sel:[0,1]
	flat_load_dword v0, v[0:1] offset:180
	s_waitcnt vmcnt(0) lgkmcnt(0)
	v_add_u32_e32 v0, -1, v0
	v_cmp_ne_u32_e32 vcc, 45, v0
	s_and_saveexec_b64 s[4:5], vcc
	s_cbranch_execz .LBB47_306
; %bb.305:
	v_mov_b32_e32 v1, 0
	v_lshl_add_u32 v0, v0, 3, v1
	buffer_load_dword v1, v0, s[0:3], 0 offen
	buffer_load_dword v2, v0, s[0:3], 0 offen offset:4
	buffer_load_dword v3, off, s[0:3], 0 offset:360
	buffer_load_dword v4, off, s[0:3], 0 offset:364
	s_waitcnt vmcnt(3)
	buffer_store_dword v1, off, s[0:3], 0 offset:360
	s_waitcnt vmcnt(3)
	buffer_store_dword v2, off, s[0:3], 0 offset:364
	s_waitcnt vmcnt(3)
	buffer_store_dword v3, v0, s[0:3], 0 offen
	s_waitcnt vmcnt(3)
	buffer_store_dword v4, v0, s[0:3], 0 offen offset:4
.LBB47_306:
	s_or_b64 exec, exec, s[4:5]
	v_pk_mov_b32 v[0:1], s[10:11], s[10:11] op_sel:[0,1]
	flat_load_dword v0, v[0:1] offset:176
	s_waitcnt vmcnt(0) lgkmcnt(0)
	v_add_u32_e32 v0, -1, v0
	v_cmp_ne_u32_e32 vcc, 44, v0
	s_and_saveexec_b64 s[4:5], vcc
	s_cbranch_execz .LBB47_308
; %bb.307:
	v_mov_b32_e32 v1, 0
	v_lshl_add_u32 v0, v0, 3, v1
	buffer_load_dword v1, v0, s[0:3], 0 offen
	buffer_load_dword v2, v0, s[0:3], 0 offen offset:4
	buffer_load_dword v3, off, s[0:3], 0 offset:356
	buffer_load_dword v4, off, s[0:3], 0 offset:352
	s_waitcnt vmcnt(3)
	buffer_store_dword v1, off, s[0:3], 0 offset:352
	s_waitcnt vmcnt(3)
	buffer_store_dword v2, off, s[0:3], 0 offset:356
	s_waitcnt vmcnt(3)
	buffer_store_dword v3, v0, s[0:3], 0 offen offset:4
	s_waitcnt vmcnt(3)
	buffer_store_dword v4, v0, s[0:3], 0 offen
.LBB47_308:
	s_or_b64 exec, exec, s[4:5]
	v_pk_mov_b32 v[0:1], s[10:11], s[10:11] op_sel:[0,1]
	flat_load_dword v0, v[0:1] offset:172
	s_waitcnt vmcnt(0) lgkmcnt(0)
	v_add_u32_e32 v0, -1, v0
	v_cmp_ne_u32_e32 vcc, 43, v0
	s_and_saveexec_b64 s[4:5], vcc
	s_cbranch_execz .LBB47_310
; %bb.309:
	v_mov_b32_e32 v1, 0
	v_lshl_add_u32 v0, v0, 3, v1
	buffer_load_dword v1, v0, s[0:3], 0 offen
	buffer_load_dword v2, v0, s[0:3], 0 offen offset:4
	buffer_load_dword v3, off, s[0:3], 0 offset:344
	buffer_load_dword v4, off, s[0:3], 0 offset:348
	s_waitcnt vmcnt(3)
	buffer_store_dword v1, off, s[0:3], 0 offset:344
	s_waitcnt vmcnt(3)
	buffer_store_dword v2, off, s[0:3], 0 offset:348
	s_waitcnt vmcnt(3)
	buffer_store_dword v3, v0, s[0:3], 0 offen
	s_waitcnt vmcnt(3)
	buffer_store_dword v4, v0, s[0:3], 0 offen offset:4
.LBB47_310:
	s_or_b64 exec, exec, s[4:5]
	;; [unrolled: 48-line block ×23, first 2 shown]
	v_pk_mov_b32 v[0:1], s[10:11], s[10:11] op_sel:[0,1]
	flat_load_dword v2, v[0:1]
	s_nop 0
	buffer_load_dword v0, off, s[0:3], 0
	buffer_load_dword v1, off, s[0:3], 0 offset:4
	s_waitcnt vmcnt(0) lgkmcnt(0)
	v_add_u32_e32 v2, -1, v2
	v_cmp_ne_u32_e32 vcc, 0, v2
	s_and_saveexec_b64 s[4:5], vcc
	s_cbranch_execz .LBB47_396
; %bb.395:
	v_mov_b32_e32 v3, 0
	v_lshl_add_u32 v2, v2, 3, v3
	buffer_load_dword v3, v2, s[0:3], 0 offen offset:4
	buffer_load_dword v4, v2, s[0:3], 0 offen
	s_waitcnt vmcnt(1)
	buffer_store_dword v3, off, s[0:3], 0 offset:4
	s_waitcnt vmcnt(1)
	buffer_store_dword v4, off, s[0:3], 0
	buffer_store_dword v1, v2, s[0:3], 0 offen offset:4
	buffer_store_dword v0, v2, s[0:3], 0 offen
	buffer_load_dword v0, off, s[0:3], 0
	s_nop 0
	buffer_load_dword v1, off, s[0:3], 0 offset:4
.LBB47_396:
	s_or_b64 exec, exec, s[4:5]
.LBB47_397:
	buffer_load_dword v2, off, s[0:3], 0 offset:8
	buffer_load_dword v3, off, s[0:3], 0 offset:12
	buffer_load_dword v4, off, s[0:3], 0 offset:16
	buffer_load_dword v5, off, s[0:3], 0 offset:20
	buffer_load_dword v6, off, s[0:3], 0 offset:24
	buffer_load_dword v7, off, s[0:3], 0 offset:28
	buffer_load_dword v8, off, s[0:3], 0 offset:32
	buffer_load_dword v9, off, s[0:3], 0 offset:36
	buffer_load_dword v10, off, s[0:3], 0 offset:40
	buffer_load_dword v11, off, s[0:3], 0 offset:44
	buffer_load_dword v12, off, s[0:3], 0 offset:48
	buffer_load_dword v13, off, s[0:3], 0 offset:52
	buffer_load_dword v14, off, s[0:3], 0 offset:56
	buffer_load_dword v15, off, s[0:3], 0 offset:60
	buffer_load_dword v16, off, s[0:3], 0 offset:64
	buffer_load_dword v17, off, s[0:3], 0 offset:68
	buffer_load_dword v18, off, s[0:3], 0 offset:72
	buffer_load_dword v19, off, s[0:3], 0 offset:76
	buffer_load_dword v20, off, s[0:3], 0 offset:80
	buffer_load_dword v21, off, s[0:3], 0 offset:84
	buffer_load_dword v22, off, s[0:3], 0 offset:88
	buffer_load_dword v23, off, s[0:3], 0 offset:92
	buffer_load_dword v24, off, s[0:3], 0 offset:96
	buffer_load_dword v25, off, s[0:3], 0 offset:100
	buffer_load_dword v26, off, s[0:3], 0 offset:104
	buffer_load_dword v27, off, s[0:3], 0 offset:108
	buffer_load_dword v28, off, s[0:3], 0 offset:112
	buffer_load_dword v29, off, s[0:3], 0 offset:116
	buffer_load_dword v30, off, s[0:3], 0 offset:120
	buffer_load_dword v31, off, s[0:3], 0 offset:124
	buffer_load_dword v32, off, s[0:3], 0 offset:128
	buffer_load_dword v33, off, s[0:3], 0 offset:132
	buffer_load_dword v34, off, s[0:3], 0 offset:136
	buffer_load_dword v35, off, s[0:3], 0 offset:140
	buffer_load_dword v36, off, s[0:3], 0 offset:144
	buffer_load_dword v37, off, s[0:3], 0 offset:148
	buffer_load_dword v38, off, s[0:3], 0 offset:152
	buffer_load_dword v39, off, s[0:3], 0 offset:156
	buffer_load_dword v40, off, s[0:3], 0 offset:160
	buffer_load_dword v41, off, s[0:3], 0 offset:164
	buffer_load_dword v42, off, s[0:3], 0 offset:168
	buffer_load_dword v43, off, s[0:3], 0 offset:172
	buffer_load_dword v44, off, s[0:3], 0 offset:176
	buffer_load_dword v45, off, s[0:3], 0 offset:180
	buffer_load_dword v46, off, s[0:3], 0 offset:184
	buffer_load_dword v47, off, s[0:3], 0 offset:188
	buffer_load_dword v48, off, s[0:3], 0 offset:192
	buffer_load_dword v49, off, s[0:3], 0 offset:196
	buffer_load_dword v50, off, s[0:3], 0 offset:200
	buffer_load_dword v51, off, s[0:3], 0 offset:204
	buffer_load_dword v52, off, s[0:3], 0 offset:208
	buffer_load_dword v53, off, s[0:3], 0 offset:212
	buffer_load_dword v54, off, s[0:3], 0 offset:216
	buffer_load_dword v55, off, s[0:3], 0 offset:220
	buffer_load_dword v56, off, s[0:3], 0 offset:224
	buffer_load_dword v57, off, s[0:3], 0 offset:228
	buffer_load_dword v58, off, s[0:3], 0 offset:232
	buffer_load_dword v59, off, s[0:3], 0 offset:236
	buffer_load_dword v60, off, s[0:3], 0 offset:240
	buffer_load_dword v61, off, s[0:3], 0 offset:244
	buffer_load_dword v62, off, s[0:3], 0 offset:248
	buffer_load_dword v63, off, s[0:3], 0 offset:252
	buffer_load_dword v64, off, s[0:3], 0 offset:256
	buffer_load_dword v65, off, s[0:3], 0 offset:260
	buffer_load_dword v66, off, s[0:3], 0 offset:264
	buffer_load_dword v67, off, s[0:3], 0 offset:268
	buffer_load_dword v68, off, s[0:3], 0 offset:272
	buffer_load_dword v69, off, s[0:3], 0 offset:276
	buffer_load_dword v70, off, s[0:3], 0 offset:280
	buffer_load_dword v71, off, s[0:3], 0 offset:284
	buffer_load_dword v72, off, s[0:3], 0 offset:288
	buffer_load_dword v73, off, s[0:3], 0 offset:292
	buffer_load_dword v74, off, s[0:3], 0 offset:296
	buffer_load_dword v75, off, s[0:3], 0 offset:300
	buffer_load_dword v76, off, s[0:3], 0 offset:304
	buffer_load_dword v77, off, s[0:3], 0 offset:308
	buffer_load_dword v174, off, s[0:3], 0 offset:312
	buffer_load_dword v175, off, s[0:3], 0 offset:316
	buffer_load_dword v176, off, s[0:3], 0 offset:320
	buffer_load_dword v177, off, s[0:3], 0 offset:324
	buffer_load_dword v178, off, s[0:3], 0 offset:328
	buffer_load_dword v179, off, s[0:3], 0 offset:332
	buffer_load_dword v180, off, s[0:3], 0 offset:336
	buffer_load_dword v181, off, s[0:3], 0 offset:340
	buffer_load_dword v182, off, s[0:3], 0 offset:344
	buffer_load_dword v183, off, s[0:3], 0 offset:348
	buffer_load_dword v184, off, s[0:3], 0 offset:352
	buffer_load_dword v185, off, s[0:3], 0 offset:356
	buffer_load_dword v186, off, s[0:3], 0 offset:360
	buffer_load_dword v187, off, s[0:3], 0 offset:364
	buffer_load_dword v188, off, s[0:3], 0 offset:368
	buffer_load_dword v189, off, s[0:3], 0 offset:372
	buffer_load_dword v190, off, s[0:3], 0 offset:376
	buffer_load_dword v191, off, s[0:3], 0 offset:380
	s_waitcnt vmcnt(62)
	global_store_dwordx2 v[164:165], v[0:1], off
	global_store_dwordx2 v[166:167], v[2:3], off
	v_accvgpr_read_b32 v0, a0
	v_accvgpr_read_b32 v1, a1
	global_store_dwordx2 v[0:1], v[4:5], off
	v_accvgpr_read_b32 v0, a2
	v_accvgpr_read_b32 v1, a3
	;; [unrolled: 3-line block ×10, first 2 shown]
	global_store_dwordx2 v[0:1], v[22:23], off
	global_store_dwordx2 v[98:99], v[24:25], off
	;; [unrolled: 1-line block ×6, first 2 shown]
	s_waitcnt vmcnt(62)
	global_store_dwordx2 v[108:109], v[34:35], off
	global_store_dwordx2 v[110:111], v[36:37], off
	;; [unrolled: 1-line block ×8, first 2 shown]
	s_waitcnt vmcnt(62)
	global_store_dwordx2 v[124:125], v[50:51], off
	global_store_dwordx2 v[126:127], v[52:53], off
	;; [unrolled: 1-line block ×4, first 2 shown]
	s_waitcnt vmcnt(62)
	global_store_dwordx2 v[132:133], v[58:59], off
	global_store_dwordx2 v[134:135], v[60:61], off
	s_waitcnt vmcnt(62)
	global_store_dwordx2 v[136:137], v[62:63], off
	s_waitcnt vmcnt(62)
	;; [unrolled: 2-line block ×17, first 2 shown]
	global_store_dwordx2 v[172:173], v[190:191], off
	s_endpgm
	.section	.rodata,"a",@progbits
	.p2align	6, 0x0
	.amdhsa_kernel _ZN9rocsolver6v33100L18getri_kernel_smallILi48E19rocblas_complex_numIfEPS3_EEvT1_iilPiilS6_bb
		.amdhsa_group_segment_fixed_size 772
		.amdhsa_private_segment_fixed_size 400
		.amdhsa_kernarg_size 60
		.amdhsa_user_sgpr_count 8
		.amdhsa_user_sgpr_private_segment_buffer 1
		.amdhsa_user_sgpr_dispatch_ptr 0
		.amdhsa_user_sgpr_queue_ptr 0
		.amdhsa_user_sgpr_kernarg_segment_ptr 1
		.amdhsa_user_sgpr_dispatch_id 0
		.amdhsa_user_sgpr_flat_scratch_init 1
		.amdhsa_user_sgpr_kernarg_preload_length 0
		.amdhsa_user_sgpr_kernarg_preload_offset 0
		.amdhsa_user_sgpr_private_segment_size 0
		.amdhsa_uses_dynamic_stack 0
		.amdhsa_system_sgpr_private_segment_wavefront_offset 1
		.amdhsa_system_sgpr_workgroup_id_x 1
		.amdhsa_system_sgpr_workgroup_id_y 0
		.amdhsa_system_sgpr_workgroup_id_z 0
		.amdhsa_system_sgpr_workgroup_info 0
		.amdhsa_system_vgpr_workitem_id 0
		.amdhsa_next_free_vgpr 277
		.amdhsa_next_free_sgpr 23
		.amdhsa_accum_offset 256
		.amdhsa_reserve_vcc 1
		.amdhsa_reserve_flat_scratch 1
		.amdhsa_float_round_mode_32 0
		.amdhsa_float_round_mode_16_64 0
		.amdhsa_float_denorm_mode_32 3
		.amdhsa_float_denorm_mode_16_64 3
		.amdhsa_dx10_clamp 1
		.amdhsa_ieee_mode 1
		.amdhsa_fp16_overflow 0
		.amdhsa_tg_split 0
		.amdhsa_exception_fp_ieee_invalid_op 0
		.amdhsa_exception_fp_denorm_src 0
		.amdhsa_exception_fp_ieee_div_zero 0
		.amdhsa_exception_fp_ieee_overflow 0
		.amdhsa_exception_fp_ieee_underflow 0
		.amdhsa_exception_fp_ieee_inexact 0
		.amdhsa_exception_int_div_zero 0
	.end_amdhsa_kernel
	.section	.text._ZN9rocsolver6v33100L18getri_kernel_smallILi48E19rocblas_complex_numIfEPS3_EEvT1_iilPiilS6_bb,"axG",@progbits,_ZN9rocsolver6v33100L18getri_kernel_smallILi48E19rocblas_complex_numIfEPS3_EEvT1_iilPiilS6_bb,comdat
.Lfunc_end47:
	.size	_ZN9rocsolver6v33100L18getri_kernel_smallILi48E19rocblas_complex_numIfEPS3_EEvT1_iilPiilS6_bb, .Lfunc_end47-_ZN9rocsolver6v33100L18getri_kernel_smallILi48E19rocblas_complex_numIfEPS3_EEvT1_iilPiilS6_bb
                                        ; -- End function
	.section	.AMDGPU.csdata,"",@progbits
; Kernel info:
; codeLenInByte = 92636
; NumSgprs: 29
; NumVgprs: 256
; NumAgprs: 21
; TotalNumVgprs: 277
; ScratchSize: 400
; MemoryBound: 0
; FloatMode: 240
; IeeeMode: 1
; LDSByteSize: 772 bytes/workgroup (compile time only)
; SGPRBlocks: 3
; VGPRBlocks: 34
; NumSGPRsForWavesPerEU: 29
; NumVGPRsForWavesPerEU: 277
; AccumOffset: 256
; Occupancy: 1
; WaveLimiterHint : 1
; COMPUTE_PGM_RSRC2:SCRATCH_EN: 1
; COMPUTE_PGM_RSRC2:USER_SGPR: 8
; COMPUTE_PGM_RSRC2:TRAP_HANDLER: 0
; COMPUTE_PGM_RSRC2:TGID_X_EN: 1
; COMPUTE_PGM_RSRC2:TGID_Y_EN: 0
; COMPUTE_PGM_RSRC2:TGID_Z_EN: 0
; COMPUTE_PGM_RSRC2:TIDIG_COMP_CNT: 0
; COMPUTE_PGM_RSRC3_GFX90A:ACCUM_OFFSET: 63
; COMPUTE_PGM_RSRC3_GFX90A:TG_SPLIT: 0
	.section	.text._ZN9rocsolver6v33100L18getri_kernel_smallILi49E19rocblas_complex_numIfEPS3_EEvT1_iilPiilS6_bb,"axG",@progbits,_ZN9rocsolver6v33100L18getri_kernel_smallILi49E19rocblas_complex_numIfEPS3_EEvT1_iilPiilS6_bb,comdat
	.globl	_ZN9rocsolver6v33100L18getri_kernel_smallILi49E19rocblas_complex_numIfEPS3_EEvT1_iilPiilS6_bb ; -- Begin function _ZN9rocsolver6v33100L18getri_kernel_smallILi49E19rocblas_complex_numIfEPS3_EEvT1_iilPiilS6_bb
	.p2align	8
	.type	_ZN9rocsolver6v33100L18getri_kernel_smallILi49E19rocblas_complex_numIfEPS3_EEvT1_iilPiilS6_bb,@function
_ZN9rocsolver6v33100L18getri_kernel_smallILi49E19rocblas_complex_numIfEPS3_EEvT1_iilPiilS6_bb: ; @_ZN9rocsolver6v33100L18getri_kernel_smallILi49E19rocblas_complex_numIfEPS3_EEvT1_iilPiilS6_bb
; %bb.0:
	s_add_u32 flat_scratch_lo, s6, s9
	s_addc_u32 flat_scratch_hi, s7, 0
	s_add_u32 s0, s0, s9
	s_addc_u32 s1, s1, 0
	v_cmp_gt_u32_e32 vcc, 49, v0
	s_and_saveexec_b64 s[6:7], vcc
	s_cbranch_execz .LBB48_210
; %bb.1:
	s_load_dword s22, s[4:5], 0x38
	s_load_dwordx4 s[16:19], s[4:5], 0x10
	s_load_dwordx4 s[12:15], s[4:5], 0x28
                                        ; implicit-def: $sgpr10_sgpr11
	s_waitcnt lgkmcnt(0)
	s_bitcmp1_b32 s22, 8
	s_cselect_b64 s[20:21], -1, 0
	s_ashr_i32 s9, s8, 31
	s_bfe_u32 s6, s22, 0x10008
	s_cmp_eq_u32 s6, 0
	s_cbranch_scc1 .LBB48_3
; %bb.2:
	s_load_dword s6, s[4:5], 0x20
	s_mul_i32 s7, s8, s13
	s_mul_hi_u32 s10, s8, s12
	s_mul_i32 s11, s9, s12
	s_add_i32 s10, s10, s7
	s_add_i32 s11, s10, s11
	s_mul_i32 s10, s8, s12
	s_waitcnt lgkmcnt(0)
	s_ashr_i32 s7, s6, 31
	s_lshl_b64 s[10:11], s[10:11], 2
	s_add_u32 s10, s18, s10
	s_addc_u32 s11, s19, s11
	s_lshl_b64 s[6:7], s[6:7], 2
	s_add_u32 s10, s10, s6
	s_addc_u32 s11, s11, s7
.LBB48_3:
	s_load_dwordx4 s[4:7], s[4:5], 0x0
	s_mul_i32 s12, s8, s17
	s_mul_hi_u32 s13, s8, s16
	s_add_i32 s17, s13, s12
	v_lshlrev_b32_e32 v6, 3, v0
	s_waitcnt lgkmcnt(0)
	s_ashr_i32 s13, s6, 31
	s_mov_b32 s12, s6
	s_mul_i32 s6, s9, s16
	s_add_i32 s17, s17, s6
	s_mul_i32 s16, s8, s16
	s_lshl_b64 s[16:17], s[16:17], 3
	s_add_u32 s6, s4, s16
	s_addc_u32 s16, s5, s17
	s_lshl_b64 s[4:5], s[12:13], 3
	s_add_u32 s4, s6, s4
	s_addc_u32 s5, s16, s5
	s_add_i32 s6, s7, s7
	v_add_u32_e32 v2, s6, v0
	v_ashrrev_i32_e32 v3, 31, v2
	v_lshlrev_b64 v[4:5], 3, v[2:3]
	v_add_u32_e32 v2, s7, v2
	v_mov_b32_e32 v1, s5
	v_add_co_u32_e32 v12, vcc, s4, v4
	v_ashrrev_i32_e32 v3, 31, v2
	v_addc_co_u32_e32 v13, vcc, v1, v5, vcc
	v_lshlrev_b64 v[4:5], 3, v[2:3]
	v_add_u32_e32 v2, s7, v2
	v_add_co_u32_e32 v14, vcc, s4, v4
	v_ashrrev_i32_e32 v3, 31, v2
	v_addc_co_u32_e32 v15, vcc, v1, v5, vcc
	v_lshlrev_b64 v[4:5], 3, v[2:3]
	v_add_u32_e32 v2, s7, v2
	;; [unrolled: 5-line block ×39, first 2 shown]
	v_add_co_u32_e32 v156, vcc, s4, v4
	v_ashrrev_i32_e32 v3, 31, v2
	v_addc_co_u32_e32 v157, vcc, v1, v5, vcc
	v_lshlrev_b64 v[4:5], 3, v[2:3]
	v_add_co_u32_e32 v158, vcc, s4, v4
	v_addc_co_u32_e32 v159, vcc, v1, v5, vcc
	global_load_dwordx2 v[4:5], v6, s[4:5]
	v_mov_b32_e32 v7, s5
	v_add_co_u32_e32 v166, vcc, s4, v6
	s_ashr_i32 s13, s7, 31
	s_mov_b32 s12, s7
	v_addc_co_u32_e32 v167, vcc, 0, v7, vcc
	s_lshl_b64 s[12:13], s[12:13], 3
	v_mov_b32_e32 v7, s13
	v_add_co_u32_e32 v168, vcc, s12, v166
	v_addc_co_u32_e32 v169, vcc, v167, v7, vcc
	global_load_dwordx2 v[8:9], v[168:169], off
	v_accvgpr_write_b32 a0, v12
	v_add_u32_e32 v2, s7, v2
	v_accvgpr_write_b32 a1, v13
	global_load_dwordx2 v[12:13], v[12:13], off
	v_ashrrev_i32_e32 v3, 31, v2
	v_lshlrev_b64 v[10:11], 3, v[2:3]
	v_add_co_u32_e32 v160, vcc, s4, v10
	v_addc_co_u32_e32 v161, vcc, v1, v11, vcc
	global_load_dwordx2 v[10:11], v[14:15], off
	v_accvgpr_write_b32 a4, v16
	v_accvgpr_write_b32 a5, v17
	global_load_dwordx2 v[16:17], v[16:17], off
	v_accvgpr_write_b32 a6, v18
	v_add_u32_e32 v2, s7, v2
	v_accvgpr_write_b32 a7, v19
	global_load_dwordx2 v[18:19], v[18:19], off
	v_accvgpr_write_b32 a2, v14
	v_ashrrev_i32_e32 v3, 31, v2
	v_accvgpr_write_b32 a3, v15
	v_lshlrev_b64 v[14:15], 3, v[2:3]
	v_add_co_u32_e32 v162, vcc, s4, v14
	v_add_u32_e32 v2, s7, v2
	v_addc_co_u32_e32 v163, vcc, v1, v15, vcc
	global_load_dwordx2 v[14:15], v[20:21], off
	v_ashrrev_i32_e32 v3, 31, v2
	v_accvgpr_write_b32 a8, v20
	v_accvgpr_write_b32 a10, v22
	;; [unrolled: 1-line block ×5, first 2 shown]
	global_load_dwordx2 v[22:23], v[22:23], off
	v_accvgpr_write_b32 a19, v31
	global_load_dwordx2 v[30:31], v[30:31], off
	v_lshlrev_b64 v[20:21], 3, v[2:3]
	v_add_u32_e32 v2, s7, v2
	v_add_co_u32_e32 v164, vcc, s4, v20
	v_accvgpr_write_b32 a12, v24
	v_ashrrev_i32_e32 v3, 31, v2
	v_accvgpr_write_b32 a14, v26
	v_accvgpr_write_b32 a16, v28
	;; [unrolled: 1-line block ×3, first 2 shown]
	v_addc_co_u32_e32 v165, vcc, v1, v21, vcc
	v_accvgpr_write_b32 a13, v25
	global_load_dwordx2 v[20:21], v[24:25], off
	v_accvgpr_write_b32 a15, v27
	v_accvgpr_write_b32 a17, v29
	;; [unrolled: 1-line block ×3, first 2 shown]
	global_load_dwordx2 v[32:33], v[32:33], off
	v_accvgpr_write_b32 a22, v34
	global_load_dwordx2 v[24:25], v[26:27], off
	v_accvgpr_write_b32 a23, v35
	global_load_dwordx2 v[26:27], v[28:29], off
	v_lshlrev_b64 v[28:29], 3, v[2:3]
	v_add_u32_e32 v2, s7, v2
	v_add_co_u32_e32 v170, vcc, s4, v28
	v_ashrrev_i32_e32 v3, 31, v2
	v_addc_co_u32_e32 v171, vcc, v1, v29, vcc
	v_lshlrev_b64 v[44:45], 3, v[2:3]
	v_add_co_u32_e32 v172, vcc, s4, v44
	global_load_dwordx2 v[34:35], v[34:35], off
	s_nop 0
	global_load_dwordx2 v[36:37], v[102:103], off
	global_load_dwordx2 v[28:29], v[104:105], off
	;; [unrolled: 1-line block ×9, first 2 shown]
	v_addc_co_u32_e32 v173, vcc, v1, v45, vcc
	global_load_dwordx2 v[44:45], v[120:121], off
	global_load_dwordx2 v[54:55], v[122:123], off
	;; [unrolled: 1-line block ×8, first 2 shown]
	v_add_u32_e32 v2, s7, v2
	v_ashrrev_i32_e32 v3, 31, v2
	v_lshlrev_b64 v[2:3], 3, v[2:3]
	v_add_co_u32_e32 v174, vcc, s4, v2
	v_addc_co_u32_e32 v175, vcc, v1, v3, vcc
	global_load_dwordx2 v[2:3], v[136:137], off
	global_load_dwordx2 v[68:69], v[138:139], off
	;; [unrolled: 1-line block ×10, first 2 shown]
	s_bitcmp0_b32 s22, 0
	s_waitcnt vmcnt(40)
	buffer_store_dword v5, off, s[0:3], 0 offset:4
	buffer_store_dword v4, off, s[0:3], 0
	global_load_dwordx2 v[4:5], v[140:141], off
	s_mov_b64 s[6:7], -1
	s_waitcnt vmcnt(42)
	buffer_store_dword v9, off, s[0:3], 0 offset:12
	buffer_store_dword v8, off, s[0:3], 0 offset:8
	global_load_dwordx2 v[8:9], v[144:145], off
	s_waitcnt vmcnt(44)
	buffer_store_dword v13, off, s[0:3], 0 offset:20
	buffer_store_dword v12, off, s[0:3], 0 offset:16
	global_load_dwordx2 v[12:13], v[148:149], off
	;; [unrolled: 4-line block ×7, first 2 shown]
	s_waitcnt vmcnt(55)
	buffer_store_dword v21, off, s[0:3], 0 offset:68
	buffer_store_dword v20, off, s[0:3], 0 offset:64
	s_waitcnt vmcnt(55)
	buffer_store_dword v24, off, s[0:3], 0 offset:72
	buffer_store_dword v25, off, s[0:3], 0 offset:76
	;; [unrolled: 3-line block ×3, first 2 shown]
	buffer_store_dword v30, off, s[0:3], 0 offset:88
	buffer_store_dword v31, off, s[0:3], 0 offset:92
	;; [unrolled: 1-line block ×4, first 2 shown]
	s_waitcnt vmcnt(61)
	buffer_store_dword v34, off, s[0:3], 0 offset:104
	buffer_store_dword v35, off, s[0:3], 0 offset:108
	s_waitcnt vmcnt(62)
	buffer_store_dword v37, off, s[0:3], 0 offset:116
	buffer_store_dword v36, off, s[0:3], 0 offset:112
	s_waitcnt vmcnt(62)
	buffer_store_dword v28, off, s[0:3], 0 offset:120
	buffer_store_dword v29, off, s[0:3], 0 offset:124
	buffer_store_dword v38, off, s[0:3], 0 offset:128
	buffer_store_dword v39, off, s[0:3], 0 offset:132
	s_waitcnt vmcnt(62)
	buffer_store_dword v40, off, s[0:3], 0 offset:136
	buffer_store_dword v41, off, s[0:3], 0 offset:140
	;; [unrolled: 1-line block ×8, first 2 shown]
	s_waitcnt vmcnt(62)
	buffer_store_dword v50, off, s[0:3], 0 offset:168
	buffer_store_dword v51, off, s[0:3], 0 offset:172
	;; [unrolled: 1-line block ×16, first 2 shown]
	s_waitcnt vmcnt(62)
	buffer_store_dword v64, off, s[0:3], 0 offset:232
	buffer_store_dword v65, off, s[0:3], 0 offset:236
	;; [unrolled: 1-line block ×12, first 2 shown]
	s_waitcnt vmcnt(62)
	buffer_store_dword v8, off, s[0:3], 0 offset:280
	buffer_store_dword v9, off, s[0:3], 0 offset:284
	buffer_store_dword v72, off, s[0:3], 0 offset:288
	buffer_store_dword v73, off, s[0:3], 0 offset:292
	buffer_store_dword v13, off, s[0:3], 0 offset:300
	buffer_store_dword v12, off, s[0:3], 0 offset:296
	buffer_store_dword v75, off, s[0:3], 0 offset:308
	buffer_store_dword v74, off, s[0:3], 0 offset:304
	buffer_store_dword v10, off, s[0:3], 0 offset:312
	buffer_store_dword v11, off, s[0:3], 0 offset:316
	buffer_store_dword v76, off, s[0:3], 0 offset:320
	buffer_store_dword v77, off, s[0:3], 0 offset:324
	buffer_store_dword v16, off, s[0:3], 0 offset:328
	buffer_store_dword v17, off, s[0:3], 0 offset:332
	buffer_store_dword v176, off, s[0:3], 0 offset:336
	buffer_store_dword v177, off, s[0:3], 0 offset:340
	s_waitcnt vmcnt(62)
	buffer_store_dword v19, off, s[0:3], 0 offset:348
	buffer_store_dword v18, off, s[0:3], 0 offset:344
	;; [unrolled: 1-line block ×12, first 2 shown]
	s_cbranch_scc1 .LBB48_208
; %bb.4:
	v_cmp_eq_u32_e64 s[4:5], 0, v0
	s_and_saveexec_b64 s[6:7], s[4:5]
	s_cbranch_execz .LBB48_6
; %bb.5:
	v_mov_b32_e32 v1, 0
	ds_write_b32 v1, v1 offset:392
.LBB48_6:
	s_or_b64 exec, exec, s[6:7]
	v_mov_b32_e32 v1, 0
	v_lshl_add_u32 v7, v0, 3, v1
	s_waitcnt lgkmcnt(0)
	; wave barrier
	s_waitcnt lgkmcnt(0)
	buffer_load_dword v1, v7, s[0:3], 0 offen
	buffer_load_dword v2, v7, s[0:3], 0 offen offset:4
	s_waitcnt vmcnt(1)
	v_cmp_eq_f32_e32 vcc, 0, v1
	s_waitcnt vmcnt(0)
	v_cmp_eq_f32_e64 s[6:7], 0, v2
	s_and_b64 s[6:7], vcc, s[6:7]
	s_and_saveexec_b64 s[12:13], s[6:7]
	s_cbranch_execz .LBB48_10
; %bb.7:
	v_mov_b32_e32 v1, 0
	ds_read_b32 v3, v1 offset:392
	v_add_u32_e32 v2, 1, v0
	s_waitcnt lgkmcnt(0)
	v_readfirstlane_b32 s6, v3
	s_cmp_eq_u32 s6, 0
	s_cselect_b64 s[16:17], -1, 0
	v_cmp_gt_i32_e32 vcc, s6, v2
	s_or_b64 s[16:17], s[16:17], vcc
	s_and_b64 exec, exec, s[16:17]
	s_cbranch_execz .LBB48_10
; %bb.8:
	s_mov_b64 s[16:17], 0
	v_mov_b32_e32 v3, s6
.LBB48_9:                               ; =>This Inner Loop Header: Depth=1
	ds_cmpst_rtn_b32 v3, v1, v3, v2 offset:392
	s_waitcnt lgkmcnt(0)
	v_cmp_ne_u32_e32 vcc, 0, v3
	v_cmp_le_i32_e64 s[6:7], v3, v2
	s_and_b64 s[6:7], vcc, s[6:7]
	s_and_b64 s[6:7], exec, s[6:7]
	s_or_b64 s[16:17], s[6:7], s[16:17]
	s_andn2_b64 exec, exec, s[16:17]
	s_cbranch_execnz .LBB48_9
.LBB48_10:
	s_or_b64 exec, exec, s[12:13]
	v_mov_b32_e32 v2, 0
	s_waitcnt lgkmcnt(0)
	; wave barrier
	ds_read_b32 v1, v2 offset:392
	s_and_saveexec_b64 s[6:7], s[4:5]
	s_cbranch_execz .LBB48_12
; %bb.11:
	s_lshl_b64 s[12:13], s[8:9], 2
	s_add_u32 s12, s14, s12
	s_addc_u32 s13, s15, s13
	s_waitcnt lgkmcnt(0)
	global_store_dword v2, v1, s[12:13]
.LBB48_12:
	s_or_b64 exec, exec, s[6:7]
	s_waitcnt lgkmcnt(0)
	v_cmp_ne_u32_e32 vcc, 0, v1
	s_mov_b64 s[6:7], 0
	s_cbranch_vccnz .LBB48_208
; %bb.13:
	buffer_load_dword v8, v7, s[0:3], 0 offen offset:4
	buffer_load_dword v3, v7, s[0:3], 0 offen
	s_waitcnt vmcnt(1)
	v_cmp_gt_f32_e32 vcc, 0, v8
	v_cndmask_b32_e64 v1, v8, -v8, vcc
	s_waitcnt vmcnt(0)
	v_cmp_gt_f32_e32 vcc, 0, v3
	v_cndmask_b32_e64 v2, v3, -v3, vcc
	v_cmp_ngt_f32_e32 vcc, v2, v1
                                        ; implicit-def: $vgpr1
                                        ; implicit-def: $vgpr2
	s_and_saveexec_b64 s[6:7], vcc
	s_xor_b64 s[6:7], exec, s[6:7]
                                        ; implicit-def: $vgpr4_vgpr5
	s_cbranch_execz .LBB48_15
; %bb.14:
	v_div_scale_f32 v1, s[12:13], v8, v8, v3
	v_rcp_f32_e32 v2, v1
	v_div_scale_f32 v4, vcc, v3, v8, v3
	v_fma_f32 v5, -v1, v2, 1.0
	v_fmac_f32_e32 v2, v5, v2
	v_mul_f32_e32 v5, v4, v2
	v_fma_f32 v9, -v1, v5, v4
	v_fmac_f32_e32 v5, v9, v2
	v_fma_f32 v1, -v1, v5, v4
	v_div_fmas_f32 v1, v1, v2, v5
	v_div_fixup_f32 v2, v1, v8, v3
	v_fmac_f32_e32 v8, v3, v2
	v_div_scale_f32 v1, s[12:13], v8, v8, -1.0
	v_rcp_f32_e32 v3, v1
	v_fma_f32 v4, -v1, v3, 1.0
	v_fmac_f32_e32 v3, v4, v3
	v_div_scale_f32 v4, vcc, -1.0, v8, -1.0
	v_mul_f32_e32 v5, v4, v3
	v_fma_f32 v9, -v1, v5, v4
	v_fmac_f32_e32 v5, v9, v3
	v_fma_f32 v1, -v1, v5, v4
	v_div_fmas_f32 v1, v1, v3, v5
	v_div_fixup_f32 v1, v1, v8, -1.0
	v_mul_f32_e32 v2, v2, v1
	v_xor_b32_e32 v4, 0x80000000, v2
                                        ; implicit-def: $vgpr3
                                        ; implicit-def: $vgpr8
.LBB48_15:
	s_andn2_saveexec_b64 s[6:7], s[6:7]
	s_cbranch_execz .LBB48_17
; %bb.16:
	v_div_scale_f32 v1, s[12:13], v3, v3, v8
	v_rcp_f32_e32 v2, v1
	v_div_scale_f32 v4, vcc, v8, v3, v8
	v_fma_f32 v5, -v1, v2, 1.0
	v_fmac_f32_e32 v2, v5, v2
	v_mul_f32_e32 v5, v4, v2
	v_fma_f32 v9, -v1, v5, v4
	v_fmac_f32_e32 v5, v9, v2
	v_fma_f32 v1, -v1, v5, v4
	v_div_fmas_f32 v1, v1, v2, v5
	v_div_fixup_f32 v1, v1, v3, v8
	v_fmac_f32_e32 v3, v8, v1
	v_div_scale_f32 v2, s[12:13], v3, v3, 1.0
	v_rcp_f32_e32 v4, v2
	v_fma_f32 v5, -v2, v4, 1.0
	v_fmac_f32_e32 v4, v5, v4
	v_div_scale_f32 v5, vcc, 1.0, v3, 1.0
	v_mul_f32_e32 v8, v5, v4
	v_fma_f32 v9, -v2, v8, v5
	v_fmac_f32_e32 v8, v9, v4
	v_fma_f32 v2, -v2, v8, v5
	v_div_fmas_f32 v2, v2, v4, v8
	v_div_fixup_f32 v4, v2, v3, 1.0
	v_xor_b32_e32 v2, 0x80000000, v4
	v_mul_f32_e64 v1, v1, -v4
.LBB48_17:
	s_or_b64 exec, exec, s[6:7]
	buffer_store_dword v1, v7, s[0:3], 0 offen offset:4
	buffer_store_dword v4, v7, s[0:3], 0 offen
	buffer_load_dword v5, off, s[0:3], 0 offset:12
	s_nop 0
	buffer_load_dword v4, off, s[0:3], 0 offset:8
	v_xor_b32_e32 v3, 0x80000000, v1
	v_add_u32_e32 v1, 0x190, v6
	s_waitcnt vmcnt(0)
	ds_write2_b64 v6, v[2:3], v[4:5] offset1:50
	s_waitcnt lgkmcnt(0)
	; wave barrier
	s_waitcnt lgkmcnt(0)
	s_and_saveexec_b64 s[6:7], s[4:5]
	s_cbranch_execz .LBB48_19
; %bb.18:
	buffer_load_dword v8, v7, s[0:3], 0 offen offset:4
	buffer_load_dword v9, v7, s[0:3], 0 offen
	ds_read_b64 v[2:3], v1
	v_mov_b32_e32 v4, 0
	ds_read_b64 v[4:5], v4 offset:8
	s_waitcnt vmcnt(1) lgkmcnt(1)
	v_mul_f32_e32 v10, v3, v8
	v_mul_f32_e32 v8, v2, v8
	s_waitcnt vmcnt(0)
	v_fmac_f32_e32 v8, v3, v9
	v_fma_f32 v2, v2, v9, -v10
	v_add_f32_e32 v3, 0, v8
	v_add_f32_e32 v2, 0, v2
	s_waitcnt lgkmcnt(0)
	v_mul_f32_e32 v8, v3, v5
	v_mul_f32_e32 v5, v2, v5
	v_fma_f32 v2, v2, v4, -v8
	v_fmac_f32_e32 v5, v3, v4
	buffer_store_dword v2, off, s[0:3], 0 offset:8
	buffer_store_dword v5, off, s[0:3], 0 offset:12
.LBB48_19:
	s_or_b64 exec, exec, s[6:7]
	s_waitcnt lgkmcnt(0)
	; wave barrier
	buffer_load_dword v2, off, s[0:3], 0 offset:16
	buffer_load_dword v3, off, s[0:3], 0 offset:20
	v_cmp_gt_u32_e32 vcc, 2, v0
	s_waitcnt vmcnt(0)
	ds_write_b64 v1, v[2:3]
	s_waitcnt lgkmcnt(0)
	; wave barrier
	s_waitcnt lgkmcnt(0)
	s_and_saveexec_b64 s[6:7], vcc
	s_cbranch_execz .LBB48_23
; %bb.20:
	buffer_load_dword v4, v7, s[0:3], 0 offen offset:4
	buffer_load_dword v5, v7, s[0:3], 0 offen
	ds_read_b64 v[2:3], v1
	s_waitcnt vmcnt(1) lgkmcnt(0)
	v_mul_f32_e32 v7, v3, v4
	v_mul_f32_e32 v4, v2, v4
	s_waitcnt vmcnt(0)
	v_fma_f32 v2, v2, v5, -v7
	v_fmac_f32_e32 v4, v3, v5
	v_add_f32_e32 v3, 0, v2
	v_add_f32_e32 v2, 0, v4
	s_and_saveexec_b64 s[12:13], s[4:5]
	s_cbranch_execz .LBB48_22
; %bb.21:
	buffer_load_dword v7, off, s[0:3], 0 offset:12
	buffer_load_dword v8, off, s[0:3], 0 offset:8
	v_mov_b32_e32 v4, 0
	ds_read_b64 v[4:5], v4 offset:408
	s_waitcnt vmcnt(1) lgkmcnt(0)
	v_mul_f32_e32 v9, v4, v7
	v_mul_f32_e32 v7, v5, v7
	s_waitcnt vmcnt(0)
	v_fmac_f32_e32 v9, v5, v8
	v_fma_f32 v4, v4, v8, -v7
	v_add_f32_e32 v2, v2, v9
	v_add_f32_e32 v3, v3, v4
.LBB48_22:
	s_or_b64 exec, exec, s[12:13]
	v_mov_b32_e32 v4, 0
	ds_read_b64 v[4:5], v4 offset:16
	s_waitcnt lgkmcnt(0)
	v_mul_f32_e32 v7, v2, v5
	v_mul_f32_e32 v5, v3, v5
	v_fma_f32 v3, v3, v4, -v7
	v_fmac_f32_e32 v5, v2, v4
	buffer_store_dword v3, off, s[0:3], 0 offset:16
	buffer_store_dword v5, off, s[0:3], 0 offset:20
.LBB48_23:
	s_or_b64 exec, exec, s[6:7]
	s_waitcnt lgkmcnt(0)
	; wave barrier
	buffer_load_dword v2, off, s[0:3], 0 offset:24
	buffer_load_dword v3, off, s[0:3], 0 offset:28
	v_cmp_gt_u32_e32 vcc, 3, v0
	s_waitcnt vmcnt(0)
	ds_write_b64 v1, v[2:3]
	v_add_u32_e32 v2, -1, v0
	s_waitcnt lgkmcnt(0)
	; wave barrier
	s_waitcnt lgkmcnt(0)
	s_and_saveexec_b64 s[4:5], vcc
	s_cbranch_execz .LBB48_27
; %bb.24:
	v_add_u32_e32 v4, -1, v0
	v_add_u32_e32 v5, 0x190, v6
	v_add_u32_e32 v7, 0, v6
	s_mov_b64 s[6:7], 0
	v_mov_b32_e32 v3, 0
	v_mov_b32_e32 v8, 0
.LBB48_25:                              ; =>This Inner Loop Header: Depth=1
	buffer_load_dword v9, v7, s[0:3], 0 offen offset:4
	buffer_load_dword v12, v7, s[0:3], 0 offen
	ds_read_b64 v[10:11], v5
	v_add_u32_e32 v4, 1, v4
	v_cmp_lt_u32_e32 vcc, 1, v4
	v_add_u32_e32 v5, 8, v5
	v_add_u32_e32 v7, 8, v7
	s_or_b64 s[6:7], vcc, s[6:7]
	s_waitcnt vmcnt(1) lgkmcnt(0)
	v_mul_f32_e32 v13, v11, v9
	v_mul_f32_e32 v9, v10, v9
	s_waitcnt vmcnt(0)
	v_fma_f32 v10, v10, v12, -v13
	v_fmac_f32_e32 v9, v11, v12
	v_add_f32_e32 v8, v8, v10
	v_add_f32_e32 v3, v3, v9
	s_andn2_b64 exec, exec, s[6:7]
	s_cbranch_execnz .LBB48_25
; %bb.26:
	s_or_b64 exec, exec, s[6:7]
	v_mov_b32_e32 v4, 0
	ds_read_b64 v[4:5], v4 offset:24
	s_waitcnt lgkmcnt(0)
	v_mul_f32_e32 v7, v3, v5
	v_mul_f32_e32 v5, v8, v5
	v_fma_f32 v7, v8, v4, -v7
	v_fmac_f32_e32 v5, v3, v4
	buffer_store_dword v7, off, s[0:3], 0 offset:24
	buffer_store_dword v5, off, s[0:3], 0 offset:28
.LBB48_27:
	s_or_b64 exec, exec, s[4:5]
	s_waitcnt lgkmcnt(0)
	; wave barrier
	buffer_load_dword v4, off, s[0:3], 0 offset:32
	buffer_load_dword v5, off, s[0:3], 0 offset:36
	v_cmp_gt_u32_e32 vcc, 4, v0
	s_waitcnt vmcnt(0)
	ds_write_b64 v1, v[4:5]
	s_waitcnt lgkmcnt(0)
	; wave barrier
	s_waitcnt lgkmcnt(0)
	s_and_saveexec_b64 s[4:5], vcc
	s_cbranch_execz .LBB48_31
; %bb.28:
	v_add_u32_e32 v4, -1, v0
	v_add_u32_e32 v5, 0x190, v6
	v_add_u32_e32 v7, 0, v6
	s_mov_b64 s[6:7], 0
	v_mov_b32_e32 v3, 0
	v_mov_b32_e32 v8, 0
.LBB48_29:                              ; =>This Inner Loop Header: Depth=1
	buffer_load_dword v9, v7, s[0:3], 0 offen offset:4
	buffer_load_dword v12, v7, s[0:3], 0 offen
	ds_read_b64 v[10:11], v5
	v_add_u32_e32 v4, 1, v4
	v_cmp_lt_u32_e32 vcc, 2, v4
	v_add_u32_e32 v5, 8, v5
	v_add_u32_e32 v7, 8, v7
	s_or_b64 s[6:7], vcc, s[6:7]
	s_waitcnt vmcnt(1) lgkmcnt(0)
	v_mul_f32_e32 v13, v11, v9
	v_mul_f32_e32 v9, v10, v9
	s_waitcnt vmcnt(0)
	v_fma_f32 v10, v10, v12, -v13
	v_fmac_f32_e32 v9, v11, v12
	v_add_f32_e32 v8, v8, v10
	v_add_f32_e32 v3, v3, v9
	s_andn2_b64 exec, exec, s[6:7]
	s_cbranch_execnz .LBB48_29
; %bb.30:
	s_or_b64 exec, exec, s[6:7]
	v_mov_b32_e32 v4, 0
	ds_read_b64 v[4:5], v4 offset:32
	s_waitcnt lgkmcnt(0)
	v_mul_f32_e32 v7, v3, v5
	v_mul_f32_e32 v5, v8, v5
	v_fma_f32 v7, v8, v4, -v7
	v_fmac_f32_e32 v5, v3, v4
	buffer_store_dword v7, off, s[0:3], 0 offset:32
	buffer_store_dword v5, off, s[0:3], 0 offset:36
.LBB48_31:
	s_or_b64 exec, exec, s[4:5]
	s_waitcnt lgkmcnt(0)
	; wave barrier
	buffer_load_dword v4, off, s[0:3], 0 offset:40
	buffer_load_dword v5, off, s[0:3], 0 offset:44
	v_cmp_gt_u32_e32 vcc, 5, v0
	s_waitcnt vmcnt(0)
	ds_write_b64 v1, v[4:5]
	;; [unrolled: 51-line block ×19, first 2 shown]
	s_waitcnt lgkmcnt(0)
	; wave barrier
	s_waitcnt lgkmcnt(0)
	s_and_saveexec_b64 s[4:5], vcc
	s_cbranch_execz .LBB48_103
; %bb.100:
	v_add_u32_e32 v4, -1, v0
	v_add_u32_e32 v5, 0x190, v6
	v_add_u32_e32 v7, 0, v6
	s_mov_b64 s[6:7], 0
	v_mov_b32_e32 v3, 0
	v_mov_b32_e32 v8, 0
.LBB48_101:                             ; =>This Inner Loop Header: Depth=1
	buffer_load_dword v9, v7, s[0:3], 0 offen offset:4
	buffer_load_dword v12, v7, s[0:3], 0 offen
	ds_read_b64 v[10:11], v5
	v_add_u32_e32 v4, 1, v4
	v_cmp_lt_u32_e32 vcc, 20, v4
	v_add_u32_e32 v5, 8, v5
	v_add_u32_e32 v7, 8, v7
	s_or_b64 s[6:7], vcc, s[6:7]
	s_waitcnt vmcnt(1) lgkmcnt(0)
	v_mul_f32_e32 v13, v11, v9
	v_mul_f32_e32 v9, v10, v9
	s_waitcnt vmcnt(0)
	v_fma_f32 v10, v10, v12, -v13
	v_fmac_f32_e32 v9, v11, v12
	v_add_f32_e32 v8, v8, v10
	v_add_f32_e32 v3, v3, v9
	s_andn2_b64 exec, exec, s[6:7]
	s_cbranch_execnz .LBB48_101
; %bb.102:
	s_or_b64 exec, exec, s[6:7]
	v_mov_b32_e32 v4, 0
	ds_read_b64 v[4:5], v4 offset:176
	s_waitcnt lgkmcnt(0)
	v_mul_f32_e32 v7, v3, v5
	v_mul_f32_e32 v5, v8, v5
	v_fma_f32 v7, v8, v4, -v7
	v_fmac_f32_e32 v5, v3, v4
	buffer_store_dword v7, off, s[0:3], 0 offset:176
	buffer_store_dword v5, off, s[0:3], 0 offset:180
.LBB48_103:
	s_or_b64 exec, exec, s[4:5]
	s_waitcnt lgkmcnt(0)
	; wave barrier
	buffer_load_dword v4, off, s[0:3], 0 offset:184
	buffer_load_dword v5, off, s[0:3], 0 offset:188
	v_cmp_gt_u32_e32 vcc, 23, v0
	s_waitcnt vmcnt(0)
	ds_write_b64 v1, v[4:5]
	s_waitcnt lgkmcnt(0)
	; wave barrier
	s_waitcnt lgkmcnt(0)
	s_and_saveexec_b64 s[4:5], vcc
	s_cbranch_execz .LBB48_107
; %bb.104:
	v_add_u32_e32 v4, -1, v0
	v_add_u32_e32 v5, 0x190, v6
	v_add_u32_e32 v7, 0, v6
	s_mov_b64 s[6:7], 0
	v_mov_b32_e32 v3, 0
	v_mov_b32_e32 v8, 0
.LBB48_105:                             ; =>This Inner Loop Header: Depth=1
	buffer_load_dword v9, v7, s[0:3], 0 offen offset:4
	buffer_load_dword v12, v7, s[0:3], 0 offen
	ds_read_b64 v[10:11], v5
	v_add_u32_e32 v4, 1, v4
	v_cmp_lt_u32_e32 vcc, 21, v4
	v_add_u32_e32 v5, 8, v5
	v_add_u32_e32 v7, 8, v7
	s_or_b64 s[6:7], vcc, s[6:7]
	s_waitcnt vmcnt(1) lgkmcnt(0)
	v_mul_f32_e32 v13, v11, v9
	v_mul_f32_e32 v9, v10, v9
	s_waitcnt vmcnt(0)
	v_fma_f32 v10, v10, v12, -v13
	v_fmac_f32_e32 v9, v11, v12
	v_add_f32_e32 v8, v8, v10
	v_add_f32_e32 v3, v3, v9
	s_andn2_b64 exec, exec, s[6:7]
	s_cbranch_execnz .LBB48_105
; %bb.106:
	s_or_b64 exec, exec, s[6:7]
	v_mov_b32_e32 v4, 0
	ds_read_b64 v[4:5], v4 offset:184
	s_waitcnt lgkmcnt(0)
	v_mul_f32_e32 v7, v3, v5
	v_mul_f32_e32 v5, v8, v5
	v_fma_f32 v7, v8, v4, -v7
	v_fmac_f32_e32 v5, v3, v4
	buffer_store_dword v7, off, s[0:3], 0 offset:184
	buffer_store_dword v5, off, s[0:3], 0 offset:188
.LBB48_107:
	s_or_b64 exec, exec, s[4:5]
	s_waitcnt lgkmcnt(0)
	; wave barrier
	buffer_load_dword v4, off, s[0:3], 0 offset:192
	buffer_load_dword v5, off, s[0:3], 0 offset:196
	v_cmp_gt_u32_e32 vcc, 24, v0
	s_waitcnt vmcnt(0)
	ds_write_b64 v1, v[4:5]
	;; [unrolled: 51-line block ×25, first 2 shown]
	s_waitcnt lgkmcnt(0)
	; wave barrier
	s_waitcnt lgkmcnt(0)
	s_and_saveexec_b64 s[4:5], vcc
	s_cbranch_execz .LBB48_203
; %bb.200:
	v_add_u32_e32 v4, -1, v0
	v_add_u32_e32 v5, 0x190, v6
	v_add_u32_e32 v7, 0, v6
	s_mov_b64 s[6:7], 0
	v_mov_b32_e32 v3, 0
	v_mov_b32_e32 v8, 0
.LBB48_201:                             ; =>This Inner Loop Header: Depth=1
	buffer_load_dword v9, v7, s[0:3], 0 offen offset:4
	buffer_load_dword v12, v7, s[0:3], 0 offen
	ds_read_b64 v[10:11], v5
	v_add_u32_e32 v4, 1, v4
	v_cmp_lt_u32_e32 vcc, 45, v4
	v_add_u32_e32 v5, 8, v5
	v_add_u32_e32 v7, 8, v7
	s_or_b64 s[6:7], vcc, s[6:7]
	s_waitcnt vmcnt(1) lgkmcnt(0)
	v_mul_f32_e32 v13, v11, v9
	v_mul_f32_e32 v9, v10, v9
	s_waitcnt vmcnt(0)
	v_fma_f32 v10, v10, v12, -v13
	v_fmac_f32_e32 v9, v11, v12
	v_add_f32_e32 v8, v8, v10
	v_add_f32_e32 v3, v3, v9
	s_andn2_b64 exec, exec, s[6:7]
	s_cbranch_execnz .LBB48_201
; %bb.202:
	s_or_b64 exec, exec, s[6:7]
	v_mov_b32_e32 v4, 0
	ds_read_b64 v[4:5], v4 offset:376
	s_waitcnt lgkmcnt(0)
	v_mul_f32_e32 v7, v3, v5
	v_mul_f32_e32 v5, v8, v5
	v_fma_f32 v7, v8, v4, -v7
	v_fmac_f32_e32 v5, v3, v4
	buffer_store_dword v7, off, s[0:3], 0 offset:376
	buffer_store_dword v5, off, s[0:3], 0 offset:380
.LBB48_203:
	s_or_b64 exec, exec, s[4:5]
	s_waitcnt lgkmcnt(0)
	; wave barrier
	buffer_load_dword v4, off, s[0:3], 0 offset:384
	buffer_load_dword v5, off, s[0:3], 0 offset:388
	v_cmp_ne_u32_e32 vcc, 48, v0
	s_waitcnt vmcnt(0)
	ds_write_b64 v1, v[4:5]
	s_waitcnt lgkmcnt(0)
	; wave barrier
	s_waitcnt lgkmcnt(0)
	s_and_saveexec_b64 s[4:5], vcc
	s_cbranch_execz .LBB48_207
; %bb.204:
	v_add_u32_e32 v3, 0x190, v6
	v_add_u32_e32 v4, 0, v6
	s_mov_b64 s[6:7], 0
	v_mov_b32_e32 v1, 0
	v_mov_b32_e32 v5, 0
.LBB48_205:                             ; =>This Inner Loop Header: Depth=1
	buffer_load_dword v8, v4, s[0:3], 0 offen offset:4
	buffer_load_dword v9, v4, s[0:3], 0 offen
	ds_read_b64 v[6:7], v3
	v_add_u32_e32 v2, 1, v2
	v_cmp_lt_u32_e32 vcc, 46, v2
	v_add_u32_e32 v3, 8, v3
	v_add_u32_e32 v4, 8, v4
	s_or_b64 s[6:7], vcc, s[6:7]
	s_waitcnt vmcnt(1) lgkmcnt(0)
	v_mul_f32_e32 v10, v7, v8
	v_mul_f32_e32 v8, v6, v8
	s_waitcnt vmcnt(0)
	v_fma_f32 v6, v6, v9, -v10
	v_fmac_f32_e32 v8, v7, v9
	v_add_f32_e32 v5, v5, v6
	v_add_f32_e32 v1, v1, v8
	s_andn2_b64 exec, exec, s[6:7]
	s_cbranch_execnz .LBB48_205
; %bb.206:
	s_or_b64 exec, exec, s[6:7]
	v_mov_b32_e32 v2, 0
	ds_read_b64 v[2:3], v2 offset:384
	s_waitcnt lgkmcnt(0)
	v_mul_f32_e32 v4, v1, v3
	v_mul_f32_e32 v3, v5, v3
	v_fma_f32 v4, v5, v2, -v4
	v_fmac_f32_e32 v3, v1, v2
	buffer_store_dword v4, off, s[0:3], 0 offset:384
	buffer_store_dword v3, off, s[0:3], 0 offset:388
.LBB48_207:
	s_or_b64 exec, exec, s[4:5]
	s_mov_b64 s[6:7], -1
	s_waitcnt lgkmcnt(0)
	; wave barrier
.LBB48_208:
	s_and_b64 vcc, exec, s[6:7]
	s_cbranch_vccz .LBB48_210
; %bb.209:
	s_lshl_b64 s[4:5], s[8:9], 2
	s_add_u32 s4, s14, s4
	s_addc_u32 s5, s15, s5
	v_mov_b32_e32 v1, 0
	global_load_dword v1, v1, s[4:5]
	s_waitcnt vmcnt(0)
	v_cmp_ne_u32_e32 vcc, 0, v1
	s_cbranch_vccz .LBB48_211
.LBB48_210:
	s_endpgm
.LBB48_211:
	v_mov_b32_e32 v1, 0x190
	v_lshl_add_u32 v1, v0, 3, v1
	v_accvgpr_write_b32 a24, v1
	v_cmp_eq_u32_e32 vcc, 48, v0
	s_and_saveexec_b64 s[4:5], vcc
	s_cbranch_execz .LBB48_213
; %bb.212:
	buffer_load_dword v2, off, s[0:3], 0 offset:376
	buffer_load_dword v3, off, s[0:3], 0 offset:380
	v_mov_b32_e32 v1, 0
	v_accvgpr_read_b32 v4, a24
	buffer_store_dword v1, off, s[0:3], 0 offset:376
	buffer_store_dword v1, off, s[0:3], 0 offset:380
	s_waitcnt vmcnt(2)
	ds_write_b64 v4, v[2:3]
.LBB48_213:
	s_or_b64 exec, exec, s[4:5]
	s_waitcnt lgkmcnt(0)
	; wave barrier
	s_waitcnt lgkmcnt(0)
	buffer_load_dword v3, off, s[0:3], 0 offset:388
	buffer_load_dword v2, off, s[0:3], 0 offset:384
	;; [unrolled: 1-line block ×4, first 2 shown]
	v_mov_b32_e32 v1, 0
	ds_read_b64 v[6:7], v1 offset:784
	v_cmp_lt_u32_e32 vcc, 46, v0
	s_waitcnt vmcnt(3)
	v_mov_b32_e32 v8, v3
	s_waitcnt lgkmcnt(0)
	v_pk_mul_f32 v[8:9], v[6:7], v[8:9] op_sel_hi:[1,0]
	s_waitcnt vmcnt(2)
	v_pk_fma_f32 v[10:11], v[6:7], v[2:3], v[8:9] op_sel:[0,0,1] op_sel_hi:[1,1,0] neg_lo:[0,0,1] neg_hi:[0,0,1]
	v_pk_fma_f32 v[2:3], v[6:7], v[2:3], v[8:9] op_sel:[0,0,1] op_sel_hi:[1,0,0]
	v_mov_b32_e32 v11, v3
	v_pk_add_f32 v[2:3], v[10:11], 0 op_sel_hi:[1,0]
	s_waitcnt vmcnt(0)
	v_pk_add_f32 v[2:3], v[4:5], v[2:3] neg_lo:[0,1] neg_hi:[0,1]
	buffer_store_dword v2, off, s[0:3], 0 offset:376
	buffer_store_dword v3, off, s[0:3], 0 offset:380
	s_and_saveexec_b64 s[4:5], vcc
	s_cbranch_execz .LBB48_215
; %bb.214:
	buffer_load_dword v2, off, s[0:3], 0 offset:368
	buffer_load_dword v3, off, s[0:3], 0 offset:372
	v_accvgpr_read_b32 v4, a24
	buffer_store_dword v1, off, s[0:3], 0 offset:368
	buffer_store_dword v1, off, s[0:3], 0 offset:372
	s_waitcnt vmcnt(2)
	ds_write_b64 v4, v[2:3]
.LBB48_215:
	s_or_b64 exec, exec, s[4:5]
	s_waitcnt lgkmcnt(0)
	; wave barrier
	s_waitcnt lgkmcnt(0)
	buffer_load_dword v7, off, s[0:3], 0 offset:380
	buffer_load_dword v9, off, s[0:3], 0 offset:388
	;; [unrolled: 1-line block ×6, first 2 shown]
	ds_read2_b64 v[2:5], v1 offset0:97 offset1:98
	v_cmp_lt_u32_e32 vcc, 45, v0
	s_waitcnt vmcnt(5)
	v_mov_b32_e32 v12, v7
	s_waitcnt vmcnt(4)
	v_mov_b32_e32 v14, v9
	s_waitcnt lgkmcnt(0)
	v_pk_mul_f32 v[12:13], v[2:3], v[12:13] op_sel_hi:[1,0]
	v_pk_mul_f32 v[14:15], v[4:5], v[14:15] op_sel_hi:[1,0]
	s_waitcnt vmcnt(3)
	v_pk_fma_f32 v[16:17], v[2:3], v[6:7], v[12:13] op_sel:[0,0,1] op_sel_hi:[1,1,0] neg_lo:[0,0,1] neg_hi:[0,0,1]
	v_pk_fma_f32 v[2:3], v[2:3], v[6:7], v[12:13] op_sel:[0,0,1] op_sel_hi:[1,0,0]
	s_waitcnt vmcnt(2)
	v_pk_fma_f32 v[6:7], v[4:5], v[8:9], v[14:15] op_sel:[0,0,1] op_sel_hi:[1,1,0] neg_lo:[0,0,1] neg_hi:[0,0,1]
	v_pk_fma_f32 v[4:5], v[4:5], v[8:9], v[14:15] op_sel:[0,0,1] op_sel_hi:[1,0,0]
	v_mov_b32_e32 v17, v3
	v_mov_b32_e32 v7, v5
	v_pk_add_f32 v[2:3], v[16:17], 0 op_sel_hi:[1,0]
	v_pk_add_f32 v[2:3], v[2:3], v[6:7]
	s_waitcnt vmcnt(0)
	v_pk_add_f32 v[2:3], v[10:11], v[2:3] neg_lo:[0,1] neg_hi:[0,1]
	buffer_store_dword v2, off, s[0:3], 0 offset:368
	buffer_store_dword v3, off, s[0:3], 0 offset:372
	s_and_saveexec_b64 s[4:5], vcc
	s_cbranch_execz .LBB48_217
; %bb.216:
	buffer_load_dword v2, off, s[0:3], 0 offset:360
	buffer_load_dword v3, off, s[0:3], 0 offset:364
	v_mov_b32_e32 v1, 0
	v_accvgpr_read_b32 v4, a24
	buffer_store_dword v1, off, s[0:3], 0 offset:360
	buffer_store_dword v1, off, s[0:3], 0 offset:364
	s_waitcnt vmcnt(2)
	ds_write_b64 v4, v[2:3]
.LBB48_217:
	s_or_b64 exec, exec, s[4:5]
	s_waitcnt lgkmcnt(0)
	; wave barrier
	s_waitcnt lgkmcnt(0)
	buffer_load_dword v7, off, s[0:3], 0 offset:372
	buffer_load_dword v9, off, s[0:3], 0 offset:380
	;; [unrolled: 1-line block ×8, first 2 shown]
	v_mov_b32_e32 v1, 0
	ds_read_b128 v[2:5], v1 offset:768
	ds_read_b64 v[14:15], v1 offset:784
	v_cmp_lt_u32_e32 vcc, 44, v0
	s_waitcnt vmcnt(7)
	v_mov_b32_e32 v16, v7
	s_waitcnt vmcnt(6)
	v_mov_b32_e32 v18, v9
	s_waitcnt lgkmcnt(1)
	v_pk_mul_f32 v[16:17], v[2:3], v[16:17] op_sel_hi:[1,0]
	s_waitcnt vmcnt(5)
	v_mov_b32_e32 v20, v11
	v_pk_mul_f32 v[18:19], v[4:5], v[18:19] op_sel_hi:[1,0]
	s_waitcnt vmcnt(4)
	v_pk_fma_f32 v[22:23], v[2:3], v[6:7], v[16:17] op_sel:[0,0,1] op_sel_hi:[1,1,0] neg_lo:[0,0,1] neg_hi:[0,0,1]
	v_pk_fma_f32 v[2:3], v[2:3], v[6:7], v[16:17] op_sel:[0,0,1] op_sel_hi:[1,0,0]
	s_waitcnt lgkmcnt(0)
	v_pk_mul_f32 v[20:21], v[14:15], v[20:21] op_sel_hi:[1,0]
	s_waitcnt vmcnt(3)
	v_pk_fma_f32 v[6:7], v[4:5], v[8:9], v[18:19] op_sel:[0,0,1] op_sel_hi:[1,1,0] neg_lo:[0,0,1] neg_hi:[0,0,1]
	v_pk_fma_f32 v[4:5], v[4:5], v[8:9], v[18:19] op_sel:[0,0,1] op_sel_hi:[1,0,0]
	v_mov_b32_e32 v23, v3
	s_waitcnt vmcnt(2)
	v_pk_fma_f32 v[8:9], v[14:15], v[10:11], v[20:21] op_sel:[0,0,1] op_sel_hi:[1,1,0] neg_lo:[0,0,1] neg_hi:[0,0,1]
	v_pk_fma_f32 v[10:11], v[14:15], v[10:11], v[20:21] op_sel:[0,0,1] op_sel_hi:[1,0,0]
	v_mov_b32_e32 v7, v5
	v_pk_add_f32 v[2:3], v[22:23], 0 op_sel_hi:[1,0]
	v_mov_b32_e32 v9, v11
	v_pk_add_f32 v[2:3], v[2:3], v[6:7]
	v_pk_add_f32 v[2:3], v[2:3], v[8:9]
	s_waitcnt vmcnt(0)
	v_pk_add_f32 v[2:3], v[12:13], v[2:3] neg_lo:[0,1] neg_hi:[0,1]
	buffer_store_dword v2, off, s[0:3], 0 offset:360
	buffer_store_dword v3, off, s[0:3], 0 offset:364
	s_and_saveexec_b64 s[4:5], vcc
	s_cbranch_execz .LBB48_219
; %bb.218:
	buffer_load_dword v2, off, s[0:3], 0 offset:352
	buffer_load_dword v3, off, s[0:3], 0 offset:356
	v_accvgpr_read_b32 v4, a24
	buffer_store_dword v1, off, s[0:3], 0 offset:352
	buffer_store_dword v1, off, s[0:3], 0 offset:356
	s_waitcnt vmcnt(2)
	ds_write_b64 v4, v[2:3]
.LBB48_219:
	s_or_b64 exec, exec, s[4:5]
	s_waitcnt lgkmcnt(0)
	; wave barrier
	s_waitcnt lgkmcnt(0)
	buffer_load_dword v11, off, s[0:3], 0 offset:364
	buffer_load_dword v13, off, s[0:3], 0 offset:372
	;; [unrolled: 1-line block ×10, first 2 shown]
	ds_read2_b64 v[2:5], v1 offset0:95 offset1:96
	ds_read2_b64 v[6:9], v1 offset0:97 offset1:98
	v_cmp_lt_u32_e32 vcc, 43, v0
	s_waitcnt vmcnt(9)
	v_mov_b32_e32 v20, v11
	s_waitcnt vmcnt(8)
	v_mov_b32_e32 v22, v13
	s_waitcnt lgkmcnt(1)
	v_pk_mul_f32 v[20:21], v[2:3], v[20:21] op_sel_hi:[1,0]
	s_waitcnt vmcnt(7)
	v_mov_b32_e32 v24, v15
	v_pk_mul_f32 v[22:23], v[4:5], v[22:23] op_sel_hi:[1,0]
	s_waitcnt vmcnt(5)
	v_pk_fma_f32 v[28:29], v[2:3], v[10:11], v[20:21] op_sel:[0,0,1] op_sel_hi:[1,1,0] neg_lo:[0,0,1] neg_hi:[0,0,1]
	v_pk_fma_f32 v[2:3], v[2:3], v[10:11], v[20:21] op_sel:[0,0,1] op_sel_hi:[1,0,0]
	v_mov_b32_e32 v26, v17
	s_waitcnt lgkmcnt(0)
	v_pk_mul_f32 v[24:25], v[6:7], v[24:25] op_sel_hi:[1,0]
	s_waitcnt vmcnt(4)
	v_pk_fma_f32 v[10:11], v[4:5], v[12:13], v[22:23] op_sel:[0,0,1] op_sel_hi:[1,1,0] neg_lo:[0,0,1] neg_hi:[0,0,1]
	v_pk_fma_f32 v[4:5], v[4:5], v[12:13], v[22:23] op_sel:[0,0,1] op_sel_hi:[1,0,0]
	v_mov_b32_e32 v29, v3
	v_pk_mul_f32 v[26:27], v[8:9], v[26:27] op_sel_hi:[1,0]
	s_waitcnt vmcnt(3)
	v_pk_fma_f32 v[12:13], v[6:7], v[14:15], v[24:25] op_sel:[0,0,1] op_sel_hi:[1,1,0] neg_lo:[0,0,1] neg_hi:[0,0,1]
	v_pk_fma_f32 v[6:7], v[6:7], v[14:15], v[24:25] op_sel:[0,0,1] op_sel_hi:[1,0,0]
	v_mov_b32_e32 v11, v5
	v_pk_add_f32 v[2:3], v[28:29], 0 op_sel_hi:[1,0]
	s_waitcnt vmcnt(2)
	v_pk_fma_f32 v[14:15], v[8:9], v[16:17], v[26:27] op_sel:[0,0,1] op_sel_hi:[1,1,0] neg_lo:[0,0,1] neg_hi:[0,0,1]
	v_pk_fma_f32 v[8:9], v[8:9], v[16:17], v[26:27] op_sel:[0,0,1] op_sel_hi:[1,0,0]
	v_mov_b32_e32 v13, v7
	v_pk_add_f32 v[2:3], v[2:3], v[10:11]
	v_mov_b32_e32 v15, v9
	v_pk_add_f32 v[2:3], v[2:3], v[12:13]
	v_pk_add_f32 v[2:3], v[2:3], v[14:15]
	s_waitcnt vmcnt(0)
	v_pk_add_f32 v[2:3], v[18:19], v[2:3] neg_lo:[0,1] neg_hi:[0,1]
	buffer_store_dword v2, off, s[0:3], 0 offset:352
	buffer_store_dword v3, off, s[0:3], 0 offset:356
	s_and_saveexec_b64 s[4:5], vcc
	s_cbranch_execz .LBB48_221
; %bb.220:
	buffer_load_dword v2, off, s[0:3], 0 offset:344
	buffer_load_dword v3, off, s[0:3], 0 offset:348
	v_mov_b32_e32 v1, 0
	v_accvgpr_read_b32 v4, a24
	buffer_store_dword v1, off, s[0:3], 0 offset:344
	buffer_store_dword v1, off, s[0:3], 0 offset:348
	s_waitcnt vmcnt(2)
	ds_write_b64 v4, v[2:3]
.LBB48_221:
	s_or_b64 exec, exec, s[4:5]
	s_waitcnt lgkmcnt(0)
	; wave barrier
	s_waitcnt lgkmcnt(0)
	buffer_load_dword v10, off, s[0:3], 0 offset:344
	buffer_load_dword v11, off, s[0:3], 0 offset:348
	;; [unrolled: 1-line block ×12, first 2 shown]
	v_mov_b32_e32 v1, 0
	ds_read_b128 v[2:5], v1 offset:752
	ds_read_b128 v[6:9], v1 offset:768
	ds_read_b64 v[22:23], v1 offset:784
	v_cmp_lt_u32_e32 vcc, 42, v0
	s_waitcnt vmcnt(8)
	v_mov_b32_e32 v24, v13
	s_waitcnt lgkmcnt(2)
	v_pk_mul_f32 v[24:25], v[2:3], v[24:25] op_sel_hi:[1,0]
	v_pk_fma_f32 v[26:27], v[2:3], v[12:13], v[24:25] op_sel:[0,0,1] op_sel_hi:[1,1,0] neg_lo:[0,0,1] neg_hi:[0,0,1]
	v_pk_fma_f32 v[2:3], v[2:3], v[12:13], v[24:25] op_sel:[0,0,1] op_sel_hi:[1,0,0]
	s_waitcnt vmcnt(6)
	v_mov_b32_e32 v12, v15
	v_pk_mul_f32 v[12:13], v[4:5], v[12:13] op_sel_hi:[1,0]
	v_pk_fma_f32 v[24:25], v[4:5], v[14:15], v[12:13] op_sel:[0,0,1] op_sel_hi:[1,1,0] neg_lo:[0,0,1] neg_hi:[0,0,1]
	v_pk_fma_f32 v[4:5], v[4:5], v[14:15], v[12:13] op_sel:[0,0,1] op_sel_hi:[1,0,0]
	s_waitcnt vmcnt(4)
	v_mov_b32_e32 v4, v17
	v_mov_b32_e32 v25, v5
	s_waitcnt lgkmcnt(1)
	v_pk_mul_f32 v[4:5], v[6:7], v[4:5] op_sel_hi:[1,0]
	v_pk_fma_f32 v[12:13], v[6:7], v[16:17], v[4:5] op_sel:[0,0,1] op_sel_hi:[1,1,0] neg_lo:[0,0,1] neg_hi:[0,0,1]
	v_pk_fma_f32 v[4:5], v[6:7], v[16:17], v[4:5] op_sel:[0,0,1] op_sel_hi:[1,0,0]
	s_waitcnt vmcnt(2)
	v_mov_b32_e32 v4, v19
	v_mov_b32_e32 v27, v3
	;; [unrolled: 1-line block ×3, first 2 shown]
	v_pk_mul_f32 v[4:5], v[8:9], v[4:5] op_sel_hi:[1,0]
	v_pk_add_f32 v[2:3], v[26:27], 0 op_sel_hi:[1,0]
	v_pk_fma_f32 v[6:7], v[8:9], v[18:19], v[4:5] op_sel:[0,0,1] op_sel_hi:[1,1,0] neg_lo:[0,0,1] neg_hi:[0,0,1]
	v_pk_fma_f32 v[4:5], v[8:9], v[18:19], v[4:5] op_sel:[0,0,1] op_sel_hi:[1,0,0]
	v_pk_add_f32 v[2:3], v[2:3], v[24:25]
	s_waitcnt vmcnt(0)
	v_mov_b32_e32 v4, v21
	v_pk_add_f32 v[2:3], v[2:3], v[12:13]
	v_mov_b32_e32 v7, v5
	s_waitcnt lgkmcnt(0)
	v_pk_mul_f32 v[4:5], v[22:23], v[4:5] op_sel_hi:[1,0]
	v_pk_add_f32 v[2:3], v[2:3], v[6:7]
	v_pk_fma_f32 v[6:7], v[22:23], v[20:21], v[4:5] op_sel:[0,0,1] op_sel_hi:[1,1,0] neg_lo:[0,0,1] neg_hi:[0,0,1]
	v_pk_fma_f32 v[4:5], v[22:23], v[20:21], v[4:5] op_sel:[0,0,1] op_sel_hi:[1,0,0]
	v_mov_b32_e32 v7, v5
	v_pk_add_f32 v[2:3], v[2:3], v[6:7]
	v_pk_add_f32 v[2:3], v[10:11], v[2:3] neg_lo:[0,1] neg_hi:[0,1]
	buffer_store_dword v2, off, s[0:3], 0 offset:344
	buffer_store_dword v3, off, s[0:3], 0 offset:348
	s_and_saveexec_b64 s[4:5], vcc
	s_cbranch_execz .LBB48_223
; %bb.222:
	buffer_load_dword v2, off, s[0:3], 0 offset:336
	buffer_load_dword v3, off, s[0:3], 0 offset:340
	v_accvgpr_read_b32 v4, a24
	buffer_store_dword v1, off, s[0:3], 0 offset:336
	buffer_store_dword v1, off, s[0:3], 0 offset:340
	s_waitcnt vmcnt(2)
	ds_write_b64 v4, v[2:3]
.LBB48_223:
	s_or_b64 exec, exec, s[4:5]
	s_waitcnt lgkmcnt(0)
	; wave barrier
	s_waitcnt lgkmcnt(0)
	buffer_load_dword v15, off, s[0:3], 0 offset:348
	buffer_load_dword v17, off, s[0:3], 0 offset:356
	;; [unrolled: 1-line block ×14, first 2 shown]
	ds_read2_b64 v[2:5], v1 offset0:93 offset1:94
	ds_read2_b64 v[6:9], v1 offset0:95 offset1:96
	;; [unrolled: 1-line block ×3, first 2 shown]
	v_cmp_lt_u32_e32 vcc, 41, v0
	s_waitcnt vmcnt(13)
	v_mov_b32_e32 v28, v15
	s_waitcnt vmcnt(12)
	v_mov_b32_e32 v30, v17
	s_waitcnt lgkmcnt(2)
	v_pk_mul_f32 v[28:29], v[2:3], v[28:29] op_sel_hi:[1,0]
	s_waitcnt vmcnt(11)
	v_mov_b32_e32 v32, v19
	v_pk_mul_f32 v[30:31], v[4:5], v[30:31] op_sel_hi:[1,0]
	s_waitcnt vmcnt(10)
	v_mov_b32_e32 v34, v21
	s_waitcnt vmcnt(7)
	v_pk_fma_f32 v[40:41], v[2:3], v[14:15], v[28:29] op_sel:[0,0,1] op_sel_hi:[1,1,0] neg_lo:[0,0,1] neg_hi:[0,0,1]
	v_pk_fma_f32 v[2:3], v[2:3], v[14:15], v[28:29] op_sel:[0,0,1] op_sel_hi:[1,0,0]
	s_waitcnt lgkmcnt(1)
	v_pk_mul_f32 v[32:33], v[6:7], v[32:33] op_sel_hi:[1,0]
	s_waitcnt vmcnt(6)
	v_pk_fma_f32 v[14:15], v[4:5], v[16:17], v[30:31] op_sel:[0,0,1] op_sel_hi:[1,1,0] neg_lo:[0,0,1] neg_hi:[0,0,1]
	v_pk_fma_f32 v[4:5], v[4:5], v[16:17], v[30:31] op_sel:[0,0,1] op_sel_hi:[1,0,0]
	v_mov_b32_e32 v41, v3
	v_mov_b32_e32 v36, v23
	v_pk_mul_f32 v[34:35], v[8:9], v[34:35] op_sel_hi:[1,0]
	s_waitcnt vmcnt(5)
	v_pk_fma_f32 v[16:17], v[6:7], v[18:19], v[32:33] op_sel:[0,0,1] op_sel_hi:[1,1,0] neg_lo:[0,0,1] neg_hi:[0,0,1]
	v_pk_fma_f32 v[6:7], v[6:7], v[18:19], v[32:33] op_sel:[0,0,1] op_sel_hi:[1,0,0]
	v_mov_b32_e32 v15, v5
	v_pk_add_f32 v[2:3], v[40:41], 0 op_sel_hi:[1,0]
	v_mov_b32_e32 v38, v25
	s_waitcnt lgkmcnt(0)
	v_pk_mul_f32 v[36:37], v[10:11], v[36:37] op_sel_hi:[1,0]
	s_waitcnt vmcnt(4)
	v_pk_fma_f32 v[18:19], v[8:9], v[20:21], v[34:35] op_sel:[0,0,1] op_sel_hi:[1,1,0] neg_lo:[0,0,1] neg_hi:[0,0,1]
	v_pk_fma_f32 v[8:9], v[8:9], v[20:21], v[34:35] op_sel:[0,0,1] op_sel_hi:[1,0,0]
	v_mov_b32_e32 v17, v7
	v_pk_add_f32 v[2:3], v[2:3], v[14:15]
	v_pk_mul_f32 v[38:39], v[12:13], v[38:39] op_sel_hi:[1,0]
	s_waitcnt vmcnt(3)
	v_pk_fma_f32 v[20:21], v[10:11], v[22:23], v[36:37] op_sel:[0,0,1] op_sel_hi:[1,1,0] neg_lo:[0,0,1] neg_hi:[0,0,1]
	v_pk_fma_f32 v[10:11], v[10:11], v[22:23], v[36:37] op_sel:[0,0,1] op_sel_hi:[1,0,0]
	v_mov_b32_e32 v19, v9
	v_pk_add_f32 v[2:3], v[2:3], v[16:17]
	s_waitcnt vmcnt(2)
	v_pk_fma_f32 v[22:23], v[12:13], v[24:25], v[38:39] op_sel:[0,0,1] op_sel_hi:[1,1,0] neg_lo:[0,0,1] neg_hi:[0,0,1]
	v_pk_fma_f32 v[12:13], v[12:13], v[24:25], v[38:39] op_sel:[0,0,1] op_sel_hi:[1,0,0]
	v_mov_b32_e32 v21, v11
	v_pk_add_f32 v[2:3], v[2:3], v[18:19]
	v_mov_b32_e32 v23, v13
	v_pk_add_f32 v[2:3], v[2:3], v[20:21]
	v_pk_add_f32 v[2:3], v[2:3], v[22:23]
	s_waitcnt vmcnt(0)
	v_pk_add_f32 v[2:3], v[26:27], v[2:3] neg_lo:[0,1] neg_hi:[0,1]
	buffer_store_dword v2, off, s[0:3], 0 offset:336
	buffer_store_dword v3, off, s[0:3], 0 offset:340
	s_and_saveexec_b64 s[4:5], vcc
	s_cbranch_execz .LBB48_225
; %bb.224:
	buffer_load_dword v2, off, s[0:3], 0 offset:328
	buffer_load_dword v3, off, s[0:3], 0 offset:332
	v_mov_b32_e32 v1, 0
	v_accvgpr_read_b32 v4, a24
	buffer_store_dword v1, off, s[0:3], 0 offset:328
	buffer_store_dword v1, off, s[0:3], 0 offset:332
	s_waitcnt vmcnt(2)
	ds_write_b64 v4, v[2:3]
.LBB48_225:
	s_or_b64 exec, exec, s[4:5]
	s_waitcnt lgkmcnt(0)
	; wave barrier
	s_waitcnt lgkmcnt(0)
	buffer_load_dword v15, off, s[0:3], 0 offset:340
	buffer_load_dword v17, off, s[0:3], 0 offset:348
	;; [unrolled: 1-line block ×16, first 2 shown]
	v_mov_b32_e32 v1, 0
	ds_read_b128 v[2:5], v1 offset:736
	ds_read_b128 v[6:9], v1 offset:752
	;; [unrolled: 1-line block ×3, first 2 shown]
	ds_read_b64 v[30:31], v1 offset:784
	v_cmp_lt_u32_e32 vcc, 40, v0
	s_waitcnt vmcnt(15)
	v_mov_b32_e32 v32, v15
	s_waitcnt vmcnt(14)
	v_mov_b32_e32 v34, v17
	s_waitcnt lgkmcnt(3)
	v_pk_mul_f32 v[32:33], v[2:3], v[32:33] op_sel_hi:[1,0]
	s_waitcnt vmcnt(13)
	v_mov_b32_e32 v36, v19
	v_pk_mul_f32 v[34:35], v[4:5], v[34:35] op_sel_hi:[1,0]
	s_waitcnt vmcnt(12)
	v_mov_b32_e32 v38, v21
	s_waitcnt lgkmcnt(2)
	v_pk_mul_f32 v[36:37], v[6:7], v[36:37] op_sel_hi:[1,0]
	s_waitcnt vmcnt(8)
	v_pk_fma_f32 v[46:47], v[2:3], v[14:15], v[32:33] op_sel:[0,0,1] op_sel_hi:[1,1,0] neg_lo:[0,0,1] neg_hi:[0,0,1]
	v_pk_fma_f32 v[2:3], v[2:3], v[14:15], v[32:33] op_sel:[0,0,1] op_sel_hi:[1,0,0]
	s_waitcnt vmcnt(7)
	v_pk_fma_f32 v[14:15], v[4:5], v[16:17], v[34:35] op_sel:[0,0,1] op_sel_hi:[1,1,0] neg_lo:[0,0,1] neg_hi:[0,0,1]
	v_pk_fma_f32 v[4:5], v[4:5], v[16:17], v[34:35] op_sel:[0,0,1] op_sel_hi:[1,0,0]
	v_mov_b32_e32 v47, v3
	v_mov_b32_e32 v40, v23
	v_pk_mul_f32 v[38:39], v[8:9], v[38:39] op_sel_hi:[1,0]
	s_waitcnt vmcnt(6)
	v_pk_fma_f32 v[16:17], v[6:7], v[18:19], v[36:37] op_sel:[0,0,1] op_sel_hi:[1,1,0] neg_lo:[0,0,1] neg_hi:[0,0,1]
	v_pk_fma_f32 v[6:7], v[6:7], v[18:19], v[36:37] op_sel:[0,0,1] op_sel_hi:[1,0,0]
	v_mov_b32_e32 v15, v5
	v_pk_add_f32 v[2:3], v[46:47], 0 op_sel_hi:[1,0]
	v_mov_b32_e32 v42, v25
	s_waitcnt lgkmcnt(1)
	v_pk_mul_f32 v[40:41], v[10:11], v[40:41] op_sel_hi:[1,0]
	s_waitcnt vmcnt(5)
	v_pk_fma_f32 v[18:19], v[8:9], v[20:21], v[38:39] op_sel:[0,0,1] op_sel_hi:[1,1,0] neg_lo:[0,0,1] neg_hi:[0,0,1]
	v_pk_fma_f32 v[8:9], v[8:9], v[20:21], v[38:39] op_sel:[0,0,1] op_sel_hi:[1,0,0]
	v_mov_b32_e32 v17, v7
	v_pk_add_f32 v[2:3], v[2:3], v[14:15]
	v_mov_b32_e32 v44, v27
	v_pk_mul_f32 v[42:43], v[12:13], v[42:43] op_sel_hi:[1,0]
	s_waitcnt vmcnt(4)
	v_pk_fma_f32 v[20:21], v[10:11], v[22:23], v[40:41] op_sel:[0,0,1] op_sel_hi:[1,1,0] neg_lo:[0,0,1] neg_hi:[0,0,1]
	v_pk_fma_f32 v[10:11], v[10:11], v[22:23], v[40:41] op_sel:[0,0,1] op_sel_hi:[1,0,0]
	v_mov_b32_e32 v19, v9
	v_pk_add_f32 v[2:3], v[2:3], v[16:17]
	s_waitcnt lgkmcnt(0)
	v_pk_mul_f32 v[44:45], v[30:31], v[44:45] op_sel_hi:[1,0]
	s_waitcnt vmcnt(3)
	v_pk_fma_f32 v[22:23], v[12:13], v[24:25], v[42:43] op_sel:[0,0,1] op_sel_hi:[1,1,0] neg_lo:[0,0,1] neg_hi:[0,0,1]
	v_pk_fma_f32 v[12:13], v[12:13], v[24:25], v[42:43] op_sel:[0,0,1] op_sel_hi:[1,0,0]
	v_mov_b32_e32 v21, v11
	v_pk_add_f32 v[2:3], v[2:3], v[18:19]
	s_waitcnt vmcnt(2)
	v_pk_fma_f32 v[24:25], v[30:31], v[26:27], v[44:45] op_sel:[0,0,1] op_sel_hi:[1,1,0] neg_lo:[0,0,1] neg_hi:[0,0,1]
	v_pk_fma_f32 v[26:27], v[30:31], v[26:27], v[44:45] op_sel:[0,0,1] op_sel_hi:[1,0,0]
	v_mov_b32_e32 v23, v13
	v_pk_add_f32 v[2:3], v[2:3], v[20:21]
	v_mov_b32_e32 v25, v27
	v_pk_add_f32 v[2:3], v[2:3], v[22:23]
	v_pk_add_f32 v[2:3], v[2:3], v[24:25]
	s_waitcnt vmcnt(0)
	v_pk_add_f32 v[2:3], v[28:29], v[2:3] neg_lo:[0,1] neg_hi:[0,1]
	buffer_store_dword v2, off, s[0:3], 0 offset:328
	buffer_store_dword v3, off, s[0:3], 0 offset:332
	s_and_saveexec_b64 s[4:5], vcc
	s_cbranch_execz .LBB48_227
; %bb.226:
	buffer_load_dword v2, off, s[0:3], 0 offset:320
	buffer_load_dword v3, off, s[0:3], 0 offset:324
	v_accvgpr_read_b32 v4, a24
	buffer_store_dword v1, off, s[0:3], 0 offset:320
	buffer_store_dword v1, off, s[0:3], 0 offset:324
	s_waitcnt vmcnt(2)
	ds_write_b64 v4, v[2:3]
.LBB48_227:
	s_or_b64 exec, exec, s[4:5]
	s_waitcnt lgkmcnt(0)
	; wave barrier
	s_waitcnt lgkmcnt(0)
	buffer_load_dword v19, off, s[0:3], 0 offset:332
	buffer_load_dword v21, off, s[0:3], 0 offset:340
	buffer_load_dword v23, off, s[0:3], 0 offset:348
	buffer_load_dword v25, off, s[0:3], 0 offset:356
	buffer_load_dword v27, off, s[0:3], 0 offset:364
	buffer_load_dword v29, off, s[0:3], 0 offset:372
	buffer_load_dword v31, off, s[0:3], 0 offset:380
	buffer_load_dword v33, off, s[0:3], 0 offset:388
	buffer_load_dword v18, off, s[0:3], 0 offset:328
	buffer_load_dword v20, off, s[0:3], 0 offset:336
	buffer_load_dword v22, off, s[0:3], 0 offset:344
	buffer_load_dword v24, off, s[0:3], 0 offset:352
	buffer_load_dword v26, off, s[0:3], 0 offset:360
	buffer_load_dword v28, off, s[0:3], 0 offset:368
	buffer_load_dword v30, off, s[0:3], 0 offset:376
	buffer_load_dword v32, off, s[0:3], 0 offset:384
	buffer_load_dword v34, off, s[0:3], 0 offset:320
	buffer_load_dword v35, off, s[0:3], 0 offset:324
	ds_read2_b64 v[2:5], v1 offset0:91 offset1:92
	ds_read2_b64 v[6:9], v1 offset0:93 offset1:94
	;; [unrolled: 1-line block ×4, first 2 shown]
	v_cmp_lt_u32_e32 vcc, 39, v0
	s_waitcnt vmcnt(17)
	v_mov_b32_e32 v36, v19
	s_waitcnt vmcnt(16)
	v_mov_b32_e32 v38, v21
	s_waitcnt lgkmcnt(3)
	v_pk_mul_f32 v[36:37], v[2:3], v[36:37] op_sel_hi:[1,0]
	s_waitcnt vmcnt(15)
	v_mov_b32_e32 v40, v23
	v_pk_mul_f32 v[38:39], v[4:5], v[38:39] op_sel_hi:[1,0]
	s_waitcnt vmcnt(14)
	v_mov_b32_e32 v42, v25
	s_waitcnt lgkmcnt(2)
	v_pk_mul_f32 v[40:41], v[6:7], v[40:41] op_sel_hi:[1,0]
	s_waitcnt vmcnt(13)
	v_mov_b32_e32 v44, v27
	s_waitcnt vmcnt(9)
	v_pk_fma_f32 v[52:53], v[2:3], v[18:19], v[36:37] op_sel:[0,0,1] op_sel_hi:[1,1,0] neg_lo:[0,0,1] neg_hi:[0,0,1]
	v_pk_fma_f32 v[2:3], v[2:3], v[18:19], v[36:37] op_sel:[0,0,1] op_sel_hi:[1,0,0]
	s_waitcnt vmcnt(8)
	v_pk_fma_f32 v[18:19], v[4:5], v[20:21], v[38:39] op_sel:[0,0,1] op_sel_hi:[1,1,0] neg_lo:[0,0,1] neg_hi:[0,0,1]
	v_pk_fma_f32 v[4:5], v[4:5], v[20:21], v[38:39] op_sel:[0,0,1] op_sel_hi:[1,0,0]
	v_mov_b32_e32 v53, v3
	v_pk_mul_f32 v[42:43], v[8:9], v[42:43] op_sel_hi:[1,0]
	s_waitcnt vmcnt(7)
	v_pk_fma_f32 v[20:21], v[6:7], v[22:23], v[40:41] op_sel:[0,0,1] op_sel_hi:[1,1,0] neg_lo:[0,0,1] neg_hi:[0,0,1]
	v_pk_fma_f32 v[6:7], v[6:7], v[22:23], v[40:41] op_sel:[0,0,1] op_sel_hi:[1,0,0]
	v_mov_b32_e32 v19, v5
	v_pk_add_f32 v[2:3], v[52:53], 0 op_sel_hi:[1,0]
	v_mov_b32_e32 v46, v29
	s_waitcnt lgkmcnt(1)
	v_pk_mul_f32 v[44:45], v[10:11], v[44:45] op_sel_hi:[1,0]
	s_waitcnt vmcnt(6)
	v_pk_fma_f32 v[22:23], v[8:9], v[24:25], v[42:43] op_sel:[0,0,1] op_sel_hi:[1,1,0] neg_lo:[0,0,1] neg_hi:[0,0,1]
	v_pk_fma_f32 v[8:9], v[8:9], v[24:25], v[42:43] op_sel:[0,0,1] op_sel_hi:[1,0,0]
	v_mov_b32_e32 v21, v7
	v_pk_add_f32 v[2:3], v[2:3], v[18:19]
	v_mov_b32_e32 v48, v31
	v_pk_mul_f32 v[46:47], v[12:13], v[46:47] op_sel_hi:[1,0]
	s_waitcnt vmcnt(5)
	v_pk_fma_f32 v[24:25], v[10:11], v[26:27], v[44:45] op_sel:[0,0,1] op_sel_hi:[1,1,0] neg_lo:[0,0,1] neg_hi:[0,0,1]
	v_pk_fma_f32 v[10:11], v[10:11], v[26:27], v[44:45] op_sel:[0,0,1] op_sel_hi:[1,0,0]
	v_mov_b32_e32 v23, v9
	v_pk_add_f32 v[2:3], v[2:3], v[20:21]
	v_mov_b32_e32 v50, v33
	s_waitcnt lgkmcnt(0)
	v_pk_mul_f32 v[48:49], v[14:15], v[48:49] op_sel_hi:[1,0]
	s_waitcnt vmcnt(4)
	v_pk_fma_f32 v[26:27], v[12:13], v[28:29], v[46:47] op_sel:[0,0,1] op_sel_hi:[1,1,0] neg_lo:[0,0,1] neg_hi:[0,0,1]
	v_pk_fma_f32 v[12:13], v[12:13], v[28:29], v[46:47] op_sel:[0,0,1] op_sel_hi:[1,0,0]
	v_mov_b32_e32 v25, v11
	v_pk_add_f32 v[2:3], v[2:3], v[22:23]
	v_pk_mul_f32 v[50:51], v[16:17], v[50:51] op_sel_hi:[1,0]
	s_waitcnt vmcnt(3)
	v_pk_fma_f32 v[28:29], v[14:15], v[30:31], v[48:49] op_sel:[0,0,1] op_sel_hi:[1,1,0] neg_lo:[0,0,1] neg_hi:[0,0,1]
	v_pk_fma_f32 v[14:15], v[14:15], v[30:31], v[48:49] op_sel:[0,0,1] op_sel_hi:[1,0,0]
	v_mov_b32_e32 v27, v13
	v_pk_add_f32 v[2:3], v[2:3], v[24:25]
	s_waitcnt vmcnt(2)
	v_pk_fma_f32 v[30:31], v[16:17], v[32:33], v[50:51] op_sel:[0,0,1] op_sel_hi:[1,1,0] neg_lo:[0,0,1] neg_hi:[0,0,1]
	v_pk_fma_f32 v[16:17], v[16:17], v[32:33], v[50:51] op_sel:[0,0,1] op_sel_hi:[1,0,0]
	v_mov_b32_e32 v29, v15
	v_pk_add_f32 v[2:3], v[2:3], v[26:27]
	v_mov_b32_e32 v31, v17
	v_pk_add_f32 v[2:3], v[2:3], v[28:29]
	v_pk_add_f32 v[2:3], v[2:3], v[30:31]
	s_waitcnt vmcnt(0)
	v_pk_add_f32 v[2:3], v[34:35], v[2:3] neg_lo:[0,1] neg_hi:[0,1]
	buffer_store_dword v2, off, s[0:3], 0 offset:320
	buffer_store_dword v3, off, s[0:3], 0 offset:324
	s_and_saveexec_b64 s[4:5], vcc
	s_cbranch_execz .LBB48_229
; %bb.228:
	buffer_load_dword v2, off, s[0:3], 0 offset:312
	buffer_load_dword v3, off, s[0:3], 0 offset:316
	v_mov_b32_e32 v1, 0
	v_accvgpr_read_b32 v4, a24
	buffer_store_dword v1, off, s[0:3], 0 offset:312
	buffer_store_dword v1, off, s[0:3], 0 offset:316
	s_waitcnt vmcnt(2)
	ds_write_b64 v4, v[2:3]
.LBB48_229:
	s_or_b64 exec, exec, s[4:5]
	s_waitcnt lgkmcnt(0)
	; wave barrier
	s_waitcnt lgkmcnt(0)
	buffer_load_dword v38, off, s[0:3], 0 offset:324
	buffer_load_dword v19, off, s[0:3], 0 offset:332
	;; [unrolled: 1-line block ×20, first 2 shown]
	v_mov_b32_e32 v1, 0
	ds_read_b128 v[2:5], v1 offset:720
	ds_read_b128 v[6:9], v1 offset:736
	;; [unrolled: 1-line block ×4, first 2 shown]
	ds_read_b64 v[36:37], v1 offset:784
	v_cmp_lt_u32_e32 vcc, 38, v0
	s_waitcnt vmcnt(19) lgkmcnt(4)
	v_mul_f32_e32 v39, v2, v38
	v_mul_f32_e32 v38, v3, v38
	s_waitcnt vmcnt(18)
	v_mov_b32_e32 v40, v19
	s_waitcnt vmcnt(17)
	v_mov_b32_e32 v42, v21
	;; [unrolled: 2-line block ×8, first 2 shown]
	s_waitcnt vmcnt(10)
	v_fmac_f32_e32 v39, v3, v41
	v_fma_f32 v38, v2, v41, -v38
	v_pk_mul_f32 v[2:3], v[4:5], v[40:41] op_sel_hi:[1,0]
	s_waitcnt lgkmcnt(3)
	v_pk_mul_f32 v[40:41], v[6:7], v[42:43] op_sel_hi:[1,0]
	v_pk_mul_f32 v[42:43], v[8:9], v[44:45] op_sel_hi:[1,0]
	s_waitcnt lgkmcnt(2)
	v_pk_mul_f32 v[44:45], v[10:11], v[46:47] op_sel_hi:[1,0]
	;; [unrolled: 3-line block ×4, first 2 shown]
	s_waitcnt vmcnt(9)
	v_pk_fma_f32 v[54:55], v[4:5], v[18:19], v[2:3] op_sel:[0,0,1] op_sel_hi:[1,1,0] neg_lo:[0,0,1] neg_hi:[0,0,1]
	v_pk_fma_f32 v[2:3], v[4:5], v[18:19], v[2:3] op_sel:[0,0,1] op_sel_hi:[1,0,0]
	v_pk_add_f32 v[38:39], v[38:39], 0 op_sel_hi:[1,0]
	s_waitcnt vmcnt(8)
	v_pk_fma_f32 v[4:5], v[6:7], v[20:21], v[40:41] op_sel:[0,0,1] op_sel_hi:[1,1,0] neg_lo:[0,0,1] neg_hi:[0,0,1]
	v_pk_fma_f32 v[6:7], v[6:7], v[20:21], v[40:41] op_sel:[0,0,1] op_sel_hi:[1,0,0]
	v_mov_b32_e32 v55, v3
	s_waitcnt vmcnt(7)
	v_pk_fma_f32 v[18:19], v[8:9], v[22:23], v[42:43] op_sel:[0,0,1] op_sel_hi:[1,1,0] neg_lo:[0,0,1] neg_hi:[0,0,1]
	v_pk_fma_f32 v[8:9], v[8:9], v[22:23], v[42:43] op_sel:[0,0,1] op_sel_hi:[1,0,0]
	v_mov_b32_e32 v5, v7
	v_pk_add_f32 v[2:3], v[38:39], v[54:55]
	s_waitcnt vmcnt(6)
	v_pk_fma_f32 v[20:21], v[10:11], v[24:25], v[44:45] op_sel:[0,0,1] op_sel_hi:[1,1,0] neg_lo:[0,0,1] neg_hi:[0,0,1]
	v_pk_fma_f32 v[10:11], v[10:11], v[24:25], v[44:45] op_sel:[0,0,1] op_sel_hi:[1,0,0]
	v_mov_b32_e32 v19, v9
	v_pk_add_f32 v[2:3], v[2:3], v[4:5]
	;; [unrolled: 5-line block ×5, first 2 shown]
	v_pk_fma_f32 v[28:29], v[36:37], v[32:33], v[52:53] op_sel:[0,0,1] op_sel_hi:[1,1,0] neg_lo:[0,0,1] neg_hi:[0,0,1]
	v_pk_fma_f32 v[30:31], v[36:37], v[32:33], v[52:53] op_sel:[0,0,1] op_sel_hi:[1,0,0]
	v_mov_b32_e32 v27, v17
	v_pk_add_f32 v[2:3], v[2:3], v[24:25]
	v_mov_b32_e32 v29, v31
	v_pk_add_f32 v[2:3], v[2:3], v[26:27]
	v_pk_add_f32 v[2:3], v[2:3], v[28:29]
	s_waitcnt vmcnt(0)
	v_pk_add_f32 v[2:3], v[34:35], v[2:3] neg_lo:[0,1] neg_hi:[0,1]
	buffer_store_dword v2, off, s[0:3], 0 offset:312
	buffer_store_dword v3, off, s[0:3], 0 offset:316
	s_and_saveexec_b64 s[4:5], vcc
	s_cbranch_execz .LBB48_231
; %bb.230:
	buffer_load_dword v2, off, s[0:3], 0 offset:304
	buffer_load_dword v3, off, s[0:3], 0 offset:308
	v_accvgpr_read_b32 v4, a24
	buffer_store_dword v1, off, s[0:3], 0 offset:304
	buffer_store_dword v1, off, s[0:3], 0 offset:308
	s_waitcnt vmcnt(2)
	ds_write_b64 v4, v[2:3]
.LBB48_231:
	s_or_b64 exec, exec, s[4:5]
	s_waitcnt lgkmcnt(0)
	; wave barrier
	s_waitcnt lgkmcnt(0)
	buffer_load_dword v40, off, s[0:3], 0 offset:316
	buffer_load_dword v42, off, s[0:3], 0 offset:324
	;; [unrolled: 1-line block ×22, first 2 shown]
	ds_read2_b64 v[2:5], v1 offset0:89 offset1:90
	ds_read2_b64 v[6:9], v1 offset0:91 offset1:92
	;; [unrolled: 1-line block ×5, first 2 shown]
	v_cmp_lt_u32_e32 vcc, 37, v0
	s_waitcnt vmcnt(21) lgkmcnt(4)
	v_mul_f32_e32 v41, v2, v40
	v_mul_f32_e32 v1, v3, v40
	s_waitcnt vmcnt(19)
	v_mov_b32_e32 v44, v23
	v_mul_f32_e32 v43, v4, v42
	v_mul_f32_e32 v42, v5, v42
	s_waitcnt vmcnt(18)
	v_mov_b32_e32 v46, v25
	s_waitcnt vmcnt(17)
	v_mov_b32_e32 v48, v27
	;; [unrolled: 2-line block ×6, first 2 shown]
	s_waitcnt vmcnt(11)
	v_fmac_f32_e32 v41, v3, v45
	v_fma_f32 v40, v2, v45, -v1
	s_waitcnt lgkmcnt(3)
	v_pk_mul_f32 v[2:3], v[6:7], v[44:45] op_sel_hi:[1,0]
	s_waitcnt vmcnt(10)
	v_fmac_f32_e32 v43, v5, v47
	v_fma_f32 v42, v4, v47, -v42
	v_pk_mul_f32 v[4:5], v[8:9], v[46:47] op_sel_hi:[1,0]
	s_waitcnt lgkmcnt(2)
	v_pk_mul_f32 v[44:45], v[10:11], v[48:49] op_sel_hi:[1,0]
	v_pk_mul_f32 v[46:47], v[12:13], v[50:51] op_sel_hi:[1,0]
	s_waitcnt lgkmcnt(1)
	v_pk_mul_f32 v[48:49], v[14:15], v[52:53] op_sel_hi:[1,0]
	;; [unrolled: 3-line block ×3, first 2 shown]
	v_pk_add_f32 v[40:41], v[40:41], 0 op_sel_hi:[1,0]
	s_waitcnt vmcnt(9)
	v_pk_fma_f32 v[56:57], v[6:7], v[22:23], v[2:3] op_sel:[0,0,1] op_sel_hi:[1,1,0] neg_lo:[0,0,1] neg_hi:[0,0,1]
	v_pk_fma_f32 v[2:3], v[6:7], v[22:23], v[2:3] op_sel:[0,0,1] op_sel_hi:[1,0,0]
	s_waitcnt vmcnt(8)
	v_pk_fma_f32 v[6:7], v[8:9], v[24:25], v[4:5] op_sel:[0,0,1] op_sel_hi:[1,1,0] neg_lo:[0,0,1] neg_hi:[0,0,1]
	v_pk_fma_f32 v[4:5], v[8:9], v[24:25], v[4:5] op_sel:[0,0,1] op_sel_hi:[1,0,0]
	;; [unrolled: 3-line block ×4, first 2 shown]
	v_pk_add_f32 v[32:33], v[40:41], v[42:43]
	v_mov_b32_e32 v57, v3
	v_mov_b32_e32 v7, v5
	v_pk_add_f32 v[2:3], v[32:33], v[56:57]
	v_pk_fma_f32 v[22:23], v[12:13], v[28:29], v[46:47] op_sel:[0,0,1] op_sel_hi:[1,1,0] neg_lo:[0,0,1] neg_hi:[0,0,1]
	v_pk_fma_f32 v[12:13], v[12:13], v[28:29], v[46:47] op_sel:[0,0,1] op_sel_hi:[1,0,0]
	v_mov_b32_e32 v9, v11
	v_pk_add_f32 v[2:3], v[2:3], v[6:7]
	v_pk_fma_f32 v[24:25], v[14:15], v[30:31], v[48:49] op_sel:[0,0,1] op_sel_hi:[1,1,0] neg_lo:[0,0,1] neg_hi:[0,0,1]
	v_pk_fma_f32 v[14:15], v[14:15], v[30:31], v[48:49] op_sel:[0,0,1] op_sel_hi:[1,0,0]
	v_mov_b32_e32 v23, v13
	v_pk_add_f32 v[2:3], v[2:3], v[8:9]
	v_mov_b32_e32 v58, v37
	v_mov_b32_e32 v25, v15
	v_pk_add_f32 v[2:3], v[2:3], v[22:23]
	v_pk_mul_f32 v[54:55], v[20:21], v[58:59] op_sel_hi:[1,0]
	v_pk_fma_f32 v[28:29], v[18:19], v[34:35], v[52:53] op_sel:[0,0,1] op_sel_hi:[1,1,0] neg_lo:[0,0,1] neg_hi:[0,0,1]
	v_pk_fma_f32 v[18:19], v[18:19], v[34:35], v[52:53] op_sel:[0,0,1] op_sel_hi:[1,0,0]
	v_mov_b32_e32 v27, v17
	v_pk_add_f32 v[2:3], v[2:3], v[24:25]
	v_pk_fma_f32 v[30:31], v[20:21], v[36:37], v[54:55] op_sel:[0,0,1] op_sel_hi:[1,1,0] neg_lo:[0,0,1] neg_hi:[0,0,1]
	v_pk_fma_f32 v[20:21], v[20:21], v[36:37], v[54:55] op_sel:[0,0,1] op_sel_hi:[1,0,0]
	v_mov_b32_e32 v29, v19
	v_pk_add_f32 v[2:3], v[2:3], v[26:27]
	v_mov_b32_e32 v31, v21
	v_pk_add_f32 v[2:3], v[2:3], v[28:29]
	v_pk_add_f32 v[2:3], v[2:3], v[30:31]
	s_waitcnt vmcnt(0)
	v_pk_add_f32 v[2:3], v[38:39], v[2:3] neg_lo:[0,1] neg_hi:[0,1]
	buffer_store_dword v2, off, s[0:3], 0 offset:304
	buffer_store_dword v3, off, s[0:3], 0 offset:308
	s_and_saveexec_b64 s[4:5], vcc
	s_cbranch_execz .LBB48_233
; %bb.232:
	buffer_load_dword v2, off, s[0:3], 0 offset:296
	buffer_load_dword v3, off, s[0:3], 0 offset:300
	v_mov_b32_e32 v1, 0
	v_accvgpr_read_b32 v4, a24
	buffer_store_dword v1, off, s[0:3], 0 offset:296
	buffer_store_dword v1, off, s[0:3], 0 offset:300
	s_waitcnt vmcnt(2)
	ds_write_b64 v4, v[2:3]
.LBB48_233:
	s_or_b64 exec, exec, s[4:5]
	s_waitcnt lgkmcnt(0)
	; wave barrier
	s_waitcnt lgkmcnt(0)
	buffer_load_dword v42, off, s[0:3], 0 offset:308
	buffer_load_dword v44, off, s[0:3], 0 offset:316
	;; [unrolled: 1-line block ×24, first 2 shown]
	v_mov_b32_e32 v1, 0
	ds_read_b128 v[2:5], v1 offset:704
	ds_read_b128 v[6:9], v1 offset:720
	ds_read_b128 v[10:13], v1 offset:736
	ds_read_b128 v[14:17], v1 offset:752
	ds_read_b128 v[18:21], v1 offset:768
	ds_read_b64 v[40:41], v1 offset:784
	v_cmp_lt_u32_e32 vcc, 36, v0
	s_waitcnt vmcnt(23) lgkmcnt(5)
	v_mul_f32_e32 v55, v2, v42
	v_mul_f32_e32 v42, v3, v42
	s_waitcnt vmcnt(22)
	v_mul_f32_e32 v43, v4, v44
	s_waitcnt vmcnt(21) lgkmcnt(4)
	v_mul_f32_e32 v45, v6, v46
	v_mul_f32_e32 v44, v5, v44
	;; [unrolled: 1-line block ×3, first 2 shown]
	s_waitcnt vmcnt(20)
	v_mov_b32_e32 v46, v23
	s_waitcnt vmcnt(19)
	v_mov_b32_e32 v48, v25
	;; [unrolled: 2-line block ×5, first 2 shown]
	s_waitcnt vmcnt(12)
	v_fmac_f32_e32 v55, v3, v47
	v_fma_f32 v57, v2, v47, -v42
	v_mov_b32_e32 v56, v33
	s_waitcnt vmcnt(11)
	v_fmac_f32_e32 v43, v5, v49
	s_waitcnt vmcnt(10)
	v_fmac_f32_e32 v45, v7, v51
	v_fma_f32 v42, v4, v49, -v44
	v_fma_f32 v44, v6, v51, -v53
	v_pk_mul_f32 v[2:3], v[8:9], v[46:47] op_sel_hi:[1,0]
	s_waitcnt lgkmcnt(3)
	v_pk_mul_f32 v[4:5], v[10:11], v[48:49] op_sel_hi:[1,0]
	v_pk_mul_f32 v[6:7], v[12:13], v[50:51] op_sel_hi:[1,0]
	s_waitcnt lgkmcnt(2)
	v_pk_mul_f32 v[46:47], v[14:15], v[52:53] op_sel_hi:[1,0]
	v_pk_mul_f32 v[48:49], v[16:17], v[54:55] op_sel_hi:[1,0]
	v_add_f32_e32 v55, 0, v55
	v_add_f32_e32 v54, 0, v57
	s_waitcnt lgkmcnt(1)
	v_pk_mul_f32 v[50:51], v[18:19], v[56:57] op_sel_hi:[1,0]
	s_waitcnt vmcnt(9)
	v_pk_fma_f32 v[56:57], v[8:9], v[22:23], v[2:3] op_sel:[0,0,1] op_sel_hi:[1,1,0] neg_lo:[0,0,1] neg_hi:[0,0,1]
	v_pk_fma_f32 v[2:3], v[8:9], v[22:23], v[2:3] op_sel:[0,0,1] op_sel_hi:[1,0,0]
	s_waitcnt vmcnt(8)
	v_pk_fma_f32 v[8:9], v[10:11], v[24:25], v[4:5] op_sel:[0,0,1] op_sel_hi:[1,1,0] neg_lo:[0,0,1] neg_hi:[0,0,1]
	v_pk_fma_f32 v[4:5], v[10:11], v[24:25], v[4:5] op_sel:[0,0,1] op_sel_hi:[1,0,0]
	;; [unrolled: 3-line block ×4, first 2 shown]
	v_pk_add_f32 v[28:29], v[54:55], v[42:43]
	v_mov_b32_e32 v57, v3
	v_pk_add_f32 v[2:3], v[28:29], v[44:45]
	v_mov_b32_e32 v9, v5
	;; [unrolled: 2-line block ×4, first 2 shown]
	s_waitcnt vmcnt(2)
	v_pk_fma_f32 v[22:23], v[16:17], v[30:31], v[48:49] op_sel:[0,0,1] op_sel_hi:[1,1,0] neg_lo:[0,0,1] neg_hi:[0,0,1]
	v_pk_fma_f32 v[16:17], v[16:17], v[30:31], v[48:49] op_sel:[0,0,1] op_sel_hi:[1,0,0]
	v_mov_b32_e32 v13, v15
	v_pk_add_f32 v[2:3], v[2:3], v[10:11]
	v_mov_b32_e32 v60, v37
	v_pk_mul_f32 v[52:53], v[20:21], v[58:59] op_sel_hi:[1,0]
	v_pk_fma_f32 v[24:25], v[18:19], v[32:33], v[50:51] op_sel:[0,0,1] op_sel_hi:[1,1,0] neg_lo:[0,0,1] neg_hi:[0,0,1]
	v_pk_fma_f32 v[18:19], v[18:19], v[32:33], v[50:51] op_sel:[0,0,1] op_sel_hi:[1,0,0]
	v_mov_b32_e32 v23, v17
	v_pk_add_f32 v[2:3], v[2:3], v[12:13]
	v_pk_fma_f32 v[26:27], v[20:21], v[34:35], v[52:53] op_sel:[0,0,1] op_sel_hi:[1,1,0] neg_lo:[0,0,1] neg_hi:[0,0,1]
	v_pk_fma_f32 v[20:21], v[20:21], v[34:35], v[52:53] op_sel:[0,0,1] op_sel_hi:[1,0,0]
	v_mov_b32_e32 v25, v19
	v_pk_add_f32 v[2:3], v[2:3], v[22:23]
	s_waitcnt lgkmcnt(0)
	v_pk_mul_f32 v[4:5], v[40:41], v[60:61] op_sel_hi:[1,0]
	v_mov_b32_e32 v27, v21
	v_pk_add_f32 v[2:3], v[2:3], v[24:25]
	v_pk_fma_f32 v[6:7], v[40:41], v[36:37], v[4:5] op_sel:[0,0,1] op_sel_hi:[1,1,0] neg_lo:[0,0,1] neg_hi:[0,0,1]
	v_pk_fma_f32 v[4:5], v[40:41], v[36:37], v[4:5] op_sel:[0,0,1] op_sel_hi:[1,0,0]
	v_pk_add_f32 v[2:3], v[2:3], v[26:27]
	v_mov_b32_e32 v7, v5
	v_pk_add_f32 v[2:3], v[2:3], v[6:7]
	s_waitcnt vmcnt(0)
	v_pk_add_f32 v[2:3], v[38:39], v[2:3] neg_lo:[0,1] neg_hi:[0,1]
	buffer_store_dword v3, off, s[0:3], 0 offset:300
	buffer_store_dword v2, off, s[0:3], 0 offset:296
	s_and_saveexec_b64 s[4:5], vcc
	s_cbranch_execz .LBB48_235
; %bb.234:
	buffer_load_dword v2, off, s[0:3], 0 offset:288
	buffer_load_dword v3, off, s[0:3], 0 offset:292
	v_accvgpr_read_b32 v4, a24
	buffer_store_dword v1, off, s[0:3], 0 offset:288
	buffer_store_dword v1, off, s[0:3], 0 offset:292
	s_waitcnt vmcnt(2)
	ds_write_b64 v4, v[2:3]
.LBB48_235:
	s_or_b64 exec, exec, s[4:5]
	s_waitcnt lgkmcnt(0)
	; wave barrier
	s_waitcnt lgkmcnt(0)
	buffer_load_dword v44, off, s[0:3], 0 offset:300
	buffer_load_dword v46, off, s[0:3], 0 offset:308
	;; [unrolled: 1-line block ×26, first 2 shown]
	ds_read2_b64 v[2:5], v1 offset0:87 offset1:88
	ds_read2_b64 v[6:9], v1 offset0:89 offset1:90
	;; [unrolled: 1-line block ×6, first 2 shown]
	v_cmp_lt_u32_e32 vcc, 35, v0
	s_waitcnt vmcnt(25) lgkmcnt(5)
	v_mul_f32_e32 v1, v2, v44
	v_mul_f32_e32 v44, v3, v44
	s_waitcnt vmcnt(24)
	v_mul_f32_e32 v59, v4, v46
	s_waitcnt vmcnt(23) lgkmcnt(4)
	v_mul_f32_e32 v45, v6, v48
	s_waitcnt vmcnt(22)
	v_mul_f32_e32 v47, v8, v49
	v_mul_f32_e32 v46, v5, v46
	;; [unrolled: 1-line block ×4, first 2 shown]
	s_waitcnt vmcnt(21)
	v_mov_b32_e32 v48, v27
	s_waitcnt vmcnt(20)
	v_mov_b32_e32 v50, v29
	;; [unrolled: 2-line block ×3, first 2 shown]
	s_waitcnt vmcnt(15)
	v_fmac_f32_e32 v1, v3, v51
	v_fma_f32 v61, v2, v51, -v44
	v_mov_b32_e32 v52, v31
	s_waitcnt vmcnt(14)
	v_fmac_f32_e32 v59, v5, v53
	s_waitcnt vmcnt(12)
	v_fmac_f32_e32 v47, v9, v57
	v_fma_f32 v62, v4, v53, -v46
	v_fma_f32 v46, v8, v57, -v49
	s_waitcnt lgkmcnt(3)
	v_pk_mul_f32 v[2:3], v[10:11], v[48:49] op_sel_hi:[1,0]
	v_pk_mul_f32 v[4:5], v[12:13], v[50:51] op_sel_hi:[1,0]
	s_waitcnt lgkmcnt(2)
	v_pk_mul_f32 v[8:9], v[16:17], v[54:55] op_sel_hi:[1,0]
	v_add_f32_e32 v1, 0, v1
	v_add_f32_e32 v54, 0, v61
	v_fmac_f32_e32 v45, v7, v55
	v_fma_f32 v44, v6, v55, -v60
	v_pk_mul_f32 v[6:7], v[14:15], v[52:53] op_sel_hi:[1,0]
	s_waitcnt vmcnt(11)
	v_pk_fma_f32 v[52:53], v[10:11], v[26:27], v[2:3] op_sel:[0,0,1] op_sel_hi:[1,1,0] neg_lo:[0,0,1] neg_hi:[0,0,1]
	v_pk_fma_f32 v[2:3], v[10:11], v[26:27], v[2:3] op_sel:[0,0,1] op_sel_hi:[1,0,0]
	s_waitcnt vmcnt(10)
	v_pk_fma_f32 v[10:11], v[12:13], v[28:29], v[4:5] op_sel:[0,0,1] op_sel_hi:[1,1,0] neg_lo:[0,0,1] neg_hi:[0,0,1]
	v_pk_fma_f32 v[4:5], v[12:13], v[28:29], v[4:5] op_sel:[0,0,1] op_sel_hi:[1,0,0]
	v_add_f32_e32 v29, v1, v59
	v_add_f32_e32 v28, v54, v62
	v_mov_b32_e32 v53, v3
	v_pk_add_f32 v[2:3], v[28:29], v[44:45]
	v_pk_add_f32 v[2:3], v[2:3], v[46:47]
	v_mov_b32_e32 v56, v35
	s_waitcnt vmcnt(9)
	v_pk_fma_f32 v[12:13], v[14:15], v[30:31], v[6:7] op_sel:[0,0,1] op_sel_hi:[1,1,0] neg_lo:[0,0,1] neg_hi:[0,0,1]
	v_pk_fma_f32 v[6:7], v[14:15], v[30:31], v[6:7] op_sel:[0,0,1] op_sel_hi:[1,0,0]
	v_mov_b32_e32 v11, v5
	v_pk_add_f32 v[2:3], v[2:3], v[52:53]
	v_mov_b32_e32 v58, v37
	s_waitcnt lgkmcnt(1)
	v_pk_mul_f32 v[48:49], v[18:19], v[56:57] op_sel_hi:[1,0]
	s_waitcnt vmcnt(5)
	v_pk_fma_f32 v[14:15], v[16:17], v[32:33], v[8:9] op_sel:[0,0,1] op_sel_hi:[1,1,0] neg_lo:[0,0,1] neg_hi:[0,0,1]
	v_pk_fma_f32 v[8:9], v[16:17], v[32:33], v[8:9] op_sel:[0,0,1] op_sel_hi:[1,0,0]
	v_mov_b32_e32 v13, v7
	v_pk_add_f32 v[2:3], v[2:3], v[10:11]
	s_waitcnt vmcnt(4)
	v_mov_b32_e32 v4, v39
	v_pk_mul_f32 v[50:51], v[20:21], v[58:59] op_sel_hi:[1,0]
	v_pk_fma_f32 v[16:17], v[18:19], v[34:35], v[48:49] op_sel:[0,0,1] op_sel_hi:[1,1,0] neg_lo:[0,0,1] neg_hi:[0,0,1]
	v_pk_fma_f32 v[18:19], v[18:19], v[34:35], v[48:49] op_sel:[0,0,1] op_sel_hi:[1,0,0]
	v_mov_b32_e32 v15, v9
	v_pk_add_f32 v[2:3], v[2:3], v[12:13]
	s_waitcnt lgkmcnt(0)
	v_pk_mul_f32 v[4:5], v[22:23], v[4:5] op_sel_hi:[1,0]
	v_pk_fma_f32 v[26:27], v[20:21], v[36:37], v[50:51] op_sel:[0,0,1] op_sel_hi:[1,1,0] neg_lo:[0,0,1] neg_hi:[0,0,1]
	v_pk_fma_f32 v[20:21], v[20:21], v[36:37], v[50:51] op_sel:[0,0,1] op_sel_hi:[1,0,0]
	v_mov_b32_e32 v17, v19
	v_pk_add_f32 v[2:3], v[2:3], v[14:15]
	v_pk_fma_f32 v[6:7], v[22:23], v[38:39], v[4:5] op_sel:[0,0,1] op_sel_hi:[1,1,0] neg_lo:[0,0,1] neg_hi:[0,0,1]
	v_pk_fma_f32 v[4:5], v[22:23], v[38:39], v[4:5] op_sel:[0,0,1] op_sel_hi:[1,0,0]
	v_mov_b32_e32 v27, v21
	v_pk_add_f32 v[2:3], v[2:3], v[16:17]
	s_waitcnt vmcnt(3)
	v_mov_b32_e32 v4, v41
	v_pk_add_f32 v[2:3], v[2:3], v[26:27]
	v_mov_b32_e32 v7, v5
	v_pk_mul_f32 v[4:5], v[24:25], v[4:5] op_sel_hi:[1,0]
	v_pk_add_f32 v[2:3], v[2:3], v[6:7]
	s_waitcnt vmcnt(2)
	v_pk_fma_f32 v[6:7], v[24:25], v[40:41], v[4:5] op_sel:[0,0,1] op_sel_hi:[1,1,0] neg_lo:[0,0,1] neg_hi:[0,0,1]
	v_pk_fma_f32 v[4:5], v[24:25], v[40:41], v[4:5] op_sel:[0,0,1] op_sel_hi:[1,0,0]
	v_mov_b32_e32 v7, v5
	v_pk_add_f32 v[2:3], v[2:3], v[6:7]
	s_waitcnt vmcnt(0)
	v_pk_add_f32 v[2:3], v[42:43], v[2:3] neg_lo:[0,1] neg_hi:[0,1]
	buffer_store_dword v3, off, s[0:3], 0 offset:292
	buffer_store_dword v2, off, s[0:3], 0 offset:288
	s_and_saveexec_b64 s[4:5], vcc
	s_cbranch_execz .LBB48_237
; %bb.236:
	buffer_load_dword v2, off, s[0:3], 0 offset:280
	buffer_load_dword v3, off, s[0:3], 0 offset:284
	v_mov_b32_e32 v1, 0
	v_accvgpr_read_b32 v4, a24
	buffer_store_dword v1, off, s[0:3], 0 offset:280
	buffer_store_dword v1, off, s[0:3], 0 offset:284
	s_waitcnt vmcnt(2)
	ds_write_b64 v4, v[2:3]
.LBB48_237:
	s_or_b64 exec, exec, s[4:5]
	s_waitcnt lgkmcnt(0)
	; wave barrier
	s_waitcnt lgkmcnt(0)
	buffer_load_dword v46, off, s[0:3], 0 offset:292
	buffer_load_dword v48, off, s[0:3], 0 offset:300
	;; [unrolled: 1-line block ×28, first 2 shown]
	v_mov_b32_e32 v1, 0
	ds_read_b128 v[2:5], v1 offset:688
	ds_read_b128 v[6:9], v1 offset:704
	;; [unrolled: 1-line block ×6, first 2 shown]
	ds_read_b64 v[44:45], v1 offset:784
	v_cmp_lt_u32_e32 vcc, 34, v0
	s_waitcnt vmcnt(27) lgkmcnt(6)
	v_mul_f32_e32 v61, v2, v46
	s_waitcnt vmcnt(26)
	v_mul_f32_e32 v62, v4, v48
	v_mul_f32_e32 v46, v3, v46
	;; [unrolled: 1-line block ×3, first 2 shown]
	s_waitcnt vmcnt(23) lgkmcnt(4)
	v_mul_f32_e32 v49, v10, v52
	v_mul_f32_e32 v63, v6, v50
	;; [unrolled: 1-line block ×6, first 2 shown]
	s_waitcnt vmcnt(22)
	v_mov_b32_e32 v50, v27
	s_waitcnt vmcnt(21)
	v_mov_b32_e32 v52, v29
	s_waitcnt vmcnt(17)
	v_fmac_f32_e32 v61, v3, v53
	s_waitcnt vmcnt(16)
	v_fmac_f32_e32 v62, v5, v55
	;; [unrolled: 2-line block ×3, first 2 shown]
	v_fma_f32 v11, v2, v53, -v46
	v_fma_f32 v53, v4, v55, -v48
	v_pk_mul_f32 v[2:3], v[12:13], v[50:51] op_sel_hi:[1,0]
	s_waitcnt lgkmcnt(3)
	v_pk_mul_f32 v[4:5], v[14:15], v[52:53] op_sel_hi:[1,0]
	v_fma_f32 v46, v8, v59, -v51
	v_fma_f32 v48, v10, v60, -v65
	v_add_f32_e32 v50, 0, v61
	v_add_f32_e32 v51, 0, v11
	s_waitcnt vmcnt(12)
	v_pk_fma_f32 v[10:11], v[12:13], v[26:27], v[2:3] op_sel:[0,0,1] op_sel_hi:[1,1,0] neg_lo:[0,0,1] neg_hi:[0,0,1]
	v_pk_fma_f32 v[2:3], v[12:13], v[26:27], v[2:3] op_sel:[0,0,1] op_sel_hi:[1,0,0]
	s_waitcnt vmcnt(11)
	v_pk_fma_f32 v[12:13], v[14:15], v[28:29], v[4:5] op_sel:[0,0,1] op_sel_hi:[1,1,0] neg_lo:[0,0,1] neg_hi:[0,0,1]
	v_pk_fma_f32 v[4:5], v[14:15], v[28:29], v[4:5] op_sel:[0,0,1] op_sel_hi:[1,0,0]
	v_fmac_f32_e32 v63, v7, v57
	v_fma_f32 v55, v6, v57, -v64
	v_add_f32_e32 v2, v50, v62
	v_add_f32_e32 v4, v51, v53
	v_fmac_f32_e32 v47, v9, v59
	v_mov_b32_e32 v11, v3
	v_add_f32_e32 v3, v2, v63
	v_add_f32_e32 v2, v4, v55
	v_mov_b32_e32 v54, v31
	v_pk_add_f32 v[2:3], v[2:3], v[46:47]
	v_mov_b32_e32 v56, v33
	v_mov_b32_e32 v58, v35
	v_pk_mul_f32 v[6:7], v[16:17], v[54:55] op_sel_hi:[1,0]
	v_pk_add_f32 v[2:3], v[2:3], v[48:49]
	s_waitcnt lgkmcnt(2)
	v_pk_mul_f32 v[8:9], v[18:19], v[56:57] op_sel_hi:[1,0]
	s_waitcnt vmcnt(7)
	v_pk_fma_f32 v[14:15], v[16:17], v[30:31], v[6:7] op_sel:[0,0,1] op_sel_hi:[1,1,0] neg_lo:[0,0,1] neg_hi:[0,0,1]
	v_pk_fma_f32 v[6:7], v[16:17], v[30:31], v[6:7] op_sel:[0,0,1] op_sel_hi:[1,0,0]
	v_mov_b32_e32 v13, v5
	v_pk_add_f32 v[2:3], v[2:3], v[10:11]
	v_pk_mul_f32 v[4:5], v[20:21], v[58:59] op_sel_hi:[1,0]
	v_pk_fma_f32 v[16:17], v[18:19], v[32:33], v[8:9] op_sel:[0,0,1] op_sel_hi:[1,1,0] neg_lo:[0,0,1] neg_hi:[0,0,1]
	v_pk_fma_f32 v[8:9], v[18:19], v[32:33], v[8:9] op_sel:[0,0,1] op_sel_hi:[1,0,0]
	v_mov_b32_e32 v15, v7
	v_pk_add_f32 v[2:3], v[2:3], v[12:13]
	v_pk_fma_f32 v[6:7], v[20:21], v[34:35], v[4:5] op_sel:[0,0,1] op_sel_hi:[1,1,0] neg_lo:[0,0,1] neg_hi:[0,0,1]
	v_pk_fma_f32 v[4:5], v[20:21], v[34:35], v[4:5] op_sel:[0,0,1] op_sel_hi:[1,0,0]
	v_mov_b32_e32 v17, v9
	v_pk_add_f32 v[2:3], v[2:3], v[14:15]
	s_waitcnt vmcnt(6)
	v_mov_b32_e32 v4, v37
	v_pk_add_f32 v[2:3], v[2:3], v[16:17]
	v_mov_b32_e32 v7, v5
	s_waitcnt lgkmcnt(1)
	v_pk_mul_f32 v[4:5], v[22:23], v[4:5] op_sel_hi:[1,0]
	v_pk_add_f32 v[2:3], v[2:3], v[6:7]
	v_pk_fma_f32 v[6:7], v[22:23], v[36:37], v[4:5] op_sel:[0,0,1] op_sel_hi:[1,1,0] neg_lo:[0,0,1] neg_hi:[0,0,1]
	v_pk_fma_f32 v[4:5], v[22:23], v[36:37], v[4:5] op_sel:[0,0,1] op_sel_hi:[1,0,0]
	s_waitcnt vmcnt(5)
	v_mov_b32_e32 v4, v39
	v_mov_b32_e32 v7, v5
	v_pk_mul_f32 v[4:5], v[24:25], v[4:5] op_sel_hi:[1,0]
	v_pk_add_f32 v[2:3], v[2:3], v[6:7]
	s_waitcnt vmcnt(3)
	v_pk_fma_f32 v[6:7], v[24:25], v[38:39], v[4:5] op_sel:[0,0,1] op_sel_hi:[1,1,0] neg_lo:[0,0,1] neg_hi:[0,0,1]
	v_pk_fma_f32 v[4:5], v[24:25], v[38:39], v[4:5] op_sel:[0,0,1] op_sel_hi:[1,0,0]
	s_waitcnt vmcnt(2)
	v_mov_b32_e32 v4, v41
	v_mov_b32_e32 v7, v5
	s_waitcnt lgkmcnt(0)
	v_pk_mul_f32 v[4:5], v[44:45], v[4:5] op_sel_hi:[1,0]
	v_pk_add_f32 v[2:3], v[2:3], v[6:7]
	v_pk_fma_f32 v[6:7], v[44:45], v[40:41], v[4:5] op_sel:[0,0,1] op_sel_hi:[1,1,0] neg_lo:[0,0,1] neg_hi:[0,0,1]
	v_pk_fma_f32 v[4:5], v[44:45], v[40:41], v[4:5] op_sel:[0,0,1] op_sel_hi:[1,0,0]
	v_mov_b32_e32 v7, v5
	v_pk_add_f32 v[2:3], v[2:3], v[6:7]
	s_waitcnt vmcnt(0)
	v_pk_add_f32 v[2:3], v[42:43], v[2:3] neg_lo:[0,1] neg_hi:[0,1]
	buffer_store_dword v3, off, s[0:3], 0 offset:284
	buffer_store_dword v2, off, s[0:3], 0 offset:280
	s_and_saveexec_b64 s[4:5], vcc
	s_cbranch_execz .LBB48_239
; %bb.238:
	buffer_load_dword v2, off, s[0:3], 0 offset:272
	buffer_load_dword v3, off, s[0:3], 0 offset:276
	v_accvgpr_read_b32 v4, a24
	buffer_store_dword v1, off, s[0:3], 0 offset:272
	buffer_store_dword v1, off, s[0:3], 0 offset:276
	s_waitcnt vmcnt(2)
	ds_write_b64 v4, v[2:3]
.LBB48_239:
	s_or_b64 exec, exec, s[4:5]
	s_waitcnt lgkmcnt(0)
	; wave barrier
	s_waitcnt lgkmcnt(0)
	buffer_load_dword v48, off, s[0:3], 0 offset:284
	buffer_load_dword v50, off, s[0:3], 0 offset:292
	buffer_load_dword v52, off, s[0:3], 0 offset:300
	buffer_load_dword v53, off, s[0:3], 0 offset:308
	buffer_load_dword v54, off, s[0:3], 0 offset:316
	buffer_load_dword v55, off, s[0:3], 0 offset:324
	buffer_load_dword v31, off, s[0:3], 0 offset:332
	buffer_load_dword v33, off, s[0:3], 0 offset:340
	buffer_load_dword v35, off, s[0:3], 0 offset:348
	buffer_load_dword v57, off, s[0:3], 0 offset:280
	buffer_load_dword v58, off, s[0:3], 0 offset:288
	buffer_load_dword v59, off, s[0:3], 0 offset:296
	buffer_load_dword v60, off, s[0:3], 0 offset:304
	buffer_load_dword v61, off, s[0:3], 0 offset:312
	buffer_load_dword v62, off, s[0:3], 0 offset:320
	buffer_load_dword v30, off, s[0:3], 0 offset:328
	buffer_load_dword v36, off, s[0:3], 0 offset:360
	buffer_load_dword v38, off, s[0:3], 0 offset:352
	buffer_load_dword v34, off, s[0:3], 0 offset:344
	buffer_load_dword v32, off, s[0:3], 0 offset:336
	buffer_load_dword v39, off, s[0:3], 0 offset:356
	buffer_load_dword v37, off, s[0:3], 0 offset:364
	buffer_load_dword v41, off, s[0:3], 0 offset:372
	buffer_load_dword v42, off, s[0:3], 0 offset:384
	buffer_load_dword v44, off, s[0:3], 0 offset:376
	buffer_load_dword v40, off, s[0:3], 0 offset:368
	buffer_load_dword v45, off, s[0:3], 0 offset:380
	buffer_load_dword v46, off, s[0:3], 0 offset:272
	buffer_load_dword v47, off, s[0:3], 0 offset:276
	buffer_load_dword v43, off, s[0:3], 0 offset:388
	ds_read2_b64 v[2:5], v1 offset0:85 offset1:86
	ds_read2_b64 v[6:9], v1 offset0:87 offset1:88
	;; [unrolled: 1-line block ×7, first 2 shown]
	v_cmp_lt_u32_e32 vcc, 33, v0
	s_waitcnt vmcnt(29) lgkmcnt(6)
	v_mul_f32_e32 v1, v2, v48
	v_mul_f32_e32 v48, v3, v48
	s_waitcnt vmcnt(27) lgkmcnt(5)
	v_mul_f32_e32 v64, v6, v52
	s_waitcnt vmcnt(26)
	v_mul_f32_e32 v65, v8, v53
	v_mul_f32_e32 v53, v9, v53
	;; [unrolled: 1-line block ×3, first 2 shown]
	s_waitcnt vmcnt(23)
	v_mov_b32_e32 v52, v31
	v_mul_f32_e32 v63, v4, v50
	v_mul_f32_e32 v50, v5, v50
	s_waitcnt vmcnt(20)
	v_fmac_f32_e32 v1, v3, v57
	s_waitcnt vmcnt(19)
	v_fmac_f32_e32 v63, v5, v58
	v_add_f32_e32 v1, 0, v1
	s_waitcnt vmcnt(17)
	v_fma_f32 v53, v8, v60, -v53
	v_fmac_f32_e32 v65, v9, v60
	v_fma_f32 v9, v2, v57, -v48
	s_waitcnt lgkmcnt(3)
	v_pk_mul_f32 v[2:3], v[14:15], v[52:53] op_sel_hi:[1,0]
	v_fma_f32 v57, v4, v58, -v50
	v_add_f32_e32 v52, 0, v9
	s_waitcnt vmcnt(14)
	v_pk_fma_f32 v[8:9], v[14:15], v[30:31], v[2:3] op_sel:[0,0,1] op_sel_hi:[1,1,0] neg_lo:[0,0,1] neg_hi:[0,0,1]
	v_pk_fma_f32 v[2:3], v[14:15], v[30:31], v[2:3] op_sel:[0,0,1] op_sel_hi:[1,0,0]
	v_mul_f32_e32 v49, v10, v54
	v_mul_f32_e32 v51, v12, v55
	;; [unrolled: 1-line block ×4, first 2 shown]
	v_mov_b32_e32 v54, v33
	v_fmac_f32_e32 v64, v7, v59
	v_fma_f32 v58, v6, v59, -v66
	v_add_f32_e32 v1, v1, v63
	v_add_f32_e32 v2, v52, v57
	v_pk_mul_f32 v[4:5], v[16:17], v[54:55] op_sel_hi:[1,0]
	v_add_f32_e32 v1, v1, v64
	v_add_f32_e32 v2, v2, v58
	v_mov_b32_e32 v56, v35
	v_fmac_f32_e32 v49, v11, v61
	v_fma_f32 v48, v10, v61, -v67
	s_waitcnt vmcnt(10)
	v_pk_fma_f32 v[10:11], v[16:17], v[32:33], v[4:5] op_sel:[0,0,1] op_sel_hi:[1,1,0] neg_lo:[0,0,1] neg_hi:[0,0,1]
	v_pk_fma_f32 v[4:5], v[16:17], v[32:33], v[4:5] op_sel:[0,0,1] op_sel_hi:[1,0,0]
	v_mov_b32_e32 v9, v3
	v_add_f32_e32 v3, v1, v65
	v_add_f32_e32 v2, v2, v53
	v_fmac_f32_e32 v51, v13, v62
	v_fma_f32 v50, v12, v62, -v55
	s_waitcnt lgkmcnt(2)
	v_pk_mul_f32 v[6:7], v[18:19], v[56:57] op_sel_hi:[1,0]
	v_pk_add_f32 v[2:3], v[2:3], v[48:49]
	s_waitcnt vmcnt(9)
	v_mov_b32_e32 v4, v39
	v_pk_fma_f32 v[12:13], v[18:19], v[34:35], v[6:7] op_sel:[0,0,1] op_sel_hi:[1,1,0] neg_lo:[0,0,1] neg_hi:[0,0,1]
	v_pk_fma_f32 v[6:7], v[18:19], v[34:35], v[6:7] op_sel:[0,0,1] op_sel_hi:[1,0,0]
	v_mov_b32_e32 v11, v5
	v_pk_add_f32 v[2:3], v[2:3], v[50:51]
	v_pk_mul_f32 v[4:5], v[20:21], v[4:5] op_sel_hi:[1,0]
	v_mov_b32_e32 v13, v7
	v_pk_add_f32 v[2:3], v[2:3], v[8:9]
	v_pk_fma_f32 v[6:7], v[20:21], v[38:39], v[4:5] op_sel:[0,0,1] op_sel_hi:[1,1,0] neg_lo:[0,0,1] neg_hi:[0,0,1]
	v_pk_fma_f32 v[4:5], v[20:21], v[38:39], v[4:5] op_sel:[0,0,1] op_sel_hi:[1,0,0]
	v_pk_add_f32 v[2:3], v[2:3], v[10:11]
	s_waitcnt vmcnt(8)
	v_mov_b32_e32 v4, v37
	v_pk_add_f32 v[2:3], v[2:3], v[12:13]
	v_mov_b32_e32 v7, v5
	s_waitcnt lgkmcnt(1)
	v_pk_mul_f32 v[4:5], v[22:23], v[4:5] op_sel_hi:[1,0]
	v_pk_add_f32 v[2:3], v[2:3], v[6:7]
	v_pk_fma_f32 v[6:7], v[22:23], v[36:37], v[4:5] op_sel:[0,0,1] op_sel_hi:[1,1,0] neg_lo:[0,0,1] neg_hi:[0,0,1]
	v_pk_fma_f32 v[4:5], v[22:23], v[36:37], v[4:5] op_sel:[0,0,1] op_sel_hi:[1,0,0]
	s_waitcnt vmcnt(7)
	v_mov_b32_e32 v4, v41
	v_mov_b32_e32 v7, v5
	v_pk_mul_f32 v[4:5], v[24:25], v[4:5] op_sel_hi:[1,0]
	v_pk_add_f32 v[2:3], v[2:3], v[6:7]
	s_waitcnt vmcnt(4)
	v_pk_fma_f32 v[6:7], v[24:25], v[40:41], v[4:5] op_sel:[0,0,1] op_sel_hi:[1,1,0] neg_lo:[0,0,1] neg_hi:[0,0,1]
	v_pk_fma_f32 v[4:5], v[24:25], v[40:41], v[4:5] op_sel:[0,0,1] op_sel_hi:[1,0,0]
	s_waitcnt vmcnt(3)
	v_mov_b32_e32 v4, v45
	v_mov_b32_e32 v7, v5
	s_waitcnt lgkmcnt(0)
	v_pk_mul_f32 v[4:5], v[26:27], v[4:5] op_sel_hi:[1,0]
	v_pk_add_f32 v[2:3], v[2:3], v[6:7]
	v_pk_fma_f32 v[6:7], v[26:27], v[44:45], v[4:5] op_sel:[0,0,1] op_sel_hi:[1,1,0] neg_lo:[0,0,1] neg_hi:[0,0,1]
	v_pk_fma_f32 v[4:5], v[26:27], v[44:45], v[4:5] op_sel:[0,0,1] op_sel_hi:[1,0,0]
	s_waitcnt vmcnt(0)
	v_mov_b32_e32 v4, v43
	v_mov_b32_e32 v7, v5
	v_pk_mul_f32 v[4:5], v[28:29], v[4:5] op_sel_hi:[1,0]
	v_pk_add_f32 v[2:3], v[2:3], v[6:7]
	v_pk_fma_f32 v[6:7], v[28:29], v[42:43], v[4:5] op_sel:[0,0,1] op_sel_hi:[1,1,0] neg_lo:[0,0,1] neg_hi:[0,0,1]
	v_pk_fma_f32 v[4:5], v[28:29], v[42:43], v[4:5] op_sel:[0,0,1] op_sel_hi:[1,0,0]
	v_mov_b32_e32 v7, v5
	v_pk_add_f32 v[2:3], v[2:3], v[6:7]
	v_pk_add_f32 v[2:3], v[46:47], v[2:3] neg_lo:[0,1] neg_hi:[0,1]
	buffer_store_dword v3, off, s[0:3], 0 offset:276
	buffer_store_dword v2, off, s[0:3], 0 offset:272
	s_and_saveexec_b64 s[4:5], vcc
	s_cbranch_execz .LBB48_241
; %bb.240:
	buffer_load_dword v2, off, s[0:3], 0 offset:264
	buffer_load_dword v3, off, s[0:3], 0 offset:268
	v_mov_b32_e32 v1, 0
	v_accvgpr_read_b32 v4, a24
	buffer_store_dword v1, off, s[0:3], 0 offset:264
	buffer_store_dword v1, off, s[0:3], 0 offset:268
	s_waitcnt vmcnt(2)
	ds_write_b64 v4, v[2:3]
.LBB48_241:
	s_or_b64 exec, exec, s[4:5]
	v_mov_b32_e32 v4, 0
	s_waitcnt lgkmcnt(0)
	; wave barrier
	s_waitcnt lgkmcnt(0)
	ds_read_b128 v[6:9], v4 offset:672
	ds_read_b128 v[10:13], v4 offset:688
	;; [unrolled: 1-line block ×4, first 2 shown]
	buffer_load_dword v2, off, s[0:3], 0 offset:264
	buffer_load_dword v3, off, s[0:3], 0 offset:268
	;; [unrolled: 1-line block ×32, first 2 shown]
	v_cmp_lt_u32_e32 vcc, 32, v0
	s_waitcnt vmcnt(28) lgkmcnt(3)
	v_mul_f32_e32 v23, v6, v5
	v_mul_f32_e32 v5, v7, v5
	v_fmac_f32_e32 v23, v7, v1
	s_waitcnt vmcnt(26)
	v_mul_f32_e32 v25, v8, v24
	v_fma_f32 v1, v6, v1, -v5
	v_mul_f32_e32 v5, v9, v24
	v_add_f32_e32 v23, 0, v23
	v_fmac_f32_e32 v25, v9, v22
	v_add_f32_e32 v1, 0, v1
	v_fma_f32 v5, v8, v22, -v5
	v_add_f32_e32 v23, v23, v25
	s_waitcnt vmcnt(24) lgkmcnt(2)
	v_mul_f32_e32 v25, v10, v44
	v_add_f32_e32 v1, v1, v5
	v_mul_f32_e32 v5, v11, v44
	v_fmac_f32_e32 v25, v11, v26
	v_fma_f32 v5, v10, v26, -v5
	v_add_f32_e32 v23, v23, v25
	s_waitcnt vmcnt(22)
	v_mul_f32_e32 v25, v12, v46
	v_add_f32_e32 v1, v1, v5
	v_mul_f32_e32 v5, v13, v46
	v_fmac_f32_e32 v25, v13, v45
	v_fma_f32 v5, v12, v45, -v5
	v_add_f32_e32 v23, v23, v25
	s_waitcnt vmcnt(20) lgkmcnt(1)
	v_mul_f32_e32 v25, v14, v48
	v_add_f32_e32 v1, v1, v5
	v_mul_f32_e32 v5, v15, v48
	v_fmac_f32_e32 v25, v15, v47
	v_fma_f32 v5, v14, v47, -v5
	v_add_f32_e32 v23, v23, v25
	s_waitcnt vmcnt(18)
	v_mul_f32_e32 v25, v16, v50
	v_add_f32_e32 v22, v1, v5
	v_mul_f32_e32 v1, v17, v50
	v_fmac_f32_e32 v25, v17, v49
	v_fma_f32 v24, v16, v49, -v1
	s_waitcnt vmcnt(16) lgkmcnt(0)
	v_mul_f32_e32 v27, v18, v52
	v_mul_f32_e32 v1, v19, v52
	v_pk_add_f32 v[22:23], v[22:23], v[24:25]
	s_waitcnt vmcnt(15)
	v_mov_b32_e32 v24, v29
	v_fmac_f32_e32 v27, v19, v51
	v_fma_f32 v26, v18, v51, -v1
	v_pk_mul_f32 v[24:25], v[20:21], v[24:25] op_sel_hi:[1,0]
	v_pk_add_f32 v[22:23], v[22:23], v[26:27]
	s_waitcnt vmcnt(14)
	v_pk_fma_f32 v[26:27], v[20:21], v[28:29], v[24:25] op_sel:[0,0,1] op_sel_hi:[1,1,0] neg_lo:[0,0,1] neg_hi:[0,0,1]
	v_pk_fma_f32 v[20:21], v[20:21], v[28:29], v[24:25] op_sel:[0,0,1] op_sel_hi:[1,0,0]
	ds_read_b128 v[6:9], v4 offset:736
	ds_read_b128 v[10:13], v4 offset:752
	;; [unrolled: 1-line block ×3, first 2 shown]
	ds_read_b64 v[18:19], v4 offset:784
	v_mov_b32_e32 v27, v21
	v_pk_add_f32 v[20:21], v[22:23], v[26:27]
	s_waitcnt vmcnt(13)
	v_mov_b32_e32 v22, v31
	s_waitcnt lgkmcnt(3)
	v_pk_mul_f32 v[22:23], v[6:7], v[22:23] op_sel_hi:[1,0]
	s_waitcnt vmcnt(12)
	v_pk_fma_f32 v[24:25], v[6:7], v[30:31], v[22:23] op_sel:[0,0,1] op_sel_hi:[1,1,0] neg_lo:[0,0,1] neg_hi:[0,0,1]
	v_pk_fma_f32 v[6:7], v[6:7], v[30:31], v[22:23] op_sel:[0,0,1] op_sel_hi:[1,0,0]
	v_mov_b32_e32 v25, v7
	v_pk_add_f32 v[6:7], v[20:21], v[24:25]
	s_waitcnt vmcnt(11)
	v_mov_b32_e32 v20, v33
	v_pk_mul_f32 v[20:21], v[8:9], v[20:21] op_sel_hi:[1,0]
	s_waitcnt vmcnt(10)
	v_pk_fma_f32 v[22:23], v[8:9], v[32:33], v[20:21] op_sel:[0,0,1] op_sel_hi:[1,1,0] neg_lo:[0,0,1] neg_hi:[0,0,1]
	v_pk_fma_f32 v[8:9], v[8:9], v[32:33], v[20:21] op_sel:[0,0,1] op_sel_hi:[1,0,0]
	s_waitcnt vmcnt(9)
	v_mov_b32_e32 v8, v35
	v_mov_b32_e32 v23, v9
	s_waitcnt lgkmcnt(2)
	v_pk_mul_f32 v[8:9], v[10:11], v[8:9] op_sel_hi:[1,0]
	s_waitcnt vmcnt(8)
	v_pk_fma_f32 v[20:21], v[10:11], v[34:35], v[8:9] op_sel:[0,0,1] op_sel_hi:[1,1,0] neg_lo:[0,0,1] neg_hi:[0,0,1]
	v_pk_fma_f32 v[8:9], v[10:11], v[34:35], v[8:9] op_sel:[0,0,1] op_sel_hi:[1,0,0]
	s_waitcnt vmcnt(7)
	v_mov_b32_e32 v8, v37
	v_mov_b32_e32 v21, v9
	v_pk_mul_f32 v[8:9], v[12:13], v[8:9] op_sel_hi:[1,0]
	s_waitcnt vmcnt(6)
	v_pk_fma_f32 v[10:11], v[12:13], v[36:37], v[8:9] op_sel:[0,0,1] op_sel_hi:[1,1,0] neg_lo:[0,0,1] neg_hi:[0,0,1]
	v_pk_fma_f32 v[8:9], v[12:13], v[36:37], v[8:9] op_sel:[0,0,1] op_sel_hi:[1,0,0]
	v_pk_add_f32 v[6:7], v[6:7], v[22:23]
	s_waitcnt vmcnt(5)
	v_mov_b32_e32 v8, v39
	v_pk_add_f32 v[6:7], v[6:7], v[20:21]
	v_mov_b32_e32 v11, v9
	s_waitcnt lgkmcnt(1)
	v_pk_mul_f32 v[8:9], v[14:15], v[8:9] op_sel_hi:[1,0]
	v_pk_add_f32 v[6:7], v[6:7], v[10:11]
	s_waitcnt vmcnt(4)
	v_pk_fma_f32 v[10:11], v[14:15], v[38:39], v[8:9] op_sel:[0,0,1] op_sel_hi:[1,1,0] neg_lo:[0,0,1] neg_hi:[0,0,1]
	v_pk_fma_f32 v[8:9], v[14:15], v[38:39], v[8:9] op_sel:[0,0,1] op_sel_hi:[1,0,0]
	s_waitcnt vmcnt(3)
	v_mov_b32_e32 v8, v41
	v_mov_b32_e32 v11, v9
	v_pk_mul_f32 v[8:9], v[16:17], v[8:9] op_sel_hi:[1,0]
	v_pk_add_f32 v[6:7], v[6:7], v[10:11]
	s_waitcnt vmcnt(2)
	v_pk_fma_f32 v[10:11], v[16:17], v[40:41], v[8:9] op_sel:[0,0,1] op_sel_hi:[1,1,0] neg_lo:[0,0,1] neg_hi:[0,0,1]
	v_pk_fma_f32 v[8:9], v[16:17], v[40:41], v[8:9] op_sel:[0,0,1] op_sel_hi:[1,0,0]
	s_waitcnt vmcnt(1)
	v_mov_b32_e32 v8, v43
	v_mov_b32_e32 v11, v9
	s_waitcnt lgkmcnt(0)
	v_pk_mul_f32 v[8:9], v[18:19], v[8:9] op_sel_hi:[1,0]
	v_pk_add_f32 v[6:7], v[6:7], v[10:11]
	s_waitcnt vmcnt(0)
	v_pk_fma_f32 v[10:11], v[18:19], v[42:43], v[8:9] op_sel:[0,0,1] op_sel_hi:[1,1,0] neg_lo:[0,0,1] neg_hi:[0,0,1]
	v_pk_fma_f32 v[8:9], v[18:19], v[42:43], v[8:9] op_sel:[0,0,1] op_sel_hi:[1,0,0]
	v_mov_b32_e32 v11, v9
	v_pk_add_f32 v[6:7], v[6:7], v[10:11]
	v_pk_add_f32 v[2:3], v[2:3], v[6:7] neg_lo:[0,1] neg_hi:[0,1]
	buffer_store_dword v3, off, s[0:3], 0 offset:268
	buffer_store_dword v2, off, s[0:3], 0 offset:264
	s_and_saveexec_b64 s[4:5], vcc
	s_cbranch_execz .LBB48_243
; %bb.242:
	buffer_load_dword v2, off, s[0:3], 0 offset:256
	buffer_load_dword v3, off, s[0:3], 0 offset:260
	v_accvgpr_read_b32 v1, a24
	buffer_store_dword v4, off, s[0:3], 0 offset:256
	buffer_store_dword v4, off, s[0:3], 0 offset:260
	s_waitcnt vmcnt(2)
	ds_write_b64 v1, v[2:3]
.LBB48_243:
	s_or_b64 exec, exec, s[4:5]
	s_waitcnt lgkmcnt(0)
	; wave barrier
	s_waitcnt lgkmcnt(0)
	ds_read2_b64 v[6:9], v4 offset0:83 offset1:84
	buffer_load_dword v2, off, s[0:3], 0 offset:256
	buffer_load_dword v3, off, s[0:3], 0 offset:260
	;; [unrolled: 1-line block ×16, first 2 shown]
	v_cmp_lt_u32_e32 vcc, 31, v0
	s_waitcnt vmcnt(12) lgkmcnt(0)
	v_mul_f32_e32 v10, v6, v5
	v_fmac_f32_e32 v10, v7, v1
	s_waitcnt vmcnt(10)
	v_mul_f32_e32 v11, v8, v28
	v_add_f32_e32 v10, 0, v10
	v_fmac_f32_e32 v11, v9, v26
	v_add_f32_e32 v14, v10, v11
	ds_read2_b64 v[10:13], v4 offset0:85 offset1:86
	v_mul_f32_e32 v5, v7, v5
	v_fma_f32 v1, v6, v1, -v5
	v_mul_f32_e32 v5, v9, v28
	v_add_f32_e32 v1, 0, v1
	s_waitcnt vmcnt(8) lgkmcnt(0)
	v_mul_f32_e32 v15, v10, v48
	v_fmac_f32_e32 v15, v11, v30
	v_add_f32_e32 v14, v14, v15
	s_waitcnt vmcnt(6)
	v_mul_f32_e32 v15, v12, v50
	v_fmac_f32_e32 v15, v13, v49
	v_add_f32_e32 v18, v14, v15
	ds_read2_b64 v[14:17], v4 offset0:87 offset1:88
	v_fma_f32 v5, v8, v26, -v5
	v_add_f32_e32 v1, v1, v5
	v_mul_f32_e32 v5, v11, v48
	v_fma_f32 v5, v10, v30, -v5
	s_waitcnt vmcnt(4) lgkmcnt(0)
	v_mul_f32_e32 v19, v14, v52
	v_fmac_f32_e32 v19, v15, v51
	v_add_f32_e32 v18, v18, v19
	s_waitcnt vmcnt(2)
	v_mul_f32_e32 v19, v16, v54
	v_fmac_f32_e32 v19, v17, v53
	v_add_f32_e32 v27, v18, v19
	ds_read2_b64 v[18:21], v4 offset0:89 offset1:90
	buffer_load_dword v57, off, s[0:3], 0 offset:320
	buffer_load_dword v58, off, s[0:3], 0 offset:324
	;; [unrolled: 1-line block ×4, first 2 shown]
	ds_read2_b64 v[22:25], v4 offset0:91 offset1:92
	buffer_load_dword v35, off, s[0:3], 0 offset:340
	buffer_load_dword v34, off, s[0:3], 0 offset:336
	;; [unrolled: 1-line block ×14, first 2 shown]
	v_add_f32_e32 v1, v1, v5
	v_mul_f32_e32 v5, v13, v50
	v_fma_f32 v5, v12, v49, -v5
	v_add_f32_e32 v1, v1, v5
	v_mul_f32_e32 v5, v15, v52
	v_fma_f32 v5, v14, v51, -v5
	;; [unrolled: 3-line block ×3, first 2 shown]
	v_add_f32_e32 v26, v1, v5
	s_waitcnt vmcnt(18) lgkmcnt(1)
	v_mul_f32_e32 v1, v19, v56
	v_mul_f32_e32 v29, v18, v56
	v_fma_f32 v28, v18, v55, -v1
	v_fmac_f32_e32 v29, v19, v55
	ds_read2_b64 v[6:9], v4 offset0:93 offset1:94
	ds_read2_b64 v[10:13], v4 offset0:95 offset1:96
	;; [unrolled: 1-line block ×3, first 2 shown]
	v_pk_add_f32 v[4:5], v[26:27], v[28:29]
	s_waitcnt vmcnt(15)
	v_mov_b32_e32 v18, v33
	v_mul_f32_e32 v31, v20, v58
	v_mul_f32_e32 v1, v21, v58
	s_waitcnt lgkmcnt(3)
	v_pk_mul_f32 v[18:19], v[22:23], v[18:19] op_sel_hi:[1,0]
	v_fmac_f32_e32 v31, v21, v57
	v_fma_f32 v30, v20, v57, -v1
	s_waitcnt vmcnt(14)
	v_pk_fma_f32 v[20:21], v[22:23], v[32:33], v[18:19] op_sel:[0,0,1] op_sel_hi:[1,1,0] neg_lo:[0,0,1] neg_hi:[0,0,1]
	v_pk_fma_f32 v[18:19], v[22:23], v[32:33], v[18:19] op_sel:[0,0,1] op_sel_hi:[1,0,0]
	s_waitcnt vmcnt(13)
	v_mov_b32_e32 v18, v35
	v_pk_add_f32 v[4:5], v[4:5], v[30:31]
	v_mov_b32_e32 v21, v19
	v_pk_mul_f32 v[18:19], v[24:25], v[18:19] op_sel_hi:[1,0]
	v_pk_add_f32 v[4:5], v[4:5], v[20:21]
	s_waitcnt vmcnt(12)
	v_pk_fma_f32 v[20:21], v[24:25], v[34:35], v[18:19] op_sel:[0,0,1] op_sel_hi:[1,1,0] neg_lo:[0,0,1] neg_hi:[0,0,1]
	v_pk_fma_f32 v[18:19], v[24:25], v[34:35], v[18:19] op_sel:[0,0,1] op_sel_hi:[1,0,0]
	s_waitcnt vmcnt(11)
	v_mov_b32_e32 v18, v37
	v_mov_b32_e32 v21, v19
	s_waitcnt lgkmcnt(2)
	v_pk_mul_f32 v[18:19], v[6:7], v[18:19] op_sel_hi:[1,0]
	v_pk_add_f32 v[4:5], v[4:5], v[20:21]
	s_waitcnt vmcnt(10)
	v_pk_fma_f32 v[20:21], v[6:7], v[36:37], v[18:19] op_sel:[0,0,1] op_sel_hi:[1,1,0] neg_lo:[0,0,1] neg_hi:[0,0,1]
	v_pk_fma_f32 v[6:7], v[6:7], v[36:37], v[18:19] op_sel:[0,0,1] op_sel_hi:[1,0,0]
	s_waitcnt vmcnt(9)
	v_mov_b32_e32 v6, v39
	v_mov_b32_e32 v21, v7
	v_pk_mul_f32 v[6:7], v[8:9], v[6:7] op_sel_hi:[1,0]
	s_waitcnt vmcnt(8)
	v_pk_fma_f32 v[18:19], v[8:9], v[38:39], v[6:7] op_sel:[0,0,1] op_sel_hi:[1,1,0] neg_lo:[0,0,1] neg_hi:[0,0,1]
	v_pk_fma_f32 v[6:7], v[8:9], v[38:39], v[6:7] op_sel:[0,0,1] op_sel_hi:[1,0,0]
	s_waitcnt vmcnt(7)
	v_mov_b32_e32 v6, v41
	v_mov_b32_e32 v19, v7
	s_waitcnt lgkmcnt(1)
	v_pk_mul_f32 v[6:7], v[10:11], v[6:7] op_sel_hi:[1,0]
	s_waitcnt vmcnt(6)
	v_pk_fma_f32 v[8:9], v[10:11], v[40:41], v[6:7] op_sel:[0,0,1] op_sel_hi:[1,1,0] neg_lo:[0,0,1] neg_hi:[0,0,1]
	v_pk_fma_f32 v[6:7], v[10:11], v[40:41], v[6:7] op_sel:[0,0,1] op_sel_hi:[1,0,0]
	v_pk_add_f32 v[4:5], v[4:5], v[20:21]
	s_waitcnt vmcnt(5)
	v_mov_b32_e32 v6, v43
	v_pk_add_f32 v[4:5], v[4:5], v[18:19]
	v_mov_b32_e32 v9, v7
	v_pk_mul_f32 v[6:7], v[12:13], v[6:7] op_sel_hi:[1,0]
	v_pk_add_f32 v[4:5], v[4:5], v[8:9]
	s_waitcnt vmcnt(4)
	v_pk_fma_f32 v[8:9], v[12:13], v[42:43], v[6:7] op_sel:[0,0,1] op_sel_hi:[1,1,0] neg_lo:[0,0,1] neg_hi:[0,0,1]
	v_pk_fma_f32 v[6:7], v[12:13], v[42:43], v[6:7] op_sel:[0,0,1] op_sel_hi:[1,0,0]
	s_waitcnt vmcnt(3)
	v_mov_b32_e32 v6, v45
	v_mov_b32_e32 v9, v7
	s_waitcnt lgkmcnt(0)
	v_pk_mul_f32 v[6:7], v[14:15], v[6:7] op_sel_hi:[1,0]
	v_pk_add_f32 v[4:5], v[4:5], v[8:9]
	s_waitcnt vmcnt(2)
	v_pk_fma_f32 v[8:9], v[14:15], v[44:45], v[6:7] op_sel:[0,0,1] op_sel_hi:[1,1,0] neg_lo:[0,0,1] neg_hi:[0,0,1]
	v_pk_fma_f32 v[6:7], v[14:15], v[44:45], v[6:7] op_sel:[0,0,1] op_sel_hi:[1,0,0]
	s_waitcnt vmcnt(1)
	v_mov_b32_e32 v6, v47
	v_mov_b32_e32 v9, v7
	v_pk_mul_f32 v[6:7], v[16:17], v[6:7] op_sel_hi:[1,0]
	v_pk_add_f32 v[4:5], v[4:5], v[8:9]
	s_waitcnt vmcnt(0)
	v_pk_fma_f32 v[8:9], v[16:17], v[46:47], v[6:7] op_sel:[0,0,1] op_sel_hi:[1,1,0] neg_lo:[0,0,1] neg_hi:[0,0,1]
	v_pk_fma_f32 v[6:7], v[16:17], v[46:47], v[6:7] op_sel:[0,0,1] op_sel_hi:[1,0,0]
	v_mov_b32_e32 v9, v7
	v_pk_add_f32 v[4:5], v[4:5], v[8:9]
	v_pk_add_f32 v[2:3], v[2:3], v[4:5] neg_lo:[0,1] neg_hi:[0,1]
	buffer_store_dword v3, off, s[0:3], 0 offset:260
	buffer_store_dword v2, off, s[0:3], 0 offset:256
	s_and_saveexec_b64 s[4:5], vcc
	s_cbranch_execz .LBB48_245
; %bb.244:
	buffer_load_dword v2, off, s[0:3], 0 offset:248
	buffer_load_dword v3, off, s[0:3], 0 offset:252
	v_mov_b32_e32 v1, 0
	v_accvgpr_read_b32 v4, a24
	buffer_store_dword v1, off, s[0:3], 0 offset:248
	buffer_store_dword v1, off, s[0:3], 0 offset:252
	s_waitcnt vmcnt(2)
	ds_write_b64 v4, v[2:3]
.LBB48_245:
	s_or_b64 exec, exec, s[4:5]
	v_mov_b32_e32 v4, 0
	s_waitcnt lgkmcnt(0)
	; wave barrier
	s_waitcnt lgkmcnt(0)
	ds_read_b128 v[6:9], v4 offset:656
	ds_read_b128 v[10:13], v4 offset:672
	;; [unrolled: 1-line block ×4, first 2 shown]
	buffer_load_dword v2, off, s[0:3], 0 offset:248
	buffer_load_dword v3, off, s[0:3], 0 offset:252
	buffer_load_dword v1, off, s[0:3], 0 offset:256
	buffer_load_dword v5, off, s[0:3], 0 offset:260
	buffer_load_dword v26, off, s[0:3], 0 offset:264
	buffer_load_dword v28, off, s[0:3], 0 offset:268
	buffer_load_dword v30, off, s[0:3], 0 offset:272
	buffer_load_dword v48, off, s[0:3], 0 offset:276
	buffer_load_dword v49, off, s[0:3], 0 offset:280
	buffer_load_dword v50, off, s[0:3], 0 offset:284
	buffer_load_dword v51, off, s[0:3], 0 offset:288
	buffer_load_dword v52, off, s[0:3], 0 offset:292
	buffer_load_dword v53, off, s[0:3], 0 offset:296
	buffer_load_dword v54, off, s[0:3], 0 offset:300
	buffer_load_dword v55, off, s[0:3], 0 offset:304
	buffer_load_dword v56, off, s[0:3], 0 offset:308
	buffer_load_dword v57, off, s[0:3], 0 offset:312
	buffer_load_dword v58, off, s[0:3], 0 offset:316
	v_cmp_lt_u32_e32 vcc, 30, v0
	s_waitcnt vmcnt(14) lgkmcnt(3)
	v_mul_f32_e32 v22, v6, v5
	v_fmac_f32_e32 v22, v7, v1
	s_waitcnt vmcnt(12)
	v_mul_f32_e32 v23, v8, v28
	v_add_f32_e32 v22, 0, v22
	v_fmac_f32_e32 v23, v9, v26
	v_add_f32_e32 v22, v22, v23
	s_waitcnt vmcnt(10) lgkmcnt(2)
	v_mul_f32_e32 v23, v10, v48
	v_fmac_f32_e32 v23, v11, v30
	v_add_f32_e32 v22, v22, v23
	s_waitcnt vmcnt(8)
	v_mul_f32_e32 v23, v12, v50
	v_fmac_f32_e32 v23, v13, v49
	v_add_f32_e32 v22, v22, v23
	s_waitcnt vmcnt(6) lgkmcnt(1)
	v_mul_f32_e32 v23, v14, v52
	v_fmac_f32_e32 v23, v15, v51
	v_add_f32_e32 v22, v22, v23
	s_waitcnt vmcnt(4)
	v_mul_f32_e32 v23, v16, v54
	v_fmac_f32_e32 v23, v17, v53
	v_add_f32_e32 v22, v22, v23
	s_waitcnt vmcnt(2) lgkmcnt(0)
	v_mul_f32_e32 v23, v18, v56
	v_fmac_f32_e32 v23, v19, v55
	v_add_f32_e32 v27, v22, v23
	ds_read_b128 v[22:25], v4 offset:720
	buffer_load_dword v59, off, s[0:3], 0 offset:320
	buffer_load_dword v60, off, s[0:3], 0 offset:324
	;; [unrolled: 1-line block ×18, first 2 shown]
	v_mul_f32_e32 v5, v7, v5
	v_fma_f32 v1, v6, v1, -v5
	v_mul_f32_e32 v5, v9, v28
	v_add_f32_e32 v1, 0, v1
	v_fma_f32 v5, v8, v26, -v5
	v_add_f32_e32 v1, v1, v5
	v_mul_f32_e32 v5, v11, v48
	v_fma_f32 v5, v10, v30, -v5
	v_add_f32_e32 v1, v1, v5
	v_mul_f32_e32 v5, v13, v50
	;; [unrolled: 3-line block ×5, first 2 shown]
	v_fma_f32 v5, v18, v55, -v5
	v_add_f32_e32 v26, v1, v5
	s_waitcnt vmcnt(18)
	v_mul_f32_e32 v1, v21, v58
	v_fma_f32 v28, v20, v57, -v1
	v_mul_f32_e32 v29, v20, v58
	v_fmac_f32_e32 v29, v21, v57
	ds_read_b128 v[6:9], v4 offset:736
	ds_read_b128 v[10:13], v4 offset:752
	;; [unrolled: 1-line block ×3, first 2 shown]
	ds_read_b64 v[18:19], v4 offset:784
	v_pk_add_f32 v[20:21], v[26:27], v[28:29]
	s_waitcnt vmcnt(16) lgkmcnt(4)
	v_mul_f32_e32 v1, v23, v60
	v_mul_f32_e32 v31, v22, v60
	v_fma_f32 v30, v22, v59, -v1
	s_waitcnt vmcnt(15)
	v_mov_b32_e32 v22, v33
	v_fmac_f32_e32 v31, v23, v59
	v_pk_mul_f32 v[22:23], v[24:25], v[22:23] op_sel_hi:[1,0]
	s_waitcnt vmcnt(14)
	v_pk_fma_f32 v[26:27], v[24:25], v[32:33], v[22:23] op_sel:[0,0,1] op_sel_hi:[1,1,0] neg_lo:[0,0,1] neg_hi:[0,0,1]
	v_pk_fma_f32 v[22:23], v[24:25], v[32:33], v[22:23] op_sel:[0,0,1] op_sel_hi:[1,0,0]
	s_waitcnt vmcnt(13)
	v_mov_b32_e32 v22, v35
	v_mov_b32_e32 v27, v23
	s_waitcnt lgkmcnt(3)
	v_pk_mul_f32 v[22:23], v[6:7], v[22:23] op_sel_hi:[1,0]
	v_pk_add_f32 v[20:21], v[20:21], v[30:31]
	s_waitcnt vmcnt(12)
	v_pk_fma_f32 v[24:25], v[6:7], v[34:35], v[22:23] op_sel:[0,0,1] op_sel_hi:[1,1,0] neg_lo:[0,0,1] neg_hi:[0,0,1]
	v_pk_fma_f32 v[6:7], v[6:7], v[34:35], v[22:23] op_sel:[0,0,1] op_sel_hi:[1,0,0]
	v_pk_add_f32 v[20:21], v[20:21], v[26:27]
	v_mov_b32_e32 v25, v7
	v_pk_add_f32 v[6:7], v[20:21], v[24:25]
	s_waitcnt vmcnt(11)
	v_mov_b32_e32 v20, v37
	v_pk_mul_f32 v[20:21], v[8:9], v[20:21] op_sel_hi:[1,0]
	s_waitcnt vmcnt(10)
	v_pk_fma_f32 v[22:23], v[8:9], v[36:37], v[20:21] op_sel:[0,0,1] op_sel_hi:[1,1,0] neg_lo:[0,0,1] neg_hi:[0,0,1]
	v_pk_fma_f32 v[8:9], v[8:9], v[36:37], v[20:21] op_sel:[0,0,1] op_sel_hi:[1,0,0]
	s_waitcnt vmcnt(9)
	v_mov_b32_e32 v8, v39
	v_mov_b32_e32 v23, v9
	s_waitcnt lgkmcnt(2)
	v_pk_mul_f32 v[8:9], v[10:11], v[8:9] op_sel_hi:[1,0]
	s_waitcnt vmcnt(8)
	v_pk_fma_f32 v[20:21], v[10:11], v[38:39], v[8:9] op_sel:[0,0,1] op_sel_hi:[1,1,0] neg_lo:[0,0,1] neg_hi:[0,0,1]
	v_pk_fma_f32 v[8:9], v[10:11], v[38:39], v[8:9] op_sel:[0,0,1] op_sel_hi:[1,0,0]
	s_waitcnt vmcnt(7)
	v_mov_b32_e32 v8, v41
	v_mov_b32_e32 v21, v9
	v_pk_mul_f32 v[8:9], v[12:13], v[8:9] op_sel_hi:[1,0]
	s_waitcnt vmcnt(6)
	v_pk_fma_f32 v[10:11], v[12:13], v[40:41], v[8:9] op_sel:[0,0,1] op_sel_hi:[1,1,0] neg_lo:[0,0,1] neg_hi:[0,0,1]
	v_pk_fma_f32 v[8:9], v[12:13], v[40:41], v[8:9] op_sel:[0,0,1] op_sel_hi:[1,0,0]
	v_pk_add_f32 v[6:7], v[6:7], v[22:23]
	s_waitcnt vmcnt(5)
	v_mov_b32_e32 v8, v43
	v_pk_add_f32 v[6:7], v[6:7], v[20:21]
	v_mov_b32_e32 v11, v9
	s_waitcnt lgkmcnt(1)
	v_pk_mul_f32 v[8:9], v[14:15], v[8:9] op_sel_hi:[1,0]
	v_pk_add_f32 v[6:7], v[6:7], v[10:11]
	s_waitcnt vmcnt(4)
	v_pk_fma_f32 v[10:11], v[14:15], v[42:43], v[8:9] op_sel:[0,0,1] op_sel_hi:[1,1,0] neg_lo:[0,0,1] neg_hi:[0,0,1]
	v_pk_fma_f32 v[8:9], v[14:15], v[42:43], v[8:9] op_sel:[0,0,1] op_sel_hi:[1,0,0]
	s_waitcnt vmcnt(3)
	v_mov_b32_e32 v8, v45
	v_mov_b32_e32 v11, v9
	v_pk_mul_f32 v[8:9], v[16:17], v[8:9] op_sel_hi:[1,0]
	v_pk_add_f32 v[6:7], v[6:7], v[10:11]
	s_waitcnt vmcnt(2)
	v_pk_fma_f32 v[10:11], v[16:17], v[44:45], v[8:9] op_sel:[0,0,1] op_sel_hi:[1,1,0] neg_lo:[0,0,1] neg_hi:[0,0,1]
	v_pk_fma_f32 v[8:9], v[16:17], v[44:45], v[8:9] op_sel:[0,0,1] op_sel_hi:[1,0,0]
	s_waitcnt vmcnt(1)
	v_mov_b32_e32 v8, v47
	v_mov_b32_e32 v11, v9
	s_waitcnt lgkmcnt(0)
	v_pk_mul_f32 v[8:9], v[18:19], v[8:9] op_sel_hi:[1,0]
	v_pk_add_f32 v[6:7], v[6:7], v[10:11]
	s_waitcnt vmcnt(0)
	v_pk_fma_f32 v[10:11], v[18:19], v[46:47], v[8:9] op_sel:[0,0,1] op_sel_hi:[1,1,0] neg_lo:[0,0,1] neg_hi:[0,0,1]
	v_pk_fma_f32 v[8:9], v[18:19], v[46:47], v[8:9] op_sel:[0,0,1] op_sel_hi:[1,0,0]
	v_mov_b32_e32 v11, v9
	v_pk_add_f32 v[6:7], v[6:7], v[10:11]
	v_pk_add_f32 v[2:3], v[2:3], v[6:7] neg_lo:[0,1] neg_hi:[0,1]
	buffer_store_dword v3, off, s[0:3], 0 offset:252
	buffer_store_dword v2, off, s[0:3], 0 offset:248
	s_and_saveexec_b64 s[4:5], vcc
	s_cbranch_execz .LBB48_247
; %bb.246:
	buffer_load_dword v2, off, s[0:3], 0 offset:240
	buffer_load_dword v3, off, s[0:3], 0 offset:244
	v_accvgpr_read_b32 v1, a24
	buffer_store_dword v4, off, s[0:3], 0 offset:240
	buffer_store_dword v4, off, s[0:3], 0 offset:244
	s_waitcnt vmcnt(2)
	ds_write_b64 v1, v[2:3]
.LBB48_247:
	s_or_b64 exec, exec, s[4:5]
	s_waitcnt lgkmcnt(0)
	; wave barrier
	s_waitcnt lgkmcnt(0)
	ds_read2_b64 v[6:9], v4 offset0:81 offset1:82
	buffer_load_dword v2, off, s[0:3], 0 offset:240
	buffer_load_dword v3, off, s[0:3], 0 offset:244
	;; [unrolled: 1-line block ×16, first 2 shown]
	v_cmp_lt_u32_e32 vcc, 29, v0
	s_waitcnt vmcnt(12) lgkmcnt(0)
	v_mul_f32_e32 v10, v6, v5
	v_fmac_f32_e32 v10, v7, v1
	s_waitcnt vmcnt(10)
	v_mul_f32_e32 v11, v8, v32
	v_add_f32_e32 v10, 0, v10
	v_fmac_f32_e32 v11, v9, v30
	v_add_f32_e32 v14, v10, v11
	ds_read2_b64 v[10:13], v4 offset0:83 offset1:84
	v_mul_f32_e32 v5, v7, v5
	v_fma_f32 v1, v6, v1, -v5
	v_mul_f32_e32 v5, v9, v32
	v_add_f32_e32 v1, 0, v1
	s_waitcnt vmcnt(8) lgkmcnt(0)
	v_mul_f32_e32 v15, v10, v52
	v_fmac_f32_e32 v15, v11, v34
	v_add_f32_e32 v14, v14, v15
	s_waitcnt vmcnt(6)
	v_mul_f32_e32 v15, v12, v54
	v_fmac_f32_e32 v15, v13, v53
	v_add_f32_e32 v18, v14, v15
	ds_read2_b64 v[14:17], v4 offset0:85 offset1:86
	v_fma_f32 v5, v8, v30, -v5
	v_add_f32_e32 v1, v1, v5
	v_mul_f32_e32 v5, v11, v52
	v_fma_f32 v5, v10, v34, -v5
	s_waitcnt vmcnt(4) lgkmcnt(0)
	v_mul_f32_e32 v19, v14, v56
	v_fmac_f32_e32 v19, v15, v55
	v_add_f32_e32 v18, v18, v19
	s_waitcnt vmcnt(2)
	v_mul_f32_e32 v19, v16, v58
	v_fmac_f32_e32 v19, v17, v57
	v_add_f32_e32 v22, v18, v19
	ds_read2_b64 v[18:21], v4 offset0:87 offset1:88
	buffer_load_dword v61, off, s[0:3], 0 offset:304
	buffer_load_dword v62, off, s[0:3], 0 offset:308
	v_add_f32_e32 v1, v1, v5
	v_mul_f32_e32 v5, v13, v54
	v_fma_f32 v5, v12, v53, -v5
	s_waitcnt vmcnt(2) lgkmcnt(0)
	v_mul_f32_e32 v23, v18, v60
	v_fmac_f32_e32 v23, v19, v59
	v_add_f32_e32 v22, v22, v23
	v_add_f32_e32 v1, v1, v5
	v_mul_f32_e32 v5, v15, v56
	v_fma_f32 v5, v14, v55, -v5
	v_add_f32_e32 v1, v1, v5
	v_mul_f32_e32 v5, v17, v58
	v_fma_f32 v5, v16, v57, -v5
	v_add_f32_e32 v1, v1, v5
	v_mul_f32_e32 v5, v19, v60
	v_fma_f32 v5, v18, v59, -v5
	v_add_f32_e32 v1, v1, v5
	s_waitcnt vmcnt(0)
	v_mul_f32_e32 v23, v20, v62
	v_fmac_f32_e32 v23, v21, v61
	v_add_f32_e32 v31, v22, v23
	ds_read2_b64 v[22:25], v4 offset0:89 offset1:90
	buffer_load_dword v63, off, s[0:3], 0 offset:312
	buffer_load_dword v64, off, s[0:3], 0 offset:316
	;; [unrolled: 1-line block ×6, first 2 shown]
	ds_read2_b64 v[26:29], v4 offset0:91 offset1:92
	buffer_load_dword v39, off, s[0:3], 0 offset:340
	buffer_load_dword v38, off, s[0:3], 0 offset:336
	buffer_load_dword v41, off, s[0:3], 0 offset:348
	buffer_load_dword v40, off, s[0:3], 0 offset:344
	buffer_load_dword v43, off, s[0:3], 0 offset:356
	buffer_load_dword v42, off, s[0:3], 0 offset:352
	buffer_load_dword v45, off, s[0:3], 0 offset:364
	buffer_load_dword v44, off, s[0:3], 0 offset:360
	buffer_load_dword v47, off, s[0:3], 0 offset:372
	buffer_load_dword v46, off, s[0:3], 0 offset:368
	buffer_load_dword v49, off, s[0:3], 0 offset:380
	buffer_load_dword v48, off, s[0:3], 0 offset:376
	buffer_load_dword v51, off, s[0:3], 0 offset:388
	buffer_load_dword v50, off, s[0:3], 0 offset:384
	v_mul_f32_e32 v5, v21, v62
	v_fma_f32 v5, v20, v61, -v5
	v_add_f32_e32 v30, v1, v5
	ds_read2_b64 v[6:9], v4 offset0:93 offset1:94
	ds_read2_b64 v[10:13], v4 offset0:95 offset1:96
	;; [unrolled: 1-line block ×3, first 2 shown]
	s_waitcnt vmcnt(18) lgkmcnt(4)
	v_mul_f32_e32 v33, v22, v64
	s_waitcnt vmcnt(15)
	v_mov_b32_e32 v18, v37
	v_mul_f32_e32 v1, v23, v64
	s_waitcnt lgkmcnt(3)
	v_pk_mul_f32 v[18:19], v[26:27], v[18:19] op_sel_hi:[1,0]
	v_fmac_f32_e32 v33, v23, v63
	v_mul_f32_e32 v35, v24, v66
	v_fma_f32 v32, v22, v63, -v1
	v_mul_f32_e32 v1, v25, v66
	s_waitcnt vmcnt(14)
	v_pk_fma_f32 v[20:21], v[26:27], v[36:37], v[18:19] op_sel:[0,0,1] op_sel_hi:[1,1,0] neg_lo:[0,0,1] neg_hi:[0,0,1]
	v_pk_fma_f32 v[18:19], v[26:27], v[36:37], v[18:19] op_sel:[0,0,1] op_sel_hi:[1,0,0]
	v_fmac_f32_e32 v35, v25, v65
	v_fma_f32 v34, v24, v65, -v1
	v_pk_add_f32 v[4:5], v[30:31], v[32:33]
	s_waitcnt vmcnt(13)
	v_mov_b32_e32 v18, v39
	v_pk_add_f32 v[4:5], v[4:5], v[34:35]
	v_mov_b32_e32 v21, v19
	v_pk_mul_f32 v[18:19], v[28:29], v[18:19] op_sel_hi:[1,0]
	v_pk_add_f32 v[4:5], v[4:5], v[20:21]
	s_waitcnt vmcnt(12)
	v_pk_fma_f32 v[20:21], v[28:29], v[38:39], v[18:19] op_sel:[0,0,1] op_sel_hi:[1,1,0] neg_lo:[0,0,1] neg_hi:[0,0,1]
	v_pk_fma_f32 v[18:19], v[28:29], v[38:39], v[18:19] op_sel:[0,0,1] op_sel_hi:[1,0,0]
	s_waitcnt vmcnt(11)
	v_mov_b32_e32 v18, v41
	v_mov_b32_e32 v21, v19
	s_waitcnt lgkmcnt(2)
	v_pk_mul_f32 v[18:19], v[6:7], v[18:19] op_sel_hi:[1,0]
	v_pk_add_f32 v[4:5], v[4:5], v[20:21]
	s_waitcnt vmcnt(10)
	v_pk_fma_f32 v[20:21], v[6:7], v[40:41], v[18:19] op_sel:[0,0,1] op_sel_hi:[1,1,0] neg_lo:[0,0,1] neg_hi:[0,0,1]
	v_pk_fma_f32 v[6:7], v[6:7], v[40:41], v[18:19] op_sel:[0,0,1] op_sel_hi:[1,0,0]
	s_waitcnt vmcnt(9)
	v_mov_b32_e32 v6, v43
	v_mov_b32_e32 v21, v7
	v_pk_mul_f32 v[6:7], v[8:9], v[6:7] op_sel_hi:[1,0]
	s_waitcnt vmcnt(8)
	v_pk_fma_f32 v[18:19], v[8:9], v[42:43], v[6:7] op_sel:[0,0,1] op_sel_hi:[1,1,0] neg_lo:[0,0,1] neg_hi:[0,0,1]
	v_pk_fma_f32 v[6:7], v[8:9], v[42:43], v[6:7] op_sel:[0,0,1] op_sel_hi:[1,0,0]
	s_waitcnt vmcnt(7)
	v_mov_b32_e32 v6, v45
	v_mov_b32_e32 v19, v7
	s_waitcnt lgkmcnt(1)
	v_pk_mul_f32 v[6:7], v[10:11], v[6:7] op_sel_hi:[1,0]
	s_waitcnt vmcnt(6)
	v_pk_fma_f32 v[8:9], v[10:11], v[44:45], v[6:7] op_sel:[0,0,1] op_sel_hi:[1,1,0] neg_lo:[0,0,1] neg_hi:[0,0,1]
	v_pk_fma_f32 v[6:7], v[10:11], v[44:45], v[6:7] op_sel:[0,0,1] op_sel_hi:[1,0,0]
	v_pk_add_f32 v[4:5], v[4:5], v[20:21]
	s_waitcnt vmcnt(5)
	v_mov_b32_e32 v6, v47
	v_pk_add_f32 v[4:5], v[4:5], v[18:19]
	v_mov_b32_e32 v9, v7
	v_pk_mul_f32 v[6:7], v[12:13], v[6:7] op_sel_hi:[1,0]
	v_pk_add_f32 v[4:5], v[4:5], v[8:9]
	s_waitcnt vmcnt(4)
	v_pk_fma_f32 v[8:9], v[12:13], v[46:47], v[6:7] op_sel:[0,0,1] op_sel_hi:[1,1,0] neg_lo:[0,0,1] neg_hi:[0,0,1]
	v_pk_fma_f32 v[6:7], v[12:13], v[46:47], v[6:7] op_sel:[0,0,1] op_sel_hi:[1,0,0]
	s_waitcnt vmcnt(3)
	v_mov_b32_e32 v6, v49
	v_mov_b32_e32 v9, v7
	s_waitcnt lgkmcnt(0)
	v_pk_mul_f32 v[6:7], v[14:15], v[6:7] op_sel_hi:[1,0]
	v_pk_add_f32 v[4:5], v[4:5], v[8:9]
	s_waitcnt vmcnt(2)
	v_pk_fma_f32 v[8:9], v[14:15], v[48:49], v[6:7] op_sel:[0,0,1] op_sel_hi:[1,1,0] neg_lo:[0,0,1] neg_hi:[0,0,1]
	v_pk_fma_f32 v[6:7], v[14:15], v[48:49], v[6:7] op_sel:[0,0,1] op_sel_hi:[1,0,0]
	s_waitcnt vmcnt(1)
	v_mov_b32_e32 v6, v51
	v_mov_b32_e32 v9, v7
	v_pk_mul_f32 v[6:7], v[16:17], v[6:7] op_sel_hi:[1,0]
	v_pk_add_f32 v[4:5], v[4:5], v[8:9]
	s_waitcnt vmcnt(0)
	v_pk_fma_f32 v[8:9], v[16:17], v[50:51], v[6:7] op_sel:[0,0,1] op_sel_hi:[1,1,0] neg_lo:[0,0,1] neg_hi:[0,0,1]
	v_pk_fma_f32 v[6:7], v[16:17], v[50:51], v[6:7] op_sel:[0,0,1] op_sel_hi:[1,0,0]
	v_mov_b32_e32 v9, v7
	v_pk_add_f32 v[4:5], v[4:5], v[8:9]
	v_pk_add_f32 v[2:3], v[2:3], v[4:5] neg_lo:[0,1] neg_hi:[0,1]
	buffer_store_dword v3, off, s[0:3], 0 offset:244
	buffer_store_dword v2, off, s[0:3], 0 offset:240
	s_and_saveexec_b64 s[4:5], vcc
	s_cbranch_execz .LBB48_249
; %bb.248:
	buffer_load_dword v2, off, s[0:3], 0 offset:232
	buffer_load_dword v3, off, s[0:3], 0 offset:236
	v_mov_b32_e32 v1, 0
	v_accvgpr_read_b32 v4, a24
	buffer_store_dword v1, off, s[0:3], 0 offset:232
	buffer_store_dword v1, off, s[0:3], 0 offset:236
	s_waitcnt vmcnt(2)
	ds_write_b64 v4, v[2:3]
.LBB48_249:
	s_or_b64 exec, exec, s[4:5]
	s_waitcnt lgkmcnt(0)
	; wave barrier
	s_waitcnt lgkmcnt(0)
	buffer_load_dword v44, off, s[0:3], 0 offset:244
	buffer_load_dword v46, off, s[0:3], 0 offset:252
	;; [unrolled: 1-line block ×40, first 2 shown]
	v_mov_b32_e32 v1, 0
	ds_read_b128 v[2:5], v1 offset:640
	ds_read_b128 v[6:9], v1 offset:656
	;; [unrolled: 1-line block ×6, first 2 shown]
	v_cmp_lt_u32_e32 vcc, 28, v0
	s_waitcnt vmcnt(39) lgkmcnt(5)
	v_mul_f32_e32 v68, v2, v44
	s_waitcnt vmcnt(38)
	v_mul_f32_e32 v69, v4, v46
	s_waitcnt vmcnt(37) lgkmcnt(4)
	v_mul_f32_e32 v70, v6, v48
	v_mul_f32_e32 v44, v3, v44
	;; [unrolled: 1-line block ×4, first 2 shown]
	s_waitcnt vmcnt(36)
	v_mul_f32_e32 v71, v8, v49
	s_waitcnt vmcnt(35) lgkmcnt(3)
	v_mul_f32_e32 v72, v10, v50
	s_waitcnt vmcnt(34)
	v_mul_f32_e32 v73, v12, v51
	s_waitcnt vmcnt(33) lgkmcnt(2)
	v_mul_f32_e32 v74, v14, v52
	s_waitcnt vmcnt(32)
	v_mul_f32_e32 v75, v16, v53
	s_waitcnt vmcnt(28)
	v_fmac_f32_e32 v68, v3, v57
	s_waitcnt vmcnt(27)
	v_fmac_f32_e32 v69, v5, v58
	v_fma_f32 v2, v2, v57, -v44
	v_fma_f32 v3, v4, v58, -v46
	s_waitcnt vmcnt(26)
	v_fma_f32 v4, v6, v59, -v48
	v_add_f32_e32 v6, 0, v68
	v_fmac_f32_e32 v70, v7, v59
	v_add_f32_e32 v2, 0, v2
	v_add_f32_e32 v6, v6, v69
	s_waitcnt vmcnt(25)
	v_fmac_f32_e32 v71, v9, v60
	v_add_f32_e32 v2, v2, v3
	v_add_f32_e32 v3, v6, v70
	s_waitcnt vmcnt(24)
	v_fmac_f32_e32 v72, v11, v61
	v_add_f32_e32 v3, v3, v71
	s_waitcnt vmcnt(23)
	v_fmac_f32_e32 v73, v13, v62
	;; [unrolled: 3-line block ×3, first 2 shown]
	v_add_f32_e32 v3, v3, v73
	s_waitcnt lgkmcnt(1)
	v_mul_f32_e32 v76, v18, v54
	s_waitcnt vmcnt(21)
	v_fmac_f32_e32 v75, v17, v64
	v_add_f32_e32 v3, v3, v74
	v_mul_f32_e32 v49, v9, v49
	s_waitcnt vmcnt(20)
	v_fmac_f32_e32 v76, v19, v65
	v_add_f32_e32 v3, v3, v75
	v_fma_f32 v5, v8, v60, -v49
	v_add_f32_e32 v2, v2, v4
	v_add_f32_e32 v49, v3, v76
	v_mul_f32_e32 v3, v11, v50
	v_add_f32_e32 v2, v2, v5
	v_fma_f32 v3, v10, v61, -v3
	v_add_f32_e32 v2, v2, v3
	v_mul_f32_e32 v3, v13, v51
	v_fma_f32 v3, v12, v62, -v3
	v_add_f32_e32 v2, v2, v3
	v_mul_f32_e32 v3, v15, v52
	;; [unrolled: 3-line block ×5, first 2 shown]
	s_waitcnt vmcnt(9)
	v_mov_b32_e32 v18, v35
	v_mul_f32_e32 v45, v20, v55
	v_fma_f32 v44, v20, v66, -v2
	s_waitcnt lgkmcnt(0)
	v_mul_f32_e32 v2, v23, v56
	v_pk_mul_f32 v[18:19], v[24:25], v[18:19] op_sel_hi:[1,0]
	v_mul_f32_e32 v47, v22, v56
	v_fmac_f32_e32 v45, v21, v66
	v_fma_f32 v46, v22, v67, -v2
	ds_read_b128 v[2:5], v1 offset:736
	ds_read_b128 v[6:9], v1 offset:752
	;; [unrolled: 1-line block ×3, first 2 shown]
	ds_read_b64 v[14:15], v1 offset:784
	s_waitcnt vmcnt(8)
	v_pk_fma_f32 v[20:21], v[24:25], v[34:35], v[18:19] op_sel:[0,0,1] op_sel_hi:[1,1,0] neg_lo:[0,0,1] neg_hi:[0,0,1]
	v_pk_fma_f32 v[18:19], v[24:25], v[34:35], v[18:19] op_sel:[0,0,1] op_sel_hi:[1,0,0]
	v_fmac_f32_e32 v47, v23, v67
	v_pk_add_f32 v[16:17], v[48:49], v[44:45]
	v_mov_b32_e32 v18, v33
	v_pk_add_f32 v[16:17], v[16:17], v[46:47]
	v_mov_b32_e32 v21, v19
	s_waitcnt lgkmcnt(3)
	v_pk_mul_f32 v[18:19], v[2:3], v[18:19] op_sel_hi:[1,0]
	v_pk_add_f32 v[16:17], v[16:17], v[20:21]
	v_pk_fma_f32 v[20:21], v[2:3], v[32:33], v[18:19] op_sel:[0,0,1] op_sel_hi:[1,1,0] neg_lo:[0,0,1] neg_hi:[0,0,1]
	v_pk_fma_f32 v[2:3], v[2:3], v[32:33], v[18:19] op_sel:[0,0,1] op_sel_hi:[1,0,0]
	v_mov_b32_e32 v21, v3
	v_pk_add_f32 v[2:3], v[16:17], v[20:21]
	v_mov_b32_e32 v16, v31
	v_pk_mul_f32 v[16:17], v[4:5], v[16:17] op_sel_hi:[1,0]
	v_pk_fma_f32 v[18:19], v[4:5], v[30:31], v[16:17] op_sel:[0,0,1] op_sel_hi:[1,1,0] neg_lo:[0,0,1] neg_hi:[0,0,1]
	v_pk_fma_f32 v[4:5], v[4:5], v[30:31], v[16:17] op_sel:[0,0,1] op_sel_hi:[1,0,0]
	v_mov_b32_e32 v4, v29
	v_mov_b32_e32 v19, v5
	s_waitcnt lgkmcnt(2)
	v_pk_mul_f32 v[4:5], v[6:7], v[4:5] op_sel_hi:[1,0]
	v_pk_fma_f32 v[16:17], v[6:7], v[28:29], v[4:5] op_sel:[0,0,1] op_sel_hi:[1,1,0] neg_lo:[0,0,1] neg_hi:[0,0,1]
	v_pk_fma_f32 v[4:5], v[6:7], v[28:29], v[4:5] op_sel:[0,0,1] op_sel_hi:[1,0,0]
	s_waitcnt vmcnt(1)
	v_mov_b32_e32 v4, v43
	v_mov_b32_e32 v17, v5
	v_pk_mul_f32 v[4:5], v[8:9], v[4:5] op_sel_hi:[1,0]
	s_waitcnt vmcnt(0)
	v_pk_fma_f32 v[6:7], v[8:9], v[42:43], v[4:5] op_sel:[0,0,1] op_sel_hi:[1,1,0] neg_lo:[0,0,1] neg_hi:[0,0,1]
	v_pk_fma_f32 v[4:5], v[8:9], v[42:43], v[4:5] op_sel:[0,0,1] op_sel_hi:[1,0,0]
	v_pk_add_f32 v[2:3], v[2:3], v[18:19]
	v_mov_b32_e32 v4, v41
	v_pk_add_f32 v[2:3], v[2:3], v[16:17]
	v_mov_b32_e32 v7, v5
	s_waitcnt lgkmcnt(1)
	v_pk_mul_f32 v[4:5], v[10:11], v[4:5] op_sel_hi:[1,0]
	v_pk_add_f32 v[2:3], v[2:3], v[6:7]
	v_pk_fma_f32 v[6:7], v[10:11], v[40:41], v[4:5] op_sel:[0,0,1] op_sel_hi:[1,1,0] neg_lo:[0,0,1] neg_hi:[0,0,1]
	v_pk_fma_f32 v[4:5], v[10:11], v[40:41], v[4:5] op_sel:[0,0,1] op_sel_hi:[1,0,0]
	v_mov_b32_e32 v4, v39
	v_mov_b32_e32 v7, v5
	v_pk_mul_f32 v[4:5], v[12:13], v[4:5] op_sel_hi:[1,0]
	v_pk_add_f32 v[2:3], v[2:3], v[6:7]
	v_pk_fma_f32 v[6:7], v[12:13], v[38:39], v[4:5] op_sel:[0,0,1] op_sel_hi:[1,1,0] neg_lo:[0,0,1] neg_hi:[0,0,1]
	v_pk_fma_f32 v[4:5], v[12:13], v[38:39], v[4:5] op_sel:[0,0,1] op_sel_hi:[1,0,0]
	v_mov_b32_e32 v4, v37
	v_mov_b32_e32 v7, v5
	s_waitcnt lgkmcnt(0)
	v_pk_mul_f32 v[4:5], v[14:15], v[4:5] op_sel_hi:[1,0]
	v_pk_add_f32 v[2:3], v[2:3], v[6:7]
	v_pk_fma_f32 v[6:7], v[14:15], v[36:37], v[4:5] op_sel:[0,0,1] op_sel_hi:[1,1,0] neg_lo:[0,0,1] neg_hi:[0,0,1]
	v_pk_fma_f32 v[4:5], v[14:15], v[36:37], v[4:5] op_sel:[0,0,1] op_sel_hi:[1,0,0]
	v_mov_b32_e32 v7, v5
	v_pk_add_f32 v[2:3], v[2:3], v[6:7]
	v_pk_add_f32 v[2:3], v[26:27], v[2:3] neg_lo:[0,1] neg_hi:[0,1]
	buffer_store_dword v3, off, s[0:3], 0 offset:236
	buffer_store_dword v2, off, s[0:3], 0 offset:232
	s_and_saveexec_b64 s[4:5], vcc
	s_cbranch_execz .LBB48_251
; %bb.250:
	buffer_load_dword v2, off, s[0:3], 0 offset:224
	buffer_load_dword v3, off, s[0:3], 0 offset:228
	v_accvgpr_read_b32 v4, a24
	buffer_store_dword v1, off, s[0:3], 0 offset:224
	buffer_store_dword v1, off, s[0:3], 0 offset:228
	s_waitcnt vmcnt(2)
	ds_write_b64 v4, v[2:3]
.LBB48_251:
	s_or_b64 exec, exec, s[4:5]
	s_waitcnt lgkmcnt(0)
	; wave barrier
	s_waitcnt lgkmcnt(0)
	buffer_load_dword v44, off, s[0:3], 0 offset:236
	buffer_load_dword v46, off, s[0:3], 0 offset:244
	;; [unrolled: 1-line block ×26, first 2 shown]
	ds_read2_b64 v[2:5], v1 offset0:79 offset1:80
	ds_read2_b64 v[6:9], v1 offset0:81 offset1:82
	;; [unrolled: 1-line block ×6, first 2 shown]
	buffer_load_dword v29, off, s[0:3], 0 offset:348
	buffer_load_dword v28, off, s[0:3], 0 offset:344
	;; [unrolled: 1-line block ×16, first 2 shown]
	v_cmp_lt_u32_e32 vcc, 27, v0
	s_waitcnt vmcnt(41) lgkmcnt(5)
	v_mul_f32_e32 v70, v2, v44
	s_waitcnt vmcnt(40)
	v_mul_f32_e32 v71, v4, v46
	v_mul_f32_e32 v44, v3, v44
	s_waitcnt vmcnt(39) lgkmcnt(4)
	v_mul_f32_e32 v72, v6, v48
	v_mul_f32_e32 v46, v5, v46
	s_waitcnt vmcnt(38)
	v_mul_f32_e32 v73, v8, v50
	s_waitcnt vmcnt(37) lgkmcnt(3)
	v_mul_f32_e32 v74, v10, v51
	s_waitcnt vmcnt(36)
	v_mul_f32_e32 v75, v12, v52
	s_waitcnt vmcnt(35) lgkmcnt(2)
	;; [unrolled: 4-line block ×3, first 2 shown]
	v_mul_f32_e32 v176, v18, v55
	s_waitcnt vmcnt(32)
	v_mul_f32_e32 v177, v20, v56
	s_waitcnt vmcnt(29)
	v_fmac_f32_e32 v70, v3, v49
	s_waitcnt vmcnt(28)
	v_fmac_f32_e32 v71, v5, v59
	v_fma_f32 v2, v2, v49, -v44
	v_add_f32_e32 v5, 0, v70
	s_waitcnt vmcnt(27)
	v_fmac_f32_e32 v72, v7, v60
	v_fma_f32 v3, v4, v59, -v46
	v_add_f32_e32 v2, 0, v2
	v_add_f32_e32 v5, v5, v71
	s_waitcnt vmcnt(26)
	v_fmac_f32_e32 v73, v9, v61
	v_add_f32_e32 v2, v2, v3
	v_add_f32_e32 v3, v5, v72
	s_waitcnt vmcnt(25)
	v_fmac_f32_e32 v74, v11, v62
	v_add_f32_e32 v3, v3, v73
	s_waitcnt vmcnt(24)
	v_fmac_f32_e32 v75, v13, v63
	;; [unrolled: 3-line block ×5, first 2 shown]
	v_add_f32_e32 v3, v3, v77
	v_mul_f32_e32 v48, v7, v48
	s_waitcnt vmcnt(20)
	v_fmac_f32_e32 v177, v21, v67
	v_add_f32_e32 v3, v3, v176
	v_fma_f32 v4, v6, v60, -v48
	v_add_f32_e32 v49, v3, v177
	v_mul_f32_e32 v3, v9, v50
	v_add_f32_e32 v2, v2, v4
	v_fma_f32 v3, v8, v61, -v3
	v_add_f32_e32 v2, v2, v3
	v_mul_f32_e32 v3, v11, v51
	v_fma_f32 v3, v10, v62, -v3
	v_add_f32_e32 v2, v2, v3
	v_mul_f32_e32 v3, v13, v52
	;; [unrolled: 3-line block ×6, first 2 shown]
	v_fma_f32 v3, v20, v67, -v3
	v_add_f32_e32 v48, v2, v3
	s_waitcnt lgkmcnt(0)
	v_mul_f32_e32 v2, v23, v57
	s_waitcnt vmcnt(19)
	v_fma_f32 v44, v22, v68, -v2
	v_mul_f32_e32 v2, v25, v58
	s_waitcnt vmcnt(18)
	v_fma_f32 v46, v24, v69, -v2
	ds_read2_b64 v[2:5], v1 offset0:91 offset1:92
	ds_read2_b64 v[6:9], v1 offset0:93 offset1:94
	;; [unrolled: 1-line block ×4, first 2 shown]
	v_mul_f32_e32 v45, v22, v57
	s_waitcnt vmcnt(11)
	v_mov_b32_e32 v20, v33
	v_mul_f32_e32 v47, v24, v58
	v_fmac_f32_e32 v45, v23, v68
	s_waitcnt lgkmcnt(3)
	v_pk_mul_f32 v[20:21], v[2:3], v[20:21] op_sel_hi:[1,0]
	v_fmac_f32_e32 v47, v25, v69
	v_pk_add_f32 v[18:19], v[48:49], v[44:45]
	s_waitcnt vmcnt(10)
	v_pk_fma_f32 v[22:23], v[2:3], v[32:33], v[20:21] op_sel:[0,0,1] op_sel_hi:[1,1,0] neg_lo:[0,0,1] neg_hi:[0,0,1]
	v_pk_fma_f32 v[2:3], v[2:3], v[32:33], v[20:21] op_sel:[0,0,1] op_sel_hi:[1,0,0]
	v_pk_add_f32 v[18:19], v[18:19], v[46:47]
	v_mov_b32_e32 v23, v3
	v_pk_add_f32 v[2:3], v[18:19], v[22:23]
	v_mov_b32_e32 v18, v31
	v_pk_mul_f32 v[18:19], v[4:5], v[18:19] op_sel_hi:[1,0]
	v_pk_fma_f32 v[20:21], v[4:5], v[30:31], v[18:19] op_sel:[0,0,1] op_sel_hi:[1,1,0] neg_lo:[0,0,1] neg_hi:[0,0,1]
	v_pk_fma_f32 v[4:5], v[4:5], v[30:31], v[18:19] op_sel:[0,0,1] op_sel_hi:[1,0,0]
	v_mov_b32_e32 v4, v29
	v_mov_b32_e32 v21, v5
	s_waitcnt lgkmcnt(2)
	v_pk_mul_f32 v[4:5], v[6:7], v[4:5] op_sel_hi:[1,0]
	v_pk_fma_f32 v[18:19], v[6:7], v[28:29], v[4:5] op_sel:[0,0,1] op_sel_hi:[1,1,0] neg_lo:[0,0,1] neg_hi:[0,0,1]
	v_pk_fma_f32 v[4:5], v[6:7], v[28:29], v[4:5] op_sel:[0,0,1] op_sel_hi:[1,0,0]
	s_waitcnt vmcnt(3)
	v_mov_b32_e32 v4, v41
	v_mov_b32_e32 v19, v5
	v_pk_mul_f32 v[4:5], v[8:9], v[4:5] op_sel_hi:[1,0]
	s_waitcnt vmcnt(2)
	v_pk_fma_f32 v[6:7], v[8:9], v[40:41], v[4:5] op_sel:[0,0,1] op_sel_hi:[1,1,0] neg_lo:[0,0,1] neg_hi:[0,0,1]
	v_pk_fma_f32 v[4:5], v[8:9], v[40:41], v[4:5] op_sel:[0,0,1] op_sel_hi:[1,0,0]
	v_pk_add_f32 v[2:3], v[2:3], v[20:21]
	v_mov_b32_e32 v4, v39
	v_pk_add_f32 v[2:3], v[2:3], v[18:19]
	v_mov_b32_e32 v7, v5
	s_waitcnt lgkmcnt(1)
	v_pk_mul_f32 v[4:5], v[10:11], v[4:5] op_sel_hi:[1,0]
	v_pk_add_f32 v[2:3], v[2:3], v[6:7]
	v_pk_fma_f32 v[6:7], v[10:11], v[38:39], v[4:5] op_sel:[0,0,1] op_sel_hi:[1,1,0] neg_lo:[0,0,1] neg_hi:[0,0,1]
	v_pk_fma_f32 v[4:5], v[10:11], v[38:39], v[4:5] op_sel:[0,0,1] op_sel_hi:[1,0,0]
	v_mov_b32_e32 v4, v37
	v_mov_b32_e32 v7, v5
	v_pk_mul_f32 v[4:5], v[12:13], v[4:5] op_sel_hi:[1,0]
	v_pk_add_f32 v[2:3], v[2:3], v[6:7]
	v_pk_fma_f32 v[6:7], v[12:13], v[36:37], v[4:5] op_sel:[0,0,1] op_sel_hi:[1,1,0] neg_lo:[0,0,1] neg_hi:[0,0,1]
	v_pk_fma_f32 v[4:5], v[12:13], v[36:37], v[4:5] op_sel:[0,0,1] op_sel_hi:[1,0,0]
	v_mov_b32_e32 v4, v35
	v_mov_b32_e32 v7, v5
	s_waitcnt lgkmcnt(0)
	v_pk_mul_f32 v[4:5], v[14:15], v[4:5] op_sel_hi:[1,0]
	v_pk_add_f32 v[2:3], v[2:3], v[6:7]
	v_pk_fma_f32 v[6:7], v[14:15], v[34:35], v[4:5] op_sel:[0,0,1] op_sel_hi:[1,1,0] neg_lo:[0,0,1] neg_hi:[0,0,1]
	v_pk_fma_f32 v[4:5], v[14:15], v[34:35], v[4:5] op_sel:[0,0,1] op_sel_hi:[1,0,0]
	s_waitcnt vmcnt(1)
	v_mov_b32_e32 v4, v43
	v_mov_b32_e32 v7, v5
	v_pk_mul_f32 v[4:5], v[16:17], v[4:5] op_sel_hi:[1,0]
	v_pk_add_f32 v[2:3], v[2:3], v[6:7]
	s_waitcnt vmcnt(0)
	v_pk_fma_f32 v[6:7], v[16:17], v[42:43], v[4:5] op_sel:[0,0,1] op_sel_hi:[1,1,0] neg_lo:[0,0,1] neg_hi:[0,0,1]
	v_pk_fma_f32 v[4:5], v[16:17], v[42:43], v[4:5] op_sel:[0,0,1] op_sel_hi:[1,0,0]
	v_mov_b32_e32 v7, v5
	v_pk_add_f32 v[2:3], v[2:3], v[6:7]
	v_pk_add_f32 v[2:3], v[26:27], v[2:3] neg_lo:[0,1] neg_hi:[0,1]
	buffer_store_dword v3, off, s[0:3], 0 offset:228
	buffer_store_dword v2, off, s[0:3], 0 offset:224
	s_and_saveexec_b64 s[4:5], vcc
	s_cbranch_execz .LBB48_253
; %bb.252:
	buffer_load_dword v2, off, s[0:3], 0 offset:216
	buffer_load_dword v3, off, s[0:3], 0 offset:220
	v_mov_b32_e32 v1, 0
	v_accvgpr_read_b32 v4, a24
	buffer_store_dword v1, off, s[0:3], 0 offset:216
	buffer_store_dword v1, off, s[0:3], 0 offset:220
	s_waitcnt vmcnt(2)
	ds_write_b64 v4, v[2:3]
.LBB48_253:
	s_or_b64 exec, exec, s[4:5]
	s_waitcnt lgkmcnt(0)
	; wave barrier
	s_waitcnt lgkmcnt(0)
	buffer_load_dword v1, off, s[0:3], 0 offset:228
	buffer_load_dword v3, off, s[0:3], 0 offset:236
	;; [unrolled: 1-line block ×44, first 2 shown]
	v_mov_b32_e32 v2, 0
	ds_read_b128 v[4:7], v2 offset:624
	ds_read_b128 v[8:11], v2 offset:640
	;; [unrolled: 1-line block ×8, first 2 shown]
	v_cmp_lt_u32_e32 vcc, 26, v0
	s_waitcnt vmcnt(43) lgkmcnt(7)
	v_mul_f32_e32 v59, v4, v1
	v_mul_f32_e32 v1, v5, v1
	s_waitcnt vmcnt(42)
	v_mul_f32_e32 v179, v6, v3
	v_mul_f32_e32 v3, v7, v3
	s_waitcnt vmcnt(41) lgkmcnt(6)
	v_mul_f32_e32 v180, v8, v54
	s_waitcnt vmcnt(40)
	v_mul_f32_e32 v181, v10, v56
	s_waitcnt vmcnt(39) lgkmcnt(5)
	v_mul_f32_e32 v182, v12, v58
	s_waitcnt vmcnt(38)
	;; [unrolled: 4-line block ×5, first 2 shown]
	v_fma_f32 v1, v4, v68, -v1
	v_add_f32_e32 v1, 0, v1
	s_waitcnt vmcnt(29)
	v_fma_f32 v3, v6, v69, -v3
	v_add_f32_e32 v1, v1, v3
	v_mul_f32_e32 v3, v9, v54
	s_waitcnt vmcnt(28)
	v_fma_f32 v3, v8, v70, -v3
	v_add_f32_e32 v1, v1, v3
	v_mul_f32_e32 v3, v11, v56
	s_waitcnt vmcnt(27)
	v_fma_f32 v3, v10, v71, -v3
	v_add_f32_e32 v1, v1, v3
	v_mul_f32_e32 v3, v13, v58
	s_waitcnt vmcnt(26)
	v_fma_f32 v3, v12, v72, -v3
	v_add_f32_e32 v1, v1, v3
	v_mul_f32_e32 v3, v15, v60
	s_waitcnt vmcnt(25)
	v_fma_f32 v3, v14, v73, -v3
	v_fmac_f32_e32 v59, v5, v68
	v_add_f32_e32 v1, v1, v3
	v_mul_f32_e32 v3, v17, v61
	v_fmac_f32_e32 v179, v7, v69
	v_add_f32_e32 v5, 0, v59
	s_waitcnt vmcnt(24)
	v_fma_f32 v3, v16, v74, -v3
	v_fmac_f32_e32 v180, v9, v70
	v_add_f32_e32 v5, v5, v179
	v_add_f32_e32 v1, v1, v3
	v_mul_f32_e32 v3, v19, v62
	v_fmac_f32_e32 v181, v11, v71
	v_add_f32_e32 v5, v5, v180
	s_waitcnt vmcnt(23)
	v_fma_f32 v3, v18, v75, -v3
	v_fmac_f32_e32 v182, v13, v72
	v_add_f32_e32 v5, v5, v181
	;; [unrolled: 8-line block ×4, first 2 shown]
	v_add_f32_e32 v1, v1, v3
	v_mul_f32_e32 v3, v25, v65
	v_fmac_f32_e32 v187, v23, v77
	v_add_f32_e32 v5, v5, v186
	s_waitcnt vmcnt(20)
	v_fma_f32 v3, v24, v176, -v3
	s_waitcnt vmcnt(13)
	v_mov_b32_e32 v16, v41
	v_mul_f32_e32 v55, v26, v66
	v_fmac_f32_e32 v188, v25, v176
	v_add_f32_e32 v5, v5, v187
	v_add_f32_e32 v58, v1, v3
	v_mul_f32_e32 v1, v27, v66
	s_waitcnt lgkmcnt(1)
	v_pk_mul_f32 v[16:17], v[30:31], v[16:17] op_sel_hi:[1,0]
	v_mul_f32_e32 v57, v28, v67
	v_fmac_f32_e32 v55, v27, v177
	v_add_f32_e32 v59, v5, v188
	v_fma_f32 v54, v26, v177, -v1
	v_mul_f32_e32 v1, v29, v67
	s_waitcnt vmcnt(12)
	v_pk_fma_f32 v[18:19], v[30:31], v[40:41], v[16:17] op_sel:[0,0,1] op_sel_hi:[1,1,0] neg_lo:[0,0,1] neg_hi:[0,0,1]
	v_pk_fma_f32 v[16:17], v[30:31], v[40:41], v[16:17] op_sel:[0,0,1] op_sel_hi:[1,0,0]
	v_fmac_f32_e32 v57, v29, v178
	v_fma_f32 v56, v28, v178, -v1
	v_pk_add_f32 v[14:15], v[58:59], v[54:55]
	v_mov_b32_e32 v16, v39
	v_pk_add_f32 v[14:15], v[14:15], v[56:57]
	v_mov_b32_e32 v19, v17
	s_waitcnt lgkmcnt(0)
	v_pk_mul_f32 v[16:17], v[32:33], v[16:17] op_sel_hi:[1,0]
	v_pk_add_f32 v[14:15], v[14:15], v[18:19]
	v_pk_fma_f32 v[18:19], v[32:33], v[38:39], v[16:17] op_sel:[0,0,1] op_sel_hi:[1,1,0] neg_lo:[0,0,1] neg_hi:[0,0,1]
	v_pk_fma_f32 v[16:17], v[32:33], v[38:39], v[16:17] op_sel:[0,0,1] op_sel_hi:[1,0,0]
	s_waitcnt vmcnt(5)
	v_mov_b32_e32 v16, v49
	ds_read_b128 v[4:7], v2 offset:752
	ds_read_b128 v[8:11], v2 offset:768
	ds_read_b64 v[12:13], v2 offset:784
	v_mov_b32_e32 v19, v17
	v_pk_mul_f32 v[16:17], v[34:35], v[16:17] op_sel_hi:[1,0]
	v_pk_add_f32 v[14:15], v[14:15], v[18:19]
	s_waitcnt vmcnt(4)
	v_pk_fma_f32 v[18:19], v[34:35], v[48:49], v[16:17] op_sel:[0,0,1] op_sel_hi:[1,1,0] neg_lo:[0,0,1] neg_hi:[0,0,1]
	v_pk_fma_f32 v[16:17], v[34:35], v[48:49], v[16:17] op_sel:[0,0,1] op_sel_hi:[1,0,0]
	v_mov_b32_e32 v16, v47
	v_mov_b32_e32 v19, v17
	s_waitcnt lgkmcnt(2)
	v_pk_mul_f32 v[16:17], v[4:5], v[16:17] op_sel_hi:[1,0]
	v_pk_add_f32 v[14:15], v[14:15], v[18:19]
	v_pk_fma_f32 v[18:19], v[4:5], v[46:47], v[16:17] op_sel:[0,0,1] op_sel_hi:[1,1,0] neg_lo:[0,0,1] neg_hi:[0,0,1]
	v_pk_fma_f32 v[4:5], v[4:5], v[46:47], v[16:17] op_sel:[0,0,1] op_sel_hi:[1,0,0]
	v_mov_b32_e32 v19, v5
	v_pk_add_f32 v[4:5], v[14:15], v[18:19]
	v_mov_b32_e32 v14, v45
	v_pk_mul_f32 v[14:15], v[6:7], v[14:15] op_sel_hi:[1,0]
	v_pk_fma_f32 v[16:17], v[6:7], v[44:45], v[14:15] op_sel:[0,0,1] op_sel_hi:[1,1,0] neg_lo:[0,0,1] neg_hi:[0,0,1]
	v_pk_fma_f32 v[6:7], v[6:7], v[44:45], v[14:15] op_sel:[0,0,1] op_sel_hi:[1,0,0]
	v_mov_b32_e32 v6, v43
	v_mov_b32_e32 v17, v7
	s_waitcnt lgkmcnt(1)
	v_pk_mul_f32 v[6:7], v[8:9], v[6:7] op_sel_hi:[1,0]
	v_pk_fma_f32 v[14:15], v[8:9], v[42:43], v[6:7] op_sel:[0,0,1] op_sel_hi:[1,1,0] neg_lo:[0,0,1] neg_hi:[0,0,1]
	v_pk_fma_f32 v[6:7], v[8:9], v[42:43], v[6:7] op_sel:[0,0,1] op_sel_hi:[1,0,0]
	s_waitcnt vmcnt(1)
	v_mov_b32_e32 v6, v53
	v_mov_b32_e32 v15, v7
	v_pk_mul_f32 v[6:7], v[10:11], v[6:7] op_sel_hi:[1,0]
	s_waitcnt vmcnt(0)
	v_pk_fma_f32 v[8:9], v[10:11], v[52:53], v[6:7] op_sel:[0,0,1] op_sel_hi:[1,1,0] neg_lo:[0,0,1] neg_hi:[0,0,1]
	v_pk_fma_f32 v[6:7], v[10:11], v[52:53], v[6:7] op_sel:[0,0,1] op_sel_hi:[1,0,0]
	v_pk_add_f32 v[4:5], v[4:5], v[16:17]
	v_mov_b32_e32 v6, v51
	v_pk_add_f32 v[4:5], v[4:5], v[14:15]
	v_mov_b32_e32 v9, v7
	s_waitcnt lgkmcnt(0)
	v_pk_mul_f32 v[6:7], v[12:13], v[6:7] op_sel_hi:[1,0]
	v_pk_add_f32 v[4:5], v[4:5], v[8:9]
	v_pk_fma_f32 v[8:9], v[12:13], v[50:51], v[6:7] op_sel:[0,0,1] op_sel_hi:[1,1,0] neg_lo:[0,0,1] neg_hi:[0,0,1]
	v_pk_fma_f32 v[6:7], v[12:13], v[50:51], v[6:7] op_sel:[0,0,1] op_sel_hi:[1,0,0]
	v_mov_b32_e32 v9, v7
	v_pk_add_f32 v[4:5], v[4:5], v[8:9]
	v_pk_add_f32 v[4:5], v[36:37], v[4:5] neg_lo:[0,1] neg_hi:[0,1]
	buffer_store_dword v5, off, s[0:3], 0 offset:220
	buffer_store_dword v4, off, s[0:3], 0 offset:216
	s_and_saveexec_b64 s[4:5], vcc
	s_cbranch_execz .LBB48_255
; %bb.254:
	buffer_load_dword v4, off, s[0:3], 0 offset:208
	buffer_load_dword v5, off, s[0:3], 0 offset:212
	v_accvgpr_read_b32 v1, a24
	buffer_store_dword v2, off, s[0:3], 0 offset:208
	buffer_store_dword v2, off, s[0:3], 0 offset:212
	s_waitcnt vmcnt(2)
	ds_write_b64 v1, v[4:5]
.LBB48_255:
	s_or_b64 exec, exec, s[4:5]
	s_waitcnt lgkmcnt(0)
	; wave barrier
	s_waitcnt lgkmcnt(0)
	buffer_load_dword v1, off, s[0:3], 0 offset:220
	buffer_load_dword v3, off, s[0:3], 0 offset:228
	;; [unrolled: 1-line block ×30, first 2 shown]
	ds_read2_b64 v[4:7], v2 offset0:77 offset1:78
	ds_read2_b64 v[8:11], v2 offset0:79 offset1:80
	;; [unrolled: 1-line block ×6, first 2 shown]
	buffer_load_dword v39, off, s[0:3], 0 offset:332
	buffer_load_dword v38, off, s[0:3], 0 offset:328
	ds_read2_b64 v[28:31], v2 offset0:89 offset1:90
	ds_read2_b64 v[32:35], v2 offset0:91 offset1:92
	buffer_load_dword v41, off, s[0:3], 0 offset:364
	buffer_load_dword v40, off, s[0:3], 0 offset:360
	;; [unrolled: 1-line block ×14, first 2 shown]
	v_cmp_lt_u32_e32 vcc, 25, v0
	s_waitcnt vmcnt(45) lgkmcnt(7)
	v_mul_f32_e32 v57, v4, v1
	v_mul_f32_e32 v1, v5, v1
	s_waitcnt vmcnt(44)
	v_mul_f32_e32 v59, v6, v3
	v_mul_f32_e32 v3, v7, v3
	s_waitcnt vmcnt(43) lgkmcnt(6)
	v_mul_f32_e32 v181, v8, v54
	s_waitcnt vmcnt(42)
	v_mul_f32_e32 v182, v10, v56
	s_waitcnt vmcnt(41) lgkmcnt(5)
	v_mul_f32_e32 v183, v12, v58
	s_waitcnt vmcnt(40)
	v_mul_f32_e32 v184, v14, v60
	s_waitcnt vmcnt(39) lgkmcnt(4)
	v_mul_f32_e32 v185, v16, v61
	s_waitcnt vmcnt(38)
	v_mul_f32_e32 v186, v18, v62
	s_waitcnt vmcnt(37) lgkmcnt(3)
	v_mul_f32_e32 v187, v20, v63
	s_waitcnt vmcnt(36)
	v_mul_f32_e32 v188, v22, v64
	s_waitcnt vmcnt(35) lgkmcnt(2)
	v_mul_f32_e32 v189, v24, v65
	s_waitcnt vmcnt(32)
	v_fma_f32 v1, v4, v68, -v1
	v_add_f32_e32 v1, 0, v1
	s_waitcnt vmcnt(31)
	v_fma_f32 v3, v6, v69, -v3
	v_add_f32_e32 v1, v1, v3
	v_mul_f32_e32 v3, v9, v54
	s_waitcnt vmcnt(30)
	v_fma_f32 v3, v8, v70, -v3
	v_add_f32_e32 v1, v1, v3
	v_mul_f32_e32 v3, v11, v56
	;; [unrolled: 4-line block ×5, first 2 shown]
	v_fmac_f32_e32 v57, v5, v68
	s_waitcnt vmcnt(26)
	v_fma_f32 v3, v16, v74, -v3
	v_fmac_f32_e32 v59, v7, v69
	v_add_f32_e32 v57, 0, v57
	v_add_f32_e32 v1, v1, v3
	v_mul_f32_e32 v3, v19, v62
	v_fmac_f32_e32 v181, v9, v70
	v_add_f32_e32 v57, v57, v59
	s_waitcnt vmcnt(25)
	v_fma_f32 v3, v18, v75, -v3
	v_fmac_f32_e32 v182, v11, v71
	v_add_f32_e32 v57, v57, v181
	v_add_f32_e32 v1, v1, v3
	v_mul_f32_e32 v3, v21, v63
	v_fmac_f32_e32 v183, v13, v72
	v_add_f32_e32 v57, v57, v182
	;; [unrolled: 8-line block ×4, first 2 shown]
	s_waitcnt vmcnt(22)
	v_fma_f32 v3, v24, v176, -v3
	v_fmac_f32_e32 v188, v23, v77
	v_add_f32_e32 v57, v57, v187
	v_add_f32_e32 v1, v1, v3
	v_mul_f32_e32 v3, v27, v66
	v_mul_f32_e32 v190, v26, v66
	v_fmac_f32_e32 v189, v25, v176
	v_add_f32_e32 v57, v57, v188
	s_waitcnt vmcnt(21)
	v_fma_f32 v3, v26, v177, -v3
	s_waitcnt vmcnt(15)
	v_mov_b32_e32 v16, v39
	s_waitcnt lgkmcnt(1)
	v_mul_f32_e32 v55, v28, v67
	v_fmac_f32_e32 v190, v27, v177
	v_add_f32_e32 v57, v57, v189
	v_add_f32_e32 v56, v1, v3
	v_mul_f32_e32 v1, v29, v67
	s_waitcnt lgkmcnt(0)
	v_pk_mul_f32 v[16:17], v[32:33], v[16:17] op_sel_hi:[1,0]
	v_fmac_f32_e32 v55, v29, v178
	v_add_f32_e32 v57, v57, v190
	v_mul_f32_e32 v59, v30, v179
	v_fma_f32 v54, v28, v178, -v1
	v_mul_f32_e32 v1, v31, v179
	s_waitcnt vmcnt(14)
	v_pk_fma_f32 v[18:19], v[32:33], v[38:39], v[16:17] op_sel:[0,0,1] op_sel_hi:[1,1,0] neg_lo:[0,0,1] neg_hi:[0,0,1]
	v_pk_fma_f32 v[16:17], v[32:33], v[38:39], v[16:17] op_sel:[0,0,1] op_sel_hi:[1,0,0]
	v_fmac_f32_e32 v59, v31, v180
	v_fma_f32 v58, v30, v180, -v1
	ds_read2_b64 v[4:7], v2 offset0:93 offset1:94
	ds_read2_b64 v[8:11], v2 offset0:95 offset1:96
	;; [unrolled: 1-line block ×3, first 2 shown]
	v_pk_add_f32 v[2:3], v[56:57], v[54:55]
	s_waitcnt vmcnt(7)
	v_mov_b32_e32 v16, v47
	v_pk_add_f32 v[2:3], v[2:3], v[58:59]
	v_mov_b32_e32 v19, v17
	v_pk_mul_f32 v[16:17], v[34:35], v[16:17] op_sel_hi:[1,0]
	v_pk_add_f32 v[2:3], v[2:3], v[18:19]
	s_waitcnt vmcnt(6)
	v_pk_fma_f32 v[18:19], v[34:35], v[46:47], v[16:17] op_sel:[0,0,1] op_sel_hi:[1,1,0] neg_lo:[0,0,1] neg_hi:[0,0,1]
	v_pk_fma_f32 v[16:17], v[34:35], v[46:47], v[16:17] op_sel:[0,0,1] op_sel_hi:[1,0,0]
	v_mov_b32_e32 v16, v45
	v_mov_b32_e32 v19, v17
	s_waitcnt lgkmcnt(2)
	v_pk_mul_f32 v[16:17], v[4:5], v[16:17] op_sel_hi:[1,0]
	v_pk_add_f32 v[2:3], v[2:3], v[18:19]
	v_pk_fma_f32 v[18:19], v[4:5], v[44:45], v[16:17] op_sel:[0,0,1] op_sel_hi:[1,1,0] neg_lo:[0,0,1] neg_hi:[0,0,1]
	v_pk_fma_f32 v[4:5], v[4:5], v[44:45], v[16:17] op_sel:[0,0,1] op_sel_hi:[1,0,0]
	v_mov_b32_e32 v4, v43
	v_mov_b32_e32 v19, v5
	v_pk_mul_f32 v[4:5], v[6:7], v[4:5] op_sel_hi:[1,0]
	v_pk_fma_f32 v[16:17], v[6:7], v[42:43], v[4:5] op_sel:[0,0,1] op_sel_hi:[1,1,0] neg_lo:[0,0,1] neg_hi:[0,0,1]
	v_pk_fma_f32 v[4:5], v[6:7], v[42:43], v[4:5] op_sel:[0,0,1] op_sel_hi:[1,0,0]
	v_mov_b32_e32 v4, v41
	v_mov_b32_e32 v17, v5
	s_waitcnt lgkmcnt(1)
	v_pk_mul_f32 v[4:5], v[8:9], v[4:5] op_sel_hi:[1,0]
	v_pk_fma_f32 v[6:7], v[8:9], v[40:41], v[4:5] op_sel:[0,0,1] op_sel_hi:[1,1,0] neg_lo:[0,0,1] neg_hi:[0,0,1]
	v_pk_fma_f32 v[4:5], v[8:9], v[40:41], v[4:5] op_sel:[0,0,1] op_sel_hi:[1,0,0]
	v_pk_add_f32 v[2:3], v[2:3], v[18:19]
	s_waitcnt vmcnt(1)
	v_mov_b32_e32 v4, v53
	v_pk_add_f32 v[2:3], v[2:3], v[16:17]
	v_mov_b32_e32 v7, v5
	v_pk_mul_f32 v[4:5], v[10:11], v[4:5] op_sel_hi:[1,0]
	v_pk_add_f32 v[2:3], v[2:3], v[6:7]
	s_waitcnt vmcnt(0)
	v_pk_fma_f32 v[6:7], v[10:11], v[52:53], v[4:5] op_sel:[0,0,1] op_sel_hi:[1,1,0] neg_lo:[0,0,1] neg_hi:[0,0,1]
	v_pk_fma_f32 v[4:5], v[10:11], v[52:53], v[4:5] op_sel:[0,0,1] op_sel_hi:[1,0,0]
	v_mov_b32_e32 v4, v51
	v_mov_b32_e32 v7, v5
	s_waitcnt lgkmcnt(0)
	v_pk_mul_f32 v[4:5], v[12:13], v[4:5] op_sel_hi:[1,0]
	v_pk_add_f32 v[2:3], v[2:3], v[6:7]
	v_pk_fma_f32 v[6:7], v[12:13], v[50:51], v[4:5] op_sel:[0,0,1] op_sel_hi:[1,1,0] neg_lo:[0,0,1] neg_hi:[0,0,1]
	v_pk_fma_f32 v[4:5], v[12:13], v[50:51], v[4:5] op_sel:[0,0,1] op_sel_hi:[1,0,0]
	v_mov_b32_e32 v4, v49
	v_mov_b32_e32 v7, v5
	v_pk_mul_f32 v[4:5], v[14:15], v[4:5] op_sel_hi:[1,0]
	v_pk_add_f32 v[2:3], v[2:3], v[6:7]
	v_pk_fma_f32 v[6:7], v[14:15], v[48:49], v[4:5] op_sel:[0,0,1] op_sel_hi:[1,1,0] neg_lo:[0,0,1] neg_hi:[0,0,1]
	v_pk_fma_f32 v[4:5], v[14:15], v[48:49], v[4:5] op_sel:[0,0,1] op_sel_hi:[1,0,0]
	v_mov_b32_e32 v7, v5
	v_pk_add_f32 v[2:3], v[2:3], v[6:7]
	v_pk_add_f32 v[2:3], v[36:37], v[2:3] neg_lo:[0,1] neg_hi:[0,1]
	buffer_store_dword v3, off, s[0:3], 0 offset:212
	buffer_store_dword v2, off, s[0:3], 0 offset:208
	s_and_saveexec_b64 s[4:5], vcc
	s_cbranch_execz .LBB48_257
; %bb.256:
	buffer_load_dword v2, off, s[0:3], 0 offset:200
	buffer_load_dword v3, off, s[0:3], 0 offset:204
	v_mov_b32_e32 v1, 0
	v_accvgpr_read_b32 v4, a24
	buffer_store_dword v1, off, s[0:3], 0 offset:200
	buffer_store_dword v1, off, s[0:3], 0 offset:204
	s_waitcnt vmcnt(2)
	ds_write_b64 v4, v[2:3]
.LBB48_257:
	s_or_b64 exec, exec, s[4:5]
	s_waitcnt lgkmcnt(0)
	; wave barrier
	s_waitcnt lgkmcnt(0)
	buffer_load_dword v1, off, s[0:3], 0 offset:212
	buffer_load_dword v3, off, s[0:3], 0 offset:220
	;; [unrolled: 1-line block ×32, first 2 shown]
	v_mov_b32_e32 v2, 0
	buffer_load_dword v39, off, s[0:3], 0 offset:356
	buffer_load_dword v38, off, s[0:3], 0 offset:352
	;; [unrolled: 1-line block ×13, first 2 shown]
	ds_read_b128 v[4:7], v2 offset:608
	ds_read_b128 v[8:11], v2 offset:624
	;; [unrolled: 1-line block ×8, first 2 shown]
	v_cmp_lt_u32_e32 vcc, 24, v0
	s_waitcnt vmcnt(44) lgkmcnt(7)
	v_mul_f32_e32 v46, v4, v1
	s_waitcnt vmcnt(43)
	v_mul_f32_e32 v53, v6, v3
	s_waitcnt vmcnt(42) lgkmcnt(6)
	v_mul_f32_e32 v54, v8, v52
	s_waitcnt vmcnt(41)
	v_mul_f32_e32 v55, v10, v56
	;; [unrolled: 4-line block ×6, first 2 shown]
	s_waitcnt vmcnt(32) lgkmcnt(1)
	v_mul_f32_e32 v189, v28, v67
	s_waitcnt vmcnt(31)
	v_fmac_f32_e32 v46, v5, v68
	s_waitcnt vmcnt(30)
	v_fmac_f32_e32 v53, v7, v69
	v_add_f32_e32 v46, 0, v46
	s_waitcnt vmcnt(29)
	v_fmac_f32_e32 v54, v9, v70
	v_add_f32_e32 v46, v46, v53
	;; [unrolled: 3-line block ×12, first 2 shown]
	v_add_f32_e32 v53, v46, v189
	buffer_load_dword v55, off, s[0:3], 0 offset:372
	buffer_load_dword v54, off, s[0:3], 0 offset:368
	;; [unrolled: 1-line block ×3, first 2 shown]
	v_mul_f32_e32 v1, v5, v1
	v_fma_f32 v1, v4, v68, -v1
	v_mul_f32_e32 v3, v7, v3
	v_add_f32_e32 v1, 0, v1
	v_fma_f32 v3, v6, v69, -v3
	v_add_f32_e32 v1, v1, v3
	v_mul_f32_e32 v3, v9, v52
	v_fma_f32 v3, v8, v70, -v3
	v_add_f32_e32 v1, v1, v3
	v_mul_f32_e32 v3, v11, v56
	v_fma_f32 v3, v10, v71, -v3
	v_add_f32_e32 v1, v1, v3
	v_mul_f32_e32 v3, v13, v58
	v_fma_f32 v3, v12, v72, -v3
	v_add_f32_e32 v1, v1, v3
	v_mul_f32_e32 v3, v15, v60
	v_fma_f32 v3, v14, v73, -v3
	v_add_f32_e32 v1, v1, v3
	v_mul_f32_e32 v3, v17, v61
	v_fma_f32 v3, v16, v74, -v3
	v_add_f32_e32 v1, v1, v3
	v_mul_f32_e32 v3, v19, v62
	v_fma_f32 v3, v18, v75, -v3
	v_add_f32_e32 v1, v1, v3
	v_mul_f32_e32 v3, v21, v63
	v_fma_f32 v3, v20, v76, -v3
	v_add_f32_e32 v1, v1, v3
	v_mul_f32_e32 v3, v23, v64
	v_fma_f32 v3, v22, v77, -v3
	v_add_f32_e32 v1, v1, v3
	v_mul_f32_e32 v3, v25, v65
	v_fma_f32 v3, v24, v176, -v3
	v_add_f32_e32 v1, v1, v3
	v_mul_f32_e32 v3, v27, v66
	v_fma_f32 v3, v26, v177, -v3
	v_add_f32_e32 v1, v1, v3
	v_mul_f32_e32 v3, v29, v67
	v_fma_f32 v3, v28, v178, -v3
	s_waitcnt vmcnt(9)
	v_mov_b32_e32 v20, v45
	v_mul_f32_e32 v57, v30, v179
	v_add_f32_e32 v52, v1, v3
	v_mul_f32_e32 v1, v31, v179
	s_waitcnt lgkmcnt(0)
	v_pk_mul_f32 v[20:21], v[34:35], v[20:21] op_sel_hi:[1,0]
	v_fmac_f32_e32 v57, v31, v180
	v_mul_f32_e32 v59, v32, v181
	v_fma_f32 v56, v30, v180, -v1
	v_mul_f32_e32 v1, v33, v181
	ds_read_b128 v[4:7], v2 offset:736
	ds_read_b128 v[8:11], v2 offset:752
	;; [unrolled: 1-line block ×3, first 2 shown]
	ds_read_b64 v[16:17], v2 offset:784
	s_waitcnt vmcnt(8)
	v_pk_fma_f32 v[22:23], v[34:35], v[44:45], v[20:21] op_sel:[0,0,1] op_sel_hi:[1,1,0] neg_lo:[0,0,1] neg_hi:[0,0,1]
	v_pk_fma_f32 v[20:21], v[34:35], v[44:45], v[20:21] op_sel:[0,0,1] op_sel_hi:[1,0,0]
	v_fmac_f32_e32 v59, v33, v182
	v_fma_f32 v58, v32, v182, -v1
	v_pk_add_f32 v[18:19], v[52:53], v[56:57]
	v_mov_b32_e32 v20, v43
	v_pk_add_f32 v[18:19], v[18:19], v[58:59]
	v_mov_b32_e32 v23, v21
	s_waitcnt lgkmcnt(3)
	v_pk_mul_f32 v[20:21], v[4:5], v[20:21] op_sel_hi:[1,0]
	v_pk_add_f32 v[18:19], v[18:19], v[22:23]
	v_pk_fma_f32 v[22:23], v[4:5], v[42:43], v[20:21] op_sel:[0,0,1] op_sel_hi:[1,1,0] neg_lo:[0,0,1] neg_hi:[0,0,1]
	v_pk_fma_f32 v[4:5], v[4:5], v[42:43], v[20:21] op_sel:[0,0,1] op_sel_hi:[1,0,0]
	v_mov_b32_e32 v23, v5
	v_pk_add_f32 v[4:5], v[18:19], v[22:23]
	v_mov_b32_e32 v18, v41
	v_pk_mul_f32 v[18:19], v[6:7], v[18:19] op_sel_hi:[1,0]
	v_pk_fma_f32 v[20:21], v[6:7], v[40:41], v[18:19] op_sel:[0,0,1] op_sel_hi:[1,1,0] neg_lo:[0,0,1] neg_hi:[0,0,1]
	v_pk_fma_f32 v[6:7], v[6:7], v[40:41], v[18:19] op_sel:[0,0,1] op_sel_hi:[1,0,0]
	v_mov_b32_e32 v6, v39
	v_mov_b32_e32 v21, v7
	s_waitcnt lgkmcnt(2)
	v_pk_mul_f32 v[6:7], v[8:9], v[6:7] op_sel_hi:[1,0]
	v_pk_fma_f32 v[18:19], v[8:9], v[38:39], v[6:7] op_sel:[0,0,1] op_sel_hi:[1,1,0] neg_lo:[0,0,1] neg_hi:[0,0,1]
	v_pk_fma_f32 v[6:7], v[8:9], v[38:39], v[6:7] op_sel:[0,0,1] op_sel_hi:[1,0,0]
	s_waitcnt vmcnt(7)
	v_mov_b32_e32 v6, v47
	v_mov_b32_e32 v19, v7
	v_pk_mul_f32 v[6:7], v[10:11], v[6:7] op_sel_hi:[1,0]
	v_pk_add_f32 v[4:5], v[4:5], v[20:21]
	v_pk_add_f32 v[4:5], v[4:5], v[18:19]
	s_waitcnt vmcnt(0)
	v_pk_fma_f32 v[8:9], v[10:11], v[46:47], v[6:7] op_sel:[0,0,1] op_sel_hi:[1,1,0] neg_lo:[0,0,1] neg_hi:[0,0,1]
	v_pk_fma_f32 v[6:7], v[10:11], v[46:47], v[6:7] op_sel:[0,0,1] op_sel_hi:[1,0,0]
	v_mov_b32_e32 v6, v55
	v_mov_b32_e32 v9, v7
	s_waitcnt lgkmcnt(1)
	v_pk_mul_f32 v[6:7], v[12:13], v[6:7] op_sel_hi:[1,0]
	v_pk_add_f32 v[4:5], v[4:5], v[8:9]
	v_pk_fma_f32 v[8:9], v[12:13], v[54:55], v[6:7] op_sel:[0,0,1] op_sel_hi:[1,1,0] neg_lo:[0,0,1] neg_hi:[0,0,1]
	v_pk_fma_f32 v[6:7], v[12:13], v[54:55], v[6:7] op_sel:[0,0,1] op_sel_hi:[1,0,0]
	v_mov_b32_e32 v6, v51
	v_mov_b32_e32 v9, v7
	v_pk_mul_f32 v[6:7], v[14:15], v[6:7] op_sel_hi:[1,0]
	v_pk_add_f32 v[4:5], v[4:5], v[8:9]
	v_pk_fma_f32 v[8:9], v[14:15], v[50:51], v[6:7] op_sel:[0,0,1] op_sel_hi:[1,1,0] neg_lo:[0,0,1] neg_hi:[0,0,1]
	v_pk_fma_f32 v[6:7], v[14:15], v[50:51], v[6:7] op_sel:[0,0,1] op_sel_hi:[1,0,0]
	v_mov_b32_e32 v6, v49
	v_mov_b32_e32 v9, v7
	s_waitcnt lgkmcnt(0)
	v_pk_mul_f32 v[6:7], v[16:17], v[6:7] op_sel_hi:[1,0]
	v_pk_add_f32 v[4:5], v[4:5], v[8:9]
	v_pk_fma_f32 v[8:9], v[16:17], v[48:49], v[6:7] op_sel:[0,0,1] op_sel_hi:[1,1,0] neg_lo:[0,0,1] neg_hi:[0,0,1]
	v_pk_fma_f32 v[6:7], v[16:17], v[48:49], v[6:7] op_sel:[0,0,1] op_sel_hi:[1,0,0]
	v_mov_b32_e32 v9, v7
	v_pk_add_f32 v[4:5], v[4:5], v[8:9]
	v_pk_add_f32 v[4:5], v[36:37], v[4:5] neg_lo:[0,1] neg_hi:[0,1]
	buffer_store_dword v5, off, s[0:3], 0 offset:204
	buffer_store_dword v4, off, s[0:3], 0 offset:200
	s_and_saveexec_b64 s[4:5], vcc
	s_cbranch_execz .LBB48_259
; %bb.258:
	buffer_load_dword v4, off, s[0:3], 0 offset:192
	buffer_load_dword v5, off, s[0:3], 0 offset:196
	v_accvgpr_read_b32 v1, a24
	buffer_store_dword v2, off, s[0:3], 0 offset:192
	buffer_store_dword v2, off, s[0:3], 0 offset:196
	s_waitcnt vmcnt(2)
	ds_write_b64 v1, v[4:5]
.LBB48_259:
	s_or_b64 exec, exec, s[4:5]
	s_waitcnt lgkmcnt(0)
	; wave barrier
	s_waitcnt lgkmcnt(0)
	buffer_load_dword v1, off, s[0:3], 0 offset:204
	buffer_load_dword v3, off, s[0:3], 0 offset:212
	;; [unrolled: 1-line block ×34, first 2 shown]
	ds_read2_b64 v[4:7], v2 offset0:75 offset1:76
	ds_read2_b64 v[8:11], v2 offset0:77 offset1:78
	;; [unrolled: 1-line block ×8, first 2 shown]
	buffer_load_dword v39, off, s[0:3], 0 offset:348
	buffer_load_dword v38, off, s[0:3], 0 offset:344
	;; [unrolled: 1-line block ×9, first 2 shown]
	v_cmp_lt_u32_e32 vcc, 23, v0
	s_waitcnt vmcnt(42) lgkmcnt(7)
	v_mul_f32_e32 v44, v4, v1
	s_waitcnt vmcnt(41)
	v_mul_f32_e32 v48, v6, v3
	s_waitcnt vmcnt(40) lgkmcnt(6)
	v_mul_f32_e32 v49, v8, v52
	s_waitcnt vmcnt(39)
	v_mul_f32_e32 v50, v10, v54
	;; [unrolled: 4-line block ×6, first 2 shown]
	s_waitcnt vmcnt(30) lgkmcnt(1)
	v_mul_f32_e32 v187, v28, v67
	v_mul_f32_e32 v1, v5, v1
	s_waitcnt vmcnt(28)
	v_fmac_f32_e32 v44, v5, v69
	s_waitcnt vmcnt(27)
	v_fmac_f32_e32 v48, v7, v70
	v_add_f32_e32 v44, 0, v44
	s_waitcnt vmcnt(26)
	v_fmac_f32_e32 v49, v9, v71
	v_add_f32_e32 v44, v44, v48
	;; [unrolled: 3-line block ×12, first 2 shown]
	v_add_f32_e32 v53, v44, v187
	buffer_load_dword v49, off, s[0:3], 0 offset:372
	buffer_load_dword v48, off, s[0:3], 0 offset:368
	;; [unrolled: 1-line block ×7, first 2 shown]
	v_fma_f32 v1, v4, v69, -v1
	v_mul_f32_e32 v3, v7, v3
	v_add_f32_e32 v1, 0, v1
	v_fma_f32 v3, v6, v70, -v3
	v_add_f32_e32 v1, v1, v3
	v_mul_f32_e32 v3, v9, v52
	v_fma_f32 v3, v8, v71, -v3
	v_add_f32_e32 v1, v1, v3
	v_mul_f32_e32 v3, v11, v54
	;; [unrolled: 3-line block ×10, first 2 shown]
	ds_read2_b64 v[4:7], v2 offset0:91 offset1:92
	ds_read2_b64 v[8:11], v2 offset0:93 offset1:94
	;; [unrolled: 1-line block ×4, first 2 shown]
	v_fma_f32 v3, v26, v178, -v3
	s_waitcnt vmcnt(11)
	v_mov_b32_e32 v20, v43
	v_add_f32_e32 v1, v1, v3
	v_mul_f32_e32 v3, v29, v67
	s_waitcnt lgkmcnt(3)
	v_pk_mul_f32 v[20:21], v[4:5], v[20:21] op_sel_hi:[1,0]
	v_fma_f32 v3, v28, v179, -v3
	s_waitcnt vmcnt(10)
	v_pk_fma_f32 v[22:23], v[4:5], v[42:43], v[20:21] op_sel:[0,0,1] op_sel_hi:[1,1,0] neg_lo:[0,0,1] neg_hi:[0,0,1]
	v_pk_fma_f32 v[4:5], v[4:5], v[42:43], v[20:21] op_sel:[0,0,1] op_sel_hi:[1,0,0]
	v_add_f32_e32 v1, v1, v3
	v_mul_f32_e32 v3, v31, v68
	v_mov_b32_e32 v4, v41
	v_mul_f32_e32 v188, v30, v68
	v_fma_f32 v3, v30, v180, -v3
	v_mov_b32_e32 v23, v5
	v_pk_mul_f32 v[4:5], v[6:7], v[4:5] op_sel_hi:[1,0]
	v_fmac_f32_e32 v188, v31, v180
	v_mul_f32_e32 v55, v32, v181
	v_add_f32_e32 v52, v1, v3
	v_mul_f32_e32 v1, v33, v181
	v_pk_fma_f32 v[20:21], v[6:7], v[40:41], v[4:5] op_sel:[0,0,1] op_sel_hi:[1,1,0] neg_lo:[0,0,1] neg_hi:[0,0,1]
	v_pk_fma_f32 v[4:5], v[6:7], v[40:41], v[4:5] op_sel:[0,0,1] op_sel_hi:[1,0,0]
	v_add_f32_e32 v53, v53, v188
	v_fmac_f32_e32 v55, v33, v182
	v_mul_f32_e32 v57, v34, v183
	v_fma_f32 v54, v32, v182, -v1
	v_mul_f32_e32 v1, v35, v183
	v_mov_b32_e32 v4, v39
	v_fmac_f32_e32 v57, v35, v184
	v_fma_f32 v56, v34, v184, -v1
	v_pk_add_f32 v[2:3], v[52:53], v[54:55]
	v_mov_b32_e32 v21, v5
	s_waitcnt lgkmcnt(2)
	v_pk_mul_f32 v[4:5], v[8:9], v[4:5] op_sel_hi:[1,0]
	v_pk_add_f32 v[2:3], v[2:3], v[56:57]
	v_pk_fma_f32 v[6:7], v[8:9], v[38:39], v[4:5] op_sel:[0,0,1] op_sel_hi:[1,1,0] neg_lo:[0,0,1] neg_hi:[0,0,1]
	v_pk_fma_f32 v[4:5], v[8:9], v[38:39], v[4:5] op_sel:[0,0,1] op_sel_hi:[1,0,0]
	v_pk_add_f32 v[2:3], v[2:3], v[22:23]
	s_waitcnt vmcnt(9)
	v_mov_b32_e32 v4, v45
	v_pk_add_f32 v[2:3], v[2:3], v[20:21]
	v_mov_b32_e32 v7, v5
	v_pk_mul_f32 v[4:5], v[10:11], v[4:5] op_sel_hi:[1,0]
	v_pk_add_f32 v[2:3], v[2:3], v[6:7]
	s_waitcnt vmcnt(2)
	v_pk_fma_f32 v[6:7], v[10:11], v[44:45], v[4:5] op_sel:[0,0,1] op_sel_hi:[1,1,0] neg_lo:[0,0,1] neg_hi:[0,0,1]
	v_pk_fma_f32 v[4:5], v[10:11], v[44:45], v[4:5] op_sel:[0,0,1] op_sel_hi:[1,0,0]
	v_mov_b32_e32 v4, v51
	v_mov_b32_e32 v7, v5
	s_waitcnt lgkmcnt(1)
	v_pk_mul_f32 v[4:5], v[12:13], v[4:5] op_sel_hi:[1,0]
	v_pk_add_f32 v[2:3], v[2:3], v[6:7]
	v_pk_fma_f32 v[6:7], v[12:13], v[50:51], v[4:5] op_sel:[0,0,1] op_sel_hi:[1,1,0] neg_lo:[0,0,1] neg_hi:[0,0,1]
	v_pk_fma_f32 v[4:5], v[12:13], v[50:51], v[4:5] op_sel:[0,0,1] op_sel_hi:[1,0,0]
	v_mov_b32_e32 v4, v49
	v_mov_b32_e32 v7, v5
	v_pk_mul_f32 v[4:5], v[14:15], v[4:5] op_sel_hi:[1,0]
	v_pk_add_f32 v[2:3], v[2:3], v[6:7]
	v_pk_fma_f32 v[6:7], v[14:15], v[48:49], v[4:5] op_sel:[0,0,1] op_sel_hi:[1,1,0] neg_lo:[0,0,1] neg_hi:[0,0,1]
	v_pk_fma_f32 v[4:5], v[14:15], v[48:49], v[4:5] op_sel:[0,0,1] op_sel_hi:[1,0,0]
	v_mov_b32_e32 v4, v47
	v_mov_b32_e32 v7, v5
	s_waitcnt lgkmcnt(0)
	v_pk_mul_f32 v[4:5], v[16:17], v[4:5] op_sel_hi:[1,0]
	v_pk_add_f32 v[2:3], v[2:3], v[6:7]
	v_pk_fma_f32 v[6:7], v[16:17], v[46:47], v[4:5] op_sel:[0,0,1] op_sel_hi:[1,1,0] neg_lo:[0,0,1] neg_hi:[0,0,1]
	v_pk_fma_f32 v[4:5], v[16:17], v[46:47], v[4:5] op_sel:[0,0,1] op_sel_hi:[1,0,0]
	s_waitcnt vmcnt(1)
	v_mov_b32_e32 v4, v59
	v_mov_b32_e32 v7, v5
	v_pk_mul_f32 v[4:5], v[18:19], v[4:5] op_sel_hi:[1,0]
	v_pk_add_f32 v[2:3], v[2:3], v[6:7]
	s_waitcnt vmcnt(0)
	v_pk_fma_f32 v[6:7], v[18:19], v[58:59], v[4:5] op_sel:[0,0,1] op_sel_hi:[1,1,0] neg_lo:[0,0,1] neg_hi:[0,0,1]
	v_pk_fma_f32 v[4:5], v[18:19], v[58:59], v[4:5] op_sel:[0,0,1] op_sel_hi:[1,0,0]
	v_mov_b32_e32 v7, v5
	v_pk_add_f32 v[2:3], v[2:3], v[6:7]
	v_pk_add_f32 v[2:3], v[36:37], v[2:3] neg_lo:[0,1] neg_hi:[0,1]
	buffer_store_dword v3, off, s[0:3], 0 offset:196
	buffer_store_dword v2, off, s[0:3], 0 offset:192
	s_and_saveexec_b64 s[4:5], vcc
	s_cbranch_execz .LBB48_261
; %bb.260:
	buffer_load_dword v2, off, s[0:3], 0 offset:184
	buffer_load_dword v3, off, s[0:3], 0 offset:188
	v_mov_b32_e32 v1, 0
	v_accvgpr_read_b32 v4, a24
	buffer_store_dword v1, off, s[0:3], 0 offset:184
	buffer_store_dword v1, off, s[0:3], 0 offset:188
	s_waitcnt vmcnt(2)
	ds_write_b64 v4, v[2:3]
.LBB48_261:
	s_or_b64 exec, exec, s[4:5]
	s_waitcnt lgkmcnt(0)
	; wave barrier
	s_waitcnt lgkmcnt(0)
	buffer_load_dword v1, off, s[0:3], 0 offset:196
	buffer_load_dword v5, off, s[0:3], 0 offset:204
	;; [unrolled: 1-line block ×36, first 2 shown]
	v_mov_b32_e32 v4, 0
	buffer_load_dword v47, off, s[0:3], 0 offset:340
	buffer_load_dword v46, off, s[0:3], 0 offset:336
	;; [unrolled: 1-line block ×5, first 2 shown]
	ds_read_b128 v[6:9], v4 offset:592
	ds_read_b128 v[10:13], v4 offset:608
	;; [unrolled: 1-line block ×8, first 2 shown]
	v_cmp_lt_u32_e32 vcc, 22, v0
	s_waitcnt vmcnt(40) lgkmcnt(7)
	v_mul_f32_e32 v38, v6, v1
	s_waitcnt vmcnt(39)
	v_mul_f32_e32 v39, v8, v5
	s_waitcnt vmcnt(38) lgkmcnt(6)
	v_mul_f32_e32 v40, v10, v58
	s_waitcnt vmcnt(37)
	v_mul_f32_e32 v41, v12, v60
	;; [unrolled: 4-line block ×7, first 2 shown]
	s_waitcnt vmcnt(26) lgkmcnt(0)
	v_mul_f32_e32 v59, v34, v77
	s_waitcnt vmcnt(25)
	v_fmac_f32_e32 v38, v7, v176
	s_waitcnt vmcnt(24)
	v_fmac_f32_e32 v39, v9, v177
	v_add_f32_e32 v38, 0, v38
	s_waitcnt vmcnt(23)
	v_fmac_f32_e32 v40, v11, v178
	v_add_f32_e32 v38, v38, v39
	;; [unrolled: 3-line block ×13, first 2 shown]
	v_add_f32_e32 v42, v38, v56
	buffer_load_dword v53, off, s[0:3], 0 offset:372
	buffer_load_dword v52, off, s[0:3], 0 offset:368
	;; [unrolled: 1-line block ×7, first 2 shown]
	s_waitcnt vmcnt(18)
	v_fmac_f32_e32 v59, v35, v190
	ds_read_b128 v[38:41], v4 offset:720
	v_add_f32_e32 v59, v42, v59
	ds_read_b128 v[42:45], v4 offset:736
	buffer_load_dword v65, off, s[0:3], 0 offset:388
	buffer_load_dword v64, off, s[0:3], 0 offset:384
	;; [unrolled: 1-line block ×4, first 2 shown]
	v_mul_f32_e32 v1, v7, v1
	v_fma_f32 v1, v6, v176, -v1
	v_mul_f32_e32 v5, v9, v5
	v_add_f32_e32 v1, 0, v1
	v_fma_f32 v5, v8, v177, -v5
	v_add_f32_e32 v1, v1, v5
	v_mul_f32_e32 v5, v11, v58
	v_fma_f32 v5, v10, v178, -v5
	v_add_f32_e32 v1, v1, v5
	v_mul_f32_e32 v5, v13, v60
	;; [unrolled: 3-line block ×13, first 2 shown]
	v_fma_f32 v5, v34, v190, -v5
	s_waitcnt vmcnt(13)
	v_mov_b32_e32 v18, v49
	v_mul_f32_e32 v61, v36, v191
	v_add_f32_e32 v58, v1, v5
	v_mul_f32_e32 v1, v37, v191
	s_waitcnt lgkmcnt(1)
	v_pk_mul_f32 v[18:19], v[40:41], v[18:19] op_sel_hi:[1,0]
	v_fmac_f32_e32 v61, v37, v192
	v_mul_f32_e32 v63, v38, v193
	v_fma_f32 v60, v36, v192, -v1
	v_mul_f32_e32 v1, v39, v193
	s_waitcnt vmcnt(12)
	v_pk_fma_f32 v[20:21], v[40:41], v[48:49], v[18:19] op_sel:[0,0,1] op_sel_hi:[1,1,0] neg_lo:[0,0,1] neg_hi:[0,0,1]
	v_pk_fma_f32 v[18:19], v[40:41], v[48:49], v[18:19] op_sel:[0,0,1] op_sel_hi:[1,0,0]
	v_fmac_f32_e32 v63, v39, v194
	v_fma_f32 v62, v38, v194, -v1
	v_pk_add_f32 v[16:17], v[58:59], v[60:61]
	v_mov_b32_e32 v18, v47
	v_pk_add_f32 v[16:17], v[16:17], v[62:63]
	v_mov_b32_e32 v21, v19
	s_waitcnt lgkmcnt(0)
	v_pk_mul_f32 v[18:19], v[42:43], v[18:19] op_sel_hi:[1,0]
	v_pk_add_f32 v[16:17], v[16:17], v[20:21]
	v_pk_fma_f32 v[20:21], v[42:43], v[46:47], v[18:19] op_sel:[0,0,1] op_sel_hi:[1,1,0] neg_lo:[0,0,1] neg_hi:[0,0,1]
	v_pk_fma_f32 v[18:19], v[42:43], v[46:47], v[18:19] op_sel:[0,0,1] op_sel_hi:[1,0,0]
	s_waitcnt vmcnt(11)
	v_mov_b32_e32 v18, v51
	ds_read_b128 v[6:9], v4 offset:752
	ds_read_b128 v[10:13], v4 offset:768
	ds_read_b64 v[14:15], v4 offset:784
	v_mov_b32_e32 v21, v19
	v_pk_mul_f32 v[18:19], v[44:45], v[18:19] op_sel_hi:[1,0]
	v_pk_add_f32 v[16:17], v[16:17], v[20:21]
	s_waitcnt vmcnt(4)
	v_pk_fma_f32 v[20:21], v[44:45], v[50:51], v[18:19] op_sel:[0,0,1] op_sel_hi:[1,1,0] neg_lo:[0,0,1] neg_hi:[0,0,1]
	v_pk_fma_f32 v[18:19], v[44:45], v[50:51], v[18:19] op_sel:[0,0,1] op_sel_hi:[1,0,0]
	v_mov_b32_e32 v18, v57
	v_mov_b32_e32 v21, v19
	s_waitcnt lgkmcnt(2)
	v_pk_mul_f32 v[18:19], v[6:7], v[18:19] op_sel_hi:[1,0]
	v_pk_add_f32 v[16:17], v[16:17], v[20:21]
	v_pk_fma_f32 v[20:21], v[6:7], v[56:57], v[18:19] op_sel:[0,0,1] op_sel_hi:[1,1,0] neg_lo:[0,0,1] neg_hi:[0,0,1]
	v_pk_fma_f32 v[6:7], v[6:7], v[56:57], v[18:19] op_sel:[0,0,1] op_sel_hi:[1,0,0]
	v_mov_b32_e32 v21, v7
	v_pk_add_f32 v[6:7], v[16:17], v[20:21]
	v_mov_b32_e32 v16, v55
	v_pk_mul_f32 v[16:17], v[8:9], v[16:17] op_sel_hi:[1,0]
	v_pk_fma_f32 v[18:19], v[8:9], v[54:55], v[16:17] op_sel:[0,0,1] op_sel_hi:[1,1,0] neg_lo:[0,0,1] neg_hi:[0,0,1]
	v_pk_fma_f32 v[8:9], v[8:9], v[54:55], v[16:17] op_sel:[0,0,1] op_sel_hi:[1,0,0]
	v_mov_b32_e32 v8, v53
	v_mov_b32_e32 v19, v9
	s_waitcnt lgkmcnt(1)
	v_pk_mul_f32 v[8:9], v[10:11], v[8:9] op_sel_hi:[1,0]
	v_pk_fma_f32 v[16:17], v[10:11], v[52:53], v[8:9] op_sel:[0,0,1] op_sel_hi:[1,1,0] neg_lo:[0,0,1] neg_hi:[0,0,1]
	v_pk_fma_f32 v[8:9], v[10:11], v[52:53], v[8:9] op_sel:[0,0,1] op_sel_hi:[1,0,0]
	s_waitcnt vmcnt(1)
	v_mov_b32_e32 v8, v67
	v_mov_b32_e32 v17, v9
	v_pk_mul_f32 v[8:9], v[12:13], v[8:9] op_sel_hi:[1,0]
	s_waitcnt vmcnt(0)
	v_pk_fma_f32 v[10:11], v[12:13], v[66:67], v[8:9] op_sel:[0,0,1] op_sel_hi:[1,1,0] neg_lo:[0,0,1] neg_hi:[0,0,1]
	v_pk_fma_f32 v[8:9], v[12:13], v[66:67], v[8:9] op_sel:[0,0,1] op_sel_hi:[1,0,0]
	v_pk_add_f32 v[6:7], v[6:7], v[18:19]
	v_mov_b32_e32 v8, v65
	v_pk_add_f32 v[6:7], v[6:7], v[16:17]
	v_mov_b32_e32 v11, v9
	s_waitcnt lgkmcnt(0)
	v_pk_mul_f32 v[8:9], v[14:15], v[8:9] op_sel_hi:[1,0]
	v_pk_add_f32 v[6:7], v[6:7], v[10:11]
	v_pk_fma_f32 v[10:11], v[14:15], v[64:65], v[8:9] op_sel:[0,0,1] op_sel_hi:[1,1,0] neg_lo:[0,0,1] neg_hi:[0,0,1]
	v_pk_fma_f32 v[8:9], v[14:15], v[64:65], v[8:9] op_sel:[0,0,1] op_sel_hi:[1,0,0]
	v_mov_b32_e32 v11, v9
	v_pk_add_f32 v[6:7], v[6:7], v[10:11]
	v_pk_add_f32 v[2:3], v[2:3], v[6:7] neg_lo:[0,1] neg_hi:[0,1]
	buffer_store_dword v3, off, s[0:3], 0 offset:188
	buffer_store_dword v2, off, s[0:3], 0 offset:184
	s_and_saveexec_b64 s[4:5], vcc
	s_cbranch_execz .LBB48_263
; %bb.262:
	buffer_load_dword v2, off, s[0:3], 0 offset:176
	buffer_load_dword v3, off, s[0:3], 0 offset:180
	v_accvgpr_read_b32 v1, a24
	buffer_store_dword v4, off, s[0:3], 0 offset:176
	buffer_store_dword v4, off, s[0:3], 0 offset:180
	s_waitcnt vmcnt(2)
	ds_write_b64 v1, v[2:3]
.LBB48_263:
	s_or_b64 exec, exec, s[4:5]
	s_waitcnt lgkmcnt(0)
	; wave barrier
	s_waitcnt lgkmcnt(0)
	buffer_load_dword v1, off, s[0:3], 0 offset:188
	buffer_load_dword v2, off, s[0:3], 0 offset:196
	;; [unrolled: 1-line block ×38, first 2 shown]
	ds_read2_b64 v[6:9], v4 offset0:73 offset1:74
	ds_read2_b64 v[10:13], v4 offset0:75 offset1:76
	;; [unrolled: 1-line block ×8, first 2 shown]
	buffer_load_dword v49, off, s[0:3], 0 offset:332
	buffer_load_dword v48, off, s[0:3], 0 offset:328
	;; [unrolled: 1-line block ×4, first 2 shown]
	v_cmp_lt_u32_e32 vcc, 21, v0
	s_waitcnt vmcnt(41) lgkmcnt(7)
	v_mul_f32_e32 v38, v6, v1
	s_waitcnt vmcnt(40)
	v_mul_f32_e32 v39, v8, v2
	s_waitcnt vmcnt(39) lgkmcnt(6)
	v_mul_f32_e32 v40, v10, v3
	s_waitcnt vmcnt(38)
	v_mul_f32_e32 v41, v12, v5
	;; [unrolled: 4-line block ×7, first 2 shown]
	s_waitcnt vmcnt(27) lgkmcnt(0)
	v_mul_f32_e32 v59, v34, v77
	s_waitcnt vmcnt(26)
	v_fmac_f32_e32 v38, v7, v176
	s_waitcnt vmcnt(25)
	v_fmac_f32_e32 v39, v9, v177
	v_add_f32_e32 v38, 0, v38
	s_waitcnt vmcnt(24)
	v_fmac_f32_e32 v40, v11, v178
	v_add_f32_e32 v38, v38, v39
	;; [unrolled: 3-line block ×13, first 2 shown]
	v_add_f32_e32 v38, v38, v57
	buffer_load_dword v53, off, s[0:3], 0 offset:356
	buffer_load_dword v52, off, s[0:3], 0 offset:352
	;; [unrolled: 1-line block ×6, first 2 shown]
	s_waitcnt vmcnt(18)
	v_fmac_f32_e32 v59, v35, v190
	s_waitcnt vmcnt(17)
	v_mul_f32_e32 v43, v36, v191
	v_add_f32_e32 v42, v38, v59
	s_waitcnt vmcnt(16)
	v_fmac_f32_e32 v43, v37, v192
	ds_read2_b64 v[38:41], v4 offset0:89 offset1:90
	v_add_f32_e32 v59, v42, v43
	ds_read2_b64 v[42:45], v4 offset0:91 offset1:92
	buffer_load_dword v65, off, s[0:3], 0 offset:388
	buffer_load_dword v64, off, s[0:3], 0 offset:384
	;; [unrolled: 1-line block ×6, first 2 shown]
	v_mul_f32_e32 v1, v7, v1
	v_fma_f32 v1, v6, v176, -v1
	v_mul_f32_e32 v2, v9, v2
	v_add_f32_e32 v1, 0, v1
	v_fma_f32 v2, v8, v177, -v2
	v_add_f32_e32 v1, v1, v2
	v_mul_f32_e32 v2, v11, v3
	v_fma_f32 v2, v10, v178, -v2
	v_add_f32_e32 v1, v1, v2
	v_mul_f32_e32 v2, v13, v5
	;; [unrolled: 3-line block ×14, first 2 shown]
	v_fma_f32 v2, v36, v192, -v2
	s_waitcnt vmcnt(15)
	v_mov_b32_e32 v16, v49
	s_waitcnt lgkmcnt(1)
	v_mul_f32_e32 v61, v38, v193
	v_add_f32_e32 v58, v1, v2
	v_mul_f32_e32 v1, v39, v193
	s_waitcnt lgkmcnt(0)
	v_pk_mul_f32 v[16:17], v[42:43], v[16:17] op_sel_hi:[1,0]
	v_fmac_f32_e32 v61, v39, v194
	v_mul_f32_e32 v63, v40, v195
	v_fma_f32 v60, v38, v194, -v1
	v_mul_f32_e32 v1, v41, v195
	s_waitcnt vmcnt(14)
	v_pk_fma_f32 v[18:19], v[42:43], v[48:49], v[16:17] op_sel:[0,0,1] op_sel_hi:[1,1,0] neg_lo:[0,0,1] neg_hi:[0,0,1]
	v_pk_fma_f32 v[16:17], v[42:43], v[48:49], v[16:17] op_sel:[0,0,1] op_sel_hi:[1,0,0]
	v_fmac_f32_e32 v63, v41, v196
	v_fma_f32 v62, v40, v196, -v1
	v_pk_add_f32 v[14:15], v[58:59], v[60:61]
	ds_read2_b64 v[6:9], v4 offset0:93 offset1:94
	ds_read2_b64 v[10:13], v4 offset0:95 offset1:96
	;; [unrolled: 1-line block ×3, first 2 shown]
	v_pk_add_f32 v[14:15], v[14:15], v[62:63]
	v_mov_b32_e32 v19, v17
	v_pk_add_f32 v[14:15], v[14:15], v[18:19]
	s_waitcnt vmcnt(7)
	v_mov_b32_e32 v16, v57
	v_pk_mul_f32 v[16:17], v[44:45], v[16:17] op_sel_hi:[1,0]
	s_waitcnt vmcnt(6)
	v_pk_fma_f32 v[18:19], v[44:45], v[56:57], v[16:17] op_sel:[0,0,1] op_sel_hi:[1,1,0] neg_lo:[0,0,1] neg_hi:[0,0,1]
	v_pk_fma_f32 v[16:17], v[44:45], v[56:57], v[16:17] op_sel:[0,0,1] op_sel_hi:[1,0,0]
	v_mov_b32_e32 v16, v55
	v_mov_b32_e32 v19, v17
	s_waitcnt lgkmcnt(2)
	v_pk_mul_f32 v[16:17], v[6:7], v[16:17] op_sel_hi:[1,0]
	v_pk_add_f32 v[14:15], v[14:15], v[18:19]
	v_pk_fma_f32 v[18:19], v[6:7], v[54:55], v[16:17] op_sel:[0,0,1] op_sel_hi:[1,1,0] neg_lo:[0,0,1] neg_hi:[0,0,1]
	v_pk_fma_f32 v[6:7], v[6:7], v[54:55], v[16:17] op_sel:[0,0,1] op_sel_hi:[1,0,0]
	v_mov_b32_e32 v19, v7
	v_pk_add_f32 v[6:7], v[14:15], v[18:19]
	v_mov_b32_e32 v14, v53
	v_pk_mul_f32 v[14:15], v[8:9], v[14:15] op_sel_hi:[1,0]
	v_pk_fma_f32 v[16:17], v[8:9], v[52:53], v[14:15] op_sel:[0,0,1] op_sel_hi:[1,1,0] neg_lo:[0,0,1] neg_hi:[0,0,1]
	v_pk_fma_f32 v[8:9], v[8:9], v[52:53], v[14:15] op_sel:[0,0,1] op_sel_hi:[1,0,0]
	v_mov_b32_e32 v8, v51
	v_mov_b32_e32 v17, v9
	s_waitcnt lgkmcnt(1)
	v_pk_mul_f32 v[8:9], v[10:11], v[8:9] op_sel_hi:[1,0]
	v_pk_fma_f32 v[14:15], v[10:11], v[50:51], v[8:9] op_sel:[0,0,1] op_sel_hi:[1,1,0] neg_lo:[0,0,1] neg_hi:[0,0,1]
	v_pk_fma_f32 v[8:9], v[10:11], v[50:51], v[8:9] op_sel:[0,0,1] op_sel_hi:[1,0,0]
	s_waitcnt vmcnt(1)
	v_mov_b32_e32 v8, v69
	v_mov_b32_e32 v15, v9
	v_pk_mul_f32 v[8:9], v[12:13], v[8:9] op_sel_hi:[1,0]
	s_waitcnt vmcnt(0)
	v_pk_fma_f32 v[10:11], v[12:13], v[68:69], v[8:9] op_sel:[0,0,1] op_sel_hi:[1,1,0] neg_lo:[0,0,1] neg_hi:[0,0,1]
	v_pk_fma_f32 v[8:9], v[12:13], v[68:69], v[8:9] op_sel:[0,0,1] op_sel_hi:[1,0,0]
	v_pk_add_f32 v[6:7], v[6:7], v[16:17]
	v_mov_b32_e32 v8, v67
	v_pk_add_f32 v[6:7], v[6:7], v[14:15]
	v_mov_b32_e32 v11, v9
	s_waitcnt lgkmcnt(0)
	v_pk_mul_f32 v[8:9], v[2:3], v[8:9] op_sel_hi:[1,0]
	v_pk_add_f32 v[6:7], v[6:7], v[10:11]
	v_pk_fma_f32 v[10:11], v[2:3], v[66:67], v[8:9] op_sel:[0,0,1] op_sel_hi:[1,1,0] neg_lo:[0,0,1] neg_hi:[0,0,1]
	v_pk_fma_f32 v[2:3], v[2:3], v[66:67], v[8:9] op_sel:[0,0,1] op_sel_hi:[1,0,0]
	v_mov_b32_e32 v11, v3
	v_pk_add_f32 v[2:3], v[6:7], v[10:11]
	v_mov_b32_e32 v6, v65
	v_pk_mul_f32 v[6:7], v[4:5], v[6:7] op_sel_hi:[1,0]
	v_pk_fma_f32 v[8:9], v[4:5], v[64:65], v[6:7] op_sel:[0,0,1] op_sel_hi:[1,1,0] neg_lo:[0,0,1] neg_hi:[0,0,1]
	v_pk_fma_f32 v[4:5], v[4:5], v[64:65], v[6:7] op_sel:[0,0,1] op_sel_hi:[1,0,0]
	v_mov_b32_e32 v9, v5
	v_pk_add_f32 v[2:3], v[2:3], v[8:9]
	v_pk_add_f32 v[2:3], v[46:47], v[2:3] neg_lo:[0,1] neg_hi:[0,1]
	buffer_store_dword v3, off, s[0:3], 0 offset:180
	buffer_store_dword v2, off, s[0:3], 0 offset:176
	s_and_saveexec_b64 s[4:5], vcc
	s_cbranch_execz .LBB48_265
; %bb.264:
	buffer_load_dword v2, off, s[0:3], 0 offset:168
	buffer_load_dword v3, off, s[0:3], 0 offset:172
	v_mov_b32_e32 v1, 0
	v_accvgpr_read_b32 v4, a24
	buffer_store_dword v1, off, s[0:3], 0 offset:168
	buffer_store_dword v1, off, s[0:3], 0 offset:172
	s_waitcnt vmcnt(2)
	ds_write_b64 v4, v[2:3]
.LBB48_265:
	s_or_b64 exec, exec, s[4:5]
	s_waitcnt lgkmcnt(0)
	; wave barrier
	s_waitcnt lgkmcnt(0)
	buffer_load_dword v1, off, s[0:3], 0 offset:180
	buffer_load_dword v5, off, s[0:3], 0 offset:188
	;; [unrolled: 1-line block ×40, first 2 shown]
	v_mov_b32_e32 v4, 0
	ds_read_b128 v[6:9], v4 offset:576
	ds_read_b128 v[10:13], v4 offset:592
	;; [unrolled: 1-line block ×8, first 2 shown]
	v_cmp_lt_u32_e32 vcc, 20, v0
	s_waitcnt vmcnt(39) lgkmcnt(7)
	v_mul_f32_e32 v38, v6, v1
	s_waitcnt vmcnt(38)
	v_mul_f32_e32 v39, v8, v5
	s_waitcnt vmcnt(37) lgkmcnt(6)
	v_mul_f32_e32 v40, v10, v54
	s_waitcnt vmcnt(36)
	v_mul_f32_e32 v41, v12, v56
	;; [unrolled: 4-line block ×8, first 2 shown]
	s_waitcnt vmcnt(23)
	v_fmac_f32_e32 v38, v7, v177
	s_waitcnt vmcnt(22)
	v_fmac_f32_e32 v39, v9, v178
	v_add_f32_e32 v38, 0, v38
	s_waitcnt vmcnt(21)
	v_fmac_f32_e32 v40, v11, v179
	v_add_f32_e32 v38, v38, v39
	;; [unrolled: 3-line block ×14, first 2 shown]
	v_add_f32_e32 v38, v38, v52
	s_waitcnt vmcnt(8)
	v_fmac_f32_e32 v53, v37, v192
	v_add_f32_e32 v55, v38, v53
	ds_read_b128 v[38:41], v4 offset:704
	buffer_load_dword v47, off, s[0:3], 0 offset:332
	buffer_load_dword v49, off, s[0:3], 0 offset:356
	;; [unrolled: 1-line block ×8, first 2 shown]
	ds_read_b128 v[42:45], v4 offset:720
	buffer_load_dword v61, off, s[0:3], 0 offset:388
	buffer_load_dword v60, off, s[0:3], 0 offset:384
	;; [unrolled: 1-line block ×8, first 2 shown]
	v_mul_f32_e32 v1, v7, v1
	v_fma_f32 v1, v6, v177, -v1
	v_mul_f32_e32 v5, v9, v5
	v_add_f32_e32 v1, 0, v1
	v_fma_f32 v5, v8, v178, -v5
	v_add_f32_e32 v1, v1, v5
	v_mul_f32_e32 v5, v11, v54
	v_fma_f32 v5, v10, v179, -v5
	v_add_f32_e32 v1, v1, v5
	v_mul_f32_e32 v5, v13, v56
	;; [unrolled: 3-line block ×14, first 2 shown]
	v_fma_f32 v5, v36, v192, -v5
	s_waitcnt vmcnt(23) lgkmcnt(1)
	v_mul_f32_e32 v57, v38, v193
	v_add_f32_e32 v1, v1, v5
	v_mul_f32_e32 v5, v39, v193
	s_waitcnt vmcnt(22)
	v_fmac_f32_e32 v57, v39, v194
	v_fma_f32 v5, v38, v194, -v5
	v_add_f32_e32 v55, v55, v57
	s_waitcnt vmcnt(21)
	v_mul_f32_e32 v57, v40, v195
	v_add_f32_e32 v54, v1, v5
	v_mul_f32_e32 v1, v41, v195
	s_waitcnt vmcnt(20)
	v_fmac_f32_e32 v57, v41, v196
	s_waitcnt vmcnt(19) lgkmcnt(0)
	v_mul_f32_e32 v59, v42, v197
	v_fma_f32 v56, v40, v196, -v1
	v_mul_f32_e32 v1, v43, v197
	ds_read_b128 v[6:9], v4 offset:736
	ds_read_b128 v[10:13], v4 offset:752
	;; [unrolled: 1-line block ×3, first 2 shown]
	ds_read_b64 v[18:19], v4 offset:784
	s_waitcnt vmcnt(18)
	v_fmac_f32_e32 v59, v43, v198
	v_fma_f32 v58, v42, v198, -v1
	v_pk_add_f32 v[20:21], v[54:55], v[56:57]
	v_pk_add_f32 v[20:21], v[20:21], v[58:59]
	s_waitcnt vmcnt(15)
	v_mov_b32_e32 v22, v47
	v_pk_mul_f32 v[22:23], v[44:45], v[22:23] op_sel_hi:[1,0]
	s_waitcnt vmcnt(8)
	v_pk_fma_f32 v[24:25], v[44:45], v[46:47], v[22:23] op_sel:[0,0,1] op_sel_hi:[1,1,0] neg_lo:[0,0,1] neg_hi:[0,0,1]
	v_pk_fma_f32 v[22:23], v[44:45], v[46:47], v[22:23] op_sel:[0,0,1] op_sel_hi:[1,0,0]
	v_mov_b32_e32 v22, v53
	v_mov_b32_e32 v25, v23
	s_waitcnt lgkmcnt(3)
	v_pk_mul_f32 v[22:23], v[6:7], v[22:23] op_sel_hi:[1,0]
	v_pk_add_f32 v[20:21], v[20:21], v[24:25]
	v_pk_fma_f32 v[24:25], v[6:7], v[52:53], v[22:23] op_sel:[0,0,1] op_sel_hi:[1,1,0] neg_lo:[0,0,1] neg_hi:[0,0,1]
	v_pk_fma_f32 v[6:7], v[6:7], v[52:53], v[22:23] op_sel:[0,0,1] op_sel_hi:[1,0,0]
	v_mov_b32_e32 v25, v7
	v_pk_add_f32 v[6:7], v[20:21], v[24:25]
	v_mov_b32_e32 v20, v51
	v_pk_mul_f32 v[20:21], v[8:9], v[20:21] op_sel_hi:[1,0]
	v_pk_fma_f32 v[22:23], v[8:9], v[50:51], v[20:21] op_sel:[0,0,1] op_sel_hi:[1,1,0] neg_lo:[0,0,1] neg_hi:[0,0,1]
	v_pk_fma_f32 v[8:9], v[8:9], v[50:51], v[20:21] op_sel:[0,0,1] op_sel_hi:[1,0,0]
	v_mov_b32_e32 v8, v49
	v_mov_b32_e32 v23, v9
	s_waitcnt lgkmcnt(2)
	v_pk_mul_f32 v[8:9], v[10:11], v[8:9] op_sel_hi:[1,0]
	v_pk_fma_f32 v[20:21], v[10:11], v[48:49], v[8:9] op_sel:[0,0,1] op_sel_hi:[1,1,0] neg_lo:[0,0,1] neg_hi:[0,0,1]
	v_pk_fma_f32 v[8:9], v[10:11], v[48:49], v[8:9] op_sel:[0,0,1] op_sel_hi:[1,0,0]
	s_waitcnt vmcnt(1)
	v_mov_b32_e32 v8, v67
	v_mov_b32_e32 v21, v9
	v_pk_mul_f32 v[8:9], v[12:13], v[8:9] op_sel_hi:[1,0]
	s_waitcnt vmcnt(0)
	v_pk_fma_f32 v[10:11], v[12:13], v[66:67], v[8:9] op_sel:[0,0,1] op_sel_hi:[1,1,0] neg_lo:[0,0,1] neg_hi:[0,0,1]
	v_pk_fma_f32 v[8:9], v[12:13], v[66:67], v[8:9] op_sel:[0,0,1] op_sel_hi:[1,0,0]
	v_pk_add_f32 v[6:7], v[6:7], v[22:23]
	v_mov_b32_e32 v8, v65
	v_pk_add_f32 v[6:7], v[6:7], v[20:21]
	v_mov_b32_e32 v11, v9
	s_waitcnt lgkmcnt(1)
	v_pk_mul_f32 v[8:9], v[14:15], v[8:9] op_sel_hi:[1,0]
	v_pk_add_f32 v[6:7], v[6:7], v[10:11]
	v_pk_fma_f32 v[10:11], v[14:15], v[64:65], v[8:9] op_sel:[0,0,1] op_sel_hi:[1,1,0] neg_lo:[0,0,1] neg_hi:[0,0,1]
	v_pk_fma_f32 v[8:9], v[14:15], v[64:65], v[8:9] op_sel:[0,0,1] op_sel_hi:[1,0,0]
	v_mov_b32_e32 v8, v63
	v_mov_b32_e32 v11, v9
	v_pk_mul_f32 v[8:9], v[16:17], v[8:9] op_sel_hi:[1,0]
	v_pk_add_f32 v[6:7], v[6:7], v[10:11]
	v_pk_fma_f32 v[10:11], v[16:17], v[62:63], v[8:9] op_sel:[0,0,1] op_sel_hi:[1,1,0] neg_lo:[0,0,1] neg_hi:[0,0,1]
	v_pk_fma_f32 v[8:9], v[16:17], v[62:63], v[8:9] op_sel:[0,0,1] op_sel_hi:[1,0,0]
	v_mov_b32_e32 v8, v61
	v_mov_b32_e32 v11, v9
	s_waitcnt lgkmcnt(0)
	v_pk_mul_f32 v[8:9], v[18:19], v[8:9] op_sel_hi:[1,0]
	v_pk_add_f32 v[6:7], v[6:7], v[10:11]
	v_pk_fma_f32 v[10:11], v[18:19], v[60:61], v[8:9] op_sel:[0,0,1] op_sel_hi:[1,1,0] neg_lo:[0,0,1] neg_hi:[0,0,1]
	v_pk_fma_f32 v[8:9], v[18:19], v[60:61], v[8:9] op_sel:[0,0,1] op_sel_hi:[1,0,0]
	v_mov_b32_e32 v11, v9
	v_pk_add_f32 v[6:7], v[6:7], v[10:11]
	v_pk_add_f32 v[2:3], v[2:3], v[6:7] neg_lo:[0,1] neg_hi:[0,1]
	buffer_store_dword v3, off, s[0:3], 0 offset:172
	buffer_store_dword v2, off, s[0:3], 0 offset:168
	s_and_saveexec_b64 s[4:5], vcc
	s_cbranch_execz .LBB48_267
; %bb.266:
	buffer_load_dword v2, off, s[0:3], 0 offset:160
	buffer_load_dword v3, off, s[0:3], 0 offset:164
	v_accvgpr_read_b32 v1, a24
	buffer_store_dword v4, off, s[0:3], 0 offset:160
	buffer_store_dword v4, off, s[0:3], 0 offset:164
	s_waitcnt vmcnt(2)
	ds_write_b64 v1, v[2:3]
.LBB48_267:
	s_or_b64 exec, exec, s[4:5]
	s_waitcnt lgkmcnt(0)
	; wave barrier
	s_waitcnt lgkmcnt(0)
	buffer_load_dword v1, off, s[0:3], 0 offset:172
	buffer_load_dword v5, off, s[0:3], 0 offset:180
	;; [unrolled: 1-line block ×42, first 2 shown]
	ds_read2_b64 v[6:9], v4 offset0:71 offset1:72
	ds_read2_b64 v[10:13], v4 offset0:73 offset1:74
	;; [unrolled: 1-line block ×8, first 2 shown]
	v_cmp_lt_u32_e32 vcc, 19, v0
	s_waitcnt vmcnt(41) lgkmcnt(7)
	v_mul_f32_e32 v38, v6, v1
	s_waitcnt vmcnt(40)
	v_mul_f32_e32 v39, v8, v5
	s_waitcnt vmcnt(39) lgkmcnt(6)
	v_mul_f32_e32 v40, v10, v46
	s_waitcnt vmcnt(38)
	v_mul_f32_e32 v41, v12, v48
	;; [unrolled: 4-line block ×7, first 2 shown]
	s_waitcnt vmcnt(27) lgkmcnt(0)
	v_mul_f32_e32 v54, v34, v77
	s_waitcnt vmcnt(26)
	v_fmac_f32_e32 v38, v7, v176
	s_waitcnt vmcnt(25)
	v_fmac_f32_e32 v39, v9, v177
	v_add_f32_e32 v38, 0, v38
	s_waitcnt vmcnt(24)
	v_fmac_f32_e32 v40, v11, v178
	v_add_f32_e32 v38, v38, v39
	;; [unrolled: 3-line block ×14, first 2 shown]
	s_waitcnt vmcnt(11)
	v_mul_f32_e32 v43, v36, v191
	v_add_f32_e32 v42, v38, v54
	s_waitcnt vmcnt(10)
	v_fmac_f32_e32 v43, v37, v192
	ds_read2_b64 v[38:41], v4 offset0:87 offset1:88
	v_add_f32_e32 v47, v42, v43
	ds_read2_b64 v[42:45], v4 offset0:89 offset1:90
	buffer_load_dword v51, off, s[0:3], 0 offset:332
	buffer_load_dword v53, off, s[0:3], 0 offset:348
	;; [unrolled: 1-line block ×16, first 2 shown]
	v_mul_f32_e32 v1, v7, v1
	v_fma_f32 v1, v6, v176, -v1
	v_mul_f32_e32 v5, v9, v5
	v_add_f32_e32 v1, 0, v1
	v_fma_f32 v5, v8, v177, -v5
	v_add_f32_e32 v1, v1, v5
	v_mul_f32_e32 v5, v11, v46
	v_fma_f32 v5, v10, v178, -v5
	v_add_f32_e32 v1, v1, v5
	v_mul_f32_e32 v5, v13, v48
	;; [unrolled: 3-line block ×14, first 2 shown]
	ds_read2_b64 v[6:9], v4 offset0:91 offset1:92
	ds_read2_b64 v[10:13], v4 offset0:93 offset1:94
	;; [unrolled: 1-line block ×4, first 2 shown]
	v_fma_f32 v5, v36, v192, -v5
	s_waitcnt vmcnt(25) lgkmcnt(5)
	v_mul_f32_e32 v49, v38, v193
	v_add_f32_e32 v1, v1, v5
	v_mul_f32_e32 v5, v39, v193
	s_waitcnt vmcnt(24)
	v_fmac_f32_e32 v49, v39, v194
	v_fma_f32 v5, v38, v194, -v5
	v_add_f32_e32 v47, v47, v49
	s_waitcnt vmcnt(23)
	v_mul_f32_e32 v49, v40, v195
	v_add_f32_e32 v1, v1, v5
	v_mul_f32_e32 v5, v41, v195
	s_waitcnt vmcnt(22)
	v_fmac_f32_e32 v49, v41, v196
	v_fma_f32 v5, v40, v196, -v5
	v_add_f32_e32 v47, v47, v49
	s_waitcnt vmcnt(21) lgkmcnt(4)
	v_mul_f32_e32 v49, v42, v197
	v_add_f32_e32 v46, v1, v5
	v_mul_f32_e32 v1, v43, v197
	s_waitcnt vmcnt(20)
	v_fmac_f32_e32 v49, v43, v198
	s_waitcnt vmcnt(19)
	v_mul_f32_e32 v57, v44, v199
	v_fma_f32 v48, v42, v198, -v1
	v_mul_f32_e32 v1, v45, v199
	s_waitcnt vmcnt(18)
	v_fmac_f32_e32 v57, v45, v200
	v_fma_f32 v56, v44, v200, -v1
	v_pk_add_f32 v[4:5], v[46:47], v[48:49]
	v_pk_add_f32 v[4:5], v[4:5], v[56:57]
	s_waitcnt vmcnt(15)
	v_mov_b32_e32 v22, v51
	s_waitcnt lgkmcnt(3)
	v_pk_mul_f32 v[22:23], v[6:7], v[22:23] op_sel_hi:[1,0]
	s_waitcnt vmcnt(10)
	v_pk_fma_f32 v[24:25], v[6:7], v[50:51], v[22:23] op_sel:[0,0,1] op_sel_hi:[1,1,0] neg_lo:[0,0,1] neg_hi:[0,0,1]
	v_pk_fma_f32 v[6:7], v[6:7], v[50:51], v[22:23] op_sel:[0,0,1] op_sel_hi:[1,0,0]
	v_mov_b32_e32 v6, v55
	v_mov_b32_e32 v25, v7
	v_pk_mul_f32 v[6:7], v[8:9], v[6:7] op_sel_hi:[1,0]
	v_pk_fma_f32 v[22:23], v[8:9], v[54:55], v[6:7] op_sel:[0,0,1] op_sel_hi:[1,1,0] neg_lo:[0,0,1] neg_hi:[0,0,1]
	v_pk_fma_f32 v[6:7], v[8:9], v[54:55], v[6:7] op_sel:[0,0,1] op_sel_hi:[1,0,0]
	v_mov_b32_e32 v6, v53
	v_mov_b32_e32 v23, v7
	s_waitcnt lgkmcnt(2)
	v_pk_mul_f32 v[6:7], v[10:11], v[6:7] op_sel_hi:[1,0]
	v_pk_fma_f32 v[8:9], v[10:11], v[52:53], v[6:7] op_sel:[0,0,1] op_sel_hi:[1,1,0] neg_lo:[0,0,1] neg_hi:[0,0,1]
	v_pk_fma_f32 v[6:7], v[10:11], v[52:53], v[6:7] op_sel:[0,0,1] op_sel_hi:[1,0,0]
	v_pk_add_f32 v[4:5], v[4:5], v[24:25]
	s_waitcnt vmcnt(3)
	v_mov_b32_e32 v6, v65
	v_pk_add_f32 v[4:5], v[4:5], v[22:23]
	v_mov_b32_e32 v9, v7
	v_pk_mul_f32 v[6:7], v[12:13], v[6:7] op_sel_hi:[1,0]
	v_pk_add_f32 v[4:5], v[4:5], v[8:9]
	s_waitcnt vmcnt(2)
	v_pk_fma_f32 v[8:9], v[12:13], v[64:65], v[6:7] op_sel:[0,0,1] op_sel_hi:[1,1,0] neg_lo:[0,0,1] neg_hi:[0,0,1]
	v_pk_fma_f32 v[6:7], v[12:13], v[64:65], v[6:7] op_sel:[0,0,1] op_sel_hi:[1,0,0]
	v_mov_b32_e32 v6, v63
	v_mov_b32_e32 v9, v7
	s_waitcnt lgkmcnt(1)
	v_pk_mul_f32 v[6:7], v[14:15], v[6:7] op_sel_hi:[1,0]
	v_pk_add_f32 v[4:5], v[4:5], v[8:9]
	v_pk_fma_f32 v[8:9], v[14:15], v[62:63], v[6:7] op_sel:[0,0,1] op_sel_hi:[1,1,0] neg_lo:[0,0,1] neg_hi:[0,0,1]
	v_pk_fma_f32 v[6:7], v[14:15], v[62:63], v[6:7] op_sel:[0,0,1] op_sel_hi:[1,0,0]
	v_mov_b32_e32 v6, v61
	v_mov_b32_e32 v9, v7
	v_pk_mul_f32 v[6:7], v[16:17], v[6:7] op_sel_hi:[1,0]
	v_pk_add_f32 v[4:5], v[4:5], v[8:9]
	v_pk_fma_f32 v[8:9], v[16:17], v[60:61], v[6:7] op_sel:[0,0,1] op_sel_hi:[1,1,0] neg_lo:[0,0,1] neg_hi:[0,0,1]
	v_pk_fma_f32 v[6:7], v[16:17], v[60:61], v[6:7] op_sel:[0,0,1] op_sel_hi:[1,0,0]
	v_mov_b32_e32 v6, v59
	v_mov_b32_e32 v9, v7
	s_waitcnt lgkmcnt(0)
	v_pk_mul_f32 v[6:7], v[18:19], v[6:7] op_sel_hi:[1,0]
	v_pk_add_f32 v[4:5], v[4:5], v[8:9]
	v_pk_fma_f32 v[8:9], v[18:19], v[58:59], v[6:7] op_sel:[0,0,1] op_sel_hi:[1,1,0] neg_lo:[0,0,1] neg_hi:[0,0,1]
	v_pk_fma_f32 v[6:7], v[18:19], v[58:59], v[6:7] op_sel:[0,0,1] op_sel_hi:[1,0,0]
	s_waitcnt vmcnt(1)
	v_mov_b32_e32 v6, v67
	v_mov_b32_e32 v9, v7
	v_pk_mul_f32 v[6:7], v[20:21], v[6:7] op_sel_hi:[1,0]
	v_pk_add_f32 v[4:5], v[4:5], v[8:9]
	s_waitcnt vmcnt(0)
	v_pk_fma_f32 v[8:9], v[20:21], v[66:67], v[6:7] op_sel:[0,0,1] op_sel_hi:[1,1,0] neg_lo:[0,0,1] neg_hi:[0,0,1]
	v_pk_fma_f32 v[6:7], v[20:21], v[66:67], v[6:7] op_sel:[0,0,1] op_sel_hi:[1,0,0]
	v_mov_b32_e32 v9, v7
	v_pk_add_f32 v[4:5], v[4:5], v[8:9]
	v_pk_add_f32 v[2:3], v[2:3], v[4:5] neg_lo:[0,1] neg_hi:[0,1]
	buffer_store_dword v3, off, s[0:3], 0 offset:164
	buffer_store_dword v2, off, s[0:3], 0 offset:160
	s_and_saveexec_b64 s[4:5], vcc
	s_cbranch_execz .LBB48_269
; %bb.268:
	buffer_load_dword v2, off, s[0:3], 0 offset:152
	buffer_load_dword v3, off, s[0:3], 0 offset:156
	v_mov_b32_e32 v1, 0
	v_accvgpr_read_b32 v4, a24
	buffer_store_dword v1, off, s[0:3], 0 offset:152
	buffer_store_dword v1, off, s[0:3], 0 offset:156
	s_waitcnt vmcnt(2)
	ds_write_b64 v4, v[2:3]
.LBB48_269:
	s_or_b64 exec, exec, s[4:5]
	s_waitcnt lgkmcnt(0)
	; wave barrier
	s_waitcnt lgkmcnt(0)
	buffer_load_dword v1, off, s[0:3], 0 offset:164
	buffer_load_dword v5, off, s[0:3], 0 offset:172
	;; [unrolled: 1-line block ×44, first 2 shown]
	v_mov_b32_e32 v4, 0
	ds_read_b128 v[6:9], v4 offset:560
	ds_read_b128 v[10:13], v4 offset:576
	;; [unrolled: 1-line block ×8, first 2 shown]
	v_cmp_lt_u32_e32 vcc, 18, v0
	s_waitcnt vmcnt(43) lgkmcnt(7)
	v_mul_f32_e32 v38, v6, v1
	s_waitcnt vmcnt(42)
	v_mul_f32_e32 v39, v8, v5
	s_waitcnt vmcnt(41) lgkmcnt(6)
	v_mul_f32_e32 v40, v10, v54
	s_waitcnt vmcnt(40)
	v_mul_f32_e32 v41, v12, v60
	;; [unrolled: 4-line block ×7, first 2 shown]
	s_waitcnt vmcnt(29)
	v_fmac_f32_e32 v38, v7, v183
	s_waitcnt vmcnt(28)
	v_fmac_f32_e32 v39, v9, v184
	v_add_f32_e32 v38, 0, v38
	s_waitcnt vmcnt(27)
	v_fmac_f32_e32 v40, v11, v185
	v_add_f32_e32 v38, v38, v39
	;; [unrolled: 3-line block ×12, first 2 shown]
	v_add_f32_e32 v38, v38, v50
	s_waitcnt vmcnt(16)
	v_fmac_f32_e32 v51, v33, v196
	s_waitcnt vmcnt(15) lgkmcnt(0)
	v_mul_f32_e32 v39, v34, v197
	v_add_f32_e32 v38, v38, v51
	s_waitcnt vmcnt(14)
	v_fmac_f32_e32 v39, v35, v198
	v_add_f32_e32 v42, v38, v39
	ds_read_b128 v[38:41], v4 offset:688
	s_waitcnt vmcnt(13)
	v_mul_f32_e32 v43, v36, v199
	s_waitcnt vmcnt(12)
	v_fmac_f32_e32 v43, v37, v200
	v_add_f32_e32 v46, v42, v43
	ds_read_b128 v[42:45], v4 offset:704
	s_waitcnt vmcnt(11) lgkmcnt(1)
	v_mul_f32_e32 v47, v38, v201
	s_waitcnt vmcnt(10)
	v_fmac_f32_e32 v47, v39, v202
	v_add_f32_e32 v46, v46, v47
	s_waitcnt vmcnt(9)
	v_mul_f32_e32 v47, v40, v203
	s_waitcnt vmcnt(8)
	v_fmac_f32_e32 v47, v41, v204
	v_add_f32_e32 v46, v46, v47
	s_waitcnt vmcnt(7) lgkmcnt(0)
	v_mul_f32_e32 v47, v42, v205
	s_waitcnt vmcnt(6)
	v_fmac_f32_e32 v47, v43, v206
	v_add_f32_e32 v55, v46, v47
	ds_read_b128 v[46:49], v4 offset:720
	buffer_load_dword v57, off, s[0:3], 0 offset:340
	buffer_load_dword v56, off, s[0:3], 0 offset:336
	;; [unrolled: 1-line block ×4, first 2 shown]
	ds_read_b128 v[50:53], v4 offset:736
	buffer_load_dword v65, off, s[0:3], 0 offset:372
	buffer_load_dword v64, off, s[0:3], 0 offset:368
	buffer_load_dword v67, off, s[0:3], 0 offset:364
	buffer_load_dword v66, off, s[0:3], 0 offset:360
	buffer_load_dword v69, off, s[0:3], 0 offset:356
	buffer_load_dword v68, off, s[0:3], 0 offset:352
	buffer_load_dword v71, off, s[0:3], 0 offset:348
	buffer_load_dword v70, off, s[0:3], 0 offset:344
	buffer_load_dword v73, off, s[0:3], 0 offset:388
	buffer_load_dword v72, off, s[0:3], 0 offset:384
	buffer_load_dword v75, off, s[0:3], 0 offset:380
	buffer_load_dword v74, off, s[0:3], 0 offset:376
	v_mul_f32_e32 v1, v7, v1
	v_fma_f32 v1, v6, v183, -v1
	v_mul_f32_e32 v5, v9, v5
	v_add_f32_e32 v1, 0, v1
	v_fma_f32 v5, v8, v184, -v5
	v_add_f32_e32 v1, v1, v5
	v_mul_f32_e32 v5, v11, v54
	v_fma_f32 v5, v10, v185, -v5
	v_add_f32_e32 v1, v1, v5
	v_mul_f32_e32 v5, v13, v60
	;; [unrolled: 3-line block ×17, first 2 shown]
	v_fma_f32 v5, v42, v206, -v5
	s_waitcnt vmcnt(21)
	v_mul_f32_e32 v61, v44, v207
	v_add_f32_e32 v54, v1, v5
	v_mul_f32_e32 v1, v45, v207
	s_waitcnt vmcnt(20)
	v_fmac_f32_e32 v61, v45, v208
	s_waitcnt vmcnt(19) lgkmcnt(1)
	v_mul_f32_e32 v63, v46, v209
	v_fma_f32 v60, v44, v208, -v1
	v_mul_f32_e32 v1, v47, v209
	s_waitcnt vmcnt(18)
	v_fmac_f32_e32 v63, v47, v210
	v_fma_f32 v62, v46, v210, -v1
	v_pk_add_f32 v[16:17], v[54:55], v[60:61]
	v_pk_add_f32 v[16:17], v[16:17], v[62:63]
	ds_read_b128 v[6:9], v4 offset:752
	ds_read_b128 v[10:13], v4 offset:768
	ds_read_b64 v[14:15], v4 offset:784
	s_waitcnt vmcnt(13)
	v_mov_b32_e32 v18, v59
	v_pk_mul_f32 v[18:19], v[48:49], v[18:19] op_sel_hi:[1,0]
	s_waitcnt vmcnt(12)
	v_pk_fma_f32 v[20:21], v[48:49], v[58:59], v[18:19] op_sel:[0,0,1] op_sel_hi:[1,1,0] neg_lo:[0,0,1] neg_hi:[0,0,1]
	v_pk_fma_f32 v[18:19], v[48:49], v[58:59], v[18:19] op_sel:[0,0,1] op_sel_hi:[1,0,0]
	v_mov_b32_e32 v18, v57
	v_mov_b32_e32 v21, v19
	s_waitcnt lgkmcnt(3)
	v_pk_mul_f32 v[18:19], v[50:51], v[18:19] op_sel_hi:[1,0]
	v_pk_add_f32 v[16:17], v[16:17], v[20:21]
	v_pk_fma_f32 v[20:21], v[50:51], v[56:57], v[18:19] op_sel:[0,0,1] op_sel_hi:[1,1,0] neg_lo:[0,0,1] neg_hi:[0,0,1]
	v_pk_fma_f32 v[18:19], v[50:51], v[56:57], v[18:19] op_sel:[0,0,1] op_sel_hi:[1,0,0]
	s_waitcnt vmcnt(5)
	v_mov_b32_e32 v18, v71
	v_mov_b32_e32 v21, v19
	v_pk_mul_f32 v[18:19], v[52:53], v[18:19] op_sel_hi:[1,0]
	v_pk_add_f32 v[16:17], v[16:17], v[20:21]
	s_waitcnt vmcnt(4)
	v_pk_fma_f32 v[20:21], v[52:53], v[70:71], v[18:19] op_sel:[0,0,1] op_sel_hi:[1,1,0] neg_lo:[0,0,1] neg_hi:[0,0,1]
	v_pk_fma_f32 v[18:19], v[52:53], v[70:71], v[18:19] op_sel:[0,0,1] op_sel_hi:[1,0,0]
	v_mov_b32_e32 v18, v69
	v_mov_b32_e32 v21, v19
	s_waitcnt lgkmcnt(2)
	v_pk_mul_f32 v[18:19], v[6:7], v[18:19] op_sel_hi:[1,0]
	v_pk_add_f32 v[16:17], v[16:17], v[20:21]
	v_pk_fma_f32 v[20:21], v[6:7], v[68:69], v[18:19] op_sel:[0,0,1] op_sel_hi:[1,1,0] neg_lo:[0,0,1] neg_hi:[0,0,1]
	v_pk_fma_f32 v[6:7], v[6:7], v[68:69], v[18:19] op_sel:[0,0,1] op_sel_hi:[1,0,0]
	v_mov_b32_e32 v21, v7
	v_pk_add_f32 v[6:7], v[16:17], v[20:21]
	v_mov_b32_e32 v16, v67
	v_pk_mul_f32 v[16:17], v[8:9], v[16:17] op_sel_hi:[1,0]
	v_pk_fma_f32 v[18:19], v[8:9], v[66:67], v[16:17] op_sel:[0,0,1] op_sel_hi:[1,1,0] neg_lo:[0,0,1] neg_hi:[0,0,1]
	v_pk_fma_f32 v[8:9], v[8:9], v[66:67], v[16:17] op_sel:[0,0,1] op_sel_hi:[1,0,0]
	v_mov_b32_e32 v8, v65
	v_mov_b32_e32 v19, v9
	s_waitcnt lgkmcnt(1)
	v_pk_mul_f32 v[8:9], v[10:11], v[8:9] op_sel_hi:[1,0]
	v_pk_fma_f32 v[16:17], v[10:11], v[64:65], v[8:9] op_sel:[0,0,1] op_sel_hi:[1,1,0] neg_lo:[0,0,1] neg_hi:[0,0,1]
	v_pk_fma_f32 v[8:9], v[10:11], v[64:65], v[8:9] op_sel:[0,0,1] op_sel_hi:[1,0,0]
	s_waitcnt vmcnt(1)
	v_mov_b32_e32 v8, v75
	v_mov_b32_e32 v17, v9
	v_pk_mul_f32 v[8:9], v[12:13], v[8:9] op_sel_hi:[1,0]
	s_waitcnt vmcnt(0)
	v_pk_fma_f32 v[10:11], v[12:13], v[74:75], v[8:9] op_sel:[0,0,1] op_sel_hi:[1,1,0] neg_lo:[0,0,1] neg_hi:[0,0,1]
	v_pk_fma_f32 v[8:9], v[12:13], v[74:75], v[8:9] op_sel:[0,0,1] op_sel_hi:[1,0,0]
	v_pk_add_f32 v[6:7], v[6:7], v[18:19]
	v_mov_b32_e32 v8, v73
	v_pk_add_f32 v[6:7], v[6:7], v[16:17]
	v_mov_b32_e32 v11, v9
	s_waitcnt lgkmcnt(0)
	v_pk_mul_f32 v[8:9], v[14:15], v[8:9] op_sel_hi:[1,0]
	v_pk_add_f32 v[6:7], v[6:7], v[10:11]
	v_pk_fma_f32 v[10:11], v[14:15], v[72:73], v[8:9] op_sel:[0,0,1] op_sel_hi:[1,1,0] neg_lo:[0,0,1] neg_hi:[0,0,1]
	v_pk_fma_f32 v[8:9], v[14:15], v[72:73], v[8:9] op_sel:[0,0,1] op_sel_hi:[1,0,0]
	v_mov_b32_e32 v11, v9
	v_pk_add_f32 v[6:7], v[6:7], v[10:11]
	v_pk_add_f32 v[2:3], v[2:3], v[6:7] neg_lo:[0,1] neg_hi:[0,1]
	buffer_store_dword v3, off, s[0:3], 0 offset:156
	buffer_store_dword v2, off, s[0:3], 0 offset:152
	s_and_saveexec_b64 s[4:5], vcc
	s_cbranch_execz .LBB48_271
; %bb.270:
	buffer_load_dword v2, off, s[0:3], 0 offset:144
	buffer_load_dword v3, off, s[0:3], 0 offset:148
	v_accvgpr_read_b32 v1, a24
	buffer_store_dword v4, off, s[0:3], 0 offset:144
	buffer_store_dword v4, off, s[0:3], 0 offset:148
	s_waitcnt vmcnt(2)
	ds_write_b64 v1, v[2:3]
.LBB48_271:
	s_or_b64 exec, exec, s[4:5]
	s_waitcnt lgkmcnt(0)
	; wave barrier
	s_waitcnt lgkmcnt(0)
	buffer_load_dword v1, off, s[0:3], 0 offset:156
	buffer_load_dword v5, off, s[0:3], 0 offset:164
	;; [unrolled: 1-line block ×46, first 2 shown]
	ds_read2_b64 v[6:9], v4 offset0:69 offset1:70
	ds_read2_b64 v[10:13], v4 offset0:71 offset1:72
	;; [unrolled: 1-line block ×8, first 2 shown]
	v_cmp_lt_u32_e32 vcc, 17, v0
	s_waitcnt vmcnt(45) lgkmcnt(7)
	v_mul_f32_e32 v38, v6, v1
	s_waitcnt vmcnt(44)
	v_mul_f32_e32 v39, v8, v5
	s_waitcnt vmcnt(43) lgkmcnt(6)
	v_mul_f32_e32 v40, v10, v56
	s_waitcnt vmcnt(42)
	v_mul_f32_e32 v41, v12, v58
	;; [unrolled: 4-line block ×6, first 2 shown]
	s_waitcnt vmcnt(33) lgkmcnt(1)
	v_mul_f32_e32 v50, v30, v181
	s_waitcnt vmcnt(32)
	v_fmac_f32_e32 v38, v7, v182
	s_waitcnt vmcnt(31)
	v_fmac_f32_e32 v39, v9, v183
	v_add_f32_e32 v38, 0, v38
	s_waitcnt vmcnt(30)
	v_fmac_f32_e32 v40, v11, v184
	v_add_f32_e32 v38, v38, v39
	;; [unrolled: 3-line block ×12, first 2 shown]
	s_waitcnt vmcnt(19)
	v_mul_f32_e32 v39, v32, v195
	v_add_f32_e32 v38, v38, v50
	s_waitcnt vmcnt(18)
	v_fmac_f32_e32 v39, v33, v196
	v_add_f32_e32 v38, v38, v39
	s_waitcnt vmcnt(17) lgkmcnt(0)
	v_mul_f32_e32 v39, v34, v197
	s_waitcnt vmcnt(16)
	v_fmac_f32_e32 v39, v35, v198
	v_add_f32_e32 v42, v38, v39
	ds_read2_b64 v[38:41], v4 offset0:85 offset1:86
	s_waitcnt vmcnt(15)
	v_mul_f32_e32 v43, v36, v199
	s_waitcnt vmcnt(14)
	v_fmac_f32_e32 v43, v37, v200
	v_add_f32_e32 v46, v42, v43
	ds_read2_b64 v[42:45], v4 offset0:87 offset1:88
	buffer_load_dword v55, off, s[0:3], 0 offset:332
	buffer_load_dword v54, off, s[0:3], 0 offset:328
	s_waitcnt vmcnt(15) lgkmcnt(1)
	v_mul_f32_e32 v47, v38, v201
	s_waitcnt vmcnt(14)
	v_fmac_f32_e32 v47, v39, v202
	v_add_f32_e32 v46, v46, v47
	s_waitcnt vmcnt(13)
	v_mul_f32_e32 v47, v40, v203
	s_waitcnt vmcnt(12)
	v_fmac_f32_e32 v47, v41, v204
	v_add_f32_e32 v46, v46, v47
	s_waitcnt vmcnt(11) lgkmcnt(0)
	v_mul_f32_e32 v47, v42, v205
	s_waitcnt vmcnt(10)
	v_fmac_f32_e32 v47, v43, v206
	s_waitcnt vmcnt(9)
	v_mul_f32_e32 v51, v44, v207
	v_add_f32_e32 v50, v46, v47
	s_waitcnt vmcnt(8)
	v_fmac_f32_e32 v51, v45, v208
	ds_read2_b64 v[46:49], v4 offset0:89 offset1:90
	v_add_f32_e32 v57, v50, v51
	ds_read2_b64 v[50:53], v4 offset0:91 offset1:92
	buffer_load_dword v63, off, s[0:3], 0 offset:364
	buffer_load_dword v62, off, s[0:3], 0 offset:360
	;; [unrolled: 1-line block ×14, first 2 shown]
	v_mul_f32_e32 v1, v7, v1
	v_fma_f32 v1, v6, v182, -v1
	v_mul_f32_e32 v5, v9, v5
	v_add_f32_e32 v1, 0, v1
	v_fma_f32 v5, v8, v183, -v5
	v_add_f32_e32 v1, v1, v5
	v_mul_f32_e32 v5, v11, v56
	v_fma_f32 v5, v10, v184, -v5
	v_add_f32_e32 v1, v1, v5
	v_mul_f32_e32 v5, v13, v58
	;; [unrolled: 3-line block ×18, first 2 shown]
	v_fma_f32 v5, v44, v208, -v5
	s_waitcnt vmcnt(21) lgkmcnt(1)
	v_mul_f32_e32 v59, v46, v209
	v_add_f32_e32 v56, v1, v5
	v_mul_f32_e32 v1, v47, v209
	s_waitcnt vmcnt(20)
	v_fmac_f32_e32 v59, v47, v210
	s_waitcnt vmcnt(15)
	v_mov_b32_e32 v18, v55
	s_waitcnt lgkmcnt(0)
	v_pk_mul_f32 v[18:19], v[50:51], v[18:19] op_sel_hi:[1,0]
	v_mul_f32_e32 v61, v48, v211
	v_fma_f32 v58, v46, v210, -v1
	v_mul_f32_e32 v1, v49, v211
	s_waitcnt vmcnt(14)
	v_pk_fma_f32 v[20:21], v[50:51], v[54:55], v[18:19] op_sel:[0,0,1] op_sel_hi:[1,1,0] neg_lo:[0,0,1] neg_hi:[0,0,1]
	v_pk_fma_f32 v[18:19], v[50:51], v[54:55], v[18:19] op_sel:[0,0,1] op_sel_hi:[1,0,0]
	v_fmac_f32_e32 v61, v49, v212
	v_fma_f32 v60, v48, v212, -v1
	ds_read2_b64 v[6:9], v4 offset0:93 offset1:94
	ds_read2_b64 v[10:13], v4 offset0:95 offset1:96
	;; [unrolled: 1-line block ×3, first 2 shown]
	v_pk_add_f32 v[4:5], v[56:57], v[58:59]
	s_waitcnt vmcnt(7)
	v_mov_b32_e32 v18, v69
	v_pk_add_f32 v[4:5], v[4:5], v[60:61]
	v_mov_b32_e32 v21, v19
	v_pk_mul_f32 v[18:19], v[52:53], v[18:19] op_sel_hi:[1,0]
	v_pk_add_f32 v[4:5], v[4:5], v[20:21]
	s_waitcnt vmcnt(6)
	v_pk_fma_f32 v[20:21], v[52:53], v[68:69], v[18:19] op_sel:[0,0,1] op_sel_hi:[1,1,0] neg_lo:[0,0,1] neg_hi:[0,0,1]
	v_pk_fma_f32 v[18:19], v[52:53], v[68:69], v[18:19] op_sel:[0,0,1] op_sel_hi:[1,0,0]
	v_mov_b32_e32 v18, v67
	v_mov_b32_e32 v21, v19
	s_waitcnt lgkmcnt(2)
	v_pk_mul_f32 v[18:19], v[6:7], v[18:19] op_sel_hi:[1,0]
	v_pk_add_f32 v[4:5], v[4:5], v[20:21]
	v_pk_fma_f32 v[20:21], v[6:7], v[66:67], v[18:19] op_sel:[0,0,1] op_sel_hi:[1,1,0] neg_lo:[0,0,1] neg_hi:[0,0,1]
	v_pk_fma_f32 v[6:7], v[6:7], v[66:67], v[18:19] op_sel:[0,0,1] op_sel_hi:[1,0,0]
	v_mov_b32_e32 v6, v65
	v_mov_b32_e32 v21, v7
	v_pk_mul_f32 v[6:7], v[8:9], v[6:7] op_sel_hi:[1,0]
	v_pk_fma_f32 v[18:19], v[8:9], v[64:65], v[6:7] op_sel:[0,0,1] op_sel_hi:[1,1,0] neg_lo:[0,0,1] neg_hi:[0,0,1]
	v_pk_fma_f32 v[6:7], v[8:9], v[64:65], v[6:7] op_sel:[0,0,1] op_sel_hi:[1,0,0]
	v_mov_b32_e32 v6, v63
	v_mov_b32_e32 v19, v7
	s_waitcnt lgkmcnt(1)
	v_pk_mul_f32 v[6:7], v[10:11], v[6:7] op_sel_hi:[1,0]
	v_pk_fma_f32 v[8:9], v[10:11], v[62:63], v[6:7] op_sel:[0,0,1] op_sel_hi:[1,1,0] neg_lo:[0,0,1] neg_hi:[0,0,1]
	v_pk_fma_f32 v[6:7], v[10:11], v[62:63], v[6:7] op_sel:[0,0,1] op_sel_hi:[1,0,0]
	v_pk_add_f32 v[4:5], v[4:5], v[20:21]
	s_waitcnt vmcnt(1)
	v_mov_b32_e32 v6, v75
	v_pk_add_f32 v[4:5], v[4:5], v[18:19]
	v_mov_b32_e32 v9, v7
	v_pk_mul_f32 v[6:7], v[12:13], v[6:7] op_sel_hi:[1,0]
	v_pk_add_f32 v[4:5], v[4:5], v[8:9]
	s_waitcnt vmcnt(0)
	v_pk_fma_f32 v[8:9], v[12:13], v[74:75], v[6:7] op_sel:[0,0,1] op_sel_hi:[1,1,0] neg_lo:[0,0,1] neg_hi:[0,0,1]
	v_pk_fma_f32 v[6:7], v[12:13], v[74:75], v[6:7] op_sel:[0,0,1] op_sel_hi:[1,0,0]
	v_mov_b32_e32 v6, v73
	v_mov_b32_e32 v9, v7
	s_waitcnt lgkmcnt(0)
	v_pk_mul_f32 v[6:7], v[14:15], v[6:7] op_sel_hi:[1,0]
	v_pk_add_f32 v[4:5], v[4:5], v[8:9]
	v_pk_fma_f32 v[8:9], v[14:15], v[72:73], v[6:7] op_sel:[0,0,1] op_sel_hi:[1,1,0] neg_lo:[0,0,1] neg_hi:[0,0,1]
	v_pk_fma_f32 v[6:7], v[14:15], v[72:73], v[6:7] op_sel:[0,0,1] op_sel_hi:[1,0,0]
	v_mov_b32_e32 v6, v71
	v_mov_b32_e32 v9, v7
	v_pk_mul_f32 v[6:7], v[16:17], v[6:7] op_sel_hi:[1,0]
	v_pk_add_f32 v[4:5], v[4:5], v[8:9]
	v_pk_fma_f32 v[8:9], v[16:17], v[70:71], v[6:7] op_sel:[0,0,1] op_sel_hi:[1,1,0] neg_lo:[0,0,1] neg_hi:[0,0,1]
	v_pk_fma_f32 v[6:7], v[16:17], v[70:71], v[6:7] op_sel:[0,0,1] op_sel_hi:[1,0,0]
	v_mov_b32_e32 v9, v7
	v_pk_add_f32 v[4:5], v[4:5], v[8:9]
	v_pk_add_f32 v[2:3], v[2:3], v[4:5] neg_lo:[0,1] neg_hi:[0,1]
	buffer_store_dword v3, off, s[0:3], 0 offset:148
	buffer_store_dword v2, off, s[0:3], 0 offset:144
	s_and_saveexec_b64 s[4:5], vcc
	s_cbranch_execz .LBB48_273
; %bb.272:
	buffer_load_dword v2, off, s[0:3], 0 offset:136
	buffer_load_dword v3, off, s[0:3], 0 offset:140
	v_mov_b32_e32 v1, 0
	v_accvgpr_read_b32 v4, a24
	buffer_store_dword v1, off, s[0:3], 0 offset:136
	buffer_store_dword v1, off, s[0:3], 0 offset:140
	s_waitcnt vmcnt(2)
	ds_write_b64 v4, v[2:3]
.LBB48_273:
	s_or_b64 exec, exec, s[4:5]
	s_waitcnt lgkmcnt(0)
	; wave barrier
	s_waitcnt lgkmcnt(0)
	buffer_load_dword v1, off, s[0:3], 0 offset:148
	buffer_load_dword v5, off, s[0:3], 0 offset:156
	;; [unrolled: 1-line block ×48, first 2 shown]
	v_mov_b32_e32 v4, 0
	ds_read_b128 v[6:9], v4 offset:544
	ds_read_b128 v[10:13], v4 offset:560
	;; [unrolled: 1-line block ×6, first 2 shown]
	v_cmp_lt_u32_e32 vcc, 16, v0
	s_waitcnt vmcnt(47) lgkmcnt(5)
	v_mul_f32_e32 v30, v6, v1
	s_waitcnt vmcnt(46)
	v_mul_f32_e32 v31, v8, v5
	s_waitcnt vmcnt(45) lgkmcnt(4)
	v_mul_f32_e32 v32, v10, v54
	s_waitcnt vmcnt(44)
	v_mul_f32_e32 v33, v12, v56
	;; [unrolled: 4-line block ×6, first 2 shown]
	s_waitcnt vmcnt(35)
	v_fmac_f32_e32 v30, v7, v181
	s_waitcnt vmcnt(34)
	v_fmac_f32_e32 v31, v9, v182
	v_add_f32_e32 v30, 0, v30
	s_waitcnt vmcnt(33)
	v_fmac_f32_e32 v32, v11, v183
	v_add_f32_e32 v30, v30, v31
	;; [unrolled: 3-line block ×8, first 2 shown]
	v_add_f32_e32 v34, v30, v38
	ds_read_b128 v[30:33], v4 offset:640
	s_waitcnt vmcnt(26)
	v_fmac_f32_e32 v39, v25, v190
	s_waitcnt vmcnt(25)
	v_fmac_f32_e32 v40, v27, v191
	v_add_f32_e32 v34, v34, v39
	s_waitcnt vmcnt(24)
	v_fmac_f32_e32 v41, v29, v192
	v_add_f32_e32 v34, v34, v40
	v_add_f32_e32 v38, v34, v41
	ds_read_b128 v[34:37], v4 offset:656
	s_waitcnt vmcnt(23) lgkmcnt(1)
	v_mul_f32_e32 v39, v30, v193
	s_waitcnt vmcnt(22)
	v_fmac_f32_e32 v39, v31, v194
	v_add_f32_e32 v38, v38, v39
	s_waitcnt vmcnt(21)
	v_mul_f32_e32 v39, v32, v195
	s_waitcnt vmcnt(20)
	v_fmac_f32_e32 v39, v33, v196
	v_add_f32_e32 v38, v38, v39
	s_waitcnt vmcnt(19) lgkmcnt(0)
	v_mul_f32_e32 v39, v34, v197
	s_waitcnt vmcnt(18)
	v_fmac_f32_e32 v39, v35, v198
	v_add_f32_e32 v42, v38, v39
	ds_read_b128 v[38:41], v4 offset:672
	s_waitcnt vmcnt(17)
	v_mul_f32_e32 v43, v36, v199
	s_waitcnt vmcnt(16)
	v_fmac_f32_e32 v43, v37, v200
	v_add_f32_e32 v46, v42, v43
	ds_read_b128 v[42:45], v4 offset:688
	s_waitcnt vmcnt(15) lgkmcnt(1)
	v_mul_f32_e32 v47, v38, v201
	s_waitcnt vmcnt(14)
	v_fmac_f32_e32 v47, v39, v202
	v_add_f32_e32 v46, v46, v47
	s_waitcnt vmcnt(13)
	v_mul_f32_e32 v47, v40, v203
	s_waitcnt vmcnt(12)
	v_fmac_f32_e32 v47, v41, v204
	v_add_f32_e32 v46, v46, v47
	s_waitcnt vmcnt(11) lgkmcnt(0)
	v_mul_f32_e32 v47, v42, v205
	s_waitcnt vmcnt(10)
	v_fmac_f32_e32 v47, v43, v206
	s_waitcnt vmcnt(9)
	v_mul_f32_e32 v51, v44, v207
	v_add_f32_e32 v50, v46, v47
	s_waitcnt vmcnt(8)
	v_fmac_f32_e32 v51, v45, v208
	ds_read_b128 v[46:49], v4 offset:704
	v_add_f32_e32 v55, v50, v51
	ds_read_b128 v[50:53], v4 offset:720
	buffer_load_dword v61, off, s[0:3], 0 offset:356
	buffer_load_dword v60, off, s[0:3], 0 offset:352
	;; [unrolled: 1-line block ×16, first 2 shown]
	v_mul_f32_e32 v1, v7, v1
	v_fma_f32 v1, v6, v181, -v1
	v_mul_f32_e32 v5, v9, v5
	v_add_f32_e32 v1, 0, v1
	v_fma_f32 v5, v8, v182, -v5
	v_add_f32_e32 v1, v1, v5
	v_mul_f32_e32 v5, v11, v54
	v_fma_f32 v5, v10, v183, -v5
	v_add_f32_e32 v1, v1, v5
	v_mul_f32_e32 v5, v13, v56
	;; [unrolled: 3-line block ×18, first 2 shown]
	v_fma_f32 v5, v44, v208, -v5
	s_waitcnt vmcnt(22) lgkmcnt(1)
	v_mul_f32_e32 v57, v46, v210
	v_add_f32_e32 v1, v1, v5
	v_mul_f32_e32 v5, v47, v210
	v_fmac_f32_e32 v57, v47, v209
	v_fma_f32 v5, v46, v209, -v5
	v_add_f32_e32 v55, v55, v57
	s_waitcnt vmcnt(19)
	v_mul_f32_e32 v57, v48, v211
	v_add_f32_e32 v54, v1, v5
	v_mul_f32_e32 v1, v49, v211
	s_waitcnt vmcnt(18)
	v_fmac_f32_e32 v57, v49, v212
	s_waitcnt vmcnt(17) lgkmcnt(0)
	v_mul_f32_e32 v59, v50, v213
	s_waitcnt vmcnt(9)
	v_mov_b32_e32 v22, v67
	v_pk_mul_f32 v[22:23], v[52:53], v[22:23] op_sel_hi:[1,0]
	v_fma_f32 v56, v48, v212, -v1
	v_mul_f32_e32 v1, v51, v213
	ds_read_b128 v[6:9], v4 offset:736
	ds_read_b128 v[10:13], v4 offset:752
	;; [unrolled: 1-line block ×3, first 2 shown]
	ds_read_b64 v[18:19], v4 offset:784
	s_waitcnt vmcnt(8)
	v_pk_fma_f32 v[24:25], v[52:53], v[66:67], v[22:23] op_sel:[0,0,1] op_sel_hi:[1,1,0] neg_lo:[0,0,1] neg_hi:[0,0,1]
	v_pk_fma_f32 v[22:23], v[52:53], v[66:67], v[22:23] op_sel:[0,0,1] op_sel_hi:[1,0,0]
	v_fmac_f32_e32 v59, v51, v214
	v_fma_f32 v58, v50, v214, -v1
	v_pk_add_f32 v[20:21], v[54:55], v[56:57]
	v_mov_b32_e32 v22, v65
	v_pk_add_f32 v[20:21], v[20:21], v[58:59]
	v_mov_b32_e32 v25, v23
	s_waitcnt lgkmcnt(3)
	v_pk_mul_f32 v[22:23], v[6:7], v[22:23] op_sel_hi:[1,0]
	v_pk_add_f32 v[20:21], v[20:21], v[24:25]
	v_pk_fma_f32 v[24:25], v[6:7], v[64:65], v[22:23] op_sel:[0,0,1] op_sel_hi:[1,1,0] neg_lo:[0,0,1] neg_hi:[0,0,1]
	v_pk_fma_f32 v[6:7], v[6:7], v[64:65], v[22:23] op_sel:[0,0,1] op_sel_hi:[1,0,0]
	v_mov_b32_e32 v25, v7
	v_pk_add_f32 v[6:7], v[20:21], v[24:25]
	v_mov_b32_e32 v20, v63
	v_pk_mul_f32 v[20:21], v[8:9], v[20:21] op_sel_hi:[1,0]
	v_pk_fma_f32 v[22:23], v[8:9], v[62:63], v[20:21] op_sel:[0,0,1] op_sel_hi:[1,1,0] neg_lo:[0,0,1] neg_hi:[0,0,1]
	v_pk_fma_f32 v[8:9], v[8:9], v[62:63], v[20:21] op_sel:[0,0,1] op_sel_hi:[1,0,0]
	v_mov_b32_e32 v8, v61
	v_mov_b32_e32 v23, v9
	s_waitcnt lgkmcnt(2)
	v_pk_mul_f32 v[8:9], v[10:11], v[8:9] op_sel_hi:[1,0]
	v_pk_fma_f32 v[20:21], v[10:11], v[60:61], v[8:9] op_sel:[0,0,1] op_sel_hi:[1,1,0] neg_lo:[0,0,1] neg_hi:[0,0,1]
	v_pk_fma_f32 v[8:9], v[10:11], v[60:61], v[8:9] op_sel:[0,0,1] op_sel_hi:[1,0,0]
	s_waitcnt vmcnt(1)
	v_mov_b32_e32 v8, v75
	v_mov_b32_e32 v21, v9
	v_pk_mul_f32 v[8:9], v[12:13], v[8:9] op_sel_hi:[1,0]
	s_waitcnt vmcnt(0)
	v_pk_fma_f32 v[10:11], v[12:13], v[74:75], v[8:9] op_sel:[0,0,1] op_sel_hi:[1,1,0] neg_lo:[0,0,1] neg_hi:[0,0,1]
	v_pk_fma_f32 v[8:9], v[12:13], v[74:75], v[8:9] op_sel:[0,0,1] op_sel_hi:[1,0,0]
	v_pk_add_f32 v[6:7], v[6:7], v[22:23]
	v_mov_b32_e32 v8, v73
	v_pk_add_f32 v[6:7], v[6:7], v[20:21]
	v_mov_b32_e32 v11, v9
	s_waitcnt lgkmcnt(1)
	v_pk_mul_f32 v[8:9], v[14:15], v[8:9] op_sel_hi:[1,0]
	v_pk_add_f32 v[6:7], v[6:7], v[10:11]
	v_pk_fma_f32 v[10:11], v[14:15], v[72:73], v[8:9] op_sel:[0,0,1] op_sel_hi:[1,1,0] neg_lo:[0,0,1] neg_hi:[0,0,1]
	v_pk_fma_f32 v[8:9], v[14:15], v[72:73], v[8:9] op_sel:[0,0,1] op_sel_hi:[1,0,0]
	v_mov_b32_e32 v8, v71
	v_mov_b32_e32 v11, v9
	v_pk_mul_f32 v[8:9], v[16:17], v[8:9] op_sel_hi:[1,0]
	v_pk_add_f32 v[6:7], v[6:7], v[10:11]
	v_pk_fma_f32 v[10:11], v[16:17], v[70:71], v[8:9] op_sel:[0,0,1] op_sel_hi:[1,1,0] neg_lo:[0,0,1] neg_hi:[0,0,1]
	v_pk_fma_f32 v[8:9], v[16:17], v[70:71], v[8:9] op_sel:[0,0,1] op_sel_hi:[1,0,0]
	v_mov_b32_e32 v8, v69
	v_mov_b32_e32 v11, v9
	s_waitcnt lgkmcnt(0)
	v_pk_mul_f32 v[8:9], v[18:19], v[8:9] op_sel_hi:[1,0]
	v_pk_add_f32 v[6:7], v[6:7], v[10:11]
	v_pk_fma_f32 v[10:11], v[18:19], v[68:69], v[8:9] op_sel:[0,0,1] op_sel_hi:[1,1,0] neg_lo:[0,0,1] neg_hi:[0,0,1]
	v_pk_fma_f32 v[8:9], v[18:19], v[68:69], v[8:9] op_sel:[0,0,1] op_sel_hi:[1,0,0]
	v_mov_b32_e32 v11, v9
	v_pk_add_f32 v[6:7], v[6:7], v[10:11]
	v_pk_add_f32 v[2:3], v[2:3], v[6:7] neg_lo:[0,1] neg_hi:[0,1]
	buffer_store_dword v3, off, s[0:3], 0 offset:140
	buffer_store_dword v2, off, s[0:3], 0 offset:136
	s_and_saveexec_b64 s[4:5], vcc
	s_cbranch_execz .LBB48_275
; %bb.274:
	buffer_load_dword v2, off, s[0:3], 0 offset:128
	buffer_load_dword v3, off, s[0:3], 0 offset:132
	v_accvgpr_read_b32 v1, a24
	buffer_store_dword v4, off, s[0:3], 0 offset:128
	buffer_store_dword v4, off, s[0:3], 0 offset:132
	s_waitcnt vmcnt(2)
	ds_write_b64 v1, v[2:3]
.LBB48_275:
	s_or_b64 exec, exec, s[4:5]
	s_waitcnt lgkmcnt(0)
	; wave barrier
	s_waitcnt lgkmcnt(0)
	buffer_load_dword v1, off, s[0:3], 0 offset:140
	buffer_load_dword v5, off, s[0:3], 0 offset:148
	;; [unrolled: 1-line block ×48, first 2 shown]
	ds_read2_b64 v[6:9], v4 offset0:67 offset1:68
	ds_read2_b64 v[10:13], v4 offset0:69 offset1:70
	;; [unrolled: 1-line block ×6, first 2 shown]
	buffer_load_dword v215, off, s[0:3], 0 offset:320
	buffer_load_dword v216, off, s[0:3], 0 offset:324
	v_cmp_lt_u32_e32 vcc, 15, v0
	s_waitcnt vmcnt(49) lgkmcnt(5)
	v_mul_f32_e32 v30, v6, v1
	s_waitcnt vmcnt(48)
	v_mul_f32_e32 v31, v8, v5
	s_waitcnt vmcnt(47) lgkmcnt(4)
	v_mul_f32_e32 v32, v10, v54
	s_waitcnt vmcnt(46)
	v_mul_f32_e32 v33, v12, v56
	;; [unrolled: 4-line block ×6, first 2 shown]
	s_waitcnt vmcnt(37)
	v_fmac_f32_e32 v30, v7, v181
	s_waitcnt vmcnt(36)
	v_fmac_f32_e32 v31, v9, v182
	v_add_f32_e32 v30, 0, v30
	s_waitcnt vmcnt(35)
	v_fmac_f32_e32 v32, v11, v183
	v_add_f32_e32 v30, v30, v31
	;; [unrolled: 3-line block ×9, first 2 shown]
	v_add_f32_e32 v34, v30, v39
	ds_read2_b64 v[30:33], v4 offset0:79 offset1:80
	s_waitcnt vmcnt(27)
	v_fmac_f32_e32 v40, v27, v191
	v_add_f32_e32 v34, v34, v40
	s_waitcnt vmcnt(26)
	v_fmac_f32_e32 v41, v29, v192
	v_add_f32_e32 v38, v34, v41
	ds_read2_b64 v[34:37], v4 offset0:81 offset1:82
	s_waitcnt vmcnt(25) lgkmcnt(1)
	v_mul_f32_e32 v39, v30, v193
	s_waitcnt vmcnt(24)
	v_fmac_f32_e32 v39, v31, v194
	v_add_f32_e32 v38, v38, v39
	s_waitcnt vmcnt(23)
	v_mul_f32_e32 v39, v32, v195
	s_waitcnt vmcnt(22)
	v_fmac_f32_e32 v39, v33, v196
	v_add_f32_e32 v38, v38, v39
	s_waitcnt vmcnt(21) lgkmcnt(0)
	v_mul_f32_e32 v39, v34, v197
	s_waitcnt vmcnt(20)
	v_fmac_f32_e32 v39, v35, v198
	v_add_f32_e32 v42, v38, v39
	ds_read2_b64 v[38:41], v4 offset0:83 offset1:84
	s_waitcnt vmcnt(19)
	v_mul_f32_e32 v43, v36, v199
	s_waitcnt vmcnt(18)
	v_fmac_f32_e32 v43, v37, v200
	v_add_f32_e32 v46, v42, v43
	ds_read2_b64 v[42:45], v4 offset0:85 offset1:86
	s_waitcnt vmcnt(17) lgkmcnt(1)
	v_mul_f32_e32 v47, v38, v201
	s_waitcnt vmcnt(16)
	v_fmac_f32_e32 v47, v39, v202
	v_add_f32_e32 v46, v46, v47
	s_waitcnt vmcnt(15)
	v_mul_f32_e32 v47, v40, v203
	s_waitcnt vmcnt(14)
	v_fmac_f32_e32 v47, v41, v204
	v_add_f32_e32 v46, v46, v47
	s_waitcnt vmcnt(13) lgkmcnt(0)
	v_mul_f32_e32 v47, v42, v205
	s_waitcnt vmcnt(12)
	v_fmac_f32_e32 v47, v43, v206
	s_waitcnt vmcnt(11)
	v_mul_f32_e32 v51, v44, v207
	v_add_f32_e32 v50, v46, v47
	s_waitcnt vmcnt(10)
	v_fmac_f32_e32 v51, v45, v208
	ds_read2_b64 v[46:49], v4 offset0:87 offset1:88
	v_add_f32_e32 v55, v50, v51
	ds_read2_b64 v[50:53], v4 offset0:89 offset1:90
	buffer_load_dword v59, off, s[0:3], 0 offset:348
	buffer_load_dword v58, off, s[0:3], 0 offset:344
	;; [unrolled: 1-line block ×16, first 2 shown]
	v_mul_f32_e32 v1, v7, v1
	v_fma_f32 v1, v6, v181, -v1
	v_mul_f32_e32 v5, v9, v5
	v_add_f32_e32 v1, 0, v1
	v_fma_f32 v5, v8, v182, -v5
	v_add_f32_e32 v1, v1, v5
	v_mul_f32_e32 v5, v11, v54
	v_fma_f32 v5, v10, v183, -v5
	v_add_f32_e32 v1, v1, v5
	v_mul_f32_e32 v5, v13, v56
	;; [unrolled: 3-line block ×18, first 2 shown]
	ds_read2_b64 v[6:9], v4 offset0:91 offset1:92
	ds_read2_b64 v[10:13], v4 offset0:93 offset1:94
	;; [unrolled: 1-line block ×4, first 2 shown]
	v_fma_f32 v5, v44, v208, -v5
	s_waitcnt vmcnt(23) lgkmcnt(5)
	v_mul_f32_e32 v57, v46, v209
	v_add_f32_e32 v1, v1, v5
	v_mul_f32_e32 v5, v47, v209
	s_waitcnt vmcnt(22)
	v_fmac_f32_e32 v57, v47, v210
	v_fma_f32 v5, v46, v210, -v5
	v_add_f32_e32 v55, v55, v57
	s_waitcnt vmcnt(20)
	v_mul_f32_e32 v57, v48, v212
	v_add_f32_e32 v1, v1, v5
	v_mul_f32_e32 v5, v49, v212
	v_fmac_f32_e32 v57, v49, v211
	v_fma_f32 v5, v48, v211, -v5
	v_add_f32_e32 v55, v55, v57
	s_waitcnt vmcnt(18) lgkmcnt(4)
	v_mul_f32_e32 v57, v50, v214
	v_add_f32_e32 v54, v1, v5
	v_mul_f32_e32 v1, v51, v214
	v_fmac_f32_e32 v57, v51, v213
	s_waitcnt vmcnt(16)
	v_mul_f32_e32 v65, v52, v216
	s_waitcnt vmcnt(11)
	v_mov_b32_e32 v22, v63
	s_waitcnt lgkmcnt(3)
	v_pk_mul_f32 v[22:23], v[6:7], v[22:23] op_sel_hi:[1,0]
	s_waitcnt vmcnt(10)
	v_pk_fma_f32 v[24:25], v[6:7], v[62:63], v[22:23] op_sel:[0,0,1] op_sel_hi:[1,1,0] neg_lo:[0,0,1] neg_hi:[0,0,1]
	v_pk_fma_f32 v[6:7], v[6:7], v[62:63], v[22:23] op_sel:[0,0,1] op_sel_hi:[1,0,0]
	v_mov_b32_e32 v6, v61
	v_mov_b32_e32 v25, v7
	v_pk_mul_f32 v[6:7], v[8:9], v[6:7] op_sel_hi:[1,0]
	v_pk_fma_f32 v[22:23], v[8:9], v[60:61], v[6:7] op_sel:[0,0,1] op_sel_hi:[1,1,0] neg_lo:[0,0,1] neg_hi:[0,0,1]
	v_pk_fma_f32 v[6:7], v[8:9], v[60:61], v[6:7] op_sel:[0,0,1] op_sel_hi:[1,0,0]
	v_fma_f32 v56, v50, v213, -v1
	v_mul_f32_e32 v1, v53, v216
	v_mov_b32_e32 v6, v59
	v_fmac_f32_e32 v65, v53, v215
	v_fma_f32 v64, v52, v215, -v1
	v_pk_add_f32 v[4:5], v[54:55], v[56:57]
	v_mov_b32_e32 v23, v7
	s_waitcnt lgkmcnt(2)
	v_pk_mul_f32 v[6:7], v[10:11], v[6:7] op_sel_hi:[1,0]
	v_pk_add_f32 v[4:5], v[4:5], v[64:65]
	v_pk_fma_f32 v[8:9], v[10:11], v[58:59], v[6:7] op_sel:[0,0,1] op_sel_hi:[1,1,0] neg_lo:[0,0,1] neg_hi:[0,0,1]
	v_pk_fma_f32 v[6:7], v[10:11], v[58:59], v[6:7] op_sel:[0,0,1] op_sel_hi:[1,0,0]
	v_pk_add_f32 v[4:5], v[4:5], v[24:25]
	s_waitcnt vmcnt(3)
	v_mov_b32_e32 v6, v73
	v_pk_add_f32 v[4:5], v[4:5], v[22:23]
	v_mov_b32_e32 v9, v7
	v_pk_mul_f32 v[6:7], v[12:13], v[6:7] op_sel_hi:[1,0]
	v_pk_add_f32 v[4:5], v[4:5], v[8:9]
	s_waitcnt vmcnt(2)
	v_pk_fma_f32 v[8:9], v[12:13], v[72:73], v[6:7] op_sel:[0,0,1] op_sel_hi:[1,1,0] neg_lo:[0,0,1] neg_hi:[0,0,1]
	v_pk_fma_f32 v[6:7], v[12:13], v[72:73], v[6:7] op_sel:[0,0,1] op_sel_hi:[1,0,0]
	v_mov_b32_e32 v6, v71
	v_mov_b32_e32 v9, v7
	s_waitcnt lgkmcnt(1)
	v_pk_mul_f32 v[6:7], v[14:15], v[6:7] op_sel_hi:[1,0]
	v_pk_add_f32 v[4:5], v[4:5], v[8:9]
	v_pk_fma_f32 v[8:9], v[14:15], v[70:71], v[6:7] op_sel:[0,0,1] op_sel_hi:[1,1,0] neg_lo:[0,0,1] neg_hi:[0,0,1]
	v_pk_fma_f32 v[6:7], v[14:15], v[70:71], v[6:7] op_sel:[0,0,1] op_sel_hi:[1,0,0]
	v_mov_b32_e32 v6, v69
	v_mov_b32_e32 v9, v7
	v_pk_mul_f32 v[6:7], v[16:17], v[6:7] op_sel_hi:[1,0]
	v_pk_add_f32 v[4:5], v[4:5], v[8:9]
	v_pk_fma_f32 v[8:9], v[16:17], v[68:69], v[6:7] op_sel:[0,0,1] op_sel_hi:[1,1,0] neg_lo:[0,0,1] neg_hi:[0,0,1]
	v_pk_fma_f32 v[6:7], v[16:17], v[68:69], v[6:7] op_sel:[0,0,1] op_sel_hi:[1,0,0]
	v_mov_b32_e32 v6, v67
	v_mov_b32_e32 v9, v7
	s_waitcnt lgkmcnt(0)
	v_pk_mul_f32 v[6:7], v[18:19], v[6:7] op_sel_hi:[1,0]
	v_pk_add_f32 v[4:5], v[4:5], v[8:9]
	v_pk_fma_f32 v[8:9], v[18:19], v[66:67], v[6:7] op_sel:[0,0,1] op_sel_hi:[1,1,0] neg_lo:[0,0,1] neg_hi:[0,0,1]
	v_pk_fma_f32 v[6:7], v[18:19], v[66:67], v[6:7] op_sel:[0,0,1] op_sel_hi:[1,0,0]
	s_waitcnt vmcnt(1)
	v_mov_b32_e32 v6, v75
	v_mov_b32_e32 v9, v7
	v_pk_mul_f32 v[6:7], v[20:21], v[6:7] op_sel_hi:[1,0]
	v_pk_add_f32 v[4:5], v[4:5], v[8:9]
	s_waitcnt vmcnt(0)
	v_pk_fma_f32 v[8:9], v[20:21], v[74:75], v[6:7] op_sel:[0,0,1] op_sel_hi:[1,1,0] neg_lo:[0,0,1] neg_hi:[0,0,1]
	v_pk_fma_f32 v[6:7], v[20:21], v[74:75], v[6:7] op_sel:[0,0,1] op_sel_hi:[1,0,0]
	v_mov_b32_e32 v9, v7
	v_pk_add_f32 v[4:5], v[4:5], v[8:9]
	v_pk_add_f32 v[2:3], v[2:3], v[4:5] neg_lo:[0,1] neg_hi:[0,1]
	buffer_store_dword v3, off, s[0:3], 0 offset:132
	buffer_store_dword v2, off, s[0:3], 0 offset:128
	s_and_saveexec_b64 s[4:5], vcc
	s_cbranch_execz .LBB48_277
; %bb.276:
	buffer_load_dword v2, off, s[0:3], 0 offset:120
	buffer_load_dword v3, off, s[0:3], 0 offset:124
	v_mov_b32_e32 v1, 0
	v_accvgpr_read_b32 v4, a24
	buffer_store_dword v1, off, s[0:3], 0 offset:120
	buffer_store_dword v1, off, s[0:3], 0 offset:124
	s_waitcnt vmcnt(2)
	ds_write_b64 v4, v[2:3]
.LBB48_277:
	s_or_b64 exec, exec, s[4:5]
	s_waitcnt lgkmcnt(0)
	; wave barrier
	s_waitcnt lgkmcnt(0)
	buffer_load_dword v1, off, s[0:3], 0 offset:132
	buffer_load_dword v5, off, s[0:3], 0 offset:140
	;; [unrolled: 1-line block ×52, first 2 shown]
	v_mov_b32_e32 v4, 0
	ds_read_b128 v[6:9], v4 offset:528
	ds_read_b128 v[10:13], v4 offset:544
	;; [unrolled: 1-line block ×6, first 2 shown]
	v_cmp_lt_u32_e32 vcc, 14, v0
	s_waitcnt vmcnt(51) lgkmcnt(5)
	v_mul_f32_e32 v30, v6, v1
	s_waitcnt vmcnt(50)
	v_mul_f32_e32 v31, v8, v5
	s_waitcnt vmcnt(49) lgkmcnt(4)
	v_mul_f32_e32 v32, v10, v62
	s_waitcnt vmcnt(48)
	v_mul_f32_e32 v33, v12, v68
	;; [unrolled: 4-line block ×5, first 2 shown]
	s_waitcnt vmcnt(41) lgkmcnt(0)
	v_mul_f32_e32 v40, v26, v187
	s_waitcnt vmcnt(40)
	v_fmac_f32_e32 v30, v7, v188
	s_waitcnt vmcnt(39)
	v_fmac_f32_e32 v31, v9, v189
	v_add_f32_e32 v30, 0, v30
	s_waitcnt vmcnt(38)
	v_fmac_f32_e32 v32, v11, v190
	v_add_f32_e32 v30, v30, v31
	;; [unrolled: 3-line block ×9, first 2 shown]
	v_add_f32_e32 v30, v30, v39
	s_waitcnt vmcnt(30)
	v_fmac_f32_e32 v40, v27, v198
	v_add_f32_e32 v34, v30, v40
	ds_read_b128 v[30:33], v4 offset:624
	s_waitcnt vmcnt(29)
	v_mul_f32_e32 v35, v28, v199
	s_waitcnt vmcnt(28)
	v_fmac_f32_e32 v35, v29, v200
	v_add_f32_e32 v38, v34, v35
	ds_read_b128 v[34:37], v4 offset:640
	s_waitcnt vmcnt(27) lgkmcnt(1)
	v_mul_f32_e32 v39, v30, v201
	s_waitcnt vmcnt(26)
	v_fmac_f32_e32 v39, v31, v202
	v_add_f32_e32 v38, v38, v39
	s_waitcnt vmcnt(25)
	v_mul_f32_e32 v39, v32, v203
	s_waitcnt vmcnt(24)
	v_fmac_f32_e32 v39, v33, v204
	v_add_f32_e32 v38, v38, v39
	s_waitcnt vmcnt(23) lgkmcnt(0)
	v_mul_f32_e32 v39, v34, v205
	s_waitcnt vmcnt(22)
	v_fmac_f32_e32 v39, v35, v206
	v_add_f32_e32 v42, v38, v39
	ds_read_b128 v[38:41], v4 offset:656
	s_waitcnt vmcnt(21)
	v_mul_f32_e32 v43, v36, v207
	s_waitcnt vmcnt(20)
	v_fmac_f32_e32 v43, v37, v208
	v_add_f32_e32 v46, v42, v43
	ds_read_b128 v[42:45], v4 offset:672
	s_waitcnt vmcnt(19) lgkmcnt(1)
	v_mul_f32_e32 v47, v38, v209
	s_waitcnt vmcnt(18)
	v_fmac_f32_e32 v47, v39, v210
	v_add_f32_e32 v46, v46, v47
	s_waitcnt vmcnt(17)
	v_mul_f32_e32 v47, v40, v211
	s_waitcnt vmcnt(16)
	v_fmac_f32_e32 v47, v41, v212
	v_add_f32_e32 v46, v46, v47
	s_waitcnt vmcnt(14) lgkmcnt(0)
	v_mul_f32_e32 v47, v42, v214
	v_fmac_f32_e32 v47, v43, v213
	v_add_f32_e32 v50, v46, v47
	ds_read_b128 v[46:49], v4 offset:688
	s_waitcnt vmcnt(10)
	v_mul_f32_e32 v51, v44, v216
	v_fmac_f32_e32 v51, v45, v215
	v_add_f32_e32 v54, v50, v51
	ds_read_b128 v[50:53], v4 offset:704
	s_waitcnt vmcnt(8) lgkmcnt(1)
	v_mul_f32_e32 v55, v46, v218
	v_fmac_f32_e32 v55, v47, v217
	v_add_f32_e32 v54, v54, v55
	s_waitcnt vmcnt(6)
	v_mul_f32_e32 v55, v48, v220
	v_fmac_f32_e32 v55, v49, v219
	v_add_f32_e32 v54, v54, v55
	s_waitcnt vmcnt(4) lgkmcnt(0)
	v_mul_f32_e32 v55, v50, v222
	v_fmac_f32_e32 v55, v51, v221
	v_add_f32_e32 v63, v54, v55
	ds_read_b128 v[54:57], v4 offset:720
	buffer_load_dword v65, off, s[0:3], 0 offset:340
	buffer_load_dword v64, off, s[0:3], 0 offset:336
	;; [unrolled: 1-line block ×4, first 2 shown]
	ds_read_b128 v[58:61], v4 offset:736
	buffer_load_dword v73, off, s[0:3], 0 offset:372
	buffer_load_dword v72, off, s[0:3], 0 offset:368
	;; [unrolled: 1-line block ×12, first 2 shown]
	v_mul_f32_e32 v1, v7, v1
	v_fma_f32 v1, v6, v188, -v1
	v_mul_f32_e32 v5, v9, v5
	v_add_f32_e32 v1, 0, v1
	v_fma_f32 v5, v8, v189, -v5
	v_add_f32_e32 v1, v1, v5
	v_mul_f32_e32 v5, v11, v62
	v_fma_f32 v5, v10, v190, -v5
	v_add_f32_e32 v1, v1, v5
	v_mul_f32_e32 v5, v13, v68
	;; [unrolled: 3-line block ×21, first 2 shown]
	v_fma_f32 v5, v50, v221, -v5
	s_waitcnt vmcnt(18)
	v_mul_f32_e32 v69, v52, v224
	v_add_f32_e32 v62, v1, v5
	v_mul_f32_e32 v1, v53, v224
	v_fmac_f32_e32 v69, v53, v223
	s_waitcnt vmcnt(16) lgkmcnt(1)
	v_mul_f32_e32 v71, v54, v226
	v_fma_f32 v68, v52, v223, -v1
	v_mul_f32_e32 v1, v55, v226
	v_fmac_f32_e32 v71, v55, v225
	s_waitcnt vmcnt(13)
	v_mov_b32_e32 v18, v67
	v_pk_mul_f32 v[18:19], v[56:57], v[18:19] op_sel_hi:[1,0]
	s_waitcnt vmcnt(12)
	v_pk_fma_f32 v[20:21], v[56:57], v[66:67], v[18:19] op_sel:[0,0,1] op_sel_hi:[1,1,0] neg_lo:[0,0,1] neg_hi:[0,0,1]
	v_pk_fma_f32 v[18:19], v[56:57], v[66:67], v[18:19] op_sel:[0,0,1] op_sel_hi:[1,0,0]
	v_fma_f32 v70, v54, v225, -v1
	v_pk_add_f32 v[16:17], v[62:63], v[68:69]
	v_mov_b32_e32 v18, v65
	v_pk_add_f32 v[16:17], v[16:17], v[70:71]
	v_mov_b32_e32 v21, v19
	s_waitcnt lgkmcnt(0)
	v_pk_mul_f32 v[18:19], v[58:59], v[18:19] op_sel_hi:[1,0]
	v_pk_add_f32 v[16:17], v[16:17], v[20:21]
	v_pk_fma_f32 v[20:21], v[58:59], v[64:65], v[18:19] op_sel:[0,0,1] op_sel_hi:[1,1,0] neg_lo:[0,0,1] neg_hi:[0,0,1]
	v_pk_fma_f32 v[18:19], v[58:59], v[64:65], v[18:19] op_sel:[0,0,1] op_sel_hi:[1,0,0]
	s_waitcnt vmcnt(5)
	v_mov_b32_e32 v18, v177
	ds_read_b128 v[6:9], v4 offset:752
	ds_read_b128 v[10:13], v4 offset:768
	ds_read_b64 v[14:15], v4 offset:784
	v_mov_b32_e32 v21, v19
	v_pk_mul_f32 v[18:19], v[60:61], v[18:19] op_sel_hi:[1,0]
	v_pk_add_f32 v[16:17], v[16:17], v[20:21]
	s_waitcnt vmcnt(4)
	v_pk_fma_f32 v[20:21], v[60:61], v[176:177], v[18:19] op_sel:[0,0,1] op_sel_hi:[1,1,0] neg_lo:[0,0,1] neg_hi:[0,0,1]
	v_pk_fma_f32 v[18:19], v[60:61], v[176:177], v[18:19] op_sel:[0,0,1] op_sel_hi:[1,0,0]
	v_mov_b32_e32 v18, v77
	v_mov_b32_e32 v21, v19
	s_waitcnt lgkmcnt(2)
	v_pk_mul_f32 v[18:19], v[6:7], v[18:19] op_sel_hi:[1,0]
	v_pk_add_f32 v[16:17], v[16:17], v[20:21]
	v_pk_fma_f32 v[20:21], v[6:7], v[76:77], v[18:19] op_sel:[0,0,1] op_sel_hi:[1,1,0] neg_lo:[0,0,1] neg_hi:[0,0,1]
	v_pk_fma_f32 v[6:7], v[6:7], v[76:77], v[18:19] op_sel:[0,0,1] op_sel_hi:[1,0,0]
	v_mov_b32_e32 v21, v7
	v_pk_add_f32 v[6:7], v[16:17], v[20:21]
	v_mov_b32_e32 v16, v75
	v_pk_mul_f32 v[16:17], v[8:9], v[16:17] op_sel_hi:[1,0]
	v_pk_fma_f32 v[18:19], v[8:9], v[74:75], v[16:17] op_sel:[0,0,1] op_sel_hi:[1,1,0] neg_lo:[0,0,1] neg_hi:[0,0,1]
	v_pk_fma_f32 v[8:9], v[8:9], v[74:75], v[16:17] op_sel:[0,0,1] op_sel_hi:[1,0,0]
	v_mov_b32_e32 v8, v73
	v_mov_b32_e32 v19, v9
	s_waitcnt lgkmcnt(1)
	v_pk_mul_f32 v[8:9], v[10:11], v[8:9] op_sel_hi:[1,0]
	v_pk_fma_f32 v[16:17], v[10:11], v[72:73], v[8:9] op_sel:[0,0,1] op_sel_hi:[1,1,0] neg_lo:[0,0,1] neg_hi:[0,0,1]
	v_pk_fma_f32 v[8:9], v[10:11], v[72:73], v[8:9] op_sel:[0,0,1] op_sel_hi:[1,0,0]
	s_waitcnt vmcnt(1)
	v_mov_b32_e32 v8, v181
	v_mov_b32_e32 v17, v9
	v_pk_mul_f32 v[8:9], v[12:13], v[8:9] op_sel_hi:[1,0]
	s_waitcnt vmcnt(0)
	v_pk_fma_f32 v[10:11], v[12:13], v[180:181], v[8:9] op_sel:[0,0,1] op_sel_hi:[1,1,0] neg_lo:[0,0,1] neg_hi:[0,0,1]
	v_pk_fma_f32 v[8:9], v[12:13], v[180:181], v[8:9] op_sel:[0,0,1] op_sel_hi:[1,0,0]
	v_pk_add_f32 v[6:7], v[6:7], v[18:19]
	v_mov_b32_e32 v8, v179
	v_pk_add_f32 v[6:7], v[6:7], v[16:17]
	v_mov_b32_e32 v11, v9
	s_waitcnt lgkmcnt(0)
	v_pk_mul_f32 v[8:9], v[14:15], v[8:9] op_sel_hi:[1,0]
	v_pk_add_f32 v[6:7], v[6:7], v[10:11]
	v_pk_fma_f32 v[10:11], v[14:15], v[178:179], v[8:9] op_sel:[0,0,1] op_sel_hi:[1,1,0] neg_lo:[0,0,1] neg_hi:[0,0,1]
	v_pk_fma_f32 v[8:9], v[14:15], v[178:179], v[8:9] op_sel:[0,0,1] op_sel_hi:[1,0,0]
	v_mov_b32_e32 v11, v9
	v_pk_add_f32 v[6:7], v[6:7], v[10:11]
	v_pk_add_f32 v[2:3], v[2:3], v[6:7] neg_lo:[0,1] neg_hi:[0,1]
	buffer_store_dword v3, off, s[0:3], 0 offset:124
	buffer_store_dword v2, off, s[0:3], 0 offset:120
	s_and_saveexec_b64 s[4:5], vcc
	s_cbranch_execz .LBB48_279
; %bb.278:
	buffer_load_dword v2, off, s[0:3], 0 offset:112
	buffer_load_dword v3, off, s[0:3], 0 offset:116
	v_accvgpr_read_b32 v1, a24
	buffer_store_dword v4, off, s[0:3], 0 offset:112
	buffer_store_dword v4, off, s[0:3], 0 offset:116
	s_waitcnt vmcnt(2)
	ds_write_b64 v1, v[2:3]
.LBB48_279:
	s_or_b64 exec, exec, s[4:5]
	s_waitcnt lgkmcnt(0)
	; wave barrier
	s_waitcnt lgkmcnt(0)
	buffer_load_dword v1, off, s[0:3], 0 offset:124
	buffer_load_dword v5, off, s[0:3], 0 offset:132
	;; [unrolled: 1-line block ×42, first 2 shown]
	ds_read2_b64 v[6:9], v4 offset0:65 offset1:66
	ds_read2_b64 v[10:13], v4 offset0:67 offset1:68
	buffer_load_dword v217, off, s[0:3], 0 offset:280
	buffer_load_dword v218, off, s[0:3], 0 offset:284
	ds_read2_b64 v[14:17], v4 offset0:69 offset1:70
	ds_read2_b64 v[18:21], v4 offset0:71 offset1:72
	buffer_load_dword v219, off, s[0:3], 0 offset:288
	buffer_load_dword v220, off, s[0:3], 0 offset:292
	;; [unrolled: 1-line block ×4, first 2 shown]
	ds_read2_b64 v[22:25], v4 offset0:73 offset1:74
	ds_read2_b64 v[26:29], v4 offset0:75 offset1:76
	buffer_load_dword v223, off, s[0:3], 0 offset:304
	buffer_load_dword v224, off, s[0:3], 0 offset:308
	;; [unrolled: 1-line block ×6, first 2 shown]
	v_cmp_lt_u32_e32 vcc, 13, v0
	s_waitcnt vmcnt(53) lgkmcnt(5)
	v_mul_f32_e32 v30, v6, v1
	s_waitcnt vmcnt(52)
	v_mul_f32_e32 v31, v8, v5
	s_waitcnt vmcnt(51) lgkmcnt(4)
	v_mul_f32_e32 v32, v10, v64
	s_waitcnt vmcnt(50)
	v_mul_f32_e32 v33, v12, v66
	;; [unrolled: 4-line block ×5, first 2 shown]
	s_waitcnt vmcnt(43)
	v_fmac_f32_e32 v30, v7, v187
	s_waitcnt vmcnt(42)
	v_fmac_f32_e32 v31, v9, v188
	v_add_f32_e32 v30, 0, v30
	s_waitcnt vmcnt(41)
	v_fmac_f32_e32 v32, v11, v189
	v_add_f32_e32 v30, v30, v31
	;; [unrolled: 3-line block ×9, first 2 shown]
	s_waitcnt vmcnt(33) lgkmcnt(0)
	v_mul_f32_e32 v31, v26, v197
	v_add_f32_e32 v30, v30, v39
	s_waitcnt vmcnt(32)
	v_fmac_f32_e32 v31, v27, v198
	v_add_f32_e32 v34, v30, v31
	ds_read2_b64 v[30:33], v4 offset0:77 offset1:78
	s_waitcnt vmcnt(31)
	v_mul_f32_e32 v35, v28, v199
	s_waitcnt vmcnt(30)
	v_fmac_f32_e32 v35, v29, v200
	v_add_f32_e32 v38, v34, v35
	ds_read2_b64 v[34:37], v4 offset0:79 offset1:80
	s_waitcnt vmcnt(29) lgkmcnt(1)
	v_mul_f32_e32 v39, v30, v201
	s_waitcnt vmcnt(28)
	v_fmac_f32_e32 v39, v31, v202
	v_add_f32_e32 v38, v38, v39
	s_waitcnt vmcnt(27)
	v_mul_f32_e32 v39, v32, v203
	s_waitcnt vmcnt(26)
	v_fmac_f32_e32 v39, v33, v204
	v_add_f32_e32 v38, v38, v39
	s_waitcnt vmcnt(25) lgkmcnt(0)
	v_mul_f32_e32 v39, v34, v205
	s_waitcnt vmcnt(24)
	v_fmac_f32_e32 v39, v35, v206
	v_add_f32_e32 v42, v38, v39
	ds_read2_b64 v[38:41], v4 offset0:81 offset1:82
	s_waitcnt vmcnt(23)
	v_mul_f32_e32 v43, v36, v207
	s_waitcnt vmcnt(22)
	v_fmac_f32_e32 v43, v37, v208
	v_add_f32_e32 v46, v42, v43
	ds_read2_b64 v[42:45], v4 offset0:83 offset1:84
	s_waitcnt vmcnt(21) lgkmcnt(1)
	v_mul_f32_e32 v47, v38, v209
	s_waitcnt vmcnt(20)
	v_fmac_f32_e32 v47, v39, v210
	v_add_f32_e32 v46, v46, v47
	s_waitcnt vmcnt(18)
	v_mul_f32_e32 v47, v40, v212
	v_fmac_f32_e32 v47, v41, v211
	v_add_f32_e32 v46, v46, v47
	s_waitcnt vmcnt(15) lgkmcnt(0)
	v_mul_f32_e32 v47, v42, v213
	s_waitcnt vmcnt(14)
	v_fmac_f32_e32 v47, v43, v214
	v_add_f32_e32 v50, v46, v47
	ds_read2_b64 v[46:49], v4 offset0:85 offset1:86
	s_waitcnt vmcnt(12)
	v_mul_f32_e32 v51, v44, v216
	v_fmac_f32_e32 v51, v45, v215
	v_add_f32_e32 v54, v50, v51
	ds_read2_b64 v[50:53], v4 offset0:87 offset1:88
	buffer_load_dword v63, off, s[0:3], 0 offset:332
	buffer_load_dword v62, off, s[0:3], 0 offset:328
	s_waitcnt vmcnt(12) lgkmcnt(1)
	v_mul_f32_e32 v55, v46, v218
	v_fmac_f32_e32 v55, v47, v217
	v_add_f32_e32 v54, v54, v55
	s_waitcnt vmcnt(10)
	v_mul_f32_e32 v55, v48, v220
	v_fmac_f32_e32 v55, v49, v219
	v_add_f32_e32 v54, v54, v55
	s_waitcnt vmcnt(8) lgkmcnt(0)
	v_mul_f32_e32 v55, v50, v222
	v_fmac_f32_e32 v55, v51, v221
	s_waitcnt vmcnt(6)
	v_mul_f32_e32 v59, v52, v224
	v_add_f32_e32 v58, v54, v55
	v_fmac_f32_e32 v59, v53, v223
	ds_read2_b64 v[54:57], v4 offset0:89 offset1:90
	v_add_f32_e32 v65, v58, v59
	ds_read2_b64 v[58:61], v4 offset0:91 offset1:92
	buffer_load_dword v71, off, s[0:3], 0 offset:364
	buffer_load_dword v70, off, s[0:3], 0 offset:360
	;; [unrolled: 1-line block ×14, first 2 shown]
	v_mul_f32_e32 v1, v7, v1
	v_fma_f32 v1, v6, v187, -v1
	v_mul_f32_e32 v5, v9, v5
	v_add_f32_e32 v1, 0, v1
	v_fma_f32 v5, v8, v188, -v5
	v_add_f32_e32 v1, v1, v5
	v_mul_f32_e32 v5, v11, v64
	v_fma_f32 v5, v10, v189, -v5
	v_add_f32_e32 v1, v1, v5
	v_mul_f32_e32 v5, v13, v66
	;; [unrolled: 3-line block ×22, first 2 shown]
	v_fma_f32 v5, v52, v223, -v5
	s_waitcnt vmcnt(15)
	v_mov_b32_e32 v18, v63
	s_waitcnt lgkmcnt(1)
	v_mul_f32_e32 v67, v54, v226
	v_add_f32_e32 v64, v1, v5
	v_mul_f32_e32 v1, v55, v226
	s_waitcnt lgkmcnt(0)
	v_pk_mul_f32 v[18:19], v[58:59], v[18:19] op_sel_hi:[1,0]
	v_fmac_f32_e32 v67, v55, v225
	v_mul_f32_e32 v69, v56, v228
	v_fma_f32 v66, v54, v225, -v1
	v_mul_f32_e32 v1, v57, v228
	s_waitcnt vmcnt(14)
	v_pk_fma_f32 v[20:21], v[58:59], v[62:63], v[18:19] op_sel:[0,0,1] op_sel_hi:[1,1,0] neg_lo:[0,0,1] neg_hi:[0,0,1]
	v_pk_fma_f32 v[18:19], v[58:59], v[62:63], v[18:19] op_sel:[0,0,1] op_sel_hi:[1,0,0]
	v_fmac_f32_e32 v69, v57, v227
	v_fma_f32 v68, v56, v227, -v1
	ds_read2_b64 v[6:9], v4 offset0:93 offset1:94
	ds_read2_b64 v[10:13], v4 offset0:95 offset1:96
	;; [unrolled: 1-line block ×3, first 2 shown]
	v_pk_add_f32 v[4:5], v[64:65], v[66:67]
	s_waitcnt vmcnt(7)
	v_mov_b32_e32 v18, v77
	v_pk_add_f32 v[4:5], v[4:5], v[68:69]
	v_mov_b32_e32 v21, v19
	v_pk_mul_f32 v[18:19], v[60:61], v[18:19] op_sel_hi:[1,0]
	v_pk_add_f32 v[4:5], v[4:5], v[20:21]
	s_waitcnt vmcnt(6)
	v_pk_fma_f32 v[20:21], v[60:61], v[76:77], v[18:19] op_sel:[0,0,1] op_sel_hi:[1,1,0] neg_lo:[0,0,1] neg_hi:[0,0,1]
	v_pk_fma_f32 v[18:19], v[60:61], v[76:77], v[18:19] op_sel:[0,0,1] op_sel_hi:[1,0,0]
	v_mov_b32_e32 v18, v75
	v_mov_b32_e32 v21, v19
	s_waitcnt lgkmcnt(2)
	v_pk_mul_f32 v[18:19], v[6:7], v[18:19] op_sel_hi:[1,0]
	v_pk_add_f32 v[4:5], v[4:5], v[20:21]
	v_pk_fma_f32 v[20:21], v[6:7], v[74:75], v[18:19] op_sel:[0,0,1] op_sel_hi:[1,1,0] neg_lo:[0,0,1] neg_hi:[0,0,1]
	v_pk_fma_f32 v[6:7], v[6:7], v[74:75], v[18:19] op_sel:[0,0,1] op_sel_hi:[1,0,0]
	v_mov_b32_e32 v6, v73
	v_mov_b32_e32 v21, v7
	v_pk_mul_f32 v[6:7], v[8:9], v[6:7] op_sel_hi:[1,0]
	v_pk_fma_f32 v[18:19], v[8:9], v[72:73], v[6:7] op_sel:[0,0,1] op_sel_hi:[1,1,0] neg_lo:[0,0,1] neg_hi:[0,0,1]
	v_pk_fma_f32 v[6:7], v[8:9], v[72:73], v[6:7] op_sel:[0,0,1] op_sel_hi:[1,0,0]
	v_mov_b32_e32 v6, v71
	v_mov_b32_e32 v19, v7
	s_waitcnt lgkmcnt(1)
	v_pk_mul_f32 v[6:7], v[10:11], v[6:7] op_sel_hi:[1,0]
	v_pk_fma_f32 v[8:9], v[10:11], v[70:71], v[6:7] op_sel:[0,0,1] op_sel_hi:[1,1,0] neg_lo:[0,0,1] neg_hi:[0,0,1]
	v_pk_fma_f32 v[6:7], v[10:11], v[70:71], v[6:7] op_sel:[0,0,1] op_sel_hi:[1,0,0]
	v_pk_add_f32 v[4:5], v[4:5], v[20:21]
	s_waitcnt vmcnt(1)
	v_mov_b32_e32 v6, v181
	v_pk_add_f32 v[4:5], v[4:5], v[18:19]
	v_mov_b32_e32 v9, v7
	v_pk_mul_f32 v[6:7], v[12:13], v[6:7] op_sel_hi:[1,0]
	v_pk_add_f32 v[4:5], v[4:5], v[8:9]
	s_waitcnt vmcnt(0)
	v_pk_fma_f32 v[8:9], v[12:13], v[180:181], v[6:7] op_sel:[0,0,1] op_sel_hi:[1,1,0] neg_lo:[0,0,1] neg_hi:[0,0,1]
	v_pk_fma_f32 v[6:7], v[12:13], v[180:181], v[6:7] op_sel:[0,0,1] op_sel_hi:[1,0,0]
	v_mov_b32_e32 v6, v179
	v_mov_b32_e32 v9, v7
	s_waitcnt lgkmcnt(0)
	v_pk_mul_f32 v[6:7], v[14:15], v[6:7] op_sel_hi:[1,0]
	v_pk_add_f32 v[4:5], v[4:5], v[8:9]
	v_pk_fma_f32 v[8:9], v[14:15], v[178:179], v[6:7] op_sel:[0,0,1] op_sel_hi:[1,1,0] neg_lo:[0,0,1] neg_hi:[0,0,1]
	v_pk_fma_f32 v[6:7], v[14:15], v[178:179], v[6:7] op_sel:[0,0,1] op_sel_hi:[1,0,0]
	v_mov_b32_e32 v6, v177
	v_mov_b32_e32 v9, v7
	v_pk_mul_f32 v[6:7], v[16:17], v[6:7] op_sel_hi:[1,0]
	v_pk_add_f32 v[4:5], v[4:5], v[8:9]
	v_pk_fma_f32 v[8:9], v[16:17], v[176:177], v[6:7] op_sel:[0,0,1] op_sel_hi:[1,1,0] neg_lo:[0,0,1] neg_hi:[0,0,1]
	v_pk_fma_f32 v[6:7], v[16:17], v[176:177], v[6:7] op_sel:[0,0,1] op_sel_hi:[1,0,0]
	v_mov_b32_e32 v9, v7
	v_pk_add_f32 v[4:5], v[4:5], v[8:9]
	v_pk_add_f32 v[2:3], v[2:3], v[4:5] neg_lo:[0,1] neg_hi:[0,1]
	buffer_store_dword v3, off, s[0:3], 0 offset:116
	buffer_store_dword v2, off, s[0:3], 0 offset:112
	s_and_saveexec_b64 s[4:5], vcc
	s_cbranch_execz .LBB48_281
; %bb.280:
	buffer_load_dword v2, off, s[0:3], 0 offset:104
	buffer_load_dword v3, off, s[0:3], 0 offset:108
	v_mov_b32_e32 v1, 0
	v_accvgpr_read_b32 v4, a24
	buffer_store_dword v1, off, s[0:3], 0 offset:104
	buffer_store_dword v1, off, s[0:3], 0 offset:108
	s_waitcnt vmcnt(2)
	ds_write_b64 v4, v[2:3]
.LBB48_281:
	s_or_b64 exec, exec, s[4:5]
	s_waitcnt lgkmcnt(0)
	; wave barrier
	s_waitcnt lgkmcnt(0)
	buffer_load_dword v1, off, s[0:3], 0 offset:116
	buffer_load_dword v5, off, s[0:3], 0 offset:124
	;; [unrolled: 1-line block ×56, first 2 shown]
	v_mov_b32_e32 v4, 0
	ds_read_b128 v[6:9], v4 offset:512
	ds_read_b128 v[10:13], v4 offset:528
	;; [unrolled: 1-line block ×6, first 2 shown]
	v_cmp_lt_u32_e32 vcc, 12, v0
	s_waitcnt vmcnt(55) lgkmcnt(5)
	v_mul_f32_e32 v30, v6, v1
	s_waitcnt vmcnt(54)
	v_mul_f32_e32 v31, v8, v5
	s_waitcnt vmcnt(53) lgkmcnt(4)
	v_mul_f32_e32 v32, v10, v62
	s_waitcnt vmcnt(52)
	v_mul_f32_e32 v33, v12, v64
	;; [unrolled: 4-line block ×4, first 2 shown]
	s_waitcnt vmcnt(47) lgkmcnt(1)
	v_mul_f32_e32 v38, v22, v185
	s_waitcnt vmcnt(46)
	v_fmac_f32_e32 v30, v7, v186
	s_waitcnt vmcnt(45)
	v_fmac_f32_e32 v31, v9, v187
	v_add_f32_e32 v30, 0, v30
	s_waitcnt vmcnt(44)
	v_fmac_f32_e32 v32, v11, v188
	v_add_f32_e32 v30, v30, v31
	;; [unrolled: 3-line block ×7, first 2 shown]
	v_add_f32_e32 v30, v30, v37
	s_waitcnt vmcnt(38)
	v_fmac_f32_e32 v38, v23, v194
	s_waitcnt vmcnt(37)
	v_mul_f32_e32 v31, v24, v195
	v_add_f32_e32 v30, v30, v38
	s_waitcnt vmcnt(36)
	v_fmac_f32_e32 v31, v25, v196
	v_add_f32_e32 v30, v30, v31
	s_waitcnt vmcnt(35) lgkmcnt(0)
	v_mul_f32_e32 v31, v26, v197
	s_waitcnt vmcnt(34)
	v_fmac_f32_e32 v31, v27, v198
	v_add_f32_e32 v34, v30, v31
	ds_read_b128 v[30:33], v4 offset:608
	s_waitcnt vmcnt(33)
	v_mul_f32_e32 v35, v28, v199
	s_waitcnt vmcnt(32)
	v_fmac_f32_e32 v35, v29, v200
	v_add_f32_e32 v38, v34, v35
	ds_read_b128 v[34:37], v4 offset:624
	s_waitcnt vmcnt(31) lgkmcnt(1)
	v_mul_f32_e32 v39, v30, v201
	s_waitcnt vmcnt(30)
	v_fmac_f32_e32 v39, v31, v202
	v_add_f32_e32 v38, v38, v39
	s_waitcnt vmcnt(29)
	v_mul_f32_e32 v39, v32, v203
	s_waitcnt vmcnt(28)
	v_fmac_f32_e32 v39, v33, v204
	v_add_f32_e32 v38, v38, v39
	s_waitcnt vmcnt(27) lgkmcnt(0)
	v_mul_f32_e32 v39, v34, v205
	s_waitcnt vmcnt(26)
	v_fmac_f32_e32 v39, v35, v206
	v_add_f32_e32 v42, v38, v39
	ds_read_b128 v[38:41], v4 offset:640
	s_waitcnt vmcnt(24)
	v_mul_f32_e32 v43, v36, v208
	v_fmac_f32_e32 v43, v37, v207
	v_add_f32_e32 v46, v42, v43
	ds_read_b128 v[42:45], v4 offset:656
	s_waitcnt vmcnt(20) lgkmcnt(1)
	v_mul_f32_e32 v47, v38, v210
	v_fmac_f32_e32 v47, v39, v209
	v_add_f32_e32 v46, v46, v47
	s_waitcnt vmcnt(18)
	v_mul_f32_e32 v47, v40, v212
	v_fmac_f32_e32 v47, v41, v211
	v_add_f32_e32 v46, v46, v47
	s_waitcnt vmcnt(16) lgkmcnt(0)
	v_mul_f32_e32 v47, v42, v214
	v_fmac_f32_e32 v47, v43, v213
	v_add_f32_e32 v50, v46, v47
	ds_read_b128 v[46:49], v4 offset:672
	s_waitcnt vmcnt(14)
	v_mul_f32_e32 v51, v44, v216
	v_fmac_f32_e32 v51, v45, v215
	v_add_f32_e32 v54, v50, v51
	ds_read_b128 v[50:53], v4 offset:688
	s_waitcnt vmcnt(12) lgkmcnt(1)
	v_mul_f32_e32 v55, v46, v218
	v_fmac_f32_e32 v55, v47, v217
	v_add_f32_e32 v54, v54, v55
	s_waitcnt vmcnt(10)
	v_mul_f32_e32 v55, v48, v220
	v_fmac_f32_e32 v55, v49, v219
	v_add_f32_e32 v54, v54, v55
	s_waitcnt vmcnt(8) lgkmcnt(0)
	v_mul_f32_e32 v55, v50, v222
	v_fmac_f32_e32 v55, v51, v221
	s_waitcnt vmcnt(6)
	v_mul_f32_e32 v59, v52, v224
	v_add_f32_e32 v58, v54, v55
	v_fmac_f32_e32 v59, v53, v223
	ds_read_b128 v[54:57], v4 offset:704
	v_add_f32_e32 v63, v58, v59
	ds_read_b128 v[58:61], v4 offset:720
	buffer_load_dword v69, off, s[0:3], 0 offset:356
	buffer_load_dword v68, off, s[0:3], 0 offset:352
	;; [unrolled: 1-line block ×16, first 2 shown]
	v_mul_f32_e32 v1, v7, v1
	v_fma_f32 v1, v6, v186, -v1
	v_mul_f32_e32 v5, v9, v5
	v_add_f32_e32 v1, 0, v1
	v_fma_f32 v5, v8, v187, -v5
	v_add_f32_e32 v1, v1, v5
	v_mul_f32_e32 v5, v11, v62
	v_fma_f32 v5, v10, v188, -v5
	v_add_f32_e32 v1, v1, v5
	v_mul_f32_e32 v5, v13, v64
	;; [unrolled: 3-line block ×22, first 2 shown]
	v_fma_f32 v5, v52, v223, -v5
	s_waitcnt vmcnt(20) lgkmcnt(1)
	v_mul_f32_e32 v65, v54, v226
	v_add_f32_e32 v1, v1, v5
	v_mul_f32_e32 v5, v55, v226
	v_fmac_f32_e32 v65, v55, v225
	v_fma_f32 v5, v54, v225, -v5
	s_waitcnt vmcnt(9)
	v_mov_b32_e32 v22, v75
	v_add_f32_e32 v63, v63, v65
	v_mul_f32_e32 v65, v56, v228
	v_add_f32_e32 v62, v1, v5
	v_mul_f32_e32 v1, v57, v228
	s_waitcnt lgkmcnt(0)
	v_pk_mul_f32 v[22:23], v[60:61], v[22:23] op_sel_hi:[1,0]
	v_fmac_f32_e32 v65, v57, v227
	v_mul_f32_e32 v67, v58, v230
	v_fma_f32 v64, v56, v227, -v1
	v_mul_f32_e32 v1, v59, v230
	ds_read_b128 v[6:9], v4 offset:736
	ds_read_b128 v[10:13], v4 offset:752
	;; [unrolled: 1-line block ×3, first 2 shown]
	ds_read_b64 v[18:19], v4 offset:784
	s_waitcnt vmcnt(8)
	v_pk_fma_f32 v[24:25], v[60:61], v[74:75], v[22:23] op_sel:[0,0,1] op_sel_hi:[1,1,0] neg_lo:[0,0,1] neg_hi:[0,0,1]
	v_pk_fma_f32 v[22:23], v[60:61], v[74:75], v[22:23] op_sel:[0,0,1] op_sel_hi:[1,0,0]
	v_fmac_f32_e32 v67, v59, v229
	v_fma_f32 v66, v58, v229, -v1
	v_pk_add_f32 v[20:21], v[62:63], v[64:65]
	v_mov_b32_e32 v22, v73
	v_pk_add_f32 v[20:21], v[20:21], v[66:67]
	v_mov_b32_e32 v25, v23
	s_waitcnt lgkmcnt(3)
	v_pk_mul_f32 v[22:23], v[6:7], v[22:23] op_sel_hi:[1,0]
	v_pk_add_f32 v[20:21], v[20:21], v[24:25]
	v_pk_fma_f32 v[24:25], v[6:7], v[72:73], v[22:23] op_sel:[0,0,1] op_sel_hi:[1,1,0] neg_lo:[0,0,1] neg_hi:[0,0,1]
	v_pk_fma_f32 v[6:7], v[6:7], v[72:73], v[22:23] op_sel:[0,0,1] op_sel_hi:[1,0,0]
	v_mov_b32_e32 v25, v7
	v_pk_add_f32 v[6:7], v[20:21], v[24:25]
	v_mov_b32_e32 v20, v71
	v_pk_mul_f32 v[20:21], v[8:9], v[20:21] op_sel_hi:[1,0]
	v_pk_fma_f32 v[22:23], v[8:9], v[70:71], v[20:21] op_sel:[0,0,1] op_sel_hi:[1,1,0] neg_lo:[0,0,1] neg_hi:[0,0,1]
	v_pk_fma_f32 v[8:9], v[8:9], v[70:71], v[20:21] op_sel:[0,0,1] op_sel_hi:[1,0,0]
	v_mov_b32_e32 v8, v69
	v_mov_b32_e32 v23, v9
	s_waitcnt lgkmcnt(2)
	v_pk_mul_f32 v[8:9], v[10:11], v[8:9] op_sel_hi:[1,0]
	v_pk_fma_f32 v[20:21], v[10:11], v[68:69], v[8:9] op_sel:[0,0,1] op_sel_hi:[1,1,0] neg_lo:[0,0,1] neg_hi:[0,0,1]
	v_pk_fma_f32 v[8:9], v[10:11], v[68:69], v[8:9] op_sel:[0,0,1] op_sel_hi:[1,0,0]
	s_waitcnt vmcnt(1)
	v_mov_b32_e32 v8, v181
	v_mov_b32_e32 v21, v9
	v_pk_mul_f32 v[8:9], v[12:13], v[8:9] op_sel_hi:[1,0]
	s_waitcnt vmcnt(0)
	v_pk_fma_f32 v[10:11], v[12:13], v[180:181], v[8:9] op_sel:[0,0,1] op_sel_hi:[1,1,0] neg_lo:[0,0,1] neg_hi:[0,0,1]
	v_pk_fma_f32 v[8:9], v[12:13], v[180:181], v[8:9] op_sel:[0,0,1] op_sel_hi:[1,0,0]
	v_pk_add_f32 v[6:7], v[6:7], v[22:23]
	v_mov_b32_e32 v8, v179
	v_pk_add_f32 v[6:7], v[6:7], v[20:21]
	v_mov_b32_e32 v11, v9
	s_waitcnt lgkmcnt(1)
	v_pk_mul_f32 v[8:9], v[14:15], v[8:9] op_sel_hi:[1,0]
	v_pk_add_f32 v[6:7], v[6:7], v[10:11]
	v_pk_fma_f32 v[10:11], v[14:15], v[178:179], v[8:9] op_sel:[0,0,1] op_sel_hi:[1,1,0] neg_lo:[0,0,1] neg_hi:[0,0,1]
	v_pk_fma_f32 v[8:9], v[14:15], v[178:179], v[8:9] op_sel:[0,0,1] op_sel_hi:[1,0,0]
	v_mov_b32_e32 v8, v177
	v_mov_b32_e32 v11, v9
	v_pk_mul_f32 v[8:9], v[16:17], v[8:9] op_sel_hi:[1,0]
	v_pk_add_f32 v[6:7], v[6:7], v[10:11]
	v_pk_fma_f32 v[10:11], v[16:17], v[176:177], v[8:9] op_sel:[0,0,1] op_sel_hi:[1,1,0] neg_lo:[0,0,1] neg_hi:[0,0,1]
	v_pk_fma_f32 v[8:9], v[16:17], v[176:177], v[8:9] op_sel:[0,0,1] op_sel_hi:[1,0,0]
	v_mov_b32_e32 v8, v77
	v_mov_b32_e32 v11, v9
	s_waitcnt lgkmcnt(0)
	v_pk_mul_f32 v[8:9], v[18:19], v[8:9] op_sel_hi:[1,0]
	v_pk_add_f32 v[6:7], v[6:7], v[10:11]
	v_pk_fma_f32 v[10:11], v[18:19], v[76:77], v[8:9] op_sel:[0,0,1] op_sel_hi:[1,1,0] neg_lo:[0,0,1] neg_hi:[0,0,1]
	v_pk_fma_f32 v[8:9], v[18:19], v[76:77], v[8:9] op_sel:[0,0,1] op_sel_hi:[1,0,0]
	v_mov_b32_e32 v11, v9
	v_pk_add_f32 v[6:7], v[6:7], v[10:11]
	v_pk_add_f32 v[2:3], v[2:3], v[6:7] neg_lo:[0,1] neg_hi:[0,1]
	buffer_store_dword v3, off, s[0:3], 0 offset:108
	buffer_store_dword v2, off, s[0:3], 0 offset:104
	s_and_saveexec_b64 s[4:5], vcc
	s_cbranch_execz .LBB48_283
; %bb.282:
	buffer_load_dword v2, off, s[0:3], 0 offset:96
	buffer_load_dword v3, off, s[0:3], 0 offset:100
	v_accvgpr_read_b32 v1, a24
	buffer_store_dword v4, off, s[0:3], 0 offset:96
	buffer_store_dword v4, off, s[0:3], 0 offset:100
	s_waitcnt vmcnt(2)
	ds_write_b64 v1, v[2:3]
.LBB48_283:
	s_or_b64 exec, exec, s[4:5]
	s_waitcnt lgkmcnt(0)
	; wave barrier
	s_waitcnt lgkmcnt(0)
	buffer_load_dword v1, off, s[0:3], 0 offset:108
	buffer_load_dword v5, off, s[0:3], 0 offset:116
	;; [unrolled: 1-line block ×36, first 2 shown]
	ds_read2_b64 v[6:9], v4 offset0:63 offset1:64
	ds_read2_b64 v[10:13], v4 offset0:65 offset1:66
	buffer_load_dword v211, off, s[0:3], 0 offset:240
	buffer_load_dword v212, off, s[0:3], 0 offset:244
	;; [unrolled: 1-line block ×4, first 2 shown]
	ds_read2_b64 v[14:17], v4 offset0:67 offset1:68
	ds_read2_b64 v[18:21], v4 offset0:69 offset1:70
	buffer_load_dword v215, off, s[0:3], 0 offset:256
	buffer_load_dword v216, off, s[0:3], 0 offset:260
	ds_read2_b64 v[22:25], v4 offset0:71 offset1:72
	ds_read2_b64 v[26:29], v4 offset0:73 offset1:74
	buffer_load_dword v217, off, s[0:3], 0 offset:264
	buffer_load_dword v218, off, s[0:3], 0 offset:268
	;; [unrolled: 1-line block ×16, first 2 shown]
	v_cmp_lt_u32_e32 vcc, 11, v0
	s_waitcnt vmcnt(57) lgkmcnt(5)
	v_mul_f32_e32 v30, v6, v1
	s_waitcnt vmcnt(56)
	v_mul_f32_e32 v31, v8, v5
	s_waitcnt vmcnt(55) lgkmcnt(4)
	v_mul_f32_e32 v32, v10, v62
	s_waitcnt vmcnt(54)
	v_mul_f32_e32 v33, v12, v64
	;; [unrolled: 4-line block ×4, first 2 shown]
	s_waitcnt vmcnt(49)
	v_fmac_f32_e32 v30, v7, v185
	s_waitcnt vmcnt(48)
	v_fmac_f32_e32 v31, v9, v186
	v_add_f32_e32 v30, 0, v30
	s_waitcnt vmcnt(47)
	v_fmac_f32_e32 v32, v11, v187
	v_add_f32_e32 v30, v30, v31
	;; [unrolled: 3-line block ×7, first 2 shown]
	s_waitcnt vmcnt(41) lgkmcnt(1)
	v_mul_f32_e32 v31, v22, v193
	v_add_f32_e32 v30, v30, v37
	s_waitcnt vmcnt(40)
	v_fmac_f32_e32 v31, v23, v194
	v_add_f32_e32 v30, v30, v31
	s_waitcnt vmcnt(39)
	v_mul_f32_e32 v31, v24, v195
	s_waitcnt vmcnt(38)
	v_fmac_f32_e32 v31, v25, v196
	v_add_f32_e32 v30, v30, v31
	s_waitcnt vmcnt(37) lgkmcnt(0)
	v_mul_f32_e32 v31, v26, v197
	s_waitcnt vmcnt(36)
	v_fmac_f32_e32 v31, v27, v198
	v_add_f32_e32 v34, v30, v31
	ds_read2_b64 v[30:33], v4 offset0:75 offset1:76
	s_waitcnt vmcnt(35)
	v_mul_f32_e32 v35, v28, v199
	s_waitcnt vmcnt(34)
	v_fmac_f32_e32 v35, v29, v200
	v_add_f32_e32 v38, v34, v35
	ds_read2_b64 v[34:37], v4 offset0:77 offset1:78
	s_waitcnt vmcnt(33) lgkmcnt(1)
	v_mul_f32_e32 v39, v30, v201
	s_waitcnt vmcnt(32)
	v_fmac_f32_e32 v39, v31, v202
	v_add_f32_e32 v38, v38, v39
	s_waitcnt vmcnt(31)
	v_mul_f32_e32 v39, v32, v203
	s_waitcnt vmcnt(30)
	v_fmac_f32_e32 v39, v33, v204
	v_add_f32_e32 v38, v38, v39
	s_waitcnt vmcnt(29) lgkmcnt(0)
	v_mul_f32_e32 v39, v34, v205
	s_waitcnt vmcnt(28)
	v_fmac_f32_e32 v39, v35, v206
	v_add_f32_e32 v42, v38, v39
	ds_read2_b64 v[38:41], v4 offset0:79 offset1:80
	s_waitcnt vmcnt(25)
	v_mul_f32_e32 v43, v36, v207
	s_waitcnt vmcnt(24)
	v_fmac_f32_e32 v43, v37, v208
	v_add_f32_e32 v46, v42, v43
	ds_read2_b64 v[42:45], v4 offset0:81 offset1:82
	s_waitcnt vmcnt(22) lgkmcnt(1)
	v_mul_f32_e32 v47, v38, v210
	v_fmac_f32_e32 v47, v39, v209
	v_add_f32_e32 v46, v46, v47
	s_waitcnt vmcnt(20)
	v_mul_f32_e32 v47, v40, v212
	v_fmac_f32_e32 v47, v41, v211
	v_add_f32_e32 v46, v46, v47
	s_waitcnt vmcnt(18) lgkmcnt(0)
	v_mul_f32_e32 v47, v42, v214
	v_fmac_f32_e32 v47, v43, v213
	v_add_f32_e32 v50, v46, v47
	ds_read2_b64 v[46:49], v4 offset0:83 offset1:84
	s_waitcnt vmcnt(16)
	v_mul_f32_e32 v51, v44, v216
	v_fmac_f32_e32 v51, v45, v215
	v_add_f32_e32 v54, v50, v51
	ds_read2_b64 v[50:53], v4 offset0:85 offset1:86
	s_waitcnt vmcnt(14) lgkmcnt(1)
	v_mul_f32_e32 v55, v46, v218
	v_fmac_f32_e32 v55, v47, v217
	v_add_f32_e32 v54, v54, v55
	s_waitcnt vmcnt(12)
	v_mul_f32_e32 v55, v48, v220
	v_fmac_f32_e32 v55, v49, v219
	v_add_f32_e32 v54, v54, v55
	s_waitcnt vmcnt(10) lgkmcnt(0)
	v_mul_f32_e32 v55, v50, v222
	v_fmac_f32_e32 v55, v51, v221
	s_waitcnt vmcnt(8)
	v_mul_f32_e32 v59, v52, v224
	v_add_f32_e32 v58, v54, v55
	v_fmac_f32_e32 v59, v53, v223
	ds_read2_b64 v[54:57], v4 offset0:87 offset1:88
	v_add_f32_e32 v63, v58, v59
	ds_read2_b64 v[58:61], v4 offset0:89 offset1:90
	buffer_load_dword v67, off, s[0:3], 0 offset:348
	buffer_load_dword v66, off, s[0:3], 0 offset:344
	;; [unrolled: 1-line block ×16, first 2 shown]
	v_mul_f32_e32 v1, v7, v1
	v_fma_f32 v1, v6, v185, -v1
	v_mul_f32_e32 v5, v9, v5
	v_add_f32_e32 v1, 0, v1
	v_fma_f32 v5, v8, v186, -v5
	v_add_f32_e32 v1, v1, v5
	v_mul_f32_e32 v5, v11, v62
	v_fma_f32 v5, v10, v187, -v5
	v_add_f32_e32 v1, v1, v5
	v_mul_f32_e32 v5, v13, v64
	;; [unrolled: 3-line block ×22, first 2 shown]
	ds_read2_b64 v[6:9], v4 offset0:91 offset1:92
	ds_read2_b64 v[10:13], v4 offset0:93 offset1:94
	ds_read2_b64 v[14:17], v4 offset0:95 offset1:96
	ds_read2_b64 v[18:21], v4 offset0:97 offset1:98
	v_fma_f32 v5, v52, v223, -v5
	s_waitcnt vmcnt(22) lgkmcnt(5)
	v_mul_f32_e32 v65, v54, v226
	v_add_f32_e32 v1, v1, v5
	v_mul_f32_e32 v5, v55, v226
	v_fmac_f32_e32 v65, v55, v225
	v_fma_f32 v5, v54, v225, -v5
	s_waitcnt vmcnt(11)
	v_mov_b32_e32 v22, v71
	s_waitcnt lgkmcnt(3)
	v_pk_mul_f32 v[22:23], v[6:7], v[22:23] op_sel_hi:[1,0]
	s_waitcnt vmcnt(10)
	v_pk_fma_f32 v[24:25], v[6:7], v[70:71], v[22:23] op_sel:[0,0,1] op_sel_hi:[1,1,0] neg_lo:[0,0,1] neg_hi:[0,0,1]
	v_pk_fma_f32 v[6:7], v[6:7], v[70:71], v[22:23] op_sel:[0,0,1] op_sel_hi:[1,0,0]
	v_add_f32_e32 v63, v63, v65
	v_mul_f32_e32 v65, v56, v228
	v_add_f32_e32 v1, v1, v5
	v_mul_f32_e32 v5, v57, v228
	v_mov_b32_e32 v6, v69
	v_fmac_f32_e32 v65, v57, v227
	v_fma_f32 v5, v56, v227, -v5
	v_mov_b32_e32 v25, v7
	v_pk_mul_f32 v[6:7], v[8:9], v[6:7] op_sel_hi:[1,0]
	v_add_f32_e32 v63, v63, v65
	v_mul_f32_e32 v65, v58, v230
	v_add_f32_e32 v62, v1, v5
	v_mul_f32_e32 v1, v59, v230
	v_pk_fma_f32 v[22:23], v[8:9], v[68:69], v[6:7] op_sel:[0,0,1] op_sel_hi:[1,1,0] neg_lo:[0,0,1] neg_hi:[0,0,1]
	v_pk_fma_f32 v[6:7], v[8:9], v[68:69], v[6:7] op_sel:[0,0,1] op_sel_hi:[1,0,0]
	v_fmac_f32_e32 v65, v59, v229
	v_mul_f32_e32 v73, v60, v232
	v_fma_f32 v64, v58, v229, -v1
	v_mul_f32_e32 v1, v61, v232
	v_mov_b32_e32 v6, v67
	v_fmac_f32_e32 v73, v61, v231
	v_fma_f32 v72, v60, v231, -v1
	v_pk_add_f32 v[4:5], v[62:63], v[64:65]
	v_mov_b32_e32 v23, v7
	s_waitcnt lgkmcnt(2)
	v_pk_mul_f32 v[6:7], v[10:11], v[6:7] op_sel_hi:[1,0]
	v_pk_add_f32 v[4:5], v[4:5], v[72:73]
	v_pk_fma_f32 v[8:9], v[10:11], v[66:67], v[6:7] op_sel:[0,0,1] op_sel_hi:[1,1,0] neg_lo:[0,0,1] neg_hi:[0,0,1]
	v_pk_fma_f32 v[6:7], v[10:11], v[66:67], v[6:7] op_sel:[0,0,1] op_sel_hi:[1,0,0]
	v_pk_add_f32 v[4:5], v[4:5], v[24:25]
	s_waitcnt vmcnt(3)
	v_mov_b32_e32 v6, v179
	v_pk_add_f32 v[4:5], v[4:5], v[22:23]
	v_mov_b32_e32 v9, v7
	v_pk_mul_f32 v[6:7], v[12:13], v[6:7] op_sel_hi:[1,0]
	v_pk_add_f32 v[4:5], v[4:5], v[8:9]
	s_waitcnt vmcnt(2)
	v_pk_fma_f32 v[8:9], v[12:13], v[178:179], v[6:7] op_sel:[0,0,1] op_sel_hi:[1,1,0] neg_lo:[0,0,1] neg_hi:[0,0,1]
	v_pk_fma_f32 v[6:7], v[12:13], v[178:179], v[6:7] op_sel:[0,0,1] op_sel_hi:[1,0,0]
	v_mov_b32_e32 v6, v177
	v_mov_b32_e32 v9, v7
	s_waitcnt lgkmcnt(1)
	v_pk_mul_f32 v[6:7], v[14:15], v[6:7] op_sel_hi:[1,0]
	v_pk_add_f32 v[4:5], v[4:5], v[8:9]
	v_pk_fma_f32 v[8:9], v[14:15], v[176:177], v[6:7] op_sel:[0,0,1] op_sel_hi:[1,1,0] neg_lo:[0,0,1] neg_hi:[0,0,1]
	v_pk_fma_f32 v[6:7], v[14:15], v[176:177], v[6:7] op_sel:[0,0,1] op_sel_hi:[1,0,0]
	v_mov_b32_e32 v6, v77
	v_mov_b32_e32 v9, v7
	v_pk_mul_f32 v[6:7], v[16:17], v[6:7] op_sel_hi:[1,0]
	v_pk_add_f32 v[4:5], v[4:5], v[8:9]
	v_pk_fma_f32 v[8:9], v[16:17], v[76:77], v[6:7] op_sel:[0,0,1] op_sel_hi:[1,1,0] neg_lo:[0,0,1] neg_hi:[0,0,1]
	v_pk_fma_f32 v[6:7], v[16:17], v[76:77], v[6:7] op_sel:[0,0,1] op_sel_hi:[1,0,0]
	v_mov_b32_e32 v6, v75
	v_mov_b32_e32 v9, v7
	s_waitcnt lgkmcnt(0)
	v_pk_mul_f32 v[6:7], v[18:19], v[6:7] op_sel_hi:[1,0]
	v_pk_add_f32 v[4:5], v[4:5], v[8:9]
	v_pk_fma_f32 v[8:9], v[18:19], v[74:75], v[6:7] op_sel:[0,0,1] op_sel_hi:[1,1,0] neg_lo:[0,0,1] neg_hi:[0,0,1]
	v_pk_fma_f32 v[6:7], v[18:19], v[74:75], v[6:7] op_sel:[0,0,1] op_sel_hi:[1,0,0]
	s_waitcnt vmcnt(1)
	v_mov_b32_e32 v6, v181
	v_mov_b32_e32 v9, v7
	v_pk_mul_f32 v[6:7], v[20:21], v[6:7] op_sel_hi:[1,0]
	v_pk_add_f32 v[4:5], v[4:5], v[8:9]
	s_waitcnt vmcnt(0)
	v_pk_fma_f32 v[8:9], v[20:21], v[180:181], v[6:7] op_sel:[0,0,1] op_sel_hi:[1,1,0] neg_lo:[0,0,1] neg_hi:[0,0,1]
	v_pk_fma_f32 v[6:7], v[20:21], v[180:181], v[6:7] op_sel:[0,0,1] op_sel_hi:[1,0,0]
	v_mov_b32_e32 v9, v7
	v_pk_add_f32 v[4:5], v[4:5], v[8:9]
	v_pk_add_f32 v[2:3], v[2:3], v[4:5] neg_lo:[0,1] neg_hi:[0,1]
	buffer_store_dword v3, off, s[0:3], 0 offset:100
	buffer_store_dword v2, off, s[0:3], 0 offset:96
	s_and_saveexec_b64 s[4:5], vcc
	s_cbranch_execz .LBB48_285
; %bb.284:
	buffer_load_dword v2, off, s[0:3], 0 offset:88
	buffer_load_dword v3, off, s[0:3], 0 offset:92
	v_mov_b32_e32 v1, 0
	v_accvgpr_read_b32 v4, a24
	buffer_store_dword v1, off, s[0:3], 0 offset:88
	buffer_store_dword v1, off, s[0:3], 0 offset:92
	s_waitcnt vmcnt(2)
	ds_write_b64 v4, v[2:3]
.LBB48_285:
	s_or_b64 exec, exec, s[4:5]
	s_waitcnt lgkmcnt(0)
	; wave barrier
	s_waitcnt lgkmcnt(0)
	buffer_load_dword v1, off, s[0:3], 0 offset:100
	buffer_load_dword v17, off, s[0:3], 0 offset:108
	;; [unrolled: 1-line block ×56, first 2 shown]
	v_mov_b32_e32 v16, 0
	ds_read_b128 v[2:5], v16 offset:496
	buffer_load_dword v239, off, s[0:3], 0 offset:312
	buffer_load_dword v240, off, s[0:3], 0 offset:316
	buffer_load_dword v241, off, s[0:3], 0 offset:320
	buffer_load_dword v242, off, s[0:3], 0 offset:324
	ds_read_b128 v[8:11], v16 offset:512
	ds_read_b128 v[12:15], v16 offset:528
	;; [unrolled: 1-line block ×3, first 2 shown]
	v_cmp_lt_u32_e32 vcc, 10, v0
	s_waitcnt vmcnt(59) lgkmcnt(3)
	v_mul_f32_e32 v22, v2, v1
	s_waitcnt vmcnt(58)
	v_mul_f32_e32 v23, v4, v17
	s_waitcnt vmcnt(57) lgkmcnt(2)
	v_mul_f32_e32 v24, v8, v70
	s_waitcnt vmcnt(56)
	v_mul_f32_e32 v25, v10, v76
	s_waitcnt vmcnt(55) lgkmcnt(1)
	v_mul_f32_e32 v26, v12, v176
	s_waitcnt vmcnt(54)
	v_mul_f32_e32 v27, v14, v190
	s_waitcnt vmcnt(53) lgkmcnt(0)
	v_mul_f32_e32 v28, v18, v191
	s_waitcnt vmcnt(52)
	v_fmac_f32_e32 v22, v3, v192
	s_waitcnt vmcnt(51)
	v_fmac_f32_e32 v23, v5, v193
	v_add_f32_e32 v22, 0, v22
	s_waitcnt vmcnt(50)
	v_fmac_f32_e32 v24, v9, v194
	v_add_f32_e32 v22, v22, v23
	;; [unrolled: 3-line block ×6, first 2 shown]
	v_add_f32_e32 v26, v22, v28
	ds_read_b128 v[22:25], v16 offset:560
	s_waitcnt vmcnt(45)
	v_mul_f32_e32 v27, v20, v199
	s_waitcnt vmcnt(44)
	v_fmac_f32_e32 v27, v21, v200
	v_add_f32_e32 v30, v26, v27
	ds_read_b128 v[26:29], v16 offset:576
	s_waitcnt vmcnt(43) lgkmcnt(1)
	v_mul_f32_e32 v31, v22, v201
	s_waitcnt vmcnt(42)
	v_fmac_f32_e32 v31, v23, v202
	v_add_f32_e32 v30, v30, v31
	s_waitcnt vmcnt(41)
	v_mul_f32_e32 v31, v24, v203
	s_waitcnt vmcnt(40)
	v_fmac_f32_e32 v31, v25, v204
	v_add_f32_e32 v30, v30, v31
	s_waitcnt vmcnt(39) lgkmcnt(0)
	v_mul_f32_e32 v31, v26, v205
	s_waitcnt vmcnt(38)
	v_fmac_f32_e32 v31, v27, v206
	v_add_f32_e32 v34, v30, v31
	ds_read_b128 v[30:33], v16 offset:592
	s_waitcnt vmcnt(37)
	v_mul_f32_e32 v35, v28, v207
	s_waitcnt vmcnt(36)
	v_fmac_f32_e32 v35, v29, v208
	v_add_f32_e32 v38, v34, v35
	ds_read_b128 v[34:37], v16 offset:608
	s_waitcnt vmcnt(34) lgkmcnt(1)
	v_mul_f32_e32 v39, v30, v210
	v_fmac_f32_e32 v39, v31, v209
	v_add_f32_e32 v38, v38, v39
	s_waitcnt vmcnt(31)
	v_mul_f32_e32 v39, v32, v211
	s_waitcnt vmcnt(30)
	v_fmac_f32_e32 v39, v33, v212
	v_add_f32_e32 v38, v38, v39
	s_waitcnt vmcnt(28) lgkmcnt(0)
	v_mul_f32_e32 v39, v34, v214
	v_fmac_f32_e32 v39, v35, v213
	v_add_f32_e32 v42, v38, v39
	ds_read_b128 v[38:41], v16 offset:624
	s_waitcnt vmcnt(26)
	v_mul_f32_e32 v43, v36, v216
	v_fmac_f32_e32 v43, v37, v215
	v_add_f32_e32 v46, v42, v43
	ds_read_b128 v[42:45], v16 offset:640
	s_waitcnt vmcnt(24) lgkmcnt(1)
	v_mul_f32_e32 v47, v38, v218
	v_fmac_f32_e32 v47, v39, v217
	v_add_f32_e32 v46, v46, v47
	s_waitcnt vmcnt(22)
	v_mul_f32_e32 v47, v40, v220
	v_fmac_f32_e32 v47, v41, v219
	v_add_f32_e32 v46, v46, v47
	s_waitcnt vmcnt(20) lgkmcnt(0)
	v_mul_f32_e32 v47, v42, v222
	v_fmac_f32_e32 v47, v43, v221
	v_add_f32_e32 v50, v46, v47
	ds_read_b128 v[46:49], v16 offset:656
	s_waitcnt vmcnt(18)
	v_mul_f32_e32 v51, v44, v224
	v_fmac_f32_e32 v51, v45, v223
	v_add_f32_e32 v54, v50, v51
	ds_read_b128 v[50:53], v16 offset:672
	s_waitcnt vmcnt(16) lgkmcnt(1)
	v_mul_f32_e32 v55, v46, v226
	v_fmac_f32_e32 v55, v47, v225
	v_add_f32_e32 v54, v54, v55
	s_waitcnt vmcnt(14)
	v_mul_f32_e32 v55, v48, v228
	;; [unrolled: 18-line block ×3, first 2 shown]
	v_fmac_f32_e32 v63, v57, v235
	v_add_f32_e32 v62, v62, v63
	s_waitcnt vmcnt(4) lgkmcnt(0)
	v_mul_f32_e32 v63, v58, v238
	v_fmac_f32_e32 v63, v59, v237
	v_add_f32_e32 v71, v62, v63
	ds_read_b128 v[62:65], v16 offset:720
	buffer_load_dword v73, off, s[0:3], 0 offset:340
	buffer_load_dword v72, off, s[0:3], 0 offset:336
	;; [unrolled: 1-line block ×4, first 2 shown]
	ds_read_b128 v[66:69], v16 offset:736
	buffer_load_dword v179, off, s[0:3], 0 offset:372
	buffer_load_dword v178, off, s[0:3], 0 offset:368
	;; [unrolled: 1-line block ×12, first 2 shown]
	v_mul_f32_e32 v1, v3, v1
	v_fma_f32 v1, v2, v192, -v1
	v_mul_f32_e32 v2, v5, v17
	v_add_f32_e32 v1, 0, v1
	v_fma_f32 v2, v4, v193, -v2
	v_add_f32_e32 v1, v1, v2
	v_mul_f32_e32 v2, v9, v70
	v_fma_f32 v2, v8, v194, -v2
	v_add_f32_e32 v1, v1, v2
	v_mul_f32_e32 v2, v11, v76
	;; [unrolled: 3-line block ×25, first 2 shown]
	v_fma_f32 v2, v58, v237, -v2
	s_waitcnt vmcnt(13)
	v_mov_b32_e32 v18, v75
	v_mul_f32_e32 v77, v60, v240
	v_add_f32_e32 v70, v1, v2
	v_mul_f32_e32 v1, v61, v240
	s_waitcnt lgkmcnt(1)
	v_pk_mul_f32 v[18:19], v[64:65], v[18:19] op_sel_hi:[1,0]
	v_fmac_f32_e32 v77, v61, v239
	v_mul_f32_e32 v177, v62, v242
	v_fma_f32 v76, v60, v239, -v1
	v_mul_f32_e32 v1, v63, v242
	s_waitcnt vmcnt(12)
	v_pk_fma_f32 v[20:21], v[64:65], v[74:75], v[18:19] op_sel:[0,0,1] op_sel_hi:[1,1,0] neg_lo:[0,0,1] neg_hi:[0,0,1]
	v_pk_fma_f32 v[18:19], v[64:65], v[74:75], v[18:19] op_sel:[0,0,1] op_sel_hi:[1,0,0]
	v_fmac_f32_e32 v177, v63, v241
	v_fma_f32 v176, v62, v241, -v1
	v_pk_add_f32 v[14:15], v[70:71], v[76:77]
	v_mov_b32_e32 v18, v73
	v_pk_add_f32 v[14:15], v[14:15], v[176:177]
	v_mov_b32_e32 v21, v19
	s_waitcnt lgkmcnt(0)
	v_pk_mul_f32 v[18:19], v[66:67], v[18:19] op_sel_hi:[1,0]
	v_pk_add_f32 v[14:15], v[14:15], v[20:21]
	v_pk_fma_f32 v[20:21], v[66:67], v[72:73], v[18:19] op_sel:[0,0,1] op_sel_hi:[1,1,0] neg_lo:[0,0,1] neg_hi:[0,0,1]
	v_pk_fma_f32 v[18:19], v[66:67], v[72:73], v[18:19] op_sel:[0,0,1] op_sel_hi:[1,0,0]
	s_waitcnt vmcnt(5)
	v_mov_b32_e32 v18, v185
	ds_read_b128 v[2:5], v16 offset:752
	ds_read_b128 v[8:11], v16 offset:768
	ds_read_b64 v[12:13], v16 offset:784
	v_mov_b32_e32 v21, v19
	v_pk_mul_f32 v[18:19], v[68:69], v[18:19] op_sel_hi:[1,0]
	v_pk_add_f32 v[14:15], v[14:15], v[20:21]
	s_waitcnt vmcnt(4)
	v_pk_fma_f32 v[20:21], v[68:69], v[184:185], v[18:19] op_sel:[0,0,1] op_sel_hi:[1,1,0] neg_lo:[0,0,1] neg_hi:[0,0,1]
	v_pk_fma_f32 v[18:19], v[68:69], v[184:185], v[18:19] op_sel:[0,0,1] op_sel_hi:[1,0,0]
	v_mov_b32_e32 v18, v183
	v_mov_b32_e32 v21, v19
	s_waitcnt lgkmcnt(2)
	v_pk_mul_f32 v[18:19], v[2:3], v[18:19] op_sel_hi:[1,0]
	v_pk_add_f32 v[14:15], v[14:15], v[20:21]
	v_pk_fma_f32 v[20:21], v[2:3], v[182:183], v[18:19] op_sel:[0,0,1] op_sel_hi:[1,1,0] neg_lo:[0,0,1] neg_hi:[0,0,1]
	v_pk_fma_f32 v[2:3], v[2:3], v[182:183], v[18:19] op_sel:[0,0,1] op_sel_hi:[1,0,0]
	v_mov_b32_e32 v21, v3
	v_pk_add_f32 v[2:3], v[14:15], v[20:21]
	v_mov_b32_e32 v14, v181
	v_pk_mul_f32 v[14:15], v[4:5], v[14:15] op_sel_hi:[1,0]
	v_pk_fma_f32 v[18:19], v[4:5], v[180:181], v[14:15] op_sel:[0,0,1] op_sel_hi:[1,1,0] neg_lo:[0,0,1] neg_hi:[0,0,1]
	v_pk_fma_f32 v[4:5], v[4:5], v[180:181], v[14:15] op_sel:[0,0,1] op_sel_hi:[1,0,0]
	v_mov_b32_e32 v4, v179
	v_mov_b32_e32 v19, v5
	s_waitcnt lgkmcnt(1)
	v_pk_mul_f32 v[4:5], v[8:9], v[4:5] op_sel_hi:[1,0]
	v_pk_fma_f32 v[14:15], v[8:9], v[178:179], v[4:5] op_sel:[0,0,1] op_sel_hi:[1,1,0] neg_lo:[0,0,1] neg_hi:[0,0,1]
	v_pk_fma_f32 v[4:5], v[8:9], v[178:179], v[4:5] op_sel:[0,0,1] op_sel_hi:[1,0,0]
	s_waitcnt vmcnt(1)
	v_mov_b32_e32 v4, v189
	v_mov_b32_e32 v15, v5
	v_pk_mul_f32 v[4:5], v[10:11], v[4:5] op_sel_hi:[1,0]
	s_waitcnt vmcnt(0)
	v_pk_fma_f32 v[8:9], v[10:11], v[188:189], v[4:5] op_sel:[0,0,1] op_sel_hi:[1,1,0] neg_lo:[0,0,1] neg_hi:[0,0,1]
	v_pk_fma_f32 v[4:5], v[10:11], v[188:189], v[4:5] op_sel:[0,0,1] op_sel_hi:[1,0,0]
	v_pk_add_f32 v[2:3], v[2:3], v[18:19]
	v_mov_b32_e32 v4, v187
	v_pk_add_f32 v[2:3], v[2:3], v[14:15]
	v_mov_b32_e32 v9, v5
	s_waitcnt lgkmcnt(0)
	v_pk_mul_f32 v[4:5], v[12:13], v[4:5] op_sel_hi:[1,0]
	v_pk_add_f32 v[2:3], v[2:3], v[8:9]
	v_pk_fma_f32 v[8:9], v[12:13], v[186:187], v[4:5] op_sel:[0,0,1] op_sel_hi:[1,1,0] neg_lo:[0,0,1] neg_hi:[0,0,1]
	v_pk_fma_f32 v[4:5], v[12:13], v[186:187], v[4:5] op_sel:[0,0,1] op_sel_hi:[1,0,0]
	v_mov_b32_e32 v9, v5
	v_pk_add_f32 v[2:3], v[2:3], v[8:9]
	v_pk_add_f32 v[2:3], v[6:7], v[2:3] neg_lo:[0,1] neg_hi:[0,1]
	buffer_store_dword v3, off, s[0:3], 0 offset:92
	buffer_store_dword v2, off, s[0:3], 0 offset:88
	s_and_saveexec_b64 s[4:5], vcc
	s_cbranch_execz .LBB48_287
; %bb.286:
	buffer_load_dword v2, off, s[0:3], 0 offset:80
	buffer_load_dword v3, off, s[0:3], 0 offset:84
	v_accvgpr_read_b32 v1, a24
	buffer_store_dword v16, off, s[0:3], 0 offset:80
	buffer_store_dword v16, off, s[0:3], 0 offset:84
	s_waitcnt vmcnt(2)
	ds_write_b64 v1, v[2:3]
.LBB48_287:
	s_or_b64 exec, exec, s[4:5]
	s_waitcnt lgkmcnt(0)
	; wave barrier
	s_waitcnt lgkmcnt(0)
	buffer_load_dword v1, off, s[0:3], 0 offset:92
	buffer_load_dword v17, off, s[0:3], 0 offset:100
	;; [unrolled: 1-line block ×32, first 2 shown]
	ds_read2_b64 v[18:21], v16 offset0:61 offset1:62
	ds_read2_b64 v[6:9], v16 offset0:63 offset1:64
	buffer_load_dword v215, off, s[0:3], 0 offset:208
	buffer_load_dword v216, off, s[0:3], 0 offset:212
	ds_read2_b64 v[10:13], v16 offset0:65 offset1:66
	ds_read2_b64 v[2:5], v16 offset0:67 offset1:68
	buffer_load_dword v217, off, s[0:3], 0 offset:216
	buffer_load_dword v218, off, s[0:3], 0 offset:220
	;; [unrolled: 1-line block ×28, first 2 shown]
	v_cmp_lt_u32_e32 vcc, 9, v0
	s_waitcnt vmcnt(61) lgkmcnt(3)
	v_mul_f32_e32 v22, v18, v1
	s_waitcnt vmcnt(60)
	v_mul_f32_e32 v23, v20, v17
	s_waitcnt vmcnt(59) lgkmcnt(2)
	v_mul_f32_e32 v24, v6, v72
	s_waitcnt vmcnt(58)
	v_mul_f32_e32 v25, v8, v74
	;; [unrolled: 4-line block ×3, first 2 shown]
	s_waitcnt vmcnt(55) lgkmcnt(0)
	v_mul_f32_e32 v28, v2, v191
	s_waitcnt vmcnt(54)
	v_fmac_f32_e32 v22, v19, v192
	s_waitcnt vmcnt(53)
	v_fmac_f32_e32 v23, v21, v193
	v_add_f32_e32 v22, 0, v22
	s_waitcnt vmcnt(52)
	v_fmac_f32_e32 v24, v7, v194
	v_add_f32_e32 v22, v22, v23
	;; [unrolled: 3-line block ×6, first 2 shown]
	v_add_f32_e32 v26, v22, v28
	ds_read2_b64 v[22:25], v16 offset0:69 offset1:70
	s_waitcnt vmcnt(47)
	v_mul_f32_e32 v27, v4, v199
	s_waitcnt vmcnt(46)
	v_fmac_f32_e32 v27, v5, v200
	v_add_f32_e32 v30, v26, v27
	ds_read2_b64 v[26:29], v16 offset0:71 offset1:72
	s_waitcnt vmcnt(45) lgkmcnt(1)
	v_mul_f32_e32 v31, v22, v201
	s_waitcnt vmcnt(44)
	v_fmac_f32_e32 v31, v23, v202
	v_add_f32_e32 v30, v30, v31
	s_waitcnt vmcnt(43)
	v_mul_f32_e32 v31, v24, v203
	s_waitcnt vmcnt(42)
	v_fmac_f32_e32 v31, v25, v204
	v_add_f32_e32 v30, v30, v31
	s_waitcnt vmcnt(41) lgkmcnt(0)
	v_mul_f32_e32 v31, v26, v205
	s_waitcnt vmcnt(40)
	v_fmac_f32_e32 v31, v27, v206
	v_add_f32_e32 v34, v30, v31
	ds_read2_b64 v[30:33], v16 offset0:73 offset1:74
	s_waitcnt vmcnt(39)
	v_mul_f32_e32 v35, v28, v207
	s_waitcnt vmcnt(38)
	v_fmac_f32_e32 v35, v29, v208
	v_add_f32_e32 v38, v34, v35
	ds_read2_b64 v[34:37], v16 offset0:75 offset1:76
	s_waitcnt vmcnt(35) lgkmcnt(1)
	v_mul_f32_e32 v39, v30, v209
	s_waitcnt vmcnt(34)
	v_fmac_f32_e32 v39, v31, v210
	v_add_f32_e32 v38, v38, v39
	s_waitcnt vmcnt(32)
	v_mul_f32_e32 v39, v32, v212
	v_fmac_f32_e32 v39, v33, v211
	v_add_f32_e32 v38, v38, v39
	s_waitcnt vmcnt(30) lgkmcnt(0)
	v_mul_f32_e32 v39, v34, v214
	v_fmac_f32_e32 v39, v35, v213
	v_add_f32_e32 v42, v38, v39
	ds_read2_b64 v[38:41], v16 offset0:77 offset1:78
	s_waitcnt vmcnt(28)
	v_mul_f32_e32 v43, v36, v216
	v_fmac_f32_e32 v43, v37, v215
	v_add_f32_e32 v46, v42, v43
	ds_read2_b64 v[42:45], v16 offset0:79 offset1:80
	s_waitcnt vmcnt(26) lgkmcnt(1)
	v_mul_f32_e32 v47, v38, v218
	v_fmac_f32_e32 v47, v39, v217
	v_add_f32_e32 v46, v46, v47
	s_waitcnt vmcnt(24)
	v_mul_f32_e32 v47, v40, v220
	v_fmac_f32_e32 v47, v41, v219
	v_add_f32_e32 v46, v46, v47
	s_waitcnt vmcnt(22) lgkmcnt(0)
	v_mul_f32_e32 v47, v42, v222
	v_fmac_f32_e32 v47, v43, v221
	v_add_f32_e32 v50, v46, v47
	ds_read2_b64 v[46:49], v16 offset0:81 offset1:82
	s_waitcnt vmcnt(20)
	v_mul_f32_e32 v51, v44, v224
	v_fmac_f32_e32 v51, v45, v223
	v_add_f32_e32 v54, v50, v51
	ds_read2_b64 v[50:53], v16 offset0:83 offset1:84
	s_waitcnt vmcnt(18) lgkmcnt(1)
	v_mul_f32_e32 v55, v46, v226
	v_fmac_f32_e32 v55, v47, v225
	v_add_f32_e32 v54, v54, v55
	s_waitcnt vmcnt(16)
	v_mul_f32_e32 v55, v48, v228
	v_fmac_f32_e32 v55, v49, v227
	v_add_f32_e32 v54, v54, v55
	s_waitcnt vmcnt(14) lgkmcnt(0)
	v_mul_f32_e32 v55, v50, v230
	v_fmac_f32_e32 v55, v51, v229
	v_add_f32_e32 v58, v54, v55
	ds_read2_b64 v[54:57], v16 offset0:85 offset1:86
	s_waitcnt vmcnt(12)
	v_mul_f32_e32 v59, v52, v232
	v_fmac_f32_e32 v59, v53, v231
	v_add_f32_e32 v62, v58, v59
	ds_read2_b64 v[58:61], v16 offset0:87 offset1:88
	buffer_load_dword v71, off, s[0:3], 0 offset:332
	buffer_load_dword v70, off, s[0:3], 0 offset:328
	s_waitcnt vmcnt(12) lgkmcnt(1)
	v_mul_f32_e32 v63, v54, v234
	v_fmac_f32_e32 v63, v55, v233
	v_add_f32_e32 v62, v62, v63
	s_waitcnt vmcnt(10)
	v_mul_f32_e32 v63, v56, v236
	v_fmac_f32_e32 v63, v57, v235
	v_add_f32_e32 v62, v62, v63
	s_waitcnt vmcnt(8) lgkmcnt(0)
	v_mul_f32_e32 v63, v58, v238
	v_fmac_f32_e32 v63, v59, v237
	s_waitcnt vmcnt(6)
	v_mul_f32_e32 v67, v60, v240
	v_add_f32_e32 v66, v62, v63
	v_fmac_f32_e32 v67, v61, v239
	ds_read2_b64 v[62:65], v16 offset0:89 offset1:90
	v_add_f32_e32 v73, v66, v67
	ds_read2_b64 v[66:69], v16 offset0:91 offset1:92
	buffer_load_dword v177, off, s[0:3], 0 offset:364
	buffer_load_dword v176, off, s[0:3], 0 offset:360
	;; [unrolled: 1-line block ×14, first 2 shown]
	v_mul_f32_e32 v1, v19, v1
	v_fma_f32 v1, v18, v192, -v1
	v_mul_f32_e32 v17, v21, v17
	v_add_f32_e32 v1, 0, v1
	v_fma_f32 v17, v20, v193, -v17
	v_mul_f32_e32 v7, v7, v72
	v_add_f32_e32 v1, v1, v17
	v_fma_f32 v6, v6, v194, -v7
	v_add_f32_e32 v1, v1, v6
	v_mul_f32_e32 v6, v9, v74
	v_fma_f32 v6, v8, v195, -v6
	v_add_f32_e32 v1, v1, v6
	v_mul_f32_e32 v6, v11, v76
	;; [unrolled: 3-line block ×3, first 2 shown]
	v_fma_f32 v6, v12, v197, -v6
	v_mul_f32_e32 v3, v3, v191
	v_add_f32_e32 v1, v1, v6
	v_fma_f32 v2, v2, v198, -v3
	v_add_f32_e32 v1, v1, v2
	v_mul_f32_e32 v2, v5, v199
	v_fma_f32 v2, v4, v200, -v2
	v_add_f32_e32 v1, v1, v2
	v_mul_f32_e32 v2, v23, v201
	;; [unrolled: 3-line block ×21, first 2 shown]
	v_fma_f32 v2, v60, v239, -v2
	s_waitcnt vmcnt(15)
	v_mov_b32_e32 v18, v71
	s_waitcnt lgkmcnt(1)
	v_mul_f32_e32 v75, v62, v242
	v_add_f32_e32 v72, v1, v2
	v_mul_f32_e32 v1, v63, v242
	s_waitcnt lgkmcnt(0)
	v_pk_mul_f32 v[18:19], v[66:67], v[18:19] op_sel_hi:[1,0]
	v_fmac_f32_e32 v75, v63, v241
	v_mul_f32_e32 v77, v64, v244
	v_fma_f32 v74, v62, v241, -v1
	v_mul_f32_e32 v1, v65, v244
	s_waitcnt vmcnt(14)
	v_pk_fma_f32 v[20:21], v[66:67], v[70:71], v[18:19] op_sel:[0,0,1] op_sel_hi:[1,1,0] neg_lo:[0,0,1] neg_hi:[0,0,1]
	v_pk_fma_f32 v[18:19], v[66:67], v[70:71], v[18:19] op_sel:[0,0,1] op_sel_hi:[1,0,0]
	v_fmac_f32_e32 v77, v65, v243
	v_fma_f32 v76, v64, v243, -v1
	ds_read2_b64 v[2:5], v16 offset0:93 offset1:94
	ds_read2_b64 v[6:9], v16 offset0:95 offset1:96
	;; [unrolled: 1-line block ×3, first 2 shown]
	v_pk_add_f32 v[16:17], v[72:73], v[74:75]
	s_waitcnt vmcnt(7)
	v_mov_b32_e32 v18, v183
	v_pk_add_f32 v[16:17], v[16:17], v[76:77]
	v_mov_b32_e32 v21, v19
	v_pk_mul_f32 v[18:19], v[68:69], v[18:19] op_sel_hi:[1,0]
	v_pk_add_f32 v[16:17], v[16:17], v[20:21]
	s_waitcnt vmcnt(6)
	v_pk_fma_f32 v[20:21], v[68:69], v[182:183], v[18:19] op_sel:[0,0,1] op_sel_hi:[1,1,0] neg_lo:[0,0,1] neg_hi:[0,0,1]
	v_pk_fma_f32 v[18:19], v[68:69], v[182:183], v[18:19] op_sel:[0,0,1] op_sel_hi:[1,0,0]
	v_mov_b32_e32 v18, v181
	v_mov_b32_e32 v21, v19
	s_waitcnt lgkmcnt(2)
	v_pk_mul_f32 v[18:19], v[2:3], v[18:19] op_sel_hi:[1,0]
	v_pk_add_f32 v[16:17], v[16:17], v[20:21]
	v_pk_fma_f32 v[20:21], v[2:3], v[180:181], v[18:19] op_sel:[0,0,1] op_sel_hi:[1,1,0] neg_lo:[0,0,1] neg_hi:[0,0,1]
	v_pk_fma_f32 v[2:3], v[2:3], v[180:181], v[18:19] op_sel:[0,0,1] op_sel_hi:[1,0,0]
	v_mov_b32_e32 v21, v3
	v_pk_add_f32 v[2:3], v[16:17], v[20:21]
	v_mov_b32_e32 v16, v179
	v_pk_mul_f32 v[16:17], v[4:5], v[16:17] op_sel_hi:[1,0]
	v_pk_fma_f32 v[18:19], v[4:5], v[178:179], v[16:17] op_sel:[0,0,1] op_sel_hi:[1,1,0] neg_lo:[0,0,1] neg_hi:[0,0,1]
	v_pk_fma_f32 v[4:5], v[4:5], v[178:179], v[16:17] op_sel:[0,0,1] op_sel_hi:[1,0,0]
	v_mov_b32_e32 v4, v177
	v_mov_b32_e32 v19, v5
	s_waitcnt lgkmcnt(1)
	v_pk_mul_f32 v[4:5], v[6:7], v[4:5] op_sel_hi:[1,0]
	v_pk_fma_f32 v[16:17], v[6:7], v[176:177], v[4:5] op_sel:[0,0,1] op_sel_hi:[1,1,0] neg_lo:[0,0,1] neg_hi:[0,0,1]
	v_pk_fma_f32 v[4:5], v[6:7], v[176:177], v[4:5] op_sel:[0,0,1] op_sel_hi:[1,0,0]
	s_waitcnt vmcnt(1)
	v_mov_b32_e32 v4, v189
	v_mov_b32_e32 v17, v5
	v_pk_mul_f32 v[4:5], v[8:9], v[4:5] op_sel_hi:[1,0]
	s_waitcnt vmcnt(0)
	v_pk_fma_f32 v[6:7], v[8:9], v[188:189], v[4:5] op_sel:[0,0,1] op_sel_hi:[1,1,0] neg_lo:[0,0,1] neg_hi:[0,0,1]
	v_pk_fma_f32 v[4:5], v[8:9], v[188:189], v[4:5] op_sel:[0,0,1] op_sel_hi:[1,0,0]
	v_pk_add_f32 v[2:3], v[2:3], v[18:19]
	v_mov_b32_e32 v4, v187
	v_pk_add_f32 v[2:3], v[2:3], v[16:17]
	v_mov_b32_e32 v7, v5
	s_waitcnt lgkmcnt(0)
	v_pk_mul_f32 v[4:5], v[10:11], v[4:5] op_sel_hi:[1,0]
	v_pk_add_f32 v[2:3], v[2:3], v[6:7]
	v_pk_fma_f32 v[6:7], v[10:11], v[186:187], v[4:5] op_sel:[0,0,1] op_sel_hi:[1,1,0] neg_lo:[0,0,1] neg_hi:[0,0,1]
	v_pk_fma_f32 v[4:5], v[10:11], v[186:187], v[4:5] op_sel:[0,0,1] op_sel_hi:[1,0,0]
	v_mov_b32_e32 v4, v185
	v_mov_b32_e32 v7, v5
	v_pk_mul_f32 v[4:5], v[12:13], v[4:5] op_sel_hi:[1,0]
	v_pk_add_f32 v[2:3], v[2:3], v[6:7]
	v_pk_fma_f32 v[6:7], v[12:13], v[184:185], v[4:5] op_sel:[0,0,1] op_sel_hi:[1,1,0] neg_lo:[0,0,1] neg_hi:[0,0,1]
	v_pk_fma_f32 v[4:5], v[12:13], v[184:185], v[4:5] op_sel:[0,0,1] op_sel_hi:[1,0,0]
	v_mov_b32_e32 v7, v5
	v_pk_add_f32 v[2:3], v[2:3], v[6:7]
	v_pk_add_f32 v[2:3], v[14:15], v[2:3] neg_lo:[0,1] neg_hi:[0,1]
	buffer_store_dword v3, off, s[0:3], 0 offset:84
	buffer_store_dword v2, off, s[0:3], 0 offset:80
	s_and_saveexec_b64 s[4:5], vcc
	s_cbranch_execz .LBB48_289
; %bb.288:
	buffer_load_dword v2, off, s[0:3], 0 offset:72
	buffer_load_dword v3, off, s[0:3], 0 offset:76
	v_mov_b32_e32 v1, 0
	v_accvgpr_read_b32 v4, a24
	buffer_store_dword v1, off, s[0:3], 0 offset:72
	buffer_store_dword v1, off, s[0:3], 0 offset:76
	s_waitcnt vmcnt(2)
	ds_write_b64 v4, v[2:3]
.LBB48_289:
	s_or_b64 exec, exec, s[4:5]
	s_waitcnt lgkmcnt(0)
	; wave barrier
	s_waitcnt lgkmcnt(0)
	buffer_load_dword v1, off, s[0:3], 0 offset:84
	buffer_load_dword v21, off, s[0:3], 0 offset:92
	;; [unrolled: 1-line block ×48, first 2 shown]
	v_mov_b32_e32 v20, 0
	ds_read_b128 v[4:7], v20 offset:480
	buffer_load_dword v231, off, s[0:3], 0 offset:264
	buffer_load_dword v232, off, s[0:3], 0 offset:268
	;; [unrolled: 1-line block ×8, first 2 shown]
	ds_read_b128 v[8:11], v20 offset:496
	ds_read_b128 v[12:15], v20 offset:512
	;; [unrolled: 1-line block ×3, first 2 shown]
	buffer_load_dword v239, off, s[0:3], 0 offset:296
	buffer_load_dword v240, off, s[0:3], 0 offset:300
	;; [unrolled: 1-line block ×8, first 2 shown]
	v_cmp_lt_u32_e32 vcc, 8, v0
	s_waitcnt vmcnt(62) lgkmcnt(3)
	v_mul_f32_e32 v22, v4, v1
	v_mul_f32_e32 v23, v6, v21
	s_waitcnt vmcnt(61) lgkmcnt(2)
	v_mul_f32_e32 v24, v8, v70
	s_waitcnt vmcnt(60)
	v_mul_f32_e32 v25, v10, v72
	s_waitcnt vmcnt(59) lgkmcnt(1)
	v_mul_f32_e32 v26, v12, v74
	s_waitcnt vmcnt(58)
	;; [unrolled: 4-line block ×3, first 2 shown]
	v_fmac_f32_e32 v22, v5, v192
	s_waitcnt vmcnt(55)
	v_fmac_f32_e32 v23, v7, v193
	v_add_f32_e32 v22, 0, v22
	s_waitcnt vmcnt(54)
	v_fmac_f32_e32 v24, v9, v194
	v_add_f32_e32 v22, v22, v23
	;; [unrolled: 3-line block ×6, first 2 shown]
	v_add_f32_e32 v26, v22, v28
	ds_read_b128 v[22:25], v20 offset:544
	s_waitcnt vmcnt(49)
	v_mul_f32_e32 v27, v18, v199
	s_waitcnt vmcnt(48)
	v_fmac_f32_e32 v27, v19, v200
	v_add_f32_e32 v30, v26, v27
	ds_read_b128 v[26:29], v20 offset:560
	s_waitcnt vmcnt(47) lgkmcnt(1)
	v_mul_f32_e32 v31, v22, v201
	s_waitcnt vmcnt(46)
	v_fmac_f32_e32 v31, v23, v202
	v_add_f32_e32 v30, v30, v31
	s_waitcnt vmcnt(45)
	v_mul_f32_e32 v31, v24, v203
	s_waitcnt vmcnt(44)
	v_fmac_f32_e32 v31, v25, v204
	v_add_f32_e32 v30, v30, v31
	s_waitcnt vmcnt(42) lgkmcnt(0)
	v_mul_f32_e32 v31, v26, v206
	v_fmac_f32_e32 v31, v27, v205
	v_add_f32_e32 v34, v30, v31
	ds_read_b128 v[30:33], v20 offset:576
	s_waitcnt vmcnt(38)
	v_mul_f32_e32 v35, v28, v208
	v_fmac_f32_e32 v35, v29, v207
	v_add_f32_e32 v38, v34, v35
	ds_read_b128 v[34:37], v20 offset:592
	s_waitcnt vmcnt(36) lgkmcnt(1)
	v_mul_f32_e32 v39, v30, v210
	v_fmac_f32_e32 v39, v31, v209
	v_add_f32_e32 v38, v38, v39
	s_waitcnt vmcnt(34)
	v_mul_f32_e32 v39, v32, v212
	v_fmac_f32_e32 v39, v33, v211
	v_add_f32_e32 v38, v38, v39
	s_waitcnt vmcnt(32) lgkmcnt(0)
	v_mul_f32_e32 v39, v34, v214
	v_fmac_f32_e32 v39, v35, v213
	v_add_f32_e32 v42, v38, v39
	ds_read_b128 v[38:41], v20 offset:608
	s_waitcnt vmcnt(30)
	v_mul_f32_e32 v43, v36, v216
	v_fmac_f32_e32 v43, v37, v215
	v_add_f32_e32 v46, v42, v43
	ds_read_b128 v[42:45], v20 offset:624
	s_waitcnt vmcnt(28) lgkmcnt(1)
	v_mul_f32_e32 v47, v38, v218
	v_fmac_f32_e32 v47, v39, v217
	v_add_f32_e32 v46, v46, v47
	s_waitcnt vmcnt(26)
	v_mul_f32_e32 v47, v40, v220
	;; [unrolled: 18-line block ×4, first 2 shown]
	v_fmac_f32_e32 v63, v57, v235
	v_add_f32_e32 v62, v62, v63
	s_waitcnt vmcnt(8) lgkmcnt(0)
	v_mul_f32_e32 v63, v58, v238
	v_fmac_f32_e32 v63, v59, v237
	s_waitcnt vmcnt(6)
	v_mul_f32_e32 v67, v60, v240
	v_add_f32_e32 v66, v62, v63
	v_fmac_f32_e32 v67, v61, v239
	ds_read_b128 v[62:65], v20 offset:704
	v_add_f32_e32 v71, v66, v67
	ds_read_b128 v[66:69], v20 offset:720
	buffer_load_dword v77, off, s[0:3], 0 offset:356
	buffer_load_dword v76, off, s[0:3], 0 offset:352
	;; [unrolled: 1-line block ×16, first 2 shown]
	v_mul_f32_e32 v1, v5, v1
	v_fma_f32 v1, v4, v192, -v1
	v_mul_f32_e32 v4, v7, v21
	v_add_f32_e32 v1, 0, v1
	v_fma_f32 v4, v6, v193, -v4
	v_add_f32_e32 v1, v1, v4
	v_mul_f32_e32 v4, v9, v70
	v_fma_f32 v4, v8, v194, -v4
	v_add_f32_e32 v1, v1, v4
	v_mul_f32_e32 v4, v11, v72
	v_fma_f32 v4, v10, v195, -v4
	v_add_f32_e32 v1, v1, v4
	v_mul_f32_e32 v4, v13, v74
	v_fma_f32 v4, v12, v196, -v4
	v_add_f32_e32 v1, v1, v4
	v_mul_f32_e32 v4, v15, v190
	v_fma_f32 v4, v14, v197, -v4
	v_add_f32_e32 v1, v1, v4
	v_mul_f32_e32 v4, v17, v191
	v_fma_f32 v4, v16, v198, -v4
	v_add_f32_e32 v1, v1, v4
	v_mul_f32_e32 v4, v19, v199
	v_fma_f32 v4, v18, v200, -v4
	v_add_f32_e32 v1, v1, v4
	v_mul_f32_e32 v4, v23, v201
	v_fma_f32 v4, v22, v202, -v4
	v_add_f32_e32 v1, v1, v4
	v_mul_f32_e32 v4, v25, v203
	v_fma_f32 v4, v24, v204, -v4
	v_add_f32_e32 v1, v1, v4
	v_mul_f32_e32 v4, v27, v206
	v_fma_f32 v4, v26, v205, -v4
	v_add_f32_e32 v1, v1, v4
	v_mul_f32_e32 v4, v29, v208
	v_fma_f32 v4, v28, v207, -v4
	v_add_f32_e32 v1, v1, v4
	v_mul_f32_e32 v4, v31, v210
	v_fma_f32 v4, v30, v209, -v4
	v_add_f32_e32 v1, v1, v4
	v_mul_f32_e32 v4, v33, v212
	v_fma_f32 v4, v32, v211, -v4
	v_add_f32_e32 v1, v1, v4
	v_mul_f32_e32 v4, v35, v214
	v_fma_f32 v4, v34, v213, -v4
	v_add_f32_e32 v1, v1, v4
	v_mul_f32_e32 v4, v37, v216
	v_fma_f32 v4, v36, v215, -v4
	v_add_f32_e32 v1, v1, v4
	v_mul_f32_e32 v4, v39, v218
	v_fma_f32 v4, v38, v217, -v4
	v_add_f32_e32 v1, v1, v4
	v_mul_f32_e32 v4, v41, v220
	v_fma_f32 v4, v40, v219, -v4
	v_add_f32_e32 v1, v1, v4
	v_mul_f32_e32 v4, v43, v222
	v_fma_f32 v4, v42, v221, -v4
	v_add_f32_e32 v1, v1, v4
	v_mul_f32_e32 v4, v45, v224
	v_fma_f32 v4, v44, v223, -v4
	v_add_f32_e32 v1, v1, v4
	v_mul_f32_e32 v4, v47, v226
	v_fma_f32 v4, v46, v225, -v4
	v_add_f32_e32 v1, v1, v4
	v_mul_f32_e32 v4, v49, v228
	v_fma_f32 v4, v48, v227, -v4
	v_add_f32_e32 v1, v1, v4
	v_mul_f32_e32 v4, v51, v230
	v_fma_f32 v4, v50, v229, -v4
	v_add_f32_e32 v1, v1, v4
	v_mul_f32_e32 v4, v53, v232
	v_fma_f32 v4, v52, v231, -v4
	v_add_f32_e32 v1, v1, v4
	v_mul_f32_e32 v4, v55, v234
	v_fma_f32 v4, v54, v233, -v4
	v_add_f32_e32 v1, v1, v4
	v_mul_f32_e32 v4, v57, v236
	v_fma_f32 v4, v56, v235, -v4
	v_add_f32_e32 v1, v1, v4
	v_mul_f32_e32 v4, v59, v238
	v_fma_f32 v4, v58, v237, -v4
	v_add_f32_e32 v1, v1, v4
	v_mul_f32_e32 v4, v61, v240
	v_fma_f32 v4, v60, v239, -v4
	s_waitcnt vmcnt(20) lgkmcnt(1)
	v_mul_f32_e32 v73, v62, v242
	v_add_f32_e32 v1, v1, v4
	v_mul_f32_e32 v4, v63, v242
	v_fmac_f32_e32 v73, v63, v241
	v_fma_f32 v4, v62, v241, -v4
	s_waitcnt vmcnt(9)
	v_mov_b32_e32 v22, v181
	v_add_f32_e32 v71, v71, v73
	v_mul_f32_e32 v73, v64, v244
	v_add_f32_e32 v70, v1, v4
	v_mul_f32_e32 v1, v65, v244
	s_waitcnt lgkmcnt(0)
	v_pk_mul_f32 v[22:23], v[68:69], v[22:23] op_sel_hi:[1,0]
	v_fmac_f32_e32 v73, v65, v243
	v_mul_f32_e32 v75, v66, v246
	v_fma_f32 v72, v64, v243, -v1
	v_mul_f32_e32 v1, v67, v246
	ds_read_b128 v[4:7], v20 offset:736
	ds_read_b128 v[8:11], v20 offset:752
	;; [unrolled: 1-line block ×3, first 2 shown]
	ds_read_b64 v[16:17], v20 offset:784
	s_waitcnt vmcnt(8)
	v_pk_fma_f32 v[24:25], v[68:69], v[180:181], v[22:23] op_sel:[0,0,1] op_sel_hi:[1,1,0] neg_lo:[0,0,1] neg_hi:[0,0,1]
	v_pk_fma_f32 v[22:23], v[68:69], v[180:181], v[22:23] op_sel:[0,0,1] op_sel_hi:[1,0,0]
	v_fmac_f32_e32 v75, v67, v245
	v_fma_f32 v74, v66, v245, -v1
	v_pk_add_f32 v[18:19], v[70:71], v[72:73]
	v_mov_b32_e32 v22, v179
	v_pk_add_f32 v[18:19], v[18:19], v[74:75]
	v_mov_b32_e32 v25, v23
	s_waitcnt lgkmcnt(3)
	v_pk_mul_f32 v[22:23], v[4:5], v[22:23] op_sel_hi:[1,0]
	v_pk_add_f32 v[18:19], v[18:19], v[24:25]
	v_pk_fma_f32 v[24:25], v[4:5], v[178:179], v[22:23] op_sel:[0,0,1] op_sel_hi:[1,1,0] neg_lo:[0,0,1] neg_hi:[0,0,1]
	v_pk_fma_f32 v[4:5], v[4:5], v[178:179], v[22:23] op_sel:[0,0,1] op_sel_hi:[1,0,0]
	v_mov_b32_e32 v25, v5
	v_pk_add_f32 v[4:5], v[18:19], v[24:25]
	v_mov_b32_e32 v18, v177
	v_pk_mul_f32 v[18:19], v[6:7], v[18:19] op_sel_hi:[1,0]
	v_pk_fma_f32 v[22:23], v[6:7], v[176:177], v[18:19] op_sel:[0,0,1] op_sel_hi:[1,1,0] neg_lo:[0,0,1] neg_hi:[0,0,1]
	v_pk_fma_f32 v[6:7], v[6:7], v[176:177], v[18:19] op_sel:[0,0,1] op_sel_hi:[1,0,0]
	v_mov_b32_e32 v6, v77
	v_mov_b32_e32 v23, v7
	s_waitcnt lgkmcnt(2)
	v_pk_mul_f32 v[6:7], v[8:9], v[6:7] op_sel_hi:[1,0]
	v_pk_fma_f32 v[18:19], v[8:9], v[76:77], v[6:7] op_sel:[0,0,1] op_sel_hi:[1,1,0] neg_lo:[0,0,1] neg_hi:[0,0,1]
	v_pk_fma_f32 v[6:7], v[8:9], v[76:77], v[6:7] op_sel:[0,0,1] op_sel_hi:[1,0,0]
	s_waitcnt vmcnt(1)
	v_mov_b32_e32 v6, v189
	v_mov_b32_e32 v19, v7
	v_pk_mul_f32 v[6:7], v[10:11], v[6:7] op_sel_hi:[1,0]
	s_waitcnt vmcnt(0)
	v_pk_fma_f32 v[8:9], v[10:11], v[188:189], v[6:7] op_sel:[0,0,1] op_sel_hi:[1,1,0] neg_lo:[0,0,1] neg_hi:[0,0,1]
	v_pk_fma_f32 v[6:7], v[10:11], v[188:189], v[6:7] op_sel:[0,0,1] op_sel_hi:[1,0,0]
	v_pk_add_f32 v[4:5], v[4:5], v[22:23]
	v_mov_b32_e32 v6, v187
	v_pk_add_f32 v[4:5], v[4:5], v[18:19]
	v_mov_b32_e32 v9, v7
	s_waitcnt lgkmcnt(1)
	v_pk_mul_f32 v[6:7], v[12:13], v[6:7] op_sel_hi:[1,0]
	v_pk_add_f32 v[4:5], v[4:5], v[8:9]
	v_pk_fma_f32 v[8:9], v[12:13], v[186:187], v[6:7] op_sel:[0,0,1] op_sel_hi:[1,1,0] neg_lo:[0,0,1] neg_hi:[0,0,1]
	v_pk_fma_f32 v[6:7], v[12:13], v[186:187], v[6:7] op_sel:[0,0,1] op_sel_hi:[1,0,0]
	v_mov_b32_e32 v6, v185
	v_mov_b32_e32 v9, v7
	v_pk_mul_f32 v[6:7], v[14:15], v[6:7] op_sel_hi:[1,0]
	v_pk_add_f32 v[4:5], v[4:5], v[8:9]
	v_pk_fma_f32 v[8:9], v[14:15], v[184:185], v[6:7] op_sel:[0,0,1] op_sel_hi:[1,1,0] neg_lo:[0,0,1] neg_hi:[0,0,1]
	v_pk_fma_f32 v[6:7], v[14:15], v[184:185], v[6:7] op_sel:[0,0,1] op_sel_hi:[1,0,0]
	v_mov_b32_e32 v6, v183
	v_mov_b32_e32 v9, v7
	s_waitcnt lgkmcnt(0)
	v_pk_mul_f32 v[6:7], v[16:17], v[6:7] op_sel_hi:[1,0]
	v_pk_add_f32 v[4:5], v[4:5], v[8:9]
	v_pk_fma_f32 v[8:9], v[16:17], v[182:183], v[6:7] op_sel:[0,0,1] op_sel_hi:[1,1,0] neg_lo:[0,0,1] neg_hi:[0,0,1]
	v_pk_fma_f32 v[6:7], v[16:17], v[182:183], v[6:7] op_sel:[0,0,1] op_sel_hi:[1,0,0]
	v_mov_b32_e32 v9, v7
	v_pk_add_f32 v[4:5], v[4:5], v[8:9]
	v_pk_add_f32 v[2:3], v[2:3], v[4:5] neg_lo:[0,1] neg_hi:[0,1]
	buffer_store_dword v3, off, s[0:3], 0 offset:76
	buffer_store_dword v2, off, s[0:3], 0 offset:72
	s_and_saveexec_b64 s[4:5], vcc
	s_cbranch_execz .LBB48_291
; %bb.290:
	buffer_load_dword v2, off, s[0:3], 0 offset:64
	buffer_load_dword v3, off, s[0:3], 0 offset:68
	v_accvgpr_read_b32 v1, a24
	buffer_store_dword v20, off, s[0:3], 0 offset:64
	buffer_store_dword v20, off, s[0:3], 0 offset:68
	s_waitcnt vmcnt(2)
	ds_write_b64 v1, v[2:3]
.LBB48_291:
	s_or_b64 exec, exec, s[4:5]
	s_waitcnt lgkmcnt(0)
	; wave barrier
	s_waitcnt lgkmcnt(0)
	buffer_load_dword v1, off, s[0:3], 0 offset:76
	buffer_load_dword v21, off, s[0:3], 0 offset:84
	buffer_load_dword v70, off, s[0:3], 0 offset:92
	buffer_load_dword v72, off, s[0:3], 0 offset:100
	buffer_load_dword v178, off, s[0:3], 0 offset:108
	buffer_load_dword v190, off, s[0:3], 0 offset:116
	buffer_load_dword v191, off, s[0:3], 0 offset:124
	buffer_load_dword v192, off, s[0:3], 0 offset:132
	buffer_load_dword v193, off, s[0:3], 0 offset:72
	buffer_load_dword v194, off, s[0:3], 0 offset:80
	buffer_load_dword v195, off, s[0:3], 0 offset:88
	buffer_load_dword v196, off, s[0:3], 0 offset:96
	buffer_load_dword v197, off, s[0:3], 0 offset:104
	buffer_load_dword v198, off, s[0:3], 0 offset:112
	buffer_load_dword v199, off, s[0:3], 0 offset:120
	buffer_load_dword v200, off, s[0:3], 0 offset:128
	buffer_load_dword v201, off, s[0:3], 0 offset:140
	buffer_load_dword v202, off, s[0:3], 0 offset:136
	buffer_load_dword v203, off, s[0:3], 0 offset:148
	buffer_load_dword v204, off, s[0:3], 0 offset:144
	buffer_load_dword v18, off, s[0:3], 0 offset:64
	buffer_load_dword v19, off, s[0:3], 0 offset:68
	buffer_load_dword v205, off, s[0:3], 0 offset:156
	buffer_load_dword v206, off, s[0:3], 0 offset:152
	buffer_load_dword v207, off, s[0:3], 0 offset:160
	buffer_load_dword v208, off, s[0:3], 0 offset:164
	ds_read2_b64 v[14:17], v20 offset0:59 offset1:60
	ds_read2_b64 v[6:9], v20 offset0:61 offset1:62
	buffer_load_dword v209, off, s[0:3], 0 offset:168
	buffer_load_dword v210, off, s[0:3], 0 offset:172
	ds_read2_b64 v[10:13], v20 offset0:63 offset1:64
	ds_read2_b64 v[2:5], v20 offset0:65 offset1:66
	buffer_load_dword v211, off, s[0:3], 0 offset:176
	buffer_load_dword v212, off, s[0:3], 0 offset:180
	buffer_load_dword v213, off, s[0:3], 0 offset:184
	buffer_load_dword v214, off, s[0:3], 0 offset:188
	buffer_load_dword v215, off, s[0:3], 0 offset:192
	buffer_load_dword v216, off, s[0:3], 0 offset:196
	buffer_load_dword v217, off, s[0:3], 0 offset:200
	buffer_load_dword v218, off, s[0:3], 0 offset:204
	buffer_load_dword v219, off, s[0:3], 0 offset:208
	buffer_load_dword v220, off, s[0:3], 0 offset:212
	buffer_load_dword v221, off, s[0:3], 0 offset:216
	buffer_load_dword v222, off, s[0:3], 0 offset:220
	buffer_load_dword v223, off, s[0:3], 0 offset:224
	buffer_load_dword v224, off, s[0:3], 0 offset:228
	buffer_load_dword v225, off, s[0:3], 0 offset:232
	buffer_load_dword v226, off, s[0:3], 0 offset:236
	buffer_load_dword v227, off, s[0:3], 0 offset:240
	buffer_load_dword v228, off, s[0:3], 0 offset:244
	buffer_load_dword v229, off, s[0:3], 0 offset:248
	buffer_load_dword v230, off, s[0:3], 0 offset:252
	buffer_load_dword v231, off, s[0:3], 0 offset:256
	buffer_load_dword v232, off, s[0:3], 0 offset:260
	buffer_load_dword v233, off, s[0:3], 0 offset:264
	buffer_load_dword v234, off, s[0:3], 0 offset:268
	buffer_load_dword v235, off, s[0:3], 0 offset:272
	buffer_load_dword v236, off, s[0:3], 0 offset:276
	buffer_load_dword v237, off, s[0:3], 0 offset:280
	buffer_load_dword v238, off, s[0:3], 0 offset:284
	buffer_load_dword v239, off, s[0:3], 0 offset:288
	buffer_load_dword v240, off, s[0:3], 0 offset:292
	buffer_load_dword v241, off, s[0:3], 0 offset:296
	buffer_load_dword v242, off, s[0:3], 0 offset:300
	v_cmp_lt_u32_e32 vcc, 7, v0
	s_waitcnt vmcnt(59) lgkmcnt(3)
	v_mul_f32_e32 v22, v14, v1
	s_waitcnt vmcnt(58)
	v_mul_f32_e32 v23, v16, v21
	s_waitcnt vmcnt(57) lgkmcnt(2)
	v_mul_f32_e32 v24, v6, v70
	s_waitcnt vmcnt(56)
	v_mul_f32_e32 v25, v8, v72
	;; [unrolled: 4-line block ×4, first 2 shown]
	s_waitcnt vmcnt(51)
	v_fmac_f32_e32 v22, v15, v193
	s_waitcnt vmcnt(50)
	v_fmac_f32_e32 v23, v17, v194
	v_add_f32_e32 v22, 0, v22
	s_waitcnt vmcnt(49)
	v_fmac_f32_e32 v24, v7, v195
	v_add_f32_e32 v22, v22, v23
	;; [unrolled: 3-line block ×6, first 2 shown]
	v_add_f32_e32 v26, v22, v28
	ds_read2_b64 v[22:25], v20 offset0:67 offset1:68
	s_waitcnt vmcnt(44)
	v_fmac_f32_e32 v29, v5, v200
	buffer_load_dword v243, off, s[0:3], 0 offset:304
	buffer_load_dword v244, off, s[0:3], 0 offset:308
	v_add_f32_e32 v30, v26, v29
	buffer_load_dword v245, off, s[0:3], 0 offset:312
	buffer_load_dword v246, off, s[0:3], 0 offset:316
	ds_read2_b64 v[26:29], v20 offset0:69 offset1:70
	s_waitcnt vmcnt(47) lgkmcnt(1)
	v_mul_f32_e32 v31, v22, v201
	s_waitcnt vmcnt(46)
	v_fmac_f32_e32 v31, v23, v202
	v_add_f32_e32 v30, v30, v31
	s_waitcnt vmcnt(45)
	v_mul_f32_e32 v31, v24, v203
	s_waitcnt vmcnt(44)
	v_fmac_f32_e32 v31, v25, v204
	v_add_f32_e32 v30, v30, v31
	s_waitcnt vmcnt(41) lgkmcnt(0)
	v_mul_f32_e32 v31, v26, v205
	s_waitcnt vmcnt(40)
	v_fmac_f32_e32 v31, v27, v206
	buffer_load_dword v247, off, s[0:3], 0 offset:320
	buffer_load_dword v248, off, s[0:3], 0 offset:324
	v_add_f32_e32 v34, v30, v31
	ds_read2_b64 v[30:33], v20 offset0:71 offset1:72
	s_waitcnt vmcnt(40)
	v_mul_f32_e32 v35, v28, v208
	v_fmac_f32_e32 v35, v29, v207
	v_add_f32_e32 v38, v34, v35
	ds_read2_b64 v[34:37], v20 offset0:73 offset1:74
	s_waitcnt vmcnt(38) lgkmcnt(1)
	v_mul_f32_e32 v39, v30, v210
	v_fmac_f32_e32 v39, v31, v209
	v_add_f32_e32 v38, v38, v39
	s_waitcnt vmcnt(36)
	v_mul_f32_e32 v39, v32, v212
	v_fmac_f32_e32 v39, v33, v211
	v_add_f32_e32 v38, v38, v39
	s_waitcnt vmcnt(34) lgkmcnt(0)
	v_mul_f32_e32 v39, v34, v214
	v_fmac_f32_e32 v39, v35, v213
	v_add_f32_e32 v42, v38, v39
	ds_read2_b64 v[38:41], v20 offset0:75 offset1:76
	s_waitcnt vmcnt(32)
	v_mul_f32_e32 v43, v36, v216
	v_fmac_f32_e32 v43, v37, v215
	v_add_f32_e32 v46, v42, v43
	ds_read2_b64 v[42:45], v20 offset0:77 offset1:78
	s_waitcnt vmcnt(30) lgkmcnt(1)
	v_mul_f32_e32 v47, v38, v218
	v_fmac_f32_e32 v47, v39, v217
	v_add_f32_e32 v46, v46, v47
	s_waitcnt vmcnt(28)
	v_mul_f32_e32 v47, v40, v220
	v_fmac_f32_e32 v47, v41, v219
	v_add_f32_e32 v46, v46, v47
	s_waitcnt vmcnt(26) lgkmcnt(0)
	v_mul_f32_e32 v47, v42, v222
	v_fmac_f32_e32 v47, v43, v221
	;; [unrolled: 18-line block ×4, first 2 shown]
	s_waitcnt vmcnt(8)
	v_mul_f32_e32 v67, v60, v240
	v_add_f32_e32 v66, v62, v63
	v_fmac_f32_e32 v67, v61, v239
	ds_read2_b64 v[62:65], v20 offset0:87 offset1:88
	v_add_f32_e32 v71, v66, v67
	ds_read2_b64 v[66:69], v20 offset0:89 offset1:90
	buffer_load_dword v75, off, s[0:3], 0 offset:348
	buffer_load_dword v74, off, s[0:3], 0 offset:344
	;; [unrolled: 1-line block ×16, first 2 shown]
	v_mul_f32_e32 v1, v15, v1
	v_fma_f32 v1, v14, v193, -v1
	v_mul_f32_e32 v14, v17, v21
	v_add_f32_e32 v1, 0, v1
	v_fma_f32 v14, v16, v194, -v14
	v_mul_f32_e32 v7, v7, v70
	v_add_f32_e32 v1, v1, v14
	v_fma_f32 v6, v6, v195, -v7
	v_add_f32_e32 v1, v1, v6
	v_mul_f32_e32 v6, v9, v72
	v_fma_f32 v6, v8, v196, -v6
	v_add_f32_e32 v1, v1, v6
	v_mul_f32_e32 v6, v11, v178
	;; [unrolled: 3-line block ×3, first 2 shown]
	v_fma_f32 v6, v12, v198, -v6
	v_mul_f32_e32 v3, v3, v191
	v_add_f32_e32 v1, v1, v6
	v_fma_f32 v2, v2, v199, -v3
	v_add_f32_e32 v1, v1, v2
	v_mul_f32_e32 v2, v5, v192
	v_fma_f32 v2, v4, v200, -v2
	v_add_f32_e32 v1, v1, v2
	v_mul_f32_e32 v2, v23, v201
	;; [unrolled: 3-line block ×21, first 2 shown]
	v_fma_f32 v2, v60, v239, -v2
	v_add_f32_e32 v1, v1, v2
	s_waitcnt vmcnt(22) lgkmcnt(1)
	v_mul_f32_e32 v2, v63, v242
	v_mul_f32_e32 v73, v62, v242
	v_fma_f32 v2, v62, v241, -v2
	v_fmac_f32_e32 v73, v63, v241
	v_add_f32_e32 v1, v1, v2
	s_waitcnt vmcnt(20)
	v_mul_f32_e32 v2, v65, v244
	v_add_f32_e32 v71, v71, v73
	v_mul_f32_e32 v73, v64, v244
	v_fma_f32 v2, v64, v243, -v2
	v_fmac_f32_e32 v73, v65, v243
	v_add_f32_e32 v70, v1, v2
	ds_read2_b64 v[2:5], v20 offset0:91 offset1:92
	ds_read2_b64 v[6:9], v20 offset0:93 offset1:94
	;; [unrolled: 1-line block ×4, first 2 shown]
	v_add_f32_e32 v71, v71, v73
	s_waitcnt vmcnt(18) lgkmcnt(4)
	v_mul_f32_e32 v73, v66, v246
	v_mul_f32_e32 v1, v67, v246
	s_waitcnt vmcnt(11)
	v_mov_b32_e32 v22, v177
	v_fmac_f32_e32 v73, v67, v245
	v_mul_f32_e32 v179, v68, v248
	v_fma_f32 v72, v66, v245, -v1
	v_mul_f32_e32 v1, v69, v248
	s_waitcnt lgkmcnt(3)
	v_pk_mul_f32 v[22:23], v[2:3], v[22:23] op_sel_hi:[1,0]
	v_fmac_f32_e32 v179, v69, v247
	v_fma_f32 v178, v68, v247, -v1
	v_pk_add_f32 v[20:21], v[70:71], v[72:73]
	s_waitcnt vmcnt(10)
	v_pk_fma_f32 v[24:25], v[2:3], v[176:177], v[22:23] op_sel:[0,0,1] op_sel_hi:[1,1,0] neg_lo:[0,0,1] neg_hi:[0,0,1]
	v_pk_fma_f32 v[2:3], v[2:3], v[176:177], v[22:23] op_sel:[0,0,1] op_sel_hi:[1,0,0]
	v_pk_add_f32 v[20:21], v[20:21], v[178:179]
	v_mov_b32_e32 v25, v3
	v_pk_add_f32 v[2:3], v[20:21], v[24:25]
	v_mov_b32_e32 v20, v77
	v_pk_mul_f32 v[20:21], v[4:5], v[20:21] op_sel_hi:[1,0]
	v_pk_fma_f32 v[22:23], v[4:5], v[76:77], v[20:21] op_sel:[0,0,1] op_sel_hi:[1,1,0] neg_lo:[0,0,1] neg_hi:[0,0,1]
	v_pk_fma_f32 v[4:5], v[4:5], v[76:77], v[20:21] op_sel:[0,0,1] op_sel_hi:[1,0,0]
	v_mov_b32_e32 v4, v75
	v_mov_b32_e32 v23, v5
	s_waitcnt lgkmcnt(2)
	v_pk_mul_f32 v[4:5], v[6:7], v[4:5] op_sel_hi:[1,0]
	v_pk_fma_f32 v[20:21], v[6:7], v[74:75], v[4:5] op_sel:[0,0,1] op_sel_hi:[1,1,0] neg_lo:[0,0,1] neg_hi:[0,0,1]
	v_pk_fma_f32 v[4:5], v[6:7], v[74:75], v[4:5] op_sel:[0,0,1] op_sel_hi:[1,0,0]
	s_waitcnt vmcnt(3)
	v_mov_b32_e32 v4, v187
	v_mov_b32_e32 v21, v5
	v_pk_mul_f32 v[4:5], v[8:9], v[4:5] op_sel_hi:[1,0]
	s_waitcnt vmcnt(2)
	v_pk_fma_f32 v[6:7], v[8:9], v[186:187], v[4:5] op_sel:[0,0,1] op_sel_hi:[1,1,0] neg_lo:[0,0,1] neg_hi:[0,0,1]
	v_pk_fma_f32 v[4:5], v[8:9], v[186:187], v[4:5] op_sel:[0,0,1] op_sel_hi:[1,0,0]
	v_pk_add_f32 v[2:3], v[2:3], v[22:23]
	v_mov_b32_e32 v4, v185
	v_pk_add_f32 v[2:3], v[2:3], v[20:21]
	v_mov_b32_e32 v7, v5
	s_waitcnt lgkmcnt(1)
	v_pk_mul_f32 v[4:5], v[10:11], v[4:5] op_sel_hi:[1,0]
	v_pk_add_f32 v[2:3], v[2:3], v[6:7]
	v_pk_fma_f32 v[6:7], v[10:11], v[184:185], v[4:5] op_sel:[0,0,1] op_sel_hi:[1,1,0] neg_lo:[0,0,1] neg_hi:[0,0,1]
	v_pk_fma_f32 v[4:5], v[10:11], v[184:185], v[4:5] op_sel:[0,0,1] op_sel_hi:[1,0,0]
	v_mov_b32_e32 v4, v183
	v_mov_b32_e32 v7, v5
	v_pk_mul_f32 v[4:5], v[12:13], v[4:5] op_sel_hi:[1,0]
	v_pk_add_f32 v[2:3], v[2:3], v[6:7]
	v_pk_fma_f32 v[6:7], v[12:13], v[182:183], v[4:5] op_sel:[0,0,1] op_sel_hi:[1,1,0] neg_lo:[0,0,1] neg_hi:[0,0,1]
	v_pk_fma_f32 v[4:5], v[12:13], v[182:183], v[4:5] op_sel:[0,0,1] op_sel_hi:[1,0,0]
	v_mov_b32_e32 v4, v181
	v_mov_b32_e32 v7, v5
	s_waitcnt lgkmcnt(0)
	v_pk_mul_f32 v[4:5], v[14:15], v[4:5] op_sel_hi:[1,0]
	v_pk_add_f32 v[2:3], v[2:3], v[6:7]
	v_pk_fma_f32 v[6:7], v[14:15], v[180:181], v[4:5] op_sel:[0,0,1] op_sel_hi:[1,1,0] neg_lo:[0,0,1] neg_hi:[0,0,1]
	v_pk_fma_f32 v[4:5], v[14:15], v[180:181], v[4:5] op_sel:[0,0,1] op_sel_hi:[1,0,0]
	s_waitcnt vmcnt(1)
	v_mov_b32_e32 v4, v189
	v_mov_b32_e32 v7, v5
	v_pk_mul_f32 v[4:5], v[16:17], v[4:5] op_sel_hi:[1,0]
	v_pk_add_f32 v[2:3], v[2:3], v[6:7]
	s_waitcnt vmcnt(0)
	v_pk_fma_f32 v[6:7], v[16:17], v[188:189], v[4:5] op_sel:[0,0,1] op_sel_hi:[1,1,0] neg_lo:[0,0,1] neg_hi:[0,0,1]
	v_pk_fma_f32 v[4:5], v[16:17], v[188:189], v[4:5] op_sel:[0,0,1] op_sel_hi:[1,0,0]
	v_mov_b32_e32 v7, v5
	v_pk_add_f32 v[2:3], v[2:3], v[6:7]
	v_pk_add_f32 v[2:3], v[18:19], v[2:3] neg_lo:[0,1] neg_hi:[0,1]
	buffer_store_dword v3, off, s[0:3], 0 offset:68
	buffer_store_dword v2, off, s[0:3], 0 offset:64
	s_and_saveexec_b64 s[4:5], vcc
	s_cbranch_execz .LBB48_293
; %bb.292:
	buffer_load_dword v2, off, s[0:3], 0 offset:56
	buffer_load_dword v3, off, s[0:3], 0 offset:60
	v_mov_b32_e32 v1, 0
	v_accvgpr_read_b32 v4, a24
	buffer_store_dword v1, off, s[0:3], 0 offset:56
	buffer_store_dword v1, off, s[0:3], 0 offset:60
	s_waitcnt vmcnt(2)
	ds_write_b64 v4, v[2:3]
.LBB48_293:
	s_or_b64 exec, exec, s[4:5]
	v_mov_b32_e32 v192, 0
	s_waitcnt lgkmcnt(0)
	; wave barrier
	s_waitcnt lgkmcnt(0)
	ds_read_b128 v[14:17], v192 offset:464
	ds_read_b128 v[10:13], v192 offset:480
	;; [unrolled: 1-line block ×4, first 2 shown]
	buffer_load_dword v70, off, s[0:3], 0 offset:56
	buffer_load_dword v71, off, s[0:3], 0 offset:60
	;; [unrolled: 1-line block ×18, first 2 shown]
	v_cmp_lt_u32_e32 vcc, 6, v0
	s_waitcnt vmcnt(14) lgkmcnt(3)
	v_mul_f32_e32 v1, v14, v193
	v_fmac_f32_e32 v1, v15, v72
	s_waitcnt vmcnt(12)
	v_mul_f32_e32 v18, v16, v195
	v_add_f32_e32 v1, 0, v1
	v_fmac_f32_e32 v18, v17, v74
	v_add_f32_e32 v1, v1, v18
	s_waitcnt vmcnt(10) lgkmcnt(2)
	v_mul_f32_e32 v18, v10, v197
	v_fmac_f32_e32 v18, v11, v176
	v_add_f32_e32 v1, v1, v18
	s_waitcnt vmcnt(8)
	v_mul_f32_e32 v18, v12, v199
	v_fmac_f32_e32 v18, v13, v194
	v_add_f32_e32 v1, v1, v18
	s_waitcnt vmcnt(6) lgkmcnt(1)
	v_mul_f32_e32 v18, v6, v201
	v_fmac_f32_e32 v18, v7, v196
	v_add_f32_e32 v1, v1, v18
	s_waitcnt vmcnt(4)
	v_mul_f32_e32 v18, v8, v202
	;; [unrolled: 8-line block ×3, first 2 shown]
	v_fmac_f32_e32 v18, v5, v204
	v_add_f32_e32 v1, v1, v18
	ds_read_b128 v[18:21], v192 offset:528
	buffer_load_dword v206, off, s[0:3], 0 offset:128
	buffer_load_dword v207, off, s[0:3], 0 offset:132
	buffer_load_dword v208, off, s[0:3], 0 offset:136
	buffer_load_dword v209, off, s[0:3], 0 offset:140
	ds_read_b128 v[26:29], v192 offset:544
	buffer_load_dword v210, off, s[0:3], 0 offset:144
	buffer_load_dword v211, off, s[0:3], 0 offset:148
	buffer_load_dword v212, off, s[0:3], 0 offset:152
	buffer_load_dword v213, off, s[0:3], 0 offset:156
	;; [unrolled: 5-line block ×11, first 2 shown]
	ds_read_b128 v[66:69], v192 offset:704
	buffer_load_dword v250, off, s[0:3], 0 offset:304
	buffer_load_dword v251, off, s[0:3], 0 offset:308
	v_mul_f32_e32 v15, v15, v193
	v_fma_f32 v14, v14, v72, -v15
	v_mul_f32_e32 v15, v17, v195
	v_add_f32_e32 v14, 0, v14
	v_fma_f32 v15, v16, v74, -v15
	v_mul_f32_e32 v11, v11, v197
	v_add_f32_e32 v14, v14, v15
	;; [unrolled: 3-line block ×7, first 2 shown]
	v_fma_f32 v3, v4, v204, -v3
	v_add_f32_e32 v2, v2, v3
	s_waitcnt vmcnt(44) lgkmcnt(11)
	v_mul_f32_e32 v22, v18, v207
	v_fmac_f32_e32 v22, v19, v206
	v_add_f32_e32 v1, v1, v22
	s_waitcnt vmcnt(42)
	v_mul_f32_e32 v22, v20, v209
	v_fmac_f32_e32 v22, v21, v208
	v_add_f32_e32 v1, v1, v22
	s_waitcnt vmcnt(40) lgkmcnt(10)
	v_mul_f32_e32 v22, v26, v211
	v_fmac_f32_e32 v22, v27, v210
	v_add_f32_e32 v1, v1, v22
	s_waitcnt vmcnt(38)
	v_mul_f32_e32 v22, v28, v213
	v_fmac_f32_e32 v22, v29, v212
	;; [unrolled: 8-line block ×11, first 2 shown]
	v_add_f32_e32 v1, v1, v22
	s_waitcnt vmcnt(0) lgkmcnt(0)
	v_mul_f32_e32 v22, v66, v251
	v_fmac_f32_e32 v22, v67, v250
	v_add_f32_e32 v73, v1, v22
	buffer_load_dword v1, off, s[0:3], 0 offset:312
	buffer_load_dword v252, off, s[0:3], 0 offset:316
	ds_read_b128 v[22:25], v192 offset:720
	buffer_load_dword v253, off, s[0:3], 0 offset:320
	buffer_load_dword v254, off, s[0:3], 0 offset:324
	buffer_load_dword v77, off, s[0:3], 0 offset:332
	buffer_load_dword v76, off, s[0:3], 0 offset:328
	buffer_load_dword v191, off, s[0:3], 0 offset:340
	buffer_load_dword v190, off, s[0:3], 0 offset:336
	buffer_load_dword v189, off, s[0:3], 0 offset:348
	buffer_load_dword v188, off, s[0:3], 0 offset:344
	buffer_load_dword v187, off, s[0:3], 0 offset:356
	buffer_load_dword v186, off, s[0:3], 0 offset:352
	buffer_load_dword v185, off, s[0:3], 0 offset:364
	buffer_load_dword v184, off, s[0:3], 0 offset:360
	buffer_load_dword v183, off, s[0:3], 0 offset:372
	buffer_load_dword v182, off, s[0:3], 0 offset:368
	buffer_load_dword v181, off, s[0:3], 0 offset:380
	buffer_load_dword v180, off, s[0:3], 0 offset:376
	buffer_load_dword v179, off, s[0:3], 0 offset:388
	buffer_load_dword v178, off, s[0:3], 0 offset:384
	v_mul_f32_e32 v3, v19, v207
	v_fma_f32 v3, v18, v206, -v3
	v_add_f32_e32 v2, v2, v3
	v_mul_f32_e32 v3, v21, v209
	v_fma_f32 v3, v20, v208, -v3
	v_add_f32_e32 v2, v2, v3
	;; [unrolled: 3-line block ×22, first 2 shown]
	v_mul_f32_e32 v3, v67, v251
	v_fma_f32 v3, v66, v250, -v3
	s_waitcnt vmcnt(15)
	v_mov_b32_e32 v18, v77
	v_add_f32_e32 v72, v2, v3
	s_waitcnt lgkmcnt(0)
	v_pk_mul_f32 v[18:19], v[24:25], v[18:19] op_sel_hi:[1,0]
	s_waitcnt vmcnt(14)
	v_pk_fma_f32 v[20:21], v[24:25], v[76:77], v[18:19] op_sel:[0,0,1] op_sel_hi:[1,1,0] neg_lo:[0,0,1] neg_hi:[0,0,1]
	v_pk_fma_f32 v[18:19], v[24:25], v[76:77], v[18:19] op_sel:[0,0,1] op_sel_hi:[1,0,0]
	s_waitcnt vmcnt(13)
	v_mov_b32_e32 v18, v191
	v_mov_b32_e32 v21, v19
	v_mul_f32_e32 v75, v68, v252
	v_mul_f32_e32 v2, v69, v252
	v_fmac_f32_e32 v75, v69, v1
	v_mul_f32_e32 v177, v22, v254
	v_fma_f32 v74, v68, v1, -v2
	v_mul_f32_e32 v1, v23, v254
	ds_read_b128 v[2:5], v192 offset:736
	ds_read_b128 v[6:9], v192 offset:752
	;; [unrolled: 1-line block ×3, first 2 shown]
	ds_read_b64 v[14:15], v192 offset:784
	v_fmac_f32_e32 v177, v23, v253
	v_fma_f32 v176, v22, v253, -v1
	v_pk_add_f32 v[16:17], v[72:73], v[74:75]
	v_pk_add_f32 v[16:17], v[16:17], v[176:177]
	s_waitcnt lgkmcnt(3)
	v_pk_mul_f32 v[18:19], v[2:3], v[18:19] op_sel_hi:[1,0]
	v_pk_add_f32 v[16:17], v[16:17], v[20:21]
	s_waitcnt vmcnt(12)
	v_pk_fma_f32 v[20:21], v[2:3], v[190:191], v[18:19] op_sel:[0,0,1] op_sel_hi:[1,1,0] neg_lo:[0,0,1] neg_hi:[0,0,1]
	v_pk_fma_f32 v[2:3], v[2:3], v[190:191], v[18:19] op_sel:[0,0,1] op_sel_hi:[1,0,0]
	v_mov_b32_e32 v21, v3
	v_pk_add_f32 v[2:3], v[16:17], v[20:21]
	s_waitcnt vmcnt(11)
	v_mov_b32_e32 v16, v189
	v_pk_mul_f32 v[16:17], v[4:5], v[16:17] op_sel_hi:[1,0]
	s_waitcnt vmcnt(10)
	v_pk_fma_f32 v[18:19], v[4:5], v[188:189], v[16:17] op_sel:[0,0,1] op_sel_hi:[1,1,0] neg_lo:[0,0,1] neg_hi:[0,0,1]
	v_pk_fma_f32 v[4:5], v[4:5], v[188:189], v[16:17] op_sel:[0,0,1] op_sel_hi:[1,0,0]
	s_waitcnt vmcnt(9)
	v_mov_b32_e32 v4, v187
	v_mov_b32_e32 v19, v5
	s_waitcnt lgkmcnt(2)
	v_pk_mul_f32 v[4:5], v[6:7], v[4:5] op_sel_hi:[1,0]
	s_waitcnt vmcnt(8)
	v_pk_fma_f32 v[16:17], v[6:7], v[186:187], v[4:5] op_sel:[0,0,1] op_sel_hi:[1,1,0] neg_lo:[0,0,1] neg_hi:[0,0,1]
	v_pk_fma_f32 v[4:5], v[6:7], v[186:187], v[4:5] op_sel:[0,0,1] op_sel_hi:[1,0,0]
	s_waitcnt vmcnt(7)
	v_mov_b32_e32 v4, v185
	v_mov_b32_e32 v17, v5
	v_pk_mul_f32 v[4:5], v[8:9], v[4:5] op_sel_hi:[1,0]
	s_waitcnt vmcnt(6)
	v_pk_fma_f32 v[6:7], v[8:9], v[184:185], v[4:5] op_sel:[0,0,1] op_sel_hi:[1,1,0] neg_lo:[0,0,1] neg_hi:[0,0,1]
	v_pk_fma_f32 v[4:5], v[8:9], v[184:185], v[4:5] op_sel:[0,0,1] op_sel_hi:[1,0,0]
	v_pk_add_f32 v[2:3], v[2:3], v[18:19]
	s_waitcnt vmcnt(5)
	v_mov_b32_e32 v4, v183
	v_pk_add_f32 v[2:3], v[2:3], v[16:17]
	v_mov_b32_e32 v7, v5
	s_waitcnt lgkmcnt(1)
	v_pk_mul_f32 v[4:5], v[10:11], v[4:5] op_sel_hi:[1,0]
	v_pk_add_f32 v[2:3], v[2:3], v[6:7]
	s_waitcnt vmcnt(4)
	v_pk_fma_f32 v[6:7], v[10:11], v[182:183], v[4:5] op_sel:[0,0,1] op_sel_hi:[1,1,0] neg_lo:[0,0,1] neg_hi:[0,0,1]
	v_pk_fma_f32 v[4:5], v[10:11], v[182:183], v[4:5] op_sel:[0,0,1] op_sel_hi:[1,0,0]
	s_waitcnt vmcnt(3)
	v_mov_b32_e32 v4, v181
	v_mov_b32_e32 v7, v5
	v_pk_mul_f32 v[4:5], v[12:13], v[4:5] op_sel_hi:[1,0]
	v_pk_add_f32 v[2:3], v[2:3], v[6:7]
	s_waitcnt vmcnt(2)
	v_pk_fma_f32 v[6:7], v[12:13], v[180:181], v[4:5] op_sel:[0,0,1] op_sel_hi:[1,1,0] neg_lo:[0,0,1] neg_hi:[0,0,1]
	v_pk_fma_f32 v[4:5], v[12:13], v[180:181], v[4:5] op_sel:[0,0,1] op_sel_hi:[1,0,0]
	s_waitcnt vmcnt(1)
	v_mov_b32_e32 v4, v179
	v_mov_b32_e32 v7, v5
	s_waitcnt lgkmcnt(0)
	v_pk_mul_f32 v[4:5], v[14:15], v[4:5] op_sel_hi:[1,0]
	v_pk_add_f32 v[2:3], v[2:3], v[6:7]
	s_waitcnt vmcnt(0)
	v_pk_fma_f32 v[6:7], v[14:15], v[178:179], v[4:5] op_sel:[0,0,1] op_sel_hi:[1,1,0] neg_lo:[0,0,1] neg_hi:[0,0,1]
	v_pk_fma_f32 v[4:5], v[14:15], v[178:179], v[4:5] op_sel:[0,0,1] op_sel_hi:[1,0,0]
	v_mov_b32_e32 v7, v5
	v_pk_add_f32 v[2:3], v[2:3], v[6:7]
	v_pk_add_f32 v[2:3], v[70:71], v[2:3] neg_lo:[0,1] neg_hi:[0,1]
	buffer_store_dword v3, off, s[0:3], 0 offset:60
	buffer_store_dword v2, off, s[0:3], 0 offset:56
	s_and_saveexec_b64 s[4:5], vcc
	s_cbranch_execz .LBB48_295
; %bb.294:
	buffer_load_dword v2, off, s[0:3], 0 offset:48
	buffer_load_dword v3, off, s[0:3], 0 offset:52
	v_accvgpr_read_b32 v1, a24
	buffer_store_dword v192, off, s[0:3], 0 offset:48
	buffer_store_dword v192, off, s[0:3], 0 offset:52
	s_waitcnt vmcnt(2)
	ds_write_b64 v1, v[2:3]
.LBB48_295:
	s_or_b64 exec, exec, s[4:5]
	s_waitcnt lgkmcnt(0)
	; wave barrier
	s_waitcnt lgkmcnt(0)
	buffer_load_dword v1, off, s[0:3], 0 offset:60
	buffer_load_dword v176, off, s[0:3], 0 offset:68
	;; [unrolled: 1-line block ×24, first 2 shown]
	ds_read2_b64 v[22:25], v192 offset0:57 offset1:58
	ds_read2_b64 v[18:21], v192 offset0:59 offset1:60
	;; [unrolled: 1-line block ×4, first 2 shown]
	buffer_load_dword v215, off, s[0:3], 0 offset:144
	buffer_load_dword v216, off, s[0:3], 0 offset:148
	ds_read2_b64 v[10:13], v192 offset0:65 offset1:66
	ds_read2_b64 v[2:5], v192 offset0:67 offset1:68
	buffer_load_dword v217, off, s[0:3], 0 offset:152
	buffer_load_dword v218, off, s[0:3], 0 offset:156
	;; [unrolled: 1-line block ×44, first 2 shown]
	v_cmp_lt_u32_e32 vcc, 5, v0
	s_waitcnt vmcnt(62) lgkmcnt(5)
	v_mul_f32_e32 v28, v22, v1
	v_mul_f32_e32 v29, v24, v176
	s_waitcnt lgkmcnt(4)
	v_mul_f32_e32 v31, v20, v178
	s_waitcnt lgkmcnt(3)
	v_mul_f32_e32 v32, v14, v180
	v_mul_f32_e32 v33, v16, v193
	;; [unrolled: 1-line block ×3, first 2 shown]
	s_waitcnt lgkmcnt(2)
	v_mul_f32_e32 v34, v6, v199
	v_mul_f32_e32 v35, v8, v200
	s_waitcnt vmcnt(61)
	v_fmac_f32_e32 v30, v19, v201
	s_waitcnt vmcnt(60)
	v_fmac_f32_e32 v29, v25, v202
	;; [unrolled: 2-line block ×3, first 2 shown]
	v_add_f32_e32 v28, 0, v28
	v_add_f32_e32 v28, v28, v29
	;; [unrolled: 1-line block ×3, first 2 shown]
	s_waitcnt vmcnt(55)
	v_fmac_f32_e32 v31, v21, v207
	v_fmac_f32_e32 v32, v15, v206
	v_add_f32_e32 v28, v28, v31
	v_fmac_f32_e32 v33, v17, v205
	v_add_f32_e32 v28, v28, v32
	;; [unrolled: 2-line block ×3, first 2 shown]
	s_waitcnt vmcnt(51)
	v_fmac_f32_e32 v35, v9, v211
	v_add_f32_e32 v28, v28, v34
	s_waitcnt vmcnt(50) lgkmcnt(1)
	v_mul_f32_e32 v29, v10, v212
	v_add_f32_e32 v28, v28, v35
	v_fmac_f32_e32 v29, v11, v210
	v_add_f32_e32 v28, v28, v29
	s_waitcnt vmcnt(49)
	v_mul_f32_e32 v29, v12, v213
	v_fmac_f32_e32 v29, v13, v209
	v_add_f32_e32 v28, v28, v29
	s_waitcnt vmcnt(48) lgkmcnt(0)
	v_mul_f32_e32 v29, v2, v214
	v_fmac_f32_e32 v29, v3, v208
	v_add_f32_e32 v32, v28, v29
	ds_read2_b64 v[28:31], v192 offset0:69 offset1:70
	s_waitcnt vmcnt(44)
	v_mul_f32_e32 v33, v4, v216
	v_fmac_f32_e32 v33, v5, v215
	v_add_f32_e32 v36, v32, v33
	ds_read2_b64 v[32:35], v192 offset0:71 offset1:72
	s_waitcnt vmcnt(42) lgkmcnt(1)
	v_mul_f32_e32 v37, v28, v218
	v_fmac_f32_e32 v37, v29, v217
	v_add_f32_e32 v36, v36, v37
	s_waitcnt vmcnt(40)
	v_mul_f32_e32 v37, v30, v220
	v_fmac_f32_e32 v37, v31, v219
	v_add_f32_e32 v36, v36, v37
	s_waitcnt vmcnt(38) lgkmcnt(0)
	v_mul_f32_e32 v37, v32, v222
	v_fmac_f32_e32 v37, v33, v221
	v_add_f32_e32 v40, v36, v37
	ds_read2_b64 v[36:39], v192 offset0:73 offset1:74
	s_waitcnt vmcnt(36)
	v_mul_f32_e32 v41, v34, v224
	v_fmac_f32_e32 v41, v35, v223
	v_add_f32_e32 v44, v40, v41
	ds_read2_b64 v[40:43], v192 offset0:75 offset1:76
	s_waitcnt vmcnt(34) lgkmcnt(1)
	v_mul_f32_e32 v45, v36, v226
	;; [unrolled: 18-line block ×4, first 2 shown]
	v_fmac_f32_e32 v61, v53, v241
	v_add_f32_e32 v60, v60, v61
	s_waitcnt vmcnt(16)
	v_mul_f32_e32 v61, v54, v244
	v_fmac_f32_e32 v61, v55, v243
	v_add_f32_e32 v60, v60, v61
	s_waitcnt vmcnt(14) lgkmcnt(0)
	v_mul_f32_e32 v61, v56, v246
	v_fmac_f32_e32 v61, v57, v245
	v_add_f32_e32 v64, v60, v61
	ds_read2_b64 v[60:63], v192 offset0:85 offset1:86
	s_waitcnt vmcnt(12)
	v_mul_f32_e32 v65, v58, v248
	v_fmac_f32_e32 v65, v59, v247
	v_add_f32_e32 v68, v64, v65
	ds_read2_b64 v[64:67], v192 offset0:87 offset1:88
	buffer_load_dword v77, off, s[0:3], 0 offset:332
	buffer_load_dword v76, off, s[0:3], 0 offset:328
	s_waitcnt vmcnt(12) lgkmcnt(1)
	v_mul_f32_e32 v69, v60, v250
	v_fmac_f32_e32 v69, v61, v249
	v_add_f32_e32 v68, v68, v69
	s_waitcnt vmcnt(10)
	v_mul_f32_e32 v69, v62, v252
	v_fmac_f32_e32 v69, v63, v251
	v_add_f32_e32 v68, v68, v69
	s_waitcnt vmcnt(8) lgkmcnt(0)
	v_mul_f32_e32 v69, v64, v254
	v_fmac_f32_e32 v69, v65, v253
	s_waitcnt vmcnt(6)
	v_mul_f32_e32 v73, v66, v78
	v_add_f32_e32 v72, v68, v69
	v_fmac_f32_e32 v73, v67, v255
	ds_read2_b64 v[68:71], v192 offset0:89 offset1:90
	v_add_f32_e32 v177, v72, v73
	ds_read2_b64 v[72:75], v192 offset0:91 offset1:92
	buffer_load_dword v183, off, s[0:3], 0 offset:364
	buffer_load_dword v182, off, s[0:3], 0 offset:360
	buffer_load_dword v185, off, s[0:3], 0 offset:356
	buffer_load_dword v184, off, s[0:3], 0 offset:352
	buffer_load_dword v187, off, s[0:3], 0 offset:348
	buffer_load_dword v186, off, s[0:3], 0 offset:344
	buffer_load_dword v189, off, s[0:3], 0 offset:340
	buffer_load_dword v188, off, s[0:3], 0 offset:336
	buffer_load_dword v191, off, s[0:3], 0 offset:388
	buffer_load_dword v190, off, s[0:3], 0 offset:384
	buffer_load_dword v195, off, s[0:3], 0 offset:380
	buffer_load_dword v194, off, s[0:3], 0 offset:376
	buffer_load_dword v197, off, s[0:3], 0 offset:372
	buffer_load_dword v196, off, s[0:3], 0 offset:368
	v_mul_f32_e32 v1, v23, v1
	v_fma_f32 v1, v22, v203, -v1
	v_mul_f32_e32 v22, v25, v176
	v_add_f32_e32 v1, 0, v1
	v_fma_f32 v22, v24, v202, -v22
	v_mul_f32_e32 v19, v19, v198
	v_add_f32_e32 v1, v1, v22
	v_fma_f32 v18, v18, v201, -v19
	v_add_f32_e32 v1, v1, v18
	v_mul_f32_e32 v18, v21, v178
	v_fma_f32 v18, v20, v207, -v18
	v_mul_f32_e32 v15, v15, v180
	v_add_f32_e32 v1, v1, v18
	v_fma_f32 v14, v14, v206, -v15
	v_add_f32_e32 v1, v1, v14
	v_mul_f32_e32 v14, v17, v193
	v_fma_f32 v14, v16, v205, -v14
	v_mul_f32_e32 v7, v7, v199
	v_add_f32_e32 v1, v1, v14
	v_fma_f32 v6, v6, v204, -v7
	v_add_f32_e32 v1, v1, v6
	v_mul_f32_e32 v6, v9, v200
	v_fma_f32 v6, v8, v211, -v6
	v_add_f32_e32 v1, v1, v6
	v_mul_f32_e32 v6, v11, v212
	v_fma_f32 v6, v10, v210, -v6
	v_add_f32_e32 v1, v1, v6
	v_mul_f32_e32 v6, v13, v213
	v_fma_f32 v6, v12, v209, -v6
	v_mul_f32_e32 v3, v3, v214
	v_add_f32_e32 v1, v1, v6
	v_fma_f32 v2, v2, v208, -v3
	v_add_f32_e32 v1, v1, v2
	v_mul_f32_e32 v2, v5, v216
	v_fma_f32 v2, v4, v215, -v2
	v_add_f32_e32 v1, v1, v2
	v_mul_f32_e32 v2, v29, v218
	;; [unrolled: 3-line block ×21, first 2 shown]
	v_fma_f32 v2, v66, v255, -v2
	s_waitcnt vmcnt(15)
	v_mov_b32_e32 v16, v77
	s_waitcnt lgkmcnt(1)
	v_mul_f32_e32 v179, v68, v80
	v_add_f32_e32 v176, v1, v2
	v_mul_f32_e32 v1, v69, v80
	s_waitcnt lgkmcnt(0)
	v_pk_mul_f32 v[16:17], v[72:73], v[16:17] op_sel_hi:[1,0]
	v_fmac_f32_e32 v179, v69, v79
	v_mul_f32_e32 v181, v70, v82
	v_fma_f32 v178, v68, v79, -v1
	v_mul_f32_e32 v1, v71, v82
	s_waitcnt vmcnt(14)
	v_pk_fma_f32 v[18:19], v[72:73], v[76:77], v[16:17] op_sel:[0,0,1] op_sel_hi:[1,1,0] neg_lo:[0,0,1] neg_hi:[0,0,1]
	v_pk_fma_f32 v[16:17], v[72:73], v[76:77], v[16:17] op_sel:[0,0,1] op_sel_hi:[1,0,0]
	v_fmac_f32_e32 v181, v71, v81
	v_fma_f32 v180, v70, v81, -v1
	v_pk_add_f32 v[14:15], v[176:177], v[178:179]
	s_waitcnt vmcnt(7)
	v_mov_b32_e32 v16, v189
	ds_read2_b64 v[2:5], v192 offset0:93 offset1:94
	ds_read2_b64 v[6:9], v192 offset0:95 offset1:96
	;; [unrolled: 1-line block ×3, first 2 shown]
	v_pk_add_f32 v[14:15], v[14:15], v[180:181]
	v_mov_b32_e32 v19, v17
	v_pk_mul_f32 v[16:17], v[74:75], v[16:17] op_sel_hi:[1,0]
	v_pk_add_f32 v[14:15], v[14:15], v[18:19]
	s_waitcnt vmcnt(6)
	v_pk_fma_f32 v[18:19], v[74:75], v[188:189], v[16:17] op_sel:[0,0,1] op_sel_hi:[1,1,0] neg_lo:[0,0,1] neg_hi:[0,0,1]
	v_pk_fma_f32 v[16:17], v[74:75], v[188:189], v[16:17] op_sel:[0,0,1] op_sel_hi:[1,0,0]
	v_mov_b32_e32 v16, v187
	v_mov_b32_e32 v19, v17
	s_waitcnt lgkmcnt(2)
	v_pk_mul_f32 v[16:17], v[2:3], v[16:17] op_sel_hi:[1,0]
	v_pk_add_f32 v[14:15], v[14:15], v[18:19]
	v_pk_fma_f32 v[18:19], v[2:3], v[186:187], v[16:17] op_sel:[0,0,1] op_sel_hi:[1,1,0] neg_lo:[0,0,1] neg_hi:[0,0,1]
	v_pk_fma_f32 v[2:3], v[2:3], v[186:187], v[16:17] op_sel:[0,0,1] op_sel_hi:[1,0,0]
	v_mov_b32_e32 v19, v3
	v_pk_add_f32 v[2:3], v[14:15], v[18:19]
	v_mov_b32_e32 v14, v185
	v_pk_mul_f32 v[14:15], v[4:5], v[14:15] op_sel_hi:[1,0]
	v_pk_fma_f32 v[16:17], v[4:5], v[184:185], v[14:15] op_sel:[0,0,1] op_sel_hi:[1,1,0] neg_lo:[0,0,1] neg_hi:[0,0,1]
	v_pk_fma_f32 v[4:5], v[4:5], v[184:185], v[14:15] op_sel:[0,0,1] op_sel_hi:[1,0,0]
	v_mov_b32_e32 v4, v183
	v_mov_b32_e32 v17, v5
	s_waitcnt lgkmcnt(1)
	v_pk_mul_f32 v[4:5], v[6:7], v[4:5] op_sel_hi:[1,0]
	v_pk_fma_f32 v[14:15], v[6:7], v[182:183], v[4:5] op_sel:[0,0,1] op_sel_hi:[1,1,0] neg_lo:[0,0,1] neg_hi:[0,0,1]
	v_pk_fma_f32 v[4:5], v[6:7], v[182:183], v[4:5] op_sel:[0,0,1] op_sel_hi:[1,0,0]
	s_waitcnt vmcnt(1)
	v_mov_b32_e32 v4, v197
	v_mov_b32_e32 v15, v5
	v_pk_mul_f32 v[4:5], v[8:9], v[4:5] op_sel_hi:[1,0]
	s_waitcnt vmcnt(0)
	v_pk_fma_f32 v[6:7], v[8:9], v[196:197], v[4:5] op_sel:[0,0,1] op_sel_hi:[1,1,0] neg_lo:[0,0,1] neg_hi:[0,0,1]
	v_pk_fma_f32 v[4:5], v[8:9], v[196:197], v[4:5] op_sel:[0,0,1] op_sel_hi:[1,0,0]
	v_pk_add_f32 v[2:3], v[2:3], v[16:17]
	v_mov_b32_e32 v4, v195
	v_pk_add_f32 v[2:3], v[2:3], v[14:15]
	v_mov_b32_e32 v7, v5
	s_waitcnt lgkmcnt(0)
	v_pk_mul_f32 v[4:5], v[10:11], v[4:5] op_sel_hi:[1,0]
	v_pk_add_f32 v[2:3], v[2:3], v[6:7]
	v_pk_fma_f32 v[6:7], v[10:11], v[194:195], v[4:5] op_sel:[0,0,1] op_sel_hi:[1,1,0] neg_lo:[0,0,1] neg_hi:[0,0,1]
	v_pk_fma_f32 v[4:5], v[10:11], v[194:195], v[4:5] op_sel:[0,0,1] op_sel_hi:[1,0,0]
	v_mov_b32_e32 v4, v191
	v_mov_b32_e32 v7, v5
	v_pk_mul_f32 v[4:5], v[12:13], v[4:5] op_sel_hi:[1,0]
	v_pk_add_f32 v[2:3], v[2:3], v[6:7]
	v_pk_fma_f32 v[6:7], v[12:13], v[190:191], v[4:5] op_sel:[0,0,1] op_sel_hi:[1,1,0] neg_lo:[0,0,1] neg_hi:[0,0,1]
	v_pk_fma_f32 v[4:5], v[12:13], v[190:191], v[4:5] op_sel:[0,0,1] op_sel_hi:[1,0,0]
	v_mov_b32_e32 v7, v5
	v_pk_add_f32 v[2:3], v[2:3], v[6:7]
	v_pk_add_f32 v[2:3], v[26:27], v[2:3] neg_lo:[0,1] neg_hi:[0,1]
	buffer_store_dword v3, off, s[0:3], 0 offset:52
	buffer_store_dword v2, off, s[0:3], 0 offset:48
	s_and_saveexec_b64 s[4:5], vcc
	s_cbranch_execz .LBB48_297
; %bb.296:
	buffer_load_dword v2, off, s[0:3], 0 offset:40
	buffer_load_dword v3, off, s[0:3], 0 offset:44
	v_mov_b32_e32 v1, 0
	v_accvgpr_read_b32 v4, a24
	buffer_store_dword v1, off, s[0:3], 0 offset:40
	buffer_store_dword v1, off, s[0:3], 0 offset:44
	s_waitcnt vmcnt(2)
	ds_write_b64 v4, v[2:3]
.LBB48_297:
	s_or_b64 exec, exec, s[4:5]
	s_waitcnt lgkmcnt(0)
	; wave barrier
	s_waitcnt lgkmcnt(0)
	buffer_load_dword v1, off, s[0:3], 0 offset:52
	buffer_load_dword v29, off, s[0:3], 0 offset:60
	;; [unrolled: 1-line block ×56, first 2 shown]
	v_mov_b32_e32 v28, 0
	ds_read_b128 v[4:7], v28 offset:448
	ds_read_b128 v[8:11], v28 offset:464
	ds_read_b128 v[12:15], v28 offset:480
	ds_read_b128 v[16:19], v28 offset:496
	ds_read_b128 v[20:23], v28 offset:512
	ds_read_b128 v[24:27], v28 offset:528
	buffer_load_dword v241, off, s[0:3], 0 offset:264
	buffer_load_dword v242, off, s[0:3], 0 offset:268
	;; [unrolled: 1-line block ×16, first 2 shown]
	v_cmp_lt_u32_e32 vcc, 4, v0
	s_waitcnt vmcnt(62) lgkmcnt(5)
	v_mul_f32_e32 v30, v4, v1
	v_mul_f32_e32 v31, v6, v29
	s_waitcnt lgkmcnt(4)
	v_mul_f32_e32 v33, v10, v78
	s_waitcnt lgkmcnt(3)
	v_mul_f32_e32 v34, v12, v79
	v_mul_f32_e32 v35, v14, v80
	v_mul_f32_e32 v32, v8, v81
	s_waitcnt lgkmcnt(2)
	v_mul_f32_e32 v36, v16, v82
	v_mul_f32_e32 v37, v18, v83
	s_waitcnt lgkmcnt(1)
	v_mul_f32_e32 v38, v20, v176
	v_fmac_f32_e32 v32, v9, v178
	s_waitcnt vmcnt(61)
	v_fmac_f32_e32 v31, v7, v180
	s_waitcnt vmcnt(60)
	v_fmac_f32_e32 v30, v5, v198
	v_add_f32_e32 v30, 0, v30
	v_add_f32_e32 v30, v30, v31
	;; [unrolled: 1-line block ×3, first 2 shown]
	s_waitcnt vmcnt(56)
	v_fmac_f32_e32 v33, v11, v202
	v_fmac_f32_e32 v34, v13, v201
	v_add_f32_e32 v30, v30, v33
	v_fmac_f32_e32 v35, v15, v200
	v_add_f32_e32 v30, v30, v34
	v_fmac_f32_e32 v36, v17, v199
	v_add_f32_e32 v30, v30, v35
	s_waitcnt vmcnt(52)
	v_fmac_f32_e32 v37, v19, v206
	v_add_f32_e32 v30, v30, v36
	v_add_f32_e32 v30, v30, v37
	v_fmac_f32_e32 v38, v21, v205
	s_waitcnt vmcnt(51)
	v_mul_f32_e32 v31, v22, v207
	v_add_f32_e32 v30, v30, v38
	v_fmac_f32_e32 v31, v23, v204
	v_add_f32_e32 v30, v30, v31
	s_waitcnt vmcnt(50) lgkmcnt(0)
	v_mul_f32_e32 v31, v24, v208
	v_fmac_f32_e32 v31, v25, v203
	v_add_f32_e32 v34, v30, v31
	ds_read_b128 v[30:33], v28 offset:544
	s_waitcnt vmcnt(46)
	v_mul_f32_e32 v35, v26, v210
	v_fmac_f32_e32 v35, v27, v209
	v_add_f32_e32 v38, v34, v35
	ds_read_b128 v[34:37], v28 offset:560
	s_waitcnt vmcnt(44) lgkmcnt(1)
	v_mul_f32_e32 v39, v30, v212
	v_fmac_f32_e32 v39, v31, v211
	v_add_f32_e32 v38, v38, v39
	s_waitcnt vmcnt(42)
	v_mul_f32_e32 v39, v32, v214
	v_fmac_f32_e32 v39, v33, v213
	v_add_f32_e32 v38, v38, v39
	s_waitcnt vmcnt(40) lgkmcnt(0)
	v_mul_f32_e32 v39, v34, v216
	v_fmac_f32_e32 v39, v35, v215
	v_add_f32_e32 v42, v38, v39
	ds_read_b128 v[38:41], v28 offset:576
	s_waitcnt vmcnt(38)
	v_mul_f32_e32 v43, v36, v218
	v_fmac_f32_e32 v43, v37, v217
	v_add_f32_e32 v46, v42, v43
	ds_read_b128 v[42:45], v28 offset:592
	s_waitcnt vmcnt(36) lgkmcnt(1)
	v_mul_f32_e32 v47, v38, v220
	v_fmac_f32_e32 v47, v39, v219
	v_add_f32_e32 v46, v46, v47
	s_waitcnt vmcnt(34)
	v_mul_f32_e32 v47, v40, v222
	;; [unrolled: 18-line block ×5, first 2 shown]
	v_fmac_f32_e32 v71, v65, v245
	v_add_f32_e32 v70, v70, v71
	s_waitcnt vmcnt(8) lgkmcnt(0)
	v_mul_f32_e32 v71, v66, v248
	v_fmac_f32_e32 v71, v67, v247
	s_waitcnt vmcnt(6)
	v_mul_f32_e32 v75, v68, v250
	v_add_f32_e32 v74, v70, v71
	v_fmac_f32_e32 v75, v69, v249
	ds_read_b128 v[70:73], v28 offset:704
	v_add_f32_e32 v85, v74, v75
	ds_read_b128 v[74:77], v28 offset:720
	buffer_load_dword v183, off, s[0:3], 0 offset:356
	buffer_load_dword v182, off, s[0:3], 0 offset:352
	;; [unrolled: 1-line block ×16, first 2 shown]
	v_mul_f32_e32 v1, v5, v1
	v_fma_f32 v1, v4, v198, -v1
	v_mul_f32_e32 v4, v7, v29
	v_add_f32_e32 v1, 0, v1
	v_fma_f32 v4, v6, v180, -v4
	v_add_f32_e32 v1, v1, v4
	v_mul_f32_e32 v4, v9, v81
	v_fma_f32 v4, v8, v178, -v4
	v_add_f32_e32 v1, v1, v4
	v_mul_f32_e32 v4, v11, v78
	;; [unrolled: 3-line block ×30, first 2 shown]
	v_fma_f32 v4, v68, v249, -v4
	v_add_f32_e32 v1, v1, v4
	s_waitcnt vmcnt(20) lgkmcnt(1)
	v_mul_f32_e32 v4, v71, v252
	v_mul_f32_e32 v177, v70, v252
	v_fma_f32 v4, v70, v251, -v4
	s_waitcnt vmcnt(9)
	v_mov_b32_e32 v20, v189
	v_fmac_f32_e32 v177, v71, v251
	v_mul_f32_e32 v179, v72, v254
	v_add_f32_e32 v176, v1, v4
	v_mul_f32_e32 v1, v73, v254
	s_waitcnt lgkmcnt(0)
	v_pk_mul_f32 v[20:21], v[76:77], v[20:21] op_sel_hi:[1,0]
	v_add_f32_e32 v177, v85, v177
	v_fmac_f32_e32 v179, v73, v253
	v_mul_f32_e32 v181, v74, v84
	v_fma_f32 v178, v72, v253, -v1
	v_mul_f32_e32 v1, v75, v84
	ds_read_b128 v[4:7], v28 offset:736
	ds_read_b128 v[8:11], v28 offset:752
	ds_read_b128 v[12:15], v28 offset:768
	ds_read_b64 v[16:17], v28 offset:784
	s_waitcnt vmcnt(8)
	v_pk_fma_f32 v[22:23], v[76:77], v[188:189], v[20:21] op_sel:[0,0,1] op_sel_hi:[1,1,0] neg_lo:[0,0,1] neg_hi:[0,0,1]
	v_pk_fma_f32 v[20:21], v[76:77], v[188:189], v[20:21] op_sel:[0,0,1] op_sel_hi:[1,0,0]
	v_fmac_f32_e32 v181, v75, v255
	v_fma_f32 v180, v74, v255, -v1
	v_pk_add_f32 v[18:19], v[176:177], v[178:179]
	v_mov_b32_e32 v20, v187
	v_pk_add_f32 v[18:19], v[18:19], v[180:181]
	v_mov_b32_e32 v23, v21
	s_waitcnt lgkmcnt(3)
	v_pk_mul_f32 v[20:21], v[4:5], v[20:21] op_sel_hi:[1,0]
	v_pk_add_f32 v[18:19], v[18:19], v[22:23]
	v_pk_fma_f32 v[22:23], v[4:5], v[186:187], v[20:21] op_sel:[0,0,1] op_sel_hi:[1,1,0] neg_lo:[0,0,1] neg_hi:[0,0,1]
	v_pk_fma_f32 v[4:5], v[4:5], v[186:187], v[20:21] op_sel:[0,0,1] op_sel_hi:[1,0,0]
	v_mov_b32_e32 v23, v5
	v_pk_add_f32 v[4:5], v[18:19], v[22:23]
	v_mov_b32_e32 v18, v185
	v_pk_mul_f32 v[18:19], v[6:7], v[18:19] op_sel_hi:[1,0]
	v_pk_fma_f32 v[20:21], v[6:7], v[184:185], v[18:19] op_sel:[0,0,1] op_sel_hi:[1,1,0] neg_lo:[0,0,1] neg_hi:[0,0,1]
	v_pk_fma_f32 v[6:7], v[6:7], v[184:185], v[18:19] op_sel:[0,0,1] op_sel_hi:[1,0,0]
	v_mov_b32_e32 v6, v183
	v_mov_b32_e32 v21, v7
	s_waitcnt lgkmcnt(2)
	v_pk_mul_f32 v[6:7], v[8:9], v[6:7] op_sel_hi:[1,0]
	v_pk_fma_f32 v[18:19], v[8:9], v[182:183], v[6:7] op_sel:[0,0,1] op_sel_hi:[1,1,0] neg_lo:[0,0,1] neg_hi:[0,0,1]
	v_pk_fma_f32 v[6:7], v[8:9], v[182:183], v[6:7] op_sel:[0,0,1] op_sel_hi:[1,0,0]
	s_waitcnt vmcnt(1)
	v_mov_b32_e32 v6, v197
	v_mov_b32_e32 v19, v7
	v_pk_mul_f32 v[6:7], v[10:11], v[6:7] op_sel_hi:[1,0]
	s_waitcnt vmcnt(0)
	v_pk_fma_f32 v[8:9], v[10:11], v[196:197], v[6:7] op_sel:[0,0,1] op_sel_hi:[1,1,0] neg_lo:[0,0,1] neg_hi:[0,0,1]
	v_pk_fma_f32 v[6:7], v[10:11], v[196:197], v[6:7] op_sel:[0,0,1] op_sel_hi:[1,0,0]
	v_pk_add_f32 v[4:5], v[4:5], v[20:21]
	v_mov_b32_e32 v6, v195
	v_pk_add_f32 v[4:5], v[4:5], v[18:19]
	v_mov_b32_e32 v9, v7
	s_waitcnt lgkmcnt(1)
	v_pk_mul_f32 v[6:7], v[12:13], v[6:7] op_sel_hi:[1,0]
	v_pk_add_f32 v[4:5], v[4:5], v[8:9]
	v_pk_fma_f32 v[8:9], v[12:13], v[194:195], v[6:7] op_sel:[0,0,1] op_sel_hi:[1,1,0] neg_lo:[0,0,1] neg_hi:[0,0,1]
	v_pk_fma_f32 v[6:7], v[12:13], v[194:195], v[6:7] op_sel:[0,0,1] op_sel_hi:[1,0,0]
	v_mov_b32_e32 v6, v193
	v_mov_b32_e32 v9, v7
	v_pk_mul_f32 v[6:7], v[14:15], v[6:7] op_sel_hi:[1,0]
	v_pk_add_f32 v[4:5], v[4:5], v[8:9]
	v_pk_fma_f32 v[8:9], v[14:15], v[192:193], v[6:7] op_sel:[0,0,1] op_sel_hi:[1,1,0] neg_lo:[0,0,1] neg_hi:[0,0,1]
	v_pk_fma_f32 v[6:7], v[14:15], v[192:193], v[6:7] op_sel:[0,0,1] op_sel_hi:[1,0,0]
	v_mov_b32_e32 v6, v191
	v_mov_b32_e32 v9, v7
	s_waitcnt lgkmcnt(0)
	v_pk_mul_f32 v[6:7], v[16:17], v[6:7] op_sel_hi:[1,0]
	v_pk_add_f32 v[4:5], v[4:5], v[8:9]
	v_pk_fma_f32 v[8:9], v[16:17], v[190:191], v[6:7] op_sel:[0,0,1] op_sel_hi:[1,1,0] neg_lo:[0,0,1] neg_hi:[0,0,1]
	v_pk_fma_f32 v[6:7], v[16:17], v[190:191], v[6:7] op_sel:[0,0,1] op_sel_hi:[1,0,0]
	v_mov_b32_e32 v9, v7
	v_pk_add_f32 v[4:5], v[4:5], v[8:9]
	v_pk_add_f32 v[2:3], v[2:3], v[4:5] neg_lo:[0,1] neg_hi:[0,1]
	buffer_store_dword v3, off, s[0:3], 0 offset:44
	buffer_store_dword v2, off, s[0:3], 0 offset:40
	s_and_saveexec_b64 s[4:5], vcc
	s_cbranch_execz .LBB48_299
; %bb.298:
	buffer_load_dword v2, off, s[0:3], 0 offset:32
	buffer_load_dword v3, off, s[0:3], 0 offset:36
	v_accvgpr_read_b32 v1, a24
	buffer_store_dword v28, off, s[0:3], 0 offset:32
	buffer_store_dword v28, off, s[0:3], 0 offset:36
	s_waitcnt vmcnt(2)
	ds_write_b64 v1, v[2:3]
.LBB48_299:
	s_or_b64 exec, exec, s[4:5]
	s_waitcnt lgkmcnt(0)
	; wave barrier
	s_waitcnt lgkmcnt(0)
	buffer_load_dword v1, off, s[0:3], 0 offset:44
	buffer_load_dword v29, off, s[0:3], 0 offset:52
	;; [unrolled: 1-line block ×26, first 2 shown]
	ds_read2_b64 v[22:25], v28 offset0:55 offset1:56
	ds_read2_b64 v[18:21], v28 offset0:57 offset1:58
	;; [unrolled: 1-line block ×6, first 2 shown]
	buffer_load_dword v209, off, s[0:3], 0 offset:136
	buffer_load_dword v210, off, s[0:3], 0 offset:140
	;; [unrolled: 1-line block ×42, first 2 shown]
	v_cmp_lt_u32_e32 vcc, 3, v0
	s_waitcnt vmcnt(62) lgkmcnt(5)
	v_mul_f32_e32 v30, v22, v1
	v_mul_f32_e32 v31, v24, v29
	s_waitcnt lgkmcnt(4)
	v_mul_f32_e32 v33, v20, v78
	s_waitcnt lgkmcnt(3)
	v_mul_f32_e32 v34, v14, v79
	v_mul_f32_e32 v35, v16, v80
	;; [unrolled: 1-line block ×3, first 2 shown]
	s_waitcnt vmcnt(61) lgkmcnt(2)
	v_mul_f32_e32 v36, v10, v82
	s_waitcnt vmcnt(60)
	v_mul_f32_e32 v37, v12, v83
	s_waitcnt vmcnt(59) lgkmcnt(1)
	v_mul_f32_e32 v38, v6, v84
	s_waitcnt vmcnt(58)
	v_fmac_f32_e32 v32, v19, v85
	s_waitcnt vmcnt(57)
	v_fmac_f32_e32 v31, v25, v176
	;; [unrolled: 2-line block ×3, first 2 shown]
	v_add_f32_e32 v30, 0, v30
	v_add_f32_e32 v30, v30, v31
	;; [unrolled: 1-line block ×3, first 2 shown]
	s_waitcnt vmcnt(52)
	v_fmac_f32_e32 v33, v21, v200
	v_fmac_f32_e32 v34, v15, v199
	v_add_f32_e32 v30, v30, v33
	v_fmac_f32_e32 v35, v17, v198
	v_add_f32_e32 v30, v30, v34
	;; [unrolled: 2-line block ×3, first 2 shown]
	s_waitcnt vmcnt(48)
	v_fmac_f32_e32 v37, v13, v204
	v_add_f32_e32 v30, v30, v36
	v_fmac_f32_e32 v38, v7, v203
	v_add_f32_e32 v30, v30, v37
	s_waitcnt vmcnt(47)
	v_mul_f32_e32 v31, v8, v205
	v_add_f32_e32 v30, v30, v38
	v_fmac_f32_e32 v31, v9, v202
	v_add_f32_e32 v30, v30, v31
	s_waitcnt vmcnt(46) lgkmcnt(0)
	v_mul_f32_e32 v31, v2, v206
	v_fmac_f32_e32 v31, v3, v201
	v_add_f32_e32 v34, v30, v31
	ds_read2_b64 v[30:33], v28 offset0:67 offset1:68
	s_waitcnt vmcnt(42)
	v_mul_f32_e32 v35, v4, v208
	v_fmac_f32_e32 v35, v5, v207
	buffer_load_dword v251, off, s[0:3], 0 offset:304
	buffer_load_dword v252, off, s[0:3], 0 offset:308
	v_add_f32_e32 v38, v34, v35
	buffer_load_dword v253, off, s[0:3], 0 offset:312
	buffer_load_dword v254, off, s[0:3], 0 offset:316
	ds_read2_b64 v[34:37], v28 offset0:69 offset1:70
	s_waitcnt vmcnt(44) lgkmcnt(1)
	v_mul_f32_e32 v39, v30, v210
	v_fmac_f32_e32 v39, v31, v209
	v_add_f32_e32 v38, v38, v39
	s_waitcnt vmcnt(42)
	v_mul_f32_e32 v39, v32, v212
	v_fmac_f32_e32 v39, v33, v211
	v_add_f32_e32 v38, v38, v39
	s_waitcnt vmcnt(40) lgkmcnt(0)
	v_mul_f32_e32 v39, v34, v214
	v_fmac_f32_e32 v39, v35, v213
	buffer_load_dword v255, off, s[0:3], 0 offset:320
	buffer_load_dword v86, off, s[0:3], 0 offset:324
	v_add_f32_e32 v42, v38, v39
	ds_read2_b64 v[38:41], v28 offset0:71 offset1:72
	s_waitcnt vmcnt(40)
	v_mul_f32_e32 v43, v36, v216
	v_fmac_f32_e32 v43, v37, v215
	v_add_f32_e32 v46, v42, v43
	ds_read2_b64 v[42:45], v28 offset0:73 offset1:74
	s_waitcnt vmcnt(38) lgkmcnt(1)
	v_mul_f32_e32 v47, v38, v218
	v_fmac_f32_e32 v47, v39, v217
	v_add_f32_e32 v46, v46, v47
	s_waitcnt vmcnt(36)
	v_mul_f32_e32 v47, v40, v220
	v_fmac_f32_e32 v47, v41, v219
	v_add_f32_e32 v46, v46, v47
	s_waitcnt vmcnt(34) lgkmcnt(0)
	v_mul_f32_e32 v47, v42, v222
	v_fmac_f32_e32 v47, v43, v221
	v_add_f32_e32 v50, v46, v47
	ds_read2_b64 v[46:49], v28 offset0:75 offset1:76
	s_waitcnt vmcnt(32)
	v_mul_f32_e32 v51, v44, v224
	v_fmac_f32_e32 v51, v45, v223
	v_add_f32_e32 v54, v50, v51
	ds_read2_b64 v[50:53], v28 offset0:77 offset1:78
	s_waitcnt vmcnt(30) lgkmcnt(1)
	v_mul_f32_e32 v55, v46, v226
	v_fmac_f32_e32 v55, v47, v225
	v_add_f32_e32 v54, v54, v55
	s_waitcnt vmcnt(28)
	v_mul_f32_e32 v55, v48, v228
	v_fmac_f32_e32 v55, v49, v227
	v_add_f32_e32 v54, v54, v55
	s_waitcnt vmcnt(26) lgkmcnt(0)
	v_mul_f32_e32 v55, v50, v230
	v_fmac_f32_e32 v55, v51, v229
	;; [unrolled: 18-line block ×4, first 2 shown]
	s_waitcnt vmcnt(8)
	v_mul_f32_e32 v75, v68, v248
	v_add_f32_e32 v74, v70, v71
	v_fmac_f32_e32 v75, v69, v247
	ds_read2_b64 v[70:73], v28 offset0:87 offset1:88
	v_add_f32_e32 v87, v74, v75
	ds_read2_b64 v[74:77], v28 offset0:89 offset1:90
	buffer_load_dword v181, off, s[0:3], 0 offset:348
	buffer_load_dword v180, off, s[0:3], 0 offset:344
	;; [unrolled: 1-line block ×16, first 2 shown]
	v_mul_f32_e32 v1, v23, v1
	v_fma_f32 v1, v22, v178, -v1
	v_mul_f32_e32 v22, v25, v29
	v_add_f32_e32 v1, 0, v1
	v_fma_f32 v22, v24, v176, -v22
	v_mul_f32_e32 v19, v19, v81
	v_add_f32_e32 v1, v1, v22
	v_fma_f32 v18, v18, v85, -v19
	v_add_f32_e32 v1, v1, v18
	v_mul_f32_e32 v18, v21, v78
	v_fma_f32 v18, v20, v200, -v18
	v_mul_f32_e32 v15, v15, v79
	v_add_f32_e32 v1, v1, v18
	v_fma_f32 v14, v14, v199, -v15
	v_add_f32_e32 v1, v1, v14
	v_mul_f32_e32 v14, v17, v80
	;; [unrolled: 6-line block ×5, first 2 shown]
	v_fma_f32 v2, v4, v207, -v2
	v_add_f32_e32 v1, v1, v2
	v_mul_f32_e32 v2, v31, v210
	v_fma_f32 v2, v30, v209, -v2
	v_add_f32_e32 v1, v1, v2
	v_mul_f32_e32 v2, v33, v212
	;; [unrolled: 3-line block ×20, first 2 shown]
	v_fma_f32 v2, v68, v247, -v2
	v_add_f32_e32 v1, v1, v2
	s_waitcnt vmcnt(22) lgkmcnt(1)
	v_mul_f32_e32 v2, v71, v250
	v_fma_f32 v2, v70, v249, -v2
	v_mul_f32_e32 v177, v70, v250
	v_add_f32_e32 v1, v1, v2
	s_waitcnt vmcnt(20)
	v_mul_f32_e32 v2, v73, v252
	v_fmac_f32_e32 v177, v71, v249
	v_fma_f32 v2, v72, v251, -v2
	v_add_f32_e32 v87, v87, v177
	v_mul_f32_e32 v177, v72, v252
	v_add_f32_e32 v176, v1, v2
	ds_read2_b64 v[2:5], v28 offset0:91 offset1:92
	ds_read2_b64 v[6:9], v28 offset0:93 offset1:94
	;; [unrolled: 1-line block ×4, first 2 shown]
	v_fmac_f32_e32 v177, v73, v251
	s_waitcnt vmcnt(18) lgkmcnt(4)
	v_mul_f32_e32 v179, v74, v254
	v_mul_f32_e32 v1, v75, v254
	s_waitcnt vmcnt(11)
	v_mov_b32_e32 v20, v185
	v_add_f32_e32 v177, v87, v177
	v_fmac_f32_e32 v179, v75, v253
	v_mul_f32_e32 v187, v76, v86
	v_fma_f32 v178, v74, v253, -v1
	v_mul_f32_e32 v1, v77, v86
	s_waitcnt lgkmcnt(3)
	v_pk_mul_f32 v[20:21], v[2:3], v[20:21] op_sel_hi:[1,0]
	v_fmac_f32_e32 v187, v77, v255
	v_fma_f32 v186, v76, v255, -v1
	v_pk_add_f32 v[18:19], v[176:177], v[178:179]
	s_waitcnt vmcnt(10)
	v_pk_fma_f32 v[22:23], v[2:3], v[184:185], v[20:21] op_sel:[0,0,1] op_sel_hi:[1,1,0] neg_lo:[0,0,1] neg_hi:[0,0,1]
	v_pk_fma_f32 v[2:3], v[2:3], v[184:185], v[20:21] op_sel:[0,0,1] op_sel_hi:[1,0,0]
	v_pk_add_f32 v[18:19], v[18:19], v[186:187]
	v_mov_b32_e32 v23, v3
	v_pk_add_f32 v[2:3], v[18:19], v[22:23]
	v_mov_b32_e32 v18, v183
	v_pk_mul_f32 v[18:19], v[4:5], v[18:19] op_sel_hi:[1,0]
	v_pk_fma_f32 v[20:21], v[4:5], v[182:183], v[18:19] op_sel:[0,0,1] op_sel_hi:[1,1,0] neg_lo:[0,0,1] neg_hi:[0,0,1]
	v_pk_fma_f32 v[4:5], v[4:5], v[182:183], v[18:19] op_sel:[0,0,1] op_sel_hi:[1,0,0]
	v_mov_b32_e32 v4, v181
	v_mov_b32_e32 v21, v5
	s_waitcnt lgkmcnt(2)
	v_pk_mul_f32 v[4:5], v[6:7], v[4:5] op_sel_hi:[1,0]
	v_pk_fma_f32 v[18:19], v[6:7], v[180:181], v[4:5] op_sel:[0,0,1] op_sel_hi:[1,1,0] neg_lo:[0,0,1] neg_hi:[0,0,1]
	v_pk_fma_f32 v[4:5], v[6:7], v[180:181], v[4:5] op_sel:[0,0,1] op_sel_hi:[1,0,0]
	s_waitcnt vmcnt(3)
	v_mov_b32_e32 v4, v195
	v_mov_b32_e32 v19, v5
	v_pk_mul_f32 v[4:5], v[8:9], v[4:5] op_sel_hi:[1,0]
	s_waitcnt vmcnt(2)
	v_pk_fma_f32 v[6:7], v[8:9], v[194:195], v[4:5] op_sel:[0,0,1] op_sel_hi:[1,1,0] neg_lo:[0,0,1] neg_hi:[0,0,1]
	v_pk_fma_f32 v[4:5], v[8:9], v[194:195], v[4:5] op_sel:[0,0,1] op_sel_hi:[1,0,0]
	v_pk_add_f32 v[2:3], v[2:3], v[20:21]
	v_mov_b32_e32 v4, v193
	v_pk_add_f32 v[2:3], v[2:3], v[18:19]
	v_mov_b32_e32 v7, v5
	s_waitcnt lgkmcnt(1)
	v_pk_mul_f32 v[4:5], v[10:11], v[4:5] op_sel_hi:[1,0]
	v_pk_add_f32 v[2:3], v[2:3], v[6:7]
	v_pk_fma_f32 v[6:7], v[10:11], v[192:193], v[4:5] op_sel:[0,0,1] op_sel_hi:[1,1,0] neg_lo:[0,0,1] neg_hi:[0,0,1]
	v_pk_fma_f32 v[4:5], v[10:11], v[192:193], v[4:5] op_sel:[0,0,1] op_sel_hi:[1,0,0]
	v_mov_b32_e32 v4, v191
	v_mov_b32_e32 v7, v5
	v_pk_mul_f32 v[4:5], v[12:13], v[4:5] op_sel_hi:[1,0]
	v_pk_add_f32 v[2:3], v[2:3], v[6:7]
	v_pk_fma_f32 v[6:7], v[12:13], v[190:191], v[4:5] op_sel:[0,0,1] op_sel_hi:[1,1,0] neg_lo:[0,0,1] neg_hi:[0,0,1]
	v_pk_fma_f32 v[4:5], v[12:13], v[190:191], v[4:5] op_sel:[0,0,1] op_sel_hi:[1,0,0]
	v_mov_b32_e32 v4, v189
	v_mov_b32_e32 v7, v5
	s_waitcnt lgkmcnt(0)
	v_pk_mul_f32 v[4:5], v[14:15], v[4:5] op_sel_hi:[1,0]
	v_pk_add_f32 v[2:3], v[2:3], v[6:7]
	v_pk_fma_f32 v[6:7], v[14:15], v[188:189], v[4:5] op_sel:[0,0,1] op_sel_hi:[1,1,0] neg_lo:[0,0,1] neg_hi:[0,0,1]
	v_pk_fma_f32 v[4:5], v[14:15], v[188:189], v[4:5] op_sel:[0,0,1] op_sel_hi:[1,0,0]
	s_waitcnt vmcnt(1)
	v_mov_b32_e32 v4, v197
	v_mov_b32_e32 v7, v5
	v_pk_mul_f32 v[4:5], v[16:17], v[4:5] op_sel_hi:[1,0]
	v_pk_add_f32 v[2:3], v[2:3], v[6:7]
	s_waitcnt vmcnt(0)
	v_pk_fma_f32 v[6:7], v[16:17], v[196:197], v[4:5] op_sel:[0,0,1] op_sel_hi:[1,1,0] neg_lo:[0,0,1] neg_hi:[0,0,1]
	v_pk_fma_f32 v[4:5], v[16:17], v[196:197], v[4:5] op_sel:[0,0,1] op_sel_hi:[1,0,0]
	v_mov_b32_e32 v7, v5
	v_pk_add_f32 v[2:3], v[2:3], v[6:7]
	v_pk_add_f32 v[2:3], v[26:27], v[2:3] neg_lo:[0,1] neg_hi:[0,1]
	buffer_store_dword v3, off, s[0:3], 0 offset:36
	buffer_store_dword v2, off, s[0:3], 0 offset:32
	s_and_saveexec_b64 s[4:5], vcc
	s_cbranch_execz .LBB48_301
; %bb.300:
	buffer_load_dword v2, off, s[0:3], 0 offset:24
	buffer_load_dword v3, off, s[0:3], 0 offset:28
	v_mov_b32_e32 v1, 0
	v_accvgpr_read_b32 v4, a24
	buffer_store_dword v1, off, s[0:3], 0 offset:24
	buffer_store_dword v1, off, s[0:3], 0 offset:28
	s_waitcnt vmcnt(2)
	ds_write_b64 v4, v[2:3]
.LBB48_301:
	s_or_b64 exec, exec, s[4:5]
	v_mov_b32_e32 v200, 0
	s_waitcnt lgkmcnt(0)
	; wave barrier
	s_waitcnt lgkmcnt(0)
	ds_read_b128 v[14:17], v200 offset:432
	ds_read_b128 v[10:13], v200 offset:448
	;; [unrolled: 1-line block ×4, first 2 shown]
	buffer_load_dword v176, off, s[0:3], 0 offset:24
	buffer_load_dword v177, off, s[0:3], 0 offset:28
	;; [unrolled: 1-line block ×18, first 2 shown]
	v_cmp_lt_u32_e32 vcc, 2, v0
	s_waitcnt vmcnt(14) lgkmcnt(3)
	v_mul_f32_e32 v1, v14, v201
	v_fmac_f32_e32 v1, v15, v178
	s_waitcnt vmcnt(12)
	v_mul_f32_e32 v18, v16, v203
	v_add_f32_e32 v1, 0, v1
	v_fmac_f32_e32 v18, v17, v180
	v_add_f32_e32 v1, v1, v18
	s_waitcnt vmcnt(10) lgkmcnt(2)
	v_mul_f32_e32 v18, v10, v205
	v_fmac_f32_e32 v18, v11, v184
	v_add_f32_e32 v1, v1, v18
	s_waitcnt vmcnt(8)
	v_mul_f32_e32 v18, v12, v207
	v_fmac_f32_e32 v18, v13, v202
	v_add_f32_e32 v1, v1, v18
	s_waitcnt vmcnt(6) lgkmcnt(1)
	v_mul_f32_e32 v18, v6, v209
	v_fmac_f32_e32 v18, v7, v204
	v_add_f32_e32 v1, v1, v18
	s_waitcnt vmcnt(4)
	v_mul_f32_e32 v18, v8, v210
	;; [unrolled: 8-line block ×3, first 2 shown]
	v_fmac_f32_e32 v18, v5, v212
	v_add_f32_e32 v1, v1, v18
	ds_read_b128 v[18:21], v200 offset:496
	buffer_load_dword v214, off, s[0:3], 0 offset:96
	buffer_load_dword v215, off, s[0:3], 0 offset:100
	;; [unrolled: 1-line block ×4, first 2 shown]
	v_mul_f32_e32 v15, v15, v201
	v_fma_f32 v14, v14, v178, -v15
	v_mul_f32_e32 v15, v17, v203
	v_add_f32_e32 v14, 0, v14
	v_fma_f32 v15, v16, v180, -v15
	v_mul_f32_e32 v11, v11, v205
	v_add_f32_e32 v14, v14, v15
	;; [unrolled: 3-line block ×7, first 2 shown]
	v_fma_f32 v3, v4, v212, -v3
	v_add_f32_e32 v2, v2, v3
	s_waitcnt vmcnt(2) lgkmcnt(0)
	v_mul_f32_e32 v22, v18, v215
	v_fmac_f32_e32 v22, v19, v214
	v_add_f32_e32 v1, v1, v22
	s_waitcnt vmcnt(0)
	v_mul_f32_e32 v22, v20, v217
	v_fmac_f32_e32 v22, v21, v216
	v_add_f32_e32 v1, v1, v22
	ds_read_b128 v[22:25], v200 offset:512
	buffer_load_dword v218, off, s[0:3], 0 offset:112
	buffer_load_dword v219, off, s[0:3], 0 offset:116
	buffer_load_dword v220, off, s[0:3], 0 offset:120
	buffer_load_dword v221, off, s[0:3], 0 offset:124
	ds_read_b128 v[30:33], v200 offset:528
	buffer_load_dword v222, off, s[0:3], 0 offset:128
	buffer_load_dword v223, off, s[0:3], 0 offset:132
	buffer_load_dword v224, off, s[0:3], 0 offset:136
	buffer_load_dword v225, off, s[0:3], 0 offset:140
	;; [unrolled: 5-line block ×9, first 2 shown]
	ds_read_b128 v[62:65], v200 offset:656
	buffer_load_dword v254, off, s[0:3], 0 offset:256
	buffer_load_dword v255, off, s[0:3], 0 offset:260
	v_mul_f32_e32 v3, v19, v215
	v_fma_f32 v3, v18, v214, -v3
	v_add_f32_e32 v2, v2, v3
	v_mul_f32_e32 v3, v21, v217
	v_fma_f32 v3, v20, v216, -v3
	v_add_f32_e32 v2, v2, v3
	s_waitcnt vmcnt(36) lgkmcnt(9)
	v_mul_f32_e32 v26, v22, v219
	v_fmac_f32_e32 v26, v23, v218
	v_add_f32_e32 v1, v1, v26
	s_waitcnt vmcnt(34)
	v_mul_f32_e32 v26, v24, v221
	v_fmac_f32_e32 v26, v25, v220
	v_add_f32_e32 v1, v1, v26
	s_waitcnt vmcnt(32) lgkmcnt(8)
	v_mul_f32_e32 v26, v30, v223
	v_fmac_f32_e32 v26, v31, v222
	v_add_f32_e32 v1, v1, v26
	s_waitcnt vmcnt(30)
	v_mul_f32_e32 v26, v32, v225
	v_fmac_f32_e32 v26, v33, v224
	;; [unrolled: 8-line block ×9, first 2 shown]
	v_add_f32_e32 v1, v1, v26
	s_waitcnt vmcnt(0) lgkmcnt(0)
	v_mul_f32_e32 v26, v62, v255
	v_fmac_f32_e32 v26, v63, v254
	v_add_f32_e32 v26, v1, v26
	buffer_load_dword v1, off, s[0:3], 0 offset:264
	buffer_load_dword v78, off, s[0:3], 0 offset:268
	ds_read_b128 v[66:69], v200 offset:672
	buffer_load_dword v79, off, s[0:3], 0 offset:272
	buffer_load_dword v80, off, s[0:3], 0 offset:276
	buffer_load_dword v81, off, s[0:3], 0 offset:280
	buffer_load_dword v82, off, s[0:3], 0 offset:284
	ds_read_b128 v[70:73], v200 offset:688
	buffer_load_dword v83, off, s[0:3], 0 offset:288
	buffer_load_dword v84, off, s[0:3], 0 offset:292
	;; [unrolled: 5-line block ×3, first 2 shown]
	buffer_load_dword v89, off, s[0:3], 0 offset:312
	buffer_load_dword v90, off, s[0:3], 0 offset:316
	v_mul_f32_e32 v3, v23, v219
	v_fma_f32 v3, v22, v218, -v3
	v_add_f32_e32 v2, v2, v3
	v_mul_f32_e32 v3, v25, v221
	v_fma_f32 v3, v24, v220, -v3
	v_add_f32_e32 v2, v2, v3
	;; [unrolled: 3-line block ×19, first 2 shown]
	s_waitcnt vmcnt(12)
	v_mul_f32_e32 v27, v64, v78
	v_fmac_f32_e32 v27, v65, v1
	v_add_f32_e32 v26, v26, v27
	s_waitcnt vmcnt(10) lgkmcnt(2)
	v_mul_f32_e32 v27, v66, v80
	v_fmac_f32_e32 v27, v67, v79
	v_add_f32_e32 v26, v26, v27
	s_waitcnt vmcnt(8)
	v_mul_f32_e32 v27, v68, v82
	v_fmac_f32_e32 v27, v69, v81
	v_add_f32_e32 v26, v26, v27
	s_waitcnt vmcnt(6) lgkmcnt(1)
	v_mul_f32_e32 v27, v70, v84
	v_fmac_f32_e32 v27, v71, v83
	v_add_f32_e32 v26, v26, v27
	;; [unrolled: 8-line block ×3, first 2 shown]
	ds_read_b128 v[26:29], v200 offset:720
	buffer_load_dword v91, off, s[0:3], 0 offset:320
	buffer_load_dword v92, off, s[0:3], 0 offset:324
	;; [unrolled: 1-line block ×18, first 2 shown]
	v_mul_f32_e32 v3, v65, v78
	v_fma_f32 v1, v64, v1, -v3
	v_add_f32_e32 v1, v2, v1
	v_mul_f32_e32 v2, v67, v80
	v_fma_f32 v2, v66, v79, -v2
	v_add_f32_e32 v1, v1, v2
	;; [unrolled: 3-line block ×5, first 2 shown]
	v_mul_f32_e32 v2, v75, v88
	v_fma_f32 v2, v74, v87, -v2
	s_waitcnt vmcnt(18)
	v_mul_f32_e32 v181, v76, v90
	v_add_f32_e32 v178, v1, v2
	v_mul_f32_e32 v1, v77, v90
	v_fmac_f32_e32 v181, v77, v89
	v_fma_f32 v180, v76, v89, -v1
	ds_read_b128 v[2:5], v200 offset:736
	ds_read_b128 v[6:9], v200 offset:752
	ds_read_b128 v[10:13], v200 offset:768
	ds_read_b64 v[14:15], v200 offset:784
	v_pk_add_f32 v[16:17], v[178:179], v[180:181]
	s_waitcnt vmcnt(15)
	v_mov_b32_e32 v18, v183
	s_waitcnt lgkmcnt(4)
	v_pk_mul_f32 v[18:19], v[28:29], v[18:19] op_sel_hi:[1,0]
	s_waitcnt vmcnt(14)
	v_pk_fma_f32 v[20:21], v[28:29], v[182:183], v[18:19] op_sel:[0,0,1] op_sel_hi:[1,1,0] neg_lo:[0,0,1] neg_hi:[0,0,1]
	v_pk_fma_f32 v[18:19], v[28:29], v[182:183], v[18:19] op_sel:[0,0,1] op_sel_hi:[1,0,0]
	s_waitcnt vmcnt(13)
	v_mov_b32_e32 v18, v199
	v_mov_b32_e32 v21, v19
	s_waitcnt lgkmcnt(3)
	v_pk_mul_f32 v[18:19], v[2:3], v[18:19] op_sel_hi:[1,0]
	v_mul_f32_e32 v185, v26, v92
	v_mul_f32_e32 v1, v27, v92
	v_fmac_f32_e32 v185, v27, v91
	v_fma_f32 v184, v26, v91, -v1
	v_pk_add_f32 v[16:17], v[16:17], v[184:185]
	v_pk_add_f32 v[16:17], v[16:17], v[20:21]
	s_waitcnt vmcnt(12)
	v_pk_fma_f32 v[20:21], v[2:3], v[198:199], v[18:19] op_sel:[0,0,1] op_sel_hi:[1,1,0] neg_lo:[0,0,1] neg_hi:[0,0,1]
	v_pk_fma_f32 v[2:3], v[2:3], v[198:199], v[18:19] op_sel:[0,0,1] op_sel_hi:[1,0,0]
	v_mov_b32_e32 v21, v3
	v_pk_add_f32 v[2:3], v[16:17], v[20:21]
	s_waitcnt vmcnt(11)
	v_mov_b32_e32 v16, v197
	v_pk_mul_f32 v[16:17], v[4:5], v[16:17] op_sel_hi:[1,0]
	s_waitcnt vmcnt(10)
	v_pk_fma_f32 v[18:19], v[4:5], v[196:197], v[16:17] op_sel:[0,0,1] op_sel_hi:[1,1,0] neg_lo:[0,0,1] neg_hi:[0,0,1]
	v_pk_fma_f32 v[4:5], v[4:5], v[196:197], v[16:17] op_sel:[0,0,1] op_sel_hi:[1,0,0]
	s_waitcnt vmcnt(9)
	v_mov_b32_e32 v4, v195
	v_mov_b32_e32 v19, v5
	s_waitcnt lgkmcnt(2)
	v_pk_mul_f32 v[4:5], v[6:7], v[4:5] op_sel_hi:[1,0]
	s_waitcnt vmcnt(8)
	v_pk_fma_f32 v[16:17], v[6:7], v[194:195], v[4:5] op_sel:[0,0,1] op_sel_hi:[1,1,0] neg_lo:[0,0,1] neg_hi:[0,0,1]
	v_pk_fma_f32 v[4:5], v[6:7], v[194:195], v[4:5] op_sel:[0,0,1] op_sel_hi:[1,0,0]
	s_waitcnt vmcnt(7)
	v_mov_b32_e32 v4, v193
	v_mov_b32_e32 v17, v5
	v_pk_mul_f32 v[4:5], v[8:9], v[4:5] op_sel_hi:[1,0]
	s_waitcnt vmcnt(6)
	v_pk_fma_f32 v[6:7], v[8:9], v[192:193], v[4:5] op_sel:[0,0,1] op_sel_hi:[1,1,0] neg_lo:[0,0,1] neg_hi:[0,0,1]
	v_pk_fma_f32 v[4:5], v[8:9], v[192:193], v[4:5] op_sel:[0,0,1] op_sel_hi:[1,0,0]
	v_pk_add_f32 v[2:3], v[2:3], v[18:19]
	s_waitcnt vmcnt(5)
	v_mov_b32_e32 v4, v191
	v_pk_add_f32 v[2:3], v[2:3], v[16:17]
	v_mov_b32_e32 v7, v5
	s_waitcnt lgkmcnt(1)
	v_pk_mul_f32 v[4:5], v[10:11], v[4:5] op_sel_hi:[1,0]
	v_pk_add_f32 v[2:3], v[2:3], v[6:7]
	s_waitcnt vmcnt(4)
	v_pk_fma_f32 v[6:7], v[10:11], v[190:191], v[4:5] op_sel:[0,0,1] op_sel_hi:[1,1,0] neg_lo:[0,0,1] neg_hi:[0,0,1]
	v_pk_fma_f32 v[4:5], v[10:11], v[190:191], v[4:5] op_sel:[0,0,1] op_sel_hi:[1,0,0]
	s_waitcnt vmcnt(3)
	v_mov_b32_e32 v4, v189
	v_mov_b32_e32 v7, v5
	v_pk_mul_f32 v[4:5], v[12:13], v[4:5] op_sel_hi:[1,0]
	v_pk_add_f32 v[2:3], v[2:3], v[6:7]
	s_waitcnt vmcnt(2)
	v_pk_fma_f32 v[6:7], v[12:13], v[188:189], v[4:5] op_sel:[0,0,1] op_sel_hi:[1,1,0] neg_lo:[0,0,1] neg_hi:[0,0,1]
	v_pk_fma_f32 v[4:5], v[12:13], v[188:189], v[4:5] op_sel:[0,0,1] op_sel_hi:[1,0,0]
	s_waitcnt vmcnt(1)
	v_mov_b32_e32 v4, v187
	v_mov_b32_e32 v7, v5
	s_waitcnt lgkmcnt(0)
	v_pk_mul_f32 v[4:5], v[14:15], v[4:5] op_sel_hi:[1,0]
	v_pk_add_f32 v[2:3], v[2:3], v[6:7]
	s_waitcnt vmcnt(0)
	v_pk_fma_f32 v[6:7], v[14:15], v[186:187], v[4:5] op_sel:[0,0,1] op_sel_hi:[1,1,0] neg_lo:[0,0,1] neg_hi:[0,0,1]
	v_pk_fma_f32 v[4:5], v[14:15], v[186:187], v[4:5] op_sel:[0,0,1] op_sel_hi:[1,0,0]
	v_mov_b32_e32 v7, v5
	v_pk_add_f32 v[2:3], v[2:3], v[6:7]
	v_pk_add_f32 v[2:3], v[176:177], v[2:3] neg_lo:[0,1] neg_hi:[0,1]
	buffer_store_dword v3, off, s[0:3], 0 offset:28
	buffer_store_dword v2, off, s[0:3], 0 offset:24
	s_and_saveexec_b64 s[4:5], vcc
	s_cbranch_execz .LBB48_303
; %bb.302:
	buffer_load_dword v2, off, s[0:3], 0 offset:16
	buffer_load_dword v3, off, s[0:3], 0 offset:20
	v_accvgpr_read_b32 v1, a24
	buffer_store_dword v200, off, s[0:3], 0 offset:16
	buffer_store_dword v200, off, s[0:3], 0 offset:20
	s_waitcnt vmcnt(2)
	ds_write_b64 v1, v[2:3]
.LBB48_303:
	s_or_b64 exec, exec, s[4:5]
	s_waitcnt lgkmcnt(0)
	; wave barrier
	s_waitcnt lgkmcnt(0)
	buffer_load_dword v78, off, s[0:3], 0 offset:28
	buffer_load_dword v79, off, s[0:3], 0 offset:36
	;; [unrolled: 1-line block ×32, first 2 shown]
	ds_read2_b64 v[22:25], v200 offset0:53 offset1:54
	ds_read2_b64 v[18:21], v200 offset0:55 offset1:56
	;; [unrolled: 1-line block ×6, first 2 shown]
	buffer_load_dword v215, off, s[0:3], 0 offset:144
	buffer_load_dword v216, off, s[0:3], 0 offset:148
	;; [unrolled: 1-line block ×32, first 2 shown]
	v_cmp_lt_u32_e32 vcc, 1, v0
	s_waitcnt vmcnt(62) lgkmcnt(5)
	v_mul_f32_e32 v31, v22, v78
	v_mul_f32_e32 v32, v24, v79
	s_waitcnt vmcnt(61) lgkmcnt(4)
	v_mul_f32_e32 v34, v20, v30
	s_waitcnt vmcnt(60) lgkmcnt(3)
	v_mul_f32_e32 v35, v14, v29
	s_waitcnt vmcnt(59)
	v_mul_f32_e32 v36, v16, v1
	s_waitcnt vmcnt(58)
	v_mul_f32_e32 v33, v18, v80
	s_waitcnt vmcnt(57) lgkmcnt(2)
	v_mul_f32_e32 v37, v10, v28
	s_waitcnt vmcnt(56)
	v_mul_f32_e32 v38, v12, v81
	s_waitcnt vmcnt(55) lgkmcnt(1)
	v_mul_f32_e32 v39, v6, v82
	s_waitcnt vmcnt(54)
	v_mul_f32_e32 v40, v8, v83
	s_waitcnt vmcnt(53)
	v_fmac_f32_e32 v33, v19, v84
	s_waitcnt vmcnt(52)
	v_fmac_f32_e32 v32, v25, v85
	;; [unrolled: 2-line block ×3, first 2 shown]
	v_add_f32_e32 v31, 0, v31
	v_add_f32_e32 v31, v31, v32
	;; [unrolled: 1-line block ×3, first 2 shown]
	s_waitcnt vmcnt(47)
	v_fmac_f32_e32 v34, v21, v90
	v_fmac_f32_e32 v35, v15, v89
	v_add_f32_e32 v31, v31, v34
	v_fmac_f32_e32 v36, v17, v88
	v_add_f32_e32 v31, v31, v35
	;; [unrolled: 2-line block ×3, first 2 shown]
	s_waitcnt vmcnt(43)
	v_fmac_f32_e32 v38, v13, v188
	v_add_f32_e32 v31, v31, v37
	v_fmac_f32_e32 v39, v7, v93
	v_add_f32_e32 v31, v31, v38
	;; [unrolled: 2-line block ×3, first 2 shown]
	s_waitcnt vmcnt(42) lgkmcnt(0)
	v_mul_f32_e32 v32, v2, v190
	v_add_f32_e32 v31, v31, v40
	v_fmac_f32_e32 v32, v3, v91
	v_add_f32_e32 v31, v31, v32
	s_waitcnt vmcnt(41)
	v_mul_f32_e32 v36, v4, v201
	ds_read2_b64 v[32:35], v200 offset0:65 offset1:66
	buffer_load_dword v247, off, s[0:3], 0 offset:272
	buffer_load_dword v248, off, s[0:3], 0 offset:276
	s_waitcnt vmcnt(36)
	v_fmac_f32_e32 v36, v5, v214
	v_add_f32_e32 v31, v31, v36
	ds_read2_b64 v[36:39], v200 offset0:67 offset1:68
	buffer_load_dword v249, off, s[0:3], 0 offset:280
	buffer_load_dword v250, off, s[0:3], 0 offset:284
	;; [unrolled: 1-line block ×6, first 2 shown]
	s_waitcnt lgkmcnt(1)
	v_mul_f32_e32 v40, v32, v209
	v_fmac_f32_e32 v40, v33, v208
	v_add_f32_e32 v31, v31, v40
	v_mul_f32_e32 v40, v34, v211
	v_fmac_f32_e32 v40, v35, v210
	v_add_f32_e32 v31, v31, v40
	s_waitcnt lgkmcnt(0)
	v_mul_f32_e32 v40, v36, v213
	v_fmac_f32_e32 v40, v37, v212
	buffer_load_dword v255, off, s[0:3], 0 offset:304
	buffer_load_dword v94, off, s[0:3], 0 offset:308
	v_add_f32_e32 v31, v31, v40
	buffer_load_dword v95, off, s[0:3], 0 offset:312
	buffer_load_dword v96, off, s[0:3], 0 offset:316
	;; [unrolled: 1-line block ×4, first 2 shown]
	ds_read2_b64 v[40:43], v200 offset0:69 offset1:70
	s_waitcnt vmcnt(44)
	v_mul_f32_e32 v44, v38, v216
	v_fmac_f32_e32 v44, v39, v215
	v_add_f32_e32 v31, v31, v44
	ds_read2_b64 v[44:47], v200 offset0:71 offset1:72
	s_waitcnt vmcnt(42) lgkmcnt(1)
	v_mul_f32_e32 v48, v40, v218
	v_fmac_f32_e32 v48, v41, v217
	v_add_f32_e32 v31, v31, v48
	s_waitcnt vmcnt(40)
	v_mul_f32_e32 v48, v42, v220
	v_fmac_f32_e32 v48, v43, v219
	v_add_f32_e32 v31, v31, v48
	s_waitcnt vmcnt(38) lgkmcnt(0)
	v_mul_f32_e32 v48, v44, v222
	v_fmac_f32_e32 v48, v45, v221
	v_add_f32_e32 v31, v31, v48
	ds_read2_b64 v[48:51], v200 offset0:73 offset1:74
	s_waitcnt vmcnt(36)
	v_mul_f32_e32 v52, v46, v224
	v_fmac_f32_e32 v52, v47, v223
	v_add_f32_e32 v31, v31, v52
	ds_read2_b64 v[52:55], v200 offset0:75 offset1:76
	s_waitcnt vmcnt(34) lgkmcnt(1)
	v_mul_f32_e32 v56, v48, v226
	v_fmac_f32_e32 v56, v49, v225
	v_add_f32_e32 v31, v31, v56
	s_waitcnt vmcnt(32)
	v_mul_f32_e32 v56, v50, v228
	v_fmac_f32_e32 v56, v51, v227
	v_add_f32_e32 v31, v31, v56
	s_waitcnt vmcnt(30) lgkmcnt(0)
	v_mul_f32_e32 v56, v52, v230
	v_fmac_f32_e32 v56, v53, v229
	v_add_f32_e32 v31, v31, v56
	;; [unrolled: 18-line block ×4, first 2 shown]
	ds_read2_b64 v[72:75], v200 offset0:85 offset1:86
	ds_read2_b64 v[176:179], v200 offset0:87 offset1:88
	v_mul_f32_e32 v23, v23, v78
	v_fma_f32 v22, v22, v86, -v23
	v_mul_f32_e32 v23, v25, v79
	v_add_f32_e32 v22, 0, v22
	s_waitcnt vmcnt(12)
	v_mul_f32_e32 v76, v70, v248
	v_fmac_f32_e32 v76, v71, v247
	v_add_f32_e32 v31, v31, v76
	v_fma_f32 v23, v24, v85, -v23
	s_waitcnt vmcnt(10) lgkmcnt(1)
	v_mul_f32_e32 v76, v72, v250
	v_fmac_f32_e32 v76, v73, v249
	v_add_f32_e32 v31, v31, v76
	s_waitcnt vmcnt(8)
	v_mul_f32_e32 v76, v74, v252
	v_fmac_f32_e32 v76, v75, v251
	v_add_f32_e32 v31, v31, v76
	s_waitcnt vmcnt(6) lgkmcnt(0)
	v_mul_f32_e32 v76, v176, v254
	v_fmac_f32_e32 v76, v177, v253
	v_add_f32_e32 v31, v31, v76
	buffer_load_dword v77, off, s[0:3], 0 offset:332
	buffer_load_dword v76, off, s[0:3], 0 offset:328
	ds_read2_b64 v[180:183], v200 offset0:89 offset1:90
	ds_read2_b64 v[184:187], v200 offset0:91 offset1:92
	buffer_load_dword v193, off, s[0:3], 0 offset:364
	buffer_load_dword v192, off, s[0:3], 0 offset:360
	;; [unrolled: 1-line block ×14, first 2 shown]
	v_mul_f32_e32 v19, v19, v80
	v_add_f32_e32 v22, v22, v23
	v_fma_f32 v18, v18, v84, -v19
	v_mul_f32_e32 v19, v21, v30
	v_add_f32_e32 v18, v22, v18
	v_fma_f32 v19, v20, v90, -v19
	;; [unrolled: 3-line block ×5, first 2 shown]
	v_add_f32_e32 v1, v1, v10
	v_mul_f32_e32 v10, v13, v81
	v_fma_f32 v10, v12, v188, -v10
	v_mul_f32_e32 v7, v7, v82
	v_add_f32_e32 v1, v1, v10
	v_fma_f32 v6, v6, v93, -v7
	v_add_f32_e32 v1, v1, v6
	v_mul_f32_e32 v6, v9, v83
	v_fma_f32 v6, v8, v92, -v6
	v_mul_f32_e32 v3, v3, v190
	v_add_f32_e32 v1, v1, v6
	v_fma_f32 v2, v2, v91, -v3
	v_add_f32_e32 v1, v1, v2
	v_mul_f32_e32 v2, v5, v201
	v_fma_f32 v2, v4, v214, -v2
	v_add_f32_e32 v1, v1, v2
	v_mul_f32_e32 v2, v33, v209
	;; [unrolled: 3-line block ×24, first 2 shown]
	v_fma_f32 v2, v176, v253, -v2
	v_add_f32_e32 v1, v1, v2
	s_waitcnt vmcnt(20)
	v_mul_f32_e32 v2, v179, v94
	v_mul_f32_e32 v99, v178, v94
	v_fma_f32 v2, v178, v255, -v2
	s_waitcnt vmcnt(15)
	v_mov_b32_e32 v16, v77
	v_fmac_f32_e32 v99, v179, v255
	s_waitcnt lgkmcnt(1)
	v_mul_f32_e32 v189, v180, v96
	v_add_f32_e32 v30, v1, v2
	v_mul_f32_e32 v1, v181, v96
	s_waitcnt lgkmcnt(0)
	v_pk_mul_f32 v[16:17], v[184:185], v[16:17] op_sel_hi:[1,0]
	v_add_f32_e32 v31, v31, v99
	v_fmac_f32_e32 v189, v181, v95
	v_mul_f32_e32 v191, v182, v98
	v_fma_f32 v188, v180, v95, -v1
	v_mul_f32_e32 v1, v183, v98
	s_waitcnt vmcnt(14)
	v_pk_fma_f32 v[18:19], v[184:185], v[76:77], v[16:17] op_sel:[0,0,1] op_sel_hi:[1,1,0] neg_lo:[0,0,1] neg_hi:[0,0,1]
	v_pk_fma_f32 v[16:17], v[184:185], v[76:77], v[16:17] op_sel:[0,0,1] op_sel_hi:[1,0,0]
	v_fmac_f32_e32 v191, v183, v97
	v_fma_f32 v190, v182, v97, -v1
	v_pk_add_f32 v[14:15], v[30:31], v[188:189]
	s_waitcnt vmcnt(7)
	v_mov_b32_e32 v16, v199
	ds_read2_b64 v[2:5], v200 offset0:93 offset1:94
	ds_read2_b64 v[6:9], v200 offset0:95 offset1:96
	;; [unrolled: 1-line block ×3, first 2 shown]
	v_pk_add_f32 v[14:15], v[14:15], v[190:191]
	v_mov_b32_e32 v19, v17
	v_pk_mul_f32 v[16:17], v[186:187], v[16:17] op_sel_hi:[1,0]
	v_pk_add_f32 v[14:15], v[14:15], v[18:19]
	s_waitcnt vmcnt(6)
	v_pk_fma_f32 v[18:19], v[186:187], v[198:199], v[16:17] op_sel:[0,0,1] op_sel_hi:[1,1,0] neg_lo:[0,0,1] neg_hi:[0,0,1]
	v_pk_fma_f32 v[16:17], v[186:187], v[198:199], v[16:17] op_sel:[0,0,1] op_sel_hi:[1,0,0]
	v_mov_b32_e32 v16, v197
	v_mov_b32_e32 v19, v17
	s_waitcnt lgkmcnt(2)
	v_pk_mul_f32 v[16:17], v[2:3], v[16:17] op_sel_hi:[1,0]
	v_pk_add_f32 v[14:15], v[14:15], v[18:19]
	v_pk_fma_f32 v[18:19], v[2:3], v[196:197], v[16:17] op_sel:[0,0,1] op_sel_hi:[1,1,0] neg_lo:[0,0,1] neg_hi:[0,0,1]
	v_pk_fma_f32 v[2:3], v[2:3], v[196:197], v[16:17] op_sel:[0,0,1] op_sel_hi:[1,0,0]
	v_mov_b32_e32 v19, v3
	v_pk_add_f32 v[2:3], v[14:15], v[18:19]
	v_mov_b32_e32 v14, v195
	v_pk_mul_f32 v[14:15], v[4:5], v[14:15] op_sel_hi:[1,0]
	v_pk_fma_f32 v[16:17], v[4:5], v[194:195], v[14:15] op_sel:[0,0,1] op_sel_hi:[1,1,0] neg_lo:[0,0,1] neg_hi:[0,0,1]
	v_pk_fma_f32 v[4:5], v[4:5], v[194:195], v[14:15] op_sel:[0,0,1] op_sel_hi:[1,0,0]
	v_mov_b32_e32 v4, v193
	v_mov_b32_e32 v17, v5
	s_waitcnt lgkmcnt(1)
	v_pk_mul_f32 v[4:5], v[6:7], v[4:5] op_sel_hi:[1,0]
	v_pk_fma_f32 v[14:15], v[6:7], v[192:193], v[4:5] op_sel:[0,0,1] op_sel_hi:[1,1,0] neg_lo:[0,0,1] neg_hi:[0,0,1]
	v_pk_fma_f32 v[4:5], v[6:7], v[192:193], v[4:5] op_sel:[0,0,1] op_sel_hi:[1,0,0]
	s_waitcnt vmcnt(1)
	v_mov_b32_e32 v4, v207
	v_mov_b32_e32 v15, v5
	v_pk_mul_f32 v[4:5], v[8:9], v[4:5] op_sel_hi:[1,0]
	s_waitcnt vmcnt(0)
	v_pk_fma_f32 v[6:7], v[8:9], v[206:207], v[4:5] op_sel:[0,0,1] op_sel_hi:[1,1,0] neg_lo:[0,0,1] neg_hi:[0,0,1]
	v_pk_fma_f32 v[4:5], v[8:9], v[206:207], v[4:5] op_sel:[0,0,1] op_sel_hi:[1,0,0]
	v_pk_add_f32 v[2:3], v[2:3], v[16:17]
	v_mov_b32_e32 v4, v205
	v_pk_add_f32 v[2:3], v[2:3], v[14:15]
	v_mov_b32_e32 v7, v5
	s_waitcnt lgkmcnt(0)
	v_pk_mul_f32 v[4:5], v[10:11], v[4:5] op_sel_hi:[1,0]
	v_pk_add_f32 v[2:3], v[2:3], v[6:7]
	v_pk_fma_f32 v[6:7], v[10:11], v[204:205], v[4:5] op_sel:[0,0,1] op_sel_hi:[1,1,0] neg_lo:[0,0,1] neg_hi:[0,0,1]
	v_pk_fma_f32 v[4:5], v[10:11], v[204:205], v[4:5] op_sel:[0,0,1] op_sel_hi:[1,0,0]
	v_mov_b32_e32 v4, v203
	v_mov_b32_e32 v7, v5
	v_pk_mul_f32 v[4:5], v[12:13], v[4:5] op_sel_hi:[1,0]
	v_pk_add_f32 v[2:3], v[2:3], v[6:7]
	v_pk_fma_f32 v[6:7], v[12:13], v[202:203], v[4:5] op_sel:[0,0,1] op_sel_hi:[1,1,0] neg_lo:[0,0,1] neg_hi:[0,0,1]
	v_pk_fma_f32 v[4:5], v[12:13], v[202:203], v[4:5] op_sel:[0,0,1] op_sel_hi:[1,0,0]
	v_mov_b32_e32 v7, v5
	v_pk_add_f32 v[2:3], v[2:3], v[6:7]
	v_pk_add_f32 v[2:3], v[26:27], v[2:3] neg_lo:[0,1] neg_hi:[0,1]
	buffer_store_dword v3, off, s[0:3], 0 offset:20
	buffer_store_dword v2, off, s[0:3], 0 offset:16
	s_and_saveexec_b64 s[4:5], vcc
	s_cbranch_execz .LBB48_305
; %bb.304:
	buffer_load_dword v2, off, s[0:3], 0 offset:8
	buffer_load_dword v3, off, s[0:3], 0 offset:12
	v_mov_b32_e32 v1, 0
	v_accvgpr_read_b32 v4, a24
	buffer_store_dword v1, off, s[0:3], 0 offset:8
	buffer_store_dword v1, off, s[0:3], 0 offset:12
	s_waitcnt vmcnt(2)
	ds_write_b64 v4, v[2:3]
.LBB48_305:
	s_or_b64 exec, exec, s[4:5]
	s_waitcnt lgkmcnt(0)
	; wave barrier
	s_waitcnt lgkmcnt(0)
	buffer_load_dword v33, off, s[0:3], 0 offset:20
	buffer_load_dword v32, off, s[0:3], 0 offset:28
	;; [unrolled: 1-line block ×48, first 2 shown]
	v_mov_b32_e32 v34, 0
	ds_read_b128 v[22:25], v34 offset:416
	ds_read_b128 v[18:21], v34 offset:432
	;; [unrolled: 1-line block ×6, first 2 shown]
	buffer_load_dword v225, off, s[0:3], 0 offset:200
	buffer_load_dword v226, off, s[0:3], 0 offset:204
	;; [unrolled: 1-line block ×12, first 2 shown]
	v_cmp_ne_u32_e32 vcc, 0, v0
	s_waitcnt vmcnt(59) lgkmcnt(5)
	v_mul_f32_e32 v36, v22, v33
	s_waitcnt vmcnt(58)
	v_mul_f32_e32 v37, v24, v32
	s_waitcnt vmcnt(57) lgkmcnt(4)
	v_mul_f32_e32 v39, v20, v31
	s_waitcnt vmcnt(56) lgkmcnt(3)
	v_mul_f32_e32 v40, v14, v30
	s_waitcnt vmcnt(55)
	v_mul_f32_e32 v41, v16, v28
	s_waitcnt vmcnt(54)
	v_mul_f32_e32 v38, v18, v1
	s_waitcnt vmcnt(53) lgkmcnt(2)
	v_mul_f32_e32 v42, v10, v29
	s_waitcnt vmcnt(52)
	v_mul_f32_e32 v43, v12, v35
	s_waitcnt vmcnt(51) lgkmcnt(1)
	v_mul_f32_e32 v44, v6, v76
	s_waitcnt vmcnt(50)
	v_mul_f32_e32 v45, v8, v78
	s_waitcnt vmcnt(49)
	v_fmac_f32_e32 v38, v19, v79
	s_waitcnt vmcnt(48)
	v_fmac_f32_e32 v37, v25, v80
	;; [unrolled: 2-line block ×3, first 2 shown]
	v_add_f32_e32 v36, 0, v36
	v_add_f32_e32 v36, v36, v37
	;; [unrolled: 1-line block ×3, first 2 shown]
	s_waitcnt vmcnt(43)
	v_fmac_f32_e32 v39, v21, v85
	v_fmac_f32_e32 v40, v15, v84
	v_add_f32_e32 v36, v36, v39
	v_fmac_f32_e32 v41, v17, v83
	v_add_f32_e32 v36, v36, v40
	;; [unrolled: 2-line block ×3, first 2 shown]
	s_waitcnt vmcnt(39)
	v_fmac_f32_e32 v43, v13, v89
	v_add_f32_e32 v36, v36, v42
	v_fmac_f32_e32 v44, v7, v88
	v_add_f32_e32 v36, v36, v43
	v_fmac_f32_e32 v45, v9, v87
	v_add_f32_e32 v36, v36, v44
	s_waitcnt vmcnt(38) lgkmcnt(0)
	v_mul_f32_e32 v37, v2, v90
	v_add_f32_e32 v36, v36, v45
	v_fmac_f32_e32 v37, v3, v86
	v_add_f32_e32 v40, v36, v37
	ds_read_b128 v[36:39], v34 offset:512
	s_waitcnt vmcnt(31)
	v_mul_f32_e32 v41, v4, v97
	s_waitcnt vmcnt(30)
	v_fmac_f32_e32 v41, v5, v98
	buffer_load_dword v237, off, s[0:3], 0 offset:248
	buffer_load_dword v238, off, s[0:3], 0 offset:252
	v_add_f32_e32 v44, v40, v41
	buffer_load_dword v239, off, s[0:3], 0 offset:256
	buffer_load_dword v240, off, s[0:3], 0 offset:260
	ds_read_b128 v[40:43], v34 offset:528
	s_waitcnt lgkmcnt(1)
	v_mul_f32_e32 v45, v36, v92
	v_fmac_f32_e32 v45, v37, v91
	v_add_f32_e32 v44, v44, v45
	v_mul_f32_e32 v45, v38, v94
	v_fmac_f32_e32 v45, v39, v93
	v_add_f32_e32 v44, v44, v45
	s_waitcnt lgkmcnt(0)
	v_mul_f32_e32 v45, v40, v96
	v_fmac_f32_e32 v45, v41, v95
	buffer_load_dword v241, off, s[0:3], 0 offset:264
	buffer_load_dword v242, off, s[0:3], 0 offset:268
	;; [unrolled: 1-line block ×10, first 2 shown]
	v_add_f32_e32 v48, v44, v45
	buffer_load_dword v251, off, s[0:3], 0 offset:304
	buffer_load_dword v252, off, s[0:3], 0 offset:308
	;; [unrolled: 1-line block ×6, first 2 shown]
	ds_read_b128 v[44:47], v34 offset:544
	s_waitcnt vmcnt(46)
	v_mul_f32_e32 v49, v42, v192
	v_fmac_f32_e32 v49, v43, v99
	v_add_f32_e32 v52, v48, v49
	ds_read_b128 v[48:51], v34 offset:560
	s_waitcnt vmcnt(44) lgkmcnt(1)
	v_mul_f32_e32 v53, v44, v212
	v_fmac_f32_e32 v53, v45, v194
	v_add_f32_e32 v52, v52, v53
	s_waitcnt vmcnt(42)
	v_mul_f32_e32 v53, v46, v214
	v_fmac_f32_e32 v53, v47, v213
	v_add_f32_e32 v52, v52, v53
	s_waitcnt vmcnt(40) lgkmcnt(0)
	v_mul_f32_e32 v53, v48, v216
	v_fmac_f32_e32 v53, v49, v215
	v_add_f32_e32 v56, v52, v53
	ds_read_b128 v[52:55], v34 offset:576
	s_waitcnt vmcnt(38)
	v_mul_f32_e32 v57, v50, v218
	v_fmac_f32_e32 v57, v51, v217
	v_add_f32_e32 v60, v56, v57
	ds_read_b128 v[56:59], v34 offset:592
	s_waitcnt vmcnt(36) lgkmcnt(1)
	v_mul_f32_e32 v61, v52, v220
	v_fmac_f32_e32 v61, v53, v219
	v_add_f32_e32 v60, v60, v61
	s_waitcnt vmcnt(34)
	v_mul_f32_e32 v61, v54, v222
	v_fmac_f32_e32 v61, v55, v221
	v_add_f32_e32 v60, v60, v61
	s_waitcnt vmcnt(32) lgkmcnt(0)
	v_mul_f32_e32 v61, v56, v224
	v_fmac_f32_e32 v61, v57, v223
	v_add_f32_e32 v64, v60, v61
	ds_read_b128 v[60:63], v34 offset:608
	s_waitcnt vmcnt(30)
	v_mul_f32_e32 v65, v58, v226
	v_fmac_f32_e32 v65, v59, v225
	v_add_f32_e32 v68, v64, v65
	ds_read_b128 v[64:67], v34 offset:624
	s_waitcnt vmcnt(28) lgkmcnt(1)
	v_mul_f32_e32 v69, v60, v228
	v_fmac_f32_e32 v69, v61, v227
	v_add_f32_e32 v68, v68, v69
	s_waitcnt vmcnt(26)
	v_mul_f32_e32 v69, v62, v230
	v_fmac_f32_e32 v69, v63, v229
	v_add_f32_e32 v68, v68, v69
	s_waitcnt vmcnt(24) lgkmcnt(0)
	v_mul_f32_e32 v69, v64, v232
	v_fmac_f32_e32 v69, v65, v231
	s_waitcnt vmcnt(22)
	v_mul_f32_e32 v73, v66, v234
	v_add_f32_e32 v72, v68, v69
	v_fmac_f32_e32 v73, v67, v233
	ds_read_b128 v[68:71], v34 offset:640
	v_add_f32_e32 v77, v72, v73
	ds_read_b128 v[72:75], v34 offset:656
	ds_read_b128 v[176:179], v34 offset:672
	;; [unrolled: 1-line block ×5, first 2 shown]
	buffer_load_dword v197, off, s[0:3], 0 offset:356
	buffer_load_dword v196, off, s[0:3], 0 offset:352
	;; [unrolled: 1-line block ×16, first 2 shown]
	v_mul_f32_e32 v23, v23, v33
	v_fma_f32 v22, v22, v81, -v23
	v_mul_f32_e32 v23, v25, v32
	v_add_f32_e32 v22, 0, v22
	v_fma_f32 v23, v24, v80, -v23
	v_mul_f32_e32 v1, v19, v1
	v_add_f32_e32 v22, v22, v23
	;; [unrolled: 3-line block ×4, first 2 shown]
	v_fma_f32 v14, v14, v84, -v15
	v_add_f32_e32 v1, v1, v14
	v_mul_f32_e32 v14, v17, v28
	v_fma_f32 v14, v16, v83, -v14
	v_mul_f32_e32 v11, v11, v29
	v_add_f32_e32 v1, v1, v14
	v_fma_f32 v10, v10, v82, -v11
	v_add_f32_e32 v1, v1, v10
	v_mul_f32_e32 v10, v13, v35
	v_fma_f32 v10, v12, v89, -v10
	v_mul_f32_e32 v7, v7, v76
	v_add_f32_e32 v1, v1, v10
	;; [unrolled: 6-line block ×3, first 2 shown]
	v_fma_f32 v2, v2, v86, -v3
	v_add_f32_e32 v1, v1, v2
	v_mul_f32_e32 v2, v5, v97
	v_fma_f32 v2, v4, v98, -v2
	v_add_f32_e32 v1, v1, v2
	v_mul_f32_e32 v2, v37, v92
	;; [unrolled: 3-line block ×17, first 2 shown]
	v_fma_f32 v2, v66, v233, -v2
	v_add_f32_e32 v1, v1, v2
	s_waitcnt vmcnt(36) lgkmcnt(5)
	v_mul_f32_e32 v2, v69, v236
	v_mul_f32_e32 v101, v68, v236
	v_fma_f32 v2, v68, v235, -v2
	v_fmac_f32_e32 v101, v69, v235
	v_add_f32_e32 v1, v1, v2
	s_waitcnt vmcnt(34)
	v_mul_f32_e32 v2, v71, v238
	v_add_f32_e32 v77, v77, v101
	v_mul_f32_e32 v101, v70, v238
	v_fma_f32 v2, v70, v237, -v2
	v_fmac_f32_e32 v101, v71, v237
	v_add_f32_e32 v1, v1, v2
	s_waitcnt vmcnt(32) lgkmcnt(4)
	v_mul_f32_e32 v2, v73, v240
	v_add_f32_e32 v77, v77, v101
	v_mul_f32_e32 v101, v72, v240
	v_fma_f32 v2, v72, v239, -v2
	v_fmac_f32_e32 v101, v73, v239
	v_add_f32_e32 v1, v1, v2
	s_waitcnt vmcnt(30)
	v_mul_f32_e32 v2, v75, v242
	v_add_f32_e32 v77, v77, v101
	v_mul_f32_e32 v101, v74, v242
	v_fma_f32 v2, v74, v241, -v2
	v_fmac_f32_e32 v101, v75, v241
	v_add_f32_e32 v1, v1, v2
	s_waitcnt vmcnt(28) lgkmcnt(3)
	v_mul_f32_e32 v2, v177, v244
	v_add_f32_e32 v77, v77, v101
	;; [unrolled: 14-line block ×4, first 2 shown]
	v_mul_f32_e32 v101, v184, v252
	v_fma_f32 v2, v184, v251, -v2
	s_waitcnt vmcnt(9)
	v_mov_b32_e32 v18, v203
	v_fmac_f32_e32 v101, v185, v251
	v_mul_f32_e32 v193, v186, v254
	v_add_f32_e32 v76, v1, v2
	v_mul_f32_e32 v1, v187, v254
	s_waitcnt lgkmcnt(0)
	v_pk_mul_f32 v[18:19], v[190:191], v[18:19] op_sel_hi:[1,0]
	v_add_f32_e32 v77, v77, v101
	v_fmac_f32_e32 v193, v187, v253
	v_mul_f32_e32 v195, v188, v100
	v_fma_f32 v192, v186, v253, -v1
	v_mul_f32_e32 v1, v189, v100
	ds_read_b128 v[2:5], v34 offset:736
	ds_read_b128 v[6:9], v34 offset:752
	;; [unrolled: 1-line block ×3, first 2 shown]
	ds_read_b64 v[14:15], v34 offset:784
	s_waitcnt vmcnt(8)
	v_pk_fma_f32 v[20:21], v[190:191], v[202:203], v[18:19] op_sel:[0,0,1] op_sel_hi:[1,1,0] neg_lo:[0,0,1] neg_hi:[0,0,1]
	v_pk_fma_f32 v[18:19], v[190:191], v[202:203], v[18:19] op_sel:[0,0,1] op_sel_hi:[1,0,0]
	v_fmac_f32_e32 v195, v189, v255
	v_fma_f32 v194, v188, v255, -v1
	v_pk_add_f32 v[16:17], v[76:77], v[192:193]
	v_mov_b32_e32 v18, v201
	v_pk_add_f32 v[16:17], v[16:17], v[194:195]
	v_mov_b32_e32 v21, v19
	s_waitcnt lgkmcnt(3)
	v_pk_mul_f32 v[18:19], v[2:3], v[18:19] op_sel_hi:[1,0]
	v_pk_add_f32 v[16:17], v[16:17], v[20:21]
	v_pk_fma_f32 v[20:21], v[2:3], v[200:201], v[18:19] op_sel:[0,0,1] op_sel_hi:[1,1,0] neg_lo:[0,0,1] neg_hi:[0,0,1]
	v_pk_fma_f32 v[2:3], v[2:3], v[200:201], v[18:19] op_sel:[0,0,1] op_sel_hi:[1,0,0]
	v_mov_b32_e32 v21, v3
	v_pk_add_f32 v[2:3], v[16:17], v[20:21]
	v_mov_b32_e32 v16, v199
	v_pk_mul_f32 v[16:17], v[4:5], v[16:17] op_sel_hi:[1,0]
	v_pk_fma_f32 v[18:19], v[4:5], v[198:199], v[16:17] op_sel:[0,0,1] op_sel_hi:[1,1,0] neg_lo:[0,0,1] neg_hi:[0,0,1]
	v_pk_fma_f32 v[4:5], v[4:5], v[198:199], v[16:17] op_sel:[0,0,1] op_sel_hi:[1,0,0]
	v_mov_b32_e32 v4, v197
	v_mov_b32_e32 v19, v5
	s_waitcnt lgkmcnt(2)
	v_pk_mul_f32 v[4:5], v[6:7], v[4:5] op_sel_hi:[1,0]
	v_pk_fma_f32 v[16:17], v[6:7], v[196:197], v[4:5] op_sel:[0,0,1] op_sel_hi:[1,1,0] neg_lo:[0,0,1] neg_hi:[0,0,1]
	v_pk_fma_f32 v[4:5], v[6:7], v[196:197], v[4:5] op_sel:[0,0,1] op_sel_hi:[1,0,0]
	s_waitcnt vmcnt(1)
	v_mov_b32_e32 v4, v211
	v_mov_b32_e32 v17, v5
	v_pk_mul_f32 v[4:5], v[8:9], v[4:5] op_sel_hi:[1,0]
	s_waitcnt vmcnt(0)
	v_pk_fma_f32 v[6:7], v[8:9], v[210:211], v[4:5] op_sel:[0,0,1] op_sel_hi:[1,1,0] neg_lo:[0,0,1] neg_hi:[0,0,1]
	v_pk_fma_f32 v[4:5], v[8:9], v[210:211], v[4:5] op_sel:[0,0,1] op_sel_hi:[1,0,0]
	v_pk_add_f32 v[2:3], v[2:3], v[18:19]
	v_mov_b32_e32 v4, v209
	v_pk_add_f32 v[2:3], v[2:3], v[16:17]
	v_mov_b32_e32 v7, v5
	s_waitcnt lgkmcnt(1)
	v_pk_mul_f32 v[4:5], v[10:11], v[4:5] op_sel_hi:[1,0]
	v_pk_add_f32 v[2:3], v[2:3], v[6:7]
	v_pk_fma_f32 v[6:7], v[10:11], v[208:209], v[4:5] op_sel:[0,0,1] op_sel_hi:[1,1,0] neg_lo:[0,0,1] neg_hi:[0,0,1]
	v_pk_fma_f32 v[4:5], v[10:11], v[208:209], v[4:5] op_sel:[0,0,1] op_sel_hi:[1,0,0]
	v_mov_b32_e32 v4, v207
	v_mov_b32_e32 v7, v5
	v_pk_mul_f32 v[4:5], v[12:13], v[4:5] op_sel_hi:[1,0]
	v_pk_add_f32 v[2:3], v[2:3], v[6:7]
	v_pk_fma_f32 v[6:7], v[12:13], v[206:207], v[4:5] op_sel:[0,0,1] op_sel_hi:[1,1,0] neg_lo:[0,0,1] neg_hi:[0,0,1]
	v_pk_fma_f32 v[4:5], v[12:13], v[206:207], v[4:5] op_sel:[0,0,1] op_sel_hi:[1,0,0]
	v_mov_b32_e32 v4, v205
	v_mov_b32_e32 v7, v5
	s_waitcnt lgkmcnt(0)
	v_pk_mul_f32 v[4:5], v[14:15], v[4:5] op_sel_hi:[1,0]
	v_pk_add_f32 v[2:3], v[2:3], v[6:7]
	v_pk_fma_f32 v[6:7], v[14:15], v[204:205], v[4:5] op_sel:[0,0,1] op_sel_hi:[1,1,0] neg_lo:[0,0,1] neg_hi:[0,0,1]
	v_pk_fma_f32 v[4:5], v[14:15], v[204:205], v[4:5] op_sel:[0,0,1] op_sel_hi:[1,0,0]
	v_mov_b32_e32 v7, v5
	v_pk_add_f32 v[2:3], v[2:3], v[6:7]
	v_pk_add_f32 v[2:3], v[26:27], v[2:3] neg_lo:[0,1] neg_hi:[0,1]
	buffer_store_dword v3, off, s[0:3], 0 offset:12
	buffer_store_dword v2, off, s[0:3], 0 offset:8
	s_and_saveexec_b64 s[4:5], vcc
	s_cbranch_execz .LBB48_307
; %bb.306:
	buffer_load_dword v0, off, s[0:3], 0
	buffer_load_dword v1, off, s[0:3], 0 offset:4
	v_accvgpr_read_b32 v2, a24
	buffer_store_dword v34, off, s[0:3], 0
	buffer_store_dword v34, off, s[0:3], 0 offset:4
	s_waitcnt vmcnt(2)
	ds_write_b64 v2, v[0:1]
.LBB48_307:
	s_or_b64 exec, exec, s[4:5]
	s_waitcnt lgkmcnt(0)
	; wave barrier
	s_waitcnt lgkmcnt(0)
	buffer_load_dword v40, off, s[0:3], 0 offset:12
	buffer_load_dword v39, off, s[0:3], 0 offset:20
	;; [unrolled: 1-line block ×30, first 2 shown]
	buffer_load_dword v32, off, s[0:3], 0
	buffer_load_dword v33, off, s[0:3], 0 offset:4
	ds_read2_b64 v[20:23], v34 offset0:51 offset1:52
	ds_read2_b64 v[16:19], v34 offset0:53 offset1:54
	;; [unrolled: 1-line block ×6, first 2 shown]
	buffer_load_dword v99, off, s[0:3], 0 offset:128
	buffer_load_dword v100, off, s[0:3], 0 offset:132
	;; [unrolled: 1-line block ×26, first 2 shown]
	s_and_b64 vcc, exec, s[20:21]
	s_waitcnt vmcnt(57) lgkmcnt(5)
	v_mul_f32_e32 v24, v20, v40
	s_waitcnt vmcnt(56)
	v_mul_f32_e32 v25, v22, v39
	s_waitcnt vmcnt(55) lgkmcnt(4)
	v_mul_f32_e32 v27, v18, v38
	s_waitcnt vmcnt(54) lgkmcnt(3)
	v_mul_f32_e32 v28, v12, v37
	s_waitcnt vmcnt(53)
	v_mul_f32_e32 v29, v14, v35
	s_waitcnt vmcnt(52)
	v_mul_f32_e32 v26, v16, v41
	s_waitcnt vmcnt(51) lgkmcnt(2)
	v_mul_f32_e32 v30, v8, v36
	s_waitcnt vmcnt(50)
	v_mul_f32_e32 v31, v10, v42
	s_waitcnt vmcnt(49) lgkmcnt(1)
	;; [unrolled: 4-line block ×3, first 2 shown]
	v_mul_f32_e32 v45, v0, v79
	s_waitcnt vmcnt(46)
	v_fmac_f32_e32 v26, v17, v80
	s_waitcnt vmcnt(45)
	v_fmac_f32_e32 v25, v23, v81
	;; [unrolled: 2-line block ×3, first 2 shown]
	v_add_f32_e32 v24, 0, v24
	v_add_f32_e32 v24, v24, v25
	;; [unrolled: 1-line block ×3, first 2 shown]
	s_waitcnt vmcnt(40)
	v_fmac_f32_e32 v27, v19, v86
	v_fmac_f32_e32 v28, v13, v85
	v_add_f32_e32 v24, v24, v27
	v_fmac_f32_e32 v29, v15, v84
	v_add_f32_e32 v24, v24, v28
	;; [unrolled: 2-line block ×3, first 2 shown]
	s_waitcnt vmcnt(36)
	v_fmac_f32_e32 v31, v11, v90
	v_add_f32_e32 v24, v24, v30
	v_fmac_f32_e32 v43, v5, v89
	v_add_f32_e32 v24, v24, v31
	;; [unrolled: 2-line block ×4, first 2 shown]
	s_waitcnt vmcnt(30)
	v_mul_f32_e32 v25, v2, v96
	v_add_f32_e32 v24, v24, v45
	s_waitcnt vmcnt(29)
	v_fmac_f32_e32 v25, v3, v97
	v_add_f32_e32 v43, v24, v25
	ds_read2_b64 v[24:27], v34 offset0:63 offset1:64
	buffer_load_dword v232, off, s[0:3], 0 offset:232
	buffer_load_dword v233, off, s[0:3], 0 offset:236
	ds_read2_b64 v[28:31], v34 offset0:65 offset1:66
	buffer_load_dword v234, off, s[0:3], 0 offset:240
	buffer_load_dword v235, off, s[0:3], 0 offset:244
	;; [unrolled: 1-line block ×4, first 2 shown]
	s_waitcnt vmcnt(34) lgkmcnt(1)
	v_mul_f32_e32 v44, v24, v98
	v_fmac_f32_e32 v44, v25, v95
	v_add_f32_e32 v43, v43, v44
	v_mul_f32_e32 v44, v26, v92
	v_fmac_f32_e32 v44, v27, v91
	v_add_f32_e32 v43, v43, v44
	s_waitcnt lgkmcnt(0)
	v_mul_f32_e32 v44, v28, v94
	v_fmac_f32_e32 v44, v29, v93
	buffer_load_dword v238, off, s[0:3], 0 offset:256
	buffer_load_dword v239, off, s[0:3], 0 offset:260
	;; [unrolled: 1-line block ×8, first 2 shown]
	v_add_f32_e32 v43, v43, v44
	buffer_load_dword v246, off, s[0:3], 0 offset:288
	buffer_load_dword v247, off, s[0:3], 0 offset:292
	;; [unrolled: 1-line block ×4, first 2 shown]
	ds_read2_b64 v[44:47], v34 offset0:67 offset1:68
	s_waitcnt vmcnt(42)
	v_mul_f32_e32 v48, v30, v100
	v_fmac_f32_e32 v48, v31, v99
	buffer_load_dword v250, off, s[0:3], 0 offset:304
	buffer_load_dword v251, off, s[0:3], 0 offset:308
	v_add_f32_e32 v43, v43, v48
	buffer_load_dword v252, off, s[0:3], 0 offset:312
	buffer_load_dword v253, off, s[0:3], 0 offset:316
	ds_read2_b64 v[48:51], v34 offset0:69 offset1:70
	s_waitcnt vmcnt(44) lgkmcnt(1)
	v_mul_f32_e32 v52, v44, v198
	v_fmac_f32_e32 v52, v45, v101
	v_add_f32_e32 v43, v43, v52
	s_waitcnt vmcnt(42)
	v_mul_f32_e32 v52, v46, v211
	v_fmac_f32_e32 v52, v47, v210
	v_add_f32_e32 v43, v43, v52
	s_waitcnt vmcnt(40) lgkmcnt(0)
	v_mul_f32_e32 v52, v48, v213
	v_fmac_f32_e32 v52, v49, v212
	buffer_load_dword v254, off, s[0:3], 0 offset:320
	buffer_load_dword v255, off, s[0:3], 0 offset:324
	v_add_f32_e32 v43, v43, v52
	ds_read2_b64 v[52:55], v34 offset0:71 offset1:72
	s_waitcnt vmcnt(40)
	v_mul_f32_e32 v56, v50, v215
	v_fmac_f32_e32 v56, v51, v214
	v_add_f32_e32 v43, v43, v56
	ds_read2_b64 v[56:59], v34 offset0:73 offset1:74
	s_waitcnt vmcnt(38) lgkmcnt(1)
	v_mul_f32_e32 v60, v52, v217
	v_fmac_f32_e32 v60, v53, v216
	v_add_f32_e32 v43, v43, v60
	s_waitcnt vmcnt(36)
	v_mul_f32_e32 v60, v54, v219
	v_fmac_f32_e32 v60, v55, v218
	v_add_f32_e32 v43, v43, v60
	s_waitcnt vmcnt(34) lgkmcnt(0)
	v_mul_f32_e32 v60, v56, v221
	v_fmac_f32_e32 v60, v57, v220
	v_add_f32_e32 v43, v43, v60
	ds_read2_b64 v[60:63], v34 offset0:75 offset1:76
	s_waitcnt vmcnt(32)
	v_mul_f32_e32 v64, v58, v223
	v_fmac_f32_e32 v64, v59, v222
	v_add_f32_e32 v43, v43, v64
	ds_read2_b64 v[64:67], v34 offset0:77 offset1:78
	s_waitcnt vmcnt(30) lgkmcnt(1)
	v_mul_f32_e32 v68, v60, v225
	v_fmac_f32_e32 v68, v61, v224
	v_add_f32_e32 v43, v43, v68
	s_waitcnt vmcnt(28)
	v_mul_f32_e32 v68, v62, v227
	v_fmac_f32_e32 v68, v63, v226
	v_add_f32_e32 v43, v43, v68
	s_waitcnt vmcnt(26) lgkmcnt(0)
	v_mul_f32_e32 v68, v64, v229
	v_fmac_f32_e32 v68, v65, v228
	s_waitcnt vmcnt(24)
	v_mul_f32_e32 v72, v66, v231
	v_add_f32_e32 v43, v43, v68
	v_fmac_f32_e32 v72, v67, v230
	ds_read2_b64 v[68:71], v34 offset0:79 offset1:80
	v_add_f32_e32 v43, v43, v72
	ds_read2_b64 v[72:75], v34 offset0:81 offset1:82
	ds_read2_b64 v[176:179], v34 offset0:83 offset1:84
	;; [unrolled: 1-line block ×5, first 2 shown]
	buffer_load_dword v193, off, s[0:3], 0 offset:348
	buffer_load_dword v192, off, s[0:3], 0 offset:344
	;; [unrolled: 1-line block ×6, first 2 shown]
	v_mul_f32_e32 v21, v21, v40
	buffer_load_dword v201, off, s[0:3], 0 offset:380
	buffer_load_dword v200, off, s[0:3], 0 offset:376
	;; [unrolled: 1-line block ×10, first 2 shown]
	v_fma_f32 v20, v20, v82, -v21
	v_mul_f32_e32 v21, v23, v39
	v_add_f32_e32 v20, 0, v20
	v_fma_f32 v21, v22, v81, -v21
	v_mul_f32_e32 v17, v17, v41
	v_add_f32_e32 v20, v20, v21
	v_fma_f32 v16, v16, v80, -v17
	v_mul_f32_e32 v17, v19, v38
	v_add_f32_e32 v16, v20, v16
	v_fma_f32 v17, v18, v86, -v17
	v_mul_f32_e32 v13, v13, v37
	v_add_f32_e32 v16, v16, v17
	v_fma_f32 v12, v12, v85, -v13
	v_mul_f32_e32 v13, v15, v35
	v_add_f32_e32 v12, v16, v12
	v_fma_f32 v13, v14, v84, -v13
	v_mul_f32_e32 v9, v9, v36
	v_add_f32_e32 v12, v12, v13
	v_fma_f32 v8, v8, v83, -v9
	v_mul_f32_e32 v9, v11, v42
	v_add_f32_e32 v8, v12, v8
	v_fma_f32 v9, v10, v90, -v9
	v_mul_f32_e32 v5, v5, v76
	v_add_f32_e32 v8, v8, v9
	v_fma_f32 v4, v4, v89, -v5
	v_mul_f32_e32 v5, v7, v78
	v_add_f32_e32 v4, v8, v4
	v_fma_f32 v5, v6, v88, -v5
	v_mul_f32_e32 v1, v1, v79
	v_add_f32_e32 v4, v4, v5
	v_fma_f32 v0, v0, v87, -v1
	v_mul_f32_e32 v1, v3, v96
	v_add_f32_e32 v0, v4, v0
	v_fma_f32 v1, v2, v97, -v1
	v_add_f32_e32 v0, v0, v1
	v_mul_f32_e32 v1, v25, v98
	v_fma_f32 v1, v24, v95, -v1
	v_add_f32_e32 v0, v0, v1
	v_mul_f32_e32 v1, v27, v92
	v_fma_f32 v1, v26, v91, -v1
	v_add_f32_e32 v0, v0, v1
	v_mul_f32_e32 v1, v29, v94
	v_fma_f32 v1, v28, v93, -v1
	v_add_f32_e32 v0, v0, v1
	v_mul_f32_e32 v1, v31, v100
	v_fma_f32 v1, v30, v99, -v1
	v_add_f32_e32 v0, v0, v1
	v_mul_f32_e32 v1, v45, v198
	v_fma_f32 v1, v44, v101, -v1
	v_add_f32_e32 v0, v0, v1
	v_mul_f32_e32 v1, v47, v211
	v_fma_f32 v1, v46, v210, -v1
	v_add_f32_e32 v0, v0, v1
	v_mul_f32_e32 v1, v49, v213
	v_fma_f32 v1, v48, v212, -v1
	v_add_f32_e32 v0, v0, v1
	v_mul_f32_e32 v1, v51, v215
	v_fma_f32 v1, v50, v214, -v1
	v_add_f32_e32 v0, v0, v1
	v_mul_f32_e32 v1, v53, v217
	v_fma_f32 v1, v52, v216, -v1
	v_add_f32_e32 v0, v0, v1
	v_mul_f32_e32 v1, v55, v219
	v_fma_f32 v1, v54, v218, -v1
	v_add_f32_e32 v0, v0, v1
	v_mul_f32_e32 v1, v57, v221
	v_fma_f32 v1, v56, v220, -v1
	v_add_f32_e32 v0, v0, v1
	v_mul_f32_e32 v1, v59, v223
	v_fma_f32 v1, v58, v222, -v1
	v_add_f32_e32 v0, v0, v1
	v_mul_f32_e32 v1, v61, v225
	v_fma_f32 v1, v60, v224, -v1
	v_add_f32_e32 v0, v0, v1
	v_mul_f32_e32 v1, v63, v227
	v_fma_f32 v1, v62, v226, -v1
	v_add_f32_e32 v0, v0, v1
	v_mul_f32_e32 v1, v65, v229
	v_fma_f32 v1, v64, v228, -v1
	v_add_f32_e32 v0, v0, v1
	v_mul_f32_e32 v1, v67, v231
	v_fma_f32 v1, v66, v230, -v1
	v_add_f32_e32 v0, v0, v1
	s_waitcnt vmcnt(38) lgkmcnt(5)
	v_mul_f32_e32 v1, v69, v233
	v_fma_f32 v1, v68, v232, -v1
	v_add_f32_e32 v0, v0, v1
	s_waitcnt vmcnt(36)
	v_mul_f32_e32 v1, v71, v235
	v_mul_f32_e32 v77, v68, v233
	v_fma_f32 v1, v70, v234, -v1
	v_fmac_f32_e32 v77, v69, v232
	v_add_f32_e32 v0, v0, v1
	s_waitcnt vmcnt(34) lgkmcnt(4)
	v_mul_f32_e32 v1, v73, v237
	v_add_f32_e32 v43, v43, v77
	v_mul_f32_e32 v77, v70, v235
	v_fma_f32 v1, v72, v236, -v1
	v_fmac_f32_e32 v77, v71, v234
	v_add_f32_e32 v0, v0, v1
	s_waitcnt vmcnt(32)
	v_mul_f32_e32 v1, v75, v239
	v_add_f32_e32 v43, v43, v77
	v_mul_f32_e32 v77, v72, v237
	v_fma_f32 v1, v74, v238, -v1
	v_fmac_f32_e32 v77, v73, v236
	v_add_f32_e32 v0, v0, v1
	s_waitcnt vmcnt(30) lgkmcnt(3)
	v_mul_f32_e32 v1, v177, v241
	v_add_f32_e32 v43, v43, v77
	v_mul_f32_e32 v77, v74, v239
	v_fma_f32 v1, v176, v240, -v1
	v_fmac_f32_e32 v77, v75, v238
	v_add_f32_e32 v0, v0, v1
	s_waitcnt vmcnt(28)
	v_mul_f32_e32 v1, v179, v243
	v_add_f32_e32 v43, v43, v77
	;; [unrolled: 14-line block ×4, first 2 shown]
	v_mul_f32_e32 v77, v184, v249
	v_fma_f32 v1, v186, v250, -v1
	v_fmac_f32_e32 v77, v185, v248
	v_add_f32_e32 v42, v0, v1
	s_waitcnt vmcnt(18) lgkmcnt(0)
	v_mul_f32_e32 v0, v189, v253
	v_add_f32_e32 v43, v43, v77
	v_mul_f32_e32 v77, v186, v251
	v_fma_f32 v76, v188, v252, -v0
	s_waitcnt vmcnt(16)
	v_mul_f32_e32 v0, v191, v255
	v_fmac_f32_e32 v77, v187, v250
	v_fma_f32 v198, v190, v254, -v0
	ds_read2_b64 v[0:3], v34 offset0:91 offset1:92
	ds_read2_b64 v[4:7], v34 offset0:93 offset1:94
	;; [unrolled: 1-line block ×4, first 2 shown]
	v_add_f32_e32 v43, v43, v77
	v_mul_f32_e32 v77, v188, v253
	s_waitcnt vmcnt(11)
	v_mov_b32_e32 v18, v197
	v_fmac_f32_e32 v77, v189, v252
	v_mul_f32_e32 v199, v190, v255
	s_waitcnt lgkmcnt(3)
	v_pk_mul_f32 v[18:19], v[0:1], v[18:19] op_sel_hi:[1,0]
	v_fmac_f32_e32 v199, v191, v254
	v_pk_add_f32 v[16:17], v[42:43], v[76:77]
	s_waitcnt vmcnt(10)
	v_pk_fma_f32 v[20:21], v[0:1], v[196:197], v[18:19] op_sel:[0,0,1] op_sel_hi:[1,1,0] neg_lo:[0,0,1] neg_hi:[0,0,1]
	v_pk_fma_f32 v[0:1], v[0:1], v[196:197], v[18:19] op_sel:[0,0,1] op_sel_hi:[1,0,0]
	v_pk_add_f32 v[16:17], v[16:17], v[198:199]
	v_mov_b32_e32 v21, v1
	v_pk_add_f32 v[0:1], v[16:17], v[20:21]
	v_mov_b32_e32 v16, v195
	v_pk_mul_f32 v[16:17], v[2:3], v[16:17] op_sel_hi:[1,0]
	v_pk_fma_f32 v[18:19], v[2:3], v[194:195], v[16:17] op_sel:[0,0,1] op_sel_hi:[1,1,0] neg_lo:[0,0,1] neg_hi:[0,0,1]
	v_pk_fma_f32 v[2:3], v[2:3], v[194:195], v[16:17] op_sel:[0,0,1] op_sel_hi:[1,0,0]
	v_mov_b32_e32 v2, v193
	v_mov_b32_e32 v19, v3
	s_waitcnt lgkmcnt(2)
	v_pk_mul_f32 v[2:3], v[4:5], v[2:3] op_sel_hi:[1,0]
	v_pk_fma_f32 v[16:17], v[4:5], v[192:193], v[2:3] op_sel:[0,0,1] op_sel_hi:[1,1,0] neg_lo:[0,0,1] neg_hi:[0,0,1]
	v_pk_fma_f32 v[2:3], v[4:5], v[192:193], v[2:3] op_sel:[0,0,1] op_sel_hi:[1,0,0]
	s_waitcnt vmcnt(3)
	v_mov_b32_e32 v2, v207
	v_mov_b32_e32 v17, v3
	v_pk_mul_f32 v[2:3], v[6:7], v[2:3] op_sel_hi:[1,0]
	s_waitcnt vmcnt(2)
	v_pk_fma_f32 v[4:5], v[6:7], v[206:207], v[2:3] op_sel:[0,0,1] op_sel_hi:[1,1,0] neg_lo:[0,0,1] neg_hi:[0,0,1]
	v_pk_fma_f32 v[2:3], v[6:7], v[206:207], v[2:3] op_sel:[0,0,1] op_sel_hi:[1,0,0]
	v_pk_add_f32 v[0:1], v[0:1], v[18:19]
	v_mov_b32_e32 v2, v205
	v_pk_add_f32 v[0:1], v[0:1], v[16:17]
	v_mov_b32_e32 v5, v3
	s_waitcnt lgkmcnt(1)
	v_pk_mul_f32 v[2:3], v[8:9], v[2:3] op_sel_hi:[1,0]
	v_pk_add_f32 v[0:1], v[0:1], v[4:5]
	v_pk_fma_f32 v[4:5], v[8:9], v[204:205], v[2:3] op_sel:[0,0,1] op_sel_hi:[1,1,0] neg_lo:[0,0,1] neg_hi:[0,0,1]
	v_pk_fma_f32 v[2:3], v[8:9], v[204:205], v[2:3] op_sel:[0,0,1] op_sel_hi:[1,0,0]
	v_mov_b32_e32 v2, v203
	v_mov_b32_e32 v5, v3
	v_pk_mul_f32 v[2:3], v[10:11], v[2:3] op_sel_hi:[1,0]
	v_pk_add_f32 v[0:1], v[0:1], v[4:5]
	v_pk_fma_f32 v[4:5], v[10:11], v[202:203], v[2:3] op_sel:[0,0,1] op_sel_hi:[1,1,0] neg_lo:[0,0,1] neg_hi:[0,0,1]
	v_pk_fma_f32 v[2:3], v[10:11], v[202:203], v[2:3] op_sel:[0,0,1] op_sel_hi:[1,0,0]
	v_mov_b32_e32 v2, v201
	v_mov_b32_e32 v5, v3
	s_waitcnt lgkmcnt(0)
	v_pk_mul_f32 v[2:3], v[12:13], v[2:3] op_sel_hi:[1,0]
	v_pk_add_f32 v[0:1], v[0:1], v[4:5]
	v_pk_fma_f32 v[4:5], v[12:13], v[200:201], v[2:3] op_sel:[0,0,1] op_sel_hi:[1,1,0] neg_lo:[0,0,1] neg_hi:[0,0,1]
	v_pk_fma_f32 v[2:3], v[12:13], v[200:201], v[2:3] op_sel:[0,0,1] op_sel_hi:[1,0,0]
	s_waitcnt vmcnt(1)
	v_mov_b32_e32 v2, v209
	v_mov_b32_e32 v5, v3
	v_pk_mul_f32 v[2:3], v[14:15], v[2:3] op_sel_hi:[1,0]
	v_pk_add_f32 v[0:1], v[0:1], v[4:5]
	s_waitcnt vmcnt(0)
	v_pk_fma_f32 v[4:5], v[14:15], v[208:209], v[2:3] op_sel:[0,0,1] op_sel_hi:[1,1,0] neg_lo:[0,0,1] neg_hi:[0,0,1]
	v_pk_fma_f32 v[2:3], v[14:15], v[208:209], v[2:3] op_sel:[0,0,1] op_sel_hi:[1,0,0]
	v_mov_b32_e32 v5, v3
	v_pk_add_f32 v[0:1], v[0:1], v[4:5]
	v_pk_add_f32 v[0:1], v[32:33], v[0:1] neg_lo:[0,1] neg_hi:[0,1]
	buffer_store_dword v1, off, s[0:3], 0 offset:4
	buffer_store_dword v0, off, s[0:3], 0
	s_cbranch_vccz .LBB48_405
; %bb.308:
	v_pk_mov_b32 v[0:1], s[10:11], s[10:11] op_sel:[0,1]
	flat_load_dword v0, v[0:1] offset:188
	s_waitcnt vmcnt(0) lgkmcnt(0)
	v_add_u32_e32 v0, -1, v0
	v_cmp_ne_u32_e32 vcc, 47, v0
	s_and_saveexec_b64 s[4:5], vcc
	s_cbranch_execz .LBB48_310
; %bb.309:
	v_mov_b32_e32 v1, 0
	v_lshl_add_u32 v0, v0, 3, v1
	buffer_load_dword v1, v0, s[0:3], 0 offen
	buffer_load_dword v2, v0, s[0:3], 0 offen offset:4
	buffer_load_dword v3, off, s[0:3], 0 offset:376
	buffer_load_dword v4, off, s[0:3], 0 offset:380
	s_waitcnt vmcnt(3)
	buffer_store_dword v1, off, s[0:3], 0 offset:376
	s_waitcnt vmcnt(3)
	buffer_store_dword v2, off, s[0:3], 0 offset:380
	s_waitcnt vmcnt(3)
	buffer_store_dword v3, v0, s[0:3], 0 offen
	s_waitcnt vmcnt(3)
	buffer_store_dword v4, v0, s[0:3], 0 offen offset:4
.LBB48_310:
	s_or_b64 exec, exec, s[4:5]
	v_pk_mov_b32 v[0:1], s[10:11], s[10:11] op_sel:[0,1]
	flat_load_dword v0, v[0:1] offset:184
	s_waitcnt vmcnt(0) lgkmcnt(0)
	v_add_u32_e32 v0, -1, v0
	v_cmp_ne_u32_e32 vcc, 46, v0
	s_and_saveexec_b64 s[4:5], vcc
	s_cbranch_execz .LBB48_312
; %bb.311:
	v_mov_b32_e32 v1, 0
	v_lshl_add_u32 v0, v0, 3, v1
	buffer_load_dword v1, v0, s[0:3], 0 offen
	buffer_load_dword v2, v0, s[0:3], 0 offen offset:4
	buffer_load_dword v3, off, s[0:3], 0 offset:372
	buffer_load_dword v4, off, s[0:3], 0 offset:368
	s_waitcnt vmcnt(3)
	buffer_store_dword v1, off, s[0:3], 0 offset:368
	s_waitcnt vmcnt(3)
	buffer_store_dword v2, off, s[0:3], 0 offset:372
	s_waitcnt vmcnt(3)
	buffer_store_dword v3, v0, s[0:3], 0 offen offset:4
	s_waitcnt vmcnt(3)
	buffer_store_dword v4, v0, s[0:3], 0 offen
.LBB48_312:
	s_or_b64 exec, exec, s[4:5]
	v_pk_mov_b32 v[0:1], s[10:11], s[10:11] op_sel:[0,1]
	flat_load_dword v0, v[0:1] offset:180
	s_waitcnt vmcnt(0) lgkmcnt(0)
	v_add_u32_e32 v0, -1, v0
	v_cmp_ne_u32_e32 vcc, 45, v0
	s_and_saveexec_b64 s[4:5], vcc
	s_cbranch_execz .LBB48_314
; %bb.313:
	v_mov_b32_e32 v1, 0
	v_lshl_add_u32 v0, v0, 3, v1
	buffer_load_dword v1, v0, s[0:3], 0 offen
	buffer_load_dword v2, v0, s[0:3], 0 offen offset:4
	buffer_load_dword v3, off, s[0:3], 0 offset:360
	buffer_load_dword v4, off, s[0:3], 0 offset:364
	s_waitcnt vmcnt(3)
	buffer_store_dword v1, off, s[0:3], 0 offset:360
	s_waitcnt vmcnt(3)
	buffer_store_dword v2, off, s[0:3], 0 offset:364
	s_waitcnt vmcnt(3)
	buffer_store_dword v3, v0, s[0:3], 0 offen
	s_waitcnt vmcnt(3)
	buffer_store_dword v4, v0, s[0:3], 0 offen offset:4
.LBB48_314:
	s_or_b64 exec, exec, s[4:5]
	v_pk_mov_b32 v[0:1], s[10:11], s[10:11] op_sel:[0,1]
	flat_load_dword v0, v[0:1] offset:176
	s_waitcnt vmcnt(0) lgkmcnt(0)
	v_add_u32_e32 v0, -1, v0
	v_cmp_ne_u32_e32 vcc, 44, v0
	s_and_saveexec_b64 s[4:5], vcc
	s_cbranch_execz .LBB48_316
; %bb.315:
	v_mov_b32_e32 v1, 0
	v_lshl_add_u32 v0, v0, 3, v1
	buffer_load_dword v1, v0, s[0:3], 0 offen
	buffer_load_dword v2, v0, s[0:3], 0 offen offset:4
	buffer_load_dword v3, off, s[0:3], 0 offset:356
	buffer_load_dword v4, off, s[0:3], 0 offset:352
	s_waitcnt vmcnt(3)
	buffer_store_dword v1, off, s[0:3], 0 offset:352
	s_waitcnt vmcnt(3)
	buffer_store_dword v2, off, s[0:3], 0 offset:356
	s_waitcnt vmcnt(3)
	buffer_store_dword v3, v0, s[0:3], 0 offen offset:4
	s_waitcnt vmcnt(3)
	buffer_store_dword v4, v0, s[0:3], 0 offen
.LBB48_316:
	s_or_b64 exec, exec, s[4:5]
	;; [unrolled: 48-line block ×23, first 2 shown]
	v_pk_mov_b32 v[0:1], s[10:11], s[10:11] op_sel:[0,1]
	flat_load_dword v0, v[0:1] offset:4
	s_waitcnt vmcnt(0) lgkmcnt(0)
	v_add_u32_e32 v0, -1, v0
	v_cmp_ne_u32_e32 vcc, 1, v0
	s_and_saveexec_b64 s[4:5], vcc
	s_cbranch_execz .LBB48_402
; %bb.401:
	v_mov_b32_e32 v1, 0
	v_lshl_add_u32 v0, v0, 3, v1
	buffer_load_dword v1, v0, s[0:3], 0 offen
	buffer_load_dword v2, v0, s[0:3], 0 offen offset:4
	buffer_load_dword v3, off, s[0:3], 0 offset:8
	buffer_load_dword v4, off, s[0:3], 0 offset:12
	s_waitcnt vmcnt(3)
	buffer_store_dword v1, off, s[0:3], 0 offset:8
	s_waitcnt vmcnt(3)
	buffer_store_dword v2, off, s[0:3], 0 offset:12
	s_waitcnt vmcnt(3)
	buffer_store_dword v3, v0, s[0:3], 0 offen
	s_waitcnt vmcnt(3)
	buffer_store_dword v4, v0, s[0:3], 0 offen offset:4
.LBB48_402:
	s_or_b64 exec, exec, s[4:5]
	v_pk_mov_b32 v[0:1], s[10:11], s[10:11] op_sel:[0,1]
	flat_load_dword v2, v[0:1]
	s_nop 0
	buffer_load_dword v0, off, s[0:3], 0
	buffer_load_dword v1, off, s[0:3], 0 offset:4
	s_waitcnt vmcnt(0) lgkmcnt(0)
	v_add_u32_e32 v2, -1, v2
	v_cmp_ne_u32_e32 vcc, 0, v2
	s_and_saveexec_b64 s[4:5], vcc
	s_cbranch_execz .LBB48_404
; %bb.403:
	v_mov_b32_e32 v3, 0
	v_lshl_add_u32 v2, v2, 3, v3
	buffer_load_dword v3, v2, s[0:3], 0 offen offset:4
	buffer_load_dword v4, v2, s[0:3], 0 offen
	s_waitcnt vmcnt(1)
	buffer_store_dword v3, off, s[0:3], 0 offset:4
	s_waitcnt vmcnt(1)
	buffer_store_dword v4, off, s[0:3], 0
	buffer_store_dword v1, v2, s[0:3], 0 offen offset:4
	buffer_store_dword v0, v2, s[0:3], 0 offen
	buffer_load_dword v0, off, s[0:3], 0
	s_nop 0
	buffer_load_dword v1, off, s[0:3], 0 offset:4
.LBB48_404:
	s_or_b64 exec, exec, s[4:5]
.LBB48_405:
	buffer_load_dword v2, off, s[0:3], 0 offset:8
	buffer_load_dword v3, off, s[0:3], 0 offset:12
	;; [unrolled: 1-line block ×96, first 2 shown]
	s_waitcnt vmcnt(62)
	global_store_dwordx2 v[166:167], v[0:1], off
	global_store_dwordx2 v[168:169], v[2:3], off
	v_accvgpr_read_b32 v0, a0
	v_accvgpr_read_b32 v1, a1
	global_store_dwordx2 v[0:1], v[4:5], off
	v_accvgpr_read_b32 v0, a2
	v_accvgpr_read_b32 v1, a3
	;; [unrolled: 3-line block ×12, first 2 shown]
	global_store_dwordx2 v[0:1], v[26:27], off
	global_store_dwordx2 v[102:103], v[28:29], off
	;; [unrolled: 1-line block ×5, first 2 shown]
	s_waitcnt vmcnt(62)
	global_store_dwordx2 v[110:111], v[36:37], off
	global_store_dwordx2 v[112:113], v[38:39], off
	;; [unrolled: 1-line block ×9, first 2 shown]
	s_waitcnt vmcnt(62)
	global_store_dwordx2 v[128:129], v[54:55], off
	global_store_dwordx2 v[130:131], v[56:57], off
	global_store_dwordx2 v[132:133], v[58:59], off
	global_store_dwordx2 v[134:135], v[60:61], off
	s_waitcnt vmcnt(62)
	global_store_dwordx2 v[136:137], v[62:63], off
	global_store_dwordx2 v[138:139], v[64:65], off
	s_waitcnt vmcnt(62)
	global_store_dwordx2 v[140:141], v[66:67], off
	s_waitcnt vmcnt(62)
	;; [unrolled: 2-line block ×16, first 2 shown]
	global_store_dwordx2 v[174:175], v[194:195], off
	s_endpgm
	.section	.rodata,"a",@progbits
	.p2align	6, 0x0
	.amdhsa_kernel _ZN9rocsolver6v33100L18getri_kernel_smallILi49E19rocblas_complex_numIfEPS3_EEvT1_iilPiilS6_bb
		.amdhsa_group_segment_fixed_size 792
		.amdhsa_private_segment_fixed_size 400
		.amdhsa_kernarg_size 60
		.amdhsa_user_sgpr_count 8
		.amdhsa_user_sgpr_private_segment_buffer 1
		.amdhsa_user_sgpr_dispatch_ptr 0
		.amdhsa_user_sgpr_queue_ptr 0
		.amdhsa_user_sgpr_kernarg_segment_ptr 1
		.amdhsa_user_sgpr_dispatch_id 0
		.amdhsa_user_sgpr_flat_scratch_init 1
		.amdhsa_user_sgpr_kernarg_preload_length 0
		.amdhsa_user_sgpr_kernarg_preload_offset 0
		.amdhsa_user_sgpr_private_segment_size 0
		.amdhsa_uses_dynamic_stack 0
		.amdhsa_system_sgpr_private_segment_wavefront_offset 1
		.amdhsa_system_sgpr_workgroup_id_x 1
		.amdhsa_system_sgpr_workgroup_id_y 0
		.amdhsa_system_sgpr_workgroup_id_z 0
		.amdhsa_system_sgpr_workgroup_info 0
		.amdhsa_system_vgpr_workitem_id 0
		.amdhsa_next_free_vgpr 281
		.amdhsa_next_free_sgpr 23
		.amdhsa_accum_offset 256
		.amdhsa_reserve_vcc 1
		.amdhsa_reserve_flat_scratch 1
		.amdhsa_float_round_mode_32 0
		.amdhsa_float_round_mode_16_64 0
		.amdhsa_float_denorm_mode_32 3
		.amdhsa_float_denorm_mode_16_64 3
		.amdhsa_dx10_clamp 1
		.amdhsa_ieee_mode 1
		.amdhsa_fp16_overflow 0
		.amdhsa_tg_split 0
		.amdhsa_exception_fp_ieee_invalid_op 0
		.amdhsa_exception_fp_denorm_src 0
		.amdhsa_exception_fp_ieee_div_zero 0
		.amdhsa_exception_fp_ieee_overflow 0
		.amdhsa_exception_fp_ieee_underflow 0
		.amdhsa_exception_fp_ieee_inexact 0
		.amdhsa_exception_int_div_zero 0
	.end_amdhsa_kernel
	.section	.text._ZN9rocsolver6v33100L18getri_kernel_smallILi49E19rocblas_complex_numIfEPS3_EEvT1_iilPiilS6_bb,"axG",@progbits,_ZN9rocsolver6v33100L18getri_kernel_smallILi49E19rocblas_complex_numIfEPS3_EEvT1_iilPiilS6_bb,comdat
.Lfunc_end48:
	.size	_ZN9rocsolver6v33100L18getri_kernel_smallILi49E19rocblas_complex_numIfEPS3_EEvT1_iilPiilS6_bb, .Lfunc_end48-_ZN9rocsolver6v33100L18getri_kernel_smallILi49E19rocblas_complex_numIfEPS3_EEvT1_iilPiilS6_bb
                                        ; -- End function
	.section	.AMDGPU.csdata,"",@progbits
; Kernel info:
; codeLenInByte = 95768
; NumSgprs: 29
; NumVgprs: 256
; NumAgprs: 25
; TotalNumVgprs: 281
; ScratchSize: 400
; MemoryBound: 0
; FloatMode: 240
; IeeeMode: 1
; LDSByteSize: 792 bytes/workgroup (compile time only)
; SGPRBlocks: 3
; VGPRBlocks: 35
; NumSGPRsForWavesPerEU: 29
; NumVGPRsForWavesPerEU: 281
; AccumOffset: 256
; Occupancy: 1
; WaveLimiterHint : 1
; COMPUTE_PGM_RSRC2:SCRATCH_EN: 1
; COMPUTE_PGM_RSRC2:USER_SGPR: 8
; COMPUTE_PGM_RSRC2:TRAP_HANDLER: 0
; COMPUTE_PGM_RSRC2:TGID_X_EN: 1
; COMPUTE_PGM_RSRC2:TGID_Y_EN: 0
; COMPUTE_PGM_RSRC2:TGID_Z_EN: 0
; COMPUTE_PGM_RSRC2:TIDIG_COMP_CNT: 0
; COMPUTE_PGM_RSRC3_GFX90A:ACCUM_OFFSET: 63
; COMPUTE_PGM_RSRC3_GFX90A:TG_SPLIT: 0
	.section	.text._ZN9rocsolver6v33100L18getri_kernel_smallILi50E19rocblas_complex_numIfEPS3_EEvT1_iilPiilS6_bb,"axG",@progbits,_ZN9rocsolver6v33100L18getri_kernel_smallILi50E19rocblas_complex_numIfEPS3_EEvT1_iilPiilS6_bb,comdat
	.globl	_ZN9rocsolver6v33100L18getri_kernel_smallILi50E19rocblas_complex_numIfEPS3_EEvT1_iilPiilS6_bb ; -- Begin function _ZN9rocsolver6v33100L18getri_kernel_smallILi50E19rocblas_complex_numIfEPS3_EEvT1_iilPiilS6_bb
	.p2align	8
	.type	_ZN9rocsolver6v33100L18getri_kernel_smallILi50E19rocblas_complex_numIfEPS3_EEvT1_iilPiilS6_bb,@function
_ZN9rocsolver6v33100L18getri_kernel_smallILi50E19rocblas_complex_numIfEPS3_EEvT1_iilPiilS6_bb: ; @_ZN9rocsolver6v33100L18getri_kernel_smallILi50E19rocblas_complex_numIfEPS3_EEvT1_iilPiilS6_bb
; %bb.0:
	s_add_u32 flat_scratch_lo, s6, s9
	s_addc_u32 flat_scratch_hi, s7, 0
	s_add_u32 s0, s0, s9
	s_addc_u32 s1, s1, 0
	v_cmp_gt_u32_e32 vcc, 50, v0
	s_and_saveexec_b64 s[6:7], vcc
	s_cbranch_execz .LBB49_214
; %bb.1:
	s_load_dword s22, s[4:5], 0x38
	s_load_dwordx4 s[16:19], s[4:5], 0x10
	s_load_dwordx4 s[12:15], s[4:5], 0x28
                                        ; implicit-def: $sgpr10_sgpr11
	s_waitcnt lgkmcnt(0)
	s_bitcmp1_b32 s22, 8
	s_cselect_b64 s[20:21], -1, 0
	s_ashr_i32 s9, s8, 31
	s_bfe_u32 s6, s22, 0x10008
	s_cmp_eq_u32 s6, 0
	s_cbranch_scc1 .LBB49_3
; %bb.2:
	s_load_dword s6, s[4:5], 0x20
	s_mul_i32 s7, s8, s13
	s_mul_hi_u32 s10, s8, s12
	s_mul_i32 s11, s9, s12
	s_add_i32 s10, s10, s7
	s_add_i32 s11, s10, s11
	s_mul_i32 s10, s8, s12
	s_waitcnt lgkmcnt(0)
	s_ashr_i32 s7, s6, 31
	s_lshl_b64 s[10:11], s[10:11], 2
	s_add_u32 s10, s18, s10
	s_addc_u32 s11, s19, s11
	s_lshl_b64 s[6:7], s[6:7], 2
	s_add_u32 s10, s10, s6
	s_addc_u32 s11, s11, s7
.LBB49_3:
	s_load_dwordx4 s[4:7], s[4:5], 0x0
	s_mul_i32 s12, s8, s17
	s_mul_hi_u32 s13, s8, s16
	s_add_i32 s17, s13, s12
	v_lshlrev_b32_e32 v6, 3, v0
	s_waitcnt lgkmcnt(0)
	s_ashr_i32 s13, s6, 31
	s_mov_b32 s12, s6
	s_mul_i32 s6, s9, s16
	s_add_i32 s17, s17, s6
	s_mul_i32 s16, s8, s16
	s_lshl_b64 s[16:17], s[16:17], 3
	s_add_u32 s6, s4, s16
	s_addc_u32 s16, s5, s17
	s_lshl_b64 s[4:5], s[12:13], 3
	s_add_u32 s4, s6, s4
	s_addc_u32 s5, s16, s5
	s_add_i32 s6, s7, s7
	v_add_u32_e32 v2, s6, v0
	v_ashrrev_i32_e32 v3, 31, v2
	v_lshlrev_b64 v[4:5], 3, v[2:3]
	v_add_u32_e32 v2, s7, v2
	v_mov_b32_e32 v1, s5
	v_add_co_u32_e32 v12, vcc, s4, v4
	v_ashrrev_i32_e32 v3, 31, v2
	v_addc_co_u32_e32 v13, vcc, v1, v5, vcc
	v_lshlrev_b64 v[4:5], 3, v[2:3]
	v_add_u32_e32 v2, s7, v2
	v_add_co_u32_e32 v14, vcc, s4, v4
	v_ashrrev_i32_e32 v3, 31, v2
	v_addc_co_u32_e32 v15, vcc, v1, v5, vcc
	v_lshlrev_b64 v[4:5], 3, v[2:3]
	v_add_u32_e32 v2, s7, v2
	;; [unrolled: 5-line block ×40, first 2 shown]
	v_add_co_u32_e32 v164, vcc, s4, v4
	v_ashrrev_i32_e32 v3, 31, v2
	v_addc_co_u32_e32 v165, vcc, v1, v5, vcc
	v_lshlrev_b64 v[4:5], 3, v[2:3]
	v_add_co_u32_e32 v166, vcc, s4, v4
	v_add_u32_e32 v2, s7, v2
	v_addc_co_u32_e32 v167, vcc, v1, v5, vcc
	v_ashrrev_i32_e32 v3, 31, v2
	v_lshlrev_b64 v[4:5], 3, v[2:3]
	global_load_dwordx2 v[8:9], v6, s[4:5]
	v_mov_b32_e32 v3, s5
	v_add_co_u32_e32 v174, vcc, s4, v6
	s_ashr_i32 s13, s7, 31
	s_mov_b32 s12, s7
	v_addc_co_u32_e32 v175, vcc, 0, v3, vcc
	s_lshl_b64 s[12:13], s[12:13], 3
	v_mov_b32_e32 v3, s13
	v_add_co_u32_e32 v176, vcc, s12, v174
	v_addc_co_u32_e32 v177, vcc, v175, v3, vcc
	global_load_dwordx2 v[10:11], v[176:177], off
	v_accvgpr_write_b32 a0, v12
	v_accvgpr_write_b32 a1, v13
	global_load_dwordx2 v[12:13], v[12:13], off
	v_add_co_u32_e32 v168, vcc, s4, v4
	v_addc_co_u32_e32 v169, vcc, v1, v5, vcc
	global_load_dwordx2 v[4:5], v[14:15], off
	v_accvgpr_write_b32 a4, v16
	v_add_u32_e32 v2, s7, v2
	v_accvgpr_write_b32 a5, v17
	global_load_dwordx2 v[16:17], v[16:17], off
	v_ashrrev_i32_e32 v3, 31, v2
	v_accvgpr_write_b32 a2, v14
	v_accvgpr_write_b32 a3, v15
	v_lshlrev_b64 v[14:15], 3, v[2:3]
	v_add_co_u32_e32 v170, vcc, s4, v14
	v_addc_co_u32_e32 v171, vcc, v1, v15, vcc
	global_load_dwordx2 v[14:15], v[18:19], off
	v_add_u32_e32 v2, s7, v2
	v_accvgpr_write_b32 a6, v18
	v_ashrrev_i32_e32 v3, 31, v2
	v_accvgpr_write_b32 a8, v20
	v_accvgpr_write_b32 a10, v22
	;; [unrolled: 1-line block ×7, first 2 shown]
	global_load_dwordx2 v[22:23], v[22:23], off
	v_accvgpr_write_b32 a17, v29
	global_load_dwordx2 v[28:29], v[28:29], off
	v_accvgpr_write_b32 a19, v31
	;; [unrolled: 2-line block ×3, first 2 shown]
	global_load_dwordx2 v[18:19], v[20:21], off
	v_lshlrev_b64 v[20:21], 3, v[2:3]
	v_add_u32_e32 v2, s7, v2
	v_add_co_u32_e32 v172, vcc, s4, v20
	v_ashrrev_i32_e32 v3, 31, v2
	v_accvgpr_write_b32 a14, v26
	v_accvgpr_write_b32 a20, v32
	;; [unrolled: 1-line block ×3, first 2 shown]
	v_addc_co_u32_e32 v173, vcc, v1, v21, vcc
	v_accvgpr_write_b32 a13, v25
	global_load_dwordx2 v[20:21], v[24:25], off
	v_accvgpr_write_b32 a15, v27
	v_accvgpr_write_b32 a21, v33
	global_load_dwordx2 v[32:33], v[32:33], off
	v_accvgpr_write_b32 a23, v35
	global_load_dwordx2 v[24:25], v[26:27], off
	;; [unrolled: 2-line block ×3, first 2 shown]
	v_lshlrev_b64 v[26:27], 3, v[2:3]
	v_add_u32_e32 v2, s7, v2
	v_add_co_u32_e32 v178, vcc, s4, v26
	v_accvgpr_write_b32 a26, v38
	v_ashrrev_i32_e32 v3, 31, v2
	v_accvgpr_write_b32 a28, v40
	v_accvgpr_write_b32 a30, v42
	v_addc_co_u32_e32 v179, vcc, v1, v27, vcc
	v_accvgpr_write_b32 a25, v37
	global_load_dwordx2 v[26:27], v[36:37], off
	v_accvgpr_write_b32 a27, v39
	global_load_dwordx2 v[36:37], v[38:39], off
	;; [unrolled: 2-line block ×4, first 2 shown]
	v_lshlrev_b64 v[42:43], 3, v[2:3]
	v_add_u32_e32 v2, s7, v2
	v_add_co_u32_e32 v180, vcc, s4, v42
	v_ashrrev_i32_e32 v3, 31, v2
	v_addc_co_u32_e32 v181, vcc, v1, v43, vcc
	v_lshlrev_b64 v[2:3], 3, v[2:3]
	v_add_co_u32_e32 v182, vcc, s4, v2
	global_load_dwordx2 v[44:45], v[116:117], off
	global_load_dwordx2 v[46:47], v[118:119], off
	;; [unrolled: 1-line block ×12, first 2 shown]
	v_addc_co_u32_e32 v183, vcc, v1, v3, vcc
	global_load_dwordx2 v[2:3], v[140:141], off
	global_load_dwordx2 v[66:67], v[182:183], off
	;; [unrolled: 1-line block ×12, first 2 shown]
	s_bitcmp0_b32 s22, 0
	s_waitcnt vmcnt(41)
	buffer_store_dword v9, off, s[0:3], 0 offset:4
	buffer_store_dword v8, off, s[0:3], 0
	global_load_dwordx2 v[8:9], v[146:147], off
	s_mov_b64 s[6:7], -1
	s_waitcnt vmcnt(43)
	buffer_store_dword v11, off, s[0:3], 0 offset:12
	buffer_store_dword v10, off, s[0:3], 0 offset:8
	global_load_dwordx2 v[10:11], v[150:151], off
	s_waitcnt vmcnt(45)
	buffer_store_dword v13, off, s[0:3], 0 offset:20
	buffer_store_dword v12, off, s[0:3], 0 offset:16
	global_load_dwordx2 v[12:13], v[154:155], off
	;; [unrolled: 4-line block ×6, first 2 shown]
	s_nop 0
	buffer_store_dword v23, off, s[0:3], 0 offset:60
	buffer_store_dword v22, off, s[0:3], 0 offset:56
	global_load_dwordx2 v[22:23], v[178:179], off
	s_waitcnt vmcnt(55)
	buffer_store_dword v21, off, s[0:3], 0 offset:68
	buffer_store_dword v20, off, s[0:3], 0 offset:64
	s_waitcnt vmcnt(55)
	buffer_store_dword v24, off, s[0:3], 0 offset:72
	buffer_store_dword v25, off, s[0:3], 0 offset:76
	buffer_store_dword v28, off, s[0:3], 0 offset:80
	buffer_store_dword v29, off, s[0:3], 0 offset:84
	buffer_store_dword v30, off, s[0:3], 0 offset:88
	buffer_store_dword v31, off, s[0:3], 0 offset:92
	buffer_store_dword v32, off, s[0:3], 0 offset:96
	buffer_store_dword v33, off, s[0:3], 0 offset:100
	s_waitcnt vmcnt(62)
	buffer_store_dword v34, off, s[0:3], 0 offset:104
	buffer_store_dword v35, off, s[0:3], 0 offset:108
	s_waitcnt vmcnt(62)
	buffer_store_dword v27, off, s[0:3], 0 offset:116
	buffer_store_dword v26, off, s[0:3], 0 offset:112
	buffer_store_dword v36, off, s[0:3], 0 offset:120
	buffer_store_dword v37, off, s[0:3], 0 offset:124
	s_waitcnt vmcnt(62)
	buffer_store_dword v38, off, s[0:3], 0 offset:128
	buffer_store_dword v39, off, s[0:3], 0 offset:132
	;; [unrolled: 1-line block ×8, first 2 shown]
	s_waitcnt vmcnt(62)
	buffer_store_dword v49, off, s[0:3], 0 offset:164
	buffer_store_dword v48, off, s[0:3], 0 offset:160
	;; [unrolled: 1-line block ×16, first 2 shown]
	s_waitcnt vmcnt(62)
	buffer_store_dword v62, off, s[0:3], 0 offset:224
	buffer_store_dword v63, off, s[0:3], 0 offset:228
	;; [unrolled: 1-line block ×10, first 2 shown]
	s_waitcnt vmcnt(62)
	buffer_store_dword v8, off, s[0:3], 0 offset:264
	buffer_store_dword v9, off, s[0:3], 0 offset:268
	;; [unrolled: 1-line block ×16, first 2 shown]
	s_waitcnt vmcnt(62)
	buffer_store_dword v16, off, s[0:3], 0 offset:328
	buffer_store_dword v17, off, s[0:3], 0 offset:332
	;; [unrolled: 1-line block ×18, first 2 shown]
	s_cbranch_scc1 .LBB49_212
; %bb.4:
	v_cmp_eq_u32_e64 s[4:5], 0, v0
	s_and_saveexec_b64 s[6:7], s[4:5]
	s_cbranch_execz .LBB49_6
; %bb.5:
	v_mov_b32_e32 v1, 0
	ds_write_b32 v1, v1 offset:800
.LBB49_6:
	s_or_b64 exec, exec, s[6:7]
	v_mov_b32_e32 v1, 0
	v_lshl_add_u32 v7, v0, 3, v1
	s_waitcnt lgkmcnt(0)
	; wave barrier
	s_waitcnt lgkmcnt(0)
	buffer_load_dword v1, v7, s[0:3], 0 offen
	buffer_load_dword v2, v7, s[0:3], 0 offen offset:4
	s_waitcnt vmcnt(1)
	v_cmp_eq_f32_e32 vcc, 0, v1
	s_waitcnt vmcnt(0)
	v_cmp_eq_f32_e64 s[6:7], 0, v2
	s_and_b64 s[6:7], vcc, s[6:7]
	s_and_saveexec_b64 s[12:13], s[6:7]
	s_cbranch_execz .LBB49_10
; %bb.7:
	v_mov_b32_e32 v1, 0
	ds_read_b32 v3, v1 offset:800
	v_add_u32_e32 v2, 1, v0
	s_waitcnt lgkmcnt(0)
	v_readfirstlane_b32 s6, v3
	s_cmp_eq_u32 s6, 0
	s_cselect_b64 s[16:17], -1, 0
	v_cmp_gt_i32_e32 vcc, s6, v2
	s_or_b64 s[16:17], s[16:17], vcc
	s_and_b64 exec, exec, s[16:17]
	s_cbranch_execz .LBB49_10
; %bb.8:
	s_mov_b64 s[16:17], 0
	v_mov_b32_e32 v3, s6
.LBB49_9:                               ; =>This Inner Loop Header: Depth=1
	ds_cmpst_rtn_b32 v3, v1, v3, v2 offset:800
	s_waitcnt lgkmcnt(0)
	v_cmp_ne_u32_e32 vcc, 0, v3
	v_cmp_le_i32_e64 s[6:7], v3, v2
	s_and_b64 s[6:7], vcc, s[6:7]
	s_and_b64 s[6:7], exec, s[6:7]
	s_or_b64 s[16:17], s[6:7], s[16:17]
	s_andn2_b64 exec, exec, s[16:17]
	s_cbranch_execnz .LBB49_9
.LBB49_10:
	s_or_b64 exec, exec, s[12:13]
	v_mov_b32_e32 v2, 0
	s_waitcnt lgkmcnt(0)
	; wave barrier
	ds_read_b32 v1, v2 offset:800
	s_and_saveexec_b64 s[6:7], s[4:5]
	s_cbranch_execz .LBB49_12
; %bb.11:
	s_lshl_b64 s[12:13], s[8:9], 2
	s_add_u32 s12, s14, s12
	s_addc_u32 s13, s15, s13
	s_waitcnt lgkmcnt(0)
	global_store_dword v2, v1, s[12:13]
.LBB49_12:
	s_or_b64 exec, exec, s[6:7]
	s_waitcnt lgkmcnt(0)
	v_cmp_ne_u32_e32 vcc, 0, v1
	s_mov_b64 s[6:7], 0
	s_cbranch_vccnz .LBB49_212
; %bb.13:
	buffer_load_dword v8, v7, s[0:3], 0 offen offset:4
	buffer_load_dword v3, v7, s[0:3], 0 offen
	s_waitcnt vmcnt(1)
	v_cmp_gt_f32_e32 vcc, 0, v8
	v_cndmask_b32_e64 v1, v8, -v8, vcc
	s_waitcnt vmcnt(0)
	v_cmp_gt_f32_e32 vcc, 0, v3
	v_cndmask_b32_e64 v2, v3, -v3, vcc
	v_cmp_ngt_f32_e32 vcc, v2, v1
                                        ; implicit-def: $vgpr1
                                        ; implicit-def: $vgpr2
	s_and_saveexec_b64 s[6:7], vcc
	s_xor_b64 s[6:7], exec, s[6:7]
                                        ; implicit-def: $vgpr4_vgpr5
	s_cbranch_execz .LBB49_15
; %bb.14:
	v_div_scale_f32 v1, s[12:13], v8, v8, v3
	v_rcp_f32_e32 v2, v1
	v_div_scale_f32 v4, vcc, v3, v8, v3
	v_fma_f32 v5, -v1, v2, 1.0
	v_fmac_f32_e32 v2, v5, v2
	v_mul_f32_e32 v5, v4, v2
	v_fma_f32 v9, -v1, v5, v4
	v_fmac_f32_e32 v5, v9, v2
	v_fma_f32 v1, -v1, v5, v4
	v_div_fmas_f32 v1, v1, v2, v5
	v_div_fixup_f32 v2, v1, v8, v3
	v_fmac_f32_e32 v8, v3, v2
	v_div_scale_f32 v1, s[12:13], v8, v8, -1.0
	v_rcp_f32_e32 v3, v1
	v_fma_f32 v4, -v1, v3, 1.0
	v_fmac_f32_e32 v3, v4, v3
	v_div_scale_f32 v4, vcc, -1.0, v8, -1.0
	v_mul_f32_e32 v5, v4, v3
	v_fma_f32 v9, -v1, v5, v4
	v_fmac_f32_e32 v5, v9, v3
	v_fma_f32 v1, -v1, v5, v4
	v_div_fmas_f32 v1, v1, v3, v5
	v_div_fixup_f32 v1, v1, v8, -1.0
	v_mul_f32_e32 v2, v2, v1
	v_xor_b32_e32 v4, 0x80000000, v2
                                        ; implicit-def: $vgpr3
                                        ; implicit-def: $vgpr8
.LBB49_15:
	s_andn2_saveexec_b64 s[6:7], s[6:7]
	s_cbranch_execz .LBB49_17
; %bb.16:
	v_div_scale_f32 v1, s[12:13], v3, v3, v8
	v_rcp_f32_e32 v2, v1
	v_div_scale_f32 v4, vcc, v8, v3, v8
	v_fma_f32 v5, -v1, v2, 1.0
	v_fmac_f32_e32 v2, v5, v2
	v_mul_f32_e32 v5, v4, v2
	v_fma_f32 v9, -v1, v5, v4
	v_fmac_f32_e32 v5, v9, v2
	v_fma_f32 v1, -v1, v5, v4
	v_div_fmas_f32 v1, v1, v2, v5
	v_div_fixup_f32 v1, v1, v3, v8
	v_fmac_f32_e32 v3, v8, v1
	v_div_scale_f32 v2, s[12:13], v3, v3, 1.0
	v_rcp_f32_e32 v4, v2
	v_fma_f32 v5, -v2, v4, 1.0
	v_fmac_f32_e32 v4, v5, v4
	v_div_scale_f32 v5, vcc, 1.0, v3, 1.0
	v_mul_f32_e32 v8, v5, v4
	v_fma_f32 v9, -v2, v8, v5
	v_fmac_f32_e32 v8, v9, v4
	v_fma_f32 v2, -v2, v8, v5
	v_div_fmas_f32 v2, v2, v4, v8
	v_div_fixup_f32 v4, v2, v3, 1.0
	v_xor_b32_e32 v2, 0x80000000, v4
	v_mul_f32_e64 v1, v1, -v4
.LBB49_17:
	s_or_b64 exec, exec, s[6:7]
	buffer_store_dword v1, v7, s[0:3], 0 offen offset:4
	buffer_store_dword v4, v7, s[0:3], 0 offen
	buffer_load_dword v5, off, s[0:3], 0 offset:12
	s_nop 0
	buffer_load_dword v4, off, s[0:3], 0 offset:8
	v_xor_b32_e32 v3, 0x80000000, v1
	v_add_u32_e32 v1, 0x190, v6
	s_waitcnt vmcnt(0)
	ds_write2_b64 v6, v[2:3], v[4:5] offset1:50
	s_waitcnt lgkmcnt(0)
	; wave barrier
	s_waitcnt lgkmcnt(0)
	s_and_saveexec_b64 s[6:7], s[4:5]
	s_cbranch_execz .LBB49_19
; %bb.18:
	buffer_load_dword v8, v7, s[0:3], 0 offen offset:4
	buffer_load_dword v9, v7, s[0:3], 0 offen
	ds_read_b64 v[2:3], v1
	v_mov_b32_e32 v4, 0
	ds_read_b64 v[4:5], v4 offset:8
	s_waitcnt vmcnt(1) lgkmcnt(1)
	v_mul_f32_e32 v10, v3, v8
	v_mul_f32_e32 v8, v2, v8
	s_waitcnt vmcnt(0)
	v_fmac_f32_e32 v8, v3, v9
	v_fma_f32 v2, v2, v9, -v10
	v_add_f32_e32 v3, 0, v8
	v_add_f32_e32 v2, 0, v2
	s_waitcnt lgkmcnt(0)
	v_mul_f32_e32 v8, v3, v5
	v_mul_f32_e32 v5, v2, v5
	v_fma_f32 v2, v2, v4, -v8
	v_fmac_f32_e32 v5, v3, v4
	buffer_store_dword v2, off, s[0:3], 0 offset:8
	buffer_store_dword v5, off, s[0:3], 0 offset:12
.LBB49_19:
	s_or_b64 exec, exec, s[6:7]
	s_waitcnt lgkmcnt(0)
	; wave barrier
	buffer_load_dword v2, off, s[0:3], 0 offset:16
	buffer_load_dword v3, off, s[0:3], 0 offset:20
	v_cmp_gt_u32_e32 vcc, 2, v0
	s_waitcnt vmcnt(0)
	ds_write_b64 v1, v[2:3]
	s_waitcnt lgkmcnt(0)
	; wave barrier
	s_waitcnt lgkmcnt(0)
	s_and_saveexec_b64 s[6:7], vcc
	s_cbranch_execz .LBB49_23
; %bb.20:
	buffer_load_dword v4, v7, s[0:3], 0 offen offset:4
	buffer_load_dword v5, v7, s[0:3], 0 offen
	ds_read_b64 v[2:3], v1
	s_waitcnt vmcnt(1) lgkmcnt(0)
	v_mul_f32_e32 v7, v3, v4
	v_mul_f32_e32 v4, v2, v4
	s_waitcnt vmcnt(0)
	v_fma_f32 v2, v2, v5, -v7
	v_fmac_f32_e32 v4, v3, v5
	v_add_f32_e32 v3, 0, v2
	v_add_f32_e32 v2, 0, v4
	s_and_saveexec_b64 s[12:13], s[4:5]
	s_cbranch_execz .LBB49_22
; %bb.21:
	buffer_load_dword v7, off, s[0:3], 0 offset:12
	buffer_load_dword v8, off, s[0:3], 0 offset:8
	v_mov_b32_e32 v4, 0
	ds_read_b64 v[4:5], v4 offset:408
	s_waitcnt vmcnt(1) lgkmcnt(0)
	v_mul_f32_e32 v9, v4, v7
	v_mul_f32_e32 v7, v5, v7
	s_waitcnt vmcnt(0)
	v_fmac_f32_e32 v9, v5, v8
	v_fma_f32 v4, v4, v8, -v7
	v_add_f32_e32 v2, v2, v9
	v_add_f32_e32 v3, v3, v4
.LBB49_22:
	s_or_b64 exec, exec, s[12:13]
	v_mov_b32_e32 v4, 0
	ds_read_b64 v[4:5], v4 offset:16
	s_waitcnt lgkmcnt(0)
	v_mul_f32_e32 v7, v2, v5
	v_mul_f32_e32 v5, v3, v5
	v_fma_f32 v3, v3, v4, -v7
	v_fmac_f32_e32 v5, v2, v4
	buffer_store_dword v3, off, s[0:3], 0 offset:16
	buffer_store_dword v5, off, s[0:3], 0 offset:20
.LBB49_23:
	s_or_b64 exec, exec, s[6:7]
	s_waitcnt lgkmcnt(0)
	; wave barrier
	buffer_load_dword v2, off, s[0:3], 0 offset:24
	buffer_load_dword v3, off, s[0:3], 0 offset:28
	v_cmp_gt_u32_e32 vcc, 3, v0
	s_waitcnt vmcnt(0)
	ds_write_b64 v1, v[2:3]
	v_add_u32_e32 v2, -1, v0
	s_waitcnt lgkmcnt(0)
	; wave barrier
	s_waitcnt lgkmcnt(0)
	s_and_saveexec_b64 s[4:5], vcc
	s_cbranch_execz .LBB49_27
; %bb.24:
	v_add_u32_e32 v4, -1, v0
	v_add_u32_e32 v5, 0x190, v6
	v_add_u32_e32 v7, 0, v6
	s_mov_b64 s[6:7], 0
	v_mov_b32_e32 v3, 0
	v_mov_b32_e32 v8, 0
.LBB49_25:                              ; =>This Inner Loop Header: Depth=1
	buffer_load_dword v9, v7, s[0:3], 0 offen offset:4
	buffer_load_dword v12, v7, s[0:3], 0 offen
	ds_read_b64 v[10:11], v5
	v_add_u32_e32 v4, 1, v4
	v_cmp_lt_u32_e32 vcc, 1, v4
	v_add_u32_e32 v5, 8, v5
	v_add_u32_e32 v7, 8, v7
	s_or_b64 s[6:7], vcc, s[6:7]
	s_waitcnt vmcnt(1) lgkmcnt(0)
	v_mul_f32_e32 v13, v11, v9
	v_mul_f32_e32 v9, v10, v9
	s_waitcnt vmcnt(0)
	v_fma_f32 v10, v10, v12, -v13
	v_fmac_f32_e32 v9, v11, v12
	v_add_f32_e32 v8, v8, v10
	v_add_f32_e32 v3, v3, v9
	s_andn2_b64 exec, exec, s[6:7]
	s_cbranch_execnz .LBB49_25
; %bb.26:
	s_or_b64 exec, exec, s[6:7]
	v_mov_b32_e32 v4, 0
	ds_read_b64 v[4:5], v4 offset:24
	s_waitcnt lgkmcnt(0)
	v_mul_f32_e32 v7, v3, v5
	v_mul_f32_e32 v5, v8, v5
	v_fma_f32 v7, v8, v4, -v7
	v_fmac_f32_e32 v5, v3, v4
	buffer_store_dword v7, off, s[0:3], 0 offset:24
	buffer_store_dword v5, off, s[0:3], 0 offset:28
.LBB49_27:
	s_or_b64 exec, exec, s[4:5]
	s_waitcnt lgkmcnt(0)
	; wave barrier
	buffer_load_dword v4, off, s[0:3], 0 offset:32
	buffer_load_dword v5, off, s[0:3], 0 offset:36
	v_cmp_gt_u32_e32 vcc, 4, v0
	s_waitcnt vmcnt(0)
	ds_write_b64 v1, v[4:5]
	s_waitcnt lgkmcnt(0)
	; wave barrier
	s_waitcnt lgkmcnt(0)
	s_and_saveexec_b64 s[4:5], vcc
	s_cbranch_execz .LBB49_31
; %bb.28:
	v_add_u32_e32 v4, -1, v0
	v_add_u32_e32 v5, 0x190, v6
	v_add_u32_e32 v7, 0, v6
	s_mov_b64 s[6:7], 0
	v_mov_b32_e32 v3, 0
	v_mov_b32_e32 v8, 0
.LBB49_29:                              ; =>This Inner Loop Header: Depth=1
	buffer_load_dword v9, v7, s[0:3], 0 offen offset:4
	buffer_load_dword v12, v7, s[0:3], 0 offen
	ds_read_b64 v[10:11], v5
	v_add_u32_e32 v4, 1, v4
	v_cmp_lt_u32_e32 vcc, 2, v4
	v_add_u32_e32 v5, 8, v5
	v_add_u32_e32 v7, 8, v7
	s_or_b64 s[6:7], vcc, s[6:7]
	s_waitcnt vmcnt(1) lgkmcnt(0)
	v_mul_f32_e32 v13, v11, v9
	v_mul_f32_e32 v9, v10, v9
	s_waitcnt vmcnt(0)
	v_fma_f32 v10, v10, v12, -v13
	v_fmac_f32_e32 v9, v11, v12
	v_add_f32_e32 v8, v8, v10
	v_add_f32_e32 v3, v3, v9
	s_andn2_b64 exec, exec, s[6:7]
	s_cbranch_execnz .LBB49_29
; %bb.30:
	s_or_b64 exec, exec, s[6:7]
	v_mov_b32_e32 v4, 0
	ds_read_b64 v[4:5], v4 offset:32
	s_waitcnt lgkmcnt(0)
	v_mul_f32_e32 v7, v3, v5
	v_mul_f32_e32 v5, v8, v5
	v_fma_f32 v7, v8, v4, -v7
	v_fmac_f32_e32 v5, v3, v4
	buffer_store_dword v7, off, s[0:3], 0 offset:32
	buffer_store_dword v5, off, s[0:3], 0 offset:36
.LBB49_31:
	s_or_b64 exec, exec, s[4:5]
	s_waitcnt lgkmcnt(0)
	; wave barrier
	buffer_load_dword v4, off, s[0:3], 0 offset:40
	buffer_load_dword v5, off, s[0:3], 0 offset:44
	v_cmp_gt_u32_e32 vcc, 5, v0
	s_waitcnt vmcnt(0)
	ds_write_b64 v1, v[4:5]
	;; [unrolled: 51-line block ×19, first 2 shown]
	s_waitcnt lgkmcnt(0)
	; wave barrier
	s_waitcnt lgkmcnt(0)
	s_and_saveexec_b64 s[4:5], vcc
	s_cbranch_execz .LBB49_103
; %bb.100:
	v_add_u32_e32 v4, -1, v0
	v_add_u32_e32 v5, 0x190, v6
	v_add_u32_e32 v7, 0, v6
	s_mov_b64 s[6:7], 0
	v_mov_b32_e32 v3, 0
	v_mov_b32_e32 v8, 0
.LBB49_101:                             ; =>This Inner Loop Header: Depth=1
	buffer_load_dword v9, v7, s[0:3], 0 offen offset:4
	buffer_load_dword v12, v7, s[0:3], 0 offen
	ds_read_b64 v[10:11], v5
	v_add_u32_e32 v4, 1, v4
	v_cmp_lt_u32_e32 vcc, 20, v4
	v_add_u32_e32 v5, 8, v5
	v_add_u32_e32 v7, 8, v7
	s_or_b64 s[6:7], vcc, s[6:7]
	s_waitcnt vmcnt(1) lgkmcnt(0)
	v_mul_f32_e32 v13, v11, v9
	v_mul_f32_e32 v9, v10, v9
	s_waitcnt vmcnt(0)
	v_fma_f32 v10, v10, v12, -v13
	v_fmac_f32_e32 v9, v11, v12
	v_add_f32_e32 v8, v8, v10
	v_add_f32_e32 v3, v3, v9
	s_andn2_b64 exec, exec, s[6:7]
	s_cbranch_execnz .LBB49_101
; %bb.102:
	s_or_b64 exec, exec, s[6:7]
	v_mov_b32_e32 v4, 0
	ds_read_b64 v[4:5], v4 offset:176
	s_waitcnt lgkmcnt(0)
	v_mul_f32_e32 v7, v3, v5
	v_mul_f32_e32 v5, v8, v5
	v_fma_f32 v7, v8, v4, -v7
	v_fmac_f32_e32 v5, v3, v4
	buffer_store_dword v7, off, s[0:3], 0 offset:176
	buffer_store_dword v5, off, s[0:3], 0 offset:180
.LBB49_103:
	s_or_b64 exec, exec, s[4:5]
	s_waitcnt lgkmcnt(0)
	; wave barrier
	buffer_load_dword v4, off, s[0:3], 0 offset:184
	buffer_load_dword v5, off, s[0:3], 0 offset:188
	v_cmp_gt_u32_e32 vcc, 23, v0
	s_waitcnt vmcnt(0)
	ds_write_b64 v1, v[4:5]
	s_waitcnt lgkmcnt(0)
	; wave barrier
	s_waitcnt lgkmcnt(0)
	s_and_saveexec_b64 s[4:5], vcc
	s_cbranch_execz .LBB49_107
; %bb.104:
	v_add_u32_e32 v4, -1, v0
	v_add_u32_e32 v5, 0x190, v6
	v_add_u32_e32 v7, 0, v6
	s_mov_b64 s[6:7], 0
	v_mov_b32_e32 v3, 0
	v_mov_b32_e32 v8, 0
.LBB49_105:                             ; =>This Inner Loop Header: Depth=1
	buffer_load_dword v9, v7, s[0:3], 0 offen offset:4
	buffer_load_dword v12, v7, s[0:3], 0 offen
	ds_read_b64 v[10:11], v5
	v_add_u32_e32 v4, 1, v4
	v_cmp_lt_u32_e32 vcc, 21, v4
	v_add_u32_e32 v5, 8, v5
	v_add_u32_e32 v7, 8, v7
	s_or_b64 s[6:7], vcc, s[6:7]
	s_waitcnt vmcnt(1) lgkmcnt(0)
	v_mul_f32_e32 v13, v11, v9
	v_mul_f32_e32 v9, v10, v9
	s_waitcnt vmcnt(0)
	v_fma_f32 v10, v10, v12, -v13
	v_fmac_f32_e32 v9, v11, v12
	v_add_f32_e32 v8, v8, v10
	v_add_f32_e32 v3, v3, v9
	s_andn2_b64 exec, exec, s[6:7]
	s_cbranch_execnz .LBB49_105
; %bb.106:
	s_or_b64 exec, exec, s[6:7]
	v_mov_b32_e32 v4, 0
	ds_read_b64 v[4:5], v4 offset:184
	s_waitcnt lgkmcnt(0)
	v_mul_f32_e32 v7, v3, v5
	v_mul_f32_e32 v5, v8, v5
	v_fma_f32 v7, v8, v4, -v7
	v_fmac_f32_e32 v5, v3, v4
	buffer_store_dword v7, off, s[0:3], 0 offset:184
	buffer_store_dword v5, off, s[0:3], 0 offset:188
.LBB49_107:
	s_or_b64 exec, exec, s[4:5]
	s_waitcnt lgkmcnt(0)
	; wave barrier
	buffer_load_dword v4, off, s[0:3], 0 offset:192
	buffer_load_dword v5, off, s[0:3], 0 offset:196
	v_cmp_gt_u32_e32 vcc, 24, v0
	s_waitcnt vmcnt(0)
	ds_write_b64 v1, v[4:5]
	;; [unrolled: 51-line block ×26, first 2 shown]
	s_waitcnt lgkmcnt(0)
	; wave barrier
	s_waitcnt lgkmcnt(0)
	s_and_saveexec_b64 s[4:5], vcc
	s_cbranch_execz .LBB49_207
; %bb.204:
	v_add_u32_e32 v4, -1, v0
	v_add_u32_e32 v5, 0x190, v6
	v_add_u32_e32 v7, 0, v6
	s_mov_b64 s[6:7], 0
	v_mov_b32_e32 v3, 0
	v_mov_b32_e32 v8, 0
.LBB49_205:                             ; =>This Inner Loop Header: Depth=1
	buffer_load_dword v9, v7, s[0:3], 0 offen offset:4
	buffer_load_dword v12, v7, s[0:3], 0 offen
	ds_read_b64 v[10:11], v5
	v_add_u32_e32 v4, 1, v4
	v_cmp_lt_u32_e32 vcc, 46, v4
	v_add_u32_e32 v5, 8, v5
	v_add_u32_e32 v7, 8, v7
	s_or_b64 s[6:7], vcc, s[6:7]
	s_waitcnt vmcnt(1) lgkmcnt(0)
	v_mul_f32_e32 v13, v11, v9
	v_mul_f32_e32 v9, v10, v9
	s_waitcnt vmcnt(0)
	v_fma_f32 v10, v10, v12, -v13
	v_fmac_f32_e32 v9, v11, v12
	v_add_f32_e32 v8, v8, v10
	v_add_f32_e32 v3, v3, v9
	s_andn2_b64 exec, exec, s[6:7]
	s_cbranch_execnz .LBB49_205
; %bb.206:
	s_or_b64 exec, exec, s[6:7]
	v_mov_b32_e32 v4, 0
	ds_read_b64 v[4:5], v4 offset:384
	s_waitcnt lgkmcnt(0)
	v_mul_f32_e32 v7, v3, v5
	v_mul_f32_e32 v5, v8, v5
	v_fma_f32 v7, v8, v4, -v7
	v_fmac_f32_e32 v5, v3, v4
	buffer_store_dword v7, off, s[0:3], 0 offset:384
	buffer_store_dword v5, off, s[0:3], 0 offset:388
.LBB49_207:
	s_or_b64 exec, exec, s[4:5]
	s_waitcnt lgkmcnt(0)
	; wave barrier
	buffer_load_dword v4, off, s[0:3], 0 offset:392
	buffer_load_dword v5, off, s[0:3], 0 offset:396
	v_cmp_ne_u32_e32 vcc, 49, v0
	s_waitcnt vmcnt(0)
	ds_write_b64 v1, v[4:5]
	s_waitcnt lgkmcnt(0)
	; wave barrier
	s_waitcnt lgkmcnt(0)
	s_and_saveexec_b64 s[4:5], vcc
	s_cbranch_execz .LBB49_211
; %bb.208:
	v_add_u32_e32 v3, 0x190, v6
	v_add_u32_e32 v4, 0, v6
	s_mov_b64 s[6:7], 0
	v_mov_b32_e32 v1, 0
	v_mov_b32_e32 v5, 0
.LBB49_209:                             ; =>This Inner Loop Header: Depth=1
	buffer_load_dword v8, v4, s[0:3], 0 offen offset:4
	buffer_load_dword v9, v4, s[0:3], 0 offen
	ds_read_b64 v[6:7], v3
	v_add_u32_e32 v2, 1, v2
	v_cmp_lt_u32_e32 vcc, 47, v2
	v_add_u32_e32 v3, 8, v3
	v_add_u32_e32 v4, 8, v4
	s_or_b64 s[6:7], vcc, s[6:7]
	s_waitcnt vmcnt(1) lgkmcnt(0)
	v_mul_f32_e32 v10, v7, v8
	v_mul_f32_e32 v8, v6, v8
	s_waitcnt vmcnt(0)
	v_fma_f32 v6, v6, v9, -v10
	v_fmac_f32_e32 v8, v7, v9
	v_add_f32_e32 v5, v5, v6
	v_add_f32_e32 v1, v1, v8
	s_andn2_b64 exec, exec, s[6:7]
	s_cbranch_execnz .LBB49_209
; %bb.210:
	s_or_b64 exec, exec, s[6:7]
	v_mov_b32_e32 v2, 0
	ds_read_b64 v[2:3], v2 offset:392
	s_waitcnt lgkmcnt(0)
	v_mul_f32_e32 v4, v1, v3
	v_mul_f32_e32 v3, v5, v3
	v_fma_f32 v4, v5, v2, -v4
	v_fmac_f32_e32 v3, v1, v2
	buffer_store_dword v4, off, s[0:3], 0 offset:392
	buffer_store_dword v3, off, s[0:3], 0 offset:396
.LBB49_211:
	s_or_b64 exec, exec, s[4:5]
	s_mov_b64 s[6:7], -1
	s_waitcnt lgkmcnt(0)
	; wave barrier
.LBB49_212:
	s_and_b64 vcc, exec, s[6:7]
	s_cbranch_vccz .LBB49_214
; %bb.213:
	s_lshl_b64 s[4:5], s[8:9], 2
	s_add_u32 s4, s14, s4
	s_addc_u32 s5, s15, s5
	v_mov_b32_e32 v1, 0
	global_load_dword v1, v1, s[4:5]
	s_waitcnt vmcnt(0)
	v_cmp_ne_u32_e32 vcc, 0, v1
	s_cbranch_vccz .LBB49_215
.LBB49_214:
	s_endpgm
.LBB49_215:
	v_mov_b32_e32 v1, 0x190
	v_lshl_add_u32 v111, v0, 3, v1
	v_cmp_eq_u32_e32 vcc, 49, v0
	s_and_saveexec_b64 s[4:5], vcc
	s_cbranch_execz .LBB49_217
; %bb.216:
	buffer_load_dword v2, off, s[0:3], 0 offset:384
	buffer_load_dword v3, off, s[0:3], 0 offset:388
	v_mov_b32_e32 v4, 0
	buffer_store_dword v4, off, s[0:3], 0 offset:384
	buffer_store_dword v4, off, s[0:3], 0 offset:388
	s_waitcnt vmcnt(2)
	ds_write_b64 v111, v[2:3]
.LBB49_217:
	s_or_b64 exec, exec, s[4:5]
	s_waitcnt lgkmcnt(0)
	; wave barrier
	s_waitcnt lgkmcnt(0)
	buffer_load_dword v5, off, s[0:3], 0 offset:396
	buffer_load_dword v4, off, s[0:3], 0 offset:392
	;; [unrolled: 1-line block ×4, first 2 shown]
	v_mov_b32_e32 v2, 0
	ds_read_b64 v[8:9], v2 offset:792
	v_cmp_lt_u32_e32 vcc, 47, v0
	s_waitcnt vmcnt(3)
	v_mov_b32_e32 v10, v5
	s_waitcnt lgkmcnt(0)
	v_pk_mul_f32 v[10:11], v[8:9], v[10:11] op_sel_hi:[1,0]
	s_waitcnt vmcnt(2)
	v_pk_fma_f32 v[12:13], v[8:9], v[4:5], v[10:11] op_sel:[0,0,1] op_sel_hi:[1,1,0] neg_lo:[0,0,1] neg_hi:[0,0,1]
	v_pk_fma_f32 v[4:5], v[8:9], v[4:5], v[10:11] op_sel:[0,0,1] op_sel_hi:[1,0,0]
	v_mov_b32_e32 v13, v5
	v_pk_add_f32 v[4:5], v[12:13], 0 op_sel_hi:[1,0]
	s_waitcnt vmcnt(0)
	v_pk_add_f32 v[4:5], v[6:7], v[4:5] neg_lo:[0,1] neg_hi:[0,1]
	buffer_store_dword v4, off, s[0:3], 0 offset:384
	buffer_store_dword v5, off, s[0:3], 0 offset:388
	s_and_saveexec_b64 s[4:5], vcc
	s_cbranch_execz .LBB49_219
; %bb.218:
	buffer_load_dword v4, off, s[0:3], 0 offset:376
	buffer_load_dword v5, off, s[0:3], 0 offset:380
	s_waitcnt vmcnt(0)
	ds_write_b64 v111, v[4:5]
	buffer_store_dword v2, off, s[0:3], 0 offset:376
	buffer_store_dword v2, off, s[0:3], 0 offset:380
.LBB49_219:
	s_or_b64 exec, exec, s[4:5]
	s_waitcnt lgkmcnt(0)
	; wave barrier
	s_waitcnt lgkmcnt(0)
	buffer_load_dword v7, off, s[0:3], 0 offset:388
	buffer_load_dword v9, off, s[0:3], 0 offset:396
	buffer_load_dword v6, off, s[0:3], 0 offset:384
	buffer_load_dword v8, off, s[0:3], 0 offset:392
	buffer_load_dword v10, off, s[0:3], 0 offset:376
	buffer_load_dword v11, off, s[0:3], 0 offset:380
	ds_read_b128 v[2:5], v2 offset:784
	v_cmp_lt_u32_e32 vcc, 46, v0
	s_waitcnt vmcnt(5)
	v_mov_b32_e32 v12, v7
	s_waitcnt vmcnt(4)
	v_mov_b32_e32 v14, v9
	s_waitcnt lgkmcnt(0)
	v_pk_mul_f32 v[12:13], v[2:3], v[12:13] op_sel_hi:[1,0]
	v_pk_mul_f32 v[14:15], v[4:5], v[14:15] op_sel_hi:[1,0]
	s_waitcnt vmcnt(3)
	v_pk_fma_f32 v[16:17], v[2:3], v[6:7], v[12:13] op_sel:[0,0,1] op_sel_hi:[1,1,0] neg_lo:[0,0,1] neg_hi:[0,0,1]
	v_pk_fma_f32 v[2:3], v[2:3], v[6:7], v[12:13] op_sel:[0,0,1] op_sel_hi:[1,0,0]
	s_waitcnt vmcnt(2)
	v_pk_fma_f32 v[6:7], v[4:5], v[8:9], v[14:15] op_sel:[0,0,1] op_sel_hi:[1,1,0] neg_lo:[0,0,1] neg_hi:[0,0,1]
	v_pk_fma_f32 v[4:5], v[4:5], v[8:9], v[14:15] op_sel:[0,0,1] op_sel_hi:[1,0,0]
	v_mov_b32_e32 v17, v3
	v_mov_b32_e32 v7, v5
	v_pk_add_f32 v[2:3], v[16:17], 0 op_sel_hi:[1,0]
	v_pk_add_f32 v[2:3], v[2:3], v[6:7]
	s_waitcnt vmcnt(0)
	v_pk_add_f32 v[2:3], v[10:11], v[2:3] neg_lo:[0,1] neg_hi:[0,1]
	buffer_store_dword v2, off, s[0:3], 0 offset:376
	buffer_store_dword v3, off, s[0:3], 0 offset:380
	s_and_saveexec_b64 s[4:5], vcc
	s_cbranch_execz .LBB49_221
; %bb.220:
	buffer_load_dword v2, off, s[0:3], 0 offset:368
	buffer_load_dword v3, off, s[0:3], 0 offset:372
	v_mov_b32_e32 v4, 0
	buffer_store_dword v4, off, s[0:3], 0 offset:368
	buffer_store_dword v4, off, s[0:3], 0 offset:372
	s_waitcnt vmcnt(2)
	ds_write_b64 v111, v[2:3]
.LBB49_221:
	s_or_b64 exec, exec, s[4:5]
	s_waitcnt lgkmcnt(0)
	; wave barrier
	s_waitcnt lgkmcnt(0)
	buffer_load_dword v9, off, s[0:3], 0 offset:380
	buffer_load_dword v11, off, s[0:3], 0 offset:388
	;; [unrolled: 1-line block ×8, first 2 shown]
	v_mov_b32_e32 v2, 0
	ds_read2_b64 v[4:7], v2 offset0:97 offset1:98
	ds_read_b64 v[16:17], v2 offset:792
	v_cmp_lt_u32_e32 vcc, 45, v0
	s_waitcnt vmcnt(7)
	v_mov_b32_e32 v18, v9
	s_waitcnt vmcnt(6)
	v_mov_b32_e32 v20, v11
	s_waitcnt lgkmcnt(1)
	v_pk_mul_f32 v[18:19], v[4:5], v[18:19] op_sel_hi:[1,0]
	s_waitcnt vmcnt(5)
	v_mov_b32_e32 v22, v13
	v_pk_mul_f32 v[20:21], v[6:7], v[20:21] op_sel_hi:[1,0]
	s_waitcnt vmcnt(4)
	v_pk_fma_f32 v[24:25], v[4:5], v[8:9], v[18:19] op_sel:[0,0,1] op_sel_hi:[1,1,0] neg_lo:[0,0,1] neg_hi:[0,0,1]
	v_pk_fma_f32 v[4:5], v[4:5], v[8:9], v[18:19] op_sel:[0,0,1] op_sel_hi:[1,0,0]
	s_waitcnt lgkmcnt(0)
	v_pk_mul_f32 v[22:23], v[16:17], v[22:23] op_sel_hi:[1,0]
	s_waitcnt vmcnt(3)
	v_pk_fma_f32 v[8:9], v[6:7], v[10:11], v[20:21] op_sel:[0,0,1] op_sel_hi:[1,1,0] neg_lo:[0,0,1] neg_hi:[0,0,1]
	v_pk_fma_f32 v[6:7], v[6:7], v[10:11], v[20:21] op_sel:[0,0,1] op_sel_hi:[1,0,0]
	v_mov_b32_e32 v25, v5
	s_waitcnt vmcnt(2)
	v_pk_fma_f32 v[10:11], v[16:17], v[12:13], v[22:23] op_sel:[0,0,1] op_sel_hi:[1,1,0] neg_lo:[0,0,1] neg_hi:[0,0,1]
	v_pk_fma_f32 v[12:13], v[16:17], v[12:13], v[22:23] op_sel:[0,0,1] op_sel_hi:[1,0,0]
	v_mov_b32_e32 v9, v7
	v_pk_add_f32 v[4:5], v[24:25], 0 op_sel_hi:[1,0]
	v_mov_b32_e32 v11, v13
	v_pk_add_f32 v[4:5], v[4:5], v[8:9]
	v_pk_add_f32 v[4:5], v[4:5], v[10:11]
	s_waitcnt vmcnt(0)
	v_pk_add_f32 v[4:5], v[14:15], v[4:5] neg_lo:[0,1] neg_hi:[0,1]
	buffer_store_dword v4, off, s[0:3], 0 offset:368
	buffer_store_dword v5, off, s[0:3], 0 offset:372
	s_and_saveexec_b64 s[4:5], vcc
	s_cbranch_execz .LBB49_223
; %bb.222:
	buffer_load_dword v4, off, s[0:3], 0 offset:360
	buffer_load_dword v5, off, s[0:3], 0 offset:364
	s_waitcnt vmcnt(0)
	ds_write_b64 v111, v[4:5]
	buffer_store_dword v2, off, s[0:3], 0 offset:360
	buffer_store_dword v2, off, s[0:3], 0 offset:364
.LBB49_223:
	s_or_b64 exec, exec, s[4:5]
	s_waitcnt lgkmcnt(0)
	; wave barrier
	s_waitcnt lgkmcnt(0)
	buffer_load_dword v12, off, s[0:3], 0 offset:360
	buffer_load_dword v13, off, s[0:3], 0 offset:364
	;; [unrolled: 1-line block ×10, first 2 shown]
	ds_read_b128 v[4:7], v2 offset:768
	ds_read_b128 v[8:11], v2 offset:784
	v_cmp_lt_u32_e32 vcc, 44, v0
	s_waitcnt vmcnt(6)
	v_mov_b32_e32 v2, v15
	s_waitcnt lgkmcnt(1)
	v_pk_mul_f32 v[2:3], v[4:5], v[2:3] op_sel_hi:[1,0]
	v_pk_fma_f32 v[22:23], v[4:5], v[14:15], v[2:3] op_sel:[0,0,1] op_sel_hi:[1,1,0] neg_lo:[0,0,1] neg_hi:[0,0,1]
	v_pk_fma_f32 v[2:3], v[4:5], v[14:15], v[2:3] op_sel:[0,0,1] op_sel_hi:[1,0,0]
	s_waitcnt vmcnt(4)
	v_mov_b32_e32 v4, v17
	v_pk_mul_f32 v[4:5], v[6:7], v[4:5] op_sel_hi:[1,0]
	v_pk_fma_f32 v[14:15], v[6:7], v[16:17], v[4:5] op_sel:[0,0,1] op_sel_hi:[1,1,0] neg_lo:[0,0,1] neg_hi:[0,0,1]
	v_pk_fma_f32 v[4:5], v[6:7], v[16:17], v[4:5] op_sel:[0,0,1] op_sel_hi:[1,0,0]
	s_waitcnt vmcnt(2)
	v_mov_b32_e32 v4, v19
	v_mov_b32_e32 v15, v5
	s_waitcnt lgkmcnt(0)
	v_pk_mul_f32 v[4:5], v[8:9], v[4:5] op_sel_hi:[1,0]
	v_mov_b32_e32 v23, v3
	v_pk_fma_f32 v[6:7], v[8:9], v[18:19], v[4:5] op_sel:[0,0,1] op_sel_hi:[1,1,0] neg_lo:[0,0,1] neg_hi:[0,0,1]
	v_pk_fma_f32 v[4:5], v[8:9], v[18:19], v[4:5] op_sel:[0,0,1] op_sel_hi:[1,0,0]
	v_pk_add_f32 v[2:3], v[22:23], 0 op_sel_hi:[1,0]
	s_waitcnt vmcnt(0)
	v_mov_b32_e32 v4, v21
	v_pk_add_f32 v[2:3], v[2:3], v[14:15]
	v_mov_b32_e32 v7, v5
	v_pk_mul_f32 v[4:5], v[10:11], v[4:5] op_sel_hi:[1,0]
	v_pk_add_f32 v[2:3], v[2:3], v[6:7]
	v_pk_fma_f32 v[6:7], v[10:11], v[20:21], v[4:5] op_sel:[0,0,1] op_sel_hi:[1,1,0] neg_lo:[0,0,1] neg_hi:[0,0,1]
	v_pk_fma_f32 v[4:5], v[10:11], v[20:21], v[4:5] op_sel:[0,0,1] op_sel_hi:[1,0,0]
	v_mov_b32_e32 v7, v5
	v_pk_add_f32 v[2:3], v[2:3], v[6:7]
	v_pk_add_f32 v[2:3], v[12:13], v[2:3] neg_lo:[0,1] neg_hi:[0,1]
	buffer_store_dword v2, off, s[0:3], 0 offset:360
	buffer_store_dword v3, off, s[0:3], 0 offset:364
	s_and_saveexec_b64 s[4:5], vcc
	s_cbranch_execz .LBB49_225
; %bb.224:
	buffer_load_dword v2, off, s[0:3], 0 offset:352
	buffer_load_dword v3, off, s[0:3], 0 offset:356
	v_mov_b32_e32 v4, 0
	buffer_store_dword v4, off, s[0:3], 0 offset:352
	buffer_store_dword v4, off, s[0:3], 0 offset:356
	s_waitcnt vmcnt(2)
	ds_write_b64 v111, v[2:3]
.LBB49_225:
	s_or_b64 exec, exec, s[4:5]
	s_waitcnt lgkmcnt(0)
	; wave barrier
	s_waitcnt lgkmcnt(0)
	buffer_load_dword v13, off, s[0:3], 0 offset:364
	buffer_load_dword v15, off, s[0:3], 0 offset:372
	;; [unrolled: 1-line block ×12, first 2 shown]
	v_mov_b32_e32 v2, 0
	ds_read2_b64 v[4:7], v2 offset0:95 offset1:96
	ds_read2_b64 v[8:11], v2 offset0:97 offset1:98
	ds_read_b64 v[24:25], v2 offset:792
	v_cmp_lt_u32_e32 vcc, 43, v0
	s_waitcnt vmcnt(11)
	v_mov_b32_e32 v26, v13
	s_waitcnt vmcnt(10)
	v_mov_b32_e32 v28, v15
	s_waitcnt lgkmcnt(2)
	v_pk_mul_f32 v[26:27], v[4:5], v[26:27] op_sel_hi:[1,0]
	s_waitcnt vmcnt(9)
	v_mov_b32_e32 v30, v17
	v_pk_mul_f32 v[28:29], v[6:7], v[28:29] op_sel_hi:[1,0]
	s_waitcnt vmcnt(6)
	v_pk_fma_f32 v[36:37], v[4:5], v[12:13], v[26:27] op_sel:[0,0,1] op_sel_hi:[1,1,0] neg_lo:[0,0,1] neg_hi:[0,0,1]
	v_pk_fma_f32 v[4:5], v[4:5], v[12:13], v[26:27] op_sel:[0,0,1] op_sel_hi:[1,0,0]
	v_mov_b32_e32 v32, v19
	s_waitcnt lgkmcnt(1)
	v_pk_mul_f32 v[30:31], v[8:9], v[30:31] op_sel_hi:[1,0]
	s_waitcnt vmcnt(5)
	v_pk_fma_f32 v[12:13], v[6:7], v[14:15], v[28:29] op_sel:[0,0,1] op_sel_hi:[1,1,0] neg_lo:[0,0,1] neg_hi:[0,0,1]
	v_pk_fma_f32 v[6:7], v[6:7], v[14:15], v[28:29] op_sel:[0,0,1] op_sel_hi:[1,0,0]
	v_mov_b32_e32 v37, v5
	v_mov_b32_e32 v34, v21
	v_pk_mul_f32 v[32:33], v[10:11], v[32:33] op_sel_hi:[1,0]
	s_waitcnt vmcnt(4)
	v_pk_fma_f32 v[14:15], v[8:9], v[16:17], v[30:31] op_sel:[0,0,1] op_sel_hi:[1,1,0] neg_lo:[0,0,1] neg_hi:[0,0,1]
	v_pk_fma_f32 v[8:9], v[8:9], v[16:17], v[30:31] op_sel:[0,0,1] op_sel_hi:[1,0,0]
	v_mov_b32_e32 v13, v7
	v_pk_add_f32 v[4:5], v[36:37], 0 op_sel_hi:[1,0]
	s_waitcnt lgkmcnt(0)
	v_pk_mul_f32 v[34:35], v[24:25], v[34:35] op_sel_hi:[1,0]
	s_waitcnt vmcnt(3)
	v_pk_fma_f32 v[16:17], v[10:11], v[18:19], v[32:33] op_sel:[0,0,1] op_sel_hi:[1,1,0] neg_lo:[0,0,1] neg_hi:[0,0,1]
	v_pk_fma_f32 v[10:11], v[10:11], v[18:19], v[32:33] op_sel:[0,0,1] op_sel_hi:[1,0,0]
	v_mov_b32_e32 v15, v9
	v_pk_add_f32 v[4:5], v[4:5], v[12:13]
	s_waitcnt vmcnt(2)
	v_pk_fma_f32 v[18:19], v[24:25], v[20:21], v[34:35] op_sel:[0,0,1] op_sel_hi:[1,1,0] neg_lo:[0,0,1] neg_hi:[0,0,1]
	v_pk_fma_f32 v[20:21], v[24:25], v[20:21], v[34:35] op_sel:[0,0,1] op_sel_hi:[1,0,0]
	v_mov_b32_e32 v17, v11
	v_pk_add_f32 v[4:5], v[4:5], v[14:15]
	v_mov_b32_e32 v19, v21
	v_pk_add_f32 v[4:5], v[4:5], v[16:17]
	v_pk_add_f32 v[4:5], v[4:5], v[18:19]
	s_waitcnt vmcnt(0)
	v_pk_add_f32 v[4:5], v[22:23], v[4:5] neg_lo:[0,1] neg_hi:[0,1]
	buffer_store_dword v4, off, s[0:3], 0 offset:352
	buffer_store_dword v5, off, s[0:3], 0 offset:356
	s_and_saveexec_b64 s[4:5], vcc
	s_cbranch_execz .LBB49_227
; %bb.226:
	buffer_load_dword v4, off, s[0:3], 0 offset:344
	buffer_load_dword v5, off, s[0:3], 0 offset:348
	s_waitcnt vmcnt(0)
	ds_write_b64 v111, v[4:5]
	buffer_store_dword v2, off, s[0:3], 0 offset:344
	buffer_store_dword v2, off, s[0:3], 0 offset:348
.LBB49_227:
	s_or_b64 exec, exec, s[4:5]
	s_waitcnt lgkmcnt(0)
	; wave barrier
	s_waitcnt lgkmcnt(0)
	buffer_load_dword v17, off, s[0:3], 0 offset:356
	buffer_load_dword v19, off, s[0:3], 0 offset:364
	;; [unrolled: 1-line block ×14, first 2 shown]
	ds_read_b128 v[4:7], v2 offset:752
	ds_read_b128 v[8:11], v2 offset:768
	;; [unrolled: 1-line block ×3, first 2 shown]
	v_cmp_lt_u32_e32 vcc, 42, v0
	s_waitcnt vmcnt(13)
	v_mov_b32_e32 v2, v17
	s_waitcnt vmcnt(12)
	v_mov_b32_e32 v30, v19
	s_waitcnt lgkmcnt(2)
	v_pk_mul_f32 v[2:3], v[4:5], v[2:3] op_sel_hi:[1,0]
	s_waitcnt vmcnt(11)
	v_mov_b32_e32 v32, v21
	v_pk_mul_f32 v[30:31], v[6:7], v[30:31] op_sel_hi:[1,0]
	s_waitcnt vmcnt(10)
	v_mov_b32_e32 v34, v23
	s_waitcnt vmcnt(7)
	v_pk_fma_f32 v[40:41], v[4:5], v[16:17], v[2:3] op_sel:[0,0,1] op_sel_hi:[1,1,0] neg_lo:[0,0,1] neg_hi:[0,0,1]
	v_pk_fma_f32 v[2:3], v[4:5], v[16:17], v[2:3] op_sel:[0,0,1] op_sel_hi:[1,0,0]
	s_waitcnt lgkmcnt(1)
	v_pk_mul_f32 v[32:33], v[8:9], v[32:33] op_sel_hi:[1,0]
	s_waitcnt vmcnt(6)
	v_pk_fma_f32 v[4:5], v[6:7], v[18:19], v[30:31] op_sel:[0,0,1] op_sel_hi:[1,1,0] neg_lo:[0,0,1] neg_hi:[0,0,1]
	v_pk_fma_f32 v[6:7], v[6:7], v[18:19], v[30:31] op_sel:[0,0,1] op_sel_hi:[1,0,0]
	v_mov_b32_e32 v41, v3
	v_mov_b32_e32 v36, v25
	v_pk_mul_f32 v[34:35], v[10:11], v[34:35] op_sel_hi:[1,0]
	s_waitcnt vmcnt(5)
	v_pk_fma_f32 v[16:17], v[8:9], v[20:21], v[32:33] op_sel:[0,0,1] op_sel_hi:[1,1,0] neg_lo:[0,0,1] neg_hi:[0,0,1]
	v_pk_fma_f32 v[8:9], v[8:9], v[20:21], v[32:33] op_sel:[0,0,1] op_sel_hi:[1,0,0]
	v_mov_b32_e32 v5, v7
	v_pk_add_f32 v[2:3], v[40:41], 0 op_sel_hi:[1,0]
	v_mov_b32_e32 v38, v27
	s_waitcnt lgkmcnt(0)
	v_pk_mul_f32 v[36:37], v[12:13], v[36:37] op_sel_hi:[1,0]
	s_waitcnt vmcnt(4)
	v_pk_fma_f32 v[18:19], v[10:11], v[22:23], v[34:35] op_sel:[0,0,1] op_sel_hi:[1,1,0] neg_lo:[0,0,1] neg_hi:[0,0,1]
	v_pk_fma_f32 v[10:11], v[10:11], v[22:23], v[34:35] op_sel:[0,0,1] op_sel_hi:[1,0,0]
	v_mov_b32_e32 v17, v9
	v_pk_add_f32 v[2:3], v[2:3], v[4:5]
	v_pk_mul_f32 v[38:39], v[14:15], v[38:39] op_sel_hi:[1,0]
	s_waitcnt vmcnt(3)
	v_pk_fma_f32 v[20:21], v[12:13], v[24:25], v[36:37] op_sel:[0,0,1] op_sel_hi:[1,1,0] neg_lo:[0,0,1] neg_hi:[0,0,1]
	v_pk_fma_f32 v[12:13], v[12:13], v[24:25], v[36:37] op_sel:[0,0,1] op_sel_hi:[1,0,0]
	v_mov_b32_e32 v19, v11
	v_pk_add_f32 v[2:3], v[2:3], v[16:17]
	s_waitcnt vmcnt(2)
	v_pk_fma_f32 v[22:23], v[14:15], v[26:27], v[38:39] op_sel:[0,0,1] op_sel_hi:[1,1,0] neg_lo:[0,0,1] neg_hi:[0,0,1]
	v_pk_fma_f32 v[14:15], v[14:15], v[26:27], v[38:39] op_sel:[0,0,1] op_sel_hi:[1,0,0]
	v_mov_b32_e32 v21, v13
	v_pk_add_f32 v[2:3], v[2:3], v[18:19]
	v_mov_b32_e32 v23, v15
	v_pk_add_f32 v[2:3], v[2:3], v[20:21]
	v_pk_add_f32 v[2:3], v[2:3], v[22:23]
	s_waitcnt vmcnt(0)
	v_pk_add_f32 v[2:3], v[28:29], v[2:3] neg_lo:[0,1] neg_hi:[0,1]
	buffer_store_dword v2, off, s[0:3], 0 offset:344
	buffer_store_dword v3, off, s[0:3], 0 offset:348
	s_and_saveexec_b64 s[4:5], vcc
	s_cbranch_execz .LBB49_229
; %bb.228:
	buffer_load_dword v2, off, s[0:3], 0 offset:336
	buffer_load_dword v3, off, s[0:3], 0 offset:340
	v_mov_b32_e32 v4, 0
	buffer_store_dword v4, off, s[0:3], 0 offset:336
	buffer_store_dword v4, off, s[0:3], 0 offset:340
	s_waitcnt vmcnt(2)
	ds_write_b64 v111, v[2:3]
.LBB49_229:
	s_or_b64 exec, exec, s[4:5]
	s_waitcnt lgkmcnt(0)
	; wave barrier
	s_waitcnt lgkmcnt(0)
	buffer_load_dword v17, off, s[0:3], 0 offset:348
	buffer_load_dword v19, off, s[0:3], 0 offset:356
	buffer_load_dword v21, off, s[0:3], 0 offset:364
	buffer_load_dword v23, off, s[0:3], 0 offset:372
	buffer_load_dword v25, off, s[0:3], 0 offset:380
	buffer_load_dword v27, off, s[0:3], 0 offset:388
	buffer_load_dword v29, off, s[0:3], 0 offset:396
	buffer_load_dword v16, off, s[0:3], 0 offset:344
	buffer_load_dword v18, off, s[0:3], 0 offset:352
	buffer_load_dword v20, off, s[0:3], 0 offset:360
	buffer_load_dword v22, off, s[0:3], 0 offset:368
	buffer_load_dword v24, off, s[0:3], 0 offset:376
	buffer_load_dword v26, off, s[0:3], 0 offset:384
	buffer_load_dword v28, off, s[0:3], 0 offset:392
	buffer_load_dword v30, off, s[0:3], 0 offset:336
	buffer_load_dword v31, off, s[0:3], 0 offset:340
	v_mov_b32_e32 v2, 0
	ds_read2_b64 v[4:7], v2 offset0:93 offset1:94
	ds_read2_b64 v[8:11], v2 offset0:95 offset1:96
	;; [unrolled: 1-line block ×3, first 2 shown]
	ds_read_b64 v[32:33], v2 offset:792
	v_cmp_lt_u32_e32 vcc, 41, v0
	s_waitcnt vmcnt(15)
	v_mov_b32_e32 v34, v17
	s_waitcnt vmcnt(14)
	v_mov_b32_e32 v36, v19
	s_waitcnt lgkmcnt(3)
	v_pk_mul_f32 v[34:35], v[4:5], v[34:35] op_sel_hi:[1,0]
	s_waitcnt vmcnt(13)
	v_mov_b32_e32 v38, v21
	v_pk_mul_f32 v[36:37], v[6:7], v[36:37] op_sel_hi:[1,0]
	s_waitcnt vmcnt(12)
	v_mov_b32_e32 v40, v23
	s_waitcnt lgkmcnt(2)
	v_pk_mul_f32 v[38:39], v[8:9], v[38:39] op_sel_hi:[1,0]
	s_waitcnt vmcnt(8)
	v_pk_fma_f32 v[48:49], v[4:5], v[16:17], v[34:35] op_sel:[0,0,1] op_sel_hi:[1,1,0] neg_lo:[0,0,1] neg_hi:[0,0,1]
	v_pk_fma_f32 v[4:5], v[4:5], v[16:17], v[34:35] op_sel:[0,0,1] op_sel_hi:[1,0,0]
	s_waitcnt vmcnt(7)
	v_pk_fma_f32 v[16:17], v[6:7], v[18:19], v[36:37] op_sel:[0,0,1] op_sel_hi:[1,1,0] neg_lo:[0,0,1] neg_hi:[0,0,1]
	v_pk_fma_f32 v[6:7], v[6:7], v[18:19], v[36:37] op_sel:[0,0,1] op_sel_hi:[1,0,0]
	v_mov_b32_e32 v49, v5
	v_mov_b32_e32 v42, v25
	v_pk_mul_f32 v[40:41], v[10:11], v[40:41] op_sel_hi:[1,0]
	s_waitcnt vmcnt(6)
	v_pk_fma_f32 v[18:19], v[8:9], v[20:21], v[38:39] op_sel:[0,0,1] op_sel_hi:[1,1,0] neg_lo:[0,0,1] neg_hi:[0,0,1]
	v_pk_fma_f32 v[8:9], v[8:9], v[20:21], v[38:39] op_sel:[0,0,1] op_sel_hi:[1,0,0]
	v_mov_b32_e32 v17, v7
	v_pk_add_f32 v[4:5], v[48:49], 0 op_sel_hi:[1,0]
	v_mov_b32_e32 v44, v27
	s_waitcnt lgkmcnt(1)
	v_pk_mul_f32 v[42:43], v[12:13], v[42:43] op_sel_hi:[1,0]
	s_waitcnt vmcnt(5)
	v_pk_fma_f32 v[20:21], v[10:11], v[22:23], v[40:41] op_sel:[0,0,1] op_sel_hi:[1,1,0] neg_lo:[0,0,1] neg_hi:[0,0,1]
	v_pk_fma_f32 v[10:11], v[10:11], v[22:23], v[40:41] op_sel:[0,0,1] op_sel_hi:[1,0,0]
	v_mov_b32_e32 v19, v9
	v_pk_add_f32 v[4:5], v[4:5], v[16:17]
	v_mov_b32_e32 v46, v29
	v_pk_mul_f32 v[44:45], v[14:15], v[44:45] op_sel_hi:[1,0]
	s_waitcnt vmcnt(4)
	v_pk_fma_f32 v[22:23], v[12:13], v[24:25], v[42:43] op_sel:[0,0,1] op_sel_hi:[1,1,0] neg_lo:[0,0,1] neg_hi:[0,0,1]
	v_pk_fma_f32 v[12:13], v[12:13], v[24:25], v[42:43] op_sel:[0,0,1] op_sel_hi:[1,0,0]
	v_mov_b32_e32 v21, v11
	v_pk_add_f32 v[4:5], v[4:5], v[18:19]
	s_waitcnt lgkmcnt(0)
	v_pk_mul_f32 v[46:47], v[32:33], v[46:47] op_sel_hi:[1,0]
	s_waitcnt vmcnt(3)
	v_pk_fma_f32 v[24:25], v[14:15], v[26:27], v[44:45] op_sel:[0,0,1] op_sel_hi:[1,1,0] neg_lo:[0,0,1] neg_hi:[0,0,1]
	v_pk_fma_f32 v[14:15], v[14:15], v[26:27], v[44:45] op_sel:[0,0,1] op_sel_hi:[1,0,0]
	v_mov_b32_e32 v23, v13
	v_pk_add_f32 v[4:5], v[4:5], v[20:21]
	s_waitcnt vmcnt(2)
	v_pk_fma_f32 v[26:27], v[32:33], v[28:29], v[46:47] op_sel:[0,0,1] op_sel_hi:[1,1,0] neg_lo:[0,0,1] neg_hi:[0,0,1]
	v_pk_fma_f32 v[28:29], v[32:33], v[28:29], v[46:47] op_sel:[0,0,1] op_sel_hi:[1,0,0]
	v_mov_b32_e32 v25, v15
	v_pk_add_f32 v[4:5], v[4:5], v[22:23]
	v_mov_b32_e32 v27, v29
	v_pk_add_f32 v[4:5], v[4:5], v[24:25]
	v_pk_add_f32 v[4:5], v[4:5], v[26:27]
	s_waitcnt vmcnt(0)
	v_pk_add_f32 v[4:5], v[30:31], v[4:5] neg_lo:[0,1] neg_hi:[0,1]
	buffer_store_dword v4, off, s[0:3], 0 offset:336
	buffer_store_dword v5, off, s[0:3], 0 offset:340
	s_and_saveexec_b64 s[4:5], vcc
	s_cbranch_execz .LBB49_231
; %bb.230:
	buffer_load_dword v4, off, s[0:3], 0 offset:328
	buffer_load_dword v5, off, s[0:3], 0 offset:332
	s_waitcnt vmcnt(0)
	ds_write_b64 v111, v[4:5]
	buffer_store_dword v2, off, s[0:3], 0 offset:328
	buffer_store_dword v2, off, s[0:3], 0 offset:332
.LBB49_231:
	s_or_b64 exec, exec, s[4:5]
	s_waitcnt lgkmcnt(0)
	; wave barrier
	s_waitcnt lgkmcnt(0)
	buffer_load_dword v21, off, s[0:3], 0 offset:340
	buffer_load_dword v23, off, s[0:3], 0 offset:348
	;; [unrolled: 1-line block ×18, first 2 shown]
	ds_read_b128 v[4:7], v2 offset:736
	ds_read_b128 v[8:11], v2 offset:752
	;; [unrolled: 1-line block ×4, first 2 shown]
	v_cmp_lt_u32_e32 vcc, 40, v0
	s_waitcnt vmcnt(17)
	v_mov_b32_e32 v2, v21
	s_waitcnt vmcnt(16)
	v_mov_b32_e32 v38, v23
	s_waitcnt lgkmcnt(3)
	v_pk_mul_f32 v[2:3], v[4:5], v[2:3] op_sel_hi:[1,0]
	s_waitcnt vmcnt(15)
	v_mov_b32_e32 v40, v25
	v_pk_mul_f32 v[38:39], v[6:7], v[38:39] op_sel_hi:[1,0]
	s_waitcnt vmcnt(14)
	v_mov_b32_e32 v42, v27
	s_waitcnt lgkmcnt(2)
	v_pk_mul_f32 v[40:41], v[8:9], v[40:41] op_sel_hi:[1,0]
	s_waitcnt vmcnt(13)
	v_mov_b32_e32 v44, v29
	s_waitcnt vmcnt(9)
	v_pk_fma_f32 v[52:53], v[4:5], v[20:21], v[2:3] op_sel:[0,0,1] op_sel_hi:[1,1,0] neg_lo:[0,0,1] neg_hi:[0,0,1]
	v_pk_fma_f32 v[2:3], v[4:5], v[20:21], v[2:3] op_sel:[0,0,1] op_sel_hi:[1,0,0]
	s_waitcnt vmcnt(8)
	v_pk_fma_f32 v[4:5], v[6:7], v[22:23], v[38:39] op_sel:[0,0,1] op_sel_hi:[1,1,0] neg_lo:[0,0,1] neg_hi:[0,0,1]
	v_pk_fma_f32 v[6:7], v[6:7], v[22:23], v[38:39] op_sel:[0,0,1] op_sel_hi:[1,0,0]
	v_mov_b32_e32 v53, v3
	v_pk_mul_f32 v[42:43], v[10:11], v[42:43] op_sel_hi:[1,0]
	s_waitcnt vmcnt(7)
	v_pk_fma_f32 v[20:21], v[8:9], v[24:25], v[40:41] op_sel:[0,0,1] op_sel_hi:[1,1,0] neg_lo:[0,0,1] neg_hi:[0,0,1]
	v_pk_fma_f32 v[8:9], v[8:9], v[24:25], v[40:41] op_sel:[0,0,1] op_sel_hi:[1,0,0]
	v_mov_b32_e32 v5, v7
	v_pk_add_f32 v[2:3], v[52:53], 0 op_sel_hi:[1,0]
	v_mov_b32_e32 v46, v31
	s_waitcnt lgkmcnt(1)
	v_pk_mul_f32 v[44:45], v[12:13], v[44:45] op_sel_hi:[1,0]
	s_waitcnt vmcnt(6)
	v_pk_fma_f32 v[22:23], v[10:11], v[26:27], v[42:43] op_sel:[0,0,1] op_sel_hi:[1,1,0] neg_lo:[0,0,1] neg_hi:[0,0,1]
	v_pk_fma_f32 v[10:11], v[10:11], v[26:27], v[42:43] op_sel:[0,0,1] op_sel_hi:[1,0,0]
	v_mov_b32_e32 v21, v9
	v_pk_add_f32 v[2:3], v[2:3], v[4:5]
	v_mov_b32_e32 v48, v33
	v_pk_mul_f32 v[46:47], v[14:15], v[46:47] op_sel_hi:[1,0]
	s_waitcnt vmcnt(5)
	v_pk_fma_f32 v[24:25], v[12:13], v[28:29], v[44:45] op_sel:[0,0,1] op_sel_hi:[1,1,0] neg_lo:[0,0,1] neg_hi:[0,0,1]
	v_pk_fma_f32 v[12:13], v[12:13], v[28:29], v[44:45] op_sel:[0,0,1] op_sel_hi:[1,0,0]
	v_mov_b32_e32 v23, v11
	v_pk_add_f32 v[2:3], v[2:3], v[20:21]
	v_mov_b32_e32 v50, v35
	s_waitcnt lgkmcnt(0)
	v_pk_mul_f32 v[48:49], v[16:17], v[48:49] op_sel_hi:[1,0]
	s_waitcnt vmcnt(4)
	v_pk_fma_f32 v[26:27], v[14:15], v[30:31], v[46:47] op_sel:[0,0,1] op_sel_hi:[1,1,0] neg_lo:[0,0,1] neg_hi:[0,0,1]
	v_pk_fma_f32 v[14:15], v[14:15], v[30:31], v[46:47] op_sel:[0,0,1] op_sel_hi:[1,0,0]
	v_mov_b32_e32 v25, v13
	v_pk_add_f32 v[2:3], v[2:3], v[22:23]
	v_pk_mul_f32 v[50:51], v[18:19], v[50:51] op_sel_hi:[1,0]
	s_waitcnt vmcnt(3)
	v_pk_fma_f32 v[28:29], v[16:17], v[32:33], v[48:49] op_sel:[0,0,1] op_sel_hi:[1,1,0] neg_lo:[0,0,1] neg_hi:[0,0,1]
	v_pk_fma_f32 v[16:17], v[16:17], v[32:33], v[48:49] op_sel:[0,0,1] op_sel_hi:[1,0,0]
	v_mov_b32_e32 v27, v15
	v_pk_add_f32 v[2:3], v[2:3], v[24:25]
	s_waitcnt vmcnt(2)
	v_pk_fma_f32 v[30:31], v[18:19], v[34:35], v[50:51] op_sel:[0,0,1] op_sel_hi:[1,1,0] neg_lo:[0,0,1] neg_hi:[0,0,1]
	v_pk_fma_f32 v[18:19], v[18:19], v[34:35], v[50:51] op_sel:[0,0,1] op_sel_hi:[1,0,0]
	v_mov_b32_e32 v29, v17
	v_pk_add_f32 v[2:3], v[2:3], v[26:27]
	v_mov_b32_e32 v31, v19
	v_pk_add_f32 v[2:3], v[2:3], v[28:29]
	v_pk_add_f32 v[2:3], v[2:3], v[30:31]
	s_waitcnt vmcnt(0)
	v_pk_add_f32 v[2:3], v[36:37], v[2:3] neg_lo:[0,1] neg_hi:[0,1]
	buffer_store_dword v2, off, s[0:3], 0 offset:328
	buffer_store_dword v3, off, s[0:3], 0 offset:332
	s_and_saveexec_b64 s[4:5], vcc
	s_cbranch_execz .LBB49_233
; %bb.232:
	buffer_load_dword v2, off, s[0:3], 0 offset:320
	buffer_load_dword v3, off, s[0:3], 0 offset:324
	v_mov_b32_e32 v4, 0
	buffer_store_dword v4, off, s[0:3], 0 offset:320
	buffer_store_dword v4, off, s[0:3], 0 offset:324
	s_waitcnt vmcnt(2)
	ds_write_b64 v111, v[2:3]
.LBB49_233:
	s_or_b64 exec, exec, s[4:5]
	s_waitcnt lgkmcnt(0)
	; wave barrier
	s_waitcnt lgkmcnt(0)
	buffer_load_dword v3, off, s[0:3], 0 offset:332
	buffer_load_dword v21, off, s[0:3], 0 offset:340
	;; [unrolled: 1-line block ×20, first 2 shown]
	v_mov_b32_e32 v2, 0
	ds_read2_b64 v[4:7], v2 offset0:91 offset1:92
	ds_read2_b64 v[8:11], v2 offset0:93 offset1:94
	;; [unrolled: 1-line block ×4, first 2 shown]
	ds_read_b64 v[38:39], v2 offset:792
	v_cmp_lt_u32_e32 vcc, 39, v0
	s_waitcnt vmcnt(19) lgkmcnt(4)
	v_mul_f32_e32 v41, v4, v3
	v_mul_f32_e32 v3, v5, v3
	s_waitcnt vmcnt(18)
	v_mov_b32_e32 v42, v21
	s_waitcnt vmcnt(17)
	v_mov_b32_e32 v44, v23
	;; [unrolled: 2-line block ×8, first 2 shown]
	s_waitcnt vmcnt(10)
	v_fmac_f32_e32 v41, v5, v40
	v_fma_f32 v40, v4, v40, -v3
	v_pk_mul_f32 v[4:5], v[6:7], v[42:43] op_sel_hi:[1,0]
	s_waitcnt lgkmcnt(3)
	v_pk_mul_f32 v[42:43], v[8:9], v[44:45] op_sel_hi:[1,0]
	v_pk_mul_f32 v[44:45], v[10:11], v[46:47] op_sel_hi:[1,0]
	s_waitcnt lgkmcnt(2)
	v_pk_mul_f32 v[46:47], v[12:13], v[48:49] op_sel_hi:[1,0]
	;; [unrolled: 3-line block ×4, first 2 shown]
	s_waitcnt vmcnt(9)
	v_pk_fma_f32 v[56:57], v[6:7], v[20:21], v[4:5] op_sel:[0,0,1] op_sel_hi:[1,1,0] neg_lo:[0,0,1] neg_hi:[0,0,1]
	v_pk_fma_f32 v[4:5], v[6:7], v[20:21], v[4:5] op_sel:[0,0,1] op_sel_hi:[1,0,0]
	v_pk_add_f32 v[40:41], v[40:41], 0 op_sel_hi:[1,0]
	s_waitcnt vmcnt(8)
	v_pk_fma_f32 v[6:7], v[8:9], v[22:23], v[42:43] op_sel:[0,0,1] op_sel_hi:[1,1,0] neg_lo:[0,0,1] neg_hi:[0,0,1]
	v_pk_fma_f32 v[8:9], v[8:9], v[22:23], v[42:43] op_sel:[0,0,1] op_sel_hi:[1,0,0]
	v_mov_b32_e32 v57, v5
	s_waitcnt vmcnt(7)
	v_pk_fma_f32 v[20:21], v[10:11], v[24:25], v[44:45] op_sel:[0,0,1] op_sel_hi:[1,1,0] neg_lo:[0,0,1] neg_hi:[0,0,1]
	v_pk_fma_f32 v[10:11], v[10:11], v[24:25], v[44:45] op_sel:[0,0,1] op_sel_hi:[1,0,0]
	v_mov_b32_e32 v7, v9
	v_pk_add_f32 v[4:5], v[40:41], v[56:57]
	s_waitcnt vmcnt(6)
	v_pk_fma_f32 v[22:23], v[12:13], v[26:27], v[46:47] op_sel:[0,0,1] op_sel_hi:[1,1,0] neg_lo:[0,0,1] neg_hi:[0,0,1]
	v_pk_fma_f32 v[12:13], v[12:13], v[26:27], v[46:47] op_sel:[0,0,1] op_sel_hi:[1,0,0]
	v_mov_b32_e32 v21, v11
	v_pk_add_f32 v[4:5], v[4:5], v[6:7]
	;; [unrolled: 5-line block ×5, first 2 shown]
	v_pk_fma_f32 v[30:31], v[38:39], v[34:35], v[54:55] op_sel:[0,0,1] op_sel_hi:[1,1,0] neg_lo:[0,0,1] neg_hi:[0,0,1]
	v_pk_fma_f32 v[32:33], v[38:39], v[34:35], v[54:55] op_sel:[0,0,1] op_sel_hi:[1,0,0]
	v_mov_b32_e32 v29, v19
	v_pk_add_f32 v[4:5], v[4:5], v[26:27]
	v_mov_b32_e32 v31, v33
	v_pk_add_f32 v[4:5], v[4:5], v[28:29]
	v_pk_add_f32 v[4:5], v[4:5], v[30:31]
	s_waitcnt vmcnt(0)
	v_pk_add_f32 v[4:5], v[36:37], v[4:5] neg_lo:[0,1] neg_hi:[0,1]
	buffer_store_dword v4, off, s[0:3], 0 offset:320
	buffer_store_dword v5, off, s[0:3], 0 offset:324
	s_and_saveexec_b64 s[4:5], vcc
	s_cbranch_execz .LBB49_235
; %bb.234:
	buffer_load_dword v4, off, s[0:3], 0 offset:312
	buffer_load_dword v5, off, s[0:3], 0 offset:316
	s_waitcnt vmcnt(0)
	ds_write_b64 v111, v[4:5]
	buffer_store_dword v2, off, s[0:3], 0 offset:312
	buffer_store_dword v2, off, s[0:3], 0 offset:316
.LBB49_235:
	s_or_b64 exec, exec, s[4:5]
	s_waitcnt lgkmcnt(0)
	; wave barrier
	s_waitcnt lgkmcnt(0)
	buffer_load_dword v42, off, s[0:3], 0 offset:324
	buffer_load_dword v44, off, s[0:3], 0 offset:332
	;; [unrolled: 1-line block ×22, first 2 shown]
	ds_read_b128 v[4:7], v2 offset:720
	ds_read_b128 v[8:11], v2 offset:736
	;; [unrolled: 1-line block ×5, first 2 shown]
	v_cmp_lt_u32_e32 vcc, 38, v0
	s_waitcnt vmcnt(21) lgkmcnt(4)
	v_mul_f32_e32 v3, v4, v42
	s_waitcnt vmcnt(20)
	v_mul_f32_e32 v43, v6, v44
	v_mul_f32_e32 v2, v5, v42
	;; [unrolled: 1-line block ×3, first 2 shown]
	s_waitcnt vmcnt(19)
	v_mov_b32_e32 v44, v25
	s_waitcnt vmcnt(18)
	v_mov_b32_e32 v46, v27
	;; [unrolled: 2-line block ×5, first 2 shown]
	v_mov_b32_e32 v50, v31
	s_waitcnt vmcnt(11)
	v_fmac_f32_e32 v3, v5, v45
	v_fma_f32 v2, v4, v45, -v2
	s_waitcnt lgkmcnt(3)
	v_pk_mul_f32 v[4:5], v[8:9], v[44:45] op_sel_hi:[1,0]
	s_waitcnt vmcnt(10)
	v_fmac_f32_e32 v43, v7, v47
	v_fma_f32 v42, v6, v47, -v42
	v_pk_mul_f32 v[6:7], v[10:11], v[46:47] op_sel_hi:[1,0]
	s_waitcnt lgkmcnt(2)
	v_pk_mul_f32 v[44:45], v[12:13], v[48:49] op_sel_hi:[1,0]
	s_waitcnt lgkmcnt(1)
	;; [unrolled: 2-line block ×3, first 2 shown]
	v_pk_mul_f32 v[52:53], v[20:21], v[56:57] op_sel_hi:[1,0]
	v_pk_add_f32 v[2:3], v[2:3], 0 op_sel_hi:[1,0]
	s_waitcnt vmcnt(9)
	v_pk_fma_f32 v[56:57], v[8:9], v[24:25], v[4:5] op_sel:[0,0,1] op_sel_hi:[1,1,0] neg_lo:[0,0,1] neg_hi:[0,0,1]
	v_pk_fma_f32 v[4:5], v[8:9], v[24:25], v[4:5] op_sel:[0,0,1] op_sel_hi:[1,0,0]
	s_waitcnt vmcnt(8)
	v_pk_fma_f32 v[8:9], v[10:11], v[26:27], v[6:7] op_sel:[0,0,1] op_sel_hi:[1,1,0] neg_lo:[0,0,1] neg_hi:[0,0,1]
	v_pk_fma_f32 v[6:7], v[10:11], v[26:27], v[6:7] op_sel:[0,0,1] op_sel_hi:[1,0,0]
	v_pk_add_f32 v[2:3], v[2:3], v[42:43]
	v_mov_b32_e32 v57, v5
	v_pk_mul_f32 v[46:47], v[14:15], v[50:51] op_sel_hi:[1,0]
	s_waitcnt vmcnt(7)
	v_pk_fma_f32 v[10:11], v[12:13], v[28:29], v[44:45] op_sel:[0,0,1] op_sel_hi:[1,1,0] neg_lo:[0,0,1] neg_hi:[0,0,1]
	v_pk_fma_f32 v[12:13], v[12:13], v[28:29], v[44:45] op_sel:[0,0,1] op_sel_hi:[1,0,0]
	v_mov_b32_e32 v9, v7
	v_pk_add_f32 v[2:3], v[2:3], v[56:57]
	v_mov_b32_e32 v54, v35
	s_waitcnt vmcnt(6)
	v_pk_fma_f32 v[24:25], v[14:15], v[30:31], v[46:47] op_sel:[0,0,1] op_sel_hi:[1,1,0] neg_lo:[0,0,1] neg_hi:[0,0,1]
	v_pk_fma_f32 v[14:15], v[14:15], v[30:31], v[46:47] op_sel:[0,0,1] op_sel_hi:[1,0,0]
	v_mov_b32_e32 v11, v13
	v_pk_add_f32 v[2:3], v[2:3], v[8:9]
	v_pk_mul_f32 v[50:51], v[18:19], v[54:55] op_sel_hi:[1,0]
	s_waitcnt vmcnt(5)
	v_pk_fma_f32 v[26:27], v[16:17], v[32:33], v[48:49] op_sel:[0,0,1] op_sel_hi:[1,1,0] neg_lo:[0,0,1] neg_hi:[0,0,1]
	v_pk_fma_f32 v[16:17], v[16:17], v[32:33], v[48:49] op_sel:[0,0,1] op_sel_hi:[1,0,0]
	v_mov_b32_e32 v25, v15
	v_pk_add_f32 v[2:3], v[2:3], v[10:11]
	v_mov_b32_e32 v58, v39
	s_waitcnt vmcnt(2)
	v_pk_fma_f32 v[28:29], v[18:19], v[34:35], v[50:51] op_sel:[0,0,1] op_sel_hi:[1,1,0] neg_lo:[0,0,1] neg_hi:[0,0,1]
	v_pk_fma_f32 v[18:19], v[18:19], v[34:35], v[50:51] op_sel:[0,0,1] op_sel_hi:[1,0,0]
	v_mov_b32_e32 v27, v17
	v_pk_add_f32 v[2:3], v[2:3], v[24:25]
	v_pk_mul_f32 v[54:55], v[22:23], v[58:59] op_sel_hi:[1,0]
	v_pk_fma_f32 v[30:31], v[20:21], v[36:37], v[52:53] op_sel:[0,0,1] op_sel_hi:[1,1,0] neg_lo:[0,0,1] neg_hi:[0,0,1]
	v_pk_fma_f32 v[20:21], v[20:21], v[36:37], v[52:53] op_sel:[0,0,1] op_sel_hi:[1,0,0]
	v_mov_b32_e32 v29, v19
	v_pk_add_f32 v[2:3], v[2:3], v[26:27]
	v_pk_fma_f32 v[32:33], v[22:23], v[38:39], v[54:55] op_sel:[0,0,1] op_sel_hi:[1,1,0] neg_lo:[0,0,1] neg_hi:[0,0,1]
	v_pk_fma_f32 v[22:23], v[22:23], v[38:39], v[54:55] op_sel:[0,0,1] op_sel_hi:[1,0,0]
	v_mov_b32_e32 v31, v21
	v_pk_add_f32 v[2:3], v[2:3], v[28:29]
	v_mov_b32_e32 v33, v23
	v_pk_add_f32 v[2:3], v[2:3], v[30:31]
	v_pk_add_f32 v[2:3], v[2:3], v[32:33]
	s_waitcnt vmcnt(0)
	v_pk_add_f32 v[2:3], v[40:41], v[2:3] neg_lo:[0,1] neg_hi:[0,1]
	buffer_store_dword v2, off, s[0:3], 0 offset:312
	buffer_store_dword v3, off, s[0:3], 0 offset:316
	s_and_saveexec_b64 s[4:5], vcc
	s_cbranch_execz .LBB49_237
; %bb.236:
	buffer_load_dword v2, off, s[0:3], 0 offset:304
	buffer_load_dword v3, off, s[0:3], 0 offset:308
	v_mov_b32_e32 v4, 0
	buffer_store_dword v4, off, s[0:3], 0 offset:304
	buffer_store_dword v4, off, s[0:3], 0 offset:308
	s_waitcnt vmcnt(2)
	ds_write_b64 v111, v[2:3]
.LBB49_237:
	s_or_b64 exec, exec, s[4:5]
	s_waitcnt lgkmcnt(0)
	; wave barrier
	s_waitcnt lgkmcnt(0)
	buffer_load_dword v3, off, s[0:3], 0 offset:316
	buffer_load_dword v44, off, s[0:3], 0 offset:324
	;; [unrolled: 1-line block ×24, first 2 shown]
	v_mov_b32_e32 v2, 0
	ds_read2_b64 v[4:7], v2 offset0:89 offset1:90
	ds_read2_b64 v[8:11], v2 offset0:91 offset1:92
	;; [unrolled: 1-line block ×5, first 2 shown]
	ds_read_b64 v[42:43], v2 offset:792
	v_cmp_lt_u32_e32 vcc, 37, v0
	s_waitcnt vmcnt(23) lgkmcnt(5)
	v_mul_f32_e32 v57, v4, v3
	v_mul_f32_e32 v3, v5, v3
	s_waitcnt vmcnt(22)
	v_mul_f32_e32 v45, v6, v44
	s_waitcnt vmcnt(21) lgkmcnt(4)
	v_mul_f32_e32 v47, v8, v46
	v_mul_f32_e32 v44, v7, v44
	;; [unrolled: 1-line block ×3, first 2 shown]
	s_waitcnt vmcnt(20)
	v_mov_b32_e32 v48, v25
	s_waitcnt vmcnt(19)
	v_mov_b32_e32 v50, v27
	s_waitcnt vmcnt(18)
	v_mov_b32_e32 v52, v29
	s_waitcnt vmcnt(17)
	v_mov_b32_e32 v54, v31
	s_waitcnt vmcnt(16)
	v_mov_b32_e32 v56, v33
	s_waitcnt vmcnt(12)
	v_fmac_f32_e32 v57, v5, v49
	v_fma_f32 v3, v4, v49, -v3
	v_mov_b32_e32 v58, v35
	s_waitcnt vmcnt(11)
	v_fmac_f32_e32 v45, v7, v51
	s_waitcnt vmcnt(10)
	v_fmac_f32_e32 v47, v9, v53
	v_fma_f32 v44, v6, v51, -v44
	v_fma_f32 v46, v8, v53, -v46
	v_pk_mul_f32 v[4:5], v[10:11], v[48:49] op_sel_hi:[1,0]
	s_waitcnt lgkmcnt(3)
	v_pk_mul_f32 v[6:7], v[12:13], v[50:51] op_sel_hi:[1,0]
	v_pk_mul_f32 v[8:9], v[14:15], v[52:53] op_sel_hi:[1,0]
	s_waitcnt lgkmcnt(2)
	v_pk_mul_f32 v[48:49], v[16:17], v[54:55] op_sel_hi:[1,0]
	v_pk_mul_f32 v[50:51], v[18:19], v[56:57] op_sel_hi:[1,0]
	v_add_f32_e32 v57, 0, v57
	v_add_f32_e32 v56, 0, v3
	s_waitcnt lgkmcnt(1)
	v_pk_mul_f32 v[52:53], v[20:21], v[58:59] op_sel_hi:[1,0]
	s_waitcnt vmcnt(9)
	v_pk_fma_f32 v[58:59], v[10:11], v[24:25], v[4:5] op_sel:[0,0,1] op_sel_hi:[1,1,0] neg_lo:[0,0,1] neg_hi:[0,0,1]
	v_pk_fma_f32 v[4:5], v[10:11], v[24:25], v[4:5] op_sel:[0,0,1] op_sel_hi:[1,0,0]
	s_waitcnt vmcnt(8)
	v_pk_fma_f32 v[10:11], v[12:13], v[26:27], v[6:7] op_sel:[0,0,1] op_sel_hi:[1,1,0] neg_lo:[0,0,1] neg_hi:[0,0,1]
	v_pk_fma_f32 v[6:7], v[12:13], v[26:27], v[6:7] op_sel:[0,0,1] op_sel_hi:[1,0,0]
	;; [unrolled: 3-line block ×4, first 2 shown]
	v_pk_add_f32 v[30:31], v[56:57], v[44:45]
	v_mov_b32_e32 v59, v5
	v_pk_add_f32 v[4:5], v[30:31], v[46:47]
	v_mov_b32_e32 v11, v7
	;; [unrolled: 2-line block ×4, first 2 shown]
	s_waitcnt vmcnt(2)
	v_pk_fma_f32 v[24:25], v[18:19], v[32:33], v[50:51] op_sel:[0,0,1] op_sel_hi:[1,1,0] neg_lo:[0,0,1] neg_hi:[0,0,1]
	v_pk_fma_f32 v[18:19], v[18:19], v[32:33], v[50:51] op_sel:[0,0,1] op_sel_hi:[1,0,0]
	v_mov_b32_e32 v15, v17
	v_pk_add_f32 v[4:5], v[4:5], v[12:13]
	v_mov_b32_e32 v62, v39
	v_pk_mul_f32 v[54:55], v[22:23], v[60:61] op_sel_hi:[1,0]
	v_pk_fma_f32 v[26:27], v[20:21], v[34:35], v[52:53] op_sel:[0,0,1] op_sel_hi:[1,1,0] neg_lo:[0,0,1] neg_hi:[0,0,1]
	v_pk_fma_f32 v[20:21], v[20:21], v[34:35], v[52:53] op_sel:[0,0,1] op_sel_hi:[1,0,0]
	v_mov_b32_e32 v25, v19
	v_pk_add_f32 v[4:5], v[4:5], v[14:15]
	v_pk_fma_f32 v[28:29], v[22:23], v[36:37], v[54:55] op_sel:[0,0,1] op_sel_hi:[1,1,0] neg_lo:[0,0,1] neg_hi:[0,0,1]
	v_pk_fma_f32 v[22:23], v[22:23], v[36:37], v[54:55] op_sel:[0,0,1] op_sel_hi:[1,0,0]
	v_mov_b32_e32 v27, v21
	v_pk_add_f32 v[4:5], v[4:5], v[24:25]
	s_waitcnt lgkmcnt(0)
	v_pk_mul_f32 v[6:7], v[42:43], v[62:63] op_sel_hi:[1,0]
	v_mov_b32_e32 v29, v23
	v_pk_add_f32 v[4:5], v[4:5], v[26:27]
	v_pk_fma_f32 v[8:9], v[42:43], v[38:39], v[6:7] op_sel:[0,0,1] op_sel_hi:[1,1,0] neg_lo:[0,0,1] neg_hi:[0,0,1]
	v_pk_fma_f32 v[6:7], v[42:43], v[38:39], v[6:7] op_sel:[0,0,1] op_sel_hi:[1,0,0]
	v_pk_add_f32 v[4:5], v[4:5], v[28:29]
	v_mov_b32_e32 v9, v7
	v_pk_add_f32 v[4:5], v[4:5], v[8:9]
	s_waitcnt vmcnt(0)
	v_pk_add_f32 v[4:5], v[40:41], v[4:5] neg_lo:[0,1] neg_hi:[0,1]
	buffer_store_dword v5, off, s[0:3], 0 offset:308
	buffer_store_dword v4, off, s[0:3], 0 offset:304
	s_and_saveexec_b64 s[4:5], vcc
	s_cbranch_execz .LBB49_239
; %bb.238:
	buffer_load_dword v4, off, s[0:3], 0 offset:296
	buffer_load_dword v5, off, s[0:3], 0 offset:300
	s_waitcnt vmcnt(0)
	ds_write_b64 v111, v[4:5]
	buffer_store_dword v2, off, s[0:3], 0 offset:296
	buffer_store_dword v2, off, s[0:3], 0 offset:300
.LBB49_239:
	s_or_b64 exec, exec, s[4:5]
	s_waitcnt lgkmcnt(0)
	; wave barrier
	s_waitcnt lgkmcnt(0)
	buffer_load_dword v46, off, s[0:3], 0 offset:308
	buffer_load_dword v48, off, s[0:3], 0 offset:316
	;; [unrolled: 1-line block ×26, first 2 shown]
	ds_read_b128 v[4:7], v2 offset:704
	ds_read_b128 v[8:11], v2 offset:720
	;; [unrolled: 1-line block ×6, first 2 shown]
	v_cmp_lt_u32_e32 vcc, 36, v0
	s_waitcnt vmcnt(25) lgkmcnt(5)
	v_mul_f32_e32 v59, v4, v46
	v_mul_f32_e32 v2, v5, v46
	s_waitcnt vmcnt(24)
	v_mul_f32_e32 v60, v6, v48
	s_waitcnt vmcnt(23) lgkmcnt(4)
	v_mul_f32_e32 v3, v8, v49
	s_waitcnt vmcnt(22)
	v_mul_f32_e32 v47, v10, v50
	v_mul_f32_e32 v46, v7, v48
	;; [unrolled: 1-line block ×4, first 2 shown]
	s_waitcnt vmcnt(21)
	v_mov_b32_e32 v48, v29
	s_waitcnt vmcnt(20)
	v_mov_b32_e32 v50, v31
	;; [unrolled: 2-line block ×3, first 2 shown]
	s_waitcnt vmcnt(15)
	v_fmac_f32_e32 v59, v5, v51
	v_fma_f32 v62, v4, v51, -v2
	v_mov_b32_e32 v52, v33
	s_waitcnt vmcnt(14)
	v_fmac_f32_e32 v60, v7, v53
	s_waitcnt vmcnt(13)
	v_fmac_f32_e32 v3, v9, v55
	;; [unrolled: 2-line block ×3, first 2 shown]
	v_fma_f32 v63, v6, v53, -v46
	v_fma_f32 v2, v8, v55, -v49
	;; [unrolled: 1-line block ×3, first 2 shown]
	s_waitcnt lgkmcnt(3)
	v_pk_mul_f32 v[4:5], v[12:13], v[48:49] op_sel_hi:[1,0]
	v_pk_mul_f32 v[6:7], v[14:15], v[50:51] op_sel_hi:[1,0]
	s_waitcnt lgkmcnt(2)
	v_pk_mul_f32 v[10:11], v[18:19], v[54:55] op_sel_hi:[1,0]
	v_add_f32_e32 v54, 0, v59
	v_add_f32_e32 v55, 0, v62
	v_pk_mul_f32 v[8:9], v[16:17], v[52:53] op_sel_hi:[1,0]
	s_waitcnt vmcnt(11)
	v_pk_fma_f32 v[52:53], v[12:13], v[28:29], v[4:5] op_sel:[0,0,1] op_sel_hi:[1,1,0] neg_lo:[0,0,1] neg_hi:[0,0,1]
	v_pk_fma_f32 v[4:5], v[12:13], v[28:29], v[4:5] op_sel:[0,0,1] op_sel_hi:[1,0,0]
	s_waitcnt vmcnt(10)
	v_pk_fma_f32 v[12:13], v[14:15], v[30:31], v[6:7] op_sel:[0,0,1] op_sel_hi:[1,1,0] neg_lo:[0,0,1] neg_hi:[0,0,1]
	v_pk_fma_f32 v[6:7], v[14:15], v[30:31], v[6:7] op_sel:[0,0,1] op_sel_hi:[1,0,0]
	v_add_f32_e32 v31, v54, v60
	v_add_f32_e32 v30, v55, v63
	v_pk_add_f32 v[2:3], v[30:31], v[2:3]
	v_mov_b32_e32 v53, v5
	v_pk_add_f32 v[2:3], v[2:3], v[46:47]
	v_mov_b32_e32 v56, v37
	s_waitcnt vmcnt(9)
	v_pk_fma_f32 v[14:15], v[16:17], v[32:33], v[8:9] op_sel:[0,0,1] op_sel_hi:[1,1,0] neg_lo:[0,0,1] neg_hi:[0,0,1]
	v_pk_fma_f32 v[8:9], v[16:17], v[32:33], v[8:9] op_sel:[0,0,1] op_sel_hi:[1,0,0]
	v_mov_b32_e32 v13, v7
	v_pk_add_f32 v[2:3], v[2:3], v[52:53]
	v_mov_b32_e32 v58, v39
	s_waitcnt lgkmcnt(1)
	v_pk_mul_f32 v[48:49], v[20:21], v[56:57] op_sel_hi:[1,0]
	s_waitcnt vmcnt(5)
	v_pk_fma_f32 v[16:17], v[18:19], v[34:35], v[10:11] op_sel:[0,0,1] op_sel_hi:[1,1,0] neg_lo:[0,0,1] neg_hi:[0,0,1]
	v_pk_fma_f32 v[10:11], v[18:19], v[34:35], v[10:11] op_sel:[0,0,1] op_sel_hi:[1,0,0]
	v_mov_b32_e32 v15, v9
	v_pk_add_f32 v[2:3], v[2:3], v[12:13]
	s_waitcnt vmcnt(4)
	v_mov_b32_e32 v4, v41
	v_pk_mul_f32 v[50:51], v[22:23], v[58:59] op_sel_hi:[1,0]
	v_pk_fma_f32 v[18:19], v[20:21], v[36:37], v[48:49] op_sel:[0,0,1] op_sel_hi:[1,1,0] neg_lo:[0,0,1] neg_hi:[0,0,1]
	v_pk_fma_f32 v[20:21], v[20:21], v[36:37], v[48:49] op_sel:[0,0,1] op_sel_hi:[1,0,0]
	v_mov_b32_e32 v17, v11
	v_pk_add_f32 v[2:3], v[2:3], v[14:15]
	s_waitcnt lgkmcnt(0)
	v_pk_mul_f32 v[4:5], v[24:25], v[4:5] op_sel_hi:[1,0]
	v_pk_fma_f32 v[28:29], v[22:23], v[38:39], v[50:51] op_sel:[0,0,1] op_sel_hi:[1,1,0] neg_lo:[0,0,1] neg_hi:[0,0,1]
	v_pk_fma_f32 v[22:23], v[22:23], v[38:39], v[50:51] op_sel:[0,0,1] op_sel_hi:[1,0,0]
	v_mov_b32_e32 v19, v21
	v_pk_add_f32 v[2:3], v[2:3], v[16:17]
	v_pk_fma_f32 v[6:7], v[24:25], v[40:41], v[4:5] op_sel:[0,0,1] op_sel_hi:[1,1,0] neg_lo:[0,0,1] neg_hi:[0,0,1]
	v_pk_fma_f32 v[4:5], v[24:25], v[40:41], v[4:5] op_sel:[0,0,1] op_sel_hi:[1,0,0]
	v_mov_b32_e32 v29, v23
	v_pk_add_f32 v[2:3], v[2:3], v[18:19]
	s_waitcnt vmcnt(3)
	v_mov_b32_e32 v4, v43
	v_pk_add_f32 v[2:3], v[2:3], v[28:29]
	v_mov_b32_e32 v7, v5
	v_pk_mul_f32 v[4:5], v[26:27], v[4:5] op_sel_hi:[1,0]
	v_pk_add_f32 v[2:3], v[2:3], v[6:7]
	s_waitcnt vmcnt(2)
	v_pk_fma_f32 v[6:7], v[26:27], v[42:43], v[4:5] op_sel:[0,0,1] op_sel_hi:[1,1,0] neg_lo:[0,0,1] neg_hi:[0,0,1]
	v_pk_fma_f32 v[4:5], v[26:27], v[42:43], v[4:5] op_sel:[0,0,1] op_sel_hi:[1,0,0]
	v_mov_b32_e32 v7, v5
	v_pk_add_f32 v[2:3], v[2:3], v[6:7]
	s_waitcnt vmcnt(0)
	v_pk_add_f32 v[2:3], v[44:45], v[2:3] neg_lo:[0,1] neg_hi:[0,1]
	buffer_store_dword v3, off, s[0:3], 0 offset:300
	buffer_store_dword v2, off, s[0:3], 0 offset:296
	s_and_saveexec_b64 s[4:5], vcc
	s_cbranch_execz .LBB49_241
; %bb.240:
	buffer_load_dword v2, off, s[0:3], 0 offset:288
	buffer_load_dword v3, off, s[0:3], 0 offset:292
	v_mov_b32_e32 v4, 0
	buffer_store_dword v4, off, s[0:3], 0 offset:288
	buffer_store_dword v4, off, s[0:3], 0 offset:292
	s_waitcnt vmcnt(2)
	ds_write_b64 v111, v[2:3]
.LBB49_241:
	s_or_b64 exec, exec, s[4:5]
	s_waitcnt lgkmcnt(0)
	; wave barrier
	s_waitcnt lgkmcnt(0)
	buffer_load_dword v5, off, s[0:3], 0 offset:300
	buffer_load_dword v48, off, s[0:3], 0 offset:308
	;; [unrolled: 1-line block ×28, first 2 shown]
	v_mov_b32_e32 v4, 0
	ds_read2_b64 v[6:9], v4 offset0:87 offset1:88
	ds_read2_b64 v[10:13], v4 offset0:89 offset1:90
	;; [unrolled: 1-line block ×6, first 2 shown]
	ds_read_b64 v[46:47], v4 offset:792
	v_cmp_lt_u32_e32 vcc, 35, v0
	s_waitcnt vmcnt(27) lgkmcnt(6)
	v_mul_f32_e32 v63, v6, v5
	v_mul_f32_e32 v5, v7, v5
	s_waitcnt vmcnt(26)
	v_mul_f32_e32 v64, v8, v48
	s_waitcnt vmcnt(24) lgkmcnt(5)
	v_mul_f32_e32 v49, v12, v52
	s_waitcnt vmcnt(23) lgkmcnt(4)
	v_mul_f32_e32 v51, v14, v53
	v_mul_f32_e32 v66, v13, v52
	v_mul_f32_e32 v53, v15, v53
	s_waitcnt vmcnt(22)
	v_mov_b32_e32 v52, v3
	v_mul_f32_e32 v65, v10, v50
	v_mul_f32_e32 v48, v9, v48
	v_mul_f32_e32 v50, v11, v50
	s_waitcnt vmcnt(17)
	v_fmac_f32_e32 v63, v7, v55
	v_fma_f32 v5, v6, v55, -v5
	v_pk_mul_f32 v[6:7], v[16:17], v[52:53] op_sel_hi:[1,0]
	s_waitcnt vmcnt(16)
	v_fmac_f32_e32 v64, v9, v57
	s_waitcnt vmcnt(13)
	v_fmac_f32_e32 v51, v15, v62
	v_fma_f32 v55, v8, v57, -v48
	v_fma_f32 v57, v10, v59, -v50
	;; [unrolled: 1-line block ×3, first 2 shown]
	v_add_f32_e32 v52, 0, v63
	v_add_f32_e32 v5, 0, v5
	s_waitcnt vmcnt(12)
	v_pk_fma_f32 v[14:15], v[16:17], v[2:3], v[6:7] op_sel:[0,0,1] op_sel_hi:[1,1,0] neg_lo:[0,0,1] neg_hi:[0,0,1]
	v_pk_fma_f32 v[2:3], v[16:17], v[2:3], v[6:7] op_sel:[0,0,1] op_sel_hi:[1,0,0]
	v_fmac_f32_e32 v65, v11, v59
	v_add_f32_e32 v2, v52, v64
	v_add_f32_e32 v5, v5, v55
	v_mov_b32_e32 v54, v31
	v_fmac_f32_e32 v49, v13, v61
	v_fma_f32 v48, v12, v61, -v66
	v_mov_b32_e32 v15, v3
	v_add_f32_e32 v3, v2, v65
	v_add_f32_e32 v2, v5, v57
	s_waitcnt lgkmcnt(3)
	v_pk_mul_f32 v[8:9], v[18:19], v[54:55] op_sel_hi:[1,0]
	v_pk_add_f32 v[2:3], v[2:3], v[48:49]
	v_mov_b32_e32 v56, v33
	s_waitcnt vmcnt(11)
	v_pk_fma_f32 v[6:7], v[18:19], v[30:31], v[8:9] op_sel:[0,0,1] op_sel_hi:[1,1,0] neg_lo:[0,0,1] neg_hi:[0,0,1]
	v_pk_fma_f32 v[8:9], v[18:19], v[30:31], v[8:9] op_sel:[0,0,1] op_sel_hi:[1,0,0]
	v_pk_add_f32 v[2:3], v[2:3], v[50:51]
	v_mov_b32_e32 v58, v35
	v_mov_b32_e32 v60, v37
	v_pk_mul_f32 v[10:11], v[20:21], v[56:57] op_sel_hi:[1,0]
	v_mov_b32_e32 v7, v9
	v_pk_add_f32 v[2:3], v[2:3], v[14:15]
	s_waitcnt lgkmcnt(2)
	v_pk_mul_f32 v[12:13], v[22:23], v[58:59] op_sel_hi:[1,0]
	s_waitcnt vmcnt(7)
	v_pk_fma_f32 v[16:17], v[20:21], v[32:33], v[10:11] op_sel:[0,0,1] op_sel_hi:[1,1,0] neg_lo:[0,0,1] neg_hi:[0,0,1]
	v_pk_fma_f32 v[10:11], v[20:21], v[32:33], v[10:11] op_sel:[0,0,1] op_sel_hi:[1,0,0]
	v_pk_add_f32 v[2:3], v[2:3], v[6:7]
	v_pk_mul_f32 v[6:7], v[24:25], v[60:61] op_sel_hi:[1,0]
	v_pk_fma_f32 v[18:19], v[22:23], v[34:35], v[12:13] op_sel:[0,0,1] op_sel_hi:[1,1,0] neg_lo:[0,0,1] neg_hi:[0,0,1]
	v_pk_fma_f32 v[12:13], v[22:23], v[34:35], v[12:13] op_sel:[0,0,1] op_sel_hi:[1,0,0]
	v_mov_b32_e32 v17, v11
	v_pk_fma_f32 v[8:9], v[24:25], v[36:37], v[6:7] op_sel:[0,0,1] op_sel_hi:[1,1,0] neg_lo:[0,0,1] neg_hi:[0,0,1]
	v_pk_fma_f32 v[6:7], v[24:25], v[36:37], v[6:7] op_sel:[0,0,1] op_sel_hi:[1,0,0]
	v_mov_b32_e32 v19, v13
	v_pk_add_f32 v[2:3], v[2:3], v[16:17]
	s_waitcnt vmcnt(6)
	v_mov_b32_e32 v6, v39
	v_pk_add_f32 v[2:3], v[2:3], v[18:19]
	v_mov_b32_e32 v9, v7
	s_waitcnt lgkmcnt(1)
	v_pk_mul_f32 v[6:7], v[26:27], v[6:7] op_sel_hi:[1,0]
	v_pk_add_f32 v[2:3], v[2:3], v[8:9]
	v_pk_fma_f32 v[8:9], v[26:27], v[38:39], v[6:7] op_sel:[0,0,1] op_sel_hi:[1,1,0] neg_lo:[0,0,1] neg_hi:[0,0,1]
	v_pk_fma_f32 v[6:7], v[26:27], v[38:39], v[6:7] op_sel:[0,0,1] op_sel_hi:[1,0,0]
	s_waitcnt vmcnt(5)
	v_mov_b32_e32 v6, v41
	v_mov_b32_e32 v9, v7
	v_pk_mul_f32 v[6:7], v[28:29], v[6:7] op_sel_hi:[1,0]
	v_pk_add_f32 v[2:3], v[2:3], v[8:9]
	s_waitcnt vmcnt(3)
	v_pk_fma_f32 v[8:9], v[28:29], v[40:41], v[6:7] op_sel:[0,0,1] op_sel_hi:[1,1,0] neg_lo:[0,0,1] neg_hi:[0,0,1]
	v_pk_fma_f32 v[6:7], v[28:29], v[40:41], v[6:7] op_sel:[0,0,1] op_sel_hi:[1,0,0]
	s_waitcnt vmcnt(2)
	v_mov_b32_e32 v6, v43
	v_mov_b32_e32 v9, v7
	s_waitcnt lgkmcnt(0)
	v_pk_mul_f32 v[6:7], v[46:47], v[6:7] op_sel_hi:[1,0]
	v_pk_add_f32 v[2:3], v[2:3], v[8:9]
	v_pk_fma_f32 v[8:9], v[46:47], v[42:43], v[6:7] op_sel:[0,0,1] op_sel_hi:[1,1,0] neg_lo:[0,0,1] neg_hi:[0,0,1]
	v_pk_fma_f32 v[6:7], v[46:47], v[42:43], v[6:7] op_sel:[0,0,1] op_sel_hi:[1,0,0]
	v_mov_b32_e32 v9, v7
	v_pk_add_f32 v[2:3], v[2:3], v[8:9]
	s_waitcnt vmcnt(0)
	v_pk_add_f32 v[2:3], v[44:45], v[2:3] neg_lo:[0,1] neg_hi:[0,1]
	buffer_store_dword v3, off, s[0:3], 0 offset:292
	buffer_store_dword v2, off, s[0:3], 0 offset:288
	s_and_saveexec_b64 s[4:5], vcc
	s_cbranch_execz .LBB49_243
; %bb.242:
	buffer_load_dword v2, off, s[0:3], 0 offset:280
	buffer_load_dword v3, off, s[0:3], 0 offset:284
	s_waitcnt vmcnt(0)
	ds_write_b64 v111, v[2:3]
	buffer_store_dword v4, off, s[0:3], 0 offset:280
	buffer_store_dword v4, off, s[0:3], 0 offset:284
.LBB49_243:
	s_or_b64 exec, exec, s[4:5]
	s_waitcnt lgkmcnt(0)
	; wave barrier
	s_waitcnt lgkmcnt(0)
	ds_read_b128 v[6:9], v4 offset:688
	ds_read_b128 v[10:13], v4 offset:704
	;; [unrolled: 1-line block ×4, first 2 shown]
	buffer_load_dword v2, off, s[0:3], 0 offset:280
	buffer_load_dword v3, off, s[0:3], 0 offset:284
	;; [unrolled: 1-line block ×30, first 2 shown]
	v_cmp_lt_u32_e32 vcc, 34, v0
	s_waitcnt vmcnt(26) lgkmcnt(3)
	v_mul_f32_e32 v25, v6, v24
	v_fmac_f32_e32 v25, v7, v5
	v_mul_f32_e32 v7, v7, v24
	s_waitcnt vmcnt(24)
	v_mul_f32_e32 v27, v8, v28
	v_fma_f32 v5, v6, v5, -v7
	v_mul_f32_e32 v6, v9, v28
	v_add_f32_e32 v25, 0, v25
	v_fmac_f32_e32 v27, v9, v26
	v_add_f32_e32 v5, 0, v5
	v_fma_f32 v6, v8, v26, -v6
	v_add_f32_e32 v25, v25, v27
	s_waitcnt vmcnt(22) lgkmcnt(2)
	v_mul_f32_e32 v27, v10, v45
	v_add_f32_e32 v5, v5, v6
	v_mul_f32_e32 v6, v11, v45
	v_fmac_f32_e32 v27, v11, v44
	v_fma_f32 v6, v10, v44, -v6
	v_add_f32_e32 v25, v25, v27
	s_waitcnt vmcnt(20)
	v_mul_f32_e32 v27, v12, v47
	v_add_f32_e32 v5, v5, v6
	v_mul_f32_e32 v6, v13, v47
	v_fmac_f32_e32 v27, v13, v46
	v_fma_f32 v6, v12, v46, -v6
	v_add_f32_e32 v25, v25, v27
	s_waitcnt vmcnt(18) lgkmcnt(1)
	v_mul_f32_e32 v27, v14, v49
	v_add_f32_e32 v24, v5, v6
	v_mul_f32_e32 v5, v15, v49
	v_fmac_f32_e32 v27, v15, v48
	s_waitcnt vmcnt(16)
	v_mul_f32_e32 v29, v16, v51
	v_fma_f32 v26, v14, v48, -v5
	v_mul_f32_e32 v5, v17, v51
	v_fmac_f32_e32 v29, v17, v50
	v_fma_f32 v28, v16, v50, -v5
	ds_read_b128 v[6:9], v4 offset:752
	ds_read_b128 v[10:13], v4 offset:768
	;; [unrolled: 1-line block ×3, first 2 shown]
	v_pk_add_f32 v[4:5], v[24:25], v[26:27]
	s_waitcnt vmcnt(14)
	v_mov_b32_e32 v24, v23
	s_waitcnt lgkmcnt(3)
	v_pk_mul_f32 v[24:25], v[18:19], v[24:25] op_sel_hi:[1,0]
	v_pk_fma_f32 v[26:27], v[18:19], v[22:23], v[24:25] op_sel:[0,0,1] op_sel_hi:[1,1,0] neg_lo:[0,0,1] neg_hi:[0,0,1]
	v_pk_fma_f32 v[18:19], v[18:19], v[22:23], v[24:25] op_sel:[0,0,1] op_sel_hi:[1,0,0]
	s_waitcnt vmcnt(13)
	v_mov_b32_e32 v18, v31
	v_mov_b32_e32 v27, v19
	v_pk_mul_f32 v[18:19], v[20:21], v[18:19] op_sel_hi:[1,0]
	s_waitcnt vmcnt(12)
	v_pk_fma_f32 v[22:23], v[20:21], v[30:31], v[18:19] op_sel:[0,0,1] op_sel_hi:[1,1,0] neg_lo:[0,0,1] neg_hi:[0,0,1]
	v_pk_fma_f32 v[18:19], v[20:21], v[30:31], v[18:19] op_sel:[0,0,1] op_sel_hi:[1,0,0]
	s_waitcnt vmcnt(11)
	v_mov_b32_e32 v18, v33
	v_mov_b32_e32 v23, v19
	s_waitcnt lgkmcnt(2)
	v_pk_mul_f32 v[18:19], v[6:7], v[18:19] op_sel_hi:[1,0]
	s_waitcnt vmcnt(10)
	v_pk_fma_f32 v[20:21], v[6:7], v[32:33], v[18:19] op_sel:[0,0,1] op_sel_hi:[1,1,0] neg_lo:[0,0,1] neg_hi:[0,0,1]
	v_pk_fma_f32 v[6:7], v[6:7], v[32:33], v[18:19] op_sel:[0,0,1] op_sel_hi:[1,0,0]
	s_waitcnt vmcnt(9)
	v_mov_b32_e32 v6, v35
	v_mov_b32_e32 v21, v7
	v_pk_mul_f32 v[6:7], v[8:9], v[6:7] op_sel_hi:[1,0]
	s_waitcnt vmcnt(8)
	v_pk_fma_f32 v[18:19], v[8:9], v[34:35], v[6:7] op_sel:[0,0,1] op_sel_hi:[1,1,0] neg_lo:[0,0,1] neg_hi:[0,0,1]
	v_pk_fma_f32 v[6:7], v[8:9], v[34:35], v[6:7] op_sel:[0,0,1] op_sel_hi:[1,0,0]
	v_pk_add_f32 v[4:5], v[4:5], v[28:29]
	s_waitcnt vmcnt(7)
	v_mov_b32_e32 v6, v37
	v_pk_add_f32 v[4:5], v[4:5], v[26:27]
	v_mov_b32_e32 v19, v7
	s_waitcnt lgkmcnt(1)
	v_pk_mul_f32 v[6:7], v[10:11], v[6:7] op_sel_hi:[1,0]
	v_pk_add_f32 v[4:5], v[4:5], v[22:23]
	s_waitcnt vmcnt(6)
	v_pk_fma_f32 v[8:9], v[10:11], v[36:37], v[6:7] op_sel:[0,0,1] op_sel_hi:[1,1,0] neg_lo:[0,0,1] neg_hi:[0,0,1]
	v_pk_fma_f32 v[6:7], v[10:11], v[36:37], v[6:7] op_sel:[0,0,1] op_sel_hi:[1,0,0]
	v_pk_add_f32 v[4:5], v[4:5], v[20:21]
	s_waitcnt vmcnt(5)
	v_mov_b32_e32 v6, v39
	v_pk_add_f32 v[4:5], v[4:5], v[18:19]
	v_mov_b32_e32 v9, v7
	v_pk_mul_f32 v[6:7], v[12:13], v[6:7] op_sel_hi:[1,0]
	v_pk_add_f32 v[4:5], v[4:5], v[8:9]
	s_waitcnt vmcnt(4)
	v_pk_fma_f32 v[8:9], v[12:13], v[38:39], v[6:7] op_sel:[0,0,1] op_sel_hi:[1,1,0] neg_lo:[0,0,1] neg_hi:[0,0,1]
	v_pk_fma_f32 v[6:7], v[12:13], v[38:39], v[6:7] op_sel:[0,0,1] op_sel_hi:[1,0,0]
	s_waitcnt vmcnt(3)
	v_mov_b32_e32 v6, v41
	v_mov_b32_e32 v9, v7
	s_waitcnt lgkmcnt(0)
	v_pk_mul_f32 v[6:7], v[14:15], v[6:7] op_sel_hi:[1,0]
	v_pk_add_f32 v[4:5], v[4:5], v[8:9]
	s_waitcnt vmcnt(2)
	v_pk_fma_f32 v[8:9], v[14:15], v[40:41], v[6:7] op_sel:[0,0,1] op_sel_hi:[1,1,0] neg_lo:[0,0,1] neg_hi:[0,0,1]
	v_pk_fma_f32 v[6:7], v[14:15], v[40:41], v[6:7] op_sel:[0,0,1] op_sel_hi:[1,0,0]
	s_waitcnt vmcnt(1)
	v_mov_b32_e32 v6, v43
	v_mov_b32_e32 v9, v7
	v_pk_mul_f32 v[6:7], v[16:17], v[6:7] op_sel_hi:[1,0]
	v_pk_add_f32 v[4:5], v[4:5], v[8:9]
	s_waitcnt vmcnt(0)
	v_pk_fma_f32 v[8:9], v[16:17], v[42:43], v[6:7] op_sel:[0,0,1] op_sel_hi:[1,1,0] neg_lo:[0,0,1] neg_hi:[0,0,1]
	v_pk_fma_f32 v[6:7], v[16:17], v[42:43], v[6:7] op_sel:[0,0,1] op_sel_hi:[1,0,0]
	v_mov_b32_e32 v9, v7
	v_pk_add_f32 v[4:5], v[4:5], v[8:9]
	v_pk_add_f32 v[2:3], v[2:3], v[4:5] neg_lo:[0,1] neg_hi:[0,1]
	buffer_store_dword v3, off, s[0:3], 0 offset:284
	buffer_store_dword v2, off, s[0:3], 0 offset:280
	s_and_saveexec_b64 s[4:5], vcc
	s_cbranch_execz .LBB49_245
; %bb.244:
	buffer_load_dword v2, off, s[0:3], 0 offset:272
	buffer_load_dword v3, off, s[0:3], 0 offset:276
	v_mov_b32_e32 v4, 0
	buffer_store_dword v4, off, s[0:3], 0 offset:272
	buffer_store_dword v4, off, s[0:3], 0 offset:276
	s_waitcnt vmcnt(2)
	ds_write_b64 v111, v[2:3]
.LBB49_245:
	s_or_b64 exec, exec, s[4:5]
	v_mov_b32_e32 v4, 0
	s_waitcnt lgkmcnt(0)
	; wave barrier
	s_waitcnt lgkmcnt(0)
	ds_read2_b64 v[6:9], v4 offset0:85 offset1:86
	buffer_load_dword v2, off, s[0:3], 0 offset:272
	buffer_load_dword v3, off, s[0:3], 0 offset:276
	;; [unrolled: 1-line block ×16, first 2 shown]
	v_cmp_lt_u32_e32 vcc, 33, v0
	s_waitcnt vmcnt(12) lgkmcnt(0)
	v_mul_f32_e32 v10, v6, v22
	v_fmac_f32_e32 v10, v7, v5
	s_waitcnt vmcnt(10)
	v_mul_f32_e32 v11, v8, v26
	v_add_f32_e32 v10, 0, v10
	v_fmac_f32_e32 v11, v9, v24
	v_add_f32_e32 v14, v10, v11
	ds_read2_b64 v[10:13], v4 offset0:87 offset1:88
	v_mul_f32_e32 v7, v7, v22
	v_fma_f32 v5, v6, v5, -v7
	v_mul_f32_e32 v6, v9, v26
	v_add_f32_e32 v5, 0, v5
	s_waitcnt vmcnt(8) lgkmcnt(0)
	v_mul_f32_e32 v15, v10, v45
	v_fmac_f32_e32 v15, v11, v44
	v_add_f32_e32 v14, v14, v15
	s_waitcnt vmcnt(6)
	v_mul_f32_e32 v15, v12, v47
	v_fmac_f32_e32 v15, v13, v46
	v_add_f32_e32 v18, v14, v15
	ds_read2_b64 v[14:17], v4 offset0:89 offset1:90
	v_fma_f32 v6, v8, v24, -v6
	v_add_f32_e32 v5, v5, v6
	v_mul_f32_e32 v6, v11, v45
	v_fma_f32 v6, v10, v44, -v6
	s_waitcnt vmcnt(4) lgkmcnt(0)
	v_mul_f32_e32 v19, v14, v49
	v_fmac_f32_e32 v19, v15, v48
	v_add_f32_e32 v23, v18, v19
	ds_read2_b64 v[18:21], v4 offset0:91 offset1:92
	buffer_load_dword v29, off, s[0:3], 0 offset:340
	buffer_load_dword v28, off, s[0:3], 0 offset:336
	;; [unrolled: 1-line block ×16, first 2 shown]
	v_add_f32_e32 v5, v5, v6
	v_mul_f32_e32 v6, v13, v47
	v_fma_f32 v6, v12, v46, -v6
	v_add_f32_e32 v5, v5, v6
	v_mul_f32_e32 v6, v15, v49
	v_fma_f32 v6, v14, v48, -v6
	s_waitcnt vmcnt(18)
	v_mul_f32_e32 v25, v16, v51
	v_add_f32_e32 v22, v5, v6
	v_mul_f32_e32 v5, v17, v51
	v_fmac_f32_e32 v25, v17, v50
	v_fma_f32 v24, v16, v50, -v5
	s_waitcnt vmcnt(16) lgkmcnt(0)
	v_mul_f32_e32 v27, v18, v53
	v_mul_f32_e32 v5, v19, v53
	v_pk_add_f32 v[22:23], v[22:23], v[24:25]
	v_fmac_f32_e32 v27, v19, v52
	v_fma_f32 v26, v18, v52, -v5
	v_pk_add_f32 v[22:23], v[22:23], v[26:27]
	ds_read2_b64 v[6:9], v4 offset0:93 offset1:94
	ds_read2_b64 v[10:13], v4 offset0:95 offset1:96
	;; [unrolled: 1-line block ×3, first 2 shown]
	ds_read_b64 v[18:19], v4 offset:792
	s_waitcnt vmcnt(15)
	v_mov_b32_e32 v24, v29
	v_pk_mul_f32 v[24:25], v[20:21], v[24:25] op_sel_hi:[1,0]
	s_waitcnt vmcnt(14)
	v_pk_fma_f32 v[26:27], v[20:21], v[28:29], v[24:25] op_sel:[0,0,1] op_sel_hi:[1,1,0] neg_lo:[0,0,1] neg_hi:[0,0,1]
	v_pk_fma_f32 v[20:21], v[20:21], v[28:29], v[24:25] op_sel:[0,0,1] op_sel_hi:[1,0,0]
	v_mov_b32_e32 v27, v21
	v_pk_add_f32 v[20:21], v[22:23], v[26:27]
	s_waitcnt vmcnt(13)
	v_mov_b32_e32 v22, v31
	s_waitcnt lgkmcnt(3)
	v_pk_mul_f32 v[22:23], v[6:7], v[22:23] op_sel_hi:[1,0]
	s_waitcnt vmcnt(12)
	v_pk_fma_f32 v[24:25], v[6:7], v[30:31], v[22:23] op_sel:[0,0,1] op_sel_hi:[1,1,0] neg_lo:[0,0,1] neg_hi:[0,0,1]
	v_pk_fma_f32 v[6:7], v[6:7], v[30:31], v[22:23] op_sel:[0,0,1] op_sel_hi:[1,0,0]
	v_mov_b32_e32 v25, v7
	v_pk_add_f32 v[6:7], v[20:21], v[24:25]
	s_waitcnt vmcnt(11)
	v_mov_b32_e32 v20, v33
	v_pk_mul_f32 v[20:21], v[8:9], v[20:21] op_sel_hi:[1,0]
	s_waitcnt vmcnt(10)
	v_pk_fma_f32 v[22:23], v[8:9], v[32:33], v[20:21] op_sel:[0,0,1] op_sel_hi:[1,1,0] neg_lo:[0,0,1] neg_hi:[0,0,1]
	v_pk_fma_f32 v[8:9], v[8:9], v[32:33], v[20:21] op_sel:[0,0,1] op_sel_hi:[1,0,0]
	s_waitcnt vmcnt(9)
	v_mov_b32_e32 v8, v35
	v_mov_b32_e32 v23, v9
	s_waitcnt lgkmcnt(2)
	v_pk_mul_f32 v[8:9], v[10:11], v[8:9] op_sel_hi:[1,0]
	s_waitcnt vmcnt(8)
	v_pk_fma_f32 v[20:21], v[10:11], v[34:35], v[8:9] op_sel:[0,0,1] op_sel_hi:[1,1,0] neg_lo:[0,0,1] neg_hi:[0,0,1]
	v_pk_fma_f32 v[8:9], v[10:11], v[34:35], v[8:9] op_sel:[0,0,1] op_sel_hi:[1,0,0]
	s_waitcnt vmcnt(7)
	v_mov_b32_e32 v8, v37
	v_mov_b32_e32 v21, v9
	v_pk_mul_f32 v[8:9], v[12:13], v[8:9] op_sel_hi:[1,0]
	s_waitcnt vmcnt(6)
	v_pk_fma_f32 v[10:11], v[12:13], v[36:37], v[8:9] op_sel:[0,0,1] op_sel_hi:[1,1,0] neg_lo:[0,0,1] neg_hi:[0,0,1]
	v_pk_fma_f32 v[8:9], v[12:13], v[36:37], v[8:9] op_sel:[0,0,1] op_sel_hi:[1,0,0]
	v_pk_add_f32 v[6:7], v[6:7], v[22:23]
	s_waitcnt vmcnt(5)
	v_mov_b32_e32 v8, v39
	v_pk_add_f32 v[6:7], v[6:7], v[20:21]
	v_mov_b32_e32 v11, v9
	s_waitcnt lgkmcnt(1)
	v_pk_mul_f32 v[8:9], v[14:15], v[8:9] op_sel_hi:[1,0]
	v_pk_add_f32 v[6:7], v[6:7], v[10:11]
	s_waitcnt vmcnt(4)
	v_pk_fma_f32 v[10:11], v[14:15], v[38:39], v[8:9] op_sel:[0,0,1] op_sel_hi:[1,1,0] neg_lo:[0,0,1] neg_hi:[0,0,1]
	v_pk_fma_f32 v[8:9], v[14:15], v[38:39], v[8:9] op_sel:[0,0,1] op_sel_hi:[1,0,0]
	s_waitcnt vmcnt(3)
	v_mov_b32_e32 v8, v41
	v_mov_b32_e32 v11, v9
	v_pk_mul_f32 v[8:9], v[16:17], v[8:9] op_sel_hi:[1,0]
	v_pk_add_f32 v[6:7], v[6:7], v[10:11]
	s_waitcnt vmcnt(2)
	v_pk_fma_f32 v[10:11], v[16:17], v[40:41], v[8:9] op_sel:[0,0,1] op_sel_hi:[1,1,0] neg_lo:[0,0,1] neg_hi:[0,0,1]
	v_pk_fma_f32 v[8:9], v[16:17], v[40:41], v[8:9] op_sel:[0,0,1] op_sel_hi:[1,0,0]
	s_waitcnt vmcnt(1)
	v_mov_b32_e32 v8, v43
	v_mov_b32_e32 v11, v9
	s_waitcnt lgkmcnt(0)
	v_pk_mul_f32 v[8:9], v[18:19], v[8:9] op_sel_hi:[1,0]
	v_pk_add_f32 v[6:7], v[6:7], v[10:11]
	s_waitcnt vmcnt(0)
	v_pk_fma_f32 v[10:11], v[18:19], v[42:43], v[8:9] op_sel:[0,0,1] op_sel_hi:[1,1,0] neg_lo:[0,0,1] neg_hi:[0,0,1]
	v_pk_fma_f32 v[8:9], v[18:19], v[42:43], v[8:9] op_sel:[0,0,1] op_sel_hi:[1,0,0]
	v_mov_b32_e32 v11, v9
	v_pk_add_f32 v[6:7], v[6:7], v[10:11]
	v_pk_add_f32 v[2:3], v[2:3], v[6:7] neg_lo:[0,1] neg_hi:[0,1]
	buffer_store_dword v3, off, s[0:3], 0 offset:276
	buffer_store_dword v2, off, s[0:3], 0 offset:272
	s_and_saveexec_b64 s[4:5], vcc
	s_cbranch_execz .LBB49_247
; %bb.246:
	buffer_load_dword v2, off, s[0:3], 0 offset:264
	buffer_load_dword v3, off, s[0:3], 0 offset:268
	s_waitcnt vmcnt(0)
	ds_write_b64 v111, v[2:3]
	buffer_store_dword v4, off, s[0:3], 0 offset:264
	buffer_store_dword v4, off, s[0:3], 0 offset:268
.LBB49_247:
	s_or_b64 exec, exec, s[4:5]
	s_waitcnt lgkmcnt(0)
	; wave barrier
	s_waitcnt lgkmcnt(0)
	ds_read_b128 v[6:9], v4 offset:672
	ds_read_b128 v[10:13], v4 offset:688
	;; [unrolled: 1-line block ×4, first 2 shown]
	buffer_load_dword v2, off, s[0:3], 0 offset:264
	buffer_load_dword v3, off, s[0:3], 0 offset:268
	buffer_load_dword v5, off, s[0:3], 0 offset:272
	buffer_load_dword v26, off, s[0:3], 0 offset:276
	buffer_load_dword v28, off, s[0:3], 0 offset:280
	buffer_load_dword v30, off, s[0:3], 0 offset:284
	buffer_load_dword v48, off, s[0:3], 0 offset:288
	buffer_load_dword v49, off, s[0:3], 0 offset:292
	buffer_load_dword v50, off, s[0:3], 0 offset:296
	buffer_load_dword v51, off, s[0:3], 0 offset:300
	buffer_load_dword v52, off, s[0:3], 0 offset:304
	buffer_load_dword v53, off, s[0:3], 0 offset:308
	buffer_load_dword v54, off, s[0:3], 0 offset:312
	buffer_load_dword v55, off, s[0:3], 0 offset:316
	buffer_load_dword v56, off, s[0:3], 0 offset:320
	buffer_load_dword v57, off, s[0:3], 0 offset:324
	buffer_load_dword v58, off, s[0:3], 0 offset:328
	buffer_load_dword v59, off, s[0:3], 0 offset:332
	buffer_load_dword v33, off, s[0:3], 0 offset:340
	buffer_load_dword v32, off, s[0:3], 0 offset:336
	v_cmp_lt_u32_e32 vcc, 32, v0
	s_waitcnt vmcnt(16) lgkmcnt(3)
	v_mul_f32_e32 v22, v6, v26
	v_fmac_f32_e32 v22, v7, v5
	s_waitcnt vmcnt(14)
	v_mul_f32_e32 v23, v8, v30
	v_add_f32_e32 v22, 0, v22
	v_fmac_f32_e32 v23, v9, v28
	v_add_f32_e32 v22, v22, v23
	s_waitcnt vmcnt(12) lgkmcnt(2)
	v_mul_f32_e32 v23, v10, v49
	v_fmac_f32_e32 v23, v11, v48
	v_add_f32_e32 v22, v22, v23
	s_waitcnt vmcnt(10)
	v_mul_f32_e32 v23, v12, v51
	v_fmac_f32_e32 v23, v13, v50
	v_add_f32_e32 v22, v22, v23
	s_waitcnt vmcnt(8) lgkmcnt(1)
	v_mul_f32_e32 v23, v14, v53
	v_fmac_f32_e32 v23, v15, v52
	v_add_f32_e32 v22, v22, v23
	s_waitcnt vmcnt(6)
	v_mul_f32_e32 v23, v16, v55
	v_fmac_f32_e32 v23, v17, v54
	v_add_f32_e32 v27, v22, v23
	ds_read_b128 v[22:25], v4 offset:736
	buffer_load_dword v35, off, s[0:3], 0 offset:348
	buffer_load_dword v34, off, s[0:3], 0 offset:344
	;; [unrolled: 1-line block ×14, first 2 shown]
	v_mul_f32_e32 v7, v7, v26
	v_fma_f32 v5, v6, v5, -v7
	v_mul_f32_e32 v6, v9, v30
	v_add_f32_e32 v5, 0, v5
	v_fma_f32 v6, v8, v28, -v6
	v_add_f32_e32 v5, v5, v6
	v_mul_f32_e32 v6, v11, v49
	v_fma_f32 v6, v10, v48, -v6
	v_add_f32_e32 v5, v5, v6
	v_mul_f32_e32 v6, v13, v51
	;; [unrolled: 3-line block ×4, first 2 shown]
	v_fma_f32 v6, v16, v54, -v6
	v_add_f32_e32 v26, v5, v6
	s_waitcnt vmcnt(18) lgkmcnt(1)
	v_mul_f32_e32 v5, v19, v57
	v_mul_f32_e32 v29, v18, v57
	v_fma_f32 v28, v18, v56, -v5
	s_waitcnt vmcnt(15)
	v_mov_b32_e32 v18, v33
	v_fmac_f32_e32 v29, v19, v56
	v_mul_f32_e32 v31, v20, v59
	v_mul_f32_e32 v5, v21, v59
	s_waitcnt lgkmcnt(0)
	v_pk_mul_f32 v[18:19], v[22:23], v[18:19] op_sel_hi:[1,0]
	v_fmac_f32_e32 v31, v21, v58
	v_fma_f32 v30, v20, v58, -v5
	s_waitcnt vmcnt(14)
	v_pk_fma_f32 v[20:21], v[22:23], v[32:33], v[18:19] op_sel:[0,0,1] op_sel_hi:[1,1,0] neg_lo:[0,0,1] neg_hi:[0,0,1]
	v_pk_fma_f32 v[18:19], v[22:23], v[32:33], v[18:19] op_sel:[0,0,1] op_sel_hi:[1,0,0]
	ds_read_b128 v[6:9], v4 offset:752
	ds_read_b128 v[10:13], v4 offset:768
	;; [unrolled: 1-line block ×3, first 2 shown]
	v_pk_add_f32 v[4:5], v[26:27], v[28:29]
	v_pk_add_f32 v[4:5], v[4:5], v[30:31]
	v_mov_b32_e32 v21, v19
	v_pk_add_f32 v[4:5], v[4:5], v[20:21]
	s_waitcnt vmcnt(13)
	v_mov_b32_e32 v18, v35
	v_pk_mul_f32 v[18:19], v[24:25], v[18:19] op_sel_hi:[1,0]
	s_waitcnt vmcnt(12)
	v_pk_fma_f32 v[20:21], v[24:25], v[34:35], v[18:19] op_sel:[0,0,1] op_sel_hi:[1,1,0] neg_lo:[0,0,1] neg_hi:[0,0,1]
	v_pk_fma_f32 v[18:19], v[24:25], v[34:35], v[18:19] op_sel:[0,0,1] op_sel_hi:[1,0,0]
	s_waitcnt vmcnt(11)
	v_mov_b32_e32 v18, v37
	v_mov_b32_e32 v21, v19
	s_waitcnt lgkmcnt(2)
	v_pk_mul_f32 v[18:19], v[6:7], v[18:19] op_sel_hi:[1,0]
	v_pk_add_f32 v[4:5], v[4:5], v[20:21]
	s_waitcnt vmcnt(10)
	v_pk_fma_f32 v[20:21], v[6:7], v[36:37], v[18:19] op_sel:[0,0,1] op_sel_hi:[1,1,0] neg_lo:[0,0,1] neg_hi:[0,0,1]
	v_pk_fma_f32 v[6:7], v[6:7], v[36:37], v[18:19] op_sel:[0,0,1] op_sel_hi:[1,0,0]
	s_waitcnt vmcnt(9)
	v_mov_b32_e32 v6, v39
	v_mov_b32_e32 v21, v7
	v_pk_mul_f32 v[6:7], v[8:9], v[6:7] op_sel_hi:[1,0]
	s_waitcnt vmcnt(8)
	v_pk_fma_f32 v[18:19], v[8:9], v[38:39], v[6:7] op_sel:[0,0,1] op_sel_hi:[1,1,0] neg_lo:[0,0,1] neg_hi:[0,0,1]
	v_pk_fma_f32 v[6:7], v[8:9], v[38:39], v[6:7] op_sel:[0,0,1] op_sel_hi:[1,0,0]
	s_waitcnt vmcnt(7)
	v_mov_b32_e32 v6, v41
	v_mov_b32_e32 v19, v7
	s_waitcnt lgkmcnt(1)
	v_pk_mul_f32 v[6:7], v[10:11], v[6:7] op_sel_hi:[1,0]
	s_waitcnt vmcnt(6)
	v_pk_fma_f32 v[8:9], v[10:11], v[40:41], v[6:7] op_sel:[0,0,1] op_sel_hi:[1,1,0] neg_lo:[0,0,1] neg_hi:[0,0,1]
	v_pk_fma_f32 v[6:7], v[10:11], v[40:41], v[6:7] op_sel:[0,0,1] op_sel_hi:[1,0,0]
	v_pk_add_f32 v[4:5], v[4:5], v[20:21]
	s_waitcnt vmcnt(5)
	v_mov_b32_e32 v6, v43
	v_pk_add_f32 v[4:5], v[4:5], v[18:19]
	v_mov_b32_e32 v9, v7
	v_pk_mul_f32 v[6:7], v[12:13], v[6:7] op_sel_hi:[1,0]
	v_pk_add_f32 v[4:5], v[4:5], v[8:9]
	s_waitcnt vmcnt(4)
	v_pk_fma_f32 v[8:9], v[12:13], v[42:43], v[6:7] op_sel:[0,0,1] op_sel_hi:[1,1,0] neg_lo:[0,0,1] neg_hi:[0,0,1]
	v_pk_fma_f32 v[6:7], v[12:13], v[42:43], v[6:7] op_sel:[0,0,1] op_sel_hi:[1,0,0]
	s_waitcnt vmcnt(3)
	v_mov_b32_e32 v6, v45
	v_mov_b32_e32 v9, v7
	s_waitcnt lgkmcnt(0)
	v_pk_mul_f32 v[6:7], v[14:15], v[6:7] op_sel_hi:[1,0]
	v_pk_add_f32 v[4:5], v[4:5], v[8:9]
	s_waitcnt vmcnt(2)
	v_pk_fma_f32 v[8:9], v[14:15], v[44:45], v[6:7] op_sel:[0,0,1] op_sel_hi:[1,1,0] neg_lo:[0,0,1] neg_hi:[0,0,1]
	v_pk_fma_f32 v[6:7], v[14:15], v[44:45], v[6:7] op_sel:[0,0,1] op_sel_hi:[1,0,0]
	s_waitcnt vmcnt(1)
	v_mov_b32_e32 v6, v47
	v_mov_b32_e32 v9, v7
	v_pk_mul_f32 v[6:7], v[16:17], v[6:7] op_sel_hi:[1,0]
	v_pk_add_f32 v[4:5], v[4:5], v[8:9]
	s_waitcnt vmcnt(0)
	v_pk_fma_f32 v[8:9], v[16:17], v[46:47], v[6:7] op_sel:[0,0,1] op_sel_hi:[1,1,0] neg_lo:[0,0,1] neg_hi:[0,0,1]
	v_pk_fma_f32 v[6:7], v[16:17], v[46:47], v[6:7] op_sel:[0,0,1] op_sel_hi:[1,0,0]
	v_mov_b32_e32 v9, v7
	v_pk_add_f32 v[4:5], v[4:5], v[8:9]
	v_pk_add_f32 v[2:3], v[2:3], v[4:5] neg_lo:[0,1] neg_hi:[0,1]
	buffer_store_dword v3, off, s[0:3], 0 offset:268
	buffer_store_dword v2, off, s[0:3], 0 offset:264
	s_and_saveexec_b64 s[4:5], vcc
	s_cbranch_execz .LBB49_249
; %bb.248:
	buffer_load_dword v2, off, s[0:3], 0 offset:256
	buffer_load_dword v3, off, s[0:3], 0 offset:260
	v_mov_b32_e32 v4, 0
	buffer_store_dword v4, off, s[0:3], 0 offset:256
	buffer_store_dword v4, off, s[0:3], 0 offset:260
	s_waitcnt vmcnt(2)
	ds_write_b64 v111, v[2:3]
.LBB49_249:
	s_or_b64 exec, exec, s[4:5]
	v_mov_b32_e32 v4, 0
	s_waitcnt lgkmcnt(0)
	; wave barrier
	s_waitcnt lgkmcnt(0)
	ds_read2_b64 v[6:9], v4 offset0:83 offset1:84
	buffer_load_dword v2, off, s[0:3], 0 offset:256
	buffer_load_dword v3, off, s[0:3], 0 offset:260
	;; [unrolled: 1-line block ×16, first 2 shown]
	v_cmp_lt_u32_e32 vcc, 31, v0
	s_waitcnt vmcnt(12) lgkmcnt(0)
	v_mul_f32_e32 v10, v6, v26
	v_fmac_f32_e32 v10, v7, v5
	s_waitcnt vmcnt(10)
	v_mul_f32_e32 v11, v8, v30
	v_add_f32_e32 v10, 0, v10
	v_fmac_f32_e32 v11, v9, v28
	v_add_f32_e32 v14, v10, v11
	ds_read2_b64 v[10:13], v4 offset0:85 offset1:86
	v_mul_f32_e32 v7, v7, v26
	v_fma_f32 v5, v6, v5, -v7
	v_mul_f32_e32 v6, v9, v30
	v_add_f32_e32 v5, 0, v5
	s_waitcnt vmcnt(8) lgkmcnt(0)
	v_mul_f32_e32 v15, v10, v49
	v_fmac_f32_e32 v15, v11, v48
	v_add_f32_e32 v14, v14, v15
	s_waitcnt vmcnt(6)
	v_mul_f32_e32 v15, v12, v51
	v_fmac_f32_e32 v15, v13, v50
	v_add_f32_e32 v18, v14, v15
	ds_read2_b64 v[14:17], v4 offset0:87 offset1:88
	v_fma_f32 v6, v8, v28, -v6
	v_add_f32_e32 v5, v5, v6
	v_mul_f32_e32 v6, v11, v49
	v_fma_f32 v6, v10, v48, -v6
	s_waitcnt vmcnt(4) lgkmcnt(0)
	v_mul_f32_e32 v19, v14, v53
	v_fmac_f32_e32 v19, v15, v52
	v_add_f32_e32 v18, v18, v19
	s_waitcnt vmcnt(2)
	v_mul_f32_e32 v19, v16, v55
	v_fmac_f32_e32 v19, v17, v54
	v_add_f32_e32 v22, v18, v19
	ds_read2_b64 v[18:21], v4 offset0:89 offset1:90
	buffer_load_dword v58, off, s[0:3], 0 offset:320
	buffer_load_dword v59, off, s[0:3], 0 offset:324
	v_add_f32_e32 v5, v5, v6
	v_mul_f32_e32 v6, v13, v51
	v_fma_f32 v6, v12, v50, -v6
	s_waitcnt vmcnt(2) lgkmcnt(0)
	v_mul_f32_e32 v23, v18, v57
	v_fmac_f32_e32 v23, v19, v56
	v_add_f32_e32 v27, v22, v23
	ds_read2_b64 v[22:25], v4 offset0:91 offset1:92
	buffer_load_dword v60, off, s[0:3], 0 offset:328
	buffer_load_dword v61, off, s[0:3], 0 offset:332
	;; [unrolled: 1-line block ×18, first 2 shown]
	v_add_f32_e32 v5, v5, v6
	v_mul_f32_e32 v6, v15, v53
	v_fma_f32 v6, v14, v52, -v6
	v_add_f32_e32 v5, v5, v6
	v_mul_f32_e32 v6, v17, v55
	v_fma_f32 v6, v16, v54, -v6
	;; [unrolled: 3-line block ×3, first 2 shown]
	v_add_f32_e32 v26, v5, v6
	ds_read2_b64 v[6:9], v4 offset0:93 offset1:94
	ds_read2_b64 v[10:13], v4 offset0:95 offset1:96
	;; [unrolled: 1-line block ×3, first 2 shown]
	ds_read_b64 v[18:19], v4 offset:792
	s_waitcnt vmcnt(18)
	v_mul_f32_e32 v5, v21, v59
	v_fma_f32 v28, v20, v58, -v5
	v_mul_f32_e32 v29, v20, v59
	v_fmac_f32_e32 v29, v21, v58
	v_pk_add_f32 v[20:21], v[26:27], v[28:29]
	s_waitcnt vmcnt(16) lgkmcnt(4)
	v_mul_f32_e32 v5, v23, v61
	v_mul_f32_e32 v31, v22, v61
	v_fma_f32 v30, v22, v60, -v5
	s_waitcnt vmcnt(15)
	v_mov_b32_e32 v22, v33
	v_fmac_f32_e32 v31, v23, v60
	v_pk_mul_f32 v[22:23], v[24:25], v[22:23] op_sel_hi:[1,0]
	s_waitcnt vmcnt(14)
	v_pk_fma_f32 v[26:27], v[24:25], v[32:33], v[22:23] op_sel:[0,0,1] op_sel_hi:[1,1,0] neg_lo:[0,0,1] neg_hi:[0,0,1]
	v_pk_fma_f32 v[22:23], v[24:25], v[32:33], v[22:23] op_sel:[0,0,1] op_sel_hi:[1,0,0]
	s_waitcnt vmcnt(13)
	v_mov_b32_e32 v22, v35
	v_mov_b32_e32 v27, v23
	s_waitcnt lgkmcnt(3)
	v_pk_mul_f32 v[22:23], v[6:7], v[22:23] op_sel_hi:[1,0]
	v_pk_add_f32 v[20:21], v[20:21], v[30:31]
	s_waitcnt vmcnt(12)
	v_pk_fma_f32 v[24:25], v[6:7], v[34:35], v[22:23] op_sel:[0,0,1] op_sel_hi:[1,1,0] neg_lo:[0,0,1] neg_hi:[0,0,1]
	v_pk_fma_f32 v[6:7], v[6:7], v[34:35], v[22:23] op_sel:[0,0,1] op_sel_hi:[1,0,0]
	v_pk_add_f32 v[20:21], v[20:21], v[26:27]
	v_mov_b32_e32 v25, v7
	v_pk_add_f32 v[6:7], v[20:21], v[24:25]
	s_waitcnt vmcnt(11)
	v_mov_b32_e32 v20, v37
	v_pk_mul_f32 v[20:21], v[8:9], v[20:21] op_sel_hi:[1,0]
	s_waitcnt vmcnt(10)
	v_pk_fma_f32 v[22:23], v[8:9], v[36:37], v[20:21] op_sel:[0,0,1] op_sel_hi:[1,1,0] neg_lo:[0,0,1] neg_hi:[0,0,1]
	v_pk_fma_f32 v[8:9], v[8:9], v[36:37], v[20:21] op_sel:[0,0,1] op_sel_hi:[1,0,0]
	s_waitcnt vmcnt(9)
	v_mov_b32_e32 v8, v39
	v_mov_b32_e32 v23, v9
	s_waitcnt lgkmcnt(2)
	v_pk_mul_f32 v[8:9], v[10:11], v[8:9] op_sel_hi:[1,0]
	s_waitcnt vmcnt(8)
	v_pk_fma_f32 v[20:21], v[10:11], v[38:39], v[8:9] op_sel:[0,0,1] op_sel_hi:[1,1,0] neg_lo:[0,0,1] neg_hi:[0,0,1]
	v_pk_fma_f32 v[8:9], v[10:11], v[38:39], v[8:9] op_sel:[0,0,1] op_sel_hi:[1,0,0]
	s_waitcnt vmcnt(7)
	v_mov_b32_e32 v8, v41
	v_mov_b32_e32 v21, v9
	v_pk_mul_f32 v[8:9], v[12:13], v[8:9] op_sel_hi:[1,0]
	s_waitcnt vmcnt(6)
	v_pk_fma_f32 v[10:11], v[12:13], v[40:41], v[8:9] op_sel:[0,0,1] op_sel_hi:[1,1,0] neg_lo:[0,0,1] neg_hi:[0,0,1]
	v_pk_fma_f32 v[8:9], v[12:13], v[40:41], v[8:9] op_sel:[0,0,1] op_sel_hi:[1,0,0]
	v_pk_add_f32 v[6:7], v[6:7], v[22:23]
	s_waitcnt vmcnt(5)
	v_mov_b32_e32 v8, v43
	v_pk_add_f32 v[6:7], v[6:7], v[20:21]
	v_mov_b32_e32 v11, v9
	s_waitcnt lgkmcnt(1)
	v_pk_mul_f32 v[8:9], v[14:15], v[8:9] op_sel_hi:[1,0]
	v_pk_add_f32 v[6:7], v[6:7], v[10:11]
	s_waitcnt vmcnt(4)
	v_pk_fma_f32 v[10:11], v[14:15], v[42:43], v[8:9] op_sel:[0,0,1] op_sel_hi:[1,1,0] neg_lo:[0,0,1] neg_hi:[0,0,1]
	v_pk_fma_f32 v[8:9], v[14:15], v[42:43], v[8:9] op_sel:[0,0,1] op_sel_hi:[1,0,0]
	s_waitcnt vmcnt(3)
	v_mov_b32_e32 v8, v45
	v_mov_b32_e32 v11, v9
	v_pk_mul_f32 v[8:9], v[16:17], v[8:9] op_sel_hi:[1,0]
	v_pk_add_f32 v[6:7], v[6:7], v[10:11]
	s_waitcnt vmcnt(2)
	v_pk_fma_f32 v[10:11], v[16:17], v[44:45], v[8:9] op_sel:[0,0,1] op_sel_hi:[1,1,0] neg_lo:[0,0,1] neg_hi:[0,0,1]
	v_pk_fma_f32 v[8:9], v[16:17], v[44:45], v[8:9] op_sel:[0,0,1] op_sel_hi:[1,0,0]
	s_waitcnt vmcnt(1)
	v_mov_b32_e32 v8, v47
	v_mov_b32_e32 v11, v9
	s_waitcnt lgkmcnt(0)
	v_pk_mul_f32 v[8:9], v[18:19], v[8:9] op_sel_hi:[1,0]
	v_pk_add_f32 v[6:7], v[6:7], v[10:11]
	s_waitcnt vmcnt(0)
	v_pk_fma_f32 v[10:11], v[18:19], v[46:47], v[8:9] op_sel:[0,0,1] op_sel_hi:[1,1,0] neg_lo:[0,0,1] neg_hi:[0,0,1]
	v_pk_fma_f32 v[8:9], v[18:19], v[46:47], v[8:9] op_sel:[0,0,1] op_sel_hi:[1,0,0]
	v_mov_b32_e32 v11, v9
	v_pk_add_f32 v[6:7], v[6:7], v[10:11]
	v_pk_add_f32 v[2:3], v[2:3], v[6:7] neg_lo:[0,1] neg_hi:[0,1]
	buffer_store_dword v3, off, s[0:3], 0 offset:260
	buffer_store_dword v2, off, s[0:3], 0 offset:256
	s_and_saveexec_b64 s[4:5], vcc
	s_cbranch_execz .LBB49_251
; %bb.250:
	buffer_load_dword v2, off, s[0:3], 0 offset:248
	buffer_load_dword v3, off, s[0:3], 0 offset:252
	s_waitcnt vmcnt(0)
	ds_write_b64 v111, v[2:3]
	buffer_store_dword v4, off, s[0:3], 0 offset:248
	buffer_store_dword v4, off, s[0:3], 0 offset:252
.LBB49_251:
	s_or_b64 exec, exec, s[4:5]
	s_waitcnt lgkmcnt(0)
	; wave barrier
	s_waitcnt lgkmcnt(0)
	buffer_load_dword v2, off, s[0:3], 0 offset:260
	buffer_load_dword v3, off, s[0:3], 0 offset:268
	;; [unrolled: 1-line block ×22, first 2 shown]
	ds_read_b128 v[6:9], v4 offset:656
	ds_read_b128 v[10:13], v4 offset:672
	buffer_load_dword v33, off, s[0:3], 0 offset:340
	buffer_load_dword v32, off, s[0:3], 0 offset:336
	;; [unrolled: 1-line block ×10, first 2 shown]
	ds_read_b128 v[14:17], v4 offset:688
	ds_read_b128 v[18:21], v4 offset:704
	;; [unrolled: 1-line block ×4, first 2 shown]
	buffer_load_dword v43, off, s[0:3], 0 offset:396
	buffer_load_dword v42, off, s[0:3], 0 offset:392
	;; [unrolled: 1-line block ×6, first 2 shown]
	v_cmp_lt_u32_e32 vcc, 30, v0
	s_waitcnt vmcnt(37) lgkmcnt(5)
	v_mul_f32_e32 v67, v6, v2
	s_waitcnt vmcnt(36)
	v_mul_f32_e32 v68, v8, v3
	v_mul_f32_e32 v2, v7, v2
	;; [unrolled: 1-line block ×3, first 2 shown]
	s_waitcnt vmcnt(35) lgkmcnt(4)
	v_mul_f32_e32 v69, v10, v5
	s_waitcnt vmcnt(34)
	v_mul_f32_e32 v70, v12, v48
	s_waitcnt vmcnt(33) lgkmcnt(3)
	v_mul_f32_e32 v71, v14, v50
	s_waitcnt vmcnt(32)
	v_mul_f32_e32 v72, v16, v52
	v_mul_f32_e32 v5, v11, v5
	s_waitcnt vmcnt(31) lgkmcnt(2)
	v_mul_f32_e32 v73, v18, v53
	s_waitcnt vmcnt(27)
	v_fmac_f32_e32 v67, v7, v57
	s_waitcnt vmcnt(26)
	v_fmac_f32_e32 v68, v9, v58
	v_fma_f32 v2, v6, v57, -v2
	v_fma_f32 v3, v8, v58, -v3
	v_add_f32_e32 v8, 0, v67
	s_waitcnt vmcnt(25)
	v_fmac_f32_e32 v69, v11, v59
	v_add_f32_e32 v2, 0, v2
	v_add_f32_e32 v8, v8, v68
	s_waitcnt vmcnt(24)
	v_fmac_f32_e32 v70, v13, v60
	v_add_f32_e32 v2, v2, v3
	;; [unrolled: 4-line block ×3, first 2 shown]
	v_mul_f32_e32 v48, v13, v48
	s_waitcnt vmcnt(22)
	v_fmac_f32_e32 v72, v17, v62
	v_fma_f32 v5, v10, v59, -v5
	v_add_f32_e32 v3, v3, v71
	v_mul_f32_e32 v74, v20, v54
	v_mul_f32_e32 v50, v15, v50
	s_waitcnt vmcnt(21)
	v_fmac_f32_e32 v73, v19, v63
	v_fma_f32 v6, v12, v60, -v48
	v_add_f32_e32 v2, v2, v5
	v_add_f32_e32 v3, v3, v72
	v_mul_f32_e32 v52, v17, v52
	s_waitcnt vmcnt(20)
	v_fmac_f32_e32 v74, v21, v64
	v_fma_f32 v7, v14, v61, -v50
	v_add_f32_e32 v2, v2, v6
	v_add_f32_e32 v3, v3, v73
	;; [unrolled: 1-line block ×4, first 2 shown]
	v_fma_f32 v3, v16, v62, -v52
	v_add_f32_e32 v2, v2, v3
	v_mul_f32_e32 v3, v19, v53
	v_fma_f32 v3, v18, v63, -v3
	v_add_f32_e32 v2, v2, v3
	v_mul_f32_e32 v3, v21, v54
	v_fma_f32 v3, v20, v64, -v3
	s_waitcnt vmcnt(15)
	v_mov_b32_e32 v16, v33
	s_waitcnt lgkmcnt(1)
	v_mul_f32_e32 v49, v22, v55
	v_add_f32_e32 v14, v2, v3
	v_mul_f32_e32 v2, v23, v55
	s_waitcnt lgkmcnt(0)
	v_pk_mul_f32 v[16:17], v[26:27], v[16:17] op_sel_hi:[1,0]
	v_mul_f32_e32 v51, v24, v56
	v_fmac_f32_e32 v49, v23, v65
	v_fma_f32 v48, v22, v65, -v2
	v_mul_f32_e32 v2, v25, v56
	s_waitcnt vmcnt(14)
	v_pk_fma_f32 v[18:19], v[26:27], v[32:33], v[16:17] op_sel:[0,0,1] op_sel_hi:[1,1,0] neg_lo:[0,0,1] neg_hi:[0,0,1]
	v_pk_fma_f32 v[16:17], v[26:27], v[32:33], v[16:17] op_sel:[0,0,1] op_sel_hi:[1,0,0]
	v_fmac_f32_e32 v51, v25, v66
	v_fma_f32 v50, v24, v66, -v2
	v_pk_add_f32 v[14:15], v[14:15], v[48:49]
	s_waitcnt vmcnt(13)
	v_mov_b32_e32 v16, v35
	ds_read_b128 v[6:9], v4 offset:752
	ds_read_b128 v[10:13], v4 offset:768
	;; [unrolled: 1-line block ×3, first 2 shown]
	v_pk_add_f32 v[14:15], v[14:15], v[50:51]
	v_mov_b32_e32 v19, v17
	v_pk_mul_f32 v[16:17], v[28:29], v[16:17] op_sel_hi:[1,0]
	v_pk_add_f32 v[14:15], v[14:15], v[18:19]
	s_waitcnt vmcnt(6)
	v_pk_fma_f32 v[18:19], v[28:29], v[34:35], v[16:17] op_sel:[0,0,1] op_sel_hi:[1,1,0] neg_lo:[0,0,1] neg_hi:[0,0,1]
	v_pk_fma_f32 v[16:17], v[28:29], v[34:35], v[16:17] op_sel:[0,0,1] op_sel_hi:[1,0,0]
	v_mov_b32_e32 v16, v41
	v_mov_b32_e32 v19, v17
	s_waitcnt lgkmcnt(2)
	v_pk_mul_f32 v[16:17], v[6:7], v[16:17] op_sel_hi:[1,0]
	v_pk_add_f32 v[14:15], v[14:15], v[18:19]
	v_pk_fma_f32 v[18:19], v[6:7], v[40:41], v[16:17] op_sel:[0,0,1] op_sel_hi:[1,1,0] neg_lo:[0,0,1] neg_hi:[0,0,1]
	v_pk_fma_f32 v[6:7], v[6:7], v[40:41], v[16:17] op_sel:[0,0,1] op_sel_hi:[1,0,0]
	v_mov_b32_e32 v19, v7
	v_pk_add_f32 v[6:7], v[14:15], v[18:19]
	v_mov_b32_e32 v14, v39
	v_pk_mul_f32 v[14:15], v[8:9], v[14:15] op_sel_hi:[1,0]
	v_pk_fma_f32 v[16:17], v[8:9], v[38:39], v[14:15] op_sel:[0,0,1] op_sel_hi:[1,1,0] neg_lo:[0,0,1] neg_hi:[0,0,1]
	v_pk_fma_f32 v[8:9], v[8:9], v[38:39], v[14:15] op_sel:[0,0,1] op_sel_hi:[1,0,0]
	v_mov_b32_e32 v8, v37
	v_mov_b32_e32 v17, v9
	s_waitcnt lgkmcnt(1)
	v_pk_mul_f32 v[8:9], v[10:11], v[8:9] op_sel_hi:[1,0]
	v_pk_fma_f32 v[14:15], v[10:11], v[36:37], v[8:9] op_sel:[0,0,1] op_sel_hi:[1,1,0] neg_lo:[0,0,1] neg_hi:[0,0,1]
	v_pk_fma_f32 v[8:9], v[10:11], v[36:37], v[8:9] op_sel:[0,0,1] op_sel_hi:[1,0,0]
	s_waitcnt vmcnt(1)
	v_mov_b32_e32 v8, v47
	v_mov_b32_e32 v15, v9
	v_pk_mul_f32 v[8:9], v[12:13], v[8:9] op_sel_hi:[1,0]
	s_waitcnt vmcnt(0)
	v_pk_fma_f32 v[10:11], v[12:13], v[46:47], v[8:9] op_sel:[0,0,1] op_sel_hi:[1,1,0] neg_lo:[0,0,1] neg_hi:[0,0,1]
	v_pk_fma_f32 v[8:9], v[12:13], v[46:47], v[8:9] op_sel:[0,0,1] op_sel_hi:[1,0,0]
	v_pk_add_f32 v[6:7], v[6:7], v[16:17]
	v_mov_b32_e32 v8, v45
	v_pk_add_f32 v[6:7], v[6:7], v[14:15]
	v_mov_b32_e32 v11, v9
	s_waitcnt lgkmcnt(0)
	v_pk_mul_f32 v[8:9], v[2:3], v[8:9] op_sel_hi:[1,0]
	v_pk_add_f32 v[6:7], v[6:7], v[10:11]
	v_pk_fma_f32 v[10:11], v[2:3], v[44:45], v[8:9] op_sel:[0,0,1] op_sel_hi:[1,1,0] neg_lo:[0,0,1] neg_hi:[0,0,1]
	v_pk_fma_f32 v[2:3], v[2:3], v[44:45], v[8:9] op_sel:[0,0,1] op_sel_hi:[1,0,0]
	v_mov_b32_e32 v11, v3
	v_pk_add_f32 v[2:3], v[6:7], v[10:11]
	v_mov_b32_e32 v6, v43
	v_pk_mul_f32 v[6:7], v[4:5], v[6:7] op_sel_hi:[1,0]
	v_pk_fma_f32 v[8:9], v[4:5], v[42:43], v[6:7] op_sel:[0,0,1] op_sel_hi:[1,1,0] neg_lo:[0,0,1] neg_hi:[0,0,1]
	v_pk_fma_f32 v[4:5], v[4:5], v[42:43], v[6:7] op_sel:[0,0,1] op_sel_hi:[1,0,0]
	v_mov_b32_e32 v9, v5
	v_pk_add_f32 v[2:3], v[2:3], v[8:9]
	v_pk_add_f32 v[2:3], v[30:31], v[2:3] neg_lo:[0,1] neg_hi:[0,1]
	buffer_store_dword v3, off, s[0:3], 0 offset:252
	buffer_store_dword v2, off, s[0:3], 0 offset:248
	s_and_saveexec_b64 s[4:5], vcc
	s_cbranch_execz .LBB49_253
; %bb.252:
	buffer_load_dword v2, off, s[0:3], 0 offset:240
	buffer_load_dword v3, off, s[0:3], 0 offset:244
	v_mov_b32_e32 v4, 0
	buffer_store_dword v4, off, s[0:3], 0 offset:240
	buffer_store_dword v4, off, s[0:3], 0 offset:244
	s_waitcnt vmcnt(2)
	ds_write_b64 v111, v[2:3]
.LBB49_253:
	s_or_b64 exec, exec, s[4:5]
	s_waitcnt lgkmcnt(0)
	; wave barrier
	s_waitcnt lgkmcnt(0)
	buffer_load_dword v3, off, s[0:3], 0 offset:252
	buffer_load_dword v46, off, s[0:3], 0 offset:260
	;; [unrolled: 1-line block ×40, first 2 shown]
	v_mov_b32_e32 v2, 0
	ds_read2_b64 v[4:7], v2 offset0:81 offset1:82
	ds_read2_b64 v[8:11], v2 offset0:83 offset1:84
	;; [unrolled: 1-line block ×6, first 2 shown]
	v_cmp_lt_u32_e32 vcc, 29, v0
	s_waitcnt vmcnt(39) lgkmcnt(5)
	v_mul_f32_e32 v69, v4, v3
	s_waitcnt vmcnt(38)
	v_mul_f32_e32 v70, v6, v46
	v_mul_f32_e32 v3, v5, v3
	s_waitcnt vmcnt(37) lgkmcnt(4)
	v_mul_f32_e32 v71, v8, v48
	v_mul_f32_e32 v46, v7, v46
	s_waitcnt vmcnt(36)
	v_mul_f32_e32 v72, v10, v50
	s_waitcnt vmcnt(35) lgkmcnt(3)
	v_mul_f32_e32 v73, v12, v52
	s_waitcnt vmcnt(34)
	v_mul_f32_e32 v74, v14, v53
	s_waitcnt vmcnt(33) lgkmcnt(2)
	;; [unrolled: 4-line block ×3, first 2 shown]
	v_mul_f32_e32 v77, v20, v56
	s_waitcnt vmcnt(28)
	v_fmac_f32_e32 v69, v5, v51
	s_waitcnt vmcnt(27)
	v_fmac_f32_e32 v70, v7, v59
	v_fma_f32 v3, v4, v51, -v3
	v_add_f32_e32 v7, 0, v69
	s_waitcnt vmcnt(26)
	v_fmac_f32_e32 v71, v9, v60
	v_fma_f32 v4, v6, v59, -v46
	v_add_f32_e32 v3, 0, v3
	v_add_f32_e32 v7, v7, v70
	s_waitcnt vmcnt(25)
	v_fmac_f32_e32 v72, v11, v61
	v_add_f32_e32 v3, v3, v4
	v_add_f32_e32 v4, v7, v71
	s_waitcnt vmcnt(24)
	v_fmac_f32_e32 v73, v13, v62
	v_add_f32_e32 v4, v4, v72
	s_waitcnt vmcnt(23)
	v_fmac_f32_e32 v74, v15, v63
	;; [unrolled: 3-line block ×3, first 2 shown]
	v_add_f32_e32 v4, v4, v74
	v_mul_f32_e32 v48, v9, v48
	s_waitcnt vmcnt(21)
	v_fmac_f32_e32 v76, v19, v65
	v_add_f32_e32 v4, v4, v75
	v_mul_f32_e32 v50, v11, v50
	s_waitcnt vmcnt(20)
	v_fmac_f32_e32 v77, v21, v66
	v_fma_f32 v5, v8, v60, -v48
	v_add_f32_e32 v4, v4, v76
	v_fma_f32 v6, v10, v61, -v50
	v_add_f32_e32 v3, v3, v5
	v_add_f32_e32 v51, v4, v77
	v_mul_f32_e32 v4, v13, v52
	v_add_f32_e32 v3, v3, v6
	v_fma_f32 v4, v12, v62, -v4
	v_add_f32_e32 v3, v3, v4
	v_mul_f32_e32 v4, v15, v53
	v_fma_f32 v4, v14, v63, -v4
	v_add_f32_e32 v3, v3, v4
	v_mul_f32_e32 v4, v17, v54
	;; [unrolled: 3-line block ×4, first 2 shown]
	v_fma_f32 v4, v20, v66, -v4
	s_waitcnt vmcnt(9)
	v_mov_b32_e32 v20, v37
	v_mul_f32_e32 v47, v22, v57
	v_add_f32_e32 v50, v3, v4
	v_mul_f32_e32 v3, v23, v57
	s_waitcnt lgkmcnt(0)
	v_pk_mul_f32 v[20:21], v[26:27], v[20:21] op_sel_hi:[1,0]
	v_mul_f32_e32 v49, v24, v58
	v_fmac_f32_e32 v47, v23, v67
	v_fma_f32 v46, v22, v67, -v3
	v_mul_f32_e32 v3, v25, v58
	ds_read2_b64 v[4:7], v2 offset0:93 offset1:94
	ds_read2_b64 v[8:11], v2 offset0:95 offset1:96
	;; [unrolled: 1-line block ×3, first 2 shown]
	ds_read_b64 v[16:17], v2 offset:792
	s_waitcnt vmcnt(8)
	v_pk_fma_f32 v[22:23], v[26:27], v[36:37], v[20:21] op_sel:[0,0,1] op_sel_hi:[1,1,0] neg_lo:[0,0,1] neg_hi:[0,0,1]
	v_pk_fma_f32 v[20:21], v[26:27], v[36:37], v[20:21] op_sel:[0,0,1] op_sel_hi:[1,0,0]
	v_fmac_f32_e32 v49, v25, v68
	v_fma_f32 v48, v24, v68, -v3
	v_pk_add_f32 v[18:19], v[50:51], v[46:47]
	v_mov_b32_e32 v20, v35
	v_pk_add_f32 v[18:19], v[18:19], v[48:49]
	v_mov_b32_e32 v23, v21
	s_waitcnt lgkmcnt(3)
	v_pk_mul_f32 v[20:21], v[4:5], v[20:21] op_sel_hi:[1,0]
	v_pk_add_f32 v[18:19], v[18:19], v[22:23]
	v_pk_fma_f32 v[22:23], v[4:5], v[34:35], v[20:21] op_sel:[0,0,1] op_sel_hi:[1,1,0] neg_lo:[0,0,1] neg_hi:[0,0,1]
	v_pk_fma_f32 v[4:5], v[4:5], v[34:35], v[20:21] op_sel:[0,0,1] op_sel_hi:[1,0,0]
	v_mov_b32_e32 v23, v5
	v_pk_add_f32 v[4:5], v[18:19], v[22:23]
	v_mov_b32_e32 v18, v33
	v_pk_mul_f32 v[18:19], v[6:7], v[18:19] op_sel_hi:[1,0]
	v_pk_fma_f32 v[20:21], v[6:7], v[32:33], v[18:19] op_sel:[0,0,1] op_sel_hi:[1,1,0] neg_lo:[0,0,1] neg_hi:[0,0,1]
	v_pk_fma_f32 v[6:7], v[6:7], v[32:33], v[18:19] op_sel:[0,0,1] op_sel_hi:[1,0,0]
	v_mov_b32_e32 v6, v31
	v_mov_b32_e32 v21, v7
	s_waitcnt lgkmcnt(2)
	v_pk_mul_f32 v[6:7], v[8:9], v[6:7] op_sel_hi:[1,0]
	v_pk_fma_f32 v[18:19], v[8:9], v[30:31], v[6:7] op_sel:[0,0,1] op_sel_hi:[1,1,0] neg_lo:[0,0,1] neg_hi:[0,0,1]
	v_pk_fma_f32 v[6:7], v[8:9], v[30:31], v[6:7] op_sel:[0,0,1] op_sel_hi:[1,0,0]
	s_waitcnt vmcnt(1)
	v_mov_b32_e32 v6, v45
	v_mov_b32_e32 v19, v7
	v_pk_mul_f32 v[6:7], v[10:11], v[6:7] op_sel_hi:[1,0]
	s_waitcnt vmcnt(0)
	v_pk_fma_f32 v[8:9], v[10:11], v[44:45], v[6:7] op_sel:[0,0,1] op_sel_hi:[1,1,0] neg_lo:[0,0,1] neg_hi:[0,0,1]
	v_pk_fma_f32 v[6:7], v[10:11], v[44:45], v[6:7] op_sel:[0,0,1] op_sel_hi:[1,0,0]
	v_pk_add_f32 v[4:5], v[4:5], v[20:21]
	v_mov_b32_e32 v6, v43
	v_pk_add_f32 v[4:5], v[4:5], v[18:19]
	v_mov_b32_e32 v9, v7
	s_waitcnt lgkmcnt(1)
	v_pk_mul_f32 v[6:7], v[12:13], v[6:7] op_sel_hi:[1,0]
	v_pk_add_f32 v[4:5], v[4:5], v[8:9]
	v_pk_fma_f32 v[8:9], v[12:13], v[42:43], v[6:7] op_sel:[0,0,1] op_sel_hi:[1,1,0] neg_lo:[0,0,1] neg_hi:[0,0,1]
	v_pk_fma_f32 v[6:7], v[12:13], v[42:43], v[6:7] op_sel:[0,0,1] op_sel_hi:[1,0,0]
	v_mov_b32_e32 v6, v41
	v_mov_b32_e32 v9, v7
	v_pk_mul_f32 v[6:7], v[14:15], v[6:7] op_sel_hi:[1,0]
	v_pk_add_f32 v[4:5], v[4:5], v[8:9]
	v_pk_fma_f32 v[8:9], v[14:15], v[40:41], v[6:7] op_sel:[0,0,1] op_sel_hi:[1,1,0] neg_lo:[0,0,1] neg_hi:[0,0,1]
	v_pk_fma_f32 v[6:7], v[14:15], v[40:41], v[6:7] op_sel:[0,0,1] op_sel_hi:[1,0,0]
	v_mov_b32_e32 v6, v39
	v_mov_b32_e32 v9, v7
	s_waitcnt lgkmcnt(0)
	v_pk_mul_f32 v[6:7], v[16:17], v[6:7] op_sel_hi:[1,0]
	v_pk_add_f32 v[4:5], v[4:5], v[8:9]
	v_pk_fma_f32 v[8:9], v[16:17], v[38:39], v[6:7] op_sel:[0,0,1] op_sel_hi:[1,1,0] neg_lo:[0,0,1] neg_hi:[0,0,1]
	v_pk_fma_f32 v[6:7], v[16:17], v[38:39], v[6:7] op_sel:[0,0,1] op_sel_hi:[1,0,0]
	v_mov_b32_e32 v9, v7
	v_pk_add_f32 v[4:5], v[4:5], v[8:9]
	v_pk_add_f32 v[4:5], v[28:29], v[4:5] neg_lo:[0,1] neg_hi:[0,1]
	buffer_store_dword v5, off, s[0:3], 0 offset:244
	buffer_store_dword v4, off, s[0:3], 0 offset:240
	s_and_saveexec_b64 s[4:5], vcc
	s_cbranch_execz .LBB49_255
; %bb.254:
	buffer_load_dword v4, off, s[0:3], 0 offset:232
	buffer_load_dword v5, off, s[0:3], 0 offset:236
	s_waitcnt vmcnt(0)
	ds_write_b64 v111, v[4:5]
	buffer_store_dword v2, off, s[0:3], 0 offset:232
	buffer_store_dword v2, off, s[0:3], 0 offset:236
.LBB49_255:
	s_or_b64 exec, exec, s[4:5]
	s_waitcnt lgkmcnt(0)
	; wave barrier
	s_waitcnt lgkmcnt(0)
	buffer_load_dword v3, off, s[0:3], 0 offset:244
	buffer_load_dword v46, off, s[0:3], 0 offset:252
	;; [unrolled: 1-line block ×26, first 2 shown]
	ds_read_b128 v[4:7], v2 offset:640
	ds_read_b128 v[8:11], v2 offset:656
	;; [unrolled: 1-line block ×6, first 2 shown]
	buffer_load_dword v31, off, s[0:3], 0 offset:356
	buffer_load_dword v30, off, s[0:3], 0 offset:352
	buffer_load_dword v33, off, s[0:3], 0 offset:348
	buffer_load_dword v32, off, s[0:3], 0 offset:344
	buffer_load_dword v35, off, s[0:3], 0 offset:340
	buffer_load_dword v34, off, s[0:3], 0 offset:336
	buffer_load_dword v37, off, s[0:3], 0 offset:388
	buffer_load_dword v36, off, s[0:3], 0 offset:384
	buffer_load_dword v39, off, s[0:3], 0 offset:380
	buffer_load_dword v38, off, s[0:3], 0 offset:376
	buffer_load_dword v41, off, s[0:3], 0 offset:372
	buffer_load_dword v40, off, s[0:3], 0 offset:368
	buffer_load_dword v43, off, s[0:3], 0 offset:364
	buffer_load_dword v42, off, s[0:3], 0 offset:360
	buffer_load_dword v45, off, s[0:3], 0 offset:396
	buffer_load_dword v44, off, s[0:3], 0 offset:392
	v_cmp_lt_u32_e32 vcc, 28, v0
	s_waitcnt vmcnt(41) lgkmcnt(5)
	v_mul_f32_e32 v71, v4, v3
	s_waitcnt vmcnt(40)
	v_mul_f32_e32 v72, v6, v46
	v_mul_f32_e32 v3, v5, v3
	;; [unrolled: 1-line block ×3, first 2 shown]
	s_waitcnt vmcnt(39) lgkmcnt(4)
	v_mul_f32_e32 v73, v8, v48
	s_waitcnt vmcnt(38)
	v_mul_f32_e32 v74, v10, v50
	s_waitcnt vmcnt(37) lgkmcnt(3)
	v_mul_f32_e32 v75, v12, v52
	s_waitcnt vmcnt(36)
	v_mul_f32_e32 v76, v14, v53
	s_waitcnt vmcnt(35) lgkmcnt(2)
	v_mul_f32_e32 v77, v16, v54
	s_waitcnt vmcnt(34)
	v_mul_f32_e32 v78, v18, v55
	s_waitcnt vmcnt(33) lgkmcnt(1)
	v_mul_f32_e32 v79, v20, v56
	s_waitcnt vmcnt(32)
	v_mul_f32_e32 v80, v22, v57
	s_waitcnt vmcnt(29)
	v_fmac_f32_e32 v71, v5, v51
	s_waitcnt vmcnt(28)
	v_fmac_f32_e32 v72, v7, v60
	v_fma_f32 v3, v4, v51, -v3
	v_fma_f32 v4, v6, v60, -v46
	v_add_f32_e32 v6, 0, v71
	s_waitcnt vmcnt(27)
	v_fmac_f32_e32 v73, v9, v61
	v_add_f32_e32 v3, 0, v3
	v_add_f32_e32 v6, v6, v72
	s_waitcnt vmcnt(26)
	v_fmac_f32_e32 v74, v11, v62
	v_add_f32_e32 v3, v3, v4
	;; [unrolled: 4-line block ×3, first 2 shown]
	s_waitcnt vmcnt(24)
	v_fmac_f32_e32 v76, v15, v64
	v_add_f32_e32 v4, v4, v75
	s_waitcnt vmcnt(23)
	v_fmac_f32_e32 v77, v17, v65
	v_add_f32_e32 v4, v4, v76
	;; [unrolled: 3-line block ×4, first 2 shown]
	v_mul_f32_e32 v48, v9, v48
	s_waitcnt vmcnt(20)
	v_fmac_f32_e32 v80, v23, v68
	v_add_f32_e32 v4, v4, v79
	v_fma_f32 v5, v8, v61, -v48
	v_add_f32_e32 v51, v4, v80
	v_mul_f32_e32 v4, v11, v50
	v_add_f32_e32 v3, v3, v5
	v_fma_f32 v4, v10, v62, -v4
	v_add_f32_e32 v3, v3, v4
	v_mul_f32_e32 v4, v13, v52
	v_fma_f32 v4, v12, v63, -v4
	v_add_f32_e32 v3, v3, v4
	v_mul_f32_e32 v4, v15, v53
	;; [unrolled: 3-line block ×6, first 2 shown]
	v_fma_f32 v4, v22, v68, -v4
	v_add_f32_e32 v50, v3, v4
	ds_read_b128 v[4:7], v2 offset:736
	ds_read_b128 v[8:11], v2 offset:752
	;; [unrolled: 1-line block ×4, first 2 shown]
	s_waitcnt vmcnt(11)
	v_mov_b32_e32 v20, v35
	s_waitcnt lgkmcnt(3)
	v_pk_mul_f32 v[20:21], v[4:5], v[20:21] op_sel_hi:[1,0]
	s_waitcnt vmcnt(10)
	v_pk_fma_f32 v[22:23], v[4:5], v[34:35], v[20:21] op_sel:[0,0,1] op_sel_hi:[1,1,0] neg_lo:[0,0,1] neg_hi:[0,0,1]
	v_pk_fma_f32 v[4:5], v[4:5], v[34:35], v[20:21] op_sel:[0,0,1] op_sel_hi:[1,0,0]
	v_mov_b32_e32 v4, v33
	v_mov_b32_e32 v23, v5
	v_pk_mul_f32 v[4:5], v[6:7], v[4:5] op_sel_hi:[1,0]
	v_mul_f32_e32 v47, v24, v58
	v_mul_f32_e32 v3, v25, v58
	v_pk_fma_f32 v[20:21], v[6:7], v[32:33], v[4:5] op_sel:[0,0,1] op_sel_hi:[1,1,0] neg_lo:[0,0,1] neg_hi:[0,0,1]
	v_pk_fma_f32 v[4:5], v[6:7], v[32:33], v[4:5] op_sel:[0,0,1] op_sel_hi:[1,0,0]
	v_mul_f32_e32 v49, v26, v59
	v_fmac_f32_e32 v47, v25, v69
	v_fma_f32 v46, v24, v69, -v3
	v_mul_f32_e32 v3, v27, v59
	v_mov_b32_e32 v4, v31
	v_fmac_f32_e32 v49, v27, v70
	v_fma_f32 v48, v26, v70, -v3
	v_pk_add_f32 v[2:3], v[50:51], v[46:47]
	v_mov_b32_e32 v21, v5
	s_waitcnt lgkmcnt(2)
	v_pk_mul_f32 v[4:5], v[8:9], v[4:5] op_sel_hi:[1,0]
	v_pk_add_f32 v[2:3], v[2:3], v[48:49]
	v_pk_fma_f32 v[6:7], v[8:9], v[30:31], v[4:5] op_sel:[0,0,1] op_sel_hi:[1,1,0] neg_lo:[0,0,1] neg_hi:[0,0,1]
	v_pk_fma_f32 v[4:5], v[8:9], v[30:31], v[4:5] op_sel:[0,0,1] op_sel_hi:[1,0,0]
	v_pk_add_f32 v[2:3], v[2:3], v[22:23]
	s_waitcnt vmcnt(3)
	v_mov_b32_e32 v4, v43
	v_pk_add_f32 v[2:3], v[2:3], v[20:21]
	v_mov_b32_e32 v7, v5
	v_pk_mul_f32 v[4:5], v[10:11], v[4:5] op_sel_hi:[1,0]
	v_pk_add_f32 v[2:3], v[2:3], v[6:7]
	s_waitcnt vmcnt(2)
	v_pk_fma_f32 v[6:7], v[10:11], v[42:43], v[4:5] op_sel:[0,0,1] op_sel_hi:[1,1,0] neg_lo:[0,0,1] neg_hi:[0,0,1]
	v_pk_fma_f32 v[4:5], v[10:11], v[42:43], v[4:5] op_sel:[0,0,1] op_sel_hi:[1,0,0]
	v_mov_b32_e32 v4, v41
	v_mov_b32_e32 v7, v5
	s_waitcnt lgkmcnt(1)
	v_pk_mul_f32 v[4:5], v[12:13], v[4:5] op_sel_hi:[1,0]
	v_pk_add_f32 v[2:3], v[2:3], v[6:7]
	v_pk_fma_f32 v[6:7], v[12:13], v[40:41], v[4:5] op_sel:[0,0,1] op_sel_hi:[1,1,0] neg_lo:[0,0,1] neg_hi:[0,0,1]
	v_pk_fma_f32 v[4:5], v[12:13], v[40:41], v[4:5] op_sel:[0,0,1] op_sel_hi:[1,0,0]
	v_mov_b32_e32 v4, v39
	v_mov_b32_e32 v7, v5
	v_pk_mul_f32 v[4:5], v[14:15], v[4:5] op_sel_hi:[1,0]
	v_pk_add_f32 v[2:3], v[2:3], v[6:7]
	v_pk_fma_f32 v[6:7], v[14:15], v[38:39], v[4:5] op_sel:[0,0,1] op_sel_hi:[1,1,0] neg_lo:[0,0,1] neg_hi:[0,0,1]
	v_pk_fma_f32 v[4:5], v[14:15], v[38:39], v[4:5] op_sel:[0,0,1] op_sel_hi:[1,0,0]
	v_mov_b32_e32 v4, v37
	v_mov_b32_e32 v7, v5
	s_waitcnt lgkmcnt(0)
	v_pk_mul_f32 v[4:5], v[16:17], v[4:5] op_sel_hi:[1,0]
	v_pk_add_f32 v[2:3], v[2:3], v[6:7]
	v_pk_fma_f32 v[6:7], v[16:17], v[36:37], v[4:5] op_sel:[0,0,1] op_sel_hi:[1,1,0] neg_lo:[0,0,1] neg_hi:[0,0,1]
	v_pk_fma_f32 v[4:5], v[16:17], v[36:37], v[4:5] op_sel:[0,0,1] op_sel_hi:[1,0,0]
	s_waitcnt vmcnt(1)
	v_mov_b32_e32 v4, v45
	v_mov_b32_e32 v7, v5
	v_pk_mul_f32 v[4:5], v[18:19], v[4:5] op_sel_hi:[1,0]
	v_pk_add_f32 v[2:3], v[2:3], v[6:7]
	s_waitcnt vmcnt(0)
	v_pk_fma_f32 v[6:7], v[18:19], v[44:45], v[4:5] op_sel:[0,0,1] op_sel_hi:[1,1,0] neg_lo:[0,0,1] neg_hi:[0,0,1]
	v_pk_fma_f32 v[4:5], v[18:19], v[44:45], v[4:5] op_sel:[0,0,1] op_sel_hi:[1,0,0]
	v_mov_b32_e32 v7, v5
	v_pk_add_f32 v[2:3], v[2:3], v[6:7]
	v_pk_add_f32 v[2:3], v[28:29], v[2:3] neg_lo:[0,1] neg_hi:[0,1]
	buffer_store_dword v3, off, s[0:3], 0 offset:236
	buffer_store_dword v2, off, s[0:3], 0 offset:232
	s_and_saveexec_b64 s[4:5], vcc
	s_cbranch_execz .LBB49_257
; %bb.256:
	buffer_load_dword v2, off, s[0:3], 0 offset:224
	buffer_load_dword v3, off, s[0:3], 0 offset:228
	v_mov_b32_e32 v4, 0
	buffer_store_dword v4, off, s[0:3], 0 offset:224
	buffer_store_dword v4, off, s[0:3], 0 offset:228
	s_waitcnt vmcnt(2)
	ds_write_b64 v111, v[2:3]
.LBB49_257:
	s_or_b64 exec, exec, s[4:5]
	s_waitcnt lgkmcnt(0)
	; wave barrier
	s_waitcnt lgkmcnt(0)
	buffer_load_dword v3, off, s[0:3], 0 offset:236
	buffer_load_dword v54, off, s[0:3], 0 offset:244
	;; [unrolled: 1-line block ×44, first 2 shown]
	v_mov_b32_e32 v2, 0
	ds_read2_b64 v[4:7], v2 offset0:79 offset1:80
	ds_read2_b64 v[8:11], v2 offset0:81 offset1:82
	ds_read2_b64 v[12:15], v2 offset0:83 offset1:84
	ds_read2_b64 v[16:19], v2 offset0:85 offset1:86
	ds_read2_b64 v[20:23], v2 offset0:87 offset1:88
	ds_read2_b64 v[24:27], v2 offset0:89 offset1:90
	ds_read2_b64 v[28:31], v2 offset0:91 offset1:92
	ds_read2_b64 v[32:35], v2 offset0:93 offset1:94
	v_cmp_lt_u32_e32 vcc, 27, v0
	s_waitcnt vmcnt(43) lgkmcnt(7)
	v_mul_f32_e32 v59, v4, v3
	v_mul_f32_e32 v3, v5, v3
	s_waitcnt vmcnt(42)
	v_mul_f32_e32 v82, v6, v54
	s_waitcnt vmcnt(41) lgkmcnt(6)
	v_mul_f32_e32 v83, v8, v56
	s_waitcnt vmcnt(40)
	v_mul_f32_e32 v84, v10, v58
	s_waitcnt vmcnt(39) lgkmcnt(5)
	v_mul_f32_e32 v85, v12, v60
	s_waitcnt vmcnt(38)
	v_mul_f32_e32 v86, v14, v61
	s_waitcnt vmcnt(37) lgkmcnt(4)
	v_mul_f32_e32 v87, v16, v62
	s_waitcnt vmcnt(36)
	v_mul_f32_e32 v88, v18, v63
	s_waitcnt vmcnt(35) lgkmcnt(3)
	v_mul_f32_e32 v89, v20, v64
	s_waitcnt vmcnt(34)
	v_mul_f32_e32 v90, v22, v65
	s_waitcnt vmcnt(33) lgkmcnt(2)
	v_mul_f32_e32 v91, v24, v66
	s_waitcnt vmcnt(32)
	v_mul_f32_e32 v55, v26, v67
	s_waitcnt vmcnt(30)
	v_fma_f32 v3, v4, v69, -v3
	v_mul_f32_e32 v4, v7, v54
	v_add_f32_e32 v3, 0, v3
	s_waitcnt vmcnt(29)
	v_fma_f32 v4, v6, v70, -v4
	v_add_f32_e32 v3, v3, v4
	v_mul_f32_e32 v4, v9, v56
	s_waitcnt vmcnt(28)
	v_fma_f32 v4, v8, v71, -v4
	v_add_f32_e32 v3, v3, v4
	v_mul_f32_e32 v4, v11, v58
	;; [unrolled: 4-line block ×4, first 2 shown]
	s_waitcnt vmcnt(25)
	v_fma_f32 v4, v14, v74, -v4
	v_fmac_f32_e32 v59, v5, v69
	v_add_f32_e32 v3, v3, v4
	v_mul_f32_e32 v4, v17, v62
	v_fmac_f32_e32 v82, v7, v70
	v_add_f32_e32 v5, 0, v59
	s_waitcnt vmcnt(24)
	v_fma_f32 v4, v16, v75, -v4
	v_fmac_f32_e32 v83, v9, v71
	v_add_f32_e32 v5, v5, v82
	v_add_f32_e32 v3, v3, v4
	v_mul_f32_e32 v4, v19, v63
	v_fmac_f32_e32 v84, v11, v72
	v_add_f32_e32 v5, v5, v83
	s_waitcnt vmcnt(23)
	v_fma_f32 v4, v18, v76, -v4
	v_fmac_f32_e32 v85, v13, v73
	v_add_f32_e32 v5, v5, v84
	;; [unrolled: 8-line block ×4, first 2 shown]
	v_add_f32_e32 v3, v3, v4
	v_mul_f32_e32 v4, v25, v66
	v_fmac_f32_e32 v90, v23, v78
	v_add_f32_e32 v5, v5, v89
	s_waitcnt vmcnt(20)
	v_fma_f32 v4, v24, v79, -v4
	s_waitcnt vmcnt(13)
	v_mov_b32_e32 v16, v41
	v_fmac_f32_e32 v91, v25, v79
	v_add_f32_e32 v5, v5, v90
	v_add_f32_e32 v58, v3, v4
	v_mul_f32_e32 v3, v27, v67
	s_waitcnt lgkmcnt(1)
	v_pk_mul_f32 v[16:17], v[30:31], v[16:17] op_sel_hi:[1,0]
	v_mul_f32_e32 v57, v28, v68
	v_fmac_f32_e32 v55, v27, v80
	v_add_f32_e32 v59, v5, v91
	v_fma_f32 v54, v26, v80, -v3
	v_mul_f32_e32 v3, v29, v68
	s_waitcnt vmcnt(12)
	v_pk_fma_f32 v[18:19], v[30:31], v[40:41], v[16:17] op_sel:[0,0,1] op_sel_hi:[1,1,0] neg_lo:[0,0,1] neg_hi:[0,0,1]
	v_pk_fma_f32 v[16:17], v[30:31], v[40:41], v[16:17] op_sel:[0,0,1] op_sel_hi:[1,0,0]
	v_fmac_f32_e32 v57, v29, v81
	v_fma_f32 v56, v28, v81, -v3
	v_pk_add_f32 v[14:15], v[58:59], v[54:55]
	v_mov_b32_e32 v16, v39
	v_pk_add_f32 v[14:15], v[14:15], v[56:57]
	v_mov_b32_e32 v19, v17
	s_waitcnt lgkmcnt(0)
	v_pk_mul_f32 v[16:17], v[32:33], v[16:17] op_sel_hi:[1,0]
	v_pk_add_f32 v[14:15], v[14:15], v[18:19]
	v_pk_fma_f32 v[18:19], v[32:33], v[38:39], v[16:17] op_sel:[0,0,1] op_sel_hi:[1,1,0] neg_lo:[0,0,1] neg_hi:[0,0,1]
	v_pk_fma_f32 v[16:17], v[32:33], v[38:39], v[16:17] op_sel:[0,0,1] op_sel_hi:[1,0,0]
	s_waitcnt vmcnt(5)
	v_mov_b32_e32 v16, v49
	ds_read2_b64 v[4:7], v2 offset0:95 offset1:96
	ds_read2_b64 v[8:11], v2 offset0:97 offset1:98
	ds_read_b64 v[12:13], v2 offset:792
	v_mov_b32_e32 v19, v17
	v_pk_mul_f32 v[16:17], v[34:35], v[16:17] op_sel_hi:[1,0]
	v_pk_add_f32 v[14:15], v[14:15], v[18:19]
	s_waitcnt vmcnt(4)
	v_pk_fma_f32 v[18:19], v[34:35], v[48:49], v[16:17] op_sel:[0,0,1] op_sel_hi:[1,1,0] neg_lo:[0,0,1] neg_hi:[0,0,1]
	v_pk_fma_f32 v[16:17], v[34:35], v[48:49], v[16:17] op_sel:[0,0,1] op_sel_hi:[1,0,0]
	v_mov_b32_e32 v16, v47
	v_mov_b32_e32 v19, v17
	s_waitcnt lgkmcnt(2)
	v_pk_mul_f32 v[16:17], v[4:5], v[16:17] op_sel_hi:[1,0]
	v_pk_add_f32 v[14:15], v[14:15], v[18:19]
	v_pk_fma_f32 v[18:19], v[4:5], v[46:47], v[16:17] op_sel:[0,0,1] op_sel_hi:[1,1,0] neg_lo:[0,0,1] neg_hi:[0,0,1]
	v_pk_fma_f32 v[4:5], v[4:5], v[46:47], v[16:17] op_sel:[0,0,1] op_sel_hi:[1,0,0]
	v_mov_b32_e32 v19, v5
	v_pk_add_f32 v[4:5], v[14:15], v[18:19]
	v_mov_b32_e32 v14, v45
	v_pk_mul_f32 v[14:15], v[6:7], v[14:15] op_sel_hi:[1,0]
	v_pk_fma_f32 v[16:17], v[6:7], v[44:45], v[14:15] op_sel:[0,0,1] op_sel_hi:[1,1,0] neg_lo:[0,0,1] neg_hi:[0,0,1]
	v_pk_fma_f32 v[6:7], v[6:7], v[44:45], v[14:15] op_sel:[0,0,1] op_sel_hi:[1,0,0]
	v_mov_b32_e32 v6, v43
	v_mov_b32_e32 v17, v7
	s_waitcnt lgkmcnt(1)
	v_pk_mul_f32 v[6:7], v[8:9], v[6:7] op_sel_hi:[1,0]
	v_pk_fma_f32 v[14:15], v[8:9], v[42:43], v[6:7] op_sel:[0,0,1] op_sel_hi:[1,1,0] neg_lo:[0,0,1] neg_hi:[0,0,1]
	v_pk_fma_f32 v[6:7], v[8:9], v[42:43], v[6:7] op_sel:[0,0,1] op_sel_hi:[1,0,0]
	s_waitcnt vmcnt(1)
	v_mov_b32_e32 v6, v53
	v_mov_b32_e32 v15, v7
	v_pk_mul_f32 v[6:7], v[10:11], v[6:7] op_sel_hi:[1,0]
	s_waitcnt vmcnt(0)
	v_pk_fma_f32 v[8:9], v[10:11], v[52:53], v[6:7] op_sel:[0,0,1] op_sel_hi:[1,1,0] neg_lo:[0,0,1] neg_hi:[0,0,1]
	v_pk_fma_f32 v[6:7], v[10:11], v[52:53], v[6:7] op_sel:[0,0,1] op_sel_hi:[1,0,0]
	v_pk_add_f32 v[4:5], v[4:5], v[16:17]
	v_mov_b32_e32 v6, v51
	v_pk_add_f32 v[4:5], v[4:5], v[14:15]
	v_mov_b32_e32 v9, v7
	s_waitcnt lgkmcnt(0)
	v_pk_mul_f32 v[6:7], v[12:13], v[6:7] op_sel_hi:[1,0]
	v_pk_add_f32 v[4:5], v[4:5], v[8:9]
	v_pk_fma_f32 v[8:9], v[12:13], v[50:51], v[6:7] op_sel:[0,0,1] op_sel_hi:[1,1,0] neg_lo:[0,0,1] neg_hi:[0,0,1]
	v_pk_fma_f32 v[6:7], v[12:13], v[50:51], v[6:7] op_sel:[0,0,1] op_sel_hi:[1,0,0]
	v_mov_b32_e32 v9, v7
	v_pk_add_f32 v[4:5], v[4:5], v[8:9]
	v_pk_add_f32 v[4:5], v[36:37], v[4:5] neg_lo:[0,1] neg_hi:[0,1]
	buffer_store_dword v5, off, s[0:3], 0 offset:228
	buffer_store_dword v4, off, s[0:3], 0 offset:224
	s_and_saveexec_b64 s[4:5], vcc
	s_cbranch_execz .LBB49_259
; %bb.258:
	buffer_load_dword v4, off, s[0:3], 0 offset:216
	buffer_load_dword v5, off, s[0:3], 0 offset:220
	s_waitcnt vmcnt(0)
	ds_write_b64 v111, v[4:5]
	buffer_store_dword v2, off, s[0:3], 0 offset:216
	buffer_store_dword v2, off, s[0:3], 0 offset:220
.LBB49_259:
	s_or_b64 exec, exec, s[4:5]
	s_waitcnt lgkmcnt(0)
	; wave barrier
	s_waitcnt lgkmcnt(0)
	buffer_load_dword v3, off, s[0:3], 0 offset:228
	buffer_load_dword v54, off, s[0:3], 0 offset:236
	;; [unrolled: 1-line block ×30, first 2 shown]
	ds_read_b128 v[4:7], v2 offset:624
	ds_read_b128 v[8:11], v2 offset:640
	;; [unrolled: 1-line block ×6, first 2 shown]
	buffer_load_dword v39, off, s[0:3], 0 offset:340
	buffer_load_dword v38, off, s[0:3], 0 offset:336
	ds_read_b128 v[28:31], v2 offset:720
	ds_read_b128 v[32:35], v2 offset:736
	buffer_load_dword v41, off, s[0:3], 0 offset:372
	buffer_load_dword v40, off, s[0:3], 0 offset:368
	;; [unrolled: 1-line block ×14, first 2 shown]
	v_cmp_lt_u32_e32 vcc, 26, v0
	s_waitcnt vmcnt(45) lgkmcnt(7)
	v_mul_f32_e32 v57, v4, v3
	v_mul_f32_e32 v3, v5, v3
	s_waitcnt vmcnt(44)
	v_mul_f32_e32 v59, v6, v54
	s_waitcnt vmcnt(43) lgkmcnt(6)
	v_mul_f32_e32 v84, v8, v56
	s_waitcnt vmcnt(42)
	v_mul_f32_e32 v85, v10, v58
	s_waitcnt vmcnt(41) lgkmcnt(5)
	;; [unrolled: 4-line block ×5, first 2 shown]
	v_mul_f32_e32 v92, v24, v66
	s_waitcnt vmcnt(34)
	v_mul_f32_e32 v93, v26, v67
	s_waitcnt vmcnt(32)
	v_fma_f32 v3, v4, v69, -v3
	v_mul_f32_e32 v4, v7, v54
	v_add_f32_e32 v3, 0, v3
	s_waitcnt vmcnt(31)
	v_fma_f32 v4, v6, v70, -v4
	v_add_f32_e32 v3, v3, v4
	v_mul_f32_e32 v4, v9, v56
	s_waitcnt vmcnt(30)
	v_fma_f32 v4, v8, v71, -v4
	v_add_f32_e32 v3, v3, v4
	v_mul_f32_e32 v4, v11, v58
	;; [unrolled: 4-line block ×5, first 2 shown]
	v_fmac_f32_e32 v57, v5, v69
	s_waitcnt vmcnt(26)
	v_fma_f32 v4, v16, v75, -v4
	v_fmac_f32_e32 v59, v7, v70
	v_add_f32_e32 v57, 0, v57
	v_add_f32_e32 v3, v3, v4
	v_mul_f32_e32 v4, v19, v63
	v_fmac_f32_e32 v84, v9, v71
	v_add_f32_e32 v57, v57, v59
	s_waitcnt vmcnt(25)
	v_fma_f32 v4, v18, v76, -v4
	v_fmac_f32_e32 v85, v11, v72
	v_add_f32_e32 v57, v57, v84
	v_add_f32_e32 v3, v3, v4
	v_mul_f32_e32 v4, v21, v64
	v_fmac_f32_e32 v86, v13, v73
	v_add_f32_e32 v57, v57, v85
	s_waitcnt vmcnt(24)
	v_fma_f32 v4, v20, v77, -v4
	v_fmac_f32_e32 v87, v15, v74
	v_add_f32_e32 v57, v57, v86
	v_add_f32_e32 v3, v3, v4
	v_mul_f32_e32 v4, v23, v65
	v_fmac_f32_e32 v88, v17, v75
	v_add_f32_e32 v57, v57, v87
	s_waitcnt vmcnt(23)
	v_fma_f32 v4, v22, v78, -v4
	v_fmac_f32_e32 v89, v19, v76
	v_add_f32_e32 v57, v57, v88
	v_add_f32_e32 v3, v3, v4
	v_mul_f32_e32 v4, v25, v66
	v_fmac_f32_e32 v90, v21, v77
	v_add_f32_e32 v57, v57, v89
	s_waitcnt vmcnt(22)
	v_fma_f32 v4, v24, v79, -v4
	v_fmac_f32_e32 v91, v23, v78
	v_add_f32_e32 v57, v57, v90
	v_add_f32_e32 v3, v3, v4
	v_mul_f32_e32 v4, v27, v67
	v_fmac_f32_e32 v92, v25, v79
	v_add_f32_e32 v57, v57, v91
	s_waitcnt vmcnt(21)
	v_fma_f32 v4, v26, v80, -v4
	s_waitcnt vmcnt(15)
	v_mov_b32_e32 v16, v39
	s_waitcnt lgkmcnt(1)
	v_mul_f32_e32 v55, v28, v68
	v_fmac_f32_e32 v93, v27, v80
	v_add_f32_e32 v57, v57, v92
	v_add_f32_e32 v56, v3, v4
	v_mul_f32_e32 v3, v29, v68
	s_waitcnt lgkmcnt(0)
	v_pk_mul_f32 v[16:17], v[32:33], v[16:17] op_sel_hi:[1,0]
	v_fmac_f32_e32 v55, v29, v81
	v_add_f32_e32 v57, v57, v93
	v_mul_f32_e32 v59, v30, v82
	v_fma_f32 v54, v28, v81, -v3
	v_mul_f32_e32 v3, v31, v82
	s_waitcnt vmcnt(14)
	v_pk_fma_f32 v[18:19], v[32:33], v[38:39], v[16:17] op_sel:[0,0,1] op_sel_hi:[1,1,0] neg_lo:[0,0,1] neg_hi:[0,0,1]
	v_pk_fma_f32 v[16:17], v[32:33], v[38:39], v[16:17] op_sel:[0,0,1] op_sel_hi:[1,0,0]
	v_fmac_f32_e32 v59, v31, v83
	v_fma_f32 v58, v30, v83, -v3
	ds_read_b128 v[4:7], v2 offset:752
	ds_read_b128 v[8:11], v2 offset:768
	;; [unrolled: 1-line block ×3, first 2 shown]
	v_pk_add_f32 v[2:3], v[56:57], v[54:55]
	s_waitcnt vmcnt(7)
	v_mov_b32_e32 v16, v47
	v_pk_add_f32 v[2:3], v[2:3], v[58:59]
	v_mov_b32_e32 v19, v17
	v_pk_mul_f32 v[16:17], v[34:35], v[16:17] op_sel_hi:[1,0]
	v_pk_add_f32 v[2:3], v[2:3], v[18:19]
	s_waitcnt vmcnt(6)
	v_pk_fma_f32 v[18:19], v[34:35], v[46:47], v[16:17] op_sel:[0,0,1] op_sel_hi:[1,1,0] neg_lo:[0,0,1] neg_hi:[0,0,1]
	v_pk_fma_f32 v[16:17], v[34:35], v[46:47], v[16:17] op_sel:[0,0,1] op_sel_hi:[1,0,0]
	v_mov_b32_e32 v16, v45
	v_mov_b32_e32 v19, v17
	s_waitcnt lgkmcnt(2)
	v_pk_mul_f32 v[16:17], v[4:5], v[16:17] op_sel_hi:[1,0]
	v_pk_add_f32 v[2:3], v[2:3], v[18:19]
	v_pk_fma_f32 v[18:19], v[4:5], v[44:45], v[16:17] op_sel:[0,0,1] op_sel_hi:[1,1,0] neg_lo:[0,0,1] neg_hi:[0,0,1]
	v_pk_fma_f32 v[4:5], v[4:5], v[44:45], v[16:17] op_sel:[0,0,1] op_sel_hi:[1,0,0]
	v_mov_b32_e32 v4, v43
	v_mov_b32_e32 v19, v5
	v_pk_mul_f32 v[4:5], v[6:7], v[4:5] op_sel_hi:[1,0]
	v_pk_fma_f32 v[16:17], v[6:7], v[42:43], v[4:5] op_sel:[0,0,1] op_sel_hi:[1,1,0] neg_lo:[0,0,1] neg_hi:[0,0,1]
	v_pk_fma_f32 v[4:5], v[6:7], v[42:43], v[4:5] op_sel:[0,0,1] op_sel_hi:[1,0,0]
	v_mov_b32_e32 v4, v41
	v_mov_b32_e32 v17, v5
	s_waitcnt lgkmcnt(1)
	v_pk_mul_f32 v[4:5], v[8:9], v[4:5] op_sel_hi:[1,0]
	v_pk_fma_f32 v[6:7], v[8:9], v[40:41], v[4:5] op_sel:[0,0,1] op_sel_hi:[1,1,0] neg_lo:[0,0,1] neg_hi:[0,0,1]
	v_pk_fma_f32 v[4:5], v[8:9], v[40:41], v[4:5] op_sel:[0,0,1] op_sel_hi:[1,0,0]
	v_pk_add_f32 v[2:3], v[2:3], v[18:19]
	s_waitcnt vmcnt(1)
	v_mov_b32_e32 v4, v53
	v_pk_add_f32 v[2:3], v[2:3], v[16:17]
	v_mov_b32_e32 v7, v5
	v_pk_mul_f32 v[4:5], v[10:11], v[4:5] op_sel_hi:[1,0]
	v_pk_add_f32 v[2:3], v[2:3], v[6:7]
	s_waitcnt vmcnt(0)
	v_pk_fma_f32 v[6:7], v[10:11], v[52:53], v[4:5] op_sel:[0,0,1] op_sel_hi:[1,1,0] neg_lo:[0,0,1] neg_hi:[0,0,1]
	v_pk_fma_f32 v[4:5], v[10:11], v[52:53], v[4:5] op_sel:[0,0,1] op_sel_hi:[1,0,0]
	v_mov_b32_e32 v4, v51
	v_mov_b32_e32 v7, v5
	s_waitcnt lgkmcnt(0)
	v_pk_mul_f32 v[4:5], v[12:13], v[4:5] op_sel_hi:[1,0]
	v_pk_add_f32 v[2:3], v[2:3], v[6:7]
	v_pk_fma_f32 v[6:7], v[12:13], v[50:51], v[4:5] op_sel:[0,0,1] op_sel_hi:[1,1,0] neg_lo:[0,0,1] neg_hi:[0,0,1]
	v_pk_fma_f32 v[4:5], v[12:13], v[50:51], v[4:5] op_sel:[0,0,1] op_sel_hi:[1,0,0]
	v_mov_b32_e32 v4, v49
	v_mov_b32_e32 v7, v5
	v_pk_mul_f32 v[4:5], v[14:15], v[4:5] op_sel_hi:[1,0]
	v_pk_add_f32 v[2:3], v[2:3], v[6:7]
	v_pk_fma_f32 v[6:7], v[14:15], v[48:49], v[4:5] op_sel:[0,0,1] op_sel_hi:[1,1,0] neg_lo:[0,0,1] neg_hi:[0,0,1]
	v_pk_fma_f32 v[4:5], v[14:15], v[48:49], v[4:5] op_sel:[0,0,1] op_sel_hi:[1,0,0]
	v_mov_b32_e32 v7, v5
	v_pk_add_f32 v[2:3], v[2:3], v[6:7]
	v_pk_add_f32 v[2:3], v[36:37], v[2:3] neg_lo:[0,1] neg_hi:[0,1]
	buffer_store_dword v3, off, s[0:3], 0 offset:220
	buffer_store_dword v2, off, s[0:3], 0 offset:216
	s_and_saveexec_b64 s[4:5], vcc
	s_cbranch_execz .LBB49_261
; %bb.260:
	buffer_load_dword v2, off, s[0:3], 0 offset:208
	buffer_load_dword v3, off, s[0:3], 0 offset:212
	v_mov_b32_e32 v4, 0
	buffer_store_dword v4, off, s[0:3], 0 offset:208
	buffer_store_dword v4, off, s[0:3], 0 offset:212
	s_waitcnt vmcnt(2)
	ds_write_b64 v111, v[2:3]
.LBB49_261:
	s_or_b64 exec, exec, s[4:5]
	s_waitcnt lgkmcnt(0)
	; wave barrier
	s_waitcnt lgkmcnt(0)
	buffer_load_dword v3, off, s[0:3], 0 offset:220
	buffer_load_dword v52, off, s[0:3], 0 offset:228
	;; [unrolled: 1-line block ×32, first 2 shown]
	v_mov_b32_e32 v2, 0
	buffer_load_dword v39, off, s[0:3], 0 offset:364
	buffer_load_dword v38, off, s[0:3], 0 offset:360
	;; [unrolled: 1-line block ×13, first 2 shown]
	ds_read2_b64 v[4:7], v2 offset0:77 offset1:78
	ds_read2_b64 v[8:11], v2 offset0:79 offset1:80
	;; [unrolled: 1-line block ×8, first 2 shown]
	v_cmp_lt_u32_e32 vcc, 25, v0
	s_waitcnt vmcnt(44) lgkmcnt(7)
	v_mul_f32_e32 v46, v4, v3
	s_waitcnt vmcnt(43)
	v_mul_f32_e32 v53, v6, v52
	s_waitcnt vmcnt(42) lgkmcnt(6)
	v_mul_f32_e32 v54, v8, v56
	s_waitcnt vmcnt(41)
	v_mul_f32_e32 v55, v10, v58
	;; [unrolled: 4-line block ×6, first 2 shown]
	s_waitcnt vmcnt(32) lgkmcnt(1)
	v_mul_f32_e32 v92, v28, v68
	s_waitcnt vmcnt(31)
	v_fmac_f32_e32 v46, v5, v69
	s_waitcnt vmcnt(30)
	v_fmac_f32_e32 v53, v7, v70
	v_add_f32_e32 v46, 0, v46
	s_waitcnt vmcnt(29)
	v_fmac_f32_e32 v54, v9, v71
	v_add_f32_e32 v46, v46, v53
	;; [unrolled: 3-line block ×12, first 2 shown]
	v_add_f32_e32 v53, v46, v92
	buffer_load_dword v55, off, s[0:3], 0 offset:380
	buffer_load_dword v54, off, s[0:3], 0 offset:376
	;; [unrolled: 1-line block ×3, first 2 shown]
	v_mul_f32_e32 v3, v5, v3
	v_fma_f32 v3, v4, v69, -v3
	v_mul_f32_e32 v4, v7, v52
	v_add_f32_e32 v3, 0, v3
	v_fma_f32 v4, v6, v70, -v4
	v_add_f32_e32 v3, v3, v4
	v_mul_f32_e32 v4, v9, v56
	v_fma_f32 v4, v8, v71, -v4
	v_add_f32_e32 v3, v3, v4
	v_mul_f32_e32 v4, v11, v58
	;; [unrolled: 3-line block ×11, first 2 shown]
	v_fma_f32 v4, v28, v81, -v4
	s_waitcnt vmcnt(9)
	v_mov_b32_e32 v20, v45
	v_mul_f32_e32 v57, v30, v82
	v_add_f32_e32 v52, v3, v4
	v_mul_f32_e32 v3, v31, v82
	s_waitcnt lgkmcnt(0)
	v_pk_mul_f32 v[20:21], v[34:35], v[20:21] op_sel_hi:[1,0]
	v_fmac_f32_e32 v57, v31, v83
	v_mul_f32_e32 v59, v32, v84
	v_fma_f32 v56, v30, v83, -v3
	v_mul_f32_e32 v3, v33, v84
	ds_read2_b64 v[4:7], v2 offset0:93 offset1:94
	ds_read2_b64 v[8:11], v2 offset0:95 offset1:96
	;; [unrolled: 1-line block ×3, first 2 shown]
	ds_read_b64 v[16:17], v2 offset:792
	s_waitcnt vmcnt(8)
	v_pk_fma_f32 v[22:23], v[34:35], v[44:45], v[20:21] op_sel:[0,0,1] op_sel_hi:[1,1,0] neg_lo:[0,0,1] neg_hi:[0,0,1]
	v_pk_fma_f32 v[20:21], v[34:35], v[44:45], v[20:21] op_sel:[0,0,1] op_sel_hi:[1,0,0]
	v_fmac_f32_e32 v59, v33, v85
	v_fma_f32 v58, v32, v85, -v3
	v_pk_add_f32 v[18:19], v[52:53], v[56:57]
	v_mov_b32_e32 v20, v43
	v_pk_add_f32 v[18:19], v[18:19], v[58:59]
	v_mov_b32_e32 v23, v21
	s_waitcnt lgkmcnt(3)
	v_pk_mul_f32 v[20:21], v[4:5], v[20:21] op_sel_hi:[1,0]
	v_pk_add_f32 v[18:19], v[18:19], v[22:23]
	v_pk_fma_f32 v[22:23], v[4:5], v[42:43], v[20:21] op_sel:[0,0,1] op_sel_hi:[1,1,0] neg_lo:[0,0,1] neg_hi:[0,0,1]
	v_pk_fma_f32 v[4:5], v[4:5], v[42:43], v[20:21] op_sel:[0,0,1] op_sel_hi:[1,0,0]
	v_mov_b32_e32 v23, v5
	v_pk_add_f32 v[4:5], v[18:19], v[22:23]
	v_mov_b32_e32 v18, v41
	v_pk_mul_f32 v[18:19], v[6:7], v[18:19] op_sel_hi:[1,0]
	v_pk_fma_f32 v[20:21], v[6:7], v[40:41], v[18:19] op_sel:[0,0,1] op_sel_hi:[1,1,0] neg_lo:[0,0,1] neg_hi:[0,0,1]
	v_pk_fma_f32 v[6:7], v[6:7], v[40:41], v[18:19] op_sel:[0,0,1] op_sel_hi:[1,0,0]
	v_mov_b32_e32 v6, v39
	v_mov_b32_e32 v21, v7
	s_waitcnt lgkmcnt(2)
	v_pk_mul_f32 v[6:7], v[8:9], v[6:7] op_sel_hi:[1,0]
	v_pk_fma_f32 v[18:19], v[8:9], v[38:39], v[6:7] op_sel:[0,0,1] op_sel_hi:[1,1,0] neg_lo:[0,0,1] neg_hi:[0,0,1]
	v_pk_fma_f32 v[6:7], v[8:9], v[38:39], v[6:7] op_sel:[0,0,1] op_sel_hi:[1,0,0]
	s_waitcnt vmcnt(7)
	v_mov_b32_e32 v6, v47
	v_mov_b32_e32 v19, v7
	v_pk_mul_f32 v[6:7], v[10:11], v[6:7] op_sel_hi:[1,0]
	v_pk_add_f32 v[4:5], v[4:5], v[20:21]
	v_pk_add_f32 v[4:5], v[4:5], v[18:19]
	s_waitcnt vmcnt(0)
	v_pk_fma_f32 v[8:9], v[10:11], v[46:47], v[6:7] op_sel:[0,0,1] op_sel_hi:[1,1,0] neg_lo:[0,0,1] neg_hi:[0,0,1]
	v_pk_fma_f32 v[6:7], v[10:11], v[46:47], v[6:7] op_sel:[0,0,1] op_sel_hi:[1,0,0]
	v_mov_b32_e32 v6, v55
	v_mov_b32_e32 v9, v7
	s_waitcnt lgkmcnt(1)
	v_pk_mul_f32 v[6:7], v[12:13], v[6:7] op_sel_hi:[1,0]
	v_pk_add_f32 v[4:5], v[4:5], v[8:9]
	v_pk_fma_f32 v[8:9], v[12:13], v[54:55], v[6:7] op_sel:[0,0,1] op_sel_hi:[1,1,0] neg_lo:[0,0,1] neg_hi:[0,0,1]
	v_pk_fma_f32 v[6:7], v[12:13], v[54:55], v[6:7] op_sel:[0,0,1] op_sel_hi:[1,0,0]
	v_mov_b32_e32 v6, v51
	v_mov_b32_e32 v9, v7
	v_pk_mul_f32 v[6:7], v[14:15], v[6:7] op_sel_hi:[1,0]
	v_pk_add_f32 v[4:5], v[4:5], v[8:9]
	v_pk_fma_f32 v[8:9], v[14:15], v[50:51], v[6:7] op_sel:[0,0,1] op_sel_hi:[1,1,0] neg_lo:[0,0,1] neg_hi:[0,0,1]
	v_pk_fma_f32 v[6:7], v[14:15], v[50:51], v[6:7] op_sel:[0,0,1] op_sel_hi:[1,0,0]
	v_mov_b32_e32 v6, v49
	v_mov_b32_e32 v9, v7
	s_waitcnt lgkmcnt(0)
	v_pk_mul_f32 v[6:7], v[16:17], v[6:7] op_sel_hi:[1,0]
	v_pk_add_f32 v[4:5], v[4:5], v[8:9]
	v_pk_fma_f32 v[8:9], v[16:17], v[48:49], v[6:7] op_sel:[0,0,1] op_sel_hi:[1,1,0] neg_lo:[0,0,1] neg_hi:[0,0,1]
	v_pk_fma_f32 v[6:7], v[16:17], v[48:49], v[6:7] op_sel:[0,0,1] op_sel_hi:[1,0,0]
	v_mov_b32_e32 v9, v7
	v_pk_add_f32 v[4:5], v[4:5], v[8:9]
	v_pk_add_f32 v[4:5], v[36:37], v[4:5] neg_lo:[0,1] neg_hi:[0,1]
	buffer_store_dword v5, off, s[0:3], 0 offset:212
	buffer_store_dword v4, off, s[0:3], 0 offset:208
	s_and_saveexec_b64 s[4:5], vcc
	s_cbranch_execz .LBB49_263
; %bb.262:
	buffer_load_dword v4, off, s[0:3], 0 offset:200
	buffer_load_dword v5, off, s[0:3], 0 offset:204
	s_waitcnt vmcnt(0)
	ds_write_b64 v111, v[4:5]
	buffer_store_dword v2, off, s[0:3], 0 offset:200
	buffer_store_dword v2, off, s[0:3], 0 offset:204
.LBB49_263:
	s_or_b64 exec, exec, s[4:5]
	s_waitcnt lgkmcnt(0)
	; wave barrier
	s_waitcnt lgkmcnt(0)
	buffer_load_dword v3, off, s[0:3], 0 offset:212
	buffer_load_dword v52, off, s[0:3], 0 offset:220
	;; [unrolled: 1-line block ×34, first 2 shown]
	ds_read_b128 v[4:7], v2 offset:608
	ds_read_b128 v[8:11], v2 offset:624
	;; [unrolled: 1-line block ×8, first 2 shown]
	buffer_load_dword v39, off, s[0:3], 0 offset:356
	buffer_load_dword v38, off, s[0:3], 0 offset:352
	;; [unrolled: 1-line block ×9, first 2 shown]
	v_cmp_lt_u32_e32 vcc, 24, v0
	s_waitcnt vmcnt(42) lgkmcnt(7)
	v_mul_f32_e32 v44, v4, v3
	s_waitcnt vmcnt(41)
	v_mul_f32_e32 v48, v6, v52
	s_waitcnt vmcnt(40) lgkmcnt(6)
	v_mul_f32_e32 v49, v8, v54
	s_waitcnt vmcnt(39)
	v_mul_f32_e32 v50, v10, v56
	s_waitcnt vmcnt(38) lgkmcnt(5)
	v_mul_f32_e32 v51, v12, v60
	s_waitcnt vmcnt(37)
	v_mul_f32_e32 v53, v14, v61
	s_waitcnt vmcnt(36) lgkmcnt(4)
	v_mul_f32_e32 v55, v16, v62
	s_waitcnt vmcnt(35)
	v_mul_f32_e32 v57, v18, v63
	s_waitcnt vmcnt(34) lgkmcnt(3)
	v_mul_f32_e32 v58, v20, v64
	s_waitcnt vmcnt(33)
	v_mul_f32_e32 v59, v22, v65
	s_waitcnt vmcnt(32) lgkmcnt(2)
	v_mul_f32_e32 v88, v24, v66
	s_waitcnt vmcnt(31)
	v_mul_f32_e32 v89, v26, v67
	s_waitcnt vmcnt(30) lgkmcnt(1)
	v_mul_f32_e32 v90, v28, v68
	v_mul_f32_e32 v3, v5, v3
	s_waitcnt vmcnt(28)
	v_fmac_f32_e32 v44, v5, v70
	s_waitcnt vmcnt(27)
	v_fmac_f32_e32 v48, v7, v71
	v_add_f32_e32 v44, 0, v44
	s_waitcnt vmcnt(26)
	v_fmac_f32_e32 v49, v9, v72
	v_add_f32_e32 v44, v44, v48
	;; [unrolled: 3-line block ×12, first 2 shown]
	v_add_f32_e32 v53, v44, v90
	buffer_load_dword v49, off, s[0:3], 0 offset:380
	buffer_load_dword v48, off, s[0:3], 0 offset:376
	;; [unrolled: 1-line block ×7, first 2 shown]
	v_fma_f32 v3, v4, v70, -v3
	v_mul_f32_e32 v4, v7, v52
	v_add_f32_e32 v3, 0, v3
	v_fma_f32 v4, v6, v71, -v4
	v_add_f32_e32 v3, v3, v4
	v_mul_f32_e32 v4, v9, v54
	v_fma_f32 v4, v8, v72, -v4
	v_add_f32_e32 v3, v3, v4
	v_mul_f32_e32 v4, v11, v56
	;; [unrolled: 3-line block ×12, first 2 shown]
	s_waitcnt vmcnt(22)
	v_fma_f32 v4, v30, v83, -v4
	v_add_f32_e32 v52, v3, v4
	ds_read_b128 v[4:7], v2 offset:736
	ds_read_b128 v[8:11], v2 offset:752
	;; [unrolled: 1-line block ×4, first 2 shown]
	s_waitcnt vmcnt(11)
	v_mov_b32_e32 v20, v43
	s_waitcnt lgkmcnt(3)
	v_pk_mul_f32 v[20:21], v[4:5], v[20:21] op_sel_hi:[1,0]
	s_waitcnt vmcnt(10)
	v_pk_fma_f32 v[22:23], v[4:5], v[42:43], v[20:21] op_sel:[0,0,1] op_sel_hi:[1,1,0] neg_lo:[0,0,1] neg_hi:[0,0,1]
	v_pk_fma_f32 v[4:5], v[4:5], v[42:43], v[20:21] op_sel:[0,0,1] op_sel_hi:[1,0,0]
	v_mov_b32_e32 v4, v41
	v_mul_f32_e32 v91, v30, v69
	v_mov_b32_e32 v23, v5
	v_pk_mul_f32 v[4:5], v[6:7], v[4:5] op_sel_hi:[1,0]
	v_fmac_f32_e32 v91, v31, v83
	v_mul_f32_e32 v55, v32, v84
	v_mul_f32_e32 v3, v33, v84
	v_pk_fma_f32 v[20:21], v[6:7], v[40:41], v[4:5] op_sel:[0,0,1] op_sel_hi:[1,1,0] neg_lo:[0,0,1] neg_hi:[0,0,1]
	v_pk_fma_f32 v[4:5], v[6:7], v[40:41], v[4:5] op_sel:[0,0,1] op_sel_hi:[1,0,0]
	v_add_f32_e32 v53, v53, v91
	v_fmac_f32_e32 v55, v33, v85
	v_mul_f32_e32 v57, v34, v86
	v_fma_f32 v54, v32, v85, -v3
	v_mul_f32_e32 v3, v35, v86
	v_mov_b32_e32 v4, v39
	v_fmac_f32_e32 v57, v35, v87
	v_fma_f32 v56, v34, v87, -v3
	v_pk_add_f32 v[2:3], v[52:53], v[54:55]
	v_mov_b32_e32 v21, v5
	s_waitcnt lgkmcnt(2)
	v_pk_mul_f32 v[4:5], v[8:9], v[4:5] op_sel_hi:[1,0]
	v_pk_add_f32 v[2:3], v[2:3], v[56:57]
	v_pk_fma_f32 v[6:7], v[8:9], v[38:39], v[4:5] op_sel:[0,0,1] op_sel_hi:[1,1,0] neg_lo:[0,0,1] neg_hi:[0,0,1]
	v_pk_fma_f32 v[4:5], v[8:9], v[38:39], v[4:5] op_sel:[0,0,1] op_sel_hi:[1,0,0]
	v_pk_add_f32 v[2:3], v[2:3], v[22:23]
	s_waitcnt vmcnt(9)
	v_mov_b32_e32 v4, v45
	v_pk_add_f32 v[2:3], v[2:3], v[20:21]
	v_mov_b32_e32 v7, v5
	v_pk_mul_f32 v[4:5], v[10:11], v[4:5] op_sel_hi:[1,0]
	v_pk_add_f32 v[2:3], v[2:3], v[6:7]
	s_waitcnt vmcnt(2)
	v_pk_fma_f32 v[6:7], v[10:11], v[44:45], v[4:5] op_sel:[0,0,1] op_sel_hi:[1,1,0] neg_lo:[0,0,1] neg_hi:[0,0,1]
	v_pk_fma_f32 v[4:5], v[10:11], v[44:45], v[4:5] op_sel:[0,0,1] op_sel_hi:[1,0,0]
	v_mov_b32_e32 v4, v51
	v_mov_b32_e32 v7, v5
	s_waitcnt lgkmcnt(1)
	v_pk_mul_f32 v[4:5], v[12:13], v[4:5] op_sel_hi:[1,0]
	v_pk_add_f32 v[2:3], v[2:3], v[6:7]
	v_pk_fma_f32 v[6:7], v[12:13], v[50:51], v[4:5] op_sel:[0,0,1] op_sel_hi:[1,1,0] neg_lo:[0,0,1] neg_hi:[0,0,1]
	v_pk_fma_f32 v[4:5], v[12:13], v[50:51], v[4:5] op_sel:[0,0,1] op_sel_hi:[1,0,0]
	v_mov_b32_e32 v4, v49
	v_mov_b32_e32 v7, v5
	v_pk_mul_f32 v[4:5], v[14:15], v[4:5] op_sel_hi:[1,0]
	v_pk_add_f32 v[2:3], v[2:3], v[6:7]
	v_pk_fma_f32 v[6:7], v[14:15], v[48:49], v[4:5] op_sel:[0,0,1] op_sel_hi:[1,1,0] neg_lo:[0,0,1] neg_hi:[0,0,1]
	v_pk_fma_f32 v[4:5], v[14:15], v[48:49], v[4:5] op_sel:[0,0,1] op_sel_hi:[1,0,0]
	v_mov_b32_e32 v4, v47
	v_mov_b32_e32 v7, v5
	s_waitcnt lgkmcnt(0)
	v_pk_mul_f32 v[4:5], v[16:17], v[4:5] op_sel_hi:[1,0]
	v_pk_add_f32 v[2:3], v[2:3], v[6:7]
	v_pk_fma_f32 v[6:7], v[16:17], v[46:47], v[4:5] op_sel:[0,0,1] op_sel_hi:[1,1,0] neg_lo:[0,0,1] neg_hi:[0,0,1]
	v_pk_fma_f32 v[4:5], v[16:17], v[46:47], v[4:5] op_sel:[0,0,1] op_sel_hi:[1,0,0]
	s_waitcnt vmcnt(1)
	v_mov_b32_e32 v4, v59
	v_mov_b32_e32 v7, v5
	v_pk_mul_f32 v[4:5], v[18:19], v[4:5] op_sel_hi:[1,0]
	v_pk_add_f32 v[2:3], v[2:3], v[6:7]
	s_waitcnt vmcnt(0)
	v_pk_fma_f32 v[6:7], v[18:19], v[58:59], v[4:5] op_sel:[0,0,1] op_sel_hi:[1,1,0] neg_lo:[0,0,1] neg_hi:[0,0,1]
	v_pk_fma_f32 v[4:5], v[18:19], v[58:59], v[4:5] op_sel:[0,0,1] op_sel_hi:[1,0,0]
	v_mov_b32_e32 v7, v5
	v_pk_add_f32 v[2:3], v[2:3], v[6:7]
	v_pk_add_f32 v[2:3], v[36:37], v[2:3] neg_lo:[0,1] neg_hi:[0,1]
	buffer_store_dword v3, off, s[0:3], 0 offset:204
	buffer_store_dword v2, off, s[0:3], 0 offset:200
	s_and_saveexec_b64 s[4:5], vcc
	s_cbranch_execz .LBB49_265
; %bb.264:
	buffer_load_dword v2, off, s[0:3], 0 offset:192
	buffer_load_dword v3, off, s[0:3], 0 offset:196
	v_mov_b32_e32 v4, 0
	buffer_store_dword v4, off, s[0:3], 0 offset:192
	buffer_store_dword v4, off, s[0:3], 0 offset:196
	s_waitcnt vmcnt(2)
	ds_write_b64 v111, v[2:3]
.LBB49_265:
	s_or_b64 exec, exec, s[4:5]
	s_waitcnt lgkmcnt(0)
	; wave barrier
	s_waitcnt lgkmcnt(0)
	buffer_load_dword v5, off, s[0:3], 0 offset:204
	buffer_load_dword v58, off, s[0:3], 0 offset:212
	buffer_load_dword v60, off, s[0:3], 0 offset:220
	buffer_load_dword v62, off, s[0:3], 0 offset:228
	buffer_load_dword v68, off, s[0:3], 0 offset:236
	buffer_load_dword v69, off, s[0:3], 0 offset:244
	buffer_load_dword v70, off, s[0:3], 0 offset:252
	buffer_load_dword v71, off, s[0:3], 0 offset:260
	buffer_load_dword v72, off, s[0:3], 0 offset:268
	buffer_load_dword v73, off, s[0:3], 0 offset:276
	buffer_load_dword v74, off, s[0:3], 0 offset:284
	buffer_load_dword v75, off, s[0:3], 0 offset:292
	buffer_load_dword v76, off, s[0:3], 0 offset:300
	buffer_load_dword v77, off, s[0:3], 0 offset:308
	buffer_load_dword v78, off, s[0:3], 0 offset:316
	buffer_load_dword v79, off, s[0:3], 0 offset:200
	buffer_load_dword v80, off, s[0:3], 0 offset:208
	buffer_load_dword v81, off, s[0:3], 0 offset:216
	buffer_load_dword v82, off, s[0:3], 0 offset:224
	buffer_load_dword v83, off, s[0:3], 0 offset:232
	buffer_load_dword v84, off, s[0:3], 0 offset:240
	buffer_load_dword v85, off, s[0:3], 0 offset:248
	buffer_load_dword v86, off, s[0:3], 0 offset:256
	buffer_load_dword v87, off, s[0:3], 0 offset:264
	buffer_load_dword v88, off, s[0:3], 0 offset:272
	buffer_load_dword v89, off, s[0:3], 0 offset:280
	buffer_load_dword v90, off, s[0:3], 0 offset:288
	buffer_load_dword v91, off, s[0:3], 0 offset:296
	buffer_load_dword v92, off, s[0:3], 0 offset:304
	buffer_load_dword v93, off, s[0:3], 0 offset:312
	buffer_load_dword v94, off, s[0:3], 0 offset:324
	buffer_load_dword v95, off, s[0:3], 0 offset:320
	buffer_load_dword v96, off, s[0:3], 0 offset:332
	buffer_load_dword v97, off, s[0:3], 0 offset:328
	buffer_load_dword v2, off, s[0:3], 0 offset:192
	buffer_load_dword v3, off, s[0:3], 0 offset:196
	v_mov_b32_e32 v4, 0
	buffer_load_dword v47, off, s[0:3], 0 offset:348
	buffer_load_dword v46, off, s[0:3], 0 offset:344
	;; [unrolled: 1-line block ×5, first 2 shown]
	ds_read2_b64 v[6:9], v4 offset0:75 offset1:76
	ds_read2_b64 v[10:13], v4 offset0:77 offset1:78
	;; [unrolled: 1-line block ×8, first 2 shown]
	v_cmp_lt_u32_e32 vcc, 23, v0
	s_waitcnt vmcnt(40) lgkmcnt(7)
	v_mul_f32_e32 v38, v6, v5
	s_waitcnt vmcnt(39)
	v_mul_f32_e32 v39, v8, v58
	s_waitcnt vmcnt(38) lgkmcnt(6)
	v_mul_f32_e32 v40, v10, v60
	s_waitcnt vmcnt(37)
	v_mul_f32_e32 v41, v12, v62
	;; [unrolled: 4-line block ×7, first 2 shown]
	s_waitcnt vmcnt(26) lgkmcnt(0)
	v_mul_f32_e32 v59, v34, v78
	s_waitcnt vmcnt(25)
	v_fmac_f32_e32 v38, v7, v79
	s_waitcnt vmcnt(24)
	v_fmac_f32_e32 v39, v9, v80
	v_add_f32_e32 v38, 0, v38
	s_waitcnt vmcnt(23)
	v_fmac_f32_e32 v40, v11, v81
	v_add_f32_e32 v38, v38, v39
	;; [unrolled: 3-line block ×13, first 2 shown]
	v_add_f32_e32 v42, v38, v56
	buffer_load_dword v53, off, s[0:3], 0 offset:380
	buffer_load_dword v52, off, s[0:3], 0 offset:376
	;; [unrolled: 1-line block ×7, first 2 shown]
	s_waitcnt vmcnt(18)
	v_fmac_f32_e32 v59, v35, v93
	ds_read2_b64 v[38:41], v4 offset0:91 offset1:92
	v_add_f32_e32 v59, v42, v59
	ds_read2_b64 v[42:45], v4 offset0:93 offset1:94
	buffer_load_dword v65, off, s[0:3], 0 offset:396
	buffer_load_dword v64, off, s[0:3], 0 offset:392
	;; [unrolled: 1-line block ×4, first 2 shown]
	v_mul_f32_e32 v5, v7, v5
	v_fma_f32 v5, v6, v79, -v5
	v_mul_f32_e32 v6, v9, v58
	v_add_f32_e32 v5, 0, v5
	v_fma_f32 v6, v8, v80, -v6
	v_add_f32_e32 v5, v5, v6
	v_mul_f32_e32 v6, v11, v60
	v_fma_f32 v6, v10, v81, -v6
	v_add_f32_e32 v5, v5, v6
	v_mul_f32_e32 v6, v13, v62
	;; [unrolled: 3-line block ×13, first 2 shown]
	v_fma_f32 v6, v34, v93, -v6
	s_waitcnt vmcnt(13)
	v_mov_b32_e32 v18, v49
	v_mul_f32_e32 v61, v36, v94
	v_add_f32_e32 v58, v5, v6
	v_mul_f32_e32 v5, v37, v94
	s_waitcnt lgkmcnt(1)
	v_pk_mul_f32 v[18:19], v[40:41], v[18:19] op_sel_hi:[1,0]
	v_fmac_f32_e32 v61, v37, v95
	v_mul_f32_e32 v63, v38, v96
	v_fma_f32 v60, v36, v95, -v5
	v_mul_f32_e32 v5, v39, v96
	s_waitcnt vmcnt(12)
	v_pk_fma_f32 v[20:21], v[40:41], v[48:49], v[18:19] op_sel:[0,0,1] op_sel_hi:[1,1,0] neg_lo:[0,0,1] neg_hi:[0,0,1]
	v_pk_fma_f32 v[18:19], v[40:41], v[48:49], v[18:19] op_sel:[0,0,1] op_sel_hi:[1,0,0]
	v_fmac_f32_e32 v63, v39, v97
	v_fma_f32 v62, v38, v97, -v5
	v_pk_add_f32 v[16:17], v[58:59], v[60:61]
	v_mov_b32_e32 v18, v47
	v_pk_add_f32 v[16:17], v[16:17], v[62:63]
	v_mov_b32_e32 v21, v19
	s_waitcnt lgkmcnt(0)
	v_pk_mul_f32 v[18:19], v[42:43], v[18:19] op_sel_hi:[1,0]
	v_pk_add_f32 v[16:17], v[16:17], v[20:21]
	v_pk_fma_f32 v[20:21], v[42:43], v[46:47], v[18:19] op_sel:[0,0,1] op_sel_hi:[1,1,0] neg_lo:[0,0,1] neg_hi:[0,0,1]
	v_pk_fma_f32 v[18:19], v[42:43], v[46:47], v[18:19] op_sel:[0,0,1] op_sel_hi:[1,0,0]
	s_waitcnt vmcnt(11)
	v_mov_b32_e32 v18, v51
	ds_read2_b64 v[6:9], v4 offset0:95 offset1:96
	ds_read2_b64 v[10:13], v4 offset0:97 offset1:98
	ds_read_b64 v[14:15], v4 offset:792
	v_mov_b32_e32 v21, v19
	v_pk_mul_f32 v[18:19], v[44:45], v[18:19] op_sel_hi:[1,0]
	v_pk_add_f32 v[16:17], v[16:17], v[20:21]
	s_waitcnt vmcnt(4)
	v_pk_fma_f32 v[20:21], v[44:45], v[50:51], v[18:19] op_sel:[0,0,1] op_sel_hi:[1,1,0] neg_lo:[0,0,1] neg_hi:[0,0,1]
	v_pk_fma_f32 v[18:19], v[44:45], v[50:51], v[18:19] op_sel:[0,0,1] op_sel_hi:[1,0,0]
	v_mov_b32_e32 v18, v57
	v_mov_b32_e32 v21, v19
	s_waitcnt lgkmcnt(2)
	v_pk_mul_f32 v[18:19], v[6:7], v[18:19] op_sel_hi:[1,0]
	v_pk_add_f32 v[16:17], v[16:17], v[20:21]
	v_pk_fma_f32 v[20:21], v[6:7], v[56:57], v[18:19] op_sel:[0,0,1] op_sel_hi:[1,1,0] neg_lo:[0,0,1] neg_hi:[0,0,1]
	v_pk_fma_f32 v[6:7], v[6:7], v[56:57], v[18:19] op_sel:[0,0,1] op_sel_hi:[1,0,0]
	v_mov_b32_e32 v21, v7
	v_pk_add_f32 v[6:7], v[16:17], v[20:21]
	v_mov_b32_e32 v16, v55
	v_pk_mul_f32 v[16:17], v[8:9], v[16:17] op_sel_hi:[1,0]
	v_pk_fma_f32 v[18:19], v[8:9], v[54:55], v[16:17] op_sel:[0,0,1] op_sel_hi:[1,1,0] neg_lo:[0,0,1] neg_hi:[0,0,1]
	v_pk_fma_f32 v[8:9], v[8:9], v[54:55], v[16:17] op_sel:[0,0,1] op_sel_hi:[1,0,0]
	v_mov_b32_e32 v8, v53
	v_mov_b32_e32 v19, v9
	s_waitcnt lgkmcnt(1)
	v_pk_mul_f32 v[8:9], v[10:11], v[8:9] op_sel_hi:[1,0]
	v_pk_fma_f32 v[16:17], v[10:11], v[52:53], v[8:9] op_sel:[0,0,1] op_sel_hi:[1,1,0] neg_lo:[0,0,1] neg_hi:[0,0,1]
	v_pk_fma_f32 v[8:9], v[10:11], v[52:53], v[8:9] op_sel:[0,0,1] op_sel_hi:[1,0,0]
	s_waitcnt vmcnt(1)
	v_mov_b32_e32 v8, v67
	v_mov_b32_e32 v17, v9
	v_pk_mul_f32 v[8:9], v[12:13], v[8:9] op_sel_hi:[1,0]
	s_waitcnt vmcnt(0)
	v_pk_fma_f32 v[10:11], v[12:13], v[66:67], v[8:9] op_sel:[0,0,1] op_sel_hi:[1,1,0] neg_lo:[0,0,1] neg_hi:[0,0,1]
	v_pk_fma_f32 v[8:9], v[12:13], v[66:67], v[8:9] op_sel:[0,0,1] op_sel_hi:[1,0,0]
	v_pk_add_f32 v[6:7], v[6:7], v[18:19]
	v_mov_b32_e32 v8, v65
	v_pk_add_f32 v[6:7], v[6:7], v[16:17]
	v_mov_b32_e32 v11, v9
	s_waitcnt lgkmcnt(0)
	v_pk_mul_f32 v[8:9], v[14:15], v[8:9] op_sel_hi:[1,0]
	v_pk_add_f32 v[6:7], v[6:7], v[10:11]
	v_pk_fma_f32 v[10:11], v[14:15], v[64:65], v[8:9] op_sel:[0,0,1] op_sel_hi:[1,1,0] neg_lo:[0,0,1] neg_hi:[0,0,1]
	v_pk_fma_f32 v[8:9], v[14:15], v[64:65], v[8:9] op_sel:[0,0,1] op_sel_hi:[1,0,0]
	v_mov_b32_e32 v11, v9
	v_pk_add_f32 v[6:7], v[6:7], v[10:11]
	v_pk_add_f32 v[2:3], v[2:3], v[6:7] neg_lo:[0,1] neg_hi:[0,1]
	buffer_store_dword v3, off, s[0:3], 0 offset:196
	buffer_store_dword v2, off, s[0:3], 0 offset:192
	s_and_saveexec_b64 s[4:5], vcc
	s_cbranch_execz .LBB49_267
; %bb.266:
	buffer_load_dword v2, off, s[0:3], 0 offset:184
	buffer_load_dword v3, off, s[0:3], 0 offset:188
	s_waitcnt vmcnt(0)
	ds_write_b64 v111, v[2:3]
	buffer_store_dword v4, off, s[0:3], 0 offset:184
	buffer_store_dword v4, off, s[0:3], 0 offset:188
.LBB49_267:
	s_or_b64 exec, exec, s[4:5]
	s_waitcnt lgkmcnt(0)
	; wave barrier
	s_waitcnt lgkmcnt(0)
	buffer_load_dword v2, off, s[0:3], 0 offset:196
	buffer_load_dword v3, off, s[0:3], 0 offset:204
	;; [unrolled: 1-line block ×38, first 2 shown]
	ds_read_b128 v[6:9], v4 offset:592
	ds_read_b128 v[10:13], v4 offset:608
	;; [unrolled: 1-line block ×8, first 2 shown]
	buffer_load_dword v49, off, s[0:3], 0 offset:340
	buffer_load_dword v48, off, s[0:3], 0 offset:336
	;; [unrolled: 1-line block ×4, first 2 shown]
	v_cmp_lt_u32_e32 vcc, 22, v0
	s_waitcnt vmcnt(41) lgkmcnt(7)
	v_mul_f32_e32 v38, v6, v2
	s_waitcnt vmcnt(40)
	v_mul_f32_e32 v39, v8, v3
	s_waitcnt vmcnt(39) lgkmcnt(6)
	v_mul_f32_e32 v40, v10, v5
	s_waitcnt vmcnt(38)
	v_mul_f32_e32 v41, v12, v58
	;; [unrolled: 4-line block ×7, first 2 shown]
	s_waitcnt vmcnt(27) lgkmcnt(0)
	v_mul_f32_e32 v59, v34, v78
	s_waitcnt vmcnt(26)
	v_fmac_f32_e32 v38, v7, v79
	s_waitcnt vmcnt(25)
	v_fmac_f32_e32 v39, v9, v80
	v_add_f32_e32 v38, 0, v38
	s_waitcnt vmcnt(24)
	v_fmac_f32_e32 v40, v11, v81
	v_add_f32_e32 v38, v38, v39
	;; [unrolled: 3-line block ×13, first 2 shown]
	v_add_f32_e32 v38, v38, v57
	buffer_load_dword v53, off, s[0:3], 0 offset:364
	buffer_load_dword v52, off, s[0:3], 0 offset:360
	;; [unrolled: 1-line block ×6, first 2 shown]
	s_waitcnt vmcnt(18)
	v_fmac_f32_e32 v59, v35, v93
	s_waitcnt vmcnt(17)
	v_mul_f32_e32 v43, v36, v94
	v_add_f32_e32 v42, v38, v59
	s_waitcnt vmcnt(16)
	v_fmac_f32_e32 v43, v37, v95
	ds_read_b128 v[38:41], v4 offset:720
	v_add_f32_e32 v59, v42, v43
	ds_read_b128 v[42:45], v4 offset:736
	buffer_load_dword v65, off, s[0:3], 0 offset:396
	buffer_load_dword v64, off, s[0:3], 0 offset:392
	;; [unrolled: 1-line block ×6, first 2 shown]
	v_mul_f32_e32 v2, v7, v2
	v_fma_f32 v2, v6, v79, -v2
	v_mul_f32_e32 v3, v9, v3
	v_add_f32_e32 v2, 0, v2
	v_fma_f32 v3, v8, v80, -v3
	v_add_f32_e32 v2, v2, v3
	v_mul_f32_e32 v3, v11, v5
	v_fma_f32 v3, v10, v81, -v3
	v_add_f32_e32 v2, v2, v3
	v_mul_f32_e32 v3, v13, v58
	;; [unrolled: 3-line block ×14, first 2 shown]
	v_fma_f32 v3, v36, v95, -v3
	s_waitcnt vmcnt(15)
	v_mov_b32_e32 v16, v49
	s_waitcnt lgkmcnt(1)
	v_mul_f32_e32 v61, v38, v96
	v_add_f32_e32 v58, v2, v3
	v_mul_f32_e32 v2, v39, v96
	s_waitcnt lgkmcnt(0)
	v_pk_mul_f32 v[16:17], v[42:43], v[16:17] op_sel_hi:[1,0]
	v_fmac_f32_e32 v61, v39, v97
	v_mul_f32_e32 v63, v40, v98
	v_fma_f32 v60, v38, v97, -v2
	v_mul_f32_e32 v2, v41, v98
	s_waitcnt vmcnt(14)
	v_pk_fma_f32 v[18:19], v[42:43], v[48:49], v[16:17] op_sel:[0,0,1] op_sel_hi:[1,1,0] neg_lo:[0,0,1] neg_hi:[0,0,1]
	v_pk_fma_f32 v[16:17], v[42:43], v[48:49], v[16:17] op_sel:[0,0,1] op_sel_hi:[1,0,0]
	v_fmac_f32_e32 v63, v41, v99
	v_fma_f32 v62, v40, v99, -v2
	v_pk_add_f32 v[14:15], v[58:59], v[60:61]
	ds_read_b128 v[6:9], v4 offset:752
	ds_read_b128 v[10:13], v4 offset:768
	;; [unrolled: 1-line block ×3, first 2 shown]
	v_pk_add_f32 v[14:15], v[14:15], v[62:63]
	v_mov_b32_e32 v19, v17
	v_pk_add_f32 v[14:15], v[14:15], v[18:19]
	s_waitcnt vmcnt(7)
	v_mov_b32_e32 v16, v57
	v_pk_mul_f32 v[16:17], v[44:45], v[16:17] op_sel_hi:[1,0]
	s_waitcnt vmcnt(6)
	v_pk_fma_f32 v[18:19], v[44:45], v[56:57], v[16:17] op_sel:[0,0,1] op_sel_hi:[1,1,0] neg_lo:[0,0,1] neg_hi:[0,0,1]
	v_pk_fma_f32 v[16:17], v[44:45], v[56:57], v[16:17] op_sel:[0,0,1] op_sel_hi:[1,0,0]
	v_mov_b32_e32 v16, v55
	v_mov_b32_e32 v19, v17
	s_waitcnt lgkmcnt(2)
	v_pk_mul_f32 v[16:17], v[6:7], v[16:17] op_sel_hi:[1,0]
	v_pk_add_f32 v[14:15], v[14:15], v[18:19]
	v_pk_fma_f32 v[18:19], v[6:7], v[54:55], v[16:17] op_sel:[0,0,1] op_sel_hi:[1,1,0] neg_lo:[0,0,1] neg_hi:[0,0,1]
	v_pk_fma_f32 v[6:7], v[6:7], v[54:55], v[16:17] op_sel:[0,0,1] op_sel_hi:[1,0,0]
	v_mov_b32_e32 v19, v7
	v_pk_add_f32 v[6:7], v[14:15], v[18:19]
	v_mov_b32_e32 v14, v53
	v_pk_mul_f32 v[14:15], v[8:9], v[14:15] op_sel_hi:[1,0]
	v_pk_fma_f32 v[16:17], v[8:9], v[52:53], v[14:15] op_sel:[0,0,1] op_sel_hi:[1,1,0] neg_lo:[0,0,1] neg_hi:[0,0,1]
	v_pk_fma_f32 v[8:9], v[8:9], v[52:53], v[14:15] op_sel:[0,0,1] op_sel_hi:[1,0,0]
	v_mov_b32_e32 v8, v51
	v_mov_b32_e32 v17, v9
	s_waitcnt lgkmcnt(1)
	v_pk_mul_f32 v[8:9], v[10:11], v[8:9] op_sel_hi:[1,0]
	v_pk_fma_f32 v[14:15], v[10:11], v[50:51], v[8:9] op_sel:[0,0,1] op_sel_hi:[1,1,0] neg_lo:[0,0,1] neg_hi:[0,0,1]
	v_pk_fma_f32 v[8:9], v[10:11], v[50:51], v[8:9] op_sel:[0,0,1] op_sel_hi:[1,0,0]
	s_waitcnt vmcnt(1)
	v_mov_b32_e32 v8, v69
	v_mov_b32_e32 v15, v9
	v_pk_mul_f32 v[8:9], v[12:13], v[8:9] op_sel_hi:[1,0]
	s_waitcnt vmcnt(0)
	v_pk_fma_f32 v[10:11], v[12:13], v[68:69], v[8:9] op_sel:[0,0,1] op_sel_hi:[1,1,0] neg_lo:[0,0,1] neg_hi:[0,0,1]
	v_pk_fma_f32 v[8:9], v[12:13], v[68:69], v[8:9] op_sel:[0,0,1] op_sel_hi:[1,0,0]
	v_pk_add_f32 v[6:7], v[6:7], v[16:17]
	v_mov_b32_e32 v8, v67
	v_pk_add_f32 v[6:7], v[6:7], v[14:15]
	v_mov_b32_e32 v11, v9
	s_waitcnt lgkmcnt(0)
	v_pk_mul_f32 v[8:9], v[2:3], v[8:9] op_sel_hi:[1,0]
	v_pk_add_f32 v[6:7], v[6:7], v[10:11]
	v_pk_fma_f32 v[10:11], v[2:3], v[66:67], v[8:9] op_sel:[0,0,1] op_sel_hi:[1,1,0] neg_lo:[0,0,1] neg_hi:[0,0,1]
	v_pk_fma_f32 v[2:3], v[2:3], v[66:67], v[8:9] op_sel:[0,0,1] op_sel_hi:[1,0,0]
	v_mov_b32_e32 v11, v3
	v_pk_add_f32 v[2:3], v[6:7], v[10:11]
	v_mov_b32_e32 v6, v65
	v_pk_mul_f32 v[6:7], v[4:5], v[6:7] op_sel_hi:[1,0]
	v_pk_fma_f32 v[8:9], v[4:5], v[64:65], v[6:7] op_sel:[0,0,1] op_sel_hi:[1,1,0] neg_lo:[0,0,1] neg_hi:[0,0,1]
	v_pk_fma_f32 v[4:5], v[4:5], v[64:65], v[6:7] op_sel:[0,0,1] op_sel_hi:[1,0,0]
	v_mov_b32_e32 v9, v5
	v_pk_add_f32 v[2:3], v[2:3], v[8:9]
	v_pk_add_f32 v[2:3], v[46:47], v[2:3] neg_lo:[0,1] neg_hi:[0,1]
	buffer_store_dword v3, off, s[0:3], 0 offset:188
	buffer_store_dword v2, off, s[0:3], 0 offset:184
	s_and_saveexec_b64 s[4:5], vcc
	s_cbranch_execz .LBB49_269
; %bb.268:
	buffer_load_dword v2, off, s[0:3], 0 offset:176
	buffer_load_dword v3, off, s[0:3], 0 offset:180
	v_mov_b32_e32 v4, 0
	buffer_store_dword v4, off, s[0:3], 0 offset:176
	buffer_store_dword v4, off, s[0:3], 0 offset:180
	s_waitcnt vmcnt(2)
	ds_write_b64 v111, v[2:3]
.LBB49_269:
	s_or_b64 exec, exec, s[4:5]
	s_waitcnt lgkmcnt(0)
	; wave barrier
	s_waitcnt lgkmcnt(0)
	buffer_load_dword v5, off, s[0:3], 0 offset:188
	buffer_load_dword v54, off, s[0:3], 0 offset:196
	;; [unrolled: 1-line block ×40, first 2 shown]
	v_mov_b32_e32 v4, 0
	ds_read2_b64 v[6:9], v4 offset0:73 offset1:74
	ds_read2_b64 v[10:13], v4 offset0:75 offset1:76
	;; [unrolled: 1-line block ×8, first 2 shown]
	v_cmp_lt_u32_e32 vcc, 21, v0
	s_waitcnt vmcnt(39) lgkmcnt(7)
	v_mul_f32_e32 v38, v6, v5
	s_waitcnt vmcnt(38)
	v_mul_f32_e32 v39, v8, v54
	s_waitcnt vmcnt(37) lgkmcnt(6)
	v_mul_f32_e32 v40, v10, v56
	s_waitcnt vmcnt(36)
	v_mul_f32_e32 v41, v12, v58
	;; [unrolled: 4-line block ×8, first 2 shown]
	s_waitcnt vmcnt(23)
	v_fmac_f32_e32 v38, v7, v80
	s_waitcnt vmcnt(22)
	v_fmac_f32_e32 v39, v9, v81
	v_add_f32_e32 v38, 0, v38
	s_waitcnt vmcnt(21)
	v_fmac_f32_e32 v40, v11, v82
	v_add_f32_e32 v38, v38, v39
	;; [unrolled: 3-line block ×14, first 2 shown]
	v_add_f32_e32 v38, v38, v52
	s_waitcnt vmcnt(8)
	v_fmac_f32_e32 v53, v37, v95
	v_add_f32_e32 v55, v38, v53
	ds_read2_b64 v[38:41], v4 offset0:89 offset1:90
	buffer_load_dword v47, off, s[0:3], 0 offset:340
	buffer_load_dword v49, off, s[0:3], 0 offset:364
	;; [unrolled: 1-line block ×8, first 2 shown]
	ds_read2_b64 v[42:45], v4 offset0:91 offset1:92
	buffer_load_dword v61, off, s[0:3], 0 offset:396
	buffer_load_dword v60, off, s[0:3], 0 offset:392
	;; [unrolled: 1-line block ×8, first 2 shown]
	v_mul_f32_e32 v5, v7, v5
	v_fma_f32 v5, v6, v80, -v5
	v_mul_f32_e32 v6, v9, v54
	v_add_f32_e32 v5, 0, v5
	v_fma_f32 v6, v8, v81, -v6
	v_add_f32_e32 v5, v5, v6
	v_mul_f32_e32 v6, v11, v56
	v_fma_f32 v6, v10, v82, -v6
	v_add_f32_e32 v5, v5, v6
	v_mul_f32_e32 v6, v13, v58
	;; [unrolled: 3-line block ×14, first 2 shown]
	v_fma_f32 v6, v36, v95, -v6
	s_waitcnt vmcnt(23) lgkmcnt(1)
	v_mul_f32_e32 v57, v38, v96
	v_add_f32_e32 v5, v5, v6
	v_mul_f32_e32 v6, v39, v96
	s_waitcnt vmcnt(22)
	v_fmac_f32_e32 v57, v39, v97
	v_fma_f32 v6, v38, v97, -v6
	v_add_f32_e32 v55, v55, v57
	s_waitcnt vmcnt(21)
	v_mul_f32_e32 v57, v40, v98
	v_add_f32_e32 v54, v5, v6
	v_mul_f32_e32 v5, v41, v98
	s_waitcnt vmcnt(20)
	v_fmac_f32_e32 v57, v41, v99
	s_waitcnt vmcnt(19) lgkmcnt(0)
	v_mul_f32_e32 v59, v42, v100
	v_fma_f32 v56, v40, v99, -v5
	v_mul_f32_e32 v5, v43, v100
	ds_read2_b64 v[6:9], v4 offset0:93 offset1:94
	ds_read2_b64 v[10:13], v4 offset0:95 offset1:96
	;; [unrolled: 1-line block ×3, first 2 shown]
	ds_read_b64 v[18:19], v4 offset:792
	s_waitcnt vmcnt(18)
	v_fmac_f32_e32 v59, v43, v101
	v_fma_f32 v58, v42, v101, -v5
	v_pk_add_f32 v[20:21], v[54:55], v[56:57]
	v_pk_add_f32 v[20:21], v[20:21], v[58:59]
	s_waitcnt vmcnt(15)
	v_mov_b32_e32 v22, v47
	v_pk_mul_f32 v[22:23], v[44:45], v[22:23] op_sel_hi:[1,0]
	s_waitcnt vmcnt(8)
	v_pk_fma_f32 v[24:25], v[44:45], v[46:47], v[22:23] op_sel:[0,0,1] op_sel_hi:[1,1,0] neg_lo:[0,0,1] neg_hi:[0,0,1]
	v_pk_fma_f32 v[22:23], v[44:45], v[46:47], v[22:23] op_sel:[0,0,1] op_sel_hi:[1,0,0]
	v_mov_b32_e32 v22, v53
	v_mov_b32_e32 v25, v23
	s_waitcnt lgkmcnt(3)
	v_pk_mul_f32 v[22:23], v[6:7], v[22:23] op_sel_hi:[1,0]
	v_pk_add_f32 v[20:21], v[20:21], v[24:25]
	v_pk_fma_f32 v[24:25], v[6:7], v[52:53], v[22:23] op_sel:[0,0,1] op_sel_hi:[1,1,0] neg_lo:[0,0,1] neg_hi:[0,0,1]
	v_pk_fma_f32 v[6:7], v[6:7], v[52:53], v[22:23] op_sel:[0,0,1] op_sel_hi:[1,0,0]
	v_mov_b32_e32 v25, v7
	v_pk_add_f32 v[6:7], v[20:21], v[24:25]
	v_mov_b32_e32 v20, v51
	v_pk_mul_f32 v[20:21], v[8:9], v[20:21] op_sel_hi:[1,0]
	v_pk_fma_f32 v[22:23], v[8:9], v[50:51], v[20:21] op_sel:[0,0,1] op_sel_hi:[1,1,0] neg_lo:[0,0,1] neg_hi:[0,0,1]
	v_pk_fma_f32 v[8:9], v[8:9], v[50:51], v[20:21] op_sel:[0,0,1] op_sel_hi:[1,0,0]
	v_mov_b32_e32 v8, v49
	v_mov_b32_e32 v23, v9
	s_waitcnt lgkmcnt(2)
	v_pk_mul_f32 v[8:9], v[10:11], v[8:9] op_sel_hi:[1,0]
	v_pk_fma_f32 v[20:21], v[10:11], v[48:49], v[8:9] op_sel:[0,0,1] op_sel_hi:[1,1,0] neg_lo:[0,0,1] neg_hi:[0,0,1]
	v_pk_fma_f32 v[8:9], v[10:11], v[48:49], v[8:9] op_sel:[0,0,1] op_sel_hi:[1,0,0]
	s_waitcnt vmcnt(1)
	v_mov_b32_e32 v8, v67
	v_mov_b32_e32 v21, v9
	v_pk_mul_f32 v[8:9], v[12:13], v[8:9] op_sel_hi:[1,0]
	s_waitcnt vmcnt(0)
	v_pk_fma_f32 v[10:11], v[12:13], v[66:67], v[8:9] op_sel:[0,0,1] op_sel_hi:[1,1,0] neg_lo:[0,0,1] neg_hi:[0,0,1]
	v_pk_fma_f32 v[8:9], v[12:13], v[66:67], v[8:9] op_sel:[0,0,1] op_sel_hi:[1,0,0]
	v_pk_add_f32 v[6:7], v[6:7], v[22:23]
	v_mov_b32_e32 v8, v65
	v_pk_add_f32 v[6:7], v[6:7], v[20:21]
	v_mov_b32_e32 v11, v9
	s_waitcnt lgkmcnt(1)
	v_pk_mul_f32 v[8:9], v[14:15], v[8:9] op_sel_hi:[1,0]
	v_pk_add_f32 v[6:7], v[6:7], v[10:11]
	v_pk_fma_f32 v[10:11], v[14:15], v[64:65], v[8:9] op_sel:[0,0,1] op_sel_hi:[1,1,0] neg_lo:[0,0,1] neg_hi:[0,0,1]
	v_pk_fma_f32 v[8:9], v[14:15], v[64:65], v[8:9] op_sel:[0,0,1] op_sel_hi:[1,0,0]
	v_mov_b32_e32 v8, v63
	v_mov_b32_e32 v11, v9
	v_pk_mul_f32 v[8:9], v[16:17], v[8:9] op_sel_hi:[1,0]
	v_pk_add_f32 v[6:7], v[6:7], v[10:11]
	v_pk_fma_f32 v[10:11], v[16:17], v[62:63], v[8:9] op_sel:[0,0,1] op_sel_hi:[1,1,0] neg_lo:[0,0,1] neg_hi:[0,0,1]
	v_pk_fma_f32 v[8:9], v[16:17], v[62:63], v[8:9] op_sel:[0,0,1] op_sel_hi:[1,0,0]
	v_mov_b32_e32 v8, v61
	v_mov_b32_e32 v11, v9
	s_waitcnt lgkmcnt(0)
	v_pk_mul_f32 v[8:9], v[18:19], v[8:9] op_sel_hi:[1,0]
	v_pk_add_f32 v[6:7], v[6:7], v[10:11]
	v_pk_fma_f32 v[10:11], v[18:19], v[60:61], v[8:9] op_sel:[0,0,1] op_sel_hi:[1,1,0] neg_lo:[0,0,1] neg_hi:[0,0,1]
	v_pk_fma_f32 v[8:9], v[18:19], v[60:61], v[8:9] op_sel:[0,0,1] op_sel_hi:[1,0,0]
	v_mov_b32_e32 v11, v9
	v_pk_add_f32 v[6:7], v[6:7], v[10:11]
	v_pk_add_f32 v[2:3], v[2:3], v[6:7] neg_lo:[0,1] neg_hi:[0,1]
	buffer_store_dword v3, off, s[0:3], 0 offset:180
	buffer_store_dword v2, off, s[0:3], 0 offset:176
	s_and_saveexec_b64 s[4:5], vcc
	s_cbranch_execz .LBB49_271
; %bb.270:
	buffer_load_dword v2, off, s[0:3], 0 offset:168
	buffer_load_dword v3, off, s[0:3], 0 offset:172
	s_waitcnt vmcnt(0)
	ds_write_b64 v111, v[2:3]
	buffer_store_dword v4, off, s[0:3], 0 offset:168
	buffer_store_dword v4, off, s[0:3], 0 offset:172
.LBB49_271:
	s_or_b64 exec, exec, s[4:5]
	s_waitcnt lgkmcnt(0)
	; wave barrier
	s_waitcnt lgkmcnt(0)
	buffer_load_dword v5, off, s[0:3], 0 offset:180
	buffer_load_dword v46, off, s[0:3], 0 offset:188
	;; [unrolled: 1-line block ×42, first 2 shown]
	ds_read_b128 v[6:9], v4 offset:576
	ds_read_b128 v[10:13], v4 offset:592
	;; [unrolled: 1-line block ×8, first 2 shown]
	v_cmp_lt_u32_e32 vcc, 20, v0
	s_waitcnt vmcnt(41) lgkmcnt(7)
	v_mul_f32_e32 v38, v6, v5
	s_waitcnt vmcnt(40)
	v_mul_f32_e32 v39, v8, v46
	s_waitcnt vmcnt(39) lgkmcnt(6)
	v_mul_f32_e32 v40, v10, v48
	s_waitcnt vmcnt(38)
	v_mul_f32_e32 v41, v12, v56
	s_waitcnt vmcnt(37) lgkmcnt(5)
	v_mul_f32_e32 v42, v14, v68
	s_waitcnt vmcnt(36)
	v_mul_f32_e32 v43, v16, v69
	s_waitcnt vmcnt(35) lgkmcnt(4)
	v_mul_f32_e32 v44, v18, v70
	s_waitcnt vmcnt(34)
	v_mul_f32_e32 v45, v20, v71
	s_waitcnt vmcnt(33) lgkmcnt(3)
	v_mul_f32_e32 v47, v22, v72
	s_waitcnt vmcnt(32)
	v_mul_f32_e32 v49, v24, v73
	s_waitcnt vmcnt(31) lgkmcnt(2)
	v_mul_f32_e32 v50, v26, v74
	s_waitcnt vmcnt(30)
	v_mul_f32_e32 v51, v28, v75
	s_waitcnt vmcnt(29) lgkmcnt(1)
	v_mul_f32_e32 v52, v30, v76
	s_waitcnt vmcnt(28)
	v_mul_f32_e32 v53, v32, v77
	s_waitcnt vmcnt(27) lgkmcnt(0)
	v_mul_f32_e32 v54, v34, v78
	s_waitcnt vmcnt(26)
	v_fmac_f32_e32 v38, v7, v79
	s_waitcnt vmcnt(25)
	v_fmac_f32_e32 v39, v9, v80
	v_add_f32_e32 v38, 0, v38
	s_waitcnt vmcnt(24)
	v_fmac_f32_e32 v40, v11, v81
	v_add_f32_e32 v38, v38, v39
	;; [unrolled: 3-line block ×14, first 2 shown]
	s_waitcnt vmcnt(11)
	v_mul_f32_e32 v43, v36, v94
	v_add_f32_e32 v42, v38, v54
	s_waitcnt vmcnt(10)
	v_fmac_f32_e32 v43, v37, v95
	ds_read_b128 v[38:41], v4 offset:704
	v_add_f32_e32 v47, v42, v43
	ds_read_b128 v[42:45], v4 offset:720
	buffer_load_dword v51, off, s[0:3], 0 offset:340
	buffer_load_dword v53, off, s[0:3], 0 offset:356
	;; [unrolled: 1-line block ×16, first 2 shown]
	v_mul_f32_e32 v5, v7, v5
	v_fma_f32 v5, v6, v79, -v5
	v_mul_f32_e32 v6, v9, v46
	v_add_f32_e32 v5, 0, v5
	v_fma_f32 v6, v8, v80, -v6
	v_add_f32_e32 v5, v5, v6
	v_mul_f32_e32 v6, v11, v48
	v_fma_f32 v6, v10, v81, -v6
	v_add_f32_e32 v5, v5, v6
	v_mul_f32_e32 v6, v13, v56
	;; [unrolled: 3-line block ×14, first 2 shown]
	v_fma_f32 v6, v36, v95, -v6
	v_add_f32_e32 v5, v5, v6
	s_waitcnt vmcnt(25) lgkmcnt(1)
	v_mul_f32_e32 v6, v39, v96
	s_waitcnt vmcnt(24)
	v_fma_f32 v6, v38, v97, -v6
	v_add_f32_e32 v5, v5, v6
	s_waitcnt vmcnt(23)
	v_mul_f32_e32 v6, v41, v98
	s_waitcnt vmcnt(22)
	v_fma_f32 v6, v40, v99, -v6
	v_add_f32_e32 v46, v5, v6
	ds_read_b128 v[6:9], v4 offset:736
	ds_read_b128 v[10:13], v4 offset:752
	ds_read_b128 v[14:17], v4 offset:768
	ds_read_b128 v[18:21], v4 offset:784
	v_mul_f32_e32 v49, v38, v96
	v_fmac_f32_e32 v49, v39, v97
	v_add_f32_e32 v47, v47, v49
	v_mul_f32_e32 v49, v40, v98
	v_fmac_f32_e32 v49, v41, v99
	v_add_f32_e32 v47, v47, v49
	s_waitcnt vmcnt(21) lgkmcnt(4)
	v_mul_f32_e32 v49, v42, v100
	v_mul_f32_e32 v5, v43, v100
	s_waitcnt vmcnt(20)
	v_fmac_f32_e32 v49, v43, v101
	s_waitcnt vmcnt(19)
	v_mul_f32_e32 v57, v44, v102
	v_fma_f32 v48, v42, v101, -v5
	v_mul_f32_e32 v5, v45, v102
	s_waitcnt vmcnt(18)
	v_fmac_f32_e32 v57, v45, v103
	v_fma_f32 v56, v44, v103, -v5
	v_pk_add_f32 v[4:5], v[46:47], v[48:49]
	v_pk_add_f32 v[4:5], v[4:5], v[56:57]
	s_waitcnt vmcnt(15)
	v_mov_b32_e32 v22, v51
	s_waitcnt lgkmcnt(3)
	v_pk_mul_f32 v[22:23], v[6:7], v[22:23] op_sel_hi:[1,0]
	s_waitcnt vmcnt(10)
	v_pk_fma_f32 v[24:25], v[6:7], v[50:51], v[22:23] op_sel:[0,0,1] op_sel_hi:[1,1,0] neg_lo:[0,0,1] neg_hi:[0,0,1]
	v_pk_fma_f32 v[6:7], v[6:7], v[50:51], v[22:23] op_sel:[0,0,1] op_sel_hi:[1,0,0]
	v_mov_b32_e32 v6, v55
	v_mov_b32_e32 v25, v7
	v_pk_mul_f32 v[6:7], v[8:9], v[6:7] op_sel_hi:[1,0]
	v_pk_fma_f32 v[22:23], v[8:9], v[54:55], v[6:7] op_sel:[0,0,1] op_sel_hi:[1,1,0] neg_lo:[0,0,1] neg_hi:[0,0,1]
	v_pk_fma_f32 v[6:7], v[8:9], v[54:55], v[6:7] op_sel:[0,0,1] op_sel_hi:[1,0,0]
	v_mov_b32_e32 v6, v53
	v_mov_b32_e32 v23, v7
	s_waitcnt lgkmcnt(2)
	v_pk_mul_f32 v[6:7], v[10:11], v[6:7] op_sel_hi:[1,0]
	v_pk_fma_f32 v[8:9], v[10:11], v[52:53], v[6:7] op_sel:[0,0,1] op_sel_hi:[1,1,0] neg_lo:[0,0,1] neg_hi:[0,0,1]
	v_pk_fma_f32 v[6:7], v[10:11], v[52:53], v[6:7] op_sel:[0,0,1] op_sel_hi:[1,0,0]
	v_pk_add_f32 v[4:5], v[4:5], v[24:25]
	s_waitcnt vmcnt(3)
	v_mov_b32_e32 v6, v65
	v_pk_add_f32 v[4:5], v[4:5], v[22:23]
	v_mov_b32_e32 v9, v7
	v_pk_mul_f32 v[6:7], v[12:13], v[6:7] op_sel_hi:[1,0]
	v_pk_add_f32 v[4:5], v[4:5], v[8:9]
	s_waitcnt vmcnt(2)
	v_pk_fma_f32 v[8:9], v[12:13], v[64:65], v[6:7] op_sel:[0,0,1] op_sel_hi:[1,1,0] neg_lo:[0,0,1] neg_hi:[0,0,1]
	v_pk_fma_f32 v[6:7], v[12:13], v[64:65], v[6:7] op_sel:[0,0,1] op_sel_hi:[1,0,0]
	v_mov_b32_e32 v6, v63
	v_mov_b32_e32 v9, v7
	s_waitcnt lgkmcnt(1)
	v_pk_mul_f32 v[6:7], v[14:15], v[6:7] op_sel_hi:[1,0]
	v_pk_add_f32 v[4:5], v[4:5], v[8:9]
	v_pk_fma_f32 v[8:9], v[14:15], v[62:63], v[6:7] op_sel:[0,0,1] op_sel_hi:[1,1,0] neg_lo:[0,0,1] neg_hi:[0,0,1]
	v_pk_fma_f32 v[6:7], v[14:15], v[62:63], v[6:7] op_sel:[0,0,1] op_sel_hi:[1,0,0]
	v_mov_b32_e32 v6, v61
	v_mov_b32_e32 v9, v7
	v_pk_mul_f32 v[6:7], v[16:17], v[6:7] op_sel_hi:[1,0]
	v_pk_add_f32 v[4:5], v[4:5], v[8:9]
	v_pk_fma_f32 v[8:9], v[16:17], v[60:61], v[6:7] op_sel:[0,0,1] op_sel_hi:[1,1,0] neg_lo:[0,0,1] neg_hi:[0,0,1]
	v_pk_fma_f32 v[6:7], v[16:17], v[60:61], v[6:7] op_sel:[0,0,1] op_sel_hi:[1,0,0]
	v_mov_b32_e32 v6, v59
	v_mov_b32_e32 v9, v7
	s_waitcnt lgkmcnt(0)
	v_pk_mul_f32 v[6:7], v[18:19], v[6:7] op_sel_hi:[1,0]
	v_pk_add_f32 v[4:5], v[4:5], v[8:9]
	v_pk_fma_f32 v[8:9], v[18:19], v[58:59], v[6:7] op_sel:[0,0,1] op_sel_hi:[1,1,0] neg_lo:[0,0,1] neg_hi:[0,0,1]
	v_pk_fma_f32 v[6:7], v[18:19], v[58:59], v[6:7] op_sel:[0,0,1] op_sel_hi:[1,0,0]
	s_waitcnt vmcnt(1)
	v_mov_b32_e32 v6, v67
	v_mov_b32_e32 v9, v7
	v_pk_mul_f32 v[6:7], v[20:21], v[6:7] op_sel_hi:[1,0]
	v_pk_add_f32 v[4:5], v[4:5], v[8:9]
	s_waitcnt vmcnt(0)
	v_pk_fma_f32 v[8:9], v[20:21], v[66:67], v[6:7] op_sel:[0,0,1] op_sel_hi:[1,1,0] neg_lo:[0,0,1] neg_hi:[0,0,1]
	v_pk_fma_f32 v[6:7], v[20:21], v[66:67], v[6:7] op_sel:[0,0,1] op_sel_hi:[1,0,0]
	v_mov_b32_e32 v9, v7
	v_pk_add_f32 v[4:5], v[4:5], v[8:9]
	v_pk_add_f32 v[2:3], v[2:3], v[4:5] neg_lo:[0,1] neg_hi:[0,1]
	buffer_store_dword v3, off, s[0:3], 0 offset:172
	buffer_store_dword v2, off, s[0:3], 0 offset:168
	s_and_saveexec_b64 s[4:5], vcc
	s_cbranch_execz .LBB49_273
; %bb.272:
	buffer_load_dword v2, off, s[0:3], 0 offset:160
	buffer_load_dword v3, off, s[0:3], 0 offset:164
	v_mov_b32_e32 v4, 0
	buffer_store_dword v4, off, s[0:3], 0 offset:160
	buffer_store_dword v4, off, s[0:3], 0 offset:164
	s_waitcnt vmcnt(2)
	ds_write_b64 v111, v[2:3]
.LBB49_273:
	s_or_b64 exec, exec, s[4:5]
	s_waitcnt lgkmcnt(0)
	; wave barrier
	s_waitcnt lgkmcnt(0)
	buffer_load_dword v5, off, s[0:3], 0 offset:172
	buffer_load_dword v54, off, s[0:3], 0 offset:180
	;; [unrolled: 1-line block ×44, first 2 shown]
	v_mov_b32_e32 v4, 0
	ds_read2_b64 v[6:9], v4 offset0:71 offset1:72
	ds_read2_b64 v[10:13], v4 offset0:73 offset1:74
	;; [unrolled: 1-line block ×8, first 2 shown]
	v_cmp_lt_u32_e32 vcc, 19, v0
	s_waitcnt vmcnt(43) lgkmcnt(7)
	v_mul_f32_e32 v38, v6, v5
	s_waitcnt vmcnt(42)
	v_mul_f32_e32 v39, v8, v54
	s_waitcnt vmcnt(41) lgkmcnt(6)
	v_mul_f32_e32 v40, v10, v60
	s_waitcnt vmcnt(40)
	v_mul_f32_e32 v41, v12, v62
	;; [unrolled: 4-line block ×7, first 2 shown]
	s_waitcnt vmcnt(29)
	v_fmac_f32_e32 v38, v7, v86
	s_waitcnt vmcnt(28)
	v_fmac_f32_e32 v39, v9, v87
	v_add_f32_e32 v38, 0, v38
	s_waitcnt vmcnt(27)
	v_fmac_f32_e32 v40, v11, v88
	v_add_f32_e32 v38, v38, v39
	;; [unrolled: 3-line block ×12, first 2 shown]
	v_add_f32_e32 v38, v38, v50
	s_waitcnt vmcnt(16)
	v_fmac_f32_e32 v51, v33, v99
	s_waitcnt vmcnt(15) lgkmcnt(0)
	v_mul_f32_e32 v39, v34, v100
	v_add_f32_e32 v38, v38, v51
	s_waitcnt vmcnt(14)
	v_fmac_f32_e32 v39, v35, v101
	v_add_f32_e32 v42, v38, v39
	ds_read2_b64 v[38:41], v4 offset0:87 offset1:88
	s_waitcnt vmcnt(13)
	v_mul_f32_e32 v43, v36, v102
	s_waitcnt vmcnt(12)
	v_fmac_f32_e32 v43, v37, v103
	v_add_f32_e32 v46, v42, v43
	ds_read2_b64 v[42:45], v4 offset0:89 offset1:90
	s_waitcnt vmcnt(11) lgkmcnt(1)
	v_mul_f32_e32 v47, v38, v184
	s_waitcnt vmcnt(10)
	v_fmac_f32_e32 v47, v39, v185
	v_add_f32_e32 v46, v46, v47
	s_waitcnt vmcnt(9)
	v_mul_f32_e32 v47, v40, v186
	s_waitcnt vmcnt(8)
	v_fmac_f32_e32 v47, v41, v187
	v_add_f32_e32 v46, v46, v47
	s_waitcnt vmcnt(7) lgkmcnt(0)
	v_mul_f32_e32 v47, v42, v188
	s_waitcnt vmcnt(6)
	v_fmac_f32_e32 v47, v43, v189
	v_add_f32_e32 v55, v46, v47
	ds_read2_b64 v[46:49], v4 offset0:91 offset1:92
	buffer_load_dword v57, off, s[0:3], 0 offset:348
	buffer_load_dword v56, off, s[0:3], 0 offset:344
	;; [unrolled: 1-line block ×4, first 2 shown]
	ds_read2_b64 v[50:53], v4 offset0:93 offset1:94
	buffer_load_dword v65, off, s[0:3], 0 offset:380
	buffer_load_dword v64, off, s[0:3], 0 offset:376
	;; [unrolled: 1-line block ×12, first 2 shown]
	v_mul_f32_e32 v5, v7, v5
	v_fma_f32 v5, v6, v86, -v5
	v_mul_f32_e32 v6, v9, v54
	v_add_f32_e32 v5, 0, v5
	v_fma_f32 v6, v8, v87, -v6
	v_add_f32_e32 v5, v5, v6
	v_mul_f32_e32 v6, v11, v60
	v_fma_f32 v6, v10, v88, -v6
	v_add_f32_e32 v5, v5, v6
	v_mul_f32_e32 v6, v13, v62
	;; [unrolled: 3-line block ×17, first 2 shown]
	v_fma_f32 v6, v42, v189, -v6
	s_waitcnt vmcnt(21)
	v_mul_f32_e32 v61, v44, v190
	v_add_f32_e32 v54, v5, v6
	v_mul_f32_e32 v5, v45, v190
	s_waitcnt vmcnt(20)
	v_fmac_f32_e32 v61, v45, v191
	s_waitcnt vmcnt(19) lgkmcnt(1)
	v_mul_f32_e32 v63, v46, v192
	v_fma_f32 v60, v44, v191, -v5
	v_mul_f32_e32 v5, v47, v192
	s_waitcnt vmcnt(18)
	v_fmac_f32_e32 v63, v47, v193
	v_fma_f32 v62, v46, v193, -v5
	v_pk_add_f32 v[16:17], v[54:55], v[60:61]
	v_pk_add_f32 v[16:17], v[16:17], v[62:63]
	ds_read2_b64 v[6:9], v4 offset0:95 offset1:96
	ds_read2_b64 v[10:13], v4 offset0:97 offset1:98
	ds_read_b64 v[14:15], v4 offset:792
	s_waitcnt vmcnt(13)
	v_mov_b32_e32 v18, v59
	v_pk_mul_f32 v[18:19], v[48:49], v[18:19] op_sel_hi:[1,0]
	s_waitcnt vmcnt(12)
	v_pk_fma_f32 v[20:21], v[48:49], v[58:59], v[18:19] op_sel:[0,0,1] op_sel_hi:[1,1,0] neg_lo:[0,0,1] neg_hi:[0,0,1]
	v_pk_fma_f32 v[18:19], v[48:49], v[58:59], v[18:19] op_sel:[0,0,1] op_sel_hi:[1,0,0]
	v_mov_b32_e32 v18, v57
	v_mov_b32_e32 v21, v19
	s_waitcnt lgkmcnt(3)
	v_pk_mul_f32 v[18:19], v[50:51], v[18:19] op_sel_hi:[1,0]
	v_pk_add_f32 v[16:17], v[16:17], v[20:21]
	v_pk_fma_f32 v[20:21], v[50:51], v[56:57], v[18:19] op_sel:[0,0,1] op_sel_hi:[1,1,0] neg_lo:[0,0,1] neg_hi:[0,0,1]
	v_pk_fma_f32 v[18:19], v[50:51], v[56:57], v[18:19] op_sel:[0,0,1] op_sel_hi:[1,0,0]
	s_waitcnt vmcnt(5)
	v_mov_b32_e32 v18, v71
	v_mov_b32_e32 v21, v19
	v_pk_mul_f32 v[18:19], v[52:53], v[18:19] op_sel_hi:[1,0]
	v_pk_add_f32 v[16:17], v[16:17], v[20:21]
	s_waitcnt vmcnt(4)
	v_pk_fma_f32 v[20:21], v[52:53], v[70:71], v[18:19] op_sel:[0,0,1] op_sel_hi:[1,1,0] neg_lo:[0,0,1] neg_hi:[0,0,1]
	v_pk_fma_f32 v[18:19], v[52:53], v[70:71], v[18:19] op_sel:[0,0,1] op_sel_hi:[1,0,0]
	v_mov_b32_e32 v18, v69
	v_mov_b32_e32 v21, v19
	s_waitcnt lgkmcnt(2)
	v_pk_mul_f32 v[18:19], v[6:7], v[18:19] op_sel_hi:[1,0]
	v_pk_add_f32 v[16:17], v[16:17], v[20:21]
	v_pk_fma_f32 v[20:21], v[6:7], v[68:69], v[18:19] op_sel:[0,0,1] op_sel_hi:[1,1,0] neg_lo:[0,0,1] neg_hi:[0,0,1]
	v_pk_fma_f32 v[6:7], v[6:7], v[68:69], v[18:19] op_sel:[0,0,1] op_sel_hi:[1,0,0]
	v_mov_b32_e32 v21, v7
	v_pk_add_f32 v[6:7], v[16:17], v[20:21]
	v_mov_b32_e32 v16, v67
	v_pk_mul_f32 v[16:17], v[8:9], v[16:17] op_sel_hi:[1,0]
	v_pk_fma_f32 v[18:19], v[8:9], v[66:67], v[16:17] op_sel:[0,0,1] op_sel_hi:[1,1,0] neg_lo:[0,0,1] neg_hi:[0,0,1]
	v_pk_fma_f32 v[8:9], v[8:9], v[66:67], v[16:17] op_sel:[0,0,1] op_sel_hi:[1,0,0]
	v_mov_b32_e32 v8, v65
	v_mov_b32_e32 v19, v9
	s_waitcnt lgkmcnt(1)
	v_pk_mul_f32 v[8:9], v[10:11], v[8:9] op_sel_hi:[1,0]
	v_pk_fma_f32 v[16:17], v[10:11], v[64:65], v[8:9] op_sel:[0,0,1] op_sel_hi:[1,1,0] neg_lo:[0,0,1] neg_hi:[0,0,1]
	v_pk_fma_f32 v[8:9], v[10:11], v[64:65], v[8:9] op_sel:[0,0,1] op_sel_hi:[1,0,0]
	s_waitcnt vmcnt(1)
	v_mov_b32_e32 v8, v75
	v_mov_b32_e32 v17, v9
	v_pk_mul_f32 v[8:9], v[12:13], v[8:9] op_sel_hi:[1,0]
	s_waitcnt vmcnt(0)
	v_pk_fma_f32 v[10:11], v[12:13], v[74:75], v[8:9] op_sel:[0,0,1] op_sel_hi:[1,1,0] neg_lo:[0,0,1] neg_hi:[0,0,1]
	v_pk_fma_f32 v[8:9], v[12:13], v[74:75], v[8:9] op_sel:[0,0,1] op_sel_hi:[1,0,0]
	v_pk_add_f32 v[6:7], v[6:7], v[18:19]
	v_mov_b32_e32 v8, v73
	v_pk_add_f32 v[6:7], v[6:7], v[16:17]
	v_mov_b32_e32 v11, v9
	s_waitcnt lgkmcnt(0)
	v_pk_mul_f32 v[8:9], v[14:15], v[8:9] op_sel_hi:[1,0]
	v_pk_add_f32 v[6:7], v[6:7], v[10:11]
	v_pk_fma_f32 v[10:11], v[14:15], v[72:73], v[8:9] op_sel:[0,0,1] op_sel_hi:[1,1,0] neg_lo:[0,0,1] neg_hi:[0,0,1]
	v_pk_fma_f32 v[8:9], v[14:15], v[72:73], v[8:9] op_sel:[0,0,1] op_sel_hi:[1,0,0]
	v_mov_b32_e32 v11, v9
	v_pk_add_f32 v[6:7], v[6:7], v[10:11]
	v_pk_add_f32 v[2:3], v[2:3], v[6:7] neg_lo:[0,1] neg_hi:[0,1]
	buffer_store_dword v3, off, s[0:3], 0 offset:164
	buffer_store_dword v2, off, s[0:3], 0 offset:160
	s_and_saveexec_b64 s[4:5], vcc
	s_cbranch_execz .LBB49_275
; %bb.274:
	buffer_load_dword v2, off, s[0:3], 0 offset:152
	buffer_load_dword v3, off, s[0:3], 0 offset:156
	s_waitcnt vmcnt(0)
	ds_write_b64 v111, v[2:3]
	buffer_store_dword v4, off, s[0:3], 0 offset:152
	buffer_store_dword v4, off, s[0:3], 0 offset:156
.LBB49_275:
	s_or_b64 exec, exec, s[4:5]
	s_waitcnt lgkmcnt(0)
	; wave barrier
	s_waitcnt lgkmcnt(0)
	buffer_load_dword v5, off, s[0:3], 0 offset:164
	buffer_load_dword v56, off, s[0:3], 0 offset:172
	;; [unrolled: 1-line block ×46, first 2 shown]
	ds_read_b128 v[6:9], v4 offset:560
	ds_read_b128 v[10:13], v4 offset:576
	;; [unrolled: 1-line block ×8, first 2 shown]
	v_cmp_lt_u32_e32 vcc, 18, v0
	s_waitcnt vmcnt(45) lgkmcnt(7)
	v_mul_f32_e32 v38, v6, v5
	s_waitcnt vmcnt(44)
	v_mul_f32_e32 v39, v8, v56
	s_waitcnt vmcnt(43) lgkmcnt(6)
	v_mul_f32_e32 v40, v10, v58
	s_waitcnt vmcnt(42)
	v_mul_f32_e32 v41, v12, v60
	;; [unrolled: 4-line block ×6, first 2 shown]
	s_waitcnt vmcnt(33) lgkmcnt(1)
	v_mul_f32_e32 v50, v30, v84
	s_waitcnt vmcnt(32)
	v_fmac_f32_e32 v38, v7, v85
	s_waitcnt vmcnt(31)
	v_fmac_f32_e32 v39, v9, v86
	v_add_f32_e32 v38, 0, v38
	s_waitcnt vmcnt(30)
	v_fmac_f32_e32 v40, v11, v87
	v_add_f32_e32 v38, v38, v39
	;; [unrolled: 3-line block ×12, first 2 shown]
	s_waitcnt vmcnt(19)
	v_mul_f32_e32 v39, v32, v98
	v_add_f32_e32 v38, v38, v50
	s_waitcnt vmcnt(18)
	v_fmac_f32_e32 v39, v33, v99
	v_add_f32_e32 v38, v38, v39
	s_waitcnt vmcnt(17) lgkmcnt(0)
	v_mul_f32_e32 v39, v34, v100
	s_waitcnt vmcnt(16)
	v_fmac_f32_e32 v39, v35, v101
	v_add_f32_e32 v42, v38, v39
	ds_read_b128 v[38:41], v4 offset:688
	s_waitcnt vmcnt(15)
	v_mul_f32_e32 v43, v36, v102
	s_waitcnt vmcnt(14)
	v_fmac_f32_e32 v43, v37, v103
	v_add_f32_e32 v46, v42, v43
	ds_read_b128 v[42:45], v4 offset:704
	buffer_load_dword v55, off, s[0:3], 0 offset:340
	buffer_load_dword v54, off, s[0:3], 0 offset:336
	s_waitcnt vmcnt(15) lgkmcnt(1)
	v_mul_f32_e32 v47, v38, v184
	s_waitcnt vmcnt(14)
	v_fmac_f32_e32 v47, v39, v185
	v_add_f32_e32 v46, v46, v47
	s_waitcnt vmcnt(13)
	v_mul_f32_e32 v47, v40, v186
	s_waitcnt vmcnt(12)
	v_fmac_f32_e32 v47, v41, v187
	v_add_f32_e32 v46, v46, v47
	s_waitcnt vmcnt(11) lgkmcnt(0)
	v_mul_f32_e32 v47, v42, v188
	s_waitcnt vmcnt(10)
	v_fmac_f32_e32 v47, v43, v189
	s_waitcnt vmcnt(9)
	v_mul_f32_e32 v51, v44, v190
	v_add_f32_e32 v50, v46, v47
	s_waitcnt vmcnt(8)
	v_fmac_f32_e32 v51, v45, v191
	ds_read_b128 v[46:49], v4 offset:720
	v_add_f32_e32 v57, v50, v51
	ds_read_b128 v[50:53], v4 offset:736
	buffer_load_dword v63, off, s[0:3], 0 offset:372
	buffer_load_dword v62, off, s[0:3], 0 offset:368
	;; [unrolled: 1-line block ×14, first 2 shown]
	v_mul_f32_e32 v5, v7, v5
	v_fma_f32 v5, v6, v85, -v5
	v_mul_f32_e32 v6, v9, v56
	v_add_f32_e32 v5, 0, v5
	v_fma_f32 v6, v8, v86, -v6
	v_add_f32_e32 v5, v5, v6
	v_mul_f32_e32 v6, v11, v58
	v_fma_f32 v6, v10, v87, -v6
	v_add_f32_e32 v5, v5, v6
	v_mul_f32_e32 v6, v13, v60
	;; [unrolled: 3-line block ×18, first 2 shown]
	v_fma_f32 v6, v44, v191, -v6
	s_waitcnt vmcnt(21) lgkmcnt(1)
	v_mul_f32_e32 v59, v46, v192
	v_add_f32_e32 v56, v5, v6
	v_mul_f32_e32 v5, v47, v192
	s_waitcnt vmcnt(20)
	v_fmac_f32_e32 v59, v47, v193
	s_waitcnt vmcnt(15)
	v_mov_b32_e32 v18, v55
	s_waitcnt lgkmcnt(0)
	v_pk_mul_f32 v[18:19], v[50:51], v[18:19] op_sel_hi:[1,0]
	v_mul_f32_e32 v61, v48, v194
	v_fma_f32 v58, v46, v193, -v5
	v_mul_f32_e32 v5, v49, v194
	s_waitcnt vmcnt(14)
	v_pk_fma_f32 v[20:21], v[50:51], v[54:55], v[18:19] op_sel:[0,0,1] op_sel_hi:[1,1,0] neg_lo:[0,0,1] neg_hi:[0,0,1]
	v_pk_fma_f32 v[18:19], v[50:51], v[54:55], v[18:19] op_sel:[0,0,1] op_sel_hi:[1,0,0]
	v_fmac_f32_e32 v61, v49, v195
	v_fma_f32 v60, v48, v195, -v5
	ds_read_b128 v[6:9], v4 offset:752
	ds_read_b128 v[10:13], v4 offset:768
	;; [unrolled: 1-line block ×3, first 2 shown]
	v_pk_add_f32 v[4:5], v[56:57], v[58:59]
	s_waitcnt vmcnt(7)
	v_mov_b32_e32 v18, v69
	v_pk_add_f32 v[4:5], v[4:5], v[60:61]
	v_mov_b32_e32 v21, v19
	v_pk_mul_f32 v[18:19], v[52:53], v[18:19] op_sel_hi:[1,0]
	v_pk_add_f32 v[4:5], v[4:5], v[20:21]
	s_waitcnt vmcnt(6)
	v_pk_fma_f32 v[20:21], v[52:53], v[68:69], v[18:19] op_sel:[0,0,1] op_sel_hi:[1,1,0] neg_lo:[0,0,1] neg_hi:[0,0,1]
	v_pk_fma_f32 v[18:19], v[52:53], v[68:69], v[18:19] op_sel:[0,0,1] op_sel_hi:[1,0,0]
	v_mov_b32_e32 v18, v67
	v_mov_b32_e32 v21, v19
	s_waitcnt lgkmcnt(2)
	v_pk_mul_f32 v[18:19], v[6:7], v[18:19] op_sel_hi:[1,0]
	v_pk_add_f32 v[4:5], v[4:5], v[20:21]
	v_pk_fma_f32 v[20:21], v[6:7], v[66:67], v[18:19] op_sel:[0,0,1] op_sel_hi:[1,1,0] neg_lo:[0,0,1] neg_hi:[0,0,1]
	v_pk_fma_f32 v[6:7], v[6:7], v[66:67], v[18:19] op_sel:[0,0,1] op_sel_hi:[1,0,0]
	v_mov_b32_e32 v6, v65
	v_mov_b32_e32 v21, v7
	v_pk_mul_f32 v[6:7], v[8:9], v[6:7] op_sel_hi:[1,0]
	v_pk_fma_f32 v[18:19], v[8:9], v[64:65], v[6:7] op_sel:[0,0,1] op_sel_hi:[1,1,0] neg_lo:[0,0,1] neg_hi:[0,0,1]
	v_pk_fma_f32 v[6:7], v[8:9], v[64:65], v[6:7] op_sel:[0,0,1] op_sel_hi:[1,0,0]
	v_mov_b32_e32 v6, v63
	v_mov_b32_e32 v19, v7
	s_waitcnt lgkmcnt(1)
	v_pk_mul_f32 v[6:7], v[10:11], v[6:7] op_sel_hi:[1,0]
	v_pk_fma_f32 v[8:9], v[10:11], v[62:63], v[6:7] op_sel:[0,0,1] op_sel_hi:[1,1,0] neg_lo:[0,0,1] neg_hi:[0,0,1]
	v_pk_fma_f32 v[6:7], v[10:11], v[62:63], v[6:7] op_sel:[0,0,1] op_sel_hi:[1,0,0]
	v_pk_add_f32 v[4:5], v[4:5], v[20:21]
	s_waitcnt vmcnt(1)
	v_mov_b32_e32 v6, v75
	v_pk_add_f32 v[4:5], v[4:5], v[18:19]
	v_mov_b32_e32 v9, v7
	v_pk_mul_f32 v[6:7], v[12:13], v[6:7] op_sel_hi:[1,0]
	v_pk_add_f32 v[4:5], v[4:5], v[8:9]
	s_waitcnt vmcnt(0)
	v_pk_fma_f32 v[8:9], v[12:13], v[74:75], v[6:7] op_sel:[0,0,1] op_sel_hi:[1,1,0] neg_lo:[0,0,1] neg_hi:[0,0,1]
	v_pk_fma_f32 v[6:7], v[12:13], v[74:75], v[6:7] op_sel:[0,0,1] op_sel_hi:[1,0,0]
	v_mov_b32_e32 v6, v73
	v_mov_b32_e32 v9, v7
	s_waitcnt lgkmcnt(0)
	v_pk_mul_f32 v[6:7], v[14:15], v[6:7] op_sel_hi:[1,0]
	v_pk_add_f32 v[4:5], v[4:5], v[8:9]
	v_pk_fma_f32 v[8:9], v[14:15], v[72:73], v[6:7] op_sel:[0,0,1] op_sel_hi:[1,1,0] neg_lo:[0,0,1] neg_hi:[0,0,1]
	v_pk_fma_f32 v[6:7], v[14:15], v[72:73], v[6:7] op_sel:[0,0,1] op_sel_hi:[1,0,0]
	v_mov_b32_e32 v6, v71
	v_mov_b32_e32 v9, v7
	v_pk_mul_f32 v[6:7], v[16:17], v[6:7] op_sel_hi:[1,0]
	v_pk_add_f32 v[4:5], v[4:5], v[8:9]
	v_pk_fma_f32 v[8:9], v[16:17], v[70:71], v[6:7] op_sel:[0,0,1] op_sel_hi:[1,1,0] neg_lo:[0,0,1] neg_hi:[0,0,1]
	v_pk_fma_f32 v[6:7], v[16:17], v[70:71], v[6:7] op_sel:[0,0,1] op_sel_hi:[1,0,0]
	v_mov_b32_e32 v9, v7
	v_pk_add_f32 v[4:5], v[4:5], v[8:9]
	v_pk_add_f32 v[2:3], v[2:3], v[4:5] neg_lo:[0,1] neg_hi:[0,1]
	buffer_store_dword v3, off, s[0:3], 0 offset:156
	buffer_store_dword v2, off, s[0:3], 0 offset:152
	s_and_saveexec_b64 s[4:5], vcc
	s_cbranch_execz .LBB49_277
; %bb.276:
	buffer_load_dword v2, off, s[0:3], 0 offset:144
	buffer_load_dword v3, off, s[0:3], 0 offset:148
	v_mov_b32_e32 v4, 0
	buffer_store_dword v4, off, s[0:3], 0 offset:144
	buffer_store_dword v4, off, s[0:3], 0 offset:148
	s_waitcnt vmcnt(2)
	ds_write_b64 v111, v[2:3]
.LBB49_277:
	s_or_b64 exec, exec, s[4:5]
	s_waitcnt lgkmcnt(0)
	; wave barrier
	s_waitcnt lgkmcnt(0)
	buffer_load_dword v5, off, s[0:3], 0 offset:156
	buffer_load_dword v54, off, s[0:3], 0 offset:164
	;; [unrolled: 1-line block ×48, first 2 shown]
	v_mov_b32_e32 v4, 0
	ds_read2_b64 v[6:9], v4 offset0:69 offset1:70
	ds_read2_b64 v[10:13], v4 offset0:71 offset1:72
	;; [unrolled: 1-line block ×6, first 2 shown]
	v_cmp_lt_u32_e32 vcc, 17, v0
	s_waitcnt vmcnt(47) lgkmcnt(5)
	v_mul_f32_e32 v30, v6, v5
	s_waitcnt vmcnt(46)
	v_mul_f32_e32 v31, v8, v54
	s_waitcnt vmcnt(45) lgkmcnt(4)
	v_mul_f32_e32 v32, v10, v56
	s_waitcnt vmcnt(44)
	v_mul_f32_e32 v33, v12, v58
	;; [unrolled: 4-line block ×6, first 2 shown]
	s_waitcnt vmcnt(35)
	v_fmac_f32_e32 v30, v7, v84
	s_waitcnt vmcnt(34)
	v_fmac_f32_e32 v31, v9, v85
	v_add_f32_e32 v30, 0, v30
	s_waitcnt vmcnt(33)
	v_fmac_f32_e32 v32, v11, v86
	v_add_f32_e32 v30, v30, v31
	;; [unrolled: 3-line block ×8, first 2 shown]
	v_add_f32_e32 v34, v30, v38
	ds_read2_b64 v[30:33], v4 offset0:81 offset1:82
	s_waitcnt vmcnt(26)
	v_fmac_f32_e32 v39, v25, v93
	s_waitcnt vmcnt(25)
	v_fmac_f32_e32 v40, v27, v94
	v_add_f32_e32 v34, v34, v39
	s_waitcnt vmcnt(24)
	v_fmac_f32_e32 v41, v29, v95
	v_add_f32_e32 v34, v34, v40
	v_add_f32_e32 v38, v34, v41
	ds_read2_b64 v[34:37], v4 offset0:83 offset1:84
	s_waitcnt vmcnt(23) lgkmcnt(1)
	v_mul_f32_e32 v39, v30, v96
	s_waitcnt vmcnt(22)
	v_fmac_f32_e32 v39, v31, v97
	v_add_f32_e32 v38, v38, v39
	s_waitcnt vmcnt(21)
	v_mul_f32_e32 v39, v32, v98
	s_waitcnt vmcnt(20)
	v_fmac_f32_e32 v39, v33, v99
	v_add_f32_e32 v38, v38, v39
	s_waitcnt vmcnt(19) lgkmcnt(0)
	v_mul_f32_e32 v39, v34, v100
	s_waitcnt vmcnt(18)
	v_fmac_f32_e32 v39, v35, v101
	v_add_f32_e32 v42, v38, v39
	ds_read2_b64 v[38:41], v4 offset0:85 offset1:86
	s_waitcnt vmcnt(17)
	v_mul_f32_e32 v43, v36, v102
	s_waitcnt vmcnt(16)
	v_fmac_f32_e32 v43, v37, v103
	v_add_f32_e32 v46, v42, v43
	ds_read2_b64 v[42:45], v4 offset0:87 offset1:88
	s_waitcnt vmcnt(15) lgkmcnt(1)
	v_mul_f32_e32 v47, v38, v184
	s_waitcnt vmcnt(14)
	v_fmac_f32_e32 v47, v39, v185
	v_add_f32_e32 v46, v46, v47
	s_waitcnt vmcnt(13)
	v_mul_f32_e32 v47, v40, v186
	s_waitcnt vmcnt(12)
	v_fmac_f32_e32 v47, v41, v187
	v_add_f32_e32 v46, v46, v47
	s_waitcnt vmcnt(11) lgkmcnt(0)
	v_mul_f32_e32 v47, v42, v188
	s_waitcnt vmcnt(10)
	v_fmac_f32_e32 v47, v43, v189
	s_waitcnt vmcnt(9)
	v_mul_f32_e32 v51, v44, v190
	v_add_f32_e32 v50, v46, v47
	s_waitcnt vmcnt(8)
	v_fmac_f32_e32 v51, v45, v191
	ds_read2_b64 v[46:49], v4 offset0:89 offset1:90
	v_add_f32_e32 v55, v50, v51
	ds_read2_b64 v[50:53], v4 offset0:91 offset1:92
	buffer_load_dword v61, off, s[0:3], 0 offset:364
	buffer_load_dword v60, off, s[0:3], 0 offset:360
	;; [unrolled: 1-line block ×16, first 2 shown]
	v_mul_f32_e32 v5, v7, v5
	v_fma_f32 v5, v6, v84, -v5
	v_mul_f32_e32 v6, v9, v54
	v_add_f32_e32 v5, 0, v5
	v_fma_f32 v6, v8, v85, -v6
	v_add_f32_e32 v5, v5, v6
	v_mul_f32_e32 v6, v11, v56
	v_fma_f32 v6, v10, v86, -v6
	v_add_f32_e32 v5, v5, v6
	v_mul_f32_e32 v6, v13, v58
	;; [unrolled: 3-line block ×18, first 2 shown]
	v_fma_f32 v6, v44, v191, -v6
	s_waitcnt vmcnt(22) lgkmcnt(1)
	v_mul_f32_e32 v57, v46, v193
	v_add_f32_e32 v5, v5, v6
	v_mul_f32_e32 v6, v47, v193
	v_fmac_f32_e32 v57, v47, v192
	v_fma_f32 v6, v46, v192, -v6
	v_add_f32_e32 v55, v55, v57
	s_waitcnt vmcnt(19)
	v_mul_f32_e32 v57, v48, v194
	v_add_f32_e32 v54, v5, v6
	v_mul_f32_e32 v5, v49, v194
	s_waitcnt vmcnt(18)
	v_fmac_f32_e32 v57, v49, v195
	s_waitcnt vmcnt(17) lgkmcnt(0)
	v_mul_f32_e32 v59, v50, v196
	s_waitcnt vmcnt(9)
	v_mov_b32_e32 v22, v67
	v_pk_mul_f32 v[22:23], v[52:53], v[22:23] op_sel_hi:[1,0]
	v_fma_f32 v56, v48, v195, -v5
	v_mul_f32_e32 v5, v51, v196
	ds_read2_b64 v[6:9], v4 offset0:93 offset1:94
	ds_read2_b64 v[10:13], v4 offset0:95 offset1:96
	;; [unrolled: 1-line block ×3, first 2 shown]
	ds_read_b64 v[18:19], v4 offset:792
	s_waitcnt vmcnt(8)
	v_pk_fma_f32 v[24:25], v[52:53], v[66:67], v[22:23] op_sel:[0,0,1] op_sel_hi:[1,1,0] neg_lo:[0,0,1] neg_hi:[0,0,1]
	v_pk_fma_f32 v[22:23], v[52:53], v[66:67], v[22:23] op_sel:[0,0,1] op_sel_hi:[1,0,0]
	v_fmac_f32_e32 v59, v51, v197
	v_fma_f32 v58, v50, v197, -v5
	v_pk_add_f32 v[20:21], v[54:55], v[56:57]
	v_mov_b32_e32 v22, v65
	v_pk_add_f32 v[20:21], v[20:21], v[58:59]
	v_mov_b32_e32 v25, v23
	s_waitcnt lgkmcnt(3)
	v_pk_mul_f32 v[22:23], v[6:7], v[22:23] op_sel_hi:[1,0]
	v_pk_add_f32 v[20:21], v[20:21], v[24:25]
	v_pk_fma_f32 v[24:25], v[6:7], v[64:65], v[22:23] op_sel:[0,0,1] op_sel_hi:[1,1,0] neg_lo:[0,0,1] neg_hi:[0,0,1]
	v_pk_fma_f32 v[6:7], v[6:7], v[64:65], v[22:23] op_sel:[0,0,1] op_sel_hi:[1,0,0]
	v_mov_b32_e32 v25, v7
	v_pk_add_f32 v[6:7], v[20:21], v[24:25]
	v_mov_b32_e32 v20, v63
	v_pk_mul_f32 v[20:21], v[8:9], v[20:21] op_sel_hi:[1,0]
	v_pk_fma_f32 v[22:23], v[8:9], v[62:63], v[20:21] op_sel:[0,0,1] op_sel_hi:[1,1,0] neg_lo:[0,0,1] neg_hi:[0,0,1]
	v_pk_fma_f32 v[8:9], v[8:9], v[62:63], v[20:21] op_sel:[0,0,1] op_sel_hi:[1,0,0]
	v_mov_b32_e32 v8, v61
	v_mov_b32_e32 v23, v9
	s_waitcnt lgkmcnt(2)
	v_pk_mul_f32 v[8:9], v[10:11], v[8:9] op_sel_hi:[1,0]
	v_pk_fma_f32 v[20:21], v[10:11], v[60:61], v[8:9] op_sel:[0,0,1] op_sel_hi:[1,1,0] neg_lo:[0,0,1] neg_hi:[0,0,1]
	v_pk_fma_f32 v[8:9], v[10:11], v[60:61], v[8:9] op_sel:[0,0,1] op_sel_hi:[1,0,0]
	s_waitcnt vmcnt(1)
	v_mov_b32_e32 v8, v75
	v_mov_b32_e32 v21, v9
	v_pk_mul_f32 v[8:9], v[12:13], v[8:9] op_sel_hi:[1,0]
	s_waitcnt vmcnt(0)
	v_pk_fma_f32 v[10:11], v[12:13], v[74:75], v[8:9] op_sel:[0,0,1] op_sel_hi:[1,1,0] neg_lo:[0,0,1] neg_hi:[0,0,1]
	v_pk_fma_f32 v[8:9], v[12:13], v[74:75], v[8:9] op_sel:[0,0,1] op_sel_hi:[1,0,0]
	v_pk_add_f32 v[6:7], v[6:7], v[22:23]
	v_mov_b32_e32 v8, v73
	v_pk_add_f32 v[6:7], v[6:7], v[20:21]
	v_mov_b32_e32 v11, v9
	s_waitcnt lgkmcnt(1)
	v_pk_mul_f32 v[8:9], v[14:15], v[8:9] op_sel_hi:[1,0]
	v_pk_add_f32 v[6:7], v[6:7], v[10:11]
	v_pk_fma_f32 v[10:11], v[14:15], v[72:73], v[8:9] op_sel:[0,0,1] op_sel_hi:[1,1,0] neg_lo:[0,0,1] neg_hi:[0,0,1]
	v_pk_fma_f32 v[8:9], v[14:15], v[72:73], v[8:9] op_sel:[0,0,1] op_sel_hi:[1,0,0]
	v_mov_b32_e32 v8, v71
	v_mov_b32_e32 v11, v9
	v_pk_mul_f32 v[8:9], v[16:17], v[8:9] op_sel_hi:[1,0]
	v_pk_add_f32 v[6:7], v[6:7], v[10:11]
	v_pk_fma_f32 v[10:11], v[16:17], v[70:71], v[8:9] op_sel:[0,0,1] op_sel_hi:[1,1,0] neg_lo:[0,0,1] neg_hi:[0,0,1]
	v_pk_fma_f32 v[8:9], v[16:17], v[70:71], v[8:9] op_sel:[0,0,1] op_sel_hi:[1,0,0]
	v_mov_b32_e32 v8, v69
	v_mov_b32_e32 v11, v9
	s_waitcnt lgkmcnt(0)
	v_pk_mul_f32 v[8:9], v[18:19], v[8:9] op_sel_hi:[1,0]
	v_pk_add_f32 v[6:7], v[6:7], v[10:11]
	v_pk_fma_f32 v[10:11], v[18:19], v[68:69], v[8:9] op_sel:[0,0,1] op_sel_hi:[1,1,0] neg_lo:[0,0,1] neg_hi:[0,0,1]
	v_pk_fma_f32 v[8:9], v[18:19], v[68:69], v[8:9] op_sel:[0,0,1] op_sel_hi:[1,0,0]
	v_mov_b32_e32 v11, v9
	v_pk_add_f32 v[6:7], v[6:7], v[10:11]
	v_pk_add_f32 v[2:3], v[2:3], v[6:7] neg_lo:[0,1] neg_hi:[0,1]
	buffer_store_dword v3, off, s[0:3], 0 offset:148
	buffer_store_dword v2, off, s[0:3], 0 offset:144
	s_and_saveexec_b64 s[4:5], vcc
	s_cbranch_execz .LBB49_279
; %bb.278:
	buffer_load_dword v2, off, s[0:3], 0 offset:136
	buffer_load_dword v3, off, s[0:3], 0 offset:140
	s_waitcnt vmcnt(0)
	ds_write_b64 v111, v[2:3]
	buffer_store_dword v4, off, s[0:3], 0 offset:136
	buffer_store_dword v4, off, s[0:3], 0 offset:140
.LBB49_279:
	s_or_b64 exec, exec, s[4:5]
	s_waitcnt lgkmcnt(0)
	; wave barrier
	s_waitcnt lgkmcnt(0)
	buffer_load_dword v5, off, s[0:3], 0 offset:148
	buffer_load_dword v54, off, s[0:3], 0 offset:156
	;; [unrolled: 1-line block ×48, first 2 shown]
	ds_read_b128 v[6:9], v4 offset:544
	ds_read_b128 v[10:13], v4 offset:560
	;; [unrolled: 1-line block ×6, first 2 shown]
	buffer_load_dword v198, off, s[0:3], 0 offset:328
	buffer_load_dword v199, off, s[0:3], 0 offset:332
	v_cmp_lt_u32_e32 vcc, 16, v0
	s_waitcnt vmcnt(49) lgkmcnt(5)
	v_mul_f32_e32 v30, v6, v5
	s_waitcnt vmcnt(48)
	v_mul_f32_e32 v31, v8, v54
	s_waitcnt vmcnt(47) lgkmcnt(4)
	v_mul_f32_e32 v32, v10, v56
	s_waitcnt vmcnt(46)
	v_mul_f32_e32 v33, v12, v64
	;; [unrolled: 4-line block ×6, first 2 shown]
	s_waitcnt vmcnt(37)
	v_fmac_f32_e32 v30, v7, v84
	s_waitcnt vmcnt(36)
	v_fmac_f32_e32 v31, v9, v85
	v_add_f32_e32 v30, 0, v30
	s_waitcnt vmcnt(35)
	v_fmac_f32_e32 v32, v11, v86
	v_add_f32_e32 v30, v30, v31
	s_waitcnt vmcnt(34)
	v_fmac_f32_e32 v33, v13, v87
	v_add_f32_e32 v30, v30, v32
	s_waitcnt vmcnt(33)
	v_fmac_f32_e32 v34, v15, v88
	v_add_f32_e32 v30, v30, v33
	s_waitcnt vmcnt(32)
	v_fmac_f32_e32 v35, v17, v89
	v_add_f32_e32 v30, v30, v34
	s_waitcnt vmcnt(31)
	v_fmac_f32_e32 v36, v19, v90
	v_add_f32_e32 v30, v30, v35
	s_waitcnt vmcnt(30)
	v_fmac_f32_e32 v37, v21, v91
	v_add_f32_e32 v30, v30, v36
	s_waitcnt vmcnt(29)
	v_fmac_f32_e32 v38, v23, v92
	v_add_f32_e32 v30, v30, v37
	s_waitcnt vmcnt(28)
	v_fmac_f32_e32 v39, v25, v93
	v_add_f32_e32 v30, v30, v38
	v_add_f32_e32 v34, v30, v39
	ds_read_b128 v[30:33], v4 offset:640
	s_waitcnt vmcnt(27)
	v_fmac_f32_e32 v40, v27, v94
	v_add_f32_e32 v34, v34, v40
	s_waitcnt vmcnt(26)
	v_fmac_f32_e32 v41, v29, v95
	v_add_f32_e32 v38, v34, v41
	ds_read_b128 v[34:37], v4 offset:656
	s_waitcnt vmcnt(25) lgkmcnt(1)
	v_mul_f32_e32 v39, v30, v96
	s_waitcnt vmcnt(24)
	v_fmac_f32_e32 v39, v31, v97
	v_add_f32_e32 v38, v38, v39
	s_waitcnt vmcnt(23)
	v_mul_f32_e32 v39, v32, v98
	s_waitcnt vmcnt(22)
	v_fmac_f32_e32 v39, v33, v99
	v_add_f32_e32 v38, v38, v39
	s_waitcnt vmcnt(21) lgkmcnt(0)
	v_mul_f32_e32 v39, v34, v100
	s_waitcnt vmcnt(20)
	v_fmac_f32_e32 v39, v35, v101
	v_add_f32_e32 v42, v38, v39
	ds_read_b128 v[38:41], v4 offset:672
	s_waitcnt vmcnt(19)
	v_mul_f32_e32 v43, v36, v102
	s_waitcnt vmcnt(18)
	v_fmac_f32_e32 v43, v37, v103
	v_add_f32_e32 v46, v42, v43
	ds_read_b128 v[42:45], v4 offset:688
	s_waitcnt vmcnt(17) lgkmcnt(1)
	v_mul_f32_e32 v47, v38, v184
	s_waitcnt vmcnt(16)
	v_fmac_f32_e32 v47, v39, v185
	v_add_f32_e32 v46, v46, v47
	s_waitcnt vmcnt(15)
	v_mul_f32_e32 v47, v40, v186
	s_waitcnt vmcnt(14)
	v_fmac_f32_e32 v47, v41, v187
	v_add_f32_e32 v46, v46, v47
	s_waitcnt vmcnt(13) lgkmcnt(0)
	v_mul_f32_e32 v47, v42, v188
	s_waitcnt vmcnt(12)
	v_fmac_f32_e32 v47, v43, v189
	s_waitcnt vmcnt(11)
	v_mul_f32_e32 v51, v44, v190
	v_add_f32_e32 v50, v46, v47
	s_waitcnt vmcnt(10)
	v_fmac_f32_e32 v51, v45, v191
	ds_read_b128 v[46:49], v4 offset:704
	v_add_f32_e32 v55, v50, v51
	ds_read_b128 v[50:53], v4 offset:720
	buffer_load_dword v59, off, s[0:3], 0 offset:356
	buffer_load_dword v58, off, s[0:3], 0 offset:352
	;; [unrolled: 1-line block ×16, first 2 shown]
	v_mul_f32_e32 v5, v7, v5
	v_fma_f32 v5, v6, v84, -v5
	v_mul_f32_e32 v6, v9, v54
	v_add_f32_e32 v5, 0, v5
	v_fma_f32 v6, v8, v85, -v6
	v_add_f32_e32 v5, v5, v6
	v_mul_f32_e32 v6, v11, v56
	v_fma_f32 v6, v10, v86, -v6
	v_add_f32_e32 v5, v5, v6
	v_mul_f32_e32 v6, v13, v64
	;; [unrolled: 3-line block ×18, first 2 shown]
	v_fma_f32 v6, v44, v191, -v6
	v_add_f32_e32 v5, v5, v6
	s_waitcnt vmcnt(23) lgkmcnt(1)
	v_mul_f32_e32 v6, v47, v192
	s_waitcnt vmcnt(22)
	v_fma_f32 v6, v46, v193, -v6
	v_add_f32_e32 v5, v5, v6
	s_waitcnt vmcnt(20)
	v_mul_f32_e32 v6, v49, v195
	v_fma_f32 v6, v48, v194, -v6
	v_add_f32_e32 v54, v5, v6
	ds_read_b128 v[6:9], v4 offset:736
	ds_read_b128 v[10:13], v4 offset:752
	;; [unrolled: 1-line block ×4, first 2 shown]
	v_mul_f32_e32 v57, v46, v192
	v_fmac_f32_e32 v57, v47, v193
	v_add_f32_e32 v55, v55, v57
	v_mul_f32_e32 v57, v48, v195
	v_fmac_f32_e32 v57, v49, v194
	v_add_f32_e32 v55, v55, v57
	s_waitcnt vmcnt(18) lgkmcnt(4)
	v_mul_f32_e32 v57, v50, v197
	v_mul_f32_e32 v5, v51, v197
	v_fmac_f32_e32 v57, v51, v196
	s_waitcnt vmcnt(16)
	v_mul_f32_e32 v65, v52, v199
	s_waitcnt vmcnt(11)
	v_mov_b32_e32 v22, v63
	s_waitcnt lgkmcnt(3)
	v_pk_mul_f32 v[22:23], v[6:7], v[22:23] op_sel_hi:[1,0]
	s_waitcnt vmcnt(10)
	v_pk_fma_f32 v[24:25], v[6:7], v[62:63], v[22:23] op_sel:[0,0,1] op_sel_hi:[1,1,0] neg_lo:[0,0,1] neg_hi:[0,0,1]
	v_pk_fma_f32 v[6:7], v[6:7], v[62:63], v[22:23] op_sel:[0,0,1] op_sel_hi:[1,0,0]
	v_mov_b32_e32 v6, v61
	v_mov_b32_e32 v25, v7
	v_pk_mul_f32 v[6:7], v[8:9], v[6:7] op_sel_hi:[1,0]
	v_pk_fma_f32 v[22:23], v[8:9], v[60:61], v[6:7] op_sel:[0,0,1] op_sel_hi:[1,1,0] neg_lo:[0,0,1] neg_hi:[0,0,1]
	v_pk_fma_f32 v[6:7], v[8:9], v[60:61], v[6:7] op_sel:[0,0,1] op_sel_hi:[1,0,0]
	v_fma_f32 v56, v50, v196, -v5
	v_mul_f32_e32 v5, v53, v199
	v_mov_b32_e32 v6, v59
	v_fmac_f32_e32 v65, v53, v198
	v_fma_f32 v64, v52, v198, -v5
	v_pk_add_f32 v[4:5], v[54:55], v[56:57]
	v_mov_b32_e32 v23, v7
	s_waitcnt lgkmcnt(2)
	v_pk_mul_f32 v[6:7], v[10:11], v[6:7] op_sel_hi:[1,0]
	v_pk_add_f32 v[4:5], v[4:5], v[64:65]
	v_pk_fma_f32 v[8:9], v[10:11], v[58:59], v[6:7] op_sel:[0,0,1] op_sel_hi:[1,1,0] neg_lo:[0,0,1] neg_hi:[0,0,1]
	v_pk_fma_f32 v[6:7], v[10:11], v[58:59], v[6:7] op_sel:[0,0,1] op_sel_hi:[1,0,0]
	v_pk_add_f32 v[4:5], v[4:5], v[24:25]
	s_waitcnt vmcnt(3)
	v_mov_b32_e32 v6, v73
	v_pk_add_f32 v[4:5], v[4:5], v[22:23]
	v_mov_b32_e32 v9, v7
	v_pk_mul_f32 v[6:7], v[12:13], v[6:7] op_sel_hi:[1,0]
	v_pk_add_f32 v[4:5], v[4:5], v[8:9]
	s_waitcnt vmcnt(2)
	v_pk_fma_f32 v[8:9], v[12:13], v[72:73], v[6:7] op_sel:[0,0,1] op_sel_hi:[1,1,0] neg_lo:[0,0,1] neg_hi:[0,0,1]
	v_pk_fma_f32 v[6:7], v[12:13], v[72:73], v[6:7] op_sel:[0,0,1] op_sel_hi:[1,0,0]
	v_mov_b32_e32 v6, v71
	v_mov_b32_e32 v9, v7
	s_waitcnt lgkmcnt(1)
	v_pk_mul_f32 v[6:7], v[14:15], v[6:7] op_sel_hi:[1,0]
	v_pk_add_f32 v[4:5], v[4:5], v[8:9]
	v_pk_fma_f32 v[8:9], v[14:15], v[70:71], v[6:7] op_sel:[0,0,1] op_sel_hi:[1,1,0] neg_lo:[0,0,1] neg_hi:[0,0,1]
	v_pk_fma_f32 v[6:7], v[14:15], v[70:71], v[6:7] op_sel:[0,0,1] op_sel_hi:[1,0,0]
	v_mov_b32_e32 v6, v69
	v_mov_b32_e32 v9, v7
	v_pk_mul_f32 v[6:7], v[16:17], v[6:7] op_sel_hi:[1,0]
	v_pk_add_f32 v[4:5], v[4:5], v[8:9]
	v_pk_fma_f32 v[8:9], v[16:17], v[68:69], v[6:7] op_sel:[0,0,1] op_sel_hi:[1,1,0] neg_lo:[0,0,1] neg_hi:[0,0,1]
	v_pk_fma_f32 v[6:7], v[16:17], v[68:69], v[6:7] op_sel:[0,0,1] op_sel_hi:[1,0,0]
	v_mov_b32_e32 v6, v67
	v_mov_b32_e32 v9, v7
	s_waitcnt lgkmcnt(0)
	v_pk_mul_f32 v[6:7], v[18:19], v[6:7] op_sel_hi:[1,0]
	v_pk_add_f32 v[4:5], v[4:5], v[8:9]
	v_pk_fma_f32 v[8:9], v[18:19], v[66:67], v[6:7] op_sel:[0,0,1] op_sel_hi:[1,1,0] neg_lo:[0,0,1] neg_hi:[0,0,1]
	v_pk_fma_f32 v[6:7], v[18:19], v[66:67], v[6:7] op_sel:[0,0,1] op_sel_hi:[1,0,0]
	s_waitcnt vmcnt(1)
	v_mov_b32_e32 v6, v75
	v_mov_b32_e32 v9, v7
	v_pk_mul_f32 v[6:7], v[20:21], v[6:7] op_sel_hi:[1,0]
	v_pk_add_f32 v[4:5], v[4:5], v[8:9]
	s_waitcnt vmcnt(0)
	v_pk_fma_f32 v[8:9], v[20:21], v[74:75], v[6:7] op_sel:[0,0,1] op_sel_hi:[1,1,0] neg_lo:[0,0,1] neg_hi:[0,0,1]
	v_pk_fma_f32 v[6:7], v[20:21], v[74:75], v[6:7] op_sel:[0,0,1] op_sel_hi:[1,0,0]
	v_mov_b32_e32 v9, v7
	v_pk_add_f32 v[4:5], v[4:5], v[8:9]
	v_pk_add_f32 v[2:3], v[2:3], v[4:5] neg_lo:[0,1] neg_hi:[0,1]
	buffer_store_dword v3, off, s[0:3], 0 offset:140
	buffer_store_dword v2, off, s[0:3], 0 offset:136
	s_and_saveexec_b64 s[4:5], vcc
	s_cbranch_execz .LBB49_281
; %bb.280:
	buffer_load_dword v2, off, s[0:3], 0 offset:128
	buffer_load_dword v3, off, s[0:3], 0 offset:132
	v_mov_b32_e32 v4, 0
	buffer_store_dword v4, off, s[0:3], 0 offset:128
	buffer_store_dword v4, off, s[0:3], 0 offset:132
	s_waitcnt vmcnt(2)
	ds_write_b64 v111, v[2:3]
.LBB49_281:
	s_or_b64 exec, exec, s[4:5]
	s_waitcnt lgkmcnt(0)
	; wave barrier
	s_waitcnt lgkmcnt(0)
	buffer_load_dword v5, off, s[0:3], 0 offset:140
	buffer_load_dword v62, off, s[0:3], 0 offset:148
	;; [unrolled: 1-line block ×52, first 2 shown]
	v_mov_b32_e32 v4, 0
	ds_read2_b64 v[6:9], v4 offset0:67 offset1:68
	ds_read2_b64 v[10:13], v4 offset0:69 offset1:70
	;; [unrolled: 1-line block ×6, first 2 shown]
	v_cmp_lt_u32_e32 vcc, 15, v0
	s_waitcnt vmcnt(51) lgkmcnt(5)
	v_mul_f32_e32 v30, v6, v5
	s_waitcnt vmcnt(50)
	v_mul_f32_e32 v31, v8, v62
	s_waitcnt vmcnt(49) lgkmcnt(4)
	v_mul_f32_e32 v32, v10, v68
	s_waitcnt vmcnt(48)
	v_mul_f32_e32 v33, v12, v70
	;; [unrolled: 4-line block ×5, first 2 shown]
	s_waitcnt vmcnt(41) lgkmcnt(0)
	v_mul_f32_e32 v40, v26, v90
	s_waitcnt vmcnt(40)
	v_fmac_f32_e32 v30, v7, v91
	s_waitcnt vmcnt(39)
	v_fmac_f32_e32 v31, v9, v92
	v_add_f32_e32 v30, 0, v30
	s_waitcnt vmcnt(38)
	v_fmac_f32_e32 v32, v11, v93
	v_add_f32_e32 v30, v30, v31
	s_waitcnt vmcnt(37)
	v_fmac_f32_e32 v33, v13, v94
	v_add_f32_e32 v30, v30, v32
	s_waitcnt vmcnt(36)
	v_fmac_f32_e32 v34, v15, v95
	v_add_f32_e32 v30, v30, v33
	s_waitcnt vmcnt(35)
	v_fmac_f32_e32 v35, v17, v96
	v_add_f32_e32 v30, v30, v34
	s_waitcnt vmcnt(34)
	v_fmac_f32_e32 v36, v19, v97
	v_add_f32_e32 v30, v30, v35
	s_waitcnt vmcnt(33)
	v_fmac_f32_e32 v37, v21, v98
	v_add_f32_e32 v30, v30, v36
	s_waitcnt vmcnt(32)
	v_fmac_f32_e32 v38, v23, v99
	v_add_f32_e32 v30, v30, v37
	s_waitcnt vmcnt(31)
	v_fmac_f32_e32 v39, v25, v100
	v_add_f32_e32 v30, v30, v38
	v_add_f32_e32 v30, v30, v39
	s_waitcnt vmcnt(30)
	v_fmac_f32_e32 v40, v27, v101
	v_add_f32_e32 v34, v30, v40
	ds_read2_b64 v[30:33], v4 offset0:79 offset1:80
	s_waitcnt vmcnt(29)
	v_mul_f32_e32 v35, v28, v102
	s_waitcnt vmcnt(28)
	v_fmac_f32_e32 v35, v29, v103
	v_add_f32_e32 v38, v34, v35
	ds_read2_b64 v[34:37], v4 offset0:81 offset1:82
	s_waitcnt vmcnt(27) lgkmcnt(1)
	v_mul_f32_e32 v39, v30, v184
	s_waitcnt vmcnt(26)
	v_fmac_f32_e32 v39, v31, v185
	v_add_f32_e32 v38, v38, v39
	s_waitcnt vmcnt(25)
	v_mul_f32_e32 v39, v32, v186
	s_waitcnt vmcnt(24)
	v_fmac_f32_e32 v39, v33, v187
	v_add_f32_e32 v38, v38, v39
	s_waitcnt vmcnt(23) lgkmcnt(0)
	v_mul_f32_e32 v39, v34, v188
	s_waitcnt vmcnt(22)
	v_fmac_f32_e32 v39, v35, v189
	v_add_f32_e32 v42, v38, v39
	ds_read2_b64 v[38:41], v4 offset0:83 offset1:84
	s_waitcnt vmcnt(21)
	v_mul_f32_e32 v43, v36, v190
	s_waitcnt vmcnt(20)
	v_fmac_f32_e32 v43, v37, v191
	v_add_f32_e32 v46, v42, v43
	ds_read2_b64 v[42:45], v4 offset0:85 offset1:86
	s_waitcnt vmcnt(19) lgkmcnt(1)
	v_mul_f32_e32 v47, v38, v192
	s_waitcnt vmcnt(18)
	v_fmac_f32_e32 v47, v39, v193
	v_add_f32_e32 v46, v46, v47
	s_waitcnt vmcnt(17)
	v_mul_f32_e32 v47, v40, v194
	s_waitcnt vmcnt(16)
	v_fmac_f32_e32 v47, v41, v195
	v_add_f32_e32 v46, v46, v47
	s_waitcnt vmcnt(14) lgkmcnt(0)
	v_mul_f32_e32 v47, v42, v197
	v_fmac_f32_e32 v47, v43, v196
	v_add_f32_e32 v50, v46, v47
	ds_read2_b64 v[46:49], v4 offset0:87 offset1:88
	s_waitcnt vmcnt(10)
	v_mul_f32_e32 v51, v44, v199
	v_fmac_f32_e32 v51, v45, v198
	v_add_f32_e32 v54, v50, v51
	ds_read2_b64 v[50:53], v4 offset0:89 offset1:90
	s_waitcnt vmcnt(8) lgkmcnt(1)
	v_mul_f32_e32 v55, v46, v201
	v_fmac_f32_e32 v55, v47, v200
	v_add_f32_e32 v54, v54, v55
	s_waitcnt vmcnt(6)
	v_mul_f32_e32 v55, v48, v203
	v_fmac_f32_e32 v55, v49, v202
	v_add_f32_e32 v54, v54, v55
	s_waitcnt vmcnt(4) lgkmcnt(0)
	v_mul_f32_e32 v55, v50, v205
	v_fmac_f32_e32 v55, v51, v204
	v_add_f32_e32 v63, v54, v55
	ds_read2_b64 v[54:57], v4 offset0:91 offset1:92
	buffer_load_dword v65, off, s[0:3], 0 offset:348
	buffer_load_dword v64, off, s[0:3], 0 offset:344
	;; [unrolled: 1-line block ×4, first 2 shown]
	ds_read2_b64 v[58:61], v4 offset0:93 offset1:94
	buffer_load_dword v73, off, s[0:3], 0 offset:380
	buffer_load_dword v72, off, s[0:3], 0 offset:376
	;; [unrolled: 1-line block ×12, first 2 shown]
	v_mul_f32_e32 v5, v7, v5
	v_fma_f32 v5, v6, v91, -v5
	v_mul_f32_e32 v6, v9, v62
	v_add_f32_e32 v5, 0, v5
	v_fma_f32 v6, v8, v92, -v6
	v_add_f32_e32 v5, v5, v6
	v_mul_f32_e32 v6, v11, v68
	v_fma_f32 v6, v10, v93, -v6
	v_add_f32_e32 v5, v5, v6
	v_mul_f32_e32 v6, v13, v70
	;; [unrolled: 3-line block ×21, first 2 shown]
	v_fma_f32 v6, v50, v204, -v6
	s_waitcnt vmcnt(18)
	v_mul_f32_e32 v69, v52, v207
	v_add_f32_e32 v62, v5, v6
	v_mul_f32_e32 v5, v53, v207
	v_fmac_f32_e32 v69, v53, v206
	s_waitcnt vmcnt(16) lgkmcnt(1)
	v_mul_f32_e32 v71, v54, v209
	v_fma_f32 v68, v52, v206, -v5
	v_mul_f32_e32 v5, v55, v209
	v_fmac_f32_e32 v71, v55, v208
	s_waitcnt vmcnt(13)
	v_mov_b32_e32 v18, v67
	v_pk_mul_f32 v[18:19], v[56:57], v[18:19] op_sel_hi:[1,0]
	s_waitcnt vmcnt(12)
	v_pk_fma_f32 v[20:21], v[56:57], v[66:67], v[18:19] op_sel:[0,0,1] op_sel_hi:[1,1,0] neg_lo:[0,0,1] neg_hi:[0,0,1]
	v_pk_fma_f32 v[18:19], v[56:57], v[66:67], v[18:19] op_sel:[0,0,1] op_sel_hi:[1,0,0]
	v_fma_f32 v70, v54, v208, -v5
	v_pk_add_f32 v[16:17], v[62:63], v[68:69]
	v_mov_b32_e32 v18, v65
	v_pk_add_f32 v[16:17], v[16:17], v[70:71]
	v_mov_b32_e32 v21, v19
	s_waitcnt lgkmcnt(0)
	v_pk_mul_f32 v[18:19], v[58:59], v[18:19] op_sel_hi:[1,0]
	v_pk_add_f32 v[16:17], v[16:17], v[20:21]
	v_pk_fma_f32 v[20:21], v[58:59], v[64:65], v[18:19] op_sel:[0,0,1] op_sel_hi:[1,1,0] neg_lo:[0,0,1] neg_hi:[0,0,1]
	v_pk_fma_f32 v[18:19], v[58:59], v[64:65], v[18:19] op_sel:[0,0,1] op_sel_hi:[1,0,0]
	s_waitcnt vmcnt(5)
	v_mov_b32_e32 v18, v79
	ds_read2_b64 v[6:9], v4 offset0:95 offset1:96
	ds_read2_b64 v[10:13], v4 offset0:97 offset1:98
	ds_read_b64 v[14:15], v4 offset:792
	v_mov_b32_e32 v21, v19
	v_pk_mul_f32 v[18:19], v[60:61], v[18:19] op_sel_hi:[1,0]
	v_pk_add_f32 v[16:17], v[16:17], v[20:21]
	s_waitcnt vmcnt(4)
	v_pk_fma_f32 v[20:21], v[60:61], v[78:79], v[18:19] op_sel:[0,0,1] op_sel_hi:[1,1,0] neg_lo:[0,0,1] neg_hi:[0,0,1]
	v_pk_fma_f32 v[18:19], v[60:61], v[78:79], v[18:19] op_sel:[0,0,1] op_sel_hi:[1,0,0]
	v_mov_b32_e32 v18, v77
	v_mov_b32_e32 v21, v19
	s_waitcnt lgkmcnt(2)
	v_pk_mul_f32 v[18:19], v[6:7], v[18:19] op_sel_hi:[1,0]
	v_pk_add_f32 v[16:17], v[16:17], v[20:21]
	v_pk_fma_f32 v[20:21], v[6:7], v[76:77], v[18:19] op_sel:[0,0,1] op_sel_hi:[1,1,0] neg_lo:[0,0,1] neg_hi:[0,0,1]
	v_pk_fma_f32 v[6:7], v[6:7], v[76:77], v[18:19] op_sel:[0,0,1] op_sel_hi:[1,0,0]
	v_mov_b32_e32 v21, v7
	v_pk_add_f32 v[6:7], v[16:17], v[20:21]
	v_mov_b32_e32 v16, v75
	v_pk_mul_f32 v[16:17], v[8:9], v[16:17] op_sel_hi:[1,0]
	v_pk_fma_f32 v[18:19], v[8:9], v[74:75], v[16:17] op_sel:[0,0,1] op_sel_hi:[1,1,0] neg_lo:[0,0,1] neg_hi:[0,0,1]
	v_pk_fma_f32 v[8:9], v[8:9], v[74:75], v[16:17] op_sel:[0,0,1] op_sel_hi:[1,0,0]
	v_mov_b32_e32 v8, v73
	v_mov_b32_e32 v19, v9
	s_waitcnt lgkmcnt(1)
	v_pk_mul_f32 v[8:9], v[10:11], v[8:9] op_sel_hi:[1,0]
	v_pk_fma_f32 v[16:17], v[10:11], v[72:73], v[8:9] op_sel:[0,0,1] op_sel_hi:[1,1,0] neg_lo:[0,0,1] neg_hi:[0,0,1]
	v_pk_fma_f32 v[8:9], v[10:11], v[72:73], v[8:9] op_sel:[0,0,1] op_sel_hi:[1,0,0]
	s_waitcnt vmcnt(1)
	v_mov_b32_e32 v8, v83
	v_mov_b32_e32 v17, v9
	v_pk_mul_f32 v[8:9], v[12:13], v[8:9] op_sel_hi:[1,0]
	s_waitcnt vmcnt(0)
	v_pk_fma_f32 v[10:11], v[12:13], v[82:83], v[8:9] op_sel:[0,0,1] op_sel_hi:[1,1,0] neg_lo:[0,0,1] neg_hi:[0,0,1]
	v_pk_fma_f32 v[8:9], v[12:13], v[82:83], v[8:9] op_sel:[0,0,1] op_sel_hi:[1,0,0]
	v_pk_add_f32 v[6:7], v[6:7], v[18:19]
	v_mov_b32_e32 v8, v81
	v_pk_add_f32 v[6:7], v[6:7], v[16:17]
	v_mov_b32_e32 v11, v9
	s_waitcnt lgkmcnt(0)
	v_pk_mul_f32 v[8:9], v[14:15], v[8:9] op_sel_hi:[1,0]
	v_pk_add_f32 v[6:7], v[6:7], v[10:11]
	v_pk_fma_f32 v[10:11], v[14:15], v[80:81], v[8:9] op_sel:[0,0,1] op_sel_hi:[1,1,0] neg_lo:[0,0,1] neg_hi:[0,0,1]
	v_pk_fma_f32 v[8:9], v[14:15], v[80:81], v[8:9] op_sel:[0,0,1] op_sel_hi:[1,0,0]
	v_mov_b32_e32 v11, v9
	v_pk_add_f32 v[6:7], v[6:7], v[10:11]
	v_pk_add_f32 v[2:3], v[2:3], v[6:7] neg_lo:[0,1] neg_hi:[0,1]
	buffer_store_dword v3, off, s[0:3], 0 offset:132
	buffer_store_dword v2, off, s[0:3], 0 offset:128
	s_and_saveexec_b64 s[4:5], vcc
	s_cbranch_execz .LBB49_283
; %bb.282:
	buffer_load_dword v2, off, s[0:3], 0 offset:120
	buffer_load_dword v3, off, s[0:3], 0 offset:124
	s_waitcnt vmcnt(0)
	ds_write_b64 v111, v[2:3]
	buffer_store_dword v4, off, s[0:3], 0 offset:120
	buffer_store_dword v4, off, s[0:3], 0 offset:124
.LBB49_283:
	s_or_b64 exec, exec, s[4:5]
	s_waitcnt lgkmcnt(0)
	; wave barrier
	s_waitcnt lgkmcnt(0)
	buffer_load_dword v5, off, s[0:3], 0 offset:132
	buffer_load_dword v64, off, s[0:3], 0 offset:140
	;; [unrolled: 1-line block ×42, first 2 shown]
	ds_read_b128 v[6:9], v4 offset:528
	ds_read_b128 v[10:13], v4 offset:544
	buffer_load_dword v200, off, s[0:3], 0 offset:288
	buffer_load_dword v201, off, s[0:3], 0 offset:292
	ds_read_b128 v[14:17], v4 offset:560
	ds_read_b128 v[18:21], v4 offset:576
	buffer_load_dword v202, off, s[0:3], 0 offset:296
	buffer_load_dword v203, off, s[0:3], 0 offset:300
	;; [unrolled: 1-line block ×4, first 2 shown]
	ds_read_b128 v[22:25], v4 offset:592
	ds_read_b128 v[26:29], v4 offset:608
	buffer_load_dword v206, off, s[0:3], 0 offset:312
	buffer_load_dword v207, off, s[0:3], 0 offset:316
	;; [unrolled: 1-line block ×6, first 2 shown]
	v_cmp_lt_u32_e32 vcc, 14, v0
	s_waitcnt vmcnt(53) lgkmcnt(5)
	v_mul_f32_e32 v30, v6, v5
	s_waitcnt vmcnt(52)
	v_mul_f32_e32 v31, v8, v64
	s_waitcnt vmcnt(51) lgkmcnt(4)
	v_mul_f32_e32 v32, v10, v66
	s_waitcnt vmcnt(50)
	v_mul_f32_e32 v33, v12, v68
	s_waitcnt vmcnt(49) lgkmcnt(3)
	v_mul_f32_e32 v34, v14, v84
	s_waitcnt vmcnt(48)
	v_mul_f32_e32 v35, v16, v85
	s_waitcnt vmcnt(47) lgkmcnt(2)
	v_mul_f32_e32 v36, v18, v86
	s_waitcnt vmcnt(46)
	v_mul_f32_e32 v37, v20, v87
	s_waitcnt vmcnt(45) lgkmcnt(1)
	v_mul_f32_e32 v38, v22, v88
	s_waitcnt vmcnt(44)
	v_mul_f32_e32 v39, v24, v89
	s_waitcnt vmcnt(43)
	v_fmac_f32_e32 v30, v7, v90
	s_waitcnt vmcnt(42)
	v_fmac_f32_e32 v31, v9, v91
	v_add_f32_e32 v30, 0, v30
	s_waitcnt vmcnt(41)
	v_fmac_f32_e32 v32, v11, v92
	v_add_f32_e32 v30, v30, v31
	;; [unrolled: 3-line block ×9, first 2 shown]
	s_waitcnt vmcnt(33) lgkmcnt(0)
	v_mul_f32_e32 v31, v26, v100
	v_add_f32_e32 v30, v30, v39
	s_waitcnt vmcnt(32)
	v_fmac_f32_e32 v31, v27, v101
	v_add_f32_e32 v34, v30, v31
	ds_read_b128 v[30:33], v4 offset:624
	s_waitcnt vmcnt(31)
	v_mul_f32_e32 v35, v28, v102
	s_waitcnt vmcnt(30)
	v_fmac_f32_e32 v35, v29, v103
	v_add_f32_e32 v38, v34, v35
	ds_read_b128 v[34:37], v4 offset:640
	s_waitcnt vmcnt(29) lgkmcnt(1)
	v_mul_f32_e32 v39, v30, v184
	s_waitcnt vmcnt(28)
	v_fmac_f32_e32 v39, v31, v185
	v_add_f32_e32 v38, v38, v39
	s_waitcnt vmcnt(27)
	v_mul_f32_e32 v39, v32, v186
	s_waitcnt vmcnt(26)
	v_fmac_f32_e32 v39, v33, v187
	v_add_f32_e32 v38, v38, v39
	s_waitcnt vmcnt(25) lgkmcnt(0)
	v_mul_f32_e32 v39, v34, v188
	s_waitcnt vmcnt(24)
	v_fmac_f32_e32 v39, v35, v189
	v_add_f32_e32 v42, v38, v39
	ds_read_b128 v[38:41], v4 offset:656
	s_waitcnt vmcnt(23)
	v_mul_f32_e32 v43, v36, v190
	s_waitcnt vmcnt(22)
	v_fmac_f32_e32 v43, v37, v191
	v_add_f32_e32 v46, v42, v43
	ds_read_b128 v[42:45], v4 offset:672
	s_waitcnt vmcnt(21) lgkmcnt(1)
	v_mul_f32_e32 v47, v38, v192
	s_waitcnt vmcnt(20)
	v_fmac_f32_e32 v47, v39, v193
	v_add_f32_e32 v46, v46, v47
	s_waitcnt vmcnt(18)
	v_mul_f32_e32 v47, v40, v195
	v_fmac_f32_e32 v47, v41, v194
	v_add_f32_e32 v46, v46, v47
	s_waitcnt vmcnt(15) lgkmcnt(0)
	v_mul_f32_e32 v47, v42, v196
	s_waitcnt vmcnt(14)
	v_fmac_f32_e32 v47, v43, v197
	v_add_f32_e32 v50, v46, v47
	ds_read_b128 v[46:49], v4 offset:688
	s_waitcnt vmcnt(12)
	v_mul_f32_e32 v51, v44, v199
	v_fmac_f32_e32 v51, v45, v198
	v_add_f32_e32 v54, v50, v51
	ds_read_b128 v[50:53], v4 offset:704
	buffer_load_dword v63, off, s[0:3], 0 offset:340
	buffer_load_dword v62, off, s[0:3], 0 offset:336
	s_waitcnt vmcnt(12) lgkmcnt(1)
	v_mul_f32_e32 v55, v46, v201
	v_fmac_f32_e32 v55, v47, v200
	v_add_f32_e32 v54, v54, v55
	s_waitcnt vmcnt(10)
	v_mul_f32_e32 v55, v48, v203
	v_fmac_f32_e32 v55, v49, v202
	v_add_f32_e32 v54, v54, v55
	s_waitcnt vmcnt(8) lgkmcnt(0)
	v_mul_f32_e32 v55, v50, v205
	v_fmac_f32_e32 v55, v51, v204
	s_waitcnt vmcnt(6)
	v_mul_f32_e32 v59, v52, v207
	v_add_f32_e32 v58, v54, v55
	v_fmac_f32_e32 v59, v53, v206
	ds_read_b128 v[54:57], v4 offset:720
	v_add_f32_e32 v65, v58, v59
	ds_read_b128 v[58:61], v4 offset:736
	buffer_load_dword v71, off, s[0:3], 0 offset:372
	buffer_load_dword v70, off, s[0:3], 0 offset:368
	;; [unrolled: 1-line block ×14, first 2 shown]
	v_mul_f32_e32 v5, v7, v5
	v_fma_f32 v5, v6, v90, -v5
	v_mul_f32_e32 v6, v9, v64
	v_add_f32_e32 v5, 0, v5
	v_fma_f32 v6, v8, v91, -v6
	v_add_f32_e32 v5, v5, v6
	v_mul_f32_e32 v6, v11, v66
	v_fma_f32 v6, v10, v92, -v6
	v_add_f32_e32 v5, v5, v6
	v_mul_f32_e32 v6, v13, v68
	;; [unrolled: 3-line block ×22, first 2 shown]
	v_fma_f32 v6, v52, v206, -v6
	s_waitcnt vmcnt(15)
	v_mov_b32_e32 v18, v63
	s_waitcnt lgkmcnt(1)
	v_mul_f32_e32 v67, v54, v209
	v_add_f32_e32 v64, v5, v6
	v_mul_f32_e32 v5, v55, v209
	s_waitcnt lgkmcnt(0)
	v_pk_mul_f32 v[18:19], v[58:59], v[18:19] op_sel_hi:[1,0]
	v_fmac_f32_e32 v67, v55, v208
	v_mul_f32_e32 v69, v56, v211
	v_fma_f32 v66, v54, v208, -v5
	v_mul_f32_e32 v5, v57, v211
	s_waitcnt vmcnt(14)
	v_pk_fma_f32 v[20:21], v[58:59], v[62:63], v[18:19] op_sel:[0,0,1] op_sel_hi:[1,1,0] neg_lo:[0,0,1] neg_hi:[0,0,1]
	v_pk_fma_f32 v[18:19], v[58:59], v[62:63], v[18:19] op_sel:[0,0,1] op_sel_hi:[1,0,0]
	v_fmac_f32_e32 v69, v57, v210
	v_fma_f32 v68, v56, v210, -v5
	ds_read_b128 v[6:9], v4 offset:752
	ds_read_b128 v[10:13], v4 offset:768
	;; [unrolled: 1-line block ×3, first 2 shown]
	v_pk_add_f32 v[4:5], v[64:65], v[66:67]
	s_waitcnt vmcnt(7)
	v_mov_b32_e32 v18, v77
	v_pk_add_f32 v[4:5], v[4:5], v[68:69]
	v_mov_b32_e32 v21, v19
	v_pk_mul_f32 v[18:19], v[60:61], v[18:19] op_sel_hi:[1,0]
	v_pk_add_f32 v[4:5], v[4:5], v[20:21]
	s_waitcnt vmcnt(6)
	v_pk_fma_f32 v[20:21], v[60:61], v[76:77], v[18:19] op_sel:[0,0,1] op_sel_hi:[1,1,0] neg_lo:[0,0,1] neg_hi:[0,0,1]
	v_pk_fma_f32 v[18:19], v[60:61], v[76:77], v[18:19] op_sel:[0,0,1] op_sel_hi:[1,0,0]
	v_mov_b32_e32 v18, v75
	v_mov_b32_e32 v21, v19
	s_waitcnt lgkmcnt(2)
	v_pk_mul_f32 v[18:19], v[6:7], v[18:19] op_sel_hi:[1,0]
	v_pk_add_f32 v[4:5], v[4:5], v[20:21]
	v_pk_fma_f32 v[20:21], v[6:7], v[74:75], v[18:19] op_sel:[0,0,1] op_sel_hi:[1,1,0] neg_lo:[0,0,1] neg_hi:[0,0,1]
	v_pk_fma_f32 v[6:7], v[6:7], v[74:75], v[18:19] op_sel:[0,0,1] op_sel_hi:[1,0,0]
	v_mov_b32_e32 v6, v73
	v_mov_b32_e32 v21, v7
	v_pk_mul_f32 v[6:7], v[8:9], v[6:7] op_sel_hi:[1,0]
	v_pk_fma_f32 v[18:19], v[8:9], v[72:73], v[6:7] op_sel:[0,0,1] op_sel_hi:[1,1,0] neg_lo:[0,0,1] neg_hi:[0,0,1]
	v_pk_fma_f32 v[6:7], v[8:9], v[72:73], v[6:7] op_sel:[0,0,1] op_sel_hi:[1,0,0]
	v_mov_b32_e32 v6, v71
	v_mov_b32_e32 v19, v7
	s_waitcnt lgkmcnt(1)
	v_pk_mul_f32 v[6:7], v[10:11], v[6:7] op_sel_hi:[1,0]
	v_pk_fma_f32 v[8:9], v[10:11], v[70:71], v[6:7] op_sel:[0,0,1] op_sel_hi:[1,1,0] neg_lo:[0,0,1] neg_hi:[0,0,1]
	v_pk_fma_f32 v[6:7], v[10:11], v[70:71], v[6:7] op_sel:[0,0,1] op_sel_hi:[1,0,0]
	v_pk_add_f32 v[4:5], v[4:5], v[20:21]
	s_waitcnt vmcnt(1)
	v_mov_b32_e32 v6, v83
	v_pk_add_f32 v[4:5], v[4:5], v[18:19]
	v_mov_b32_e32 v9, v7
	v_pk_mul_f32 v[6:7], v[12:13], v[6:7] op_sel_hi:[1,0]
	v_pk_add_f32 v[4:5], v[4:5], v[8:9]
	s_waitcnt vmcnt(0)
	v_pk_fma_f32 v[8:9], v[12:13], v[82:83], v[6:7] op_sel:[0,0,1] op_sel_hi:[1,1,0] neg_lo:[0,0,1] neg_hi:[0,0,1]
	v_pk_fma_f32 v[6:7], v[12:13], v[82:83], v[6:7] op_sel:[0,0,1] op_sel_hi:[1,0,0]
	v_mov_b32_e32 v6, v81
	v_mov_b32_e32 v9, v7
	s_waitcnt lgkmcnt(0)
	v_pk_mul_f32 v[6:7], v[14:15], v[6:7] op_sel_hi:[1,0]
	v_pk_add_f32 v[4:5], v[4:5], v[8:9]
	v_pk_fma_f32 v[8:9], v[14:15], v[80:81], v[6:7] op_sel:[0,0,1] op_sel_hi:[1,1,0] neg_lo:[0,0,1] neg_hi:[0,0,1]
	v_pk_fma_f32 v[6:7], v[14:15], v[80:81], v[6:7] op_sel:[0,0,1] op_sel_hi:[1,0,0]
	v_mov_b32_e32 v6, v79
	v_mov_b32_e32 v9, v7
	v_pk_mul_f32 v[6:7], v[16:17], v[6:7] op_sel_hi:[1,0]
	v_pk_add_f32 v[4:5], v[4:5], v[8:9]
	v_pk_fma_f32 v[8:9], v[16:17], v[78:79], v[6:7] op_sel:[0,0,1] op_sel_hi:[1,1,0] neg_lo:[0,0,1] neg_hi:[0,0,1]
	v_pk_fma_f32 v[6:7], v[16:17], v[78:79], v[6:7] op_sel:[0,0,1] op_sel_hi:[1,0,0]
	v_mov_b32_e32 v9, v7
	v_pk_add_f32 v[4:5], v[4:5], v[8:9]
	v_pk_add_f32 v[2:3], v[2:3], v[4:5] neg_lo:[0,1] neg_hi:[0,1]
	buffer_store_dword v3, off, s[0:3], 0 offset:124
	buffer_store_dword v2, off, s[0:3], 0 offset:120
	s_and_saveexec_b64 s[4:5], vcc
	s_cbranch_execz .LBB49_285
; %bb.284:
	buffer_load_dword v2, off, s[0:3], 0 offset:112
	buffer_load_dword v3, off, s[0:3], 0 offset:116
	v_mov_b32_e32 v4, 0
	buffer_store_dword v4, off, s[0:3], 0 offset:112
	buffer_store_dword v4, off, s[0:3], 0 offset:116
	s_waitcnt vmcnt(2)
	ds_write_b64 v111, v[2:3]
.LBB49_285:
	s_or_b64 exec, exec, s[4:5]
	s_waitcnt lgkmcnt(0)
	; wave barrier
	s_waitcnt lgkmcnt(0)
	buffer_load_dword v5, off, s[0:3], 0 offset:124
	buffer_load_dword v62, off, s[0:3], 0 offset:132
	;; [unrolled: 1-line block ×56, first 2 shown]
	v_mov_b32_e32 v4, 0
	ds_read2_b64 v[6:9], v4 offset0:65 offset1:66
	ds_read2_b64 v[10:13], v4 offset0:67 offset1:68
	;; [unrolled: 1-line block ×6, first 2 shown]
	v_cmp_lt_u32_e32 vcc, 13, v0
	s_waitcnt vmcnt(55) lgkmcnt(5)
	v_mul_f32_e32 v30, v6, v5
	s_waitcnt vmcnt(54)
	v_mul_f32_e32 v31, v8, v62
	s_waitcnt vmcnt(53) lgkmcnt(4)
	v_mul_f32_e32 v32, v10, v64
	s_waitcnt vmcnt(52)
	v_mul_f32_e32 v33, v12, v66
	;; [unrolled: 4-line block ×4, first 2 shown]
	s_waitcnt vmcnt(47) lgkmcnt(1)
	v_mul_f32_e32 v38, v22, v88
	s_waitcnt vmcnt(46)
	v_fmac_f32_e32 v30, v7, v89
	s_waitcnt vmcnt(45)
	v_fmac_f32_e32 v31, v9, v90
	v_add_f32_e32 v30, 0, v30
	s_waitcnt vmcnt(44)
	v_fmac_f32_e32 v32, v11, v91
	v_add_f32_e32 v30, v30, v31
	;; [unrolled: 3-line block ×7, first 2 shown]
	v_add_f32_e32 v30, v30, v37
	s_waitcnt vmcnt(38)
	v_fmac_f32_e32 v38, v23, v97
	s_waitcnt vmcnt(37)
	v_mul_f32_e32 v31, v24, v98
	v_add_f32_e32 v30, v30, v38
	s_waitcnt vmcnt(36)
	v_fmac_f32_e32 v31, v25, v99
	v_add_f32_e32 v30, v30, v31
	s_waitcnt vmcnt(35) lgkmcnt(0)
	v_mul_f32_e32 v31, v26, v100
	s_waitcnt vmcnt(34)
	v_fmac_f32_e32 v31, v27, v101
	v_add_f32_e32 v34, v30, v31
	ds_read2_b64 v[30:33], v4 offset0:77 offset1:78
	s_waitcnt vmcnt(33)
	v_mul_f32_e32 v35, v28, v102
	s_waitcnt vmcnt(32)
	v_fmac_f32_e32 v35, v29, v103
	v_add_f32_e32 v38, v34, v35
	ds_read2_b64 v[34:37], v4 offset0:79 offset1:80
	s_waitcnt vmcnt(31) lgkmcnt(1)
	v_mul_f32_e32 v39, v30, v184
	s_waitcnt vmcnt(30)
	v_fmac_f32_e32 v39, v31, v185
	v_add_f32_e32 v38, v38, v39
	s_waitcnt vmcnt(29)
	v_mul_f32_e32 v39, v32, v186
	s_waitcnt vmcnt(28)
	v_fmac_f32_e32 v39, v33, v187
	v_add_f32_e32 v38, v38, v39
	s_waitcnt vmcnt(27) lgkmcnt(0)
	v_mul_f32_e32 v39, v34, v188
	s_waitcnt vmcnt(26)
	v_fmac_f32_e32 v39, v35, v189
	v_add_f32_e32 v42, v38, v39
	ds_read2_b64 v[38:41], v4 offset0:81 offset1:82
	s_waitcnt vmcnt(24)
	v_mul_f32_e32 v43, v36, v191
	v_fmac_f32_e32 v43, v37, v190
	v_add_f32_e32 v46, v42, v43
	ds_read2_b64 v[42:45], v4 offset0:83 offset1:84
	s_waitcnt vmcnt(20) lgkmcnt(1)
	v_mul_f32_e32 v47, v38, v193
	v_fmac_f32_e32 v47, v39, v192
	v_add_f32_e32 v46, v46, v47
	s_waitcnt vmcnt(18)
	v_mul_f32_e32 v47, v40, v195
	v_fmac_f32_e32 v47, v41, v194
	v_add_f32_e32 v46, v46, v47
	s_waitcnt vmcnt(16) lgkmcnt(0)
	v_mul_f32_e32 v47, v42, v197
	v_fmac_f32_e32 v47, v43, v196
	v_add_f32_e32 v50, v46, v47
	ds_read2_b64 v[46:49], v4 offset0:85 offset1:86
	s_waitcnt vmcnt(14)
	v_mul_f32_e32 v51, v44, v199
	v_fmac_f32_e32 v51, v45, v198
	v_add_f32_e32 v54, v50, v51
	ds_read2_b64 v[50:53], v4 offset0:87 offset1:88
	s_waitcnt vmcnt(12) lgkmcnt(1)
	v_mul_f32_e32 v55, v46, v201
	v_fmac_f32_e32 v55, v47, v200
	v_add_f32_e32 v54, v54, v55
	s_waitcnt vmcnt(10)
	v_mul_f32_e32 v55, v48, v203
	v_fmac_f32_e32 v55, v49, v202
	v_add_f32_e32 v54, v54, v55
	s_waitcnt vmcnt(8) lgkmcnt(0)
	v_mul_f32_e32 v55, v50, v205
	v_fmac_f32_e32 v55, v51, v204
	s_waitcnt vmcnt(6)
	v_mul_f32_e32 v59, v52, v207
	v_add_f32_e32 v58, v54, v55
	v_fmac_f32_e32 v59, v53, v206
	ds_read2_b64 v[54:57], v4 offset0:89 offset1:90
	v_add_f32_e32 v63, v58, v59
	ds_read2_b64 v[58:61], v4 offset0:91 offset1:92
	buffer_load_dword v69, off, s[0:3], 0 offset:364
	buffer_load_dword v68, off, s[0:3], 0 offset:360
	;; [unrolled: 1-line block ×16, first 2 shown]
	v_mul_f32_e32 v5, v7, v5
	v_fma_f32 v5, v6, v89, -v5
	v_mul_f32_e32 v6, v9, v62
	v_add_f32_e32 v5, 0, v5
	v_fma_f32 v6, v8, v90, -v6
	v_add_f32_e32 v5, v5, v6
	v_mul_f32_e32 v6, v11, v64
	v_fma_f32 v6, v10, v91, -v6
	v_add_f32_e32 v5, v5, v6
	v_mul_f32_e32 v6, v13, v66
	;; [unrolled: 3-line block ×22, first 2 shown]
	v_fma_f32 v6, v52, v206, -v6
	s_waitcnt vmcnt(20) lgkmcnt(1)
	v_mul_f32_e32 v65, v54, v209
	v_add_f32_e32 v5, v5, v6
	v_mul_f32_e32 v6, v55, v209
	v_fmac_f32_e32 v65, v55, v208
	v_fma_f32 v6, v54, v208, -v6
	s_waitcnt vmcnt(9)
	v_mov_b32_e32 v22, v75
	v_add_f32_e32 v63, v63, v65
	v_mul_f32_e32 v65, v56, v211
	v_add_f32_e32 v62, v5, v6
	v_mul_f32_e32 v5, v57, v211
	s_waitcnt lgkmcnt(0)
	v_pk_mul_f32 v[22:23], v[60:61], v[22:23] op_sel_hi:[1,0]
	v_fmac_f32_e32 v65, v57, v210
	v_mul_f32_e32 v67, v58, v213
	v_fma_f32 v64, v56, v210, -v5
	v_mul_f32_e32 v5, v59, v213
	ds_read2_b64 v[6:9], v4 offset0:93 offset1:94
	ds_read2_b64 v[10:13], v4 offset0:95 offset1:96
	;; [unrolled: 1-line block ×3, first 2 shown]
	ds_read_b64 v[18:19], v4 offset:792
	s_waitcnt vmcnt(8)
	v_pk_fma_f32 v[24:25], v[60:61], v[74:75], v[22:23] op_sel:[0,0,1] op_sel_hi:[1,1,0] neg_lo:[0,0,1] neg_hi:[0,0,1]
	v_pk_fma_f32 v[22:23], v[60:61], v[74:75], v[22:23] op_sel:[0,0,1] op_sel_hi:[1,0,0]
	v_fmac_f32_e32 v67, v59, v212
	v_fma_f32 v66, v58, v212, -v5
	v_pk_add_f32 v[20:21], v[62:63], v[64:65]
	v_mov_b32_e32 v22, v73
	v_pk_add_f32 v[20:21], v[20:21], v[66:67]
	v_mov_b32_e32 v25, v23
	s_waitcnt lgkmcnt(3)
	v_pk_mul_f32 v[22:23], v[6:7], v[22:23] op_sel_hi:[1,0]
	v_pk_add_f32 v[20:21], v[20:21], v[24:25]
	v_pk_fma_f32 v[24:25], v[6:7], v[72:73], v[22:23] op_sel:[0,0,1] op_sel_hi:[1,1,0] neg_lo:[0,0,1] neg_hi:[0,0,1]
	v_pk_fma_f32 v[6:7], v[6:7], v[72:73], v[22:23] op_sel:[0,0,1] op_sel_hi:[1,0,0]
	v_mov_b32_e32 v25, v7
	v_pk_add_f32 v[6:7], v[20:21], v[24:25]
	v_mov_b32_e32 v20, v71
	v_pk_mul_f32 v[20:21], v[8:9], v[20:21] op_sel_hi:[1,0]
	v_pk_fma_f32 v[22:23], v[8:9], v[70:71], v[20:21] op_sel:[0,0,1] op_sel_hi:[1,1,0] neg_lo:[0,0,1] neg_hi:[0,0,1]
	v_pk_fma_f32 v[8:9], v[8:9], v[70:71], v[20:21] op_sel:[0,0,1] op_sel_hi:[1,0,0]
	v_mov_b32_e32 v8, v69
	v_mov_b32_e32 v23, v9
	s_waitcnt lgkmcnt(2)
	v_pk_mul_f32 v[8:9], v[10:11], v[8:9] op_sel_hi:[1,0]
	v_pk_fma_f32 v[20:21], v[10:11], v[68:69], v[8:9] op_sel:[0,0,1] op_sel_hi:[1,1,0] neg_lo:[0,0,1] neg_hi:[0,0,1]
	v_pk_fma_f32 v[8:9], v[10:11], v[68:69], v[8:9] op_sel:[0,0,1] op_sel_hi:[1,0,0]
	s_waitcnt vmcnt(1)
	v_mov_b32_e32 v8, v83
	v_mov_b32_e32 v21, v9
	v_pk_mul_f32 v[8:9], v[12:13], v[8:9] op_sel_hi:[1,0]
	s_waitcnt vmcnt(0)
	v_pk_fma_f32 v[10:11], v[12:13], v[82:83], v[8:9] op_sel:[0,0,1] op_sel_hi:[1,1,0] neg_lo:[0,0,1] neg_hi:[0,0,1]
	v_pk_fma_f32 v[8:9], v[12:13], v[82:83], v[8:9] op_sel:[0,0,1] op_sel_hi:[1,0,0]
	v_pk_add_f32 v[6:7], v[6:7], v[22:23]
	v_mov_b32_e32 v8, v81
	v_pk_add_f32 v[6:7], v[6:7], v[20:21]
	v_mov_b32_e32 v11, v9
	s_waitcnt lgkmcnt(1)
	v_pk_mul_f32 v[8:9], v[14:15], v[8:9] op_sel_hi:[1,0]
	v_pk_add_f32 v[6:7], v[6:7], v[10:11]
	v_pk_fma_f32 v[10:11], v[14:15], v[80:81], v[8:9] op_sel:[0,0,1] op_sel_hi:[1,1,0] neg_lo:[0,0,1] neg_hi:[0,0,1]
	v_pk_fma_f32 v[8:9], v[14:15], v[80:81], v[8:9] op_sel:[0,0,1] op_sel_hi:[1,0,0]
	v_mov_b32_e32 v8, v79
	v_mov_b32_e32 v11, v9
	v_pk_mul_f32 v[8:9], v[16:17], v[8:9] op_sel_hi:[1,0]
	v_pk_add_f32 v[6:7], v[6:7], v[10:11]
	v_pk_fma_f32 v[10:11], v[16:17], v[78:79], v[8:9] op_sel:[0,0,1] op_sel_hi:[1,1,0] neg_lo:[0,0,1] neg_hi:[0,0,1]
	v_pk_fma_f32 v[8:9], v[16:17], v[78:79], v[8:9] op_sel:[0,0,1] op_sel_hi:[1,0,0]
	v_mov_b32_e32 v8, v77
	v_mov_b32_e32 v11, v9
	s_waitcnt lgkmcnt(0)
	v_pk_mul_f32 v[8:9], v[18:19], v[8:9] op_sel_hi:[1,0]
	v_pk_add_f32 v[6:7], v[6:7], v[10:11]
	v_pk_fma_f32 v[10:11], v[18:19], v[76:77], v[8:9] op_sel:[0,0,1] op_sel_hi:[1,1,0] neg_lo:[0,0,1] neg_hi:[0,0,1]
	v_pk_fma_f32 v[8:9], v[18:19], v[76:77], v[8:9] op_sel:[0,0,1] op_sel_hi:[1,0,0]
	v_mov_b32_e32 v11, v9
	v_pk_add_f32 v[6:7], v[6:7], v[10:11]
	v_pk_add_f32 v[2:3], v[2:3], v[6:7] neg_lo:[0,1] neg_hi:[0,1]
	buffer_store_dword v3, off, s[0:3], 0 offset:116
	buffer_store_dword v2, off, s[0:3], 0 offset:112
	s_and_saveexec_b64 s[4:5], vcc
	s_cbranch_execz .LBB49_287
; %bb.286:
	buffer_load_dword v2, off, s[0:3], 0 offset:104
	buffer_load_dword v3, off, s[0:3], 0 offset:108
	s_waitcnt vmcnt(0)
	ds_write_b64 v111, v[2:3]
	buffer_store_dword v4, off, s[0:3], 0 offset:104
	buffer_store_dword v4, off, s[0:3], 0 offset:108
.LBB49_287:
	s_or_b64 exec, exec, s[4:5]
	s_waitcnt lgkmcnt(0)
	; wave barrier
	s_waitcnt lgkmcnt(0)
	buffer_load_dword v5, off, s[0:3], 0 offset:116
	buffer_load_dword v62, off, s[0:3], 0 offset:124
	;; [unrolled: 1-line block ×36, first 2 shown]
	ds_read_b128 v[6:9], v4 offset:512
	ds_read_b128 v[10:13], v4 offset:528
	buffer_load_dword v194, off, s[0:3], 0 offset:248
	buffer_load_dword v195, off, s[0:3], 0 offset:252
	;; [unrolled: 1-line block ×4, first 2 shown]
	ds_read_b128 v[14:17], v4 offset:544
	ds_read_b128 v[18:21], v4 offset:560
	buffer_load_dword v198, off, s[0:3], 0 offset:264
	buffer_load_dword v199, off, s[0:3], 0 offset:268
	ds_read_b128 v[22:25], v4 offset:576
	ds_read_b128 v[26:29], v4 offset:592
	buffer_load_dword v200, off, s[0:3], 0 offset:272
	buffer_load_dword v201, off, s[0:3], 0 offset:276
	;; [unrolled: 1-line block ×16, first 2 shown]
	v_cmp_lt_u32_e32 vcc, 12, v0
	s_waitcnt vmcnt(57) lgkmcnt(5)
	v_mul_f32_e32 v30, v6, v5
	s_waitcnt vmcnt(56)
	v_mul_f32_e32 v31, v8, v62
	s_waitcnt vmcnt(55) lgkmcnt(4)
	v_mul_f32_e32 v32, v10, v64
	s_waitcnt vmcnt(54)
	v_mul_f32_e32 v33, v12, v72
	;; [unrolled: 4-line block ×4, first 2 shown]
	s_waitcnt vmcnt(49)
	v_fmac_f32_e32 v30, v7, v88
	s_waitcnt vmcnt(48)
	v_fmac_f32_e32 v31, v9, v89
	v_add_f32_e32 v30, 0, v30
	s_waitcnt vmcnt(47)
	v_fmac_f32_e32 v32, v11, v90
	v_add_f32_e32 v30, v30, v31
	;; [unrolled: 3-line block ×7, first 2 shown]
	s_waitcnt vmcnt(41) lgkmcnt(1)
	v_mul_f32_e32 v31, v22, v96
	v_add_f32_e32 v30, v30, v37
	s_waitcnt vmcnt(40)
	v_fmac_f32_e32 v31, v23, v97
	v_add_f32_e32 v30, v30, v31
	s_waitcnt vmcnt(39)
	v_mul_f32_e32 v31, v24, v98
	s_waitcnt vmcnt(38)
	v_fmac_f32_e32 v31, v25, v99
	v_add_f32_e32 v30, v30, v31
	s_waitcnt vmcnt(37) lgkmcnt(0)
	v_mul_f32_e32 v31, v26, v100
	s_waitcnt vmcnt(36)
	v_fmac_f32_e32 v31, v27, v101
	v_add_f32_e32 v34, v30, v31
	ds_read_b128 v[30:33], v4 offset:608
	s_waitcnt vmcnt(35)
	v_mul_f32_e32 v35, v28, v102
	s_waitcnt vmcnt(34)
	v_fmac_f32_e32 v35, v29, v103
	v_add_f32_e32 v38, v34, v35
	ds_read_b128 v[34:37], v4 offset:624
	s_waitcnt vmcnt(33) lgkmcnt(1)
	v_mul_f32_e32 v39, v30, v184
	s_waitcnt vmcnt(32)
	v_fmac_f32_e32 v39, v31, v185
	v_add_f32_e32 v38, v38, v39
	s_waitcnt vmcnt(31)
	v_mul_f32_e32 v39, v32, v186
	s_waitcnt vmcnt(30)
	v_fmac_f32_e32 v39, v33, v187
	v_add_f32_e32 v38, v38, v39
	s_waitcnt vmcnt(29) lgkmcnt(0)
	v_mul_f32_e32 v39, v34, v188
	s_waitcnt vmcnt(28)
	v_fmac_f32_e32 v39, v35, v189
	v_add_f32_e32 v42, v38, v39
	ds_read_b128 v[38:41], v4 offset:640
	s_waitcnt vmcnt(25)
	v_mul_f32_e32 v43, v36, v190
	s_waitcnt vmcnt(24)
	v_fmac_f32_e32 v43, v37, v191
	v_add_f32_e32 v46, v42, v43
	ds_read_b128 v[42:45], v4 offset:656
	s_waitcnt vmcnt(22) lgkmcnt(1)
	v_mul_f32_e32 v47, v38, v193
	v_fmac_f32_e32 v47, v39, v192
	v_add_f32_e32 v46, v46, v47
	s_waitcnt vmcnt(20)
	v_mul_f32_e32 v47, v40, v195
	v_fmac_f32_e32 v47, v41, v194
	v_add_f32_e32 v46, v46, v47
	s_waitcnt vmcnt(18) lgkmcnt(0)
	v_mul_f32_e32 v47, v42, v197
	v_fmac_f32_e32 v47, v43, v196
	v_add_f32_e32 v50, v46, v47
	ds_read_b128 v[46:49], v4 offset:672
	s_waitcnt vmcnt(16)
	v_mul_f32_e32 v51, v44, v199
	v_fmac_f32_e32 v51, v45, v198
	v_add_f32_e32 v54, v50, v51
	ds_read_b128 v[50:53], v4 offset:688
	s_waitcnt vmcnt(14) lgkmcnt(1)
	v_mul_f32_e32 v55, v46, v201
	v_fmac_f32_e32 v55, v47, v200
	v_add_f32_e32 v54, v54, v55
	s_waitcnt vmcnt(12)
	v_mul_f32_e32 v55, v48, v203
	v_fmac_f32_e32 v55, v49, v202
	v_add_f32_e32 v54, v54, v55
	s_waitcnt vmcnt(10) lgkmcnt(0)
	v_mul_f32_e32 v55, v50, v205
	v_fmac_f32_e32 v55, v51, v204
	s_waitcnt vmcnt(8)
	v_mul_f32_e32 v59, v52, v207
	v_add_f32_e32 v58, v54, v55
	v_fmac_f32_e32 v59, v53, v206
	ds_read_b128 v[54:57], v4 offset:704
	v_add_f32_e32 v63, v58, v59
	ds_read_b128 v[58:61], v4 offset:720
	buffer_load_dword v67, off, s[0:3], 0 offset:356
	buffer_load_dword v66, off, s[0:3], 0 offset:352
	;; [unrolled: 1-line block ×16, first 2 shown]
	v_mul_f32_e32 v5, v7, v5
	v_fma_f32 v5, v6, v88, -v5
	v_mul_f32_e32 v6, v9, v62
	v_add_f32_e32 v5, 0, v5
	v_fma_f32 v6, v8, v89, -v6
	v_add_f32_e32 v5, v5, v6
	v_mul_f32_e32 v6, v11, v64
	v_fma_f32 v6, v10, v90, -v6
	v_add_f32_e32 v5, v5, v6
	v_mul_f32_e32 v6, v13, v72
	;; [unrolled: 3-line block ×22, first 2 shown]
	v_fma_f32 v6, v52, v206, -v6
	v_add_f32_e32 v5, v5, v6
	s_waitcnt vmcnt(22) lgkmcnt(1)
	v_mul_f32_e32 v6, v55, v209
	v_fma_f32 v6, v54, v208, -v6
	v_add_f32_e32 v5, v5, v6
	s_waitcnt vmcnt(20)
	v_mul_f32_e32 v6, v57, v211
	v_fma_f32 v6, v56, v210, -v6
	v_add_f32_e32 v62, v5, v6
	ds_read_b128 v[6:9], v4 offset:736
	ds_read_b128 v[10:13], v4 offset:752
	;; [unrolled: 1-line block ×4, first 2 shown]
	s_waitcnt vmcnt(11)
	v_mov_b32_e32 v22, v71
	v_mul_f32_e32 v65, v54, v209
	s_waitcnt lgkmcnt(3)
	v_pk_mul_f32 v[22:23], v[6:7], v[22:23] op_sel_hi:[1,0]
	v_fmac_f32_e32 v65, v55, v208
	s_waitcnt vmcnt(10)
	v_pk_fma_f32 v[24:25], v[6:7], v[70:71], v[22:23] op_sel:[0,0,1] op_sel_hi:[1,1,0] neg_lo:[0,0,1] neg_hi:[0,0,1]
	v_pk_fma_f32 v[6:7], v[6:7], v[70:71], v[22:23] op_sel:[0,0,1] op_sel_hi:[1,0,0]
	v_add_f32_e32 v63, v63, v65
	v_mul_f32_e32 v65, v56, v211
	v_mov_b32_e32 v6, v69
	v_fmac_f32_e32 v65, v57, v210
	v_mov_b32_e32 v25, v7
	v_pk_mul_f32 v[6:7], v[8:9], v[6:7] op_sel_hi:[1,0]
	v_add_f32_e32 v63, v63, v65
	v_mul_f32_e32 v65, v58, v213
	v_mul_f32_e32 v5, v59, v213
	v_pk_fma_f32 v[22:23], v[8:9], v[68:69], v[6:7] op_sel:[0,0,1] op_sel_hi:[1,1,0] neg_lo:[0,0,1] neg_hi:[0,0,1]
	v_pk_fma_f32 v[6:7], v[8:9], v[68:69], v[6:7] op_sel:[0,0,1] op_sel_hi:[1,0,0]
	v_fmac_f32_e32 v65, v59, v212
	v_mul_f32_e32 v73, v60, v215
	v_fma_f32 v64, v58, v212, -v5
	v_mul_f32_e32 v5, v61, v215
	v_mov_b32_e32 v6, v67
	v_fmac_f32_e32 v73, v61, v214
	v_fma_f32 v72, v60, v214, -v5
	v_pk_add_f32 v[4:5], v[62:63], v[64:65]
	v_mov_b32_e32 v23, v7
	s_waitcnt lgkmcnt(2)
	v_pk_mul_f32 v[6:7], v[10:11], v[6:7] op_sel_hi:[1,0]
	v_pk_add_f32 v[4:5], v[4:5], v[72:73]
	v_pk_fma_f32 v[8:9], v[10:11], v[66:67], v[6:7] op_sel:[0,0,1] op_sel_hi:[1,1,0] neg_lo:[0,0,1] neg_hi:[0,0,1]
	v_pk_fma_f32 v[6:7], v[10:11], v[66:67], v[6:7] op_sel:[0,0,1] op_sel_hi:[1,0,0]
	v_pk_add_f32 v[4:5], v[4:5], v[24:25]
	s_waitcnt vmcnt(3)
	v_mov_b32_e32 v6, v81
	v_pk_add_f32 v[4:5], v[4:5], v[22:23]
	v_mov_b32_e32 v9, v7
	v_pk_mul_f32 v[6:7], v[12:13], v[6:7] op_sel_hi:[1,0]
	v_pk_add_f32 v[4:5], v[4:5], v[8:9]
	s_waitcnt vmcnt(2)
	v_pk_fma_f32 v[8:9], v[12:13], v[80:81], v[6:7] op_sel:[0,0,1] op_sel_hi:[1,1,0] neg_lo:[0,0,1] neg_hi:[0,0,1]
	v_pk_fma_f32 v[6:7], v[12:13], v[80:81], v[6:7] op_sel:[0,0,1] op_sel_hi:[1,0,0]
	v_mov_b32_e32 v6, v79
	v_mov_b32_e32 v9, v7
	s_waitcnt lgkmcnt(1)
	v_pk_mul_f32 v[6:7], v[14:15], v[6:7] op_sel_hi:[1,0]
	v_pk_add_f32 v[4:5], v[4:5], v[8:9]
	v_pk_fma_f32 v[8:9], v[14:15], v[78:79], v[6:7] op_sel:[0,0,1] op_sel_hi:[1,1,0] neg_lo:[0,0,1] neg_hi:[0,0,1]
	v_pk_fma_f32 v[6:7], v[14:15], v[78:79], v[6:7] op_sel:[0,0,1] op_sel_hi:[1,0,0]
	v_mov_b32_e32 v6, v77
	v_mov_b32_e32 v9, v7
	v_pk_mul_f32 v[6:7], v[16:17], v[6:7] op_sel_hi:[1,0]
	v_pk_add_f32 v[4:5], v[4:5], v[8:9]
	v_pk_fma_f32 v[8:9], v[16:17], v[76:77], v[6:7] op_sel:[0,0,1] op_sel_hi:[1,1,0] neg_lo:[0,0,1] neg_hi:[0,0,1]
	v_pk_fma_f32 v[6:7], v[16:17], v[76:77], v[6:7] op_sel:[0,0,1] op_sel_hi:[1,0,0]
	v_mov_b32_e32 v6, v75
	v_mov_b32_e32 v9, v7
	s_waitcnt lgkmcnt(0)
	v_pk_mul_f32 v[6:7], v[18:19], v[6:7] op_sel_hi:[1,0]
	v_pk_add_f32 v[4:5], v[4:5], v[8:9]
	v_pk_fma_f32 v[8:9], v[18:19], v[74:75], v[6:7] op_sel:[0,0,1] op_sel_hi:[1,1,0] neg_lo:[0,0,1] neg_hi:[0,0,1]
	v_pk_fma_f32 v[6:7], v[18:19], v[74:75], v[6:7] op_sel:[0,0,1] op_sel_hi:[1,0,0]
	s_waitcnt vmcnt(1)
	v_mov_b32_e32 v6, v83
	v_mov_b32_e32 v9, v7
	v_pk_mul_f32 v[6:7], v[20:21], v[6:7] op_sel_hi:[1,0]
	v_pk_add_f32 v[4:5], v[4:5], v[8:9]
	s_waitcnt vmcnt(0)
	v_pk_fma_f32 v[8:9], v[20:21], v[82:83], v[6:7] op_sel:[0,0,1] op_sel_hi:[1,1,0] neg_lo:[0,0,1] neg_hi:[0,0,1]
	v_pk_fma_f32 v[6:7], v[20:21], v[82:83], v[6:7] op_sel:[0,0,1] op_sel_hi:[1,0,0]
	v_mov_b32_e32 v9, v7
	v_pk_add_f32 v[4:5], v[4:5], v[8:9]
	v_pk_add_f32 v[2:3], v[2:3], v[4:5] neg_lo:[0,1] neg_hi:[0,1]
	buffer_store_dword v3, off, s[0:3], 0 offset:108
	buffer_store_dword v2, off, s[0:3], 0 offset:104
	s_and_saveexec_b64 s[4:5], vcc
	s_cbranch_execz .LBB49_289
; %bb.288:
	buffer_load_dword v2, off, s[0:3], 0 offset:96
	buffer_load_dword v3, off, s[0:3], 0 offset:100
	v_mov_b32_e32 v4, 0
	buffer_store_dword v4, off, s[0:3], 0 offset:96
	buffer_store_dword v4, off, s[0:3], 0 offset:100
	s_waitcnt vmcnt(2)
	ds_write_b64 v111, v[2:3]
.LBB49_289:
	s_or_b64 exec, exec, s[4:5]
	s_waitcnt lgkmcnt(0)
	; wave barrier
	s_waitcnt lgkmcnt(0)
	buffer_load_dword v17, off, s[0:3], 0 offset:108
	buffer_load_dword v70, off, s[0:3], 0 offset:116
	;; [unrolled: 1-line block ×56, first 2 shown]
	v_mov_b32_e32 v16, 0
	ds_read2_b64 v[2:5], v16 offset0:63 offset1:64
	buffer_load_dword v222, off, s[0:3], 0 offset:320
	buffer_load_dword v223, off, s[0:3], 0 offset:324
	;; [unrolled: 1-line block ×4, first 2 shown]
	ds_read2_b64 v[8:11], v16 offset0:65 offset1:66
	ds_read2_b64 v[12:15], v16 offset0:67 offset1:68
	;; [unrolled: 1-line block ×3, first 2 shown]
	v_cmp_lt_u32_e32 vcc, 11, v0
	s_waitcnt vmcnt(59) lgkmcnt(3)
	v_mul_f32_e32 v22, v2, v17
	s_waitcnt vmcnt(58)
	v_mul_f32_e32 v23, v4, v70
	s_waitcnt vmcnt(57) lgkmcnt(2)
	v_mul_f32_e32 v24, v8, v76
	s_waitcnt vmcnt(56)
	v_mul_f32_e32 v25, v10, v78
	;; [unrolled: 4-line block ×3, first 2 shown]
	s_waitcnt vmcnt(53) lgkmcnt(0)
	v_mul_f32_e32 v28, v18, v94
	s_waitcnt vmcnt(52)
	v_fmac_f32_e32 v22, v3, v95
	s_waitcnt vmcnt(51)
	v_fmac_f32_e32 v23, v5, v96
	v_add_f32_e32 v22, 0, v22
	s_waitcnt vmcnt(50)
	v_fmac_f32_e32 v24, v9, v97
	v_add_f32_e32 v22, v22, v23
	;; [unrolled: 3-line block ×6, first 2 shown]
	v_add_f32_e32 v26, v22, v28
	ds_read2_b64 v[22:25], v16 offset0:71 offset1:72
	s_waitcnt vmcnt(45)
	v_mul_f32_e32 v27, v20, v102
	s_waitcnt vmcnt(44)
	v_fmac_f32_e32 v27, v21, v103
	v_add_f32_e32 v30, v26, v27
	ds_read2_b64 v[26:29], v16 offset0:73 offset1:74
	s_waitcnt vmcnt(43) lgkmcnt(1)
	v_mul_f32_e32 v31, v22, v184
	s_waitcnt vmcnt(42)
	v_fmac_f32_e32 v31, v23, v185
	v_add_f32_e32 v30, v30, v31
	s_waitcnt vmcnt(41)
	v_mul_f32_e32 v31, v24, v186
	s_waitcnt vmcnt(40)
	v_fmac_f32_e32 v31, v25, v187
	v_add_f32_e32 v30, v30, v31
	s_waitcnt vmcnt(39) lgkmcnt(0)
	v_mul_f32_e32 v31, v26, v188
	s_waitcnt vmcnt(38)
	v_fmac_f32_e32 v31, v27, v189
	v_add_f32_e32 v34, v30, v31
	ds_read2_b64 v[30:33], v16 offset0:75 offset1:76
	s_waitcnt vmcnt(37)
	v_mul_f32_e32 v35, v28, v190
	s_waitcnt vmcnt(36)
	v_fmac_f32_e32 v35, v29, v191
	v_add_f32_e32 v38, v34, v35
	ds_read2_b64 v[34:37], v16 offset0:77 offset1:78
	s_waitcnt vmcnt(34) lgkmcnt(1)
	v_mul_f32_e32 v39, v30, v193
	v_fmac_f32_e32 v39, v31, v192
	v_add_f32_e32 v38, v38, v39
	s_waitcnt vmcnt(31)
	v_mul_f32_e32 v39, v32, v194
	s_waitcnt vmcnt(30)
	v_fmac_f32_e32 v39, v33, v195
	v_add_f32_e32 v38, v38, v39
	s_waitcnt vmcnt(28) lgkmcnt(0)
	v_mul_f32_e32 v39, v34, v197
	v_fmac_f32_e32 v39, v35, v196
	v_add_f32_e32 v42, v38, v39
	ds_read2_b64 v[38:41], v16 offset0:79 offset1:80
	s_waitcnt vmcnt(26)
	v_mul_f32_e32 v43, v36, v199
	v_fmac_f32_e32 v43, v37, v198
	v_add_f32_e32 v46, v42, v43
	ds_read2_b64 v[42:45], v16 offset0:81 offset1:82
	s_waitcnt vmcnt(24) lgkmcnt(1)
	v_mul_f32_e32 v47, v38, v201
	v_fmac_f32_e32 v47, v39, v200
	v_add_f32_e32 v46, v46, v47
	s_waitcnt vmcnt(22)
	v_mul_f32_e32 v47, v40, v203
	v_fmac_f32_e32 v47, v41, v202
	v_add_f32_e32 v46, v46, v47
	s_waitcnt vmcnt(20) lgkmcnt(0)
	v_mul_f32_e32 v47, v42, v205
	v_fmac_f32_e32 v47, v43, v204
	v_add_f32_e32 v50, v46, v47
	ds_read2_b64 v[46:49], v16 offset0:83 offset1:84
	s_waitcnt vmcnt(18)
	v_mul_f32_e32 v51, v44, v207
	v_fmac_f32_e32 v51, v45, v206
	v_add_f32_e32 v54, v50, v51
	ds_read2_b64 v[50:53], v16 offset0:85 offset1:86
	s_waitcnt vmcnt(16) lgkmcnt(1)
	v_mul_f32_e32 v55, v46, v209
	v_fmac_f32_e32 v55, v47, v208
	v_add_f32_e32 v54, v54, v55
	s_waitcnt vmcnt(14)
	v_mul_f32_e32 v55, v48, v211
	;; [unrolled: 18-line block ×3, first 2 shown]
	v_fmac_f32_e32 v63, v57, v218
	v_add_f32_e32 v62, v62, v63
	s_waitcnt vmcnt(4) lgkmcnt(0)
	v_mul_f32_e32 v63, v58, v221
	v_fmac_f32_e32 v63, v59, v220
	v_add_f32_e32 v71, v62, v63
	ds_read2_b64 v[62:65], v16 offset0:91 offset1:92
	buffer_load_dword v73, off, s[0:3], 0 offset:348
	buffer_load_dword v72, off, s[0:3], 0 offset:344
	;; [unrolled: 1-line block ×4, first 2 shown]
	ds_read2_b64 v[66:69], v16 offset0:93 offset1:94
	buffer_load_dword v81, off, s[0:3], 0 offset:380
	buffer_load_dword v80, off, s[0:3], 0 offset:376
	;; [unrolled: 1-line block ×12, first 2 shown]
	v_mul_f32_e32 v3, v3, v17
	v_fma_f32 v2, v2, v95, -v3
	v_mul_f32_e32 v3, v5, v70
	v_add_f32_e32 v2, 0, v2
	v_fma_f32 v3, v4, v96, -v3
	v_add_f32_e32 v2, v2, v3
	v_mul_f32_e32 v3, v9, v76
	v_fma_f32 v3, v8, v97, -v3
	v_add_f32_e32 v2, v2, v3
	v_mul_f32_e32 v3, v11, v78
	;; [unrolled: 3-line block ×25, first 2 shown]
	v_fma_f32 v3, v58, v220, -v3
	s_waitcnt vmcnt(13)
	v_mov_b32_e32 v18, v75
	v_mul_f32_e32 v77, v60, v223
	v_add_f32_e32 v70, v2, v3
	v_mul_f32_e32 v2, v61, v223
	s_waitcnt lgkmcnt(1)
	v_pk_mul_f32 v[18:19], v[64:65], v[18:19] op_sel_hi:[1,0]
	v_fmac_f32_e32 v77, v61, v222
	v_mul_f32_e32 v79, v62, v225
	v_fma_f32 v76, v60, v222, -v2
	v_mul_f32_e32 v2, v63, v225
	s_waitcnt vmcnt(12)
	v_pk_fma_f32 v[20:21], v[64:65], v[74:75], v[18:19] op_sel:[0,0,1] op_sel_hi:[1,1,0] neg_lo:[0,0,1] neg_hi:[0,0,1]
	v_pk_fma_f32 v[18:19], v[64:65], v[74:75], v[18:19] op_sel:[0,0,1] op_sel_hi:[1,0,0]
	v_fmac_f32_e32 v79, v63, v224
	v_fma_f32 v78, v62, v224, -v2
	v_pk_add_f32 v[14:15], v[70:71], v[76:77]
	v_mov_b32_e32 v18, v73
	v_pk_add_f32 v[14:15], v[14:15], v[78:79]
	v_mov_b32_e32 v21, v19
	s_waitcnt lgkmcnt(0)
	v_pk_mul_f32 v[18:19], v[66:67], v[18:19] op_sel_hi:[1,0]
	v_pk_add_f32 v[14:15], v[14:15], v[20:21]
	v_pk_fma_f32 v[20:21], v[66:67], v[72:73], v[18:19] op_sel:[0,0,1] op_sel_hi:[1,1,0] neg_lo:[0,0,1] neg_hi:[0,0,1]
	v_pk_fma_f32 v[18:19], v[66:67], v[72:73], v[18:19] op_sel:[0,0,1] op_sel_hi:[1,0,0]
	s_waitcnt vmcnt(5)
	v_mov_b32_e32 v18, v87
	ds_read2_b64 v[2:5], v16 offset0:95 offset1:96
	ds_read2_b64 v[8:11], v16 offset0:97 offset1:98
	ds_read_b64 v[12:13], v16 offset:792
	v_mov_b32_e32 v21, v19
	v_pk_mul_f32 v[18:19], v[68:69], v[18:19] op_sel_hi:[1,0]
	v_pk_add_f32 v[14:15], v[14:15], v[20:21]
	s_waitcnt vmcnt(4)
	v_pk_fma_f32 v[20:21], v[68:69], v[86:87], v[18:19] op_sel:[0,0,1] op_sel_hi:[1,1,0] neg_lo:[0,0,1] neg_hi:[0,0,1]
	v_pk_fma_f32 v[18:19], v[68:69], v[86:87], v[18:19] op_sel:[0,0,1] op_sel_hi:[1,0,0]
	v_mov_b32_e32 v18, v85
	v_mov_b32_e32 v21, v19
	s_waitcnt lgkmcnt(2)
	v_pk_mul_f32 v[18:19], v[2:3], v[18:19] op_sel_hi:[1,0]
	v_pk_add_f32 v[14:15], v[14:15], v[20:21]
	v_pk_fma_f32 v[20:21], v[2:3], v[84:85], v[18:19] op_sel:[0,0,1] op_sel_hi:[1,1,0] neg_lo:[0,0,1] neg_hi:[0,0,1]
	v_pk_fma_f32 v[2:3], v[2:3], v[84:85], v[18:19] op_sel:[0,0,1] op_sel_hi:[1,0,0]
	v_mov_b32_e32 v21, v3
	v_pk_add_f32 v[2:3], v[14:15], v[20:21]
	v_mov_b32_e32 v14, v83
	v_pk_mul_f32 v[14:15], v[4:5], v[14:15] op_sel_hi:[1,0]
	v_pk_fma_f32 v[18:19], v[4:5], v[82:83], v[14:15] op_sel:[0,0,1] op_sel_hi:[1,1,0] neg_lo:[0,0,1] neg_hi:[0,0,1]
	v_pk_fma_f32 v[4:5], v[4:5], v[82:83], v[14:15] op_sel:[0,0,1] op_sel_hi:[1,0,0]
	v_mov_b32_e32 v4, v81
	v_mov_b32_e32 v19, v5
	s_waitcnt lgkmcnt(1)
	v_pk_mul_f32 v[4:5], v[8:9], v[4:5] op_sel_hi:[1,0]
	v_pk_fma_f32 v[14:15], v[8:9], v[80:81], v[4:5] op_sel:[0,0,1] op_sel_hi:[1,1,0] neg_lo:[0,0,1] neg_hi:[0,0,1]
	v_pk_fma_f32 v[4:5], v[8:9], v[80:81], v[4:5] op_sel:[0,0,1] op_sel_hi:[1,0,0]
	s_waitcnt vmcnt(1)
	v_mov_b32_e32 v4, v91
	v_mov_b32_e32 v15, v5
	v_pk_mul_f32 v[4:5], v[10:11], v[4:5] op_sel_hi:[1,0]
	s_waitcnt vmcnt(0)
	v_pk_fma_f32 v[8:9], v[10:11], v[90:91], v[4:5] op_sel:[0,0,1] op_sel_hi:[1,1,0] neg_lo:[0,0,1] neg_hi:[0,0,1]
	v_pk_fma_f32 v[4:5], v[10:11], v[90:91], v[4:5] op_sel:[0,0,1] op_sel_hi:[1,0,0]
	v_pk_add_f32 v[2:3], v[2:3], v[18:19]
	v_mov_b32_e32 v4, v89
	v_pk_add_f32 v[2:3], v[2:3], v[14:15]
	v_mov_b32_e32 v9, v5
	s_waitcnt lgkmcnt(0)
	v_pk_mul_f32 v[4:5], v[12:13], v[4:5] op_sel_hi:[1,0]
	v_pk_add_f32 v[2:3], v[2:3], v[8:9]
	v_pk_fma_f32 v[8:9], v[12:13], v[88:89], v[4:5] op_sel:[0,0,1] op_sel_hi:[1,1,0] neg_lo:[0,0,1] neg_hi:[0,0,1]
	v_pk_fma_f32 v[4:5], v[12:13], v[88:89], v[4:5] op_sel:[0,0,1] op_sel_hi:[1,0,0]
	v_mov_b32_e32 v9, v5
	v_pk_add_f32 v[2:3], v[2:3], v[8:9]
	v_pk_add_f32 v[2:3], v[6:7], v[2:3] neg_lo:[0,1] neg_hi:[0,1]
	buffer_store_dword v3, off, s[0:3], 0 offset:100
	buffer_store_dword v2, off, s[0:3], 0 offset:96
	s_and_saveexec_b64 s[4:5], vcc
	s_cbranch_execz .LBB49_291
; %bb.290:
	buffer_load_dword v2, off, s[0:3], 0 offset:88
	buffer_load_dword v3, off, s[0:3], 0 offset:92
	s_waitcnt vmcnt(0)
	ds_write_b64 v111, v[2:3]
	buffer_store_dword v16, off, s[0:3], 0 offset:88
	buffer_store_dword v16, off, s[0:3], 0 offset:92
.LBB49_291:
	s_or_b64 exec, exec, s[4:5]
	s_waitcnt lgkmcnt(0)
	; wave barrier
	s_waitcnt lgkmcnt(0)
	buffer_load_dword v17, off, s[0:3], 0 offset:100
	buffer_load_dword v72, off, s[0:3], 0 offset:108
	;; [unrolled: 1-line block ×32, first 2 shown]
	ds_read_b128 v[18:21], v16 offset:496
	ds_read_b128 v[6:9], v16 offset:512
	buffer_load_dword v198, off, s[0:3], 0 offset:216
	buffer_load_dword v199, off, s[0:3], 0 offset:220
	ds_read_b128 v[10:13], v16 offset:528
	ds_read_b128 v[2:5], v16 offset:544
	buffer_load_dword v200, off, s[0:3], 0 offset:224
	buffer_load_dword v201, off, s[0:3], 0 offset:228
	buffer_load_dword v202, off, s[0:3], 0 offset:232
	buffer_load_dword v203, off, s[0:3], 0 offset:236
	buffer_load_dword v204, off, s[0:3], 0 offset:240
	buffer_load_dword v205, off, s[0:3], 0 offset:244
	buffer_load_dword v206, off, s[0:3], 0 offset:248
	buffer_load_dword v207, off, s[0:3], 0 offset:252
	buffer_load_dword v208, off, s[0:3], 0 offset:256
	buffer_load_dword v209, off, s[0:3], 0 offset:260
	buffer_load_dword v210, off, s[0:3], 0 offset:264
	buffer_load_dword v211, off, s[0:3], 0 offset:268
	buffer_load_dword v212, off, s[0:3], 0 offset:272
	buffer_load_dword v213, off, s[0:3], 0 offset:276
	buffer_load_dword v214, off, s[0:3], 0 offset:280
	buffer_load_dword v215, off, s[0:3], 0 offset:284
	buffer_load_dword v216, off, s[0:3], 0 offset:288
	buffer_load_dword v217, off, s[0:3], 0 offset:292
	buffer_load_dword v218, off, s[0:3], 0 offset:296
	buffer_load_dword v219, off, s[0:3], 0 offset:300
	buffer_load_dword v220, off, s[0:3], 0 offset:304
	buffer_load_dword v221, off, s[0:3], 0 offset:308
	buffer_load_dword v222, off, s[0:3], 0 offset:312
	buffer_load_dword v223, off, s[0:3], 0 offset:316
	buffer_load_dword v224, off, s[0:3], 0 offset:320
	buffer_load_dword v225, off, s[0:3], 0 offset:324
	buffer_load_dword v226, off, s[0:3], 0 offset:328
	buffer_load_dword v227, off, s[0:3], 0 offset:332
	v_cmp_lt_u32_e32 vcc, 10, v0
	s_waitcnt vmcnt(61) lgkmcnt(3)
	v_mul_f32_e32 v22, v18, v17
	s_waitcnt vmcnt(60)
	v_mul_f32_e32 v23, v20, v72
	s_waitcnt vmcnt(59) lgkmcnt(2)
	v_mul_f32_e32 v24, v6, v74
	s_waitcnt vmcnt(58)
	v_mul_f32_e32 v25, v8, v76
	;; [unrolled: 4-line block ×3, first 2 shown]
	s_waitcnt vmcnt(55) lgkmcnt(0)
	v_mul_f32_e32 v28, v2, v94
	s_waitcnt vmcnt(54)
	v_fmac_f32_e32 v22, v19, v95
	s_waitcnt vmcnt(53)
	v_fmac_f32_e32 v23, v21, v96
	v_add_f32_e32 v22, 0, v22
	s_waitcnt vmcnt(52)
	v_fmac_f32_e32 v24, v7, v97
	v_add_f32_e32 v22, v22, v23
	;; [unrolled: 3-line block ×6, first 2 shown]
	v_add_f32_e32 v26, v22, v28
	ds_read_b128 v[22:25], v16 offset:560
	s_waitcnt vmcnt(47)
	v_mul_f32_e32 v27, v4, v102
	s_waitcnt vmcnt(46)
	v_fmac_f32_e32 v27, v5, v103
	v_add_f32_e32 v30, v26, v27
	ds_read_b128 v[26:29], v16 offset:576
	s_waitcnt vmcnt(45) lgkmcnt(1)
	v_mul_f32_e32 v31, v22, v184
	s_waitcnt vmcnt(44)
	v_fmac_f32_e32 v31, v23, v185
	v_add_f32_e32 v30, v30, v31
	s_waitcnt vmcnt(43)
	v_mul_f32_e32 v31, v24, v186
	s_waitcnt vmcnt(42)
	v_fmac_f32_e32 v31, v25, v187
	v_add_f32_e32 v30, v30, v31
	s_waitcnt vmcnt(41) lgkmcnt(0)
	v_mul_f32_e32 v31, v26, v188
	s_waitcnt vmcnt(40)
	v_fmac_f32_e32 v31, v27, v189
	v_add_f32_e32 v34, v30, v31
	ds_read_b128 v[30:33], v16 offset:592
	s_waitcnt vmcnt(39)
	v_mul_f32_e32 v35, v28, v190
	s_waitcnt vmcnt(38)
	v_fmac_f32_e32 v35, v29, v191
	v_add_f32_e32 v38, v34, v35
	ds_read_b128 v[34:37], v16 offset:608
	s_waitcnt vmcnt(35) lgkmcnt(1)
	v_mul_f32_e32 v39, v30, v192
	s_waitcnt vmcnt(34)
	v_fmac_f32_e32 v39, v31, v193
	v_add_f32_e32 v38, v38, v39
	s_waitcnt vmcnt(32)
	v_mul_f32_e32 v39, v32, v195
	v_fmac_f32_e32 v39, v33, v194
	v_add_f32_e32 v38, v38, v39
	s_waitcnt vmcnt(30) lgkmcnt(0)
	v_mul_f32_e32 v39, v34, v197
	v_fmac_f32_e32 v39, v35, v196
	v_add_f32_e32 v42, v38, v39
	ds_read_b128 v[38:41], v16 offset:624
	s_waitcnt vmcnt(28)
	v_mul_f32_e32 v43, v36, v199
	v_fmac_f32_e32 v43, v37, v198
	v_add_f32_e32 v46, v42, v43
	ds_read_b128 v[42:45], v16 offset:640
	s_waitcnt vmcnt(26) lgkmcnt(1)
	v_mul_f32_e32 v47, v38, v201
	v_fmac_f32_e32 v47, v39, v200
	v_add_f32_e32 v46, v46, v47
	s_waitcnt vmcnt(24)
	v_mul_f32_e32 v47, v40, v203
	v_fmac_f32_e32 v47, v41, v202
	v_add_f32_e32 v46, v46, v47
	s_waitcnt vmcnt(22) lgkmcnt(0)
	v_mul_f32_e32 v47, v42, v205
	v_fmac_f32_e32 v47, v43, v204
	v_add_f32_e32 v50, v46, v47
	ds_read_b128 v[46:49], v16 offset:656
	s_waitcnt vmcnt(20)
	v_mul_f32_e32 v51, v44, v207
	v_fmac_f32_e32 v51, v45, v206
	v_add_f32_e32 v54, v50, v51
	ds_read_b128 v[50:53], v16 offset:672
	s_waitcnt vmcnt(18) lgkmcnt(1)
	v_mul_f32_e32 v55, v46, v209
	v_fmac_f32_e32 v55, v47, v208
	v_add_f32_e32 v54, v54, v55
	s_waitcnt vmcnt(16)
	v_mul_f32_e32 v55, v48, v211
	v_fmac_f32_e32 v55, v49, v210
	v_add_f32_e32 v54, v54, v55
	s_waitcnt vmcnt(14) lgkmcnt(0)
	v_mul_f32_e32 v55, v50, v213
	v_fmac_f32_e32 v55, v51, v212
	v_add_f32_e32 v58, v54, v55
	ds_read_b128 v[54:57], v16 offset:688
	s_waitcnt vmcnt(12)
	v_mul_f32_e32 v59, v52, v215
	v_fmac_f32_e32 v59, v53, v214
	v_add_f32_e32 v62, v58, v59
	ds_read_b128 v[58:61], v16 offset:704
	buffer_load_dword v71, off, s[0:3], 0 offset:340
	buffer_load_dword v70, off, s[0:3], 0 offset:336
	s_waitcnt vmcnt(12) lgkmcnt(1)
	v_mul_f32_e32 v63, v54, v217
	v_fmac_f32_e32 v63, v55, v216
	v_add_f32_e32 v62, v62, v63
	s_waitcnt vmcnt(10)
	v_mul_f32_e32 v63, v56, v219
	v_fmac_f32_e32 v63, v57, v218
	v_add_f32_e32 v62, v62, v63
	s_waitcnt vmcnt(8) lgkmcnt(0)
	v_mul_f32_e32 v63, v58, v221
	v_fmac_f32_e32 v63, v59, v220
	s_waitcnt vmcnt(6)
	v_mul_f32_e32 v67, v60, v223
	v_add_f32_e32 v66, v62, v63
	v_fmac_f32_e32 v67, v61, v222
	ds_read_b128 v[62:65], v16 offset:720
	v_add_f32_e32 v73, v66, v67
	ds_read_b128 v[66:69], v16 offset:736
	buffer_load_dword v79, off, s[0:3], 0 offset:372
	buffer_load_dword v78, off, s[0:3], 0 offset:368
	;; [unrolled: 1-line block ×14, first 2 shown]
	v_mul_f32_e32 v17, v19, v17
	v_fma_f32 v17, v18, v95, -v17
	v_mul_f32_e32 v18, v21, v72
	v_add_f32_e32 v17, 0, v17
	v_fma_f32 v18, v20, v96, -v18
	v_mul_f32_e32 v7, v7, v74
	v_add_f32_e32 v17, v17, v18
	v_fma_f32 v6, v6, v97, -v7
	v_mul_f32_e32 v7, v9, v76
	v_add_f32_e32 v6, v17, v6
	v_fma_f32 v7, v8, v98, -v7
	v_add_f32_e32 v6, v6, v7
	v_mul_f32_e32 v7, v11, v92
	v_fma_f32 v7, v10, v99, -v7
	v_add_f32_e32 v6, v6, v7
	v_mul_f32_e32 v7, v13, v93
	v_fma_f32 v7, v12, v100, -v7
	v_mul_f32_e32 v3, v3, v94
	v_add_f32_e32 v6, v6, v7
	v_fma_f32 v2, v2, v101, -v3
	v_mul_f32_e32 v3, v5, v102
	v_add_f32_e32 v2, v6, v2
	v_fma_f32 v3, v4, v103, -v3
	v_add_f32_e32 v2, v2, v3
	v_mul_f32_e32 v3, v23, v184
	v_fma_f32 v3, v22, v185, -v3
	v_add_f32_e32 v2, v2, v3
	v_mul_f32_e32 v3, v25, v186
	;; [unrolled: 3-line block ×20, first 2 shown]
	v_fma_f32 v3, v60, v222, -v3
	s_waitcnt vmcnt(15)
	v_mov_b32_e32 v18, v71
	s_waitcnt lgkmcnt(1)
	v_mul_f32_e32 v75, v62, v225
	v_add_f32_e32 v72, v2, v3
	v_mul_f32_e32 v2, v63, v225
	s_waitcnt lgkmcnt(0)
	v_pk_mul_f32 v[18:19], v[66:67], v[18:19] op_sel_hi:[1,0]
	v_fmac_f32_e32 v75, v63, v224
	v_mul_f32_e32 v77, v64, v227
	v_fma_f32 v74, v62, v224, -v2
	v_mul_f32_e32 v2, v65, v227
	s_waitcnt vmcnt(14)
	v_pk_fma_f32 v[20:21], v[66:67], v[70:71], v[18:19] op_sel:[0,0,1] op_sel_hi:[1,1,0] neg_lo:[0,0,1] neg_hi:[0,0,1]
	v_pk_fma_f32 v[18:19], v[66:67], v[70:71], v[18:19] op_sel:[0,0,1] op_sel_hi:[1,0,0]
	v_fmac_f32_e32 v77, v65, v226
	v_fma_f32 v76, v64, v226, -v2
	ds_read_b128 v[2:5], v16 offset:752
	ds_read_b128 v[6:9], v16 offset:768
	;; [unrolled: 1-line block ×3, first 2 shown]
	v_pk_add_f32 v[16:17], v[72:73], v[74:75]
	s_waitcnt vmcnt(7)
	v_mov_b32_e32 v18, v85
	v_pk_add_f32 v[16:17], v[16:17], v[76:77]
	v_mov_b32_e32 v21, v19
	v_pk_mul_f32 v[18:19], v[68:69], v[18:19] op_sel_hi:[1,0]
	v_pk_add_f32 v[16:17], v[16:17], v[20:21]
	s_waitcnt vmcnt(6)
	v_pk_fma_f32 v[20:21], v[68:69], v[84:85], v[18:19] op_sel:[0,0,1] op_sel_hi:[1,1,0] neg_lo:[0,0,1] neg_hi:[0,0,1]
	v_pk_fma_f32 v[18:19], v[68:69], v[84:85], v[18:19] op_sel:[0,0,1] op_sel_hi:[1,0,0]
	v_mov_b32_e32 v18, v83
	v_mov_b32_e32 v21, v19
	s_waitcnt lgkmcnt(2)
	v_pk_mul_f32 v[18:19], v[2:3], v[18:19] op_sel_hi:[1,0]
	v_pk_add_f32 v[16:17], v[16:17], v[20:21]
	v_pk_fma_f32 v[20:21], v[2:3], v[82:83], v[18:19] op_sel:[0,0,1] op_sel_hi:[1,1,0] neg_lo:[0,0,1] neg_hi:[0,0,1]
	v_pk_fma_f32 v[2:3], v[2:3], v[82:83], v[18:19] op_sel:[0,0,1] op_sel_hi:[1,0,0]
	v_mov_b32_e32 v21, v3
	v_pk_add_f32 v[2:3], v[16:17], v[20:21]
	v_mov_b32_e32 v16, v81
	v_pk_mul_f32 v[16:17], v[4:5], v[16:17] op_sel_hi:[1,0]
	v_pk_fma_f32 v[18:19], v[4:5], v[80:81], v[16:17] op_sel:[0,0,1] op_sel_hi:[1,1,0] neg_lo:[0,0,1] neg_hi:[0,0,1]
	v_pk_fma_f32 v[4:5], v[4:5], v[80:81], v[16:17] op_sel:[0,0,1] op_sel_hi:[1,0,0]
	v_mov_b32_e32 v4, v79
	v_mov_b32_e32 v19, v5
	s_waitcnt lgkmcnt(1)
	v_pk_mul_f32 v[4:5], v[6:7], v[4:5] op_sel_hi:[1,0]
	v_pk_fma_f32 v[16:17], v[6:7], v[78:79], v[4:5] op_sel:[0,0,1] op_sel_hi:[1,1,0] neg_lo:[0,0,1] neg_hi:[0,0,1]
	v_pk_fma_f32 v[4:5], v[6:7], v[78:79], v[4:5] op_sel:[0,0,1] op_sel_hi:[1,0,0]
	s_waitcnt vmcnt(1)
	v_mov_b32_e32 v4, v91
	v_mov_b32_e32 v17, v5
	v_pk_mul_f32 v[4:5], v[8:9], v[4:5] op_sel_hi:[1,0]
	s_waitcnt vmcnt(0)
	v_pk_fma_f32 v[6:7], v[8:9], v[90:91], v[4:5] op_sel:[0,0,1] op_sel_hi:[1,1,0] neg_lo:[0,0,1] neg_hi:[0,0,1]
	v_pk_fma_f32 v[4:5], v[8:9], v[90:91], v[4:5] op_sel:[0,0,1] op_sel_hi:[1,0,0]
	v_pk_add_f32 v[2:3], v[2:3], v[18:19]
	v_mov_b32_e32 v4, v89
	v_pk_add_f32 v[2:3], v[2:3], v[16:17]
	v_mov_b32_e32 v7, v5
	s_waitcnt lgkmcnt(0)
	v_pk_mul_f32 v[4:5], v[10:11], v[4:5] op_sel_hi:[1,0]
	v_pk_add_f32 v[2:3], v[2:3], v[6:7]
	v_pk_fma_f32 v[6:7], v[10:11], v[88:89], v[4:5] op_sel:[0,0,1] op_sel_hi:[1,1,0] neg_lo:[0,0,1] neg_hi:[0,0,1]
	v_pk_fma_f32 v[4:5], v[10:11], v[88:89], v[4:5] op_sel:[0,0,1] op_sel_hi:[1,0,0]
	v_mov_b32_e32 v4, v87
	v_mov_b32_e32 v7, v5
	v_pk_mul_f32 v[4:5], v[12:13], v[4:5] op_sel_hi:[1,0]
	v_pk_add_f32 v[2:3], v[2:3], v[6:7]
	v_pk_fma_f32 v[6:7], v[12:13], v[86:87], v[4:5] op_sel:[0,0,1] op_sel_hi:[1,1,0] neg_lo:[0,0,1] neg_hi:[0,0,1]
	v_pk_fma_f32 v[4:5], v[12:13], v[86:87], v[4:5] op_sel:[0,0,1] op_sel_hi:[1,0,0]
	v_mov_b32_e32 v7, v5
	v_pk_add_f32 v[2:3], v[2:3], v[6:7]
	v_pk_add_f32 v[2:3], v[14:15], v[2:3] neg_lo:[0,1] neg_hi:[0,1]
	buffer_store_dword v3, off, s[0:3], 0 offset:92
	buffer_store_dword v2, off, s[0:3], 0 offset:88
	s_and_saveexec_b64 s[4:5], vcc
	s_cbranch_execz .LBB49_293
; %bb.292:
	buffer_load_dword v2, off, s[0:3], 0 offset:80
	buffer_load_dword v3, off, s[0:3], 0 offset:84
	v_mov_b32_e32 v4, 0
	buffer_store_dword v4, off, s[0:3], 0 offset:80
	buffer_store_dword v4, off, s[0:3], 0 offset:84
	s_waitcnt vmcnt(2)
	ds_write_b64 v111, v[2:3]
.LBB49_293:
	s_or_b64 exec, exec, s[4:5]
	s_waitcnt lgkmcnt(0)
	; wave barrier
	s_waitcnt lgkmcnt(0)
	buffer_load_dword v21, off, s[0:3], 0 offset:92
	buffer_load_dword v70, off, s[0:3], 0 offset:100
	;; [unrolled: 1-line block ×48, first 2 shown]
	v_mov_b32_e32 v20, 0
	ds_read2_b64 v[4:7], v20 offset0:61 offset1:62
	buffer_load_dword v214, off, s[0:3], 0 offset:272
	buffer_load_dword v215, off, s[0:3], 0 offset:276
	;; [unrolled: 1-line block ×8, first 2 shown]
	ds_read2_b64 v[8:11], v20 offset0:63 offset1:64
	ds_read2_b64 v[12:15], v20 offset0:65 offset1:66
	;; [unrolled: 1-line block ×3, first 2 shown]
	buffer_load_dword v222, off, s[0:3], 0 offset:304
	buffer_load_dword v223, off, s[0:3], 0 offset:308
	;; [unrolled: 1-line block ×8, first 2 shown]
	v_cmp_lt_u32_e32 vcc, 9, v0
	s_waitcnt vmcnt(62) lgkmcnt(3)
	v_mul_f32_e32 v22, v4, v21
	v_mul_f32_e32 v23, v6, v70
	s_waitcnt vmcnt(61) lgkmcnt(2)
	v_mul_f32_e32 v24, v8, v72
	s_waitcnt vmcnt(60)
	v_mul_f32_e32 v25, v10, v74
	s_waitcnt vmcnt(59) lgkmcnt(1)
	v_mul_f32_e32 v26, v12, v92
	s_waitcnt vmcnt(58)
	;; [unrolled: 4-line block ×3, first 2 shown]
	v_fmac_f32_e32 v22, v5, v95
	s_waitcnt vmcnt(55)
	v_fmac_f32_e32 v23, v7, v96
	v_add_f32_e32 v22, 0, v22
	s_waitcnt vmcnt(54)
	v_fmac_f32_e32 v24, v9, v97
	v_add_f32_e32 v22, v22, v23
	;; [unrolled: 3-line block ×6, first 2 shown]
	v_add_f32_e32 v26, v22, v28
	ds_read2_b64 v[22:25], v20 offset0:69 offset1:70
	s_waitcnt vmcnt(49)
	v_mul_f32_e32 v27, v18, v102
	s_waitcnt vmcnt(48)
	v_fmac_f32_e32 v27, v19, v103
	v_add_f32_e32 v30, v26, v27
	ds_read2_b64 v[26:29], v20 offset0:71 offset1:72
	s_waitcnt vmcnt(47) lgkmcnt(1)
	v_mul_f32_e32 v31, v22, v184
	s_waitcnt vmcnt(46)
	v_fmac_f32_e32 v31, v23, v185
	v_add_f32_e32 v30, v30, v31
	s_waitcnt vmcnt(45)
	v_mul_f32_e32 v31, v24, v186
	s_waitcnt vmcnt(44)
	v_fmac_f32_e32 v31, v25, v187
	v_add_f32_e32 v30, v30, v31
	s_waitcnt vmcnt(42) lgkmcnt(0)
	v_mul_f32_e32 v31, v26, v189
	v_fmac_f32_e32 v31, v27, v188
	v_add_f32_e32 v34, v30, v31
	ds_read2_b64 v[30:33], v20 offset0:73 offset1:74
	s_waitcnt vmcnt(38)
	v_mul_f32_e32 v35, v28, v191
	v_fmac_f32_e32 v35, v29, v190
	v_add_f32_e32 v38, v34, v35
	ds_read2_b64 v[34:37], v20 offset0:75 offset1:76
	s_waitcnt vmcnt(36) lgkmcnt(1)
	v_mul_f32_e32 v39, v30, v193
	v_fmac_f32_e32 v39, v31, v192
	v_add_f32_e32 v38, v38, v39
	s_waitcnt vmcnt(34)
	v_mul_f32_e32 v39, v32, v195
	v_fmac_f32_e32 v39, v33, v194
	v_add_f32_e32 v38, v38, v39
	s_waitcnt vmcnt(32) lgkmcnt(0)
	v_mul_f32_e32 v39, v34, v197
	v_fmac_f32_e32 v39, v35, v196
	v_add_f32_e32 v42, v38, v39
	ds_read2_b64 v[38:41], v20 offset0:77 offset1:78
	s_waitcnt vmcnt(30)
	v_mul_f32_e32 v43, v36, v199
	v_fmac_f32_e32 v43, v37, v198
	v_add_f32_e32 v46, v42, v43
	ds_read2_b64 v[42:45], v20 offset0:79 offset1:80
	s_waitcnt vmcnt(28) lgkmcnt(1)
	v_mul_f32_e32 v47, v38, v201
	v_fmac_f32_e32 v47, v39, v200
	v_add_f32_e32 v46, v46, v47
	s_waitcnt vmcnt(26)
	v_mul_f32_e32 v47, v40, v203
	;; [unrolled: 18-line block ×4, first 2 shown]
	v_fmac_f32_e32 v63, v57, v218
	v_add_f32_e32 v62, v62, v63
	s_waitcnt vmcnt(8) lgkmcnt(0)
	v_mul_f32_e32 v63, v58, v221
	v_fmac_f32_e32 v63, v59, v220
	s_waitcnt vmcnt(6)
	v_mul_f32_e32 v67, v60, v223
	v_add_f32_e32 v66, v62, v63
	v_fmac_f32_e32 v67, v61, v222
	ds_read2_b64 v[62:65], v20 offset0:89 offset1:90
	v_add_f32_e32 v71, v66, v67
	ds_read2_b64 v[66:69], v20 offset0:91 offset1:92
	buffer_load_dword v77, off, s[0:3], 0 offset:364
	buffer_load_dword v76, off, s[0:3], 0 offset:360
	;; [unrolled: 1-line block ×16, first 2 shown]
	v_mul_f32_e32 v5, v5, v21
	v_fma_f32 v4, v4, v95, -v5
	v_mul_f32_e32 v5, v7, v70
	v_add_f32_e32 v4, 0, v4
	v_fma_f32 v5, v6, v96, -v5
	v_add_f32_e32 v4, v4, v5
	v_mul_f32_e32 v5, v9, v72
	v_fma_f32 v5, v8, v97, -v5
	v_add_f32_e32 v4, v4, v5
	v_mul_f32_e32 v5, v11, v74
	v_fma_f32 v5, v10, v98, -v5
	v_add_f32_e32 v4, v4, v5
	v_mul_f32_e32 v5, v13, v92
	v_fma_f32 v5, v12, v99, -v5
	v_add_f32_e32 v4, v4, v5
	v_mul_f32_e32 v5, v15, v93
	v_fma_f32 v5, v14, v100, -v5
	v_add_f32_e32 v4, v4, v5
	v_mul_f32_e32 v5, v17, v94
	v_fma_f32 v5, v16, v101, -v5
	v_add_f32_e32 v4, v4, v5
	v_mul_f32_e32 v5, v19, v102
	v_fma_f32 v5, v18, v103, -v5
	v_add_f32_e32 v4, v4, v5
	v_mul_f32_e32 v5, v23, v184
	v_fma_f32 v5, v22, v185, -v5
	v_add_f32_e32 v4, v4, v5
	v_mul_f32_e32 v5, v25, v186
	v_fma_f32 v5, v24, v187, -v5
	v_add_f32_e32 v4, v4, v5
	v_mul_f32_e32 v5, v27, v189
	v_fma_f32 v5, v26, v188, -v5
	v_add_f32_e32 v4, v4, v5
	v_mul_f32_e32 v5, v29, v191
	v_fma_f32 v5, v28, v190, -v5
	v_add_f32_e32 v4, v4, v5
	v_mul_f32_e32 v5, v31, v193
	v_fma_f32 v5, v30, v192, -v5
	v_add_f32_e32 v4, v4, v5
	v_mul_f32_e32 v5, v33, v195
	v_fma_f32 v5, v32, v194, -v5
	v_add_f32_e32 v4, v4, v5
	v_mul_f32_e32 v5, v35, v197
	v_fma_f32 v5, v34, v196, -v5
	v_add_f32_e32 v4, v4, v5
	v_mul_f32_e32 v5, v37, v199
	v_fma_f32 v5, v36, v198, -v5
	v_add_f32_e32 v4, v4, v5
	v_mul_f32_e32 v5, v39, v201
	v_fma_f32 v5, v38, v200, -v5
	v_add_f32_e32 v4, v4, v5
	v_mul_f32_e32 v5, v41, v203
	v_fma_f32 v5, v40, v202, -v5
	v_add_f32_e32 v4, v4, v5
	v_mul_f32_e32 v5, v43, v205
	v_fma_f32 v5, v42, v204, -v5
	v_add_f32_e32 v4, v4, v5
	v_mul_f32_e32 v5, v45, v207
	v_fma_f32 v5, v44, v206, -v5
	v_add_f32_e32 v4, v4, v5
	v_mul_f32_e32 v5, v47, v209
	v_fma_f32 v5, v46, v208, -v5
	v_add_f32_e32 v4, v4, v5
	v_mul_f32_e32 v5, v49, v211
	v_fma_f32 v5, v48, v210, -v5
	v_add_f32_e32 v4, v4, v5
	v_mul_f32_e32 v5, v51, v213
	v_fma_f32 v5, v50, v212, -v5
	v_add_f32_e32 v4, v4, v5
	v_mul_f32_e32 v5, v53, v215
	v_fma_f32 v5, v52, v214, -v5
	v_add_f32_e32 v4, v4, v5
	v_mul_f32_e32 v5, v55, v217
	v_fma_f32 v5, v54, v216, -v5
	v_add_f32_e32 v4, v4, v5
	v_mul_f32_e32 v5, v57, v219
	v_fma_f32 v5, v56, v218, -v5
	v_add_f32_e32 v4, v4, v5
	v_mul_f32_e32 v5, v59, v221
	v_fma_f32 v5, v58, v220, -v5
	v_add_f32_e32 v4, v4, v5
	v_mul_f32_e32 v5, v61, v223
	v_fma_f32 v5, v60, v222, -v5
	v_add_f32_e32 v4, v4, v5
	s_waitcnt vmcnt(20) lgkmcnt(1)
	v_mul_f32_e32 v5, v63, v225
	v_mul_f32_e32 v73, v62, v225
	v_fma_f32 v5, v62, v224, -v5
	v_fmac_f32_e32 v73, v63, v224
	v_add_f32_e32 v70, v4, v5
	s_waitcnt vmcnt(18)
	v_mul_f32_e32 v4, v65, v227
	s_waitcnt vmcnt(9)
	v_mov_b32_e32 v22, v83
	v_add_f32_e32 v71, v71, v73
	v_mul_f32_e32 v73, v64, v227
	v_fma_f32 v72, v64, v226, -v4
	s_waitcnt lgkmcnt(0)
	v_mul_f32_e32 v4, v67, v229
	v_pk_mul_f32 v[22:23], v[68:69], v[22:23] op_sel_hi:[1,0]
	v_fmac_f32_e32 v73, v65, v226
	v_mul_f32_e32 v75, v66, v229
	v_fma_f32 v74, v66, v228, -v4
	ds_read2_b64 v[4:7], v20 offset0:93 offset1:94
	ds_read2_b64 v[8:11], v20 offset0:95 offset1:96
	;; [unrolled: 1-line block ×3, first 2 shown]
	ds_read_b64 v[16:17], v20 offset:792
	s_waitcnt vmcnt(8)
	v_pk_fma_f32 v[24:25], v[68:69], v[82:83], v[22:23] op_sel:[0,0,1] op_sel_hi:[1,1,0] neg_lo:[0,0,1] neg_hi:[0,0,1]
	v_pk_fma_f32 v[22:23], v[68:69], v[82:83], v[22:23] op_sel:[0,0,1] op_sel_hi:[1,0,0]
	v_fmac_f32_e32 v75, v67, v228
	v_pk_add_f32 v[18:19], v[70:71], v[72:73]
	v_mov_b32_e32 v22, v81
	v_pk_add_f32 v[18:19], v[18:19], v[74:75]
	v_mov_b32_e32 v25, v23
	s_waitcnt lgkmcnt(3)
	v_pk_mul_f32 v[22:23], v[4:5], v[22:23] op_sel_hi:[1,0]
	v_pk_add_f32 v[18:19], v[18:19], v[24:25]
	v_pk_fma_f32 v[24:25], v[4:5], v[80:81], v[22:23] op_sel:[0,0,1] op_sel_hi:[1,1,0] neg_lo:[0,0,1] neg_hi:[0,0,1]
	v_pk_fma_f32 v[4:5], v[4:5], v[80:81], v[22:23] op_sel:[0,0,1] op_sel_hi:[1,0,0]
	v_mov_b32_e32 v25, v5
	v_pk_add_f32 v[4:5], v[18:19], v[24:25]
	v_mov_b32_e32 v18, v79
	v_pk_mul_f32 v[18:19], v[6:7], v[18:19] op_sel_hi:[1,0]
	v_pk_fma_f32 v[22:23], v[6:7], v[78:79], v[18:19] op_sel:[0,0,1] op_sel_hi:[1,1,0] neg_lo:[0,0,1] neg_hi:[0,0,1]
	v_pk_fma_f32 v[6:7], v[6:7], v[78:79], v[18:19] op_sel:[0,0,1] op_sel_hi:[1,0,0]
	v_mov_b32_e32 v6, v77
	v_mov_b32_e32 v23, v7
	s_waitcnt lgkmcnt(2)
	v_pk_mul_f32 v[6:7], v[8:9], v[6:7] op_sel_hi:[1,0]
	v_pk_fma_f32 v[18:19], v[8:9], v[76:77], v[6:7] op_sel:[0,0,1] op_sel_hi:[1,1,0] neg_lo:[0,0,1] neg_hi:[0,0,1]
	v_pk_fma_f32 v[6:7], v[8:9], v[76:77], v[6:7] op_sel:[0,0,1] op_sel_hi:[1,0,0]
	s_waitcnt vmcnt(1)
	v_mov_b32_e32 v6, v91
	v_mov_b32_e32 v19, v7
	v_pk_mul_f32 v[6:7], v[10:11], v[6:7] op_sel_hi:[1,0]
	s_waitcnt vmcnt(0)
	v_pk_fma_f32 v[8:9], v[10:11], v[90:91], v[6:7] op_sel:[0,0,1] op_sel_hi:[1,1,0] neg_lo:[0,0,1] neg_hi:[0,0,1]
	v_pk_fma_f32 v[6:7], v[10:11], v[90:91], v[6:7] op_sel:[0,0,1] op_sel_hi:[1,0,0]
	v_pk_add_f32 v[4:5], v[4:5], v[22:23]
	v_mov_b32_e32 v6, v89
	v_pk_add_f32 v[4:5], v[4:5], v[18:19]
	v_mov_b32_e32 v9, v7
	s_waitcnt lgkmcnt(1)
	v_pk_mul_f32 v[6:7], v[12:13], v[6:7] op_sel_hi:[1,0]
	v_pk_add_f32 v[4:5], v[4:5], v[8:9]
	v_pk_fma_f32 v[8:9], v[12:13], v[88:89], v[6:7] op_sel:[0,0,1] op_sel_hi:[1,1,0] neg_lo:[0,0,1] neg_hi:[0,0,1]
	v_pk_fma_f32 v[6:7], v[12:13], v[88:89], v[6:7] op_sel:[0,0,1] op_sel_hi:[1,0,0]
	v_mov_b32_e32 v6, v87
	v_mov_b32_e32 v9, v7
	v_pk_mul_f32 v[6:7], v[14:15], v[6:7] op_sel_hi:[1,0]
	v_pk_add_f32 v[4:5], v[4:5], v[8:9]
	v_pk_fma_f32 v[8:9], v[14:15], v[86:87], v[6:7] op_sel:[0,0,1] op_sel_hi:[1,1,0] neg_lo:[0,0,1] neg_hi:[0,0,1]
	v_pk_fma_f32 v[6:7], v[14:15], v[86:87], v[6:7] op_sel:[0,0,1] op_sel_hi:[1,0,0]
	v_mov_b32_e32 v6, v85
	v_mov_b32_e32 v9, v7
	s_waitcnt lgkmcnt(0)
	v_pk_mul_f32 v[6:7], v[16:17], v[6:7] op_sel_hi:[1,0]
	v_pk_add_f32 v[4:5], v[4:5], v[8:9]
	v_pk_fma_f32 v[8:9], v[16:17], v[84:85], v[6:7] op_sel:[0,0,1] op_sel_hi:[1,1,0] neg_lo:[0,0,1] neg_hi:[0,0,1]
	v_pk_fma_f32 v[6:7], v[16:17], v[84:85], v[6:7] op_sel:[0,0,1] op_sel_hi:[1,0,0]
	v_mov_b32_e32 v9, v7
	v_pk_add_f32 v[4:5], v[4:5], v[8:9]
	v_pk_add_f32 v[2:3], v[2:3], v[4:5] neg_lo:[0,1] neg_hi:[0,1]
	buffer_store_dword v3, off, s[0:3], 0 offset:84
	buffer_store_dword v2, off, s[0:3], 0 offset:80
	s_and_saveexec_b64 s[4:5], vcc
	s_cbranch_execz .LBB49_295
; %bb.294:
	buffer_load_dword v2, off, s[0:3], 0 offset:72
	buffer_load_dword v3, off, s[0:3], 0 offset:76
	s_waitcnt vmcnt(0)
	ds_write_b64 v111, v[2:3]
	buffer_store_dword v20, off, s[0:3], 0 offset:72
	buffer_store_dword v20, off, s[0:3], 0 offset:76
.LBB49_295:
	s_or_b64 exec, exec, s[4:5]
	s_waitcnt lgkmcnt(0)
	; wave barrier
	s_waitcnt lgkmcnt(0)
	buffer_load_dword v21, off, s[0:3], 0 offset:84
	buffer_load_dword v70, off, s[0:3], 0 offset:92
	;; [unrolled: 1-line block ×26, first 2 shown]
	ds_read_b128 v[14:17], v20 offset:480
	ds_read_b128 v[6:9], v20 offset:496
	buffer_load_dword v192, off, s[0:3], 0 offset:176
	buffer_load_dword v193, off, s[0:3], 0 offset:180
	ds_read_b128 v[10:13], v20 offset:512
	ds_read_b128 v[2:5], v20 offset:528
	buffer_load_dword v194, off, s[0:3], 0 offset:184
	buffer_load_dword v195, off, s[0:3], 0 offset:188
	;; [unrolled: 1-line block ×32, first 2 shown]
	v_cmp_lt_u32_e32 vcc, 8, v0
	s_waitcnt vmcnt(59) lgkmcnt(3)
	v_mul_f32_e32 v22, v14, v21
	s_waitcnt vmcnt(58)
	v_mul_f32_e32 v23, v16, v70
	s_waitcnt vmcnt(57) lgkmcnt(2)
	v_mul_f32_e32 v24, v6, v72
	s_waitcnt vmcnt(56)
	v_mul_f32_e32 v25, v8, v80
	;; [unrolled: 4-line block ×4, first 2 shown]
	s_waitcnt vmcnt(51)
	v_fmac_f32_e32 v22, v15, v96
	s_waitcnt vmcnt(50)
	v_fmac_f32_e32 v23, v17, v97
	v_add_f32_e32 v22, 0, v22
	s_waitcnt vmcnt(49)
	v_fmac_f32_e32 v24, v7, v98
	v_add_f32_e32 v22, v22, v23
	;; [unrolled: 3-line block ×6, first 2 shown]
	v_add_f32_e32 v26, v22, v28
	ds_read_b128 v[22:25], v20 offset:544
	s_waitcnt vmcnt(44)
	v_fmac_f32_e32 v29, v5, v103
	buffer_load_dword v226, off, s[0:3], 0 offset:312
	buffer_load_dword v227, off, s[0:3], 0 offset:316
	v_add_f32_e32 v30, v26, v29
	buffer_load_dword v228, off, s[0:3], 0 offset:320
	buffer_load_dword v229, off, s[0:3], 0 offset:324
	ds_read_b128 v[26:29], v20 offset:560
	s_waitcnt vmcnt(47) lgkmcnt(1)
	v_mul_f32_e32 v31, v22, v184
	s_waitcnt vmcnt(46)
	v_fmac_f32_e32 v31, v23, v185
	v_add_f32_e32 v30, v30, v31
	s_waitcnt vmcnt(45)
	v_mul_f32_e32 v31, v24, v186
	s_waitcnt vmcnt(44)
	v_fmac_f32_e32 v31, v25, v187
	v_add_f32_e32 v30, v30, v31
	s_waitcnt vmcnt(41) lgkmcnt(0)
	v_mul_f32_e32 v31, v26, v188
	s_waitcnt vmcnt(40)
	v_fmac_f32_e32 v31, v27, v189
	buffer_load_dword v230, off, s[0:3], 0 offset:328
	buffer_load_dword v231, off, s[0:3], 0 offset:332
	v_add_f32_e32 v34, v30, v31
	ds_read_b128 v[30:33], v20 offset:576
	s_waitcnt vmcnt(40)
	v_mul_f32_e32 v35, v28, v191
	v_fmac_f32_e32 v35, v29, v190
	v_add_f32_e32 v38, v34, v35
	ds_read_b128 v[34:37], v20 offset:592
	s_waitcnt vmcnt(38) lgkmcnt(1)
	v_mul_f32_e32 v39, v30, v193
	v_fmac_f32_e32 v39, v31, v192
	v_add_f32_e32 v38, v38, v39
	s_waitcnt vmcnt(36)
	v_mul_f32_e32 v39, v32, v195
	v_fmac_f32_e32 v39, v33, v194
	v_add_f32_e32 v38, v38, v39
	s_waitcnt vmcnt(34) lgkmcnt(0)
	v_mul_f32_e32 v39, v34, v197
	v_fmac_f32_e32 v39, v35, v196
	v_add_f32_e32 v42, v38, v39
	ds_read_b128 v[38:41], v20 offset:608
	s_waitcnt vmcnt(32)
	v_mul_f32_e32 v43, v36, v199
	v_fmac_f32_e32 v43, v37, v198
	v_add_f32_e32 v46, v42, v43
	ds_read_b128 v[42:45], v20 offset:624
	s_waitcnt vmcnt(30) lgkmcnt(1)
	v_mul_f32_e32 v47, v38, v201
	v_fmac_f32_e32 v47, v39, v200
	v_add_f32_e32 v46, v46, v47
	s_waitcnt vmcnt(28)
	v_mul_f32_e32 v47, v40, v203
	v_fmac_f32_e32 v47, v41, v202
	v_add_f32_e32 v46, v46, v47
	s_waitcnt vmcnt(26) lgkmcnt(0)
	v_mul_f32_e32 v47, v42, v205
	v_fmac_f32_e32 v47, v43, v204
	;; [unrolled: 18-line block ×4, first 2 shown]
	s_waitcnt vmcnt(8)
	v_mul_f32_e32 v67, v60, v223
	v_add_f32_e32 v66, v62, v63
	v_fmac_f32_e32 v67, v61, v222
	ds_read_b128 v[62:65], v20 offset:704
	v_add_f32_e32 v71, v66, v67
	ds_read_b128 v[66:69], v20 offset:720
	buffer_load_dword v75, off, s[0:3], 0 offset:356
	buffer_load_dword v74, off, s[0:3], 0 offset:352
	;; [unrolled: 1-line block ×16, first 2 shown]
	v_mul_f32_e32 v15, v15, v21
	v_fma_f32 v14, v14, v96, -v15
	v_mul_f32_e32 v15, v17, v70
	v_add_f32_e32 v14, 0, v14
	v_fma_f32 v15, v16, v97, -v15
	v_mul_f32_e32 v7, v7, v72
	v_add_f32_e32 v14, v14, v15
	;; [unrolled: 3-line block ×3, first 2 shown]
	v_fma_f32 v7, v8, v99, -v7
	v_add_f32_e32 v6, v6, v7
	v_mul_f32_e32 v7, v11, v92
	v_fma_f32 v7, v10, v100, -v7
	v_add_f32_e32 v6, v6, v7
	v_mul_f32_e32 v7, v13, v93
	v_fma_f32 v7, v12, v101, -v7
	v_mul_f32_e32 v3, v3, v94
	v_add_f32_e32 v6, v6, v7
	v_fma_f32 v2, v2, v102, -v3
	v_mul_f32_e32 v3, v5, v95
	v_add_f32_e32 v2, v6, v2
	v_fma_f32 v3, v4, v103, -v3
	v_add_f32_e32 v2, v2, v3
	v_mul_f32_e32 v3, v23, v184
	v_fma_f32 v3, v22, v185, -v3
	v_add_f32_e32 v2, v2, v3
	v_mul_f32_e32 v3, v25, v186
	;; [unrolled: 3-line block ×20, first 2 shown]
	v_fma_f32 v3, v60, v222, -v3
	v_add_f32_e32 v2, v2, v3
	s_waitcnt vmcnt(22) lgkmcnt(1)
	v_mul_f32_e32 v3, v63, v225
	v_fma_f32 v3, v62, v224, -v3
	v_add_f32_e32 v2, v2, v3
	s_waitcnt vmcnt(20)
	v_mul_f32_e32 v3, v65, v227
	v_mul_f32_e32 v73, v62, v225
	v_fma_f32 v3, v64, v226, -v3
	v_fmac_f32_e32 v73, v63, v224
	v_add_f32_e32 v70, v2, v3
	s_waitcnt vmcnt(18) lgkmcnt(0)
	v_mul_f32_e32 v2, v67, v229
	v_add_f32_e32 v71, v71, v73
	v_mul_f32_e32 v73, v64, v227
	v_fma_f32 v72, v66, v228, -v2
	s_waitcnt vmcnt(16)
	v_mul_f32_e32 v2, v69, v231
	v_fmac_f32_e32 v73, v65, v226
	v_fma_f32 v80, v68, v230, -v2
	ds_read_b128 v[2:5], v20 offset:736
	ds_read_b128 v[6:9], v20 offset:752
	;; [unrolled: 1-line block ×4, first 2 shown]
	v_add_f32_e32 v71, v71, v73
	v_mul_f32_e32 v73, v66, v229
	s_waitcnt vmcnt(11)
	v_mov_b32_e32 v22, v79
	v_fmac_f32_e32 v73, v67, v228
	v_mul_f32_e32 v81, v68, v231
	s_waitcnt lgkmcnt(3)
	v_pk_mul_f32 v[22:23], v[2:3], v[22:23] op_sel_hi:[1,0]
	v_fmac_f32_e32 v81, v69, v230
	v_pk_add_f32 v[20:21], v[70:71], v[72:73]
	s_waitcnt vmcnt(10)
	v_pk_fma_f32 v[24:25], v[2:3], v[78:79], v[22:23] op_sel:[0,0,1] op_sel_hi:[1,1,0] neg_lo:[0,0,1] neg_hi:[0,0,1]
	v_pk_fma_f32 v[2:3], v[2:3], v[78:79], v[22:23] op_sel:[0,0,1] op_sel_hi:[1,0,0]
	v_pk_add_f32 v[20:21], v[20:21], v[80:81]
	v_mov_b32_e32 v25, v3
	v_pk_add_f32 v[2:3], v[20:21], v[24:25]
	v_mov_b32_e32 v20, v77
	v_pk_mul_f32 v[20:21], v[4:5], v[20:21] op_sel_hi:[1,0]
	v_pk_fma_f32 v[22:23], v[4:5], v[76:77], v[20:21] op_sel:[0,0,1] op_sel_hi:[1,1,0] neg_lo:[0,0,1] neg_hi:[0,0,1]
	v_pk_fma_f32 v[4:5], v[4:5], v[76:77], v[20:21] op_sel:[0,0,1] op_sel_hi:[1,0,0]
	v_mov_b32_e32 v4, v75
	v_mov_b32_e32 v23, v5
	s_waitcnt lgkmcnt(2)
	v_pk_mul_f32 v[4:5], v[6:7], v[4:5] op_sel_hi:[1,0]
	v_pk_fma_f32 v[20:21], v[6:7], v[74:75], v[4:5] op_sel:[0,0,1] op_sel_hi:[1,1,0] neg_lo:[0,0,1] neg_hi:[0,0,1]
	v_pk_fma_f32 v[4:5], v[6:7], v[74:75], v[4:5] op_sel:[0,0,1] op_sel_hi:[1,0,0]
	s_waitcnt vmcnt(3)
	v_mov_b32_e32 v4, v89
	v_mov_b32_e32 v21, v5
	v_pk_mul_f32 v[4:5], v[8:9], v[4:5] op_sel_hi:[1,0]
	s_waitcnt vmcnt(2)
	v_pk_fma_f32 v[6:7], v[8:9], v[88:89], v[4:5] op_sel:[0,0,1] op_sel_hi:[1,1,0] neg_lo:[0,0,1] neg_hi:[0,0,1]
	v_pk_fma_f32 v[4:5], v[8:9], v[88:89], v[4:5] op_sel:[0,0,1] op_sel_hi:[1,0,0]
	v_pk_add_f32 v[2:3], v[2:3], v[22:23]
	v_mov_b32_e32 v4, v87
	v_pk_add_f32 v[2:3], v[2:3], v[20:21]
	v_mov_b32_e32 v7, v5
	s_waitcnt lgkmcnt(1)
	v_pk_mul_f32 v[4:5], v[10:11], v[4:5] op_sel_hi:[1,0]
	v_pk_add_f32 v[2:3], v[2:3], v[6:7]
	v_pk_fma_f32 v[6:7], v[10:11], v[86:87], v[4:5] op_sel:[0,0,1] op_sel_hi:[1,1,0] neg_lo:[0,0,1] neg_hi:[0,0,1]
	v_pk_fma_f32 v[4:5], v[10:11], v[86:87], v[4:5] op_sel:[0,0,1] op_sel_hi:[1,0,0]
	v_mov_b32_e32 v4, v85
	v_mov_b32_e32 v7, v5
	v_pk_mul_f32 v[4:5], v[12:13], v[4:5] op_sel_hi:[1,0]
	v_pk_add_f32 v[2:3], v[2:3], v[6:7]
	v_pk_fma_f32 v[6:7], v[12:13], v[84:85], v[4:5] op_sel:[0,0,1] op_sel_hi:[1,1,0] neg_lo:[0,0,1] neg_hi:[0,0,1]
	v_pk_fma_f32 v[4:5], v[12:13], v[84:85], v[4:5] op_sel:[0,0,1] op_sel_hi:[1,0,0]
	v_mov_b32_e32 v4, v83
	v_mov_b32_e32 v7, v5
	s_waitcnt lgkmcnt(0)
	v_pk_mul_f32 v[4:5], v[14:15], v[4:5] op_sel_hi:[1,0]
	v_pk_add_f32 v[2:3], v[2:3], v[6:7]
	v_pk_fma_f32 v[6:7], v[14:15], v[82:83], v[4:5] op_sel:[0,0,1] op_sel_hi:[1,1,0] neg_lo:[0,0,1] neg_hi:[0,0,1]
	v_pk_fma_f32 v[4:5], v[14:15], v[82:83], v[4:5] op_sel:[0,0,1] op_sel_hi:[1,0,0]
	s_waitcnt vmcnt(1)
	v_mov_b32_e32 v4, v91
	v_mov_b32_e32 v7, v5
	v_pk_mul_f32 v[4:5], v[16:17], v[4:5] op_sel_hi:[1,0]
	v_pk_add_f32 v[2:3], v[2:3], v[6:7]
	s_waitcnt vmcnt(0)
	v_pk_fma_f32 v[6:7], v[16:17], v[90:91], v[4:5] op_sel:[0,0,1] op_sel_hi:[1,1,0] neg_lo:[0,0,1] neg_hi:[0,0,1]
	v_pk_fma_f32 v[4:5], v[16:17], v[90:91], v[4:5] op_sel:[0,0,1] op_sel_hi:[1,0,0]
	v_mov_b32_e32 v7, v5
	v_pk_add_f32 v[2:3], v[2:3], v[6:7]
	v_pk_add_f32 v[2:3], v[18:19], v[2:3] neg_lo:[0,1] neg_hi:[0,1]
	buffer_store_dword v3, off, s[0:3], 0 offset:76
	buffer_store_dword v2, off, s[0:3], 0 offset:72
	s_and_saveexec_b64 s[4:5], vcc
	s_cbranch_execz .LBB49_297
; %bb.296:
	buffer_load_dword v2, off, s[0:3], 0 offset:64
	buffer_load_dword v3, off, s[0:3], 0 offset:68
	v_mov_b32_e32 v4, 0
	buffer_store_dword v4, off, s[0:3], 0 offset:64
	buffer_store_dword v4, off, s[0:3], 0 offset:68
	s_waitcnt vmcnt(2)
	ds_write_b64 v111, v[2:3]
.LBB49_297:
	s_or_b64 exec, exec, s[4:5]
	v_mov_b32_e32 v194, 0
	s_waitcnt lgkmcnt(0)
	; wave barrier
	s_waitcnt lgkmcnt(0)
	ds_read2_b64 v[2:5], v194 offset0:59 offset1:60
	buffer_load_dword v70, off, s[0:3], 0 offset:64
	buffer_load_dword v71, off, s[0:3], 0 offset:68
	buffer_load_dword v72, off, s[0:3], 0 offset:72
	buffer_load_dword v195, off, s[0:3], 0 offset:76
	buffer_load_dword v74, off, s[0:3], 0 offset:80
	buffer_load_dword v197, off, s[0:3], 0 offset:84
	buffer_load_dword v78, off, s[0:3], 0 offset:88
	buffer_load_dword v199, off, s[0:3], 0 offset:92
	buffer_load_dword v196, off, s[0:3], 0 offset:96
	buffer_load_dword v201, off, s[0:3], 0 offset:100
	buffer_load_dword v198, off, s[0:3], 0 offset:104
	buffer_load_dword v203, off, s[0:3], 0 offset:108
	buffer_load_dword v200, off, s[0:3], 0 offset:112
	buffer_load_dword v204, off, s[0:3], 0 offset:116
	buffer_load_dword v202, off, s[0:3], 0 offset:120
	buffer_load_dword v205, off, s[0:3], 0 offset:124
	v_cmp_lt_u32_e32 vcc, 7, v0
	s_waitcnt vmcnt(12) lgkmcnt(0)
	v_mul_f32_e32 v6, v2, v195
	v_fmac_f32_e32 v6, v3, v72
	s_waitcnt vmcnt(10)
	v_mul_f32_e32 v7, v4, v197
	v_add_f32_e32 v6, 0, v6
	v_fmac_f32_e32 v7, v5, v74
	v_add_f32_e32 v10, v6, v7
	ds_read2_b64 v[6:9], v194 offset0:61 offset1:62
	v_mul_f32_e32 v3, v3, v195
	v_fma_f32 v2, v2, v72, -v3
	v_mul_f32_e32 v3, v5, v197
	v_add_f32_e32 v2, 0, v2
	s_waitcnt vmcnt(8) lgkmcnt(0)
	v_mul_f32_e32 v11, v6, v199
	v_fmac_f32_e32 v11, v7, v78
	v_add_f32_e32 v10, v10, v11
	s_waitcnt vmcnt(6)
	v_mul_f32_e32 v11, v8, v201
	v_fmac_f32_e32 v11, v9, v196
	v_add_f32_e32 v14, v10, v11
	ds_read2_b64 v[10:13], v194 offset0:63 offset1:64
	v_fma_f32 v3, v4, v74, -v3
	v_add_f32_e32 v2, v2, v3
	v_mul_f32_e32 v3, v7, v199
	v_fma_f32 v3, v6, v78, -v3
	s_waitcnt vmcnt(4) lgkmcnt(0)
	v_mul_f32_e32 v15, v10, v203
	v_fmac_f32_e32 v15, v11, v198
	v_add_f32_e32 v14, v14, v15
	s_waitcnt vmcnt(2)
	v_mul_f32_e32 v15, v12, v204
	v_fmac_f32_e32 v15, v13, v200
	v_add_f32_e32 v18, v14, v15
	ds_read2_b64 v[14:17], v194 offset0:65 offset1:66
	buffer_load_dword v206, off, s[0:3], 0 offset:128
	buffer_load_dword v207, off, s[0:3], 0 offset:132
	v_add_f32_e32 v2, v2, v3
	v_mul_f32_e32 v3, v9, v201
	v_fma_f32 v3, v8, v196, -v3
	s_waitcnt vmcnt(2) lgkmcnt(0)
	v_mul_f32_e32 v19, v14, v205
	v_fmac_f32_e32 v19, v15, v202
	v_add_f32_e32 v18, v18, v19
	v_add_f32_e32 v2, v2, v3
	v_mul_f32_e32 v3, v11, v203
	v_fma_f32 v3, v10, v198, -v3
	v_add_f32_e32 v2, v2, v3
	v_mul_f32_e32 v3, v13, v204
	v_fma_f32 v3, v12, v200, -v3
	;; [unrolled: 3-line block ×3, first 2 shown]
	v_add_f32_e32 v2, v2, v3
	s_waitcnt vmcnt(0)
	v_mul_f32_e32 v19, v16, v207
	v_fmac_f32_e32 v19, v17, v206
	v_add_f32_e32 v22, v18, v19
	ds_read2_b64 v[18:21], v194 offset0:67 offset1:68
	buffer_load_dword v208, off, s[0:3], 0 offset:136
	buffer_load_dword v209, off, s[0:3], 0 offset:140
	buffer_load_dword v210, off, s[0:3], 0 offset:144
	buffer_load_dword v211, off, s[0:3], 0 offset:148
	ds_read2_b64 v[26:29], v194 offset0:69 offset1:70
	buffer_load_dword v212, off, s[0:3], 0 offset:152
	buffer_load_dword v213, off, s[0:3], 0 offset:156
	buffer_load_dword v214, off, s[0:3], 0 offset:160
	buffer_load_dword v215, off, s[0:3], 0 offset:164
	;; [unrolled: 5-line block ×12, first 2 shown]
	v_mul_f32_e32 v3, v17, v207
	v_fma_f32 v3, v16, v206, -v3
	v_add_f32_e32 v2, v2, v3
	s_waitcnt vmcnt(46) lgkmcnt(11)
	v_mul_f32_e32 v23, v18, v209
	v_fmac_f32_e32 v23, v19, v208
	v_add_f32_e32 v22, v22, v23
	s_waitcnt vmcnt(44)
	v_mul_f32_e32 v23, v20, v211
	v_fmac_f32_e32 v23, v21, v210
	v_add_f32_e32 v22, v22, v23
	s_waitcnt vmcnt(42) lgkmcnt(10)
	v_mul_f32_e32 v23, v26, v213
	v_fmac_f32_e32 v23, v27, v212
	v_add_f32_e32 v22, v22, v23
	s_waitcnt vmcnt(40)
	v_mul_f32_e32 v23, v28, v215
	v_fmac_f32_e32 v23, v29, v214
	;; [unrolled: 8-line block ×11, first 2 shown]
	v_add_f32_e32 v22, v22, v23
	s_waitcnt vmcnt(2) lgkmcnt(0)
	v_mul_f32_e32 v23, v66, v233
	v_fmac_f32_e32 v23, v67, v232
	v_add_f32_e32 v73, v22, v23
	ds_read2_b64 v[22:25], v194 offset0:91 offset1:92
	buffer_load_dword v236, off, s[0:3], 0 offset:328
	buffer_load_dword v237, off, s[0:3], 0 offset:332
	;; [unrolled: 1-line block ×18, first 2 shown]
	v_mul_f32_e32 v3, v19, v209
	v_fma_f32 v3, v18, v208, -v3
	v_add_f32_e32 v2, v2, v3
	v_mul_f32_e32 v3, v21, v211
	v_fma_f32 v3, v20, v210, -v3
	v_add_f32_e32 v2, v2, v3
	;; [unrolled: 3-line block ×23, first 2 shown]
	s_waitcnt vmcnt(18)
	v_mul_f32_e32 v2, v69, v235
	s_waitcnt vmcnt(15)
	v_mov_b32_e32 v18, v77
	v_mul_f32_e32 v75, v68, v235
	v_fma_f32 v74, v68, v234, -v2
	s_waitcnt lgkmcnt(0)
	v_pk_mul_f32 v[18:19], v[24:25], v[18:19] op_sel_hi:[1,0]
	v_fmac_f32_e32 v75, v69, v234
	s_waitcnt vmcnt(14)
	v_pk_fma_f32 v[20:21], v[24:25], v[76:77], v[18:19] op_sel:[0,0,1] op_sel_hi:[1,1,0] neg_lo:[0,0,1] neg_hi:[0,0,1]
	v_pk_fma_f32 v[18:19], v[24:25], v[76:77], v[18:19] op_sel:[0,0,1] op_sel_hi:[1,0,0]
	v_pk_add_f32 v[16:17], v[72:73], v[74:75]
	v_mul_f32_e32 v2, v23, v237
	v_mul_f32_e32 v79, v22, v237
	v_fma_f32 v78, v22, v236, -v2
	ds_read2_b64 v[2:5], v194 offset0:93 offset1:94
	ds_read2_b64 v[6:9], v194 offset0:95 offset1:96
	;; [unrolled: 1-line block ×3, first 2 shown]
	ds_read_b64 v[14:15], v194 offset:792
	v_fmac_f32_e32 v79, v23, v236
	s_waitcnt vmcnt(13)
	v_mov_b32_e32 v18, v193
	v_pk_add_f32 v[16:17], v[16:17], v[78:79]
	v_mov_b32_e32 v21, v19
	s_waitcnt lgkmcnt(3)
	v_pk_mul_f32 v[18:19], v[2:3], v[18:19] op_sel_hi:[1,0]
	v_pk_add_f32 v[16:17], v[16:17], v[20:21]
	s_waitcnt vmcnt(12)
	v_pk_fma_f32 v[20:21], v[2:3], v[192:193], v[18:19] op_sel:[0,0,1] op_sel_hi:[1,1,0] neg_lo:[0,0,1] neg_hi:[0,0,1]
	v_pk_fma_f32 v[2:3], v[2:3], v[192:193], v[18:19] op_sel:[0,0,1] op_sel_hi:[1,0,0]
	v_mov_b32_e32 v21, v3
	v_pk_add_f32 v[2:3], v[16:17], v[20:21]
	s_waitcnt vmcnt(11)
	v_mov_b32_e32 v16, v191
	v_pk_mul_f32 v[16:17], v[4:5], v[16:17] op_sel_hi:[1,0]
	s_waitcnt vmcnt(10)
	v_pk_fma_f32 v[18:19], v[4:5], v[190:191], v[16:17] op_sel:[0,0,1] op_sel_hi:[1,1,0] neg_lo:[0,0,1] neg_hi:[0,0,1]
	v_pk_fma_f32 v[4:5], v[4:5], v[190:191], v[16:17] op_sel:[0,0,1] op_sel_hi:[1,0,0]
	s_waitcnt vmcnt(9)
	v_mov_b32_e32 v4, v189
	v_mov_b32_e32 v19, v5
	s_waitcnt lgkmcnt(2)
	v_pk_mul_f32 v[4:5], v[6:7], v[4:5] op_sel_hi:[1,0]
	s_waitcnt vmcnt(8)
	v_pk_fma_f32 v[16:17], v[6:7], v[188:189], v[4:5] op_sel:[0,0,1] op_sel_hi:[1,1,0] neg_lo:[0,0,1] neg_hi:[0,0,1]
	v_pk_fma_f32 v[4:5], v[6:7], v[188:189], v[4:5] op_sel:[0,0,1] op_sel_hi:[1,0,0]
	s_waitcnt vmcnt(7)
	v_mov_b32_e32 v4, v187
	v_mov_b32_e32 v17, v5
	v_pk_mul_f32 v[4:5], v[8:9], v[4:5] op_sel_hi:[1,0]
	s_waitcnt vmcnt(6)
	v_pk_fma_f32 v[6:7], v[8:9], v[186:187], v[4:5] op_sel:[0,0,1] op_sel_hi:[1,1,0] neg_lo:[0,0,1] neg_hi:[0,0,1]
	v_pk_fma_f32 v[4:5], v[8:9], v[186:187], v[4:5] op_sel:[0,0,1] op_sel_hi:[1,0,0]
	v_pk_add_f32 v[2:3], v[2:3], v[18:19]
	s_waitcnt vmcnt(5)
	v_mov_b32_e32 v4, v185
	v_pk_add_f32 v[2:3], v[2:3], v[16:17]
	v_mov_b32_e32 v7, v5
	s_waitcnt lgkmcnt(1)
	v_pk_mul_f32 v[4:5], v[10:11], v[4:5] op_sel_hi:[1,0]
	v_pk_add_f32 v[2:3], v[2:3], v[6:7]
	s_waitcnt vmcnt(4)
	v_pk_fma_f32 v[6:7], v[10:11], v[184:185], v[4:5] op_sel:[0,0,1] op_sel_hi:[1,1,0] neg_lo:[0,0,1] neg_hi:[0,0,1]
	v_pk_fma_f32 v[4:5], v[10:11], v[184:185], v[4:5] op_sel:[0,0,1] op_sel_hi:[1,0,0]
	s_waitcnt vmcnt(3)
	v_mov_b32_e32 v4, v83
	v_mov_b32_e32 v7, v5
	v_pk_mul_f32 v[4:5], v[12:13], v[4:5] op_sel_hi:[1,0]
	v_pk_add_f32 v[2:3], v[2:3], v[6:7]
	s_waitcnt vmcnt(2)
	v_pk_fma_f32 v[6:7], v[12:13], v[82:83], v[4:5] op_sel:[0,0,1] op_sel_hi:[1,1,0] neg_lo:[0,0,1] neg_hi:[0,0,1]
	v_pk_fma_f32 v[4:5], v[12:13], v[82:83], v[4:5] op_sel:[0,0,1] op_sel_hi:[1,0,0]
	s_waitcnt vmcnt(1)
	v_mov_b32_e32 v4, v81
	v_mov_b32_e32 v7, v5
	s_waitcnt lgkmcnt(0)
	v_pk_mul_f32 v[4:5], v[14:15], v[4:5] op_sel_hi:[1,0]
	v_pk_add_f32 v[2:3], v[2:3], v[6:7]
	s_waitcnt vmcnt(0)
	v_pk_fma_f32 v[6:7], v[14:15], v[80:81], v[4:5] op_sel:[0,0,1] op_sel_hi:[1,1,0] neg_lo:[0,0,1] neg_hi:[0,0,1]
	v_pk_fma_f32 v[4:5], v[14:15], v[80:81], v[4:5] op_sel:[0,0,1] op_sel_hi:[1,0,0]
	v_mov_b32_e32 v7, v5
	v_pk_add_f32 v[2:3], v[2:3], v[6:7]
	v_pk_add_f32 v[2:3], v[70:71], v[2:3] neg_lo:[0,1] neg_hi:[0,1]
	buffer_store_dword v3, off, s[0:3], 0 offset:68
	buffer_store_dword v2, off, s[0:3], 0 offset:64
	s_and_saveexec_b64 s[4:5], vcc
	s_cbranch_execz .LBB49_299
; %bb.298:
	buffer_load_dword v2, off, s[0:3], 0 offset:56
	buffer_load_dword v3, off, s[0:3], 0 offset:60
	s_waitcnt vmcnt(0)
	ds_write_b64 v111, v[2:3]
	buffer_store_dword v194, off, s[0:3], 0 offset:56
	buffer_store_dword v194, off, s[0:3], 0 offset:60
.LBB49_299:
	s_or_b64 exec, exec, s[4:5]
	s_waitcnt lgkmcnt(0)
	; wave barrier
	s_waitcnt lgkmcnt(0)
	buffer_load_dword v78, off, s[0:3], 0 offset:68
	buffer_load_dword v80, off, s[0:3], 0 offset:76
	;; [unrolled: 1-line block ×24, first 2 shown]
	ds_read_b128 v[22:25], v194 offset:464
	ds_read_b128 v[18:21], v194 offset:480
	;; [unrolled: 1-line block ×4, first 2 shown]
	buffer_load_dword v198, off, s[0:3], 0 offset:152
	buffer_load_dword v199, off, s[0:3], 0 offset:156
	ds_read_b128 v[10:13], v194 offset:528
	ds_read_b128 v[2:5], v194 offset:544
	buffer_load_dword v200, off, s[0:3], 0 offset:160
	buffer_load_dword v201, off, s[0:3], 0 offset:164
	;; [unrolled: 1-line block ×44, first 2 shown]
	v_cmp_lt_u32_e32 vcc, 6, v0
	s_waitcnt vmcnt(62) lgkmcnt(5)
	v_mul_f32_e32 v28, v22, v78
	v_mul_f32_e32 v29, v24, v80
	s_waitcnt lgkmcnt(4)
	v_mul_f32_e32 v31, v20, v82
	s_waitcnt lgkmcnt(3)
	v_mul_f32_e32 v32, v14, v98
	v_mul_f32_e32 v33, v16, v99
	;; [unrolled: 1-line block ×3, first 2 shown]
	s_waitcnt lgkmcnt(2)
	v_mul_f32_e32 v34, v6, v101
	v_mul_f32_e32 v35, v8, v102
	s_waitcnt vmcnt(61)
	v_fmac_f32_e32 v30, v19, v103
	s_waitcnt vmcnt(60)
	v_fmac_f32_e32 v29, v25, v184
	;; [unrolled: 2-line block ×3, first 2 shown]
	v_add_f32_e32 v28, 0, v28
	v_add_f32_e32 v28, v28, v29
	;; [unrolled: 1-line block ×3, first 2 shown]
	s_waitcnt vmcnt(55)
	v_fmac_f32_e32 v31, v21, v189
	v_fmac_f32_e32 v32, v15, v188
	v_add_f32_e32 v28, v28, v31
	v_fmac_f32_e32 v33, v17, v187
	v_add_f32_e32 v28, v28, v32
	;; [unrolled: 2-line block ×3, first 2 shown]
	s_waitcnt vmcnt(51)
	v_fmac_f32_e32 v35, v9, v193
	v_add_f32_e32 v28, v28, v34
	s_waitcnt vmcnt(50) lgkmcnt(1)
	v_mul_f32_e32 v29, v10, v195
	v_add_f32_e32 v28, v28, v35
	v_fmac_f32_e32 v29, v11, v192
	v_add_f32_e32 v28, v28, v29
	s_waitcnt vmcnt(49)
	v_mul_f32_e32 v29, v12, v196
	v_fmac_f32_e32 v29, v13, v191
	v_add_f32_e32 v28, v28, v29
	s_waitcnt vmcnt(48) lgkmcnt(0)
	v_mul_f32_e32 v29, v2, v197
	v_fmac_f32_e32 v29, v3, v190
	v_add_f32_e32 v32, v28, v29
	ds_read_b128 v[28:31], v194 offset:560
	s_waitcnt vmcnt(44)
	v_mul_f32_e32 v33, v4, v199
	v_fmac_f32_e32 v33, v5, v198
	v_add_f32_e32 v36, v32, v33
	ds_read_b128 v[32:35], v194 offset:576
	s_waitcnt vmcnt(42) lgkmcnt(1)
	v_mul_f32_e32 v37, v28, v201
	v_fmac_f32_e32 v37, v29, v200
	v_add_f32_e32 v36, v36, v37
	s_waitcnt vmcnt(40)
	v_mul_f32_e32 v37, v30, v203
	v_fmac_f32_e32 v37, v31, v202
	v_add_f32_e32 v36, v36, v37
	s_waitcnt vmcnt(38) lgkmcnt(0)
	v_mul_f32_e32 v37, v32, v205
	v_fmac_f32_e32 v37, v33, v204
	v_add_f32_e32 v40, v36, v37
	ds_read_b128 v[36:39], v194 offset:592
	s_waitcnt vmcnt(36)
	v_mul_f32_e32 v41, v34, v207
	v_fmac_f32_e32 v41, v35, v206
	v_add_f32_e32 v44, v40, v41
	ds_read_b128 v[40:43], v194 offset:608
	s_waitcnt vmcnt(34) lgkmcnt(1)
	v_mul_f32_e32 v45, v36, v209
	;; [unrolled: 18-line block ×4, first 2 shown]
	v_fmac_f32_e32 v61, v53, v224
	v_add_f32_e32 v60, v60, v61
	s_waitcnt vmcnt(16)
	v_mul_f32_e32 v61, v54, v227
	v_fmac_f32_e32 v61, v55, v226
	v_add_f32_e32 v60, v60, v61
	s_waitcnt vmcnt(14) lgkmcnt(0)
	v_mul_f32_e32 v61, v56, v229
	v_fmac_f32_e32 v61, v57, v228
	v_add_f32_e32 v64, v60, v61
	ds_read_b128 v[60:63], v194 offset:688
	s_waitcnt vmcnt(12)
	v_mul_f32_e32 v65, v58, v231
	v_fmac_f32_e32 v65, v59, v230
	v_add_f32_e32 v68, v64, v65
	ds_read_b128 v[64:67], v194 offset:704
	buffer_load_dword v77, off, s[0:3], 0 offset:340
	buffer_load_dword v76, off, s[0:3], 0 offset:336
	s_waitcnt vmcnt(12) lgkmcnt(1)
	v_mul_f32_e32 v69, v60, v233
	v_fmac_f32_e32 v69, v61, v232
	v_add_f32_e32 v68, v68, v69
	s_waitcnt vmcnt(10)
	v_mul_f32_e32 v69, v62, v235
	v_fmac_f32_e32 v69, v63, v234
	v_add_f32_e32 v68, v68, v69
	s_waitcnt vmcnt(8) lgkmcnt(0)
	v_mul_f32_e32 v69, v64, v237
	v_fmac_f32_e32 v69, v65, v236
	s_waitcnt vmcnt(6)
	v_mul_f32_e32 v73, v66, v239
	v_add_f32_e32 v72, v68, v69
	v_fmac_f32_e32 v73, v67, v238
	ds_read_b128 v[68:71], v194 offset:720
	v_add_f32_e32 v79, v72, v73
	ds_read_b128 v[72:75], v194 offset:736
	buffer_load_dword v85, off, s[0:3], 0 offset:372
	buffer_load_dword v84, off, s[0:3], 0 offset:368
	;; [unrolled: 1-line block ×14, first 2 shown]
	v_mul_f32_e32 v23, v23, v78
	v_fma_f32 v22, v22, v185, -v23
	v_mul_f32_e32 v23, v25, v80
	v_add_f32_e32 v22, 0, v22
	v_fma_f32 v23, v24, v184, -v23
	v_mul_f32_e32 v19, v19, v100
	v_add_f32_e32 v22, v22, v23
	;; [unrolled: 3-line block ×7, first 2 shown]
	v_fma_f32 v7, v8, v193, -v7
	v_add_f32_e32 v6, v6, v7
	v_mul_f32_e32 v7, v11, v195
	v_fma_f32 v7, v10, v192, -v7
	v_add_f32_e32 v6, v6, v7
	v_mul_f32_e32 v7, v13, v196
	v_fma_f32 v7, v12, v191, -v7
	v_mul_f32_e32 v3, v3, v197
	v_add_f32_e32 v6, v6, v7
	v_fma_f32 v2, v2, v190, -v3
	v_mul_f32_e32 v3, v5, v199
	v_add_f32_e32 v2, v6, v2
	v_fma_f32 v3, v4, v198, -v3
	v_add_f32_e32 v2, v2, v3
	v_mul_f32_e32 v3, v29, v201
	v_fma_f32 v3, v28, v200, -v3
	v_add_f32_e32 v2, v2, v3
	v_mul_f32_e32 v3, v31, v203
	v_fma_f32 v3, v30, v202, -v3
	v_add_f32_e32 v2, v2, v3
	v_mul_f32_e32 v3, v33, v205
	v_fma_f32 v3, v32, v204, -v3
	v_add_f32_e32 v2, v2, v3
	v_mul_f32_e32 v3, v35, v207
	v_fma_f32 v3, v34, v206, -v3
	v_add_f32_e32 v2, v2, v3
	v_mul_f32_e32 v3, v37, v209
	v_fma_f32 v3, v36, v208, -v3
	v_add_f32_e32 v2, v2, v3
	v_mul_f32_e32 v3, v39, v211
	v_fma_f32 v3, v38, v210, -v3
	v_add_f32_e32 v2, v2, v3
	v_mul_f32_e32 v3, v41, v213
	v_fma_f32 v3, v40, v212, -v3
	v_add_f32_e32 v2, v2, v3
	v_mul_f32_e32 v3, v43, v215
	v_fma_f32 v3, v42, v214, -v3
	v_add_f32_e32 v2, v2, v3
	v_mul_f32_e32 v3, v45, v217
	v_fma_f32 v3, v44, v216, -v3
	v_add_f32_e32 v2, v2, v3
	v_mul_f32_e32 v3, v47, v219
	v_fma_f32 v3, v46, v218, -v3
	v_add_f32_e32 v2, v2, v3
	v_mul_f32_e32 v3, v49, v221
	v_fma_f32 v3, v48, v220, -v3
	v_add_f32_e32 v2, v2, v3
	v_mul_f32_e32 v3, v51, v223
	v_fma_f32 v3, v50, v222, -v3
	v_add_f32_e32 v2, v2, v3
	v_mul_f32_e32 v3, v53, v225
	v_fma_f32 v3, v52, v224, -v3
	v_add_f32_e32 v2, v2, v3
	v_mul_f32_e32 v3, v55, v227
	v_fma_f32 v3, v54, v226, -v3
	v_add_f32_e32 v2, v2, v3
	v_mul_f32_e32 v3, v57, v229
	v_fma_f32 v3, v56, v228, -v3
	v_add_f32_e32 v2, v2, v3
	v_mul_f32_e32 v3, v59, v231
	v_fma_f32 v3, v58, v230, -v3
	v_add_f32_e32 v2, v2, v3
	v_mul_f32_e32 v3, v61, v233
	v_fma_f32 v3, v60, v232, -v3
	v_add_f32_e32 v2, v2, v3
	v_mul_f32_e32 v3, v63, v235
	v_fma_f32 v3, v62, v234, -v3
	v_add_f32_e32 v2, v2, v3
	v_mul_f32_e32 v3, v65, v237
	v_fma_f32 v3, v64, v236, -v3
	v_add_f32_e32 v2, v2, v3
	v_mul_f32_e32 v3, v67, v239
	v_fma_f32 v3, v66, v238, -v3
	s_waitcnt vmcnt(15)
	v_mov_b32_e32 v16, v77
	s_waitcnt lgkmcnt(1)
	v_mul_f32_e32 v81, v68, v241
	v_add_f32_e32 v78, v2, v3
	v_mul_f32_e32 v2, v69, v241
	s_waitcnt lgkmcnt(0)
	v_pk_mul_f32 v[16:17], v[72:73], v[16:17] op_sel_hi:[1,0]
	v_fmac_f32_e32 v81, v69, v240
	v_mul_f32_e32 v83, v70, v243
	v_fma_f32 v80, v68, v240, -v2
	v_mul_f32_e32 v2, v71, v243
	s_waitcnt vmcnt(14)
	v_pk_fma_f32 v[18:19], v[72:73], v[76:77], v[16:17] op_sel:[0,0,1] op_sel_hi:[1,1,0] neg_lo:[0,0,1] neg_hi:[0,0,1]
	v_pk_fma_f32 v[16:17], v[72:73], v[76:77], v[16:17] op_sel:[0,0,1] op_sel_hi:[1,0,0]
	v_fmac_f32_e32 v83, v71, v242
	v_fma_f32 v82, v70, v242, -v2
	v_pk_add_f32 v[14:15], v[78:79], v[80:81]
	s_waitcnt vmcnt(7)
	v_mov_b32_e32 v16, v91
	ds_read_b128 v[2:5], v194 offset:752
	ds_read_b128 v[6:9], v194 offset:768
	;; [unrolled: 1-line block ×3, first 2 shown]
	v_pk_add_f32 v[14:15], v[14:15], v[82:83]
	v_mov_b32_e32 v19, v17
	v_pk_mul_f32 v[16:17], v[74:75], v[16:17] op_sel_hi:[1,0]
	v_pk_add_f32 v[14:15], v[14:15], v[18:19]
	s_waitcnt vmcnt(6)
	v_pk_fma_f32 v[18:19], v[74:75], v[90:91], v[16:17] op_sel:[0,0,1] op_sel_hi:[1,1,0] neg_lo:[0,0,1] neg_hi:[0,0,1]
	v_pk_fma_f32 v[16:17], v[74:75], v[90:91], v[16:17] op_sel:[0,0,1] op_sel_hi:[1,0,0]
	v_mov_b32_e32 v16, v89
	v_mov_b32_e32 v19, v17
	s_waitcnt lgkmcnt(2)
	v_pk_mul_f32 v[16:17], v[2:3], v[16:17] op_sel_hi:[1,0]
	v_pk_add_f32 v[14:15], v[14:15], v[18:19]
	v_pk_fma_f32 v[18:19], v[2:3], v[88:89], v[16:17] op_sel:[0,0,1] op_sel_hi:[1,1,0] neg_lo:[0,0,1] neg_hi:[0,0,1]
	v_pk_fma_f32 v[2:3], v[2:3], v[88:89], v[16:17] op_sel:[0,0,1] op_sel_hi:[1,0,0]
	v_mov_b32_e32 v19, v3
	v_pk_add_f32 v[2:3], v[14:15], v[18:19]
	v_mov_b32_e32 v14, v87
	v_pk_mul_f32 v[14:15], v[4:5], v[14:15] op_sel_hi:[1,0]
	v_pk_fma_f32 v[16:17], v[4:5], v[86:87], v[14:15] op_sel:[0,0,1] op_sel_hi:[1,1,0] neg_lo:[0,0,1] neg_hi:[0,0,1]
	v_pk_fma_f32 v[4:5], v[4:5], v[86:87], v[14:15] op_sel:[0,0,1] op_sel_hi:[1,0,0]
	v_mov_b32_e32 v4, v85
	v_mov_b32_e32 v17, v5
	s_waitcnt lgkmcnt(1)
	v_pk_mul_f32 v[4:5], v[6:7], v[4:5] op_sel_hi:[1,0]
	v_pk_fma_f32 v[14:15], v[6:7], v[84:85], v[4:5] op_sel:[0,0,1] op_sel_hi:[1,1,0] neg_lo:[0,0,1] neg_hi:[0,0,1]
	v_pk_fma_f32 v[4:5], v[6:7], v[84:85], v[4:5] op_sel:[0,0,1] op_sel_hi:[1,0,0]
	s_waitcnt vmcnt(1)
	v_mov_b32_e32 v4, v97
	v_mov_b32_e32 v15, v5
	v_pk_mul_f32 v[4:5], v[8:9], v[4:5] op_sel_hi:[1,0]
	s_waitcnt vmcnt(0)
	v_pk_fma_f32 v[6:7], v[8:9], v[96:97], v[4:5] op_sel:[0,0,1] op_sel_hi:[1,1,0] neg_lo:[0,0,1] neg_hi:[0,0,1]
	v_pk_fma_f32 v[4:5], v[8:9], v[96:97], v[4:5] op_sel:[0,0,1] op_sel_hi:[1,0,0]
	v_pk_add_f32 v[2:3], v[2:3], v[16:17]
	v_mov_b32_e32 v4, v95
	v_pk_add_f32 v[2:3], v[2:3], v[14:15]
	v_mov_b32_e32 v7, v5
	s_waitcnt lgkmcnt(0)
	v_pk_mul_f32 v[4:5], v[10:11], v[4:5] op_sel_hi:[1,0]
	v_pk_add_f32 v[2:3], v[2:3], v[6:7]
	v_pk_fma_f32 v[6:7], v[10:11], v[94:95], v[4:5] op_sel:[0,0,1] op_sel_hi:[1,1,0] neg_lo:[0,0,1] neg_hi:[0,0,1]
	v_pk_fma_f32 v[4:5], v[10:11], v[94:95], v[4:5] op_sel:[0,0,1] op_sel_hi:[1,0,0]
	v_mov_b32_e32 v4, v93
	v_mov_b32_e32 v7, v5
	v_pk_mul_f32 v[4:5], v[12:13], v[4:5] op_sel_hi:[1,0]
	v_pk_add_f32 v[2:3], v[2:3], v[6:7]
	v_pk_fma_f32 v[6:7], v[12:13], v[92:93], v[4:5] op_sel:[0,0,1] op_sel_hi:[1,1,0] neg_lo:[0,0,1] neg_hi:[0,0,1]
	v_pk_fma_f32 v[4:5], v[12:13], v[92:93], v[4:5] op_sel:[0,0,1] op_sel_hi:[1,0,0]
	v_mov_b32_e32 v7, v5
	v_pk_add_f32 v[2:3], v[2:3], v[6:7]
	v_pk_add_f32 v[2:3], v[26:27], v[2:3] neg_lo:[0,1] neg_hi:[0,1]
	buffer_store_dword v3, off, s[0:3], 0 offset:60
	buffer_store_dword v2, off, s[0:3], 0 offset:56
	s_and_saveexec_b64 s[4:5], vcc
	s_cbranch_execz .LBB49_301
; %bb.300:
	buffer_load_dword v2, off, s[0:3], 0 offset:48
	buffer_load_dword v3, off, s[0:3], 0 offset:52
	v_mov_b32_e32 v4, 0
	buffer_store_dword v4, off, s[0:3], 0 offset:48
	buffer_store_dword v4, off, s[0:3], 0 offset:52
	s_waitcnt vmcnt(2)
	ds_write_b64 v111, v[2:3]
.LBB49_301:
	s_or_b64 exec, exec, s[4:5]
	s_waitcnt lgkmcnt(0)
	; wave barrier
	s_waitcnt lgkmcnt(0)
	buffer_load_dword v29, off, s[0:3], 0 offset:60
	buffer_load_dword v78, off, s[0:3], 0 offset:68
	buffer_load_dword v80, off, s[0:3], 0 offset:84
	buffer_load_dword v82, off, s[0:3], 0 offset:92
	buffer_load_dword v100, off, s[0:3], 0 offset:100
	buffer_load_dword v101, off, s[0:3], 0 offset:76
	buffer_load_dword v102, off, s[0:3], 0 offset:108
	buffer_load_dword v103, off, s[0:3], 0 offset:116
	buffer_load_dword v184, off, s[0:3], 0 offset:124
	buffer_load_dword v185, off, s[0:3], 0 offset:72
	buffer_load_dword v186, off, s[0:3], 0 offset:64
	buffer_load_dword v187, off, s[0:3], 0 offset:56
	buffer_load_dword v188, off, s[0:3], 0 offset:104
	buffer_load_dword v189, off, s[0:3], 0 offset:96
	buffer_load_dword v190, off, s[0:3], 0 offset:88
	buffer_load_dword v191, off, s[0:3], 0 offset:80
	buffer_load_dword v192, off, s[0:3], 0 offset:136
	buffer_load_dword v193, off, s[0:3], 0 offset:128
	buffer_load_dword v194, off, s[0:3], 0 offset:120
	buffer_load_dword v195, off, s[0:3], 0 offset:112
	buffer_load_dword v196, off, s[0:3], 0 offset:132
	buffer_load_dword v197, off, s[0:3], 0 offset:140
	buffer_load_dword v2, off, s[0:3], 0 offset:48
	buffer_load_dword v3, off, s[0:3], 0 offset:52
	buffer_load_dword v198, off, s[0:3], 0 offset:144
	buffer_load_dword v199, off, s[0:3], 0 offset:148
	buffer_load_dword v200, off, s[0:3], 0 offset:152
	buffer_load_dword v201, off, s[0:3], 0 offset:156
	buffer_load_dword v202, off, s[0:3], 0 offset:160
	buffer_load_dword v203, off, s[0:3], 0 offset:164
	buffer_load_dword v204, off, s[0:3], 0 offset:168
	buffer_load_dword v205, off, s[0:3], 0 offset:172
	buffer_load_dword v206, off, s[0:3], 0 offset:176
	buffer_load_dword v207, off, s[0:3], 0 offset:180
	buffer_load_dword v208, off, s[0:3], 0 offset:184
	buffer_load_dword v209, off, s[0:3], 0 offset:188
	buffer_load_dword v210, off, s[0:3], 0 offset:192
	buffer_load_dword v211, off, s[0:3], 0 offset:196
	buffer_load_dword v212, off, s[0:3], 0 offset:200
	buffer_load_dword v213, off, s[0:3], 0 offset:204
	buffer_load_dword v214, off, s[0:3], 0 offset:208
	buffer_load_dword v215, off, s[0:3], 0 offset:212
	buffer_load_dword v216, off, s[0:3], 0 offset:216
	buffer_load_dword v217, off, s[0:3], 0 offset:220
	buffer_load_dword v218, off, s[0:3], 0 offset:224
	buffer_load_dword v219, off, s[0:3], 0 offset:228
	buffer_load_dword v220, off, s[0:3], 0 offset:232
	buffer_load_dword v221, off, s[0:3], 0 offset:236
	buffer_load_dword v222, off, s[0:3], 0 offset:240
	buffer_load_dword v223, off, s[0:3], 0 offset:244
	buffer_load_dword v224, off, s[0:3], 0 offset:248
	buffer_load_dword v225, off, s[0:3], 0 offset:252
	buffer_load_dword v226, off, s[0:3], 0 offset:256
	buffer_load_dword v227, off, s[0:3], 0 offset:260
	buffer_load_dword v228, off, s[0:3], 0 offset:264
	buffer_load_dword v229, off, s[0:3], 0 offset:268
	v_mov_b32_e32 v28, 0
	ds_read2_b64 v[4:7], v28 offset0:57 offset1:58
	ds_read2_b64 v[8:11], v28 offset0:59 offset1:60
	;; [unrolled: 1-line block ×6, first 2 shown]
	buffer_load_dword v230, off, s[0:3], 0 offset:272
	buffer_load_dword v231, off, s[0:3], 0 offset:276
	;; [unrolled: 1-line block ×16, first 2 shown]
	v_cmp_lt_u32_e32 vcc, 5, v0
	s_waitcnt vmcnt(62) lgkmcnt(5)
	v_mul_f32_e32 v30, v4, v29
	v_mul_f32_e32 v31, v6, v78
	s_waitcnt lgkmcnt(4)
	v_mul_f32_e32 v33, v10, v80
	s_waitcnt lgkmcnt(3)
	v_mul_f32_e32 v34, v12, v82
	v_mul_f32_e32 v35, v14, v100
	;; [unrolled: 1-line block ×3, first 2 shown]
	s_waitcnt lgkmcnt(2)
	v_mul_f32_e32 v36, v16, v102
	v_mul_f32_e32 v37, v18, v103
	s_waitcnt lgkmcnt(1)
	v_mul_f32_e32 v38, v20, v184
	v_fmac_f32_e32 v32, v9, v185
	s_waitcnt vmcnt(61)
	v_fmac_f32_e32 v31, v7, v186
	s_waitcnt vmcnt(60)
	v_fmac_f32_e32 v30, v5, v187
	v_add_f32_e32 v30, 0, v30
	v_add_f32_e32 v30, v30, v31
	;; [unrolled: 1-line block ×3, first 2 shown]
	s_waitcnt vmcnt(56)
	v_fmac_f32_e32 v33, v11, v191
	v_fmac_f32_e32 v34, v13, v190
	v_add_f32_e32 v30, v30, v33
	v_fmac_f32_e32 v35, v15, v189
	v_add_f32_e32 v30, v30, v34
	;; [unrolled: 2-line block ×3, first 2 shown]
	s_waitcnt vmcnt(52)
	v_fmac_f32_e32 v37, v19, v195
	v_add_f32_e32 v30, v30, v36
	v_add_f32_e32 v30, v30, v37
	v_fmac_f32_e32 v38, v21, v194
	s_waitcnt vmcnt(51)
	v_mul_f32_e32 v31, v22, v196
	v_add_f32_e32 v30, v30, v38
	v_fmac_f32_e32 v31, v23, v193
	v_add_f32_e32 v30, v30, v31
	s_waitcnt vmcnt(50) lgkmcnt(0)
	v_mul_f32_e32 v31, v24, v197
	v_fmac_f32_e32 v31, v25, v192
	v_add_f32_e32 v34, v30, v31
	ds_read2_b64 v[30:33], v28 offset0:69 offset1:70
	s_waitcnt vmcnt(46)
	v_mul_f32_e32 v35, v26, v199
	v_fmac_f32_e32 v35, v27, v198
	v_add_f32_e32 v38, v34, v35
	ds_read2_b64 v[34:37], v28 offset0:71 offset1:72
	s_waitcnt vmcnt(44) lgkmcnt(1)
	v_mul_f32_e32 v39, v30, v201
	v_fmac_f32_e32 v39, v31, v200
	v_add_f32_e32 v38, v38, v39
	s_waitcnt vmcnt(42)
	v_mul_f32_e32 v39, v32, v203
	v_fmac_f32_e32 v39, v33, v202
	v_add_f32_e32 v38, v38, v39
	s_waitcnt vmcnt(40) lgkmcnt(0)
	v_mul_f32_e32 v39, v34, v205
	v_fmac_f32_e32 v39, v35, v204
	v_add_f32_e32 v42, v38, v39
	ds_read2_b64 v[38:41], v28 offset0:73 offset1:74
	s_waitcnt vmcnt(38)
	v_mul_f32_e32 v43, v36, v207
	v_fmac_f32_e32 v43, v37, v206
	v_add_f32_e32 v46, v42, v43
	ds_read2_b64 v[42:45], v28 offset0:75 offset1:76
	s_waitcnt vmcnt(36) lgkmcnt(1)
	v_mul_f32_e32 v47, v38, v209
	v_fmac_f32_e32 v47, v39, v208
	v_add_f32_e32 v46, v46, v47
	s_waitcnt vmcnt(34)
	v_mul_f32_e32 v47, v40, v211
	;; [unrolled: 18-line block ×5, first 2 shown]
	v_fmac_f32_e32 v71, v65, v234
	v_add_f32_e32 v70, v70, v71
	s_waitcnt vmcnt(8) lgkmcnt(0)
	v_mul_f32_e32 v71, v66, v237
	v_fmac_f32_e32 v71, v67, v236
	s_waitcnt vmcnt(6)
	v_mul_f32_e32 v75, v68, v239
	v_add_f32_e32 v74, v70, v71
	v_fmac_f32_e32 v75, v69, v238
	ds_read2_b64 v[70:73], v28 offset0:89 offset1:90
	v_add_f32_e32 v79, v74, v75
	ds_read2_b64 v[74:77], v28 offset0:91 offset1:92
	buffer_load_dword v85, off, s[0:3], 0 offset:364
	buffer_load_dword v84, off, s[0:3], 0 offset:360
	;; [unrolled: 1-line block ×16, first 2 shown]
	v_mul_f32_e32 v5, v5, v29
	v_fma_f32 v4, v4, v187, -v5
	v_mul_f32_e32 v5, v7, v78
	v_add_f32_e32 v4, 0, v4
	v_fma_f32 v5, v6, v186, -v5
	v_add_f32_e32 v4, v4, v5
	v_mul_f32_e32 v5, v9, v101
	v_fma_f32 v5, v8, v185, -v5
	v_add_f32_e32 v4, v4, v5
	v_mul_f32_e32 v5, v11, v80
	;; [unrolled: 3-line block ×30, first 2 shown]
	v_fma_f32 v5, v68, v238, -v5
	v_add_f32_e32 v4, v4, v5
	s_waitcnt vmcnt(20) lgkmcnt(1)
	v_mul_f32_e32 v5, v71, v241
	v_mul_f32_e32 v81, v70, v241
	v_fma_f32 v5, v70, v240, -v5
	v_fmac_f32_e32 v81, v71, v240
	v_add_f32_e32 v78, v4, v5
	s_waitcnt vmcnt(18)
	v_mul_f32_e32 v4, v73, v243
	s_waitcnt vmcnt(9)
	v_mov_b32_e32 v20, v91
	v_add_f32_e32 v79, v79, v81
	v_mul_f32_e32 v81, v72, v243
	v_fma_f32 v80, v72, v242, -v4
	s_waitcnt lgkmcnt(0)
	v_mul_f32_e32 v4, v75, v245
	v_pk_mul_f32 v[20:21], v[76:77], v[20:21] op_sel_hi:[1,0]
	v_fmac_f32_e32 v81, v73, v242
	v_mul_f32_e32 v83, v74, v245
	v_fma_f32 v82, v74, v244, -v4
	ds_read2_b64 v[4:7], v28 offset0:93 offset1:94
	ds_read2_b64 v[8:11], v28 offset0:95 offset1:96
	;; [unrolled: 1-line block ×3, first 2 shown]
	ds_read_b64 v[16:17], v28 offset:792
	s_waitcnt vmcnt(8)
	v_pk_fma_f32 v[22:23], v[76:77], v[90:91], v[20:21] op_sel:[0,0,1] op_sel_hi:[1,1,0] neg_lo:[0,0,1] neg_hi:[0,0,1]
	v_pk_fma_f32 v[20:21], v[76:77], v[90:91], v[20:21] op_sel:[0,0,1] op_sel_hi:[1,0,0]
	v_fmac_f32_e32 v83, v75, v244
	v_pk_add_f32 v[18:19], v[78:79], v[80:81]
	v_mov_b32_e32 v20, v89
	v_pk_add_f32 v[18:19], v[18:19], v[82:83]
	v_mov_b32_e32 v23, v21
	s_waitcnt lgkmcnt(3)
	v_pk_mul_f32 v[20:21], v[4:5], v[20:21] op_sel_hi:[1,0]
	v_pk_add_f32 v[18:19], v[18:19], v[22:23]
	v_pk_fma_f32 v[22:23], v[4:5], v[88:89], v[20:21] op_sel:[0,0,1] op_sel_hi:[1,1,0] neg_lo:[0,0,1] neg_hi:[0,0,1]
	v_pk_fma_f32 v[4:5], v[4:5], v[88:89], v[20:21] op_sel:[0,0,1] op_sel_hi:[1,0,0]
	v_mov_b32_e32 v23, v5
	v_pk_add_f32 v[4:5], v[18:19], v[22:23]
	v_mov_b32_e32 v18, v87
	v_pk_mul_f32 v[18:19], v[6:7], v[18:19] op_sel_hi:[1,0]
	v_pk_fma_f32 v[20:21], v[6:7], v[86:87], v[18:19] op_sel:[0,0,1] op_sel_hi:[1,1,0] neg_lo:[0,0,1] neg_hi:[0,0,1]
	v_pk_fma_f32 v[6:7], v[6:7], v[86:87], v[18:19] op_sel:[0,0,1] op_sel_hi:[1,0,0]
	v_mov_b32_e32 v6, v85
	v_mov_b32_e32 v21, v7
	s_waitcnt lgkmcnt(2)
	v_pk_mul_f32 v[6:7], v[8:9], v[6:7] op_sel_hi:[1,0]
	v_pk_fma_f32 v[18:19], v[8:9], v[84:85], v[6:7] op_sel:[0,0,1] op_sel_hi:[1,1,0] neg_lo:[0,0,1] neg_hi:[0,0,1]
	v_pk_fma_f32 v[6:7], v[8:9], v[84:85], v[6:7] op_sel:[0,0,1] op_sel_hi:[1,0,0]
	s_waitcnt vmcnt(1)
	v_mov_b32_e32 v6, v99
	v_mov_b32_e32 v19, v7
	v_pk_mul_f32 v[6:7], v[10:11], v[6:7] op_sel_hi:[1,0]
	s_waitcnt vmcnt(0)
	v_pk_fma_f32 v[8:9], v[10:11], v[98:99], v[6:7] op_sel:[0,0,1] op_sel_hi:[1,1,0] neg_lo:[0,0,1] neg_hi:[0,0,1]
	v_pk_fma_f32 v[6:7], v[10:11], v[98:99], v[6:7] op_sel:[0,0,1] op_sel_hi:[1,0,0]
	v_pk_add_f32 v[4:5], v[4:5], v[20:21]
	v_mov_b32_e32 v6, v97
	v_pk_add_f32 v[4:5], v[4:5], v[18:19]
	v_mov_b32_e32 v9, v7
	s_waitcnt lgkmcnt(1)
	v_pk_mul_f32 v[6:7], v[12:13], v[6:7] op_sel_hi:[1,0]
	v_pk_add_f32 v[4:5], v[4:5], v[8:9]
	v_pk_fma_f32 v[8:9], v[12:13], v[96:97], v[6:7] op_sel:[0,0,1] op_sel_hi:[1,1,0] neg_lo:[0,0,1] neg_hi:[0,0,1]
	v_pk_fma_f32 v[6:7], v[12:13], v[96:97], v[6:7] op_sel:[0,0,1] op_sel_hi:[1,0,0]
	v_mov_b32_e32 v6, v95
	v_mov_b32_e32 v9, v7
	v_pk_mul_f32 v[6:7], v[14:15], v[6:7] op_sel_hi:[1,0]
	v_pk_add_f32 v[4:5], v[4:5], v[8:9]
	v_pk_fma_f32 v[8:9], v[14:15], v[94:95], v[6:7] op_sel:[0,0,1] op_sel_hi:[1,1,0] neg_lo:[0,0,1] neg_hi:[0,0,1]
	v_pk_fma_f32 v[6:7], v[14:15], v[94:95], v[6:7] op_sel:[0,0,1] op_sel_hi:[1,0,0]
	v_mov_b32_e32 v6, v93
	v_mov_b32_e32 v9, v7
	s_waitcnt lgkmcnt(0)
	v_pk_mul_f32 v[6:7], v[16:17], v[6:7] op_sel_hi:[1,0]
	v_pk_add_f32 v[4:5], v[4:5], v[8:9]
	v_pk_fma_f32 v[8:9], v[16:17], v[92:93], v[6:7] op_sel:[0,0,1] op_sel_hi:[1,1,0] neg_lo:[0,0,1] neg_hi:[0,0,1]
	v_pk_fma_f32 v[6:7], v[16:17], v[92:93], v[6:7] op_sel:[0,0,1] op_sel_hi:[1,0,0]
	v_mov_b32_e32 v9, v7
	v_pk_add_f32 v[4:5], v[4:5], v[8:9]
	v_pk_add_f32 v[2:3], v[2:3], v[4:5] neg_lo:[0,1] neg_hi:[0,1]
	buffer_store_dword v3, off, s[0:3], 0 offset:52
	buffer_store_dword v2, off, s[0:3], 0 offset:48
	s_and_saveexec_b64 s[4:5], vcc
	s_cbranch_execz .LBB49_303
; %bb.302:
	buffer_load_dword v2, off, s[0:3], 0 offset:40
	buffer_load_dword v3, off, s[0:3], 0 offset:44
	s_waitcnt vmcnt(0)
	ds_write_b64 v111, v[2:3]
	buffer_store_dword v28, off, s[0:3], 0 offset:40
	buffer_store_dword v28, off, s[0:3], 0 offset:44
.LBB49_303:
	s_or_b64 exec, exec, s[4:5]
	s_waitcnt lgkmcnt(0)
	; wave barrier
	s_waitcnt lgkmcnt(0)
	buffer_load_dword v29, off, s[0:3], 0 offset:52
	buffer_load_dword v78, off, s[0:3], 0 offset:60
	;; [unrolled: 1-line block ×26, first 2 shown]
	ds_read_b128 v[22:25], v28 offset:448
	ds_read_b128 v[18:21], v28 offset:464
	;; [unrolled: 1-line block ×6, first 2 shown]
	buffer_load_dword v200, off, s[0:3], 0 offset:144
	buffer_load_dword v201, off, s[0:3], 0 offset:148
	;; [unrolled: 1-line block ×42, first 2 shown]
	v_cmp_lt_u32_e32 vcc, 4, v0
	s_waitcnt vmcnt(62) lgkmcnt(5)
	v_mul_f32_e32 v30, v22, v29
	v_mul_f32_e32 v31, v24, v78
	s_waitcnt lgkmcnt(4)
	v_mul_f32_e32 v33, v20, v80
	s_waitcnt lgkmcnt(3)
	v_mul_f32_e32 v34, v14, v88
	v_mul_f32_e32 v35, v16, v100
	;; [unrolled: 1-line block ×3, first 2 shown]
	s_waitcnt vmcnt(61) lgkmcnt(2)
	v_mul_f32_e32 v36, v10, v102
	s_waitcnt vmcnt(60)
	v_mul_f32_e32 v37, v12, v103
	s_waitcnt vmcnt(59) lgkmcnt(1)
	v_mul_f32_e32 v38, v6, v184
	s_waitcnt vmcnt(58)
	v_fmac_f32_e32 v32, v19, v185
	s_waitcnt vmcnt(57)
	v_fmac_f32_e32 v31, v25, v186
	;; [unrolled: 2-line block ×3, first 2 shown]
	v_add_f32_e32 v30, 0, v30
	v_add_f32_e32 v30, v30, v31
	v_add_f32_e32 v30, v30, v32
	s_waitcnt vmcnt(52)
	v_fmac_f32_e32 v33, v21, v191
	v_fmac_f32_e32 v34, v15, v190
	v_add_f32_e32 v30, v30, v33
	v_fmac_f32_e32 v35, v17, v189
	v_add_f32_e32 v30, v30, v34
	;; [unrolled: 2-line block ×3, first 2 shown]
	s_waitcnt vmcnt(48)
	v_fmac_f32_e32 v37, v13, v195
	v_add_f32_e32 v30, v30, v36
	v_fmac_f32_e32 v38, v7, v194
	v_add_f32_e32 v30, v30, v37
	s_waitcnt vmcnt(47)
	v_mul_f32_e32 v31, v8, v196
	v_add_f32_e32 v30, v30, v38
	v_fmac_f32_e32 v31, v9, v193
	v_add_f32_e32 v30, v30, v31
	s_waitcnt vmcnt(46) lgkmcnt(0)
	v_mul_f32_e32 v31, v2, v197
	v_fmac_f32_e32 v31, v3, v192
	v_add_f32_e32 v34, v30, v31
	ds_read_b128 v[30:33], v28 offset:544
	s_waitcnt vmcnt(42)
	v_mul_f32_e32 v35, v4, v199
	v_fmac_f32_e32 v35, v5, v198
	buffer_load_dword v242, off, s[0:3], 0 offset:312
	buffer_load_dword v243, off, s[0:3], 0 offset:316
	v_add_f32_e32 v38, v34, v35
	buffer_load_dword v244, off, s[0:3], 0 offset:320
	buffer_load_dword v245, off, s[0:3], 0 offset:324
	ds_read_b128 v[34:37], v28 offset:560
	s_waitcnt vmcnt(44) lgkmcnt(1)
	v_mul_f32_e32 v39, v30, v201
	v_fmac_f32_e32 v39, v31, v200
	v_add_f32_e32 v38, v38, v39
	s_waitcnt vmcnt(42)
	v_mul_f32_e32 v39, v32, v203
	v_fmac_f32_e32 v39, v33, v202
	v_add_f32_e32 v38, v38, v39
	s_waitcnt vmcnt(40) lgkmcnt(0)
	v_mul_f32_e32 v39, v34, v205
	v_fmac_f32_e32 v39, v35, v204
	buffer_load_dword v246, off, s[0:3], 0 offset:328
	buffer_load_dword v247, off, s[0:3], 0 offset:332
	v_add_f32_e32 v42, v38, v39
	ds_read_b128 v[38:41], v28 offset:576
	s_waitcnt vmcnt(40)
	v_mul_f32_e32 v43, v36, v207
	v_fmac_f32_e32 v43, v37, v206
	v_add_f32_e32 v46, v42, v43
	ds_read_b128 v[42:45], v28 offset:592
	s_waitcnt vmcnt(38) lgkmcnt(1)
	v_mul_f32_e32 v47, v38, v209
	v_fmac_f32_e32 v47, v39, v208
	v_add_f32_e32 v46, v46, v47
	s_waitcnt vmcnt(36)
	v_mul_f32_e32 v47, v40, v211
	v_fmac_f32_e32 v47, v41, v210
	v_add_f32_e32 v46, v46, v47
	s_waitcnt vmcnt(34) lgkmcnt(0)
	v_mul_f32_e32 v47, v42, v213
	v_fmac_f32_e32 v47, v43, v212
	v_add_f32_e32 v50, v46, v47
	ds_read_b128 v[46:49], v28 offset:608
	s_waitcnt vmcnt(32)
	v_mul_f32_e32 v51, v44, v215
	v_fmac_f32_e32 v51, v45, v214
	v_add_f32_e32 v54, v50, v51
	ds_read_b128 v[50:53], v28 offset:624
	s_waitcnt vmcnt(30) lgkmcnt(1)
	v_mul_f32_e32 v55, v46, v217
	v_fmac_f32_e32 v55, v47, v216
	v_add_f32_e32 v54, v54, v55
	s_waitcnt vmcnt(28)
	v_mul_f32_e32 v55, v48, v219
	v_fmac_f32_e32 v55, v49, v218
	v_add_f32_e32 v54, v54, v55
	s_waitcnt vmcnt(26) lgkmcnt(0)
	v_mul_f32_e32 v55, v50, v221
	v_fmac_f32_e32 v55, v51, v220
	;; [unrolled: 18-line block ×4, first 2 shown]
	s_waitcnt vmcnt(8)
	v_mul_f32_e32 v75, v68, v239
	v_add_f32_e32 v74, v70, v71
	v_fmac_f32_e32 v75, v69, v238
	ds_read_b128 v[70:73], v28 offset:704
	v_add_f32_e32 v79, v74, v75
	ds_read_b128 v[74:77], v28 offset:720
	buffer_load_dword v83, off, s[0:3], 0 offset:356
	buffer_load_dword v82, off, s[0:3], 0 offset:352
	;; [unrolled: 1-line block ×16, first 2 shown]
	v_mul_f32_e32 v23, v23, v29
	v_fma_f32 v22, v22, v187, -v23
	v_mul_f32_e32 v23, v25, v78
	v_add_f32_e32 v22, 0, v22
	v_fma_f32 v23, v24, v186, -v23
	v_mul_f32_e32 v19, v19, v101
	v_add_f32_e32 v22, v22, v23
	;; [unrolled: 3-line block ×11, first 2 shown]
	v_fma_f32 v3, v4, v198, -v3
	v_add_f32_e32 v2, v2, v3
	v_mul_f32_e32 v3, v31, v201
	v_fma_f32 v3, v30, v200, -v3
	v_add_f32_e32 v2, v2, v3
	v_mul_f32_e32 v3, v33, v203
	;; [unrolled: 3-line block ×20, first 2 shown]
	v_fma_f32 v3, v68, v238, -v3
	v_add_f32_e32 v2, v2, v3
	s_waitcnt vmcnt(22) lgkmcnt(1)
	v_mul_f32_e32 v3, v71, v241
	v_fma_f32 v3, v70, v240, -v3
	v_add_f32_e32 v2, v2, v3
	s_waitcnt vmcnt(20)
	v_mul_f32_e32 v3, v73, v243
	v_mul_f32_e32 v81, v70, v241
	v_fma_f32 v3, v72, v242, -v3
	v_fmac_f32_e32 v81, v71, v240
	v_add_f32_e32 v78, v2, v3
	s_waitcnt vmcnt(18) lgkmcnt(0)
	v_mul_f32_e32 v2, v75, v245
	v_add_f32_e32 v79, v79, v81
	v_mul_f32_e32 v81, v72, v243
	v_fma_f32 v80, v74, v244, -v2
	s_waitcnt vmcnt(16)
	v_mul_f32_e32 v2, v77, v247
	v_fmac_f32_e32 v81, v73, v242
	v_fma_f32 v88, v76, v246, -v2
	ds_read_b128 v[2:5], v28 offset:736
	ds_read_b128 v[6:9], v28 offset:752
	;; [unrolled: 1-line block ×4, first 2 shown]
	v_add_f32_e32 v79, v79, v81
	v_mul_f32_e32 v81, v74, v245
	s_waitcnt vmcnt(11)
	v_mov_b32_e32 v20, v87
	v_fmac_f32_e32 v81, v75, v244
	v_mul_f32_e32 v89, v76, v247
	s_waitcnt lgkmcnt(3)
	v_pk_mul_f32 v[20:21], v[2:3], v[20:21] op_sel_hi:[1,0]
	v_fmac_f32_e32 v89, v77, v246
	v_pk_add_f32 v[18:19], v[78:79], v[80:81]
	s_waitcnt vmcnt(10)
	v_pk_fma_f32 v[22:23], v[2:3], v[86:87], v[20:21] op_sel:[0,0,1] op_sel_hi:[1,1,0] neg_lo:[0,0,1] neg_hi:[0,0,1]
	v_pk_fma_f32 v[2:3], v[2:3], v[86:87], v[20:21] op_sel:[0,0,1] op_sel_hi:[1,0,0]
	v_pk_add_f32 v[18:19], v[18:19], v[88:89]
	v_mov_b32_e32 v23, v3
	v_pk_add_f32 v[2:3], v[18:19], v[22:23]
	v_mov_b32_e32 v18, v85
	v_pk_mul_f32 v[18:19], v[4:5], v[18:19] op_sel_hi:[1,0]
	v_pk_fma_f32 v[20:21], v[4:5], v[84:85], v[18:19] op_sel:[0,0,1] op_sel_hi:[1,1,0] neg_lo:[0,0,1] neg_hi:[0,0,1]
	v_pk_fma_f32 v[4:5], v[4:5], v[84:85], v[18:19] op_sel:[0,0,1] op_sel_hi:[1,0,0]
	v_mov_b32_e32 v4, v83
	v_mov_b32_e32 v21, v5
	s_waitcnt lgkmcnt(2)
	v_pk_mul_f32 v[4:5], v[6:7], v[4:5] op_sel_hi:[1,0]
	v_pk_fma_f32 v[18:19], v[6:7], v[82:83], v[4:5] op_sel:[0,0,1] op_sel_hi:[1,1,0] neg_lo:[0,0,1] neg_hi:[0,0,1]
	v_pk_fma_f32 v[4:5], v[6:7], v[82:83], v[4:5] op_sel:[0,0,1] op_sel_hi:[1,0,0]
	s_waitcnt vmcnt(3)
	v_mov_b32_e32 v4, v97
	v_mov_b32_e32 v19, v5
	v_pk_mul_f32 v[4:5], v[8:9], v[4:5] op_sel_hi:[1,0]
	s_waitcnt vmcnt(2)
	v_pk_fma_f32 v[6:7], v[8:9], v[96:97], v[4:5] op_sel:[0,0,1] op_sel_hi:[1,1,0] neg_lo:[0,0,1] neg_hi:[0,0,1]
	v_pk_fma_f32 v[4:5], v[8:9], v[96:97], v[4:5] op_sel:[0,0,1] op_sel_hi:[1,0,0]
	v_pk_add_f32 v[2:3], v[2:3], v[20:21]
	v_mov_b32_e32 v4, v95
	v_pk_add_f32 v[2:3], v[2:3], v[18:19]
	v_mov_b32_e32 v7, v5
	s_waitcnt lgkmcnt(1)
	v_pk_mul_f32 v[4:5], v[10:11], v[4:5] op_sel_hi:[1,0]
	v_pk_add_f32 v[2:3], v[2:3], v[6:7]
	v_pk_fma_f32 v[6:7], v[10:11], v[94:95], v[4:5] op_sel:[0,0,1] op_sel_hi:[1,1,0] neg_lo:[0,0,1] neg_hi:[0,0,1]
	v_pk_fma_f32 v[4:5], v[10:11], v[94:95], v[4:5] op_sel:[0,0,1] op_sel_hi:[1,0,0]
	v_mov_b32_e32 v4, v93
	v_mov_b32_e32 v7, v5
	v_pk_mul_f32 v[4:5], v[12:13], v[4:5] op_sel_hi:[1,0]
	v_pk_add_f32 v[2:3], v[2:3], v[6:7]
	v_pk_fma_f32 v[6:7], v[12:13], v[92:93], v[4:5] op_sel:[0,0,1] op_sel_hi:[1,1,0] neg_lo:[0,0,1] neg_hi:[0,0,1]
	v_pk_fma_f32 v[4:5], v[12:13], v[92:93], v[4:5] op_sel:[0,0,1] op_sel_hi:[1,0,0]
	v_mov_b32_e32 v4, v91
	v_mov_b32_e32 v7, v5
	s_waitcnt lgkmcnt(0)
	v_pk_mul_f32 v[4:5], v[14:15], v[4:5] op_sel_hi:[1,0]
	v_pk_add_f32 v[2:3], v[2:3], v[6:7]
	v_pk_fma_f32 v[6:7], v[14:15], v[90:91], v[4:5] op_sel:[0,0,1] op_sel_hi:[1,1,0] neg_lo:[0,0,1] neg_hi:[0,0,1]
	v_pk_fma_f32 v[4:5], v[14:15], v[90:91], v[4:5] op_sel:[0,0,1] op_sel_hi:[1,0,0]
	s_waitcnt vmcnt(1)
	v_mov_b32_e32 v4, v99
	v_mov_b32_e32 v7, v5
	v_pk_mul_f32 v[4:5], v[16:17], v[4:5] op_sel_hi:[1,0]
	v_pk_add_f32 v[2:3], v[2:3], v[6:7]
	s_waitcnt vmcnt(0)
	v_pk_fma_f32 v[6:7], v[16:17], v[98:99], v[4:5] op_sel:[0,0,1] op_sel_hi:[1,1,0] neg_lo:[0,0,1] neg_hi:[0,0,1]
	v_pk_fma_f32 v[4:5], v[16:17], v[98:99], v[4:5] op_sel:[0,0,1] op_sel_hi:[1,0,0]
	v_mov_b32_e32 v7, v5
	v_pk_add_f32 v[2:3], v[2:3], v[6:7]
	v_pk_add_f32 v[2:3], v[26:27], v[2:3] neg_lo:[0,1] neg_hi:[0,1]
	buffer_store_dword v3, off, s[0:3], 0 offset:44
	buffer_store_dword v2, off, s[0:3], 0 offset:40
	s_and_saveexec_b64 s[4:5], vcc
	s_cbranch_execz .LBB49_305
; %bb.304:
	buffer_load_dword v2, off, s[0:3], 0 offset:32
	buffer_load_dword v3, off, s[0:3], 0 offset:36
	v_mov_b32_e32 v4, 0
	buffer_store_dword v4, off, s[0:3], 0 offset:32
	buffer_store_dword v4, off, s[0:3], 0 offset:36
	s_waitcnt vmcnt(2)
	ds_write_b64 v111, v[2:3]
.LBB49_305:
	s_or_b64 exec, exec, s[4:5]
	v_mov_b32_e32 v202, 0
	s_waitcnt lgkmcnt(0)
	; wave barrier
	s_waitcnt lgkmcnt(0)
	ds_read2_b64 v[2:5], v202 offset0:55 offset1:56
	buffer_load_dword v78, off, s[0:3], 0 offset:32
	buffer_load_dword v79, off, s[0:3], 0 offset:36
	;; [unrolled: 1-line block ×16, first 2 shown]
	v_cmp_lt_u32_e32 vcc, 3, v0
	s_waitcnt vmcnt(12) lgkmcnt(0)
	v_mul_f32_e32 v6, v2, v203
	v_fmac_f32_e32 v6, v3, v80
	s_waitcnt vmcnt(10)
	v_mul_f32_e32 v7, v4, v205
	v_add_f32_e32 v6, 0, v6
	v_fmac_f32_e32 v7, v5, v82
	v_add_f32_e32 v10, v6, v7
	ds_read2_b64 v[6:9], v202 offset0:57 offset1:58
	v_mul_f32_e32 v3, v3, v203
	v_fma_f32 v2, v2, v80, -v3
	v_mul_f32_e32 v3, v5, v205
	v_add_f32_e32 v2, 0, v2
	s_waitcnt vmcnt(8) lgkmcnt(0)
	v_mul_f32_e32 v11, v6, v207
	v_fmac_f32_e32 v11, v7, v186
	v_add_f32_e32 v10, v10, v11
	s_waitcnt vmcnt(6)
	v_mul_f32_e32 v11, v8, v209
	v_fmac_f32_e32 v11, v9, v204
	v_add_f32_e32 v14, v10, v11
	ds_read2_b64 v[10:13], v202 offset0:59 offset1:60
	v_fma_f32 v3, v4, v82, -v3
	v_add_f32_e32 v2, v2, v3
	v_mul_f32_e32 v3, v7, v207
	v_fma_f32 v3, v6, v186, -v3
	s_waitcnt vmcnt(4) lgkmcnt(0)
	v_mul_f32_e32 v15, v10, v211
	v_fmac_f32_e32 v15, v11, v206
	v_add_f32_e32 v14, v14, v15
	s_waitcnt vmcnt(2)
	v_mul_f32_e32 v15, v12, v212
	v_fmac_f32_e32 v15, v13, v208
	v_add_f32_e32 v18, v14, v15
	ds_read2_b64 v[14:17], v202 offset0:61 offset1:62
	buffer_load_dword v214, off, s[0:3], 0 offset:96
	buffer_load_dword v215, off, s[0:3], 0 offset:100
	v_add_f32_e32 v2, v2, v3
	v_mul_f32_e32 v3, v9, v209
	v_fma_f32 v3, v8, v204, -v3
	s_waitcnt vmcnt(2) lgkmcnt(0)
	v_mul_f32_e32 v19, v14, v213
	v_fmac_f32_e32 v19, v15, v210
	v_add_f32_e32 v18, v18, v19
	v_add_f32_e32 v2, v2, v3
	v_mul_f32_e32 v3, v11, v211
	v_fma_f32 v3, v10, v206, -v3
	v_add_f32_e32 v2, v2, v3
	v_mul_f32_e32 v3, v13, v212
	v_fma_f32 v3, v12, v208, -v3
	;; [unrolled: 3-line block ×3, first 2 shown]
	v_add_f32_e32 v2, v2, v3
	s_waitcnt vmcnt(0)
	v_mul_f32_e32 v19, v16, v215
	v_fmac_f32_e32 v19, v17, v214
	v_add_f32_e32 v22, v18, v19
	ds_read2_b64 v[18:21], v202 offset0:63 offset1:64
	buffer_load_dword v216, off, s[0:3], 0 offset:104
	buffer_load_dword v217, off, s[0:3], 0 offset:108
	buffer_load_dword v218, off, s[0:3], 0 offset:112
	buffer_load_dword v219, off, s[0:3], 0 offset:116
	v_mul_f32_e32 v3, v17, v215
	v_fma_f32 v3, v16, v214, -v3
	v_add_f32_e32 v2, v2, v3
	s_waitcnt vmcnt(2) lgkmcnt(0)
	v_mul_f32_e32 v23, v18, v217
	v_fmac_f32_e32 v23, v19, v216
	v_add_f32_e32 v22, v22, v23
	s_waitcnt vmcnt(0)
	v_mul_f32_e32 v23, v20, v219
	v_fmac_f32_e32 v23, v21, v218
	v_add_f32_e32 v26, v22, v23
	ds_read2_b64 v[22:25], v202 offset0:65 offset1:66
	buffer_load_dword v220, off, s[0:3], 0 offset:120
	buffer_load_dword v221, off, s[0:3], 0 offset:124
	buffer_load_dword v222, off, s[0:3], 0 offset:128
	buffer_load_dword v223, off, s[0:3], 0 offset:132
	ds_read2_b64 v[30:33], v202 offset0:67 offset1:68
	buffer_load_dword v224, off, s[0:3], 0 offset:136
	buffer_load_dword v225, off, s[0:3], 0 offset:140
	buffer_load_dword v226, off, s[0:3], 0 offset:144
	buffer_load_dword v227, off, s[0:3], 0 offset:148
	;; [unrolled: 5-line block ×13, first 2 shown]
	v_mul_f32_e32 v3, v19, v217
	v_fma_f32 v3, v18, v216, -v3
	v_add_f32_e32 v2, v2, v3
	v_mul_f32_e32 v3, v21, v219
	v_fma_f32 v3, v20, v218, -v3
	v_add_f32_e32 v2, v2, v3
	s_waitcnt vmcnt(50) lgkmcnt(12)
	v_mul_f32_e32 v27, v22, v221
	v_fmac_f32_e32 v27, v23, v220
	v_add_f32_e32 v26, v26, v27
	s_waitcnt vmcnt(48)
	v_mul_f32_e32 v27, v24, v223
	v_fmac_f32_e32 v27, v25, v222
	v_add_f32_e32 v26, v26, v27
	s_waitcnt vmcnt(46) lgkmcnt(11)
	v_mul_f32_e32 v27, v30, v225
	v_fmac_f32_e32 v27, v31, v224
	v_add_f32_e32 v26, v26, v27
	s_waitcnt vmcnt(44)
	v_mul_f32_e32 v27, v32, v227
	v_fmac_f32_e32 v27, v33, v226
	;; [unrolled: 8-line block ×12, first 2 shown]
	v_add_f32_e32 v26, v26, v27
	s_waitcnt vmcnt(2) lgkmcnt(0)
	v_mul_f32_e32 v27, v74, v249
	v_fmac_f32_e32 v27, v75, v248
	v_add_f32_e32 v81, v26, v27
	ds_read2_b64 v[26:29], v202 offset0:91 offset1:92
	buffer_load_dword v252, off, s[0:3], 0 offset:328
	buffer_load_dword v253, off, s[0:3], 0 offset:332
	;; [unrolled: 1-line block ×18, first 2 shown]
	v_mul_f32_e32 v3, v23, v221
	v_fma_f32 v3, v22, v220, -v3
	v_add_f32_e32 v2, v2, v3
	v_mul_f32_e32 v3, v25, v223
	v_fma_f32 v3, v24, v222, -v3
	v_add_f32_e32 v2, v2, v3
	;; [unrolled: 3-line block ×25, first 2 shown]
	s_waitcnt vmcnt(18)
	v_mul_f32_e32 v2, v77, v251
	s_waitcnt vmcnt(15)
	v_mov_b32_e32 v18, v185
	v_mul_f32_e32 v83, v76, v251
	v_fma_f32 v82, v76, v250, -v2
	s_waitcnt lgkmcnt(0)
	v_mul_f32_e32 v2, v27, v253
	v_pk_mul_f32 v[18:19], v[28:29], v[18:19] op_sel_hi:[1,0]
	v_fmac_f32_e32 v83, v77, v250
	v_mul_f32_e32 v187, v26, v253
	v_fma_f32 v186, v26, v252, -v2
	ds_read2_b64 v[2:5], v202 offset0:93 offset1:94
	ds_read2_b64 v[6:9], v202 offset0:95 offset1:96
	;; [unrolled: 1-line block ×3, first 2 shown]
	ds_read_b64 v[14:15], v202 offset:792
	s_waitcnt vmcnt(14)
	v_pk_fma_f32 v[20:21], v[28:29], v[184:185], v[18:19] op_sel:[0,0,1] op_sel_hi:[1,1,0] neg_lo:[0,0,1] neg_hi:[0,0,1]
	v_pk_fma_f32 v[18:19], v[28:29], v[184:185], v[18:19] op_sel:[0,0,1] op_sel_hi:[1,0,0]
	v_fmac_f32_e32 v187, v27, v252
	v_pk_add_f32 v[16:17], v[80:81], v[82:83]
	s_waitcnt vmcnt(13)
	v_mov_b32_e32 v18, v201
	v_pk_add_f32 v[16:17], v[16:17], v[186:187]
	v_mov_b32_e32 v21, v19
	s_waitcnt lgkmcnt(3)
	v_pk_mul_f32 v[18:19], v[2:3], v[18:19] op_sel_hi:[1,0]
	v_pk_add_f32 v[16:17], v[16:17], v[20:21]
	s_waitcnt vmcnt(12)
	v_pk_fma_f32 v[20:21], v[2:3], v[200:201], v[18:19] op_sel:[0,0,1] op_sel_hi:[1,1,0] neg_lo:[0,0,1] neg_hi:[0,0,1]
	v_pk_fma_f32 v[2:3], v[2:3], v[200:201], v[18:19] op_sel:[0,0,1] op_sel_hi:[1,0,0]
	v_mov_b32_e32 v21, v3
	v_pk_add_f32 v[2:3], v[16:17], v[20:21]
	s_waitcnt vmcnt(11)
	v_mov_b32_e32 v16, v199
	v_pk_mul_f32 v[16:17], v[4:5], v[16:17] op_sel_hi:[1,0]
	s_waitcnt vmcnt(10)
	v_pk_fma_f32 v[18:19], v[4:5], v[198:199], v[16:17] op_sel:[0,0,1] op_sel_hi:[1,1,0] neg_lo:[0,0,1] neg_hi:[0,0,1]
	v_pk_fma_f32 v[4:5], v[4:5], v[198:199], v[16:17] op_sel:[0,0,1] op_sel_hi:[1,0,0]
	s_waitcnt vmcnt(9)
	v_mov_b32_e32 v4, v197
	v_mov_b32_e32 v19, v5
	s_waitcnt lgkmcnt(2)
	v_pk_mul_f32 v[4:5], v[6:7], v[4:5] op_sel_hi:[1,0]
	s_waitcnt vmcnt(8)
	v_pk_fma_f32 v[16:17], v[6:7], v[196:197], v[4:5] op_sel:[0,0,1] op_sel_hi:[1,1,0] neg_lo:[0,0,1] neg_hi:[0,0,1]
	v_pk_fma_f32 v[4:5], v[6:7], v[196:197], v[4:5] op_sel:[0,0,1] op_sel_hi:[1,0,0]
	s_waitcnt vmcnt(7)
	v_mov_b32_e32 v4, v195
	v_mov_b32_e32 v17, v5
	v_pk_mul_f32 v[4:5], v[8:9], v[4:5] op_sel_hi:[1,0]
	s_waitcnt vmcnt(6)
	v_pk_fma_f32 v[6:7], v[8:9], v[194:195], v[4:5] op_sel:[0,0,1] op_sel_hi:[1,1,0] neg_lo:[0,0,1] neg_hi:[0,0,1]
	v_pk_fma_f32 v[4:5], v[8:9], v[194:195], v[4:5] op_sel:[0,0,1] op_sel_hi:[1,0,0]
	v_pk_add_f32 v[2:3], v[2:3], v[18:19]
	s_waitcnt vmcnt(5)
	v_mov_b32_e32 v4, v193
	v_pk_add_f32 v[2:3], v[2:3], v[16:17]
	v_mov_b32_e32 v7, v5
	s_waitcnt lgkmcnt(1)
	v_pk_mul_f32 v[4:5], v[10:11], v[4:5] op_sel_hi:[1,0]
	v_pk_add_f32 v[2:3], v[2:3], v[6:7]
	s_waitcnt vmcnt(4)
	v_pk_fma_f32 v[6:7], v[10:11], v[192:193], v[4:5] op_sel:[0,0,1] op_sel_hi:[1,1,0] neg_lo:[0,0,1] neg_hi:[0,0,1]
	v_pk_fma_f32 v[4:5], v[10:11], v[192:193], v[4:5] op_sel:[0,0,1] op_sel_hi:[1,0,0]
	s_waitcnt vmcnt(3)
	v_mov_b32_e32 v4, v191
	v_mov_b32_e32 v7, v5
	v_pk_mul_f32 v[4:5], v[12:13], v[4:5] op_sel_hi:[1,0]
	v_pk_add_f32 v[2:3], v[2:3], v[6:7]
	s_waitcnt vmcnt(2)
	v_pk_fma_f32 v[6:7], v[12:13], v[190:191], v[4:5] op_sel:[0,0,1] op_sel_hi:[1,1,0] neg_lo:[0,0,1] neg_hi:[0,0,1]
	v_pk_fma_f32 v[4:5], v[12:13], v[190:191], v[4:5] op_sel:[0,0,1] op_sel_hi:[1,0,0]
	s_waitcnt vmcnt(1)
	v_mov_b32_e32 v4, v189
	v_mov_b32_e32 v7, v5
	s_waitcnt lgkmcnt(0)
	v_pk_mul_f32 v[4:5], v[14:15], v[4:5] op_sel_hi:[1,0]
	v_pk_add_f32 v[2:3], v[2:3], v[6:7]
	s_waitcnt vmcnt(0)
	v_pk_fma_f32 v[6:7], v[14:15], v[188:189], v[4:5] op_sel:[0,0,1] op_sel_hi:[1,1,0] neg_lo:[0,0,1] neg_hi:[0,0,1]
	v_pk_fma_f32 v[4:5], v[14:15], v[188:189], v[4:5] op_sel:[0,0,1] op_sel_hi:[1,0,0]
	v_mov_b32_e32 v7, v5
	v_pk_add_f32 v[2:3], v[2:3], v[6:7]
	v_pk_add_f32 v[2:3], v[78:79], v[2:3] neg_lo:[0,1] neg_hi:[0,1]
	buffer_store_dword v3, off, s[0:3], 0 offset:36
	buffer_store_dword v2, off, s[0:3], 0 offset:32
	s_and_saveexec_b64 s[4:5], vcc
	s_cbranch_execz .LBB49_307
; %bb.306:
	buffer_load_dword v2, off, s[0:3], 0 offset:24
	buffer_load_dword v3, off, s[0:3], 0 offset:28
	s_waitcnt vmcnt(0)
	ds_write_b64 v111, v[2:3]
	buffer_store_dword v202, off, s[0:3], 0 offset:24
	buffer_store_dword v202, off, s[0:3], 0 offset:28
.LBB49_307:
	s_or_b64 exec, exec, s[4:5]
	s_waitcnt lgkmcnt(0)
	; wave barrier
	s_waitcnt lgkmcnt(0)
	buffer_load_dword v86, off, s[0:3], 0 offset:36
	buffer_load_dword v88, off, s[0:3], 0 offset:44
	;; [unrolled: 1-line block ×32, first 2 shown]
	ds_read_b128 v[22:25], v202 offset:432
	ds_read_b128 v[18:21], v202 offset:448
	;; [unrolled: 1-line block ×6, first 2 shown]
	buffer_load_dword v214, off, s[0:3], 0 offset:152
	buffer_load_dword v215, off, s[0:3], 0 offset:156
	;; [unrolled: 1-line block ×32, first 2 shown]
	v_cmp_lt_u32_e32 vcc, 2, v0
	s_waitcnt vmcnt(62) lgkmcnt(5)
	v_mul_f32_e32 v28, v22, v86
	v_mul_f32_e32 v29, v24, v88
	s_waitcnt vmcnt(61) lgkmcnt(4)
	v_mul_f32_e32 v31, v20, v90
	s_waitcnt vmcnt(60) lgkmcnt(3)
	v_mul_f32_e32 v32, v14, v186
	s_waitcnt vmcnt(59)
	v_mul_f32_e32 v33, v16, v187
	s_waitcnt vmcnt(58)
	v_mul_f32_e32 v30, v18, v188
	s_waitcnt vmcnt(57) lgkmcnt(2)
	v_mul_f32_e32 v34, v10, v189
	s_waitcnt vmcnt(56)
	v_mul_f32_e32 v35, v12, v190
	s_waitcnt vmcnt(55) lgkmcnt(1)
	v_mul_f32_e32 v36, v6, v191
	s_waitcnt vmcnt(54)
	v_mul_f32_e32 v37, v8, v192
	s_waitcnt vmcnt(53)
	v_fmac_f32_e32 v30, v19, v193
	s_waitcnt vmcnt(52)
	v_fmac_f32_e32 v29, v25, v194
	;; [unrolled: 2-line block ×3, first 2 shown]
	v_add_f32_e32 v28, 0, v28
	v_add_f32_e32 v28, v28, v29
	;; [unrolled: 1-line block ×3, first 2 shown]
	s_waitcnt vmcnt(47)
	v_fmac_f32_e32 v31, v21, v199
	v_fmac_f32_e32 v32, v15, v198
	v_add_f32_e32 v28, v28, v31
	v_fmac_f32_e32 v33, v17, v197
	v_add_f32_e32 v28, v28, v32
	;; [unrolled: 2-line block ×3, first 2 shown]
	s_waitcnt vmcnt(43)
	v_fmac_f32_e32 v35, v13, v204
	v_add_f32_e32 v28, v28, v34
	v_fmac_f32_e32 v36, v7, v203
	v_add_f32_e32 v28, v28, v35
	;; [unrolled: 2-line block ×3, first 2 shown]
	s_waitcnt vmcnt(42) lgkmcnt(0)
	v_mul_f32_e32 v29, v2, v205
	v_add_f32_e32 v28, v28, v37
	v_fmac_f32_e32 v29, v3, v200
	v_add_f32_e32 v32, v28, v29
	ds_read_b128 v[28:31], v202 offset:528
	buffer_load_dword v246, off, s[0:3], 0 offset:280
	buffer_load_dword v247, off, s[0:3], 0 offset:284
	s_waitcnt vmcnt(43)
	v_mul_f32_e32 v33, v4, v206
	s_waitcnt vmcnt(36)
	v_fmac_f32_e32 v33, v5, v213
	v_add_f32_e32 v36, v32, v33
	ds_read_b128 v[32:35], v202 offset:544
	buffer_load_dword v248, off, s[0:3], 0 offset:288
	buffer_load_dword v249, off, s[0:3], 0 offset:292
	;; [unrolled: 1-line block ×8, first 2 shown]
	s_waitcnt lgkmcnt(1)
	v_mul_f32_e32 v37, v28, v208
	v_fmac_f32_e32 v37, v29, v207
	v_add_f32_e32 v36, v36, v37
	v_mul_f32_e32 v37, v30, v210
	v_fmac_f32_e32 v37, v31, v209
	v_add_f32_e32 v36, v36, v37
	s_waitcnt lgkmcnt(0)
	v_mul_f32_e32 v37, v32, v212
	v_fmac_f32_e32 v37, v33, v211
	v_add_f32_e32 v40, v36, v37
	buffer_load_dword v1, off, s[0:3], 0 offset:320
	buffer_load_dword v104, off, s[0:3], 0 offset:324
	;; [unrolled: 1-line block ×4, first 2 shown]
	ds_read_b128 v[36:39], v202 offset:560
	s_waitcnt vmcnt(44)
	v_mul_f32_e32 v41, v34, v215
	v_fmac_f32_e32 v41, v35, v214
	v_add_f32_e32 v44, v40, v41
	ds_read_b128 v[40:43], v202 offset:576
	s_waitcnt vmcnt(42) lgkmcnt(1)
	v_mul_f32_e32 v45, v36, v217
	v_fmac_f32_e32 v45, v37, v216
	v_add_f32_e32 v44, v44, v45
	s_waitcnt vmcnt(40)
	v_mul_f32_e32 v45, v38, v219
	v_fmac_f32_e32 v45, v39, v218
	v_add_f32_e32 v44, v44, v45
	s_waitcnt vmcnt(38) lgkmcnt(0)
	v_mul_f32_e32 v45, v40, v221
	v_fmac_f32_e32 v45, v41, v220
	v_add_f32_e32 v48, v44, v45
	ds_read_b128 v[44:47], v202 offset:592
	s_waitcnt vmcnt(36)
	v_mul_f32_e32 v49, v42, v223
	v_fmac_f32_e32 v49, v43, v222
	v_add_f32_e32 v52, v48, v49
	ds_read_b128 v[48:51], v202 offset:608
	s_waitcnt vmcnt(34) lgkmcnt(1)
	v_mul_f32_e32 v53, v44, v225
	v_fmac_f32_e32 v53, v45, v224
	v_add_f32_e32 v52, v52, v53
	s_waitcnt vmcnt(32)
	v_mul_f32_e32 v53, v46, v227
	v_fmac_f32_e32 v53, v47, v226
	v_add_f32_e32 v52, v52, v53
	s_waitcnt vmcnt(30) lgkmcnt(0)
	v_mul_f32_e32 v53, v48, v229
	v_fmac_f32_e32 v53, v49, v228
	v_add_f32_e32 v56, v52, v53
	;; [unrolled: 18-line block ×4, first 2 shown]
	ds_read_b128 v[68:71], v202 offset:688
	v_mul_f32_e32 v23, v23, v86
	v_fma_f32 v22, v22, v195, -v23
	v_mul_f32_e32 v23, v25, v88
	v_add_f32_e32 v22, 0, v22
	s_waitcnt vmcnt(12)
	v_mul_f32_e32 v73, v66, v247
	v_fmac_f32_e32 v73, v67, v246
	v_add_f32_e32 v76, v72, v73
	ds_read_b128 v[72:75], v202 offset:704
	buffer_load_dword v85, off, s[0:3], 0 offset:340
	buffer_load_dword v84, off, s[0:3], 0 offset:336
	s_waitcnt vmcnt(12) lgkmcnt(1)
	v_mul_f32_e32 v77, v68, v249
	v_fmac_f32_e32 v77, v69, v248
	v_add_f32_e32 v76, v76, v77
	s_waitcnt vmcnt(10)
	v_mul_f32_e32 v77, v70, v251
	v_fmac_f32_e32 v77, v71, v250
	v_add_f32_e32 v76, v76, v77
	s_waitcnt vmcnt(8) lgkmcnt(0)
	v_mul_f32_e32 v77, v72, v253
	v_fmac_f32_e32 v77, v73, v252
	s_waitcnt vmcnt(6)
	v_mul_f32_e32 v81, v74, v255
	v_add_f32_e32 v80, v76, v77
	v_fmac_f32_e32 v81, v75, v254
	ds_read_b128 v[76:79], v202 offset:720
	v_add_f32_e32 v87, v80, v81
	ds_read_b128 v[80:83], v202 offset:736
	buffer_load_dword v93, off, s[0:3], 0 offset:372
	buffer_load_dword v92, off, s[0:3], 0 offset:368
	;; [unrolled: 1-line block ×14, first 2 shown]
	v_fma_f32 v23, v24, v194, -v23
	v_mul_f32_e32 v19, v19, v188
	v_add_f32_e32 v22, v22, v23
	v_fma_f32 v18, v18, v193, -v19
	v_mul_f32_e32 v19, v21, v90
	v_add_f32_e32 v18, v22, v18
	;; [unrolled: 3-line block ×10, first 2 shown]
	v_fma_f32 v3, v4, v213, -v3
	v_add_f32_e32 v2, v2, v3
	v_mul_f32_e32 v3, v29, v208
	v_fma_f32 v3, v28, v207, -v3
	v_add_f32_e32 v2, v2, v3
	v_mul_f32_e32 v3, v31, v210
	;; [unrolled: 3-line block ×24, first 2 shown]
	v_fma_f32 v3, v74, v254, -v3
	s_waitcnt vmcnt(15)
	v_mov_b32_e32 v16, v85
	s_waitcnt lgkmcnt(1)
	v_mul_f32_e32 v89, v76, v104
	v_add_f32_e32 v86, v2, v3
	v_mul_f32_e32 v2, v77, v104
	s_waitcnt lgkmcnt(0)
	v_pk_mul_f32 v[16:17], v[80:81], v[16:17] op_sel_hi:[1,0]
	v_fmac_f32_e32 v89, v77, v1
	v_mul_f32_e32 v91, v78, v106
	v_fma_f32 v88, v76, v1, -v2
	v_mul_f32_e32 v1, v79, v106
	s_waitcnt vmcnt(14)
	v_pk_fma_f32 v[18:19], v[80:81], v[84:85], v[16:17] op_sel:[0,0,1] op_sel_hi:[1,1,0] neg_lo:[0,0,1] neg_hi:[0,0,1]
	v_pk_fma_f32 v[16:17], v[80:81], v[84:85], v[16:17] op_sel:[0,0,1] op_sel_hi:[1,0,0]
	v_fmac_f32_e32 v91, v79, v105
	v_fma_f32 v90, v78, v105, -v1
	v_pk_add_f32 v[14:15], v[86:87], v[88:89]
	s_waitcnt vmcnt(7)
	v_mov_b32_e32 v16, v99
	ds_read_b128 v[2:5], v202 offset:752
	ds_read_b128 v[6:9], v202 offset:768
	;; [unrolled: 1-line block ×3, first 2 shown]
	v_pk_add_f32 v[14:15], v[14:15], v[90:91]
	v_mov_b32_e32 v19, v17
	v_pk_mul_f32 v[16:17], v[82:83], v[16:17] op_sel_hi:[1,0]
	v_pk_add_f32 v[14:15], v[14:15], v[18:19]
	s_waitcnt vmcnt(6)
	v_pk_fma_f32 v[18:19], v[82:83], v[98:99], v[16:17] op_sel:[0,0,1] op_sel_hi:[1,1,0] neg_lo:[0,0,1] neg_hi:[0,0,1]
	v_pk_fma_f32 v[16:17], v[82:83], v[98:99], v[16:17] op_sel:[0,0,1] op_sel_hi:[1,0,0]
	v_mov_b32_e32 v16, v97
	v_mov_b32_e32 v19, v17
	s_waitcnt lgkmcnt(2)
	v_pk_mul_f32 v[16:17], v[2:3], v[16:17] op_sel_hi:[1,0]
	v_pk_add_f32 v[14:15], v[14:15], v[18:19]
	v_pk_fma_f32 v[18:19], v[2:3], v[96:97], v[16:17] op_sel:[0,0,1] op_sel_hi:[1,1,0] neg_lo:[0,0,1] neg_hi:[0,0,1]
	v_pk_fma_f32 v[2:3], v[2:3], v[96:97], v[16:17] op_sel:[0,0,1] op_sel_hi:[1,0,0]
	v_mov_b32_e32 v19, v3
	v_pk_add_f32 v[2:3], v[14:15], v[18:19]
	v_mov_b32_e32 v14, v95
	v_pk_mul_f32 v[14:15], v[4:5], v[14:15] op_sel_hi:[1,0]
	v_pk_fma_f32 v[16:17], v[4:5], v[94:95], v[14:15] op_sel:[0,0,1] op_sel_hi:[1,1,0] neg_lo:[0,0,1] neg_hi:[0,0,1]
	v_pk_fma_f32 v[4:5], v[4:5], v[94:95], v[14:15] op_sel:[0,0,1] op_sel_hi:[1,0,0]
	v_mov_b32_e32 v4, v93
	v_mov_b32_e32 v17, v5
	s_waitcnt lgkmcnt(1)
	v_pk_mul_f32 v[4:5], v[6:7], v[4:5] op_sel_hi:[1,0]
	v_pk_fma_f32 v[14:15], v[6:7], v[92:93], v[4:5] op_sel:[0,0,1] op_sel_hi:[1,1,0] neg_lo:[0,0,1] neg_hi:[0,0,1]
	v_pk_fma_f32 v[4:5], v[6:7], v[92:93], v[4:5] op_sel:[0,0,1] op_sel_hi:[1,0,0]
	s_waitcnt vmcnt(1)
	v_mov_b32_e32 v4, v185
	v_mov_b32_e32 v15, v5
	v_pk_mul_f32 v[4:5], v[8:9], v[4:5] op_sel_hi:[1,0]
	s_waitcnt vmcnt(0)
	v_pk_fma_f32 v[6:7], v[8:9], v[184:185], v[4:5] op_sel:[0,0,1] op_sel_hi:[1,1,0] neg_lo:[0,0,1] neg_hi:[0,0,1]
	v_pk_fma_f32 v[4:5], v[8:9], v[184:185], v[4:5] op_sel:[0,0,1] op_sel_hi:[1,0,0]
	v_pk_add_f32 v[2:3], v[2:3], v[16:17]
	v_mov_b32_e32 v4, v103
	v_pk_add_f32 v[2:3], v[2:3], v[14:15]
	v_mov_b32_e32 v7, v5
	s_waitcnt lgkmcnt(0)
	v_pk_mul_f32 v[4:5], v[10:11], v[4:5] op_sel_hi:[1,0]
	v_pk_add_f32 v[2:3], v[2:3], v[6:7]
	v_pk_fma_f32 v[6:7], v[10:11], v[102:103], v[4:5] op_sel:[0,0,1] op_sel_hi:[1,1,0] neg_lo:[0,0,1] neg_hi:[0,0,1]
	v_pk_fma_f32 v[4:5], v[10:11], v[102:103], v[4:5] op_sel:[0,0,1] op_sel_hi:[1,0,0]
	v_mov_b32_e32 v4, v101
	v_mov_b32_e32 v7, v5
	v_pk_mul_f32 v[4:5], v[12:13], v[4:5] op_sel_hi:[1,0]
	v_pk_add_f32 v[2:3], v[2:3], v[6:7]
	v_pk_fma_f32 v[6:7], v[12:13], v[100:101], v[4:5] op_sel:[0,0,1] op_sel_hi:[1,1,0] neg_lo:[0,0,1] neg_hi:[0,0,1]
	v_pk_fma_f32 v[4:5], v[12:13], v[100:101], v[4:5] op_sel:[0,0,1] op_sel_hi:[1,0,0]
	v_mov_b32_e32 v7, v5
	v_pk_add_f32 v[2:3], v[2:3], v[6:7]
	v_pk_add_f32 v[2:3], v[26:27], v[2:3] neg_lo:[0,1] neg_hi:[0,1]
	buffer_store_dword v3, off, s[0:3], 0 offset:28
	buffer_store_dword v2, off, s[0:3], 0 offset:24
	s_and_saveexec_b64 s[4:5], vcc
	s_cbranch_execz .LBB49_309
; %bb.308:
	buffer_load_dword v2, off, s[0:3], 0 offset:16
	buffer_load_dword v3, off, s[0:3], 0 offset:20
	v_mov_b32_e32 v1, 0
	buffer_store_dword v1, off, s[0:3], 0 offset:16
	buffer_store_dword v1, off, s[0:3], 0 offset:20
	s_waitcnt vmcnt(2)
	ds_write_b64 v111, v[2:3]
.LBB49_309:
	s_or_b64 exec, exec, s[4:5]
	s_waitcnt lgkmcnt(0)
	; wave barrier
	s_waitcnt lgkmcnt(0)
	buffer_load_dword v33, off, s[0:3], 0 offset:28
	buffer_load_dword v32, off, s[0:3], 0 offset:36
	;; [unrolled: 1-line block ×48, first 2 shown]
	v_mov_b32_e32 v36, 0
	ds_read2_b64 v[22:25], v36 offset0:53 offset1:54
	ds_read2_b64 v[18:21], v36 offset0:55 offset1:56
	;; [unrolled: 1-line block ×6, first 2 shown]
	buffer_load_dword v225, off, s[0:3], 0 offset:208
	buffer_load_dword v226, off, s[0:3], 0 offset:212
	;; [unrolled: 1-line block ×12, first 2 shown]
	v_cmp_lt_u32_e32 vcc, 1, v0
	s_waitcnt vmcnt(59) lgkmcnt(5)
	v_mul_f32_e32 v35, v22, v33
	s_waitcnt vmcnt(58)
	v_mul_f32_e32 v38, v24, v32
	s_waitcnt vmcnt(57) lgkmcnt(4)
	v_mul_f32_e32 v40, v20, v31
	s_waitcnt vmcnt(56) lgkmcnt(3)
	v_mul_f32_e32 v41, v14, v30
	s_waitcnt vmcnt(55)
	v_mul_f32_e32 v42, v16, v28
	s_waitcnt vmcnt(54)
	v_mul_f32_e32 v39, v18, v34
	s_waitcnt vmcnt(53) lgkmcnt(2)
	v_mul_f32_e32 v43, v10, v29
	s_waitcnt vmcnt(52)
	v_mul_f32_e32 v44, v12, v1
	s_waitcnt vmcnt(51) lgkmcnt(1)
	v_mul_f32_e32 v45, v6, v37
	s_waitcnt vmcnt(50)
	v_mul_f32_e32 v46, v8, v94
	s_waitcnt vmcnt(49)
	v_fmac_f32_e32 v39, v19, v96
	s_waitcnt vmcnt(48)
	v_fmac_f32_e32 v38, v25, v104
	;; [unrolled: 2-line block ×3, first 2 shown]
	v_add_f32_e32 v35, 0, v35
	v_add_f32_e32 v35, v35, v38
	;; [unrolled: 1-line block ×3, first 2 shown]
	s_waitcnt vmcnt(43)
	v_fmac_f32_e32 v40, v21, v195
	v_fmac_f32_e32 v41, v15, v194
	v_add_f32_e32 v35, v35, v40
	v_fmac_f32_e32 v42, v17, v107
	v_add_f32_e32 v35, v35, v41
	;; [unrolled: 2-line block ×3, first 2 shown]
	s_waitcnt vmcnt(39)
	v_fmac_f32_e32 v44, v13, v199
	v_add_f32_e32 v35, v35, v43
	v_fmac_f32_e32 v45, v7, v198
	v_add_f32_e32 v35, v35, v44
	;; [unrolled: 2-line block ×3, first 2 shown]
	s_waitcnt vmcnt(38) lgkmcnt(0)
	v_mul_f32_e32 v38, v2, v200
	v_add_f32_e32 v35, v35, v46
	v_fmac_f32_e32 v38, v3, v196
	v_add_f32_e32 v35, v35, v38
	ds_read2_b64 v[38:41], v36 offset0:65 offset1:66
	buffer_load_dword v237, off, s[0:3], 0 offset:256
	buffer_load_dword v238, off, s[0:3], 0 offset:260
	;; [unrolled: 1-line block ×4, first 2 shown]
	s_waitcnt vmcnt(35)
	v_mul_f32_e32 v42, v4, v207
	s_waitcnt vmcnt(34)
	v_fmac_f32_e32 v42, v5, v208
	v_add_f32_e32 v35, v35, v42
	ds_read2_b64 v[42:45], v36 offset0:67 offset1:68
	buffer_load_dword v241, off, s[0:3], 0 offset:272
	buffer_load_dword v242, off, s[0:3], 0 offset:276
	;; [unrolled: 1-line block ×10, first 2 shown]
	s_waitcnt lgkmcnt(1)
	v_mul_f32_e32 v46, v38, v202
	v_fmac_f32_e32 v46, v39, v201
	v_add_f32_e32 v35, v35, v46
	v_mul_f32_e32 v46, v40, v204
	v_fmac_f32_e32 v46, v41, v203
	v_add_f32_e32 v35, v35, v46
	s_waitcnt lgkmcnt(0)
	v_mul_f32_e32 v46, v42, v206
	v_fmac_f32_e32 v46, v43, v205
	v_add_f32_e32 v35, v35, v46
	buffer_load_dword v251, off, s[0:3], 0 offset:312
	buffer_load_dword v252, off, s[0:3], 0 offset:316
	;; [unrolled: 1-line block ×6, first 2 shown]
	ds_read2_b64 v[46:49], v36 offset0:69 offset1:70
	s_waitcnt vmcnt(46)
	v_mul_f32_e32 v50, v44, v210
	v_fmac_f32_e32 v50, v45, v209
	v_add_f32_e32 v35, v35, v50
	ds_read2_b64 v[50:53], v36 offset0:71 offset1:72
	s_waitcnt vmcnt(44) lgkmcnt(1)
	v_mul_f32_e32 v54, v46, v212
	v_fmac_f32_e32 v54, v47, v211
	v_add_f32_e32 v35, v35, v54
	s_waitcnt vmcnt(42)
	v_mul_f32_e32 v54, v48, v214
	v_fmac_f32_e32 v54, v49, v213
	v_add_f32_e32 v35, v35, v54
	s_waitcnt vmcnt(40) lgkmcnt(0)
	v_mul_f32_e32 v54, v50, v216
	v_fmac_f32_e32 v54, v51, v215
	v_add_f32_e32 v35, v35, v54
	ds_read2_b64 v[54:57], v36 offset0:73 offset1:74
	s_waitcnt vmcnt(38)
	v_mul_f32_e32 v58, v52, v218
	v_fmac_f32_e32 v58, v53, v217
	v_add_f32_e32 v35, v35, v58
	ds_read2_b64 v[58:61], v36 offset0:75 offset1:76
	s_waitcnt vmcnt(36) lgkmcnt(1)
	v_mul_f32_e32 v62, v54, v220
	v_fmac_f32_e32 v62, v55, v219
	v_add_f32_e32 v35, v35, v62
	s_waitcnt vmcnt(34)
	v_mul_f32_e32 v62, v56, v222
	v_fmac_f32_e32 v62, v57, v221
	v_add_f32_e32 v35, v35, v62
	s_waitcnt vmcnt(32) lgkmcnt(0)
	v_mul_f32_e32 v62, v58, v224
	v_fmac_f32_e32 v62, v59, v223
	v_add_f32_e32 v35, v35, v62
	ds_read2_b64 v[62:65], v36 offset0:77 offset1:78
	s_waitcnt vmcnt(30)
	v_mul_f32_e32 v66, v60, v226
	v_fmac_f32_e32 v66, v61, v225
	v_add_f32_e32 v35, v35, v66
	ds_read2_b64 v[66:69], v36 offset0:79 offset1:80
	s_waitcnt vmcnt(28) lgkmcnt(1)
	v_mul_f32_e32 v70, v62, v228
	v_fmac_f32_e32 v70, v63, v227
	v_add_f32_e32 v35, v35, v70
	s_waitcnt vmcnt(26)
	v_mul_f32_e32 v70, v64, v230
	v_fmac_f32_e32 v70, v65, v229
	v_add_f32_e32 v35, v35, v70
	s_waitcnt vmcnt(24) lgkmcnt(0)
	v_mul_f32_e32 v70, v66, v232
	v_fmac_f32_e32 v70, v67, v231
	v_add_f32_e32 v35, v35, v70
	ds_read2_b64 v[70:73], v36 offset0:81 offset1:82
	s_waitcnt vmcnt(22)
	v_mul_f32_e32 v74, v68, v234
	v_fmac_f32_e32 v74, v69, v233
	v_add_f32_e32 v35, v35, v74
	ds_read2_b64 v[74:77], v36 offset0:83 offset1:84
	s_waitcnt vmcnt(20) lgkmcnt(1)
	v_mul_f32_e32 v78, v70, v236
	v_fmac_f32_e32 v78, v71, v235
	v_add_f32_e32 v35, v35, v78
	v_mul_f32_e32 v23, v23, v33
	v_fma_f32 v22, v22, v105, -v23
	v_mul_f32_e32 v23, v25, v32
	v_add_f32_e32 v22, 0, v22
	v_fma_f32 v23, v24, v104, -v23
	v_mul_f32_e32 v19, v19, v34
	v_add_f32_e32 v22, v22, v23
	v_fma_f32 v18, v18, v96, -v19
	v_mul_f32_e32 v19, v21, v31
	s_waitcnt vmcnt(18)
	v_mul_f32_e32 v78, v72, v238
	v_fmac_f32_e32 v78, v73, v237
	v_add_f32_e32 v35, v35, v78
	s_waitcnt vmcnt(16) lgkmcnt(0)
	v_mul_f32_e32 v78, v74, v240
	v_fmac_f32_e32 v78, v75, v239
	v_add_f32_e32 v35, v35, v78
	ds_read2_b64 v[78:81], v36 offset0:85 offset1:86
	s_waitcnt vmcnt(14)
	v_mul_f32_e32 v82, v76, v242
	v_fmac_f32_e32 v82, v77, v241
	v_add_f32_e32 v35, v35, v82
	ds_read2_b64 v[82:85], v36 offset0:87 offset1:88
	s_waitcnt vmcnt(12) lgkmcnt(1)
	v_mul_f32_e32 v86, v78, v244
	v_fmac_f32_e32 v86, v79, v243
	v_add_f32_e32 v35, v35, v86
	s_waitcnt vmcnt(10)
	v_mul_f32_e32 v86, v80, v246
	v_fmac_f32_e32 v86, v81, v245
	v_add_f32_e32 v35, v35, v86
	s_waitcnt vmcnt(8) lgkmcnt(0)
	v_mul_f32_e32 v86, v82, v248
	v_fmac_f32_e32 v86, v83, v247
	s_waitcnt vmcnt(6)
	v_mul_f32_e32 v90, v84, v250
	v_add_f32_e32 v35, v35, v86
	v_fmac_f32_e32 v90, v85, v249
	ds_read2_b64 v[86:89], v36 offset0:89 offset1:90
	v_add_f32_e32 v35, v35, v90
	ds_read2_b64 v[90:93], v36 offset0:91 offset1:92
	buffer_load_dword v99, off, s[0:3], 0 offset:364
	buffer_load_dword v98, off, s[0:3], 0 offset:360
	;; [unrolled: 1-line block ×16, first 2 shown]
	v_add_f32_e32 v18, v22, v18
	v_fma_f32 v19, v20, v195, -v19
	v_mul_f32_e32 v15, v15, v30
	v_add_f32_e32 v18, v18, v19
	v_fma_f32 v14, v14, v194, -v15
	v_mul_f32_e32 v15, v17, v28
	;; [unrolled: 3-line block ×5, first 2 shown]
	v_add_f32_e32 v1, v10, v1
	v_fma_f32 v6, v6, v198, -v7
	v_add_f32_e32 v1, v1, v6
	v_mul_f32_e32 v6, v9, v94
	v_fma_f32 v6, v8, v197, -v6
	v_mul_f32_e32 v3, v3, v200
	v_add_f32_e32 v1, v1, v6
	v_fma_f32 v2, v2, v196, -v3
	v_add_f32_e32 v1, v1, v2
	v_mul_f32_e32 v2, v5, v207
	v_fma_f32 v2, v4, v208, -v2
	v_add_f32_e32 v1, v1, v2
	v_mul_f32_e32 v2, v39, v202
	;; [unrolled: 3-line block ×25, first 2 shown]
	v_fma_f32 v2, v84, v249, -v2
	s_waitcnt vmcnt(20) lgkmcnt(1)
	v_mul_f32_e32 v95, v86, v252
	v_add_f32_e32 v1, v1, v2
	v_mul_f32_e32 v2, v87, v252
	v_fmac_f32_e32 v95, v87, v251
	v_fma_f32 v2, v86, v251, -v2
	s_waitcnt vmcnt(9)
	v_mov_b32_e32 v18, v185
	v_add_f32_e32 v35, v35, v95
	v_mul_f32_e32 v95, v88, v254
	v_add_f32_e32 v34, v1, v2
	v_mul_f32_e32 v1, v89, v254
	s_waitcnt lgkmcnt(0)
	v_pk_mul_f32 v[18:19], v[92:93], v[18:19] op_sel_hi:[1,0]
	v_fmac_f32_e32 v95, v89, v253
	v_mul_f32_e32 v97, v90, v108
	v_fma_f32 v94, v88, v253, -v1
	v_mul_f32_e32 v1, v91, v108
	ds_read2_b64 v[2:5], v36 offset0:93 offset1:94
	ds_read2_b64 v[6:9], v36 offset0:95 offset1:96
	;; [unrolled: 1-line block ×3, first 2 shown]
	ds_read_b64 v[14:15], v36 offset:792
	s_waitcnt vmcnt(8)
	v_pk_fma_f32 v[20:21], v[92:93], v[184:185], v[18:19] op_sel:[0,0,1] op_sel_hi:[1,1,0] neg_lo:[0,0,1] neg_hi:[0,0,1]
	v_pk_fma_f32 v[18:19], v[92:93], v[184:185], v[18:19] op_sel:[0,0,1] op_sel_hi:[1,0,0]
	v_fmac_f32_e32 v97, v91, v255
	v_fma_f32 v96, v90, v255, -v1
	v_pk_add_f32 v[16:17], v[34:35], v[94:95]
	v_mov_b32_e32 v18, v103
	v_pk_add_f32 v[16:17], v[16:17], v[96:97]
	v_mov_b32_e32 v21, v19
	s_waitcnt lgkmcnt(3)
	v_pk_mul_f32 v[18:19], v[2:3], v[18:19] op_sel_hi:[1,0]
	v_pk_add_f32 v[16:17], v[16:17], v[20:21]
	v_pk_fma_f32 v[20:21], v[2:3], v[102:103], v[18:19] op_sel:[0,0,1] op_sel_hi:[1,1,0] neg_lo:[0,0,1] neg_hi:[0,0,1]
	v_pk_fma_f32 v[2:3], v[2:3], v[102:103], v[18:19] op_sel:[0,0,1] op_sel_hi:[1,0,0]
	v_mov_b32_e32 v21, v3
	v_pk_add_f32 v[2:3], v[16:17], v[20:21]
	v_mov_b32_e32 v16, v101
	v_pk_mul_f32 v[16:17], v[4:5], v[16:17] op_sel_hi:[1,0]
	v_pk_fma_f32 v[18:19], v[4:5], v[100:101], v[16:17] op_sel:[0,0,1] op_sel_hi:[1,1,0] neg_lo:[0,0,1] neg_hi:[0,0,1]
	v_pk_fma_f32 v[4:5], v[4:5], v[100:101], v[16:17] op_sel:[0,0,1] op_sel_hi:[1,0,0]
	v_mov_b32_e32 v4, v99
	v_mov_b32_e32 v19, v5
	s_waitcnt lgkmcnt(2)
	v_pk_mul_f32 v[4:5], v[6:7], v[4:5] op_sel_hi:[1,0]
	v_pk_fma_f32 v[16:17], v[6:7], v[98:99], v[4:5] op_sel:[0,0,1] op_sel_hi:[1,1,0] neg_lo:[0,0,1] neg_hi:[0,0,1]
	v_pk_fma_f32 v[4:5], v[6:7], v[98:99], v[4:5] op_sel:[0,0,1] op_sel_hi:[1,0,0]
	s_waitcnt vmcnt(1)
	v_mov_b32_e32 v4, v193
	v_mov_b32_e32 v17, v5
	v_pk_mul_f32 v[4:5], v[8:9], v[4:5] op_sel_hi:[1,0]
	s_waitcnt vmcnt(0)
	v_pk_fma_f32 v[6:7], v[8:9], v[192:193], v[4:5] op_sel:[0,0,1] op_sel_hi:[1,1,0] neg_lo:[0,0,1] neg_hi:[0,0,1]
	v_pk_fma_f32 v[4:5], v[8:9], v[192:193], v[4:5] op_sel:[0,0,1] op_sel_hi:[1,0,0]
	v_pk_add_f32 v[2:3], v[2:3], v[18:19]
	v_mov_b32_e32 v4, v191
	v_pk_add_f32 v[2:3], v[2:3], v[16:17]
	v_mov_b32_e32 v7, v5
	s_waitcnt lgkmcnt(1)
	v_pk_mul_f32 v[4:5], v[10:11], v[4:5] op_sel_hi:[1,0]
	v_pk_add_f32 v[2:3], v[2:3], v[6:7]
	v_pk_fma_f32 v[6:7], v[10:11], v[190:191], v[4:5] op_sel:[0,0,1] op_sel_hi:[1,1,0] neg_lo:[0,0,1] neg_hi:[0,0,1]
	v_pk_fma_f32 v[4:5], v[10:11], v[190:191], v[4:5] op_sel:[0,0,1] op_sel_hi:[1,0,0]
	v_mov_b32_e32 v4, v189
	v_mov_b32_e32 v7, v5
	v_pk_mul_f32 v[4:5], v[12:13], v[4:5] op_sel_hi:[1,0]
	v_pk_add_f32 v[2:3], v[2:3], v[6:7]
	v_pk_fma_f32 v[6:7], v[12:13], v[188:189], v[4:5] op_sel:[0,0,1] op_sel_hi:[1,1,0] neg_lo:[0,0,1] neg_hi:[0,0,1]
	v_pk_fma_f32 v[4:5], v[12:13], v[188:189], v[4:5] op_sel:[0,0,1] op_sel_hi:[1,0,0]
	v_mov_b32_e32 v4, v187
	v_mov_b32_e32 v7, v5
	s_waitcnt lgkmcnt(0)
	v_pk_mul_f32 v[4:5], v[14:15], v[4:5] op_sel_hi:[1,0]
	v_pk_add_f32 v[2:3], v[2:3], v[6:7]
	v_pk_fma_f32 v[6:7], v[14:15], v[186:187], v[4:5] op_sel:[0,0,1] op_sel_hi:[1,1,0] neg_lo:[0,0,1] neg_hi:[0,0,1]
	v_pk_fma_f32 v[4:5], v[14:15], v[186:187], v[4:5] op_sel:[0,0,1] op_sel_hi:[1,0,0]
	v_mov_b32_e32 v7, v5
	v_pk_add_f32 v[2:3], v[2:3], v[6:7]
	v_pk_add_f32 v[2:3], v[26:27], v[2:3] neg_lo:[0,1] neg_hi:[0,1]
	buffer_store_dword v3, off, s[0:3], 0 offset:20
	buffer_store_dword v2, off, s[0:3], 0 offset:16
	s_and_saveexec_b64 s[4:5], vcc
	s_cbranch_execz .LBB49_311
; %bb.310:
	buffer_load_dword v2, off, s[0:3], 0 offset:8
	buffer_load_dword v3, off, s[0:3], 0 offset:12
	s_waitcnt vmcnt(0)
	ds_write_b64 v111, v[2:3]
	buffer_store_dword v36, off, s[0:3], 0 offset:8
	buffer_store_dword v36, off, s[0:3], 0 offset:12
.LBB49_311:
	s_or_b64 exec, exec, s[4:5]
	s_waitcnt lgkmcnt(0)
	; wave barrier
	s_waitcnt lgkmcnt(0)
	buffer_load_dword v42, off, s[0:3], 0 offset:20
	buffer_load_dword v41, off, s[0:3], 0 offset:28
	;; [unrolled: 1-line block ×32, first 2 shown]
	ds_read_b128 v[22:25], v36 offset:416
	ds_read_b128 v[18:21], v36 offset:432
	;; [unrolled: 1-line block ×6, first 2 shown]
	buffer_load_dword v207, off, s[0:3], 0 offset:136
	buffer_load_dword v208, off, s[0:3], 0 offset:140
	;; [unrolled: 1-line block ×26, first 2 shown]
	v_cmp_ne_u32_e32 vcc, 0, v0
	s_waitcnt vmcnt(57) lgkmcnt(5)
	v_mul_f32_e32 v26, v22, v42
	s_waitcnt vmcnt(56)
	v_mul_f32_e32 v27, v24, v41
	s_waitcnt vmcnt(55) lgkmcnt(4)
	v_mul_f32_e32 v29, v20, v40
	s_waitcnt vmcnt(54) lgkmcnt(3)
	v_mul_f32_e32 v30, v14, v39
	s_waitcnt vmcnt(53)
	v_mul_f32_e32 v31, v16, v37
	s_waitcnt vmcnt(52)
	v_mul_f32_e32 v28, v18, v43
	s_waitcnt vmcnt(51) lgkmcnt(2)
	v_mul_f32_e32 v32, v10, v38
	s_waitcnt vmcnt(50)
	v_mul_f32_e32 v33, v12, v44
	s_waitcnt vmcnt(49) lgkmcnt(1)
	;; [unrolled: 4-line block ×3, first 2 shown]
	v_mul_f32_e32 v47, v2, v102
	s_waitcnt vmcnt(46)
	v_fmac_f32_e32 v28, v19, v104
	s_waitcnt vmcnt(45)
	v_fmac_f32_e32 v27, v25, v105
	;; [unrolled: 2-line block ×3, first 2 shown]
	v_add_f32_e32 v26, 0, v26
	v_add_f32_e32 v26, v26, v27
	;; [unrolled: 1-line block ×3, first 2 shown]
	s_waitcnt vmcnt(40)
	v_fmac_f32_e32 v29, v21, v194
	v_fmac_f32_e32 v30, v15, v109
	v_add_f32_e32 v26, v26, v29
	v_fmac_f32_e32 v31, v17, v108
	v_add_f32_e32 v26, v26, v30
	;; [unrolled: 2-line block ×3, first 2 shown]
	s_waitcnt vmcnt(36)
	v_fmac_f32_e32 v33, v13, v198
	v_add_f32_e32 v26, v26, v32
	v_fmac_f32_e32 v45, v7, v197
	v_add_f32_e32 v26, v26, v33
	;; [unrolled: 2-line block ×4, first 2 shown]
	s_waitcnt vmcnt(30)
	v_mul_f32_e32 v27, v4, v204
	v_add_f32_e32 v26, v26, v47
	s_waitcnt vmcnt(29)
	v_fmac_f32_e32 v27, v5, v205
	v_add_f32_e32 v45, v26, v27
	ds_read_b128 v[26:29], v36 offset:512
	buffer_load_dword v233, off, s[0:3], 0 offset:240
	buffer_load_dword v234, off, s[0:3], 0 offset:244
	ds_read_b128 v[30:33], v36 offset:528
	buffer_load_dword v235, off, s[0:3], 0 offset:248
	buffer_load_dword v236, off, s[0:3], 0 offset:252
	;; [unrolled: 1-line block ×14, first 2 shown]
	s_waitcnt vmcnt(44) lgkmcnt(1)
	v_mul_f32_e32 v46, v26, v206
	v_fmac_f32_e32 v46, v27, v203
	v_add_f32_e32 v45, v45, v46
	v_mul_f32_e32 v46, v28, v200
	v_fmac_f32_e32 v46, v29, v199
	v_add_f32_e32 v45, v45, v46
	s_waitcnt lgkmcnt(0)
	v_mul_f32_e32 v46, v30, v202
	v_fmac_f32_e32 v46, v31, v201
	v_add_f32_e32 v45, v45, v46
	buffer_load_dword v249, off, s[0:3], 0 offset:304
	buffer_load_dword v250, off, s[0:3], 0 offset:308
	ds_read_b128 v[46:49], v36 offset:544
	s_waitcnt vmcnt(42)
	v_mul_f32_e32 v50, v32, v208
	v_fmac_f32_e32 v50, v33, v207
	buffer_load_dword v251, off, s[0:3], 0 offset:312
	buffer_load_dword v252, off, s[0:3], 0 offset:316
	v_add_f32_e32 v45, v45, v50
	buffer_load_dword v253, off, s[0:3], 0 offset:320
	buffer_load_dword v254, off, s[0:3], 0 offset:324
	ds_read_b128 v[50:53], v36 offset:560
	s_waitcnt vmcnt(44) lgkmcnt(1)
	v_mul_f32_e32 v54, v46, v210
	v_fmac_f32_e32 v54, v47, v209
	v_add_f32_e32 v45, v45, v54
	s_waitcnt vmcnt(42)
	v_mul_f32_e32 v54, v48, v212
	v_fmac_f32_e32 v54, v49, v211
	v_add_f32_e32 v45, v45, v54
	s_waitcnt vmcnt(40) lgkmcnt(0)
	v_mul_f32_e32 v54, v50, v214
	v_fmac_f32_e32 v54, v51, v213
	buffer_load_dword v255, off, s[0:3], 0 offset:328
	buffer_load_dword v110, off, s[0:3], 0 offset:332
	v_add_f32_e32 v45, v45, v54
	ds_read_b128 v[54:57], v36 offset:576
	s_waitcnt vmcnt(40)
	v_mul_f32_e32 v58, v52, v216
	v_fmac_f32_e32 v58, v53, v215
	v_add_f32_e32 v45, v45, v58
	ds_read_b128 v[58:61], v36 offset:592
	s_waitcnt vmcnt(38) lgkmcnt(1)
	v_mul_f32_e32 v62, v54, v218
	v_fmac_f32_e32 v62, v55, v217
	v_add_f32_e32 v45, v45, v62
	s_waitcnt vmcnt(36)
	v_mul_f32_e32 v62, v56, v220
	v_fmac_f32_e32 v62, v57, v219
	v_add_f32_e32 v45, v45, v62
	s_waitcnt vmcnt(34) lgkmcnt(0)
	v_mul_f32_e32 v62, v58, v222
	v_fmac_f32_e32 v62, v59, v221
	v_add_f32_e32 v45, v45, v62
	ds_read_b128 v[62:65], v36 offset:608
	s_waitcnt vmcnt(32)
	v_mul_f32_e32 v66, v60, v224
	v_fmac_f32_e32 v66, v61, v223
	v_add_f32_e32 v45, v45, v66
	ds_read_b128 v[66:69], v36 offset:624
	s_waitcnt vmcnt(30) lgkmcnt(1)
	v_mul_f32_e32 v70, v62, v226
	v_fmac_f32_e32 v70, v63, v225
	v_add_f32_e32 v45, v45, v70
	s_waitcnt vmcnt(28)
	v_mul_f32_e32 v70, v64, v228
	v_fmac_f32_e32 v70, v65, v227
	v_add_f32_e32 v45, v45, v70
	s_waitcnt vmcnt(26) lgkmcnt(0)
	v_mul_f32_e32 v70, v66, v230
	v_fmac_f32_e32 v70, v67, v229
	v_add_f32_e32 v45, v45, v70
	ds_read_b128 v[70:73], v36 offset:640
	s_waitcnt vmcnt(24)
	v_mul_f32_e32 v74, v68, v232
	v_fmac_f32_e32 v74, v69, v231
	v_add_f32_e32 v45, v45, v74
	ds_read_b128 v[74:77], v36 offset:656
	v_mul_f32_e32 v23, v23, v42
	v_fma_f32 v22, v22, v106, -v23
	v_mul_f32_e32 v23, v25, v41
	v_add_f32_e32 v22, 0, v22
	v_fma_f32 v23, v24, v105, -v23
	v_mul_f32_e32 v19, v19, v43
	v_add_f32_e32 v22, v22, v23
	;; [unrolled: 3-line block ×3, first 2 shown]
	v_fma_f32 v19, v20, v194, -v19
	s_waitcnt vmcnt(22) lgkmcnt(1)
	v_mul_f32_e32 v78, v70, v234
	v_fmac_f32_e32 v78, v71, v233
	v_add_f32_e32 v45, v45, v78
	s_waitcnt vmcnt(20)
	v_mul_f32_e32 v78, v72, v236
	v_fmac_f32_e32 v78, v73, v235
	v_add_f32_e32 v45, v45, v78
	s_waitcnt vmcnt(18) lgkmcnt(0)
	v_mul_f32_e32 v78, v74, v238
	v_fmac_f32_e32 v78, v75, v237
	v_add_f32_e32 v45, v45, v78
	ds_read_b128 v[78:81], v36 offset:672
	s_waitcnt vmcnt(16)
	v_mul_f32_e32 v82, v76, v240
	v_fmac_f32_e32 v82, v77, v239
	v_add_f32_e32 v45, v45, v82
	ds_read_b128 v[82:85], v36 offset:688
	s_waitcnt vmcnt(14) lgkmcnt(1)
	v_mul_f32_e32 v86, v78, v242
	v_fmac_f32_e32 v86, v79, v241
	v_add_f32_e32 v45, v45, v86
	s_waitcnt vmcnt(12)
	v_mul_f32_e32 v86, v80, v244
	v_fmac_f32_e32 v86, v81, v243
	v_add_f32_e32 v45, v45, v86
	s_waitcnt vmcnt(10) lgkmcnt(0)
	v_mul_f32_e32 v86, v82, v246
	v_fmac_f32_e32 v86, v83, v245
	s_waitcnt vmcnt(8)
	v_mul_f32_e32 v90, v84, v248
	v_add_f32_e32 v45, v45, v86
	v_fmac_f32_e32 v90, v85, v247
	ds_read_b128 v[86:89], v36 offset:704
	v_add_f32_e32 v45, v45, v90
	ds_read_b128 v[90:93], v36 offset:720
	buffer_load_dword v97, off, s[0:3], 0 offset:356
	buffer_load_dword v96, off, s[0:3], 0 offset:352
	;; [unrolled: 1-line block ×16, first 2 shown]
	v_mul_f32_e32 v15, v15, v39
	v_add_f32_e32 v18, v18, v19
	v_fma_f32 v14, v14, v109, -v15
	v_mul_f32_e32 v15, v17, v37
	v_add_f32_e32 v14, v18, v14
	v_fma_f32 v15, v16, v108, -v15
	;; [unrolled: 3-line block ×7, first 2 shown]
	v_add_f32_e32 v1, v1, v2
	v_mul_f32_e32 v2, v5, v204
	v_fma_f32 v2, v4, v205, -v2
	v_add_f32_e32 v1, v1, v2
	v_mul_f32_e32 v2, v27, v206
	v_fma_f32 v2, v26, v203, -v2
	;; [unrolled: 3-line block ×25, first 2 shown]
	v_add_f32_e32 v1, v1, v2
	s_waitcnt vmcnt(22) lgkmcnt(1)
	v_mul_f32_e32 v2, v87, v250
	v_mul_f32_e32 v95, v86, v250
	v_fma_f32 v2, v86, v249, -v2
	v_fmac_f32_e32 v95, v87, v249
	v_add_f32_e32 v1, v1, v2
	s_waitcnt vmcnt(20)
	v_mul_f32_e32 v2, v89, v252
	v_add_f32_e32 v45, v45, v95
	v_mul_f32_e32 v95, v88, v252
	v_fma_f32 v2, v88, v251, -v2
	v_fmac_f32_e32 v95, v89, v251
	v_add_f32_e32 v44, v1, v2
	ds_read_b128 v[2:5], v36 offset:736
	ds_read_b128 v[6:9], v36 offset:752
	ds_read_b128 v[10:13], v36 offset:768
	ds_read_b128 v[14:17], v36 offset:784
	v_add_f32_e32 v45, v45, v95
	s_waitcnt vmcnt(18) lgkmcnt(4)
	v_mul_f32_e32 v95, v90, v254
	v_mul_f32_e32 v1, v91, v254
	s_waitcnt vmcnt(11)
	v_mov_b32_e32 v20, v101
	v_fmac_f32_e32 v95, v91, v253
	v_mul_f32_e32 v103, v92, v110
	v_fma_f32 v94, v90, v253, -v1
	v_mul_f32_e32 v1, v93, v110
	s_waitcnt lgkmcnt(3)
	v_pk_mul_f32 v[20:21], v[2:3], v[20:21] op_sel_hi:[1,0]
	v_fmac_f32_e32 v103, v93, v255
	v_fma_f32 v102, v92, v255, -v1
	v_pk_add_f32 v[18:19], v[44:45], v[94:95]
	s_waitcnt vmcnt(10)
	v_pk_fma_f32 v[22:23], v[2:3], v[100:101], v[20:21] op_sel:[0,0,1] op_sel_hi:[1,1,0] neg_lo:[0,0,1] neg_hi:[0,0,1]
	v_pk_fma_f32 v[2:3], v[2:3], v[100:101], v[20:21] op_sel:[0,0,1] op_sel_hi:[1,0,0]
	v_pk_add_f32 v[18:19], v[18:19], v[102:103]
	v_mov_b32_e32 v23, v3
	v_pk_add_f32 v[2:3], v[18:19], v[22:23]
	v_mov_b32_e32 v18, v99
	v_pk_mul_f32 v[18:19], v[4:5], v[18:19] op_sel_hi:[1,0]
	v_pk_fma_f32 v[20:21], v[4:5], v[98:99], v[18:19] op_sel:[0,0,1] op_sel_hi:[1,1,0] neg_lo:[0,0,1] neg_hi:[0,0,1]
	v_pk_fma_f32 v[4:5], v[4:5], v[98:99], v[18:19] op_sel:[0,0,1] op_sel_hi:[1,0,0]
	v_mov_b32_e32 v4, v97
	v_mov_b32_e32 v21, v5
	s_waitcnt lgkmcnt(2)
	v_pk_mul_f32 v[4:5], v[6:7], v[4:5] op_sel_hi:[1,0]
	v_pk_fma_f32 v[18:19], v[6:7], v[96:97], v[4:5] op_sel:[0,0,1] op_sel_hi:[1,1,0] neg_lo:[0,0,1] neg_hi:[0,0,1]
	v_pk_fma_f32 v[4:5], v[6:7], v[96:97], v[4:5] op_sel:[0,0,1] op_sel_hi:[1,0,0]
	s_waitcnt vmcnt(3)
	v_mov_b32_e32 v4, v191
	v_mov_b32_e32 v19, v5
	v_pk_mul_f32 v[4:5], v[8:9], v[4:5] op_sel_hi:[1,0]
	s_waitcnt vmcnt(2)
	v_pk_fma_f32 v[6:7], v[8:9], v[190:191], v[4:5] op_sel:[0,0,1] op_sel_hi:[1,1,0] neg_lo:[0,0,1] neg_hi:[0,0,1]
	v_pk_fma_f32 v[4:5], v[8:9], v[190:191], v[4:5] op_sel:[0,0,1] op_sel_hi:[1,0,0]
	v_pk_add_f32 v[2:3], v[2:3], v[20:21]
	v_mov_b32_e32 v4, v189
	v_pk_add_f32 v[2:3], v[2:3], v[18:19]
	v_mov_b32_e32 v7, v5
	s_waitcnt lgkmcnt(1)
	v_pk_mul_f32 v[4:5], v[10:11], v[4:5] op_sel_hi:[1,0]
	v_pk_add_f32 v[2:3], v[2:3], v[6:7]
	v_pk_fma_f32 v[6:7], v[10:11], v[188:189], v[4:5] op_sel:[0,0,1] op_sel_hi:[1,1,0] neg_lo:[0,0,1] neg_hi:[0,0,1]
	v_pk_fma_f32 v[4:5], v[10:11], v[188:189], v[4:5] op_sel:[0,0,1] op_sel_hi:[1,0,0]
	v_mov_b32_e32 v4, v187
	v_mov_b32_e32 v7, v5
	v_pk_mul_f32 v[4:5], v[12:13], v[4:5] op_sel_hi:[1,0]
	v_pk_add_f32 v[2:3], v[2:3], v[6:7]
	v_pk_fma_f32 v[6:7], v[12:13], v[186:187], v[4:5] op_sel:[0,0,1] op_sel_hi:[1,1,0] neg_lo:[0,0,1] neg_hi:[0,0,1]
	v_pk_fma_f32 v[4:5], v[12:13], v[186:187], v[4:5] op_sel:[0,0,1] op_sel_hi:[1,0,0]
	v_mov_b32_e32 v4, v185
	v_mov_b32_e32 v7, v5
	s_waitcnt lgkmcnt(0)
	v_pk_mul_f32 v[4:5], v[14:15], v[4:5] op_sel_hi:[1,0]
	v_pk_add_f32 v[2:3], v[2:3], v[6:7]
	v_pk_fma_f32 v[6:7], v[14:15], v[184:185], v[4:5] op_sel:[0,0,1] op_sel_hi:[1,1,0] neg_lo:[0,0,1] neg_hi:[0,0,1]
	v_pk_fma_f32 v[4:5], v[14:15], v[184:185], v[4:5] op_sel:[0,0,1] op_sel_hi:[1,0,0]
	s_waitcnt vmcnt(1)
	v_mov_b32_e32 v4, v193
	v_mov_b32_e32 v7, v5
	v_pk_mul_f32 v[4:5], v[16:17], v[4:5] op_sel_hi:[1,0]
	v_pk_add_f32 v[2:3], v[2:3], v[6:7]
	s_waitcnt vmcnt(0)
	v_pk_fma_f32 v[6:7], v[16:17], v[192:193], v[4:5] op_sel:[0,0,1] op_sel_hi:[1,1,0] neg_lo:[0,0,1] neg_hi:[0,0,1]
	v_pk_fma_f32 v[4:5], v[16:17], v[192:193], v[4:5] op_sel:[0,0,1] op_sel_hi:[1,0,0]
	v_mov_b32_e32 v7, v5
	v_pk_add_f32 v[2:3], v[2:3], v[6:7]
	v_pk_add_f32 v[2:3], v[34:35], v[2:3] neg_lo:[0,1] neg_hi:[0,1]
	buffer_store_dword v3, off, s[0:3], 0 offset:12
	buffer_store_dword v2, off, s[0:3], 0 offset:8
	s_and_saveexec_b64 s[4:5], vcc
	s_cbranch_execz .LBB49_313
; %bb.312:
	buffer_load_dword v2, off, s[0:3], 0
	buffer_load_dword v3, off, s[0:3], 0 offset:4
	v_mov_b32_e32 v0, 0
	buffer_store_dword v0, off, s[0:3], 0
	buffer_store_dword v0, off, s[0:3], 0 offset:4
	s_waitcnt vmcnt(2)
	ds_write_b64 v111, v[2:3]
.LBB49_313:
	s_or_b64 exec, exec, s[4:5]
	v_mov_b32_e32 v208, 0
	s_waitcnt lgkmcnt(0)
	; wave barrier
	s_waitcnt lgkmcnt(0)
	ds_read2_b64 v[0:3], v208 offset0:51 offset1:52
	buffer_load_dword v184, off, s[0:3], 0
	buffer_load_dword v185, off, s[0:3], 0 offset:4
	buffer_load_dword v186, off, s[0:3], 0 offset:8
	;; [unrolled: 1-line block ×15, first 2 shown]
	s_and_b64 vcc, exec, s[20:21]
	s_waitcnt vmcnt(12) lgkmcnt(0)
	v_mul_f32_e32 v4, v0, v209
	v_fmac_f32_e32 v4, v1, v186
	s_waitcnt vmcnt(10)
	v_mul_f32_e32 v5, v2, v211
	v_add_f32_e32 v4, 0, v4
	v_fmac_f32_e32 v5, v3, v188
	v_add_f32_e32 v8, v4, v5
	ds_read2_b64 v[4:7], v208 offset0:53 offset1:54
	v_mul_f32_e32 v1, v1, v209
	v_fma_f32 v0, v0, v186, -v1
	v_mul_f32_e32 v1, v3, v211
	v_add_f32_e32 v0, 0, v0
	s_waitcnt vmcnt(8) lgkmcnt(0)
	v_mul_f32_e32 v9, v4, v213
	v_fmac_f32_e32 v9, v5, v192
	v_add_f32_e32 v8, v8, v9
	s_waitcnt vmcnt(6)
	v_mul_f32_e32 v9, v6, v215
	v_fmac_f32_e32 v9, v7, v210
	v_add_f32_e32 v12, v8, v9
	ds_read2_b64 v[8:11], v208 offset0:55 offset1:56
	v_fma_f32 v1, v2, v188, -v1
	v_add_f32_e32 v0, v0, v1
	v_mul_f32_e32 v1, v5, v213
	v_fma_f32 v1, v4, v192, -v1
	s_waitcnt vmcnt(4) lgkmcnt(0)
	v_mul_f32_e32 v13, v8, v217
	v_fmac_f32_e32 v13, v9, v212
	v_add_f32_e32 v12, v12, v13
	s_waitcnt vmcnt(2)
	v_mul_f32_e32 v13, v10, v218
	v_fmac_f32_e32 v13, v11, v214
	v_add_f32_e32 v16, v12, v13
	ds_read2_b64 v[12:15], v208 offset0:57 offset1:58
	buffer_load_dword v220, off, s[0:3], 0 offset:64
	buffer_load_dword v221, off, s[0:3], 0 offset:68
	v_add_f32_e32 v0, v0, v1
	v_mul_f32_e32 v1, v7, v215
	v_fma_f32 v1, v6, v210, -v1
	s_waitcnt vmcnt(2) lgkmcnt(0)
	v_mul_f32_e32 v17, v12, v219
	v_fmac_f32_e32 v17, v13, v216
	v_add_f32_e32 v16, v16, v17
	v_add_f32_e32 v0, v0, v1
	v_mul_f32_e32 v1, v9, v217
	v_fma_f32 v1, v8, v212, -v1
	v_add_f32_e32 v0, v0, v1
	v_mul_f32_e32 v1, v11, v218
	v_fma_f32 v1, v10, v214, -v1
	;; [unrolled: 3-line block ×3, first 2 shown]
	v_add_f32_e32 v0, v0, v1
	s_waitcnt vmcnt(0)
	v_mul_f32_e32 v17, v14, v221
	v_fmac_f32_e32 v17, v15, v220
	v_add_f32_e32 v20, v16, v17
	ds_read2_b64 v[16:19], v208 offset0:59 offset1:60
	buffer_load_dword v222, off, s[0:3], 0 offset:72
	buffer_load_dword v223, off, s[0:3], 0 offset:76
	;; [unrolled: 1-line block ×4, first 2 shown]
	v_mul_f32_e32 v1, v15, v221
	v_fma_f32 v1, v14, v220, -v1
	v_add_f32_e32 v0, v0, v1
	s_waitcnt vmcnt(2) lgkmcnt(0)
	v_mul_f32_e32 v21, v16, v223
	v_fmac_f32_e32 v21, v17, v222
	v_add_f32_e32 v20, v20, v21
	s_waitcnt vmcnt(0)
	v_mul_f32_e32 v21, v18, v225
	v_fmac_f32_e32 v21, v19, v224
	v_add_f32_e32 v24, v20, v21
	ds_read2_b64 v[20:23], v208 offset0:61 offset1:62
	buffer_load_dword v226, off, s[0:3], 0 offset:88
	buffer_load_dword v227, off, s[0:3], 0 offset:92
	;; [unrolled: 1-line block ×4, first 2 shown]
	v_mul_f32_e32 v1, v17, v223
	v_fma_f32 v1, v16, v222, -v1
	v_add_f32_e32 v0, v0, v1
	v_mul_f32_e32 v1, v19, v225
	v_fma_f32 v1, v18, v224, -v1
	v_add_f32_e32 v0, v0, v1
	s_waitcnt vmcnt(2) lgkmcnt(0)
	v_mul_f32_e32 v25, v20, v227
	v_fmac_f32_e32 v25, v21, v226
	v_add_f32_e32 v24, v24, v25
	s_waitcnt vmcnt(0)
	v_mul_f32_e32 v25, v22, v229
	v_fmac_f32_e32 v25, v23, v228
	v_add_f32_e32 v28, v24, v25
	ds_read2_b64 v[24:27], v208 offset0:63 offset1:64
	buffer_load_dword v230, off, s[0:3], 0 offset:104
	buffer_load_dword v231, off, s[0:3], 0 offset:108
	;; [unrolled: 1-line block ×4, first 2 shown]
	v_mul_f32_e32 v1, v21, v227
	v_fma_f32 v1, v20, v226, -v1
	v_add_f32_e32 v0, v0, v1
	v_mul_f32_e32 v1, v23, v229
	v_fma_f32 v1, v22, v228, -v1
	v_add_f32_e32 v0, v0, v1
	s_waitcnt vmcnt(2) lgkmcnt(0)
	v_mul_f32_e32 v29, v24, v231
	v_fmac_f32_e32 v29, v25, v230
	v_add_f32_e32 v28, v28, v29
	s_waitcnt vmcnt(0)
	v_mul_f32_e32 v29, v26, v233
	v_fmac_f32_e32 v29, v27, v232
	v_add_f32_e32 v32, v28, v29
	ds_read2_b64 v[28:31], v208 offset0:65 offset1:66
	buffer_load_dword v234, off, s[0:3], 0 offset:120
	buffer_load_dword v235, off, s[0:3], 0 offset:124
	buffer_load_dword v236, off, s[0:3], 0 offset:128
	buffer_load_dword v237, off, s[0:3], 0 offset:132
	ds_read2_b64 v[36:39], v208 offset0:67 offset1:68
	buffer_load_dword v238, off, s[0:3], 0 offset:136
	buffer_load_dword v239, off, s[0:3], 0 offset:140
	buffer_load_dword v240, off, s[0:3], 0 offset:144
	buffer_load_dword v241, off, s[0:3], 0 offset:148
	;; [unrolled: 5-line block ×13, first 2 shown]
	v_mul_f32_e32 v1, v25, v231
	v_fma_f32 v1, v24, v230, -v1
	v_add_f32_e32 v0, v0, v1
	v_mul_f32_e32 v1, v27, v233
	v_fma_f32 v1, v26, v232, -v1
	v_add_f32_e32 v0, v0, v1
	s_waitcnt vmcnt(50) lgkmcnt(12)
	v_mul_f32_e32 v33, v28, v235
	v_fmac_f32_e32 v33, v29, v234
	v_add_f32_e32 v32, v32, v33
	s_waitcnt vmcnt(48)
	v_mul_f32_e32 v33, v30, v237
	v_fmac_f32_e32 v33, v31, v236
	v_add_f32_e32 v32, v32, v33
	s_waitcnt vmcnt(46) lgkmcnt(11)
	v_mul_f32_e32 v33, v36, v239
	v_fmac_f32_e32 v33, v37, v238
	v_add_f32_e32 v32, v32, v33
	s_waitcnt vmcnt(44)
	v_mul_f32_e32 v33, v38, v241
	v_fmac_f32_e32 v33, v39, v240
	;; [unrolled: 8-line block ×12, first 2 shown]
	v_add_f32_e32 v32, v32, v33
	s_waitcnt vmcnt(2) lgkmcnt(0)
	v_mul_f32_e32 v33, v80, v111
	v_fmac_f32_e32 v33, v81, v110
	v_add_f32_e32 v187, v32, v33
	ds_read2_b64 v[32:35], v208 offset0:91 offset1:92
	buffer_load_dword v114, off, s[0:3], 0 offset:328
	buffer_load_dword v115, off, s[0:3], 0 offset:332
	;; [unrolled: 1-line block ×18, first 2 shown]
	v_mul_f32_e32 v1, v29, v235
	v_fma_f32 v1, v28, v234, -v1
	v_add_f32_e32 v0, v0, v1
	v_mul_f32_e32 v1, v31, v237
	v_fma_f32 v1, v30, v236, -v1
	v_add_f32_e32 v0, v0, v1
	;; [unrolled: 3-line block ×25, first 2 shown]
	s_waitcnt vmcnt(18)
	v_mul_f32_e32 v0, v83, v113
	s_waitcnt vmcnt(15)
	v_mov_b32_e32 v16, v191
	v_mul_f32_e32 v189, v82, v113
	v_fma_f32 v188, v82, v112, -v0
	s_waitcnt lgkmcnt(0)
	v_mul_f32_e32 v0, v33, v115
	v_pk_mul_f32 v[16:17], v[34:35], v[16:17] op_sel_hi:[1,0]
	v_fmac_f32_e32 v189, v83, v112
	v_mul_f32_e32 v193, v32, v115
	v_fma_f32 v192, v32, v114, -v0
	ds_read2_b64 v[0:3], v208 offset0:93 offset1:94
	ds_read2_b64 v[4:7], v208 offset0:95 offset1:96
	;; [unrolled: 1-line block ×3, first 2 shown]
	ds_read_b64 v[12:13], v208 offset:792
	s_waitcnt vmcnt(14)
	v_pk_fma_f32 v[18:19], v[34:35], v[190:191], v[16:17] op_sel:[0,0,1] op_sel_hi:[1,1,0] neg_lo:[0,0,1] neg_hi:[0,0,1]
	v_pk_fma_f32 v[16:17], v[34:35], v[190:191], v[16:17] op_sel:[0,0,1] op_sel_hi:[1,0,0]
	v_fmac_f32_e32 v193, v33, v114
	v_pk_add_f32 v[14:15], v[186:187], v[188:189]
	s_waitcnt vmcnt(13)
	v_mov_b32_e32 v16, v207
	v_pk_add_f32 v[14:15], v[14:15], v[192:193]
	v_mov_b32_e32 v19, v17
	s_waitcnt lgkmcnt(3)
	v_pk_mul_f32 v[16:17], v[0:1], v[16:17] op_sel_hi:[1,0]
	v_pk_add_f32 v[14:15], v[14:15], v[18:19]
	s_waitcnt vmcnt(12)
	v_pk_fma_f32 v[18:19], v[0:1], v[206:207], v[16:17] op_sel:[0,0,1] op_sel_hi:[1,1,0] neg_lo:[0,0,1] neg_hi:[0,0,1]
	v_pk_fma_f32 v[0:1], v[0:1], v[206:207], v[16:17] op_sel:[0,0,1] op_sel_hi:[1,0,0]
	v_mov_b32_e32 v19, v1
	v_pk_add_f32 v[0:1], v[14:15], v[18:19]
	s_waitcnt vmcnt(11)
	v_mov_b32_e32 v14, v205
	v_pk_mul_f32 v[14:15], v[2:3], v[14:15] op_sel_hi:[1,0]
	s_waitcnt vmcnt(10)
	v_pk_fma_f32 v[16:17], v[2:3], v[204:205], v[14:15] op_sel:[0,0,1] op_sel_hi:[1,1,0] neg_lo:[0,0,1] neg_hi:[0,0,1]
	v_pk_fma_f32 v[2:3], v[2:3], v[204:205], v[14:15] op_sel:[0,0,1] op_sel_hi:[1,0,0]
	s_waitcnt vmcnt(9)
	v_mov_b32_e32 v2, v203
	v_mov_b32_e32 v17, v3
	s_waitcnt lgkmcnt(2)
	v_pk_mul_f32 v[2:3], v[4:5], v[2:3] op_sel_hi:[1,0]
	s_waitcnt vmcnt(8)
	v_pk_fma_f32 v[14:15], v[4:5], v[202:203], v[2:3] op_sel:[0,0,1] op_sel_hi:[1,1,0] neg_lo:[0,0,1] neg_hi:[0,0,1]
	v_pk_fma_f32 v[2:3], v[4:5], v[202:203], v[2:3] op_sel:[0,0,1] op_sel_hi:[1,0,0]
	s_waitcnt vmcnt(7)
	v_mov_b32_e32 v2, v201
	v_mov_b32_e32 v15, v3
	v_pk_mul_f32 v[2:3], v[6:7], v[2:3] op_sel_hi:[1,0]
	s_waitcnt vmcnt(6)
	v_pk_fma_f32 v[4:5], v[6:7], v[200:201], v[2:3] op_sel:[0,0,1] op_sel_hi:[1,1,0] neg_lo:[0,0,1] neg_hi:[0,0,1]
	v_pk_fma_f32 v[2:3], v[6:7], v[200:201], v[2:3] op_sel:[0,0,1] op_sel_hi:[1,0,0]
	v_pk_add_f32 v[0:1], v[0:1], v[16:17]
	s_waitcnt vmcnt(5)
	v_mov_b32_e32 v2, v199
	v_pk_add_f32 v[0:1], v[0:1], v[14:15]
	v_mov_b32_e32 v5, v3
	s_waitcnt lgkmcnt(1)
	v_pk_mul_f32 v[2:3], v[8:9], v[2:3] op_sel_hi:[1,0]
	v_pk_add_f32 v[0:1], v[0:1], v[4:5]
	s_waitcnt vmcnt(4)
	v_pk_fma_f32 v[4:5], v[8:9], v[198:199], v[2:3] op_sel:[0,0,1] op_sel_hi:[1,1,0] neg_lo:[0,0,1] neg_hi:[0,0,1]
	v_pk_fma_f32 v[2:3], v[8:9], v[198:199], v[2:3] op_sel:[0,0,1] op_sel_hi:[1,0,0]
	s_waitcnt vmcnt(3)
	v_mov_b32_e32 v2, v197
	v_mov_b32_e32 v5, v3
	v_pk_mul_f32 v[2:3], v[10:11], v[2:3] op_sel_hi:[1,0]
	v_pk_add_f32 v[0:1], v[0:1], v[4:5]
	s_waitcnt vmcnt(2)
	v_pk_fma_f32 v[4:5], v[10:11], v[196:197], v[2:3] op_sel:[0,0,1] op_sel_hi:[1,1,0] neg_lo:[0,0,1] neg_hi:[0,0,1]
	v_pk_fma_f32 v[2:3], v[10:11], v[196:197], v[2:3] op_sel:[0,0,1] op_sel_hi:[1,0,0]
	s_waitcnt vmcnt(1)
	v_mov_b32_e32 v2, v195
	v_mov_b32_e32 v5, v3
	s_waitcnt lgkmcnt(0)
	v_pk_mul_f32 v[2:3], v[12:13], v[2:3] op_sel_hi:[1,0]
	v_pk_add_f32 v[0:1], v[0:1], v[4:5]
	s_waitcnt vmcnt(0)
	v_pk_fma_f32 v[4:5], v[12:13], v[194:195], v[2:3] op_sel:[0,0,1] op_sel_hi:[1,1,0] neg_lo:[0,0,1] neg_hi:[0,0,1]
	v_pk_fma_f32 v[2:3], v[12:13], v[194:195], v[2:3] op_sel:[0,0,1] op_sel_hi:[1,0,0]
	v_mov_b32_e32 v5, v3
	v_pk_add_f32 v[0:1], v[0:1], v[4:5]
	v_pk_add_f32 v[0:1], v[184:185], v[0:1] neg_lo:[0,1] neg_hi:[0,1]
	buffer_store_dword v1, off, s[0:3], 0 offset:4
	buffer_store_dword v0, off, s[0:3], 0
	s_cbranch_vccz .LBB49_413
; %bb.314:
	v_pk_mov_b32 v[0:1], s[10:11], s[10:11] op_sel:[0,1]
	flat_load_dword v0, v[0:1] offset:192
	s_waitcnt vmcnt(0) lgkmcnt(0)
	v_add_u32_e32 v0, -1, v0
	v_cmp_ne_u32_e32 vcc, 48, v0
	s_and_saveexec_b64 s[4:5], vcc
	s_cbranch_execz .LBB49_316
; %bb.315:
	v_mov_b32_e32 v1, 0
	v_lshl_add_u32 v0, v0, 3, v1
	buffer_load_dword v1, v0, s[0:3], 0 offen
	buffer_load_dword v2, v0, s[0:3], 0 offen offset:4
	buffer_load_dword v3, off, s[0:3], 0 offset:388
	buffer_load_dword v4, off, s[0:3], 0 offset:384
	s_waitcnt vmcnt(3)
	buffer_store_dword v1, off, s[0:3], 0 offset:384
	s_waitcnt vmcnt(3)
	buffer_store_dword v2, off, s[0:3], 0 offset:388
	s_waitcnt vmcnt(3)
	buffer_store_dword v3, v0, s[0:3], 0 offen offset:4
	s_waitcnt vmcnt(3)
	buffer_store_dword v4, v0, s[0:3], 0 offen
.LBB49_316:
	s_or_b64 exec, exec, s[4:5]
	v_pk_mov_b32 v[0:1], s[10:11], s[10:11] op_sel:[0,1]
	flat_load_dword v0, v[0:1] offset:188
	s_waitcnt vmcnt(0) lgkmcnt(0)
	v_add_u32_e32 v0, -1, v0
	v_cmp_ne_u32_e32 vcc, 47, v0
	s_and_saveexec_b64 s[4:5], vcc
	s_cbranch_execz .LBB49_318
; %bb.317:
	v_mov_b32_e32 v1, 0
	v_lshl_add_u32 v0, v0, 3, v1
	buffer_load_dword v1, v0, s[0:3], 0 offen
	buffer_load_dword v2, v0, s[0:3], 0 offen offset:4
	buffer_load_dword v3, off, s[0:3], 0 offset:376
	buffer_load_dword v4, off, s[0:3], 0 offset:380
	s_waitcnt vmcnt(3)
	buffer_store_dword v1, off, s[0:3], 0 offset:376
	s_waitcnt vmcnt(3)
	buffer_store_dword v2, off, s[0:3], 0 offset:380
	s_waitcnt vmcnt(3)
	buffer_store_dword v3, v0, s[0:3], 0 offen
	s_waitcnt vmcnt(3)
	buffer_store_dword v4, v0, s[0:3], 0 offen offset:4
.LBB49_318:
	s_or_b64 exec, exec, s[4:5]
	v_pk_mov_b32 v[0:1], s[10:11], s[10:11] op_sel:[0,1]
	flat_load_dword v0, v[0:1] offset:184
	s_waitcnt vmcnt(0) lgkmcnt(0)
	v_add_u32_e32 v0, -1, v0
	v_cmp_ne_u32_e32 vcc, 46, v0
	s_and_saveexec_b64 s[4:5], vcc
	s_cbranch_execz .LBB49_320
; %bb.319:
	v_mov_b32_e32 v1, 0
	v_lshl_add_u32 v0, v0, 3, v1
	buffer_load_dword v1, v0, s[0:3], 0 offen
	buffer_load_dword v2, v0, s[0:3], 0 offen offset:4
	buffer_load_dword v3, off, s[0:3], 0 offset:372
	buffer_load_dword v4, off, s[0:3], 0 offset:368
	s_waitcnt vmcnt(3)
	buffer_store_dword v1, off, s[0:3], 0 offset:368
	s_waitcnt vmcnt(3)
	buffer_store_dword v2, off, s[0:3], 0 offset:372
	s_waitcnt vmcnt(3)
	buffer_store_dword v3, v0, s[0:3], 0 offen offset:4
	s_waitcnt vmcnt(3)
	buffer_store_dword v4, v0, s[0:3], 0 offen
.LBB49_320:
	s_or_b64 exec, exec, s[4:5]
	v_pk_mov_b32 v[0:1], s[10:11], s[10:11] op_sel:[0,1]
	flat_load_dword v0, v[0:1] offset:180
	s_waitcnt vmcnt(0) lgkmcnt(0)
	v_add_u32_e32 v0, -1, v0
	v_cmp_ne_u32_e32 vcc, 45, v0
	s_and_saveexec_b64 s[4:5], vcc
	s_cbranch_execz .LBB49_322
; %bb.321:
	v_mov_b32_e32 v1, 0
	v_lshl_add_u32 v0, v0, 3, v1
	buffer_load_dword v1, v0, s[0:3], 0 offen
	buffer_load_dword v2, v0, s[0:3], 0 offen offset:4
	buffer_load_dword v3, off, s[0:3], 0 offset:360
	buffer_load_dword v4, off, s[0:3], 0 offset:364
	s_waitcnt vmcnt(3)
	buffer_store_dword v1, off, s[0:3], 0 offset:360
	s_waitcnt vmcnt(3)
	buffer_store_dword v2, off, s[0:3], 0 offset:364
	s_waitcnt vmcnt(3)
	buffer_store_dword v3, v0, s[0:3], 0 offen
	s_waitcnt vmcnt(3)
	buffer_store_dword v4, v0, s[0:3], 0 offen offset:4
.LBB49_322:
	s_or_b64 exec, exec, s[4:5]
	;; [unrolled: 48-line block ×24, first 2 shown]
	v_pk_mov_b32 v[0:1], s[10:11], s[10:11] op_sel:[0,1]
	flat_load_dword v2, v[0:1]
	s_nop 0
	buffer_load_dword v0, off, s[0:3], 0
	buffer_load_dword v1, off, s[0:3], 0 offset:4
	s_waitcnt vmcnt(0) lgkmcnt(0)
	v_add_u32_e32 v2, -1, v2
	v_cmp_ne_u32_e32 vcc, 0, v2
	s_and_saveexec_b64 s[4:5], vcc
	s_cbranch_execz .LBB49_412
; %bb.411:
	v_mov_b32_e32 v3, 0
	v_lshl_add_u32 v2, v2, 3, v3
	buffer_load_dword v3, v2, s[0:3], 0 offen offset:4
	buffer_load_dword v4, v2, s[0:3], 0 offen
	s_waitcnt vmcnt(1)
	buffer_store_dword v3, off, s[0:3], 0 offset:4
	s_waitcnt vmcnt(1)
	buffer_store_dword v4, off, s[0:3], 0
	buffer_store_dword v1, v2, s[0:3], 0 offen offset:4
	buffer_store_dword v0, v2, s[0:3], 0 offen
	buffer_load_dword v0, off, s[0:3], 0
	s_nop 0
	buffer_load_dword v1, off, s[0:3], 0 offset:4
.LBB49_412:
	s_or_b64 exec, exec, s[4:5]
.LBB49_413:
	buffer_load_dword v2, off, s[0:3], 0 offset:8
	buffer_load_dword v3, off, s[0:3], 0 offset:12
	;; [unrolled: 1-line block ×98, first 2 shown]
	s_waitcnt vmcnt(62)
	global_store_dwordx2 v[174:175], v[0:1], off
	global_store_dwordx2 v[176:177], v[2:3], off
	v_accvgpr_read_b32 v0, a0
	v_accvgpr_read_b32 v1, a1
	global_store_dwordx2 v[0:1], v[4:5], off
	v_accvgpr_read_b32 v0, a2
	v_accvgpr_read_b32 v1, a3
	;; [unrolled: 3-line block ×16, first 2 shown]
	global_store_dwordx2 v[0:1], v[34:35], off
	global_store_dwordx2 v[116:117], v[36:37], off
	s_waitcnt vmcnt(62)
	global_store_dwordx2 v[118:119], v[38:39], off
	global_store_dwordx2 v[120:121], v[40:41], off
	;; [unrolled: 1-line block ×9, first 2 shown]
	s_waitcnt vmcnt(62)
	global_store_dwordx2 v[136:137], v[56:57], off
	global_store_dwordx2 v[138:139], v[58:59], off
	;; [unrolled: 1-line block ×5, first 2 shown]
	s_waitcnt vmcnt(62)
	global_store_dwordx2 v[146:147], v[66:67], off
	global_store_dwordx2 v[148:149], v[68:69], off
	s_waitcnt vmcnt(62)
	global_store_dwordx2 v[150:151], v[70:71], off
	s_waitcnt vmcnt(62)
	;; [unrolled: 2-line block ×15, first 2 shown]
	global_store_dwordx2 v[182:183], v[98:99], off
	s_endpgm
	.section	.rodata,"a",@progbits
	.p2align	6, 0x0
	.amdhsa_kernel _ZN9rocsolver6v33100L18getri_kernel_smallILi50E19rocblas_complex_numIfEPS3_EEvT1_iilPiilS6_bb
		.amdhsa_group_segment_fixed_size 804
		.amdhsa_private_segment_fixed_size 416
		.amdhsa_kernarg_size 60
		.amdhsa_user_sgpr_count 8
		.amdhsa_user_sgpr_private_segment_buffer 1
		.amdhsa_user_sgpr_dispatch_ptr 0
		.amdhsa_user_sgpr_queue_ptr 0
		.amdhsa_user_sgpr_kernarg_segment_ptr 1
		.amdhsa_user_sgpr_dispatch_id 0
		.amdhsa_user_sgpr_flat_scratch_init 1
		.amdhsa_user_sgpr_kernarg_preload_length 0
		.amdhsa_user_sgpr_kernarg_preload_offset 0
		.amdhsa_user_sgpr_private_segment_size 0
		.amdhsa_uses_dynamic_stack 0
		.amdhsa_system_sgpr_private_segment_wavefront_offset 1
		.amdhsa_system_sgpr_workgroup_id_x 1
		.amdhsa_system_sgpr_workgroup_id_y 0
		.amdhsa_system_sgpr_workgroup_id_z 0
		.amdhsa_system_sgpr_workgroup_info 0
		.amdhsa_system_vgpr_workitem_id 0
		.amdhsa_next_free_vgpr 288
		.amdhsa_next_free_sgpr 23
		.amdhsa_accum_offset 256
		.amdhsa_reserve_vcc 1
		.amdhsa_reserve_flat_scratch 1
		.amdhsa_float_round_mode_32 0
		.amdhsa_float_round_mode_16_64 0
		.amdhsa_float_denorm_mode_32 3
		.amdhsa_float_denorm_mode_16_64 3
		.amdhsa_dx10_clamp 1
		.amdhsa_ieee_mode 1
		.amdhsa_fp16_overflow 0
		.amdhsa_tg_split 0
		.amdhsa_exception_fp_ieee_invalid_op 0
		.amdhsa_exception_fp_denorm_src 0
		.amdhsa_exception_fp_ieee_div_zero 0
		.amdhsa_exception_fp_ieee_overflow 0
		.amdhsa_exception_fp_ieee_underflow 0
		.amdhsa_exception_fp_ieee_inexact 0
		.amdhsa_exception_int_div_zero 0
	.end_amdhsa_kernel
	.section	.text._ZN9rocsolver6v33100L18getri_kernel_smallILi50E19rocblas_complex_numIfEPS3_EEvT1_iilPiilS6_bb,"axG",@progbits,_ZN9rocsolver6v33100L18getri_kernel_smallILi50E19rocblas_complex_numIfEPS3_EEvT1_iilPiilS6_bb,comdat
.Lfunc_end49:
	.size	_ZN9rocsolver6v33100L18getri_kernel_smallILi50E19rocblas_complex_numIfEPS3_EEvT1_iilPiilS6_bb, .Lfunc_end49-_ZN9rocsolver6v33100L18getri_kernel_smallILi50E19rocblas_complex_numIfEPS3_EEvT1_iilPiilS6_bb
                                        ; -- End function
	.section	.AMDGPU.csdata,"",@progbits
; Kernel info:
; codeLenInByte = 98772
; NumSgprs: 29
; NumVgprs: 256
; NumAgprs: 32
; TotalNumVgprs: 288
; ScratchSize: 416
; MemoryBound: 0
; FloatMode: 240
; IeeeMode: 1
; LDSByteSize: 804 bytes/workgroup (compile time only)
; SGPRBlocks: 3
; VGPRBlocks: 35
; NumSGPRsForWavesPerEU: 29
; NumVGPRsForWavesPerEU: 288
; AccumOffset: 256
; Occupancy: 1
; WaveLimiterHint : 1
; COMPUTE_PGM_RSRC2:SCRATCH_EN: 1
; COMPUTE_PGM_RSRC2:USER_SGPR: 8
; COMPUTE_PGM_RSRC2:TRAP_HANDLER: 0
; COMPUTE_PGM_RSRC2:TGID_X_EN: 1
; COMPUTE_PGM_RSRC2:TGID_Y_EN: 0
; COMPUTE_PGM_RSRC2:TGID_Z_EN: 0
; COMPUTE_PGM_RSRC2:TIDIG_COMP_CNT: 0
; COMPUTE_PGM_RSRC3_GFX90A:ACCUM_OFFSET: 63
; COMPUTE_PGM_RSRC3_GFX90A:TG_SPLIT: 0
	.section	.text._ZN9rocsolver6v33100L18getri_kernel_smallILi51E19rocblas_complex_numIfEPS3_EEvT1_iilPiilS6_bb,"axG",@progbits,_ZN9rocsolver6v33100L18getri_kernel_smallILi51E19rocblas_complex_numIfEPS3_EEvT1_iilPiilS6_bb,comdat
	.globl	_ZN9rocsolver6v33100L18getri_kernel_smallILi51E19rocblas_complex_numIfEPS3_EEvT1_iilPiilS6_bb ; -- Begin function _ZN9rocsolver6v33100L18getri_kernel_smallILi51E19rocblas_complex_numIfEPS3_EEvT1_iilPiilS6_bb
	.p2align	8
	.type	_ZN9rocsolver6v33100L18getri_kernel_smallILi51E19rocblas_complex_numIfEPS3_EEvT1_iilPiilS6_bb,@function
_ZN9rocsolver6v33100L18getri_kernel_smallILi51E19rocblas_complex_numIfEPS3_EEvT1_iilPiilS6_bb: ; @_ZN9rocsolver6v33100L18getri_kernel_smallILi51E19rocblas_complex_numIfEPS3_EEvT1_iilPiilS6_bb
; %bb.0:
	s_add_u32 flat_scratch_lo, s6, s9
	s_addc_u32 flat_scratch_hi, s7, 0
	s_add_u32 s0, s0, s9
	s_addc_u32 s1, s1, 0
	v_cmp_gt_u32_e32 vcc, 51, v0
	s_and_saveexec_b64 s[6:7], vcc
	s_cbranch_execz .LBB50_218
; %bb.1:
	s_load_dword s22, s[4:5], 0x38
	s_load_dwordx4 s[16:19], s[4:5], 0x10
	s_load_dwordx4 s[12:15], s[4:5], 0x28
                                        ; implicit-def: $sgpr10_sgpr11
	s_waitcnt lgkmcnt(0)
	s_bitcmp1_b32 s22, 8
	s_cselect_b64 s[20:21], -1, 0
	s_ashr_i32 s9, s8, 31
	s_bfe_u32 s6, s22, 0x10008
	s_cmp_eq_u32 s6, 0
	s_cbranch_scc1 .LBB50_3
; %bb.2:
	s_load_dword s6, s[4:5], 0x20
	s_mul_i32 s7, s8, s13
	s_mul_hi_u32 s10, s8, s12
	s_mul_i32 s11, s9, s12
	s_add_i32 s10, s10, s7
	s_add_i32 s11, s10, s11
	s_mul_i32 s10, s8, s12
	s_waitcnt lgkmcnt(0)
	s_ashr_i32 s7, s6, 31
	s_lshl_b64 s[10:11], s[10:11], 2
	s_add_u32 s10, s18, s10
	s_addc_u32 s11, s19, s11
	s_lshl_b64 s[6:7], s[6:7], 2
	s_add_u32 s10, s10, s6
	s_addc_u32 s11, s11, s7
.LBB50_3:
	s_load_dwordx4 s[4:7], s[4:5], 0x0
	s_mul_i32 s12, s8, s17
	s_mul_hi_u32 s13, s8, s16
	s_add_i32 s17, s13, s12
	v_lshlrev_b32_e32 v6, 3, v0
	s_waitcnt lgkmcnt(0)
	s_ashr_i32 s13, s6, 31
	s_mov_b32 s12, s6
	s_mul_i32 s6, s9, s16
	s_add_i32 s17, s17, s6
	s_mul_i32 s16, s8, s16
	s_lshl_b64 s[16:17], s[16:17], 3
	s_add_u32 s6, s4, s16
	s_addc_u32 s16, s5, s17
	s_lshl_b64 s[4:5], s[12:13], 3
	s_add_u32 s4, s6, s4
	s_addc_u32 s5, s16, s5
	s_add_i32 s6, s7, s7
	v_add_u32_e32 v2, s6, v0
	v_ashrrev_i32_e32 v3, 31, v2
	v_lshlrev_b64 v[4:5], 3, v[2:3]
	v_add_u32_e32 v2, s7, v2
	v_mov_b32_e32 v1, s5
	v_add_co_u32_e32 v12, vcc, s4, v4
	v_ashrrev_i32_e32 v3, 31, v2
	v_addc_co_u32_e32 v13, vcc, v1, v5, vcc
	v_lshlrev_b64 v[4:5], 3, v[2:3]
	v_add_u32_e32 v2, s7, v2
	v_add_co_u32_e32 v14, vcc, s4, v4
	v_ashrrev_i32_e32 v3, 31, v2
	v_addc_co_u32_e32 v15, vcc, v1, v5, vcc
	v_lshlrev_b64 v[4:5], 3, v[2:3]
	v_add_u32_e32 v2, s7, v2
	;; [unrolled: 5-line block ×41, first 2 shown]
	v_add_co_u32_e32 v168, vcc, s4, v4
	v_ashrrev_i32_e32 v3, 31, v2
	v_addc_co_u32_e32 v169, vcc, v1, v5, vcc
	v_lshlrev_b64 v[4:5], 3, v[2:3]
	v_add_co_u32_e32 v170, vcc, s4, v4
	v_addc_co_u32_e32 v171, vcc, v1, v5, vcc
	global_load_dwordx2 v[4:5], v6, s[4:5]
	v_mov_b32_e32 v7, s5
	v_add_co_u32_e32 v178, vcc, s4, v6
	s_ashr_i32 s13, s7, 31
	s_mov_b32 s12, s7
	v_addc_co_u32_e32 v179, vcc, 0, v7, vcc
	s_lshl_b64 s[12:13], s[12:13], 3
	v_mov_b32_e32 v7, s13
	v_add_co_u32_e32 v180, vcc, s12, v178
	v_addc_co_u32_e32 v181, vcc, v179, v7, vcc
	global_load_dwordx2 v[8:9], v[180:181], off
	v_accvgpr_write_b32 a0, v12
	v_add_u32_e32 v2, s7, v2
	v_accvgpr_write_b32 a1, v13
	global_load_dwordx2 v[12:13], v[12:13], off
	v_ashrrev_i32_e32 v3, 31, v2
	v_lshlrev_b64 v[10:11], 3, v[2:3]
	v_add_co_u32_e32 v172, vcc, s4, v10
	v_addc_co_u32_e32 v173, vcc, v1, v11, vcc
	global_load_dwordx2 v[10:11], v[14:15], off
	v_accvgpr_write_b32 a4, v16
	v_accvgpr_write_b32 a5, v17
	global_load_dwordx2 v[16:17], v[16:17], off
	v_accvgpr_write_b32 a6, v18
	v_add_u32_e32 v2, s7, v2
	v_accvgpr_write_b32 a7, v19
	global_load_dwordx2 v[18:19], v[18:19], off
	v_accvgpr_write_b32 a2, v14
	v_ashrrev_i32_e32 v3, 31, v2
	v_accvgpr_write_b32 a3, v15
	v_lshlrev_b64 v[14:15], 3, v[2:3]
	v_add_co_u32_e32 v174, vcc, s4, v14
	v_addc_co_u32_e32 v175, vcc, v1, v15, vcc
	global_load_dwordx2 v[14:15], v[20:21], off
	v_add_u32_e32 v2, s7, v2
	v_ashrrev_i32_e32 v3, 31, v2
	v_accvgpr_write_b32 a8, v20
	v_accvgpr_write_b32 a10, v22
	;; [unrolled: 1-line block ×5, first 2 shown]
	global_load_dwordx2 v[22:23], v[22:23], off
	v_accvgpr_write_b32 a17, v29
	global_load_dwordx2 v[28:29], v[28:29], off
	v_lshlrev_b64 v[20:21], 3, v[2:3]
	v_add_u32_e32 v2, s7, v2
	v_add_co_u32_e32 v176, vcc, s4, v20
	v_accvgpr_write_b32 a12, v24
	v_ashrrev_i32_e32 v3, 31, v2
	v_accvgpr_write_b32 a14, v26
	v_accvgpr_write_b32 a18, v30
	;; [unrolled: 1-line block ×5, first 2 shown]
	v_addc_co_u32_e32 v177, vcc, v1, v21, vcc
	v_accvgpr_write_b32 a13, v25
	global_load_dwordx2 v[20:21], v[24:25], off
	v_accvgpr_write_b32 a15, v27
	v_accvgpr_write_b32 a19, v31
	global_load_dwordx2 v[30:31], v[30:31], off
	v_accvgpr_write_b32 a21, v33
	global_load_dwordx2 v[32:33], v[32:33], off
	;; [unrolled: 2-line block ×5, first 2 shown]
	v_lshlrev_b64 v[26:27], 3, v[2:3]
	v_add_u32_e32 v2, s7, v2
	v_add_co_u32_e32 v182, vcc, s4, v26
	v_accvgpr_write_b32 a24, v36
	v_ashrrev_i32_e32 v3, 31, v2
	v_accvgpr_write_b32 a26, v38
	v_accvgpr_write_b32 a28, v40
	;; [unrolled: 1-line block ×4, first 2 shown]
	v_addc_co_u32_e32 v183, vcc, v1, v27, vcc
	v_accvgpr_write_b32 a23, v35
	global_load_dwordx2 v[26:27], v[34:35], off
	v_accvgpr_write_b32 a25, v37
	v_accvgpr_write_b32 a27, v39
	;; [unrolled: 1-line block ×4, first 2 shown]
	global_load_dwordx2 v[46:47], v[46:47], off
	v_accvgpr_write_b32 a37, v49
	global_load_dwordx2 v[34:35], v[36:37], off
	global_load_dwordx2 v[52:53], v[128:129], off
	v_accvgpr_write_b32 a38, v50
	global_load_dwordx2 v[48:49], v[48:49], off
	v_accvgpr_write_b32 a39, v51
	global_load_dwordx2 v[36:37], v[38:39], off
	s_bitcmp0_b32 s22, 0
	global_load_dwordx2 v[38:39], v[40:41], off
	v_lshlrev_b64 v[40:41], 3, v[2:3]
	v_add_u32_e32 v2, s7, v2
	v_add_co_u32_e32 v184, vcc, s4, v40
	v_ashrrev_i32_e32 v3, 31, v2
	v_addc_co_u32_e32 v185, vcc, v1, v41, vcc
	v_lshlrev_b64 v[2:3], 3, v[2:3]
	v_add_co_u32_e32 v186, vcc, s4, v2
	global_load_dwordx2 v[40:41], v[50:51], off
	v_addc_co_u32_e32 v187, vcc, v1, v3, vcc
	global_load_dwordx2 v[50:51], v[126:127], off
	global_load_dwordx2 v[54:55], v[130:131], off
	;; [unrolled: 1-line block ×19, first 2 shown]
	s_mov_b64 s[6:7], -1
	s_waitcnt vmcnt(41)
	buffer_store_dword v5, off, s[0:3], 0 offset:4
	buffer_store_dword v4, off, s[0:3], 0
	global_load_dwordx2 v[4:5], v[146:147], off
	s_waitcnt vmcnt(43)
	buffer_store_dword v9, off, s[0:3], 0 offset:12
	buffer_store_dword v8, off, s[0:3], 0 offset:8
	global_load_dwordx2 v[8:9], v[150:151], off
	s_waitcnt vmcnt(45)
	buffer_store_dword v13, off, s[0:3], 0 offset:20
	buffer_store_dword v12, off, s[0:3], 0 offset:16
	;; [unrolled: 4-line block ×9, first 2 shown]
	buffer_store_dword v28, off, s[0:3], 0 offset:80
	buffer_store_dword v29, off, s[0:3], 0 offset:84
	;; [unrolled: 1-line block ×6, first 2 shown]
	s_waitcnt vmcnt(61)
	buffer_store_dword v26, off, s[0:3], 0 offset:104
	buffer_store_dword v27, off, s[0:3], 0 offset:108
	s_waitcnt vmcnt(61)
	buffer_store_dword v35, off, s[0:3], 0 offset:116
	buffer_store_dword v34, off, s[0:3], 0 offset:112
	s_waitcnt vmcnt(60)
	buffer_store_dword v36, off, s[0:3], 0 offset:120
	buffer_store_dword v37, off, s[0:3], 0 offset:124
	s_waitcnt vmcnt(61)
	buffer_store_dword v38, off, s[0:3], 0 offset:128
	buffer_store_dword v39, off, s[0:3], 0 offset:132
	buffer_store_dword v42, off, s[0:3], 0 offset:136
	buffer_store_dword v43, off, s[0:3], 0 offset:140
	;; [unrolled: 1-line block ×8, first 2 shown]
	s_waitcnt vmcnt(62)
	buffer_store_dword v40, off, s[0:3], 0 offset:168
	buffer_store_dword v41, off, s[0:3], 0 offset:172
	;; [unrolled: 1-line block ×18, first 2 shown]
	s_waitcnt vmcnt(62)
	buffer_store_dword v66, off, s[0:3], 0 offset:240
	buffer_store_dword v67, off, s[0:3], 0 offset:244
	;; [unrolled: 1-line block ×12, first 2 shown]
	s_waitcnt vmcnt(62)
	buffer_store_dword v12, off, s[0:3], 0 offset:288
	buffer_store_dword v13, off, s[0:3], 0 offset:292
	;; [unrolled: 1-line block ×16, first 2 shown]
	s_waitcnt vmcnt(62)
	buffer_store_dword v15, off, s[0:3], 0 offset:356
	buffer_store_dword v14, off, s[0:3], 0 offset:352
	;; [unrolled: 1-line block ×14, first 2 shown]
	s_cbranch_scc1 .LBB50_216
; %bb.4:
	v_cmp_eq_u32_e64 s[4:5], 0, v0
	s_and_saveexec_b64 s[6:7], s[4:5]
	s_cbranch_execz .LBB50_6
; %bb.5:
	v_mov_b32_e32 v1, 0
	ds_write_b32 v1, v1 offset:408
.LBB50_6:
	s_or_b64 exec, exec, s[6:7]
	v_mov_b32_e32 v1, 0
	v_lshl_add_u32 v7, v0, 3, v1
	s_waitcnt lgkmcnt(0)
	; wave barrier
	s_waitcnt lgkmcnt(0)
	buffer_load_dword v1, v7, s[0:3], 0 offen
	buffer_load_dword v2, v7, s[0:3], 0 offen offset:4
	s_waitcnt vmcnt(1)
	v_cmp_eq_f32_e32 vcc, 0, v1
	s_waitcnt vmcnt(0)
	v_cmp_eq_f32_e64 s[6:7], 0, v2
	s_and_b64 s[6:7], vcc, s[6:7]
	s_and_saveexec_b64 s[12:13], s[6:7]
	s_cbranch_execz .LBB50_10
; %bb.7:
	v_mov_b32_e32 v1, 0
	ds_read_b32 v3, v1 offset:408
	v_add_u32_e32 v2, 1, v0
	s_waitcnt lgkmcnt(0)
	v_readfirstlane_b32 s6, v3
	s_cmp_eq_u32 s6, 0
	s_cselect_b64 s[16:17], -1, 0
	v_cmp_gt_i32_e32 vcc, s6, v2
	s_or_b64 s[16:17], s[16:17], vcc
	s_and_b64 exec, exec, s[16:17]
	s_cbranch_execz .LBB50_10
; %bb.8:
	s_mov_b64 s[16:17], 0
	v_mov_b32_e32 v3, s6
.LBB50_9:                               ; =>This Inner Loop Header: Depth=1
	ds_cmpst_rtn_b32 v3, v1, v3, v2 offset:408
	s_waitcnt lgkmcnt(0)
	v_cmp_ne_u32_e32 vcc, 0, v3
	v_cmp_le_i32_e64 s[6:7], v3, v2
	s_and_b64 s[6:7], vcc, s[6:7]
	s_and_b64 s[6:7], exec, s[6:7]
	s_or_b64 s[16:17], s[6:7], s[16:17]
	s_andn2_b64 exec, exec, s[16:17]
	s_cbranch_execnz .LBB50_9
.LBB50_10:
	s_or_b64 exec, exec, s[12:13]
	v_mov_b32_e32 v2, 0
	s_waitcnt lgkmcnt(0)
	; wave barrier
	ds_read_b32 v1, v2 offset:408
	s_and_saveexec_b64 s[6:7], s[4:5]
	s_cbranch_execz .LBB50_12
; %bb.11:
	s_lshl_b64 s[12:13], s[8:9], 2
	s_add_u32 s12, s14, s12
	s_addc_u32 s13, s15, s13
	s_waitcnt lgkmcnt(0)
	global_store_dword v2, v1, s[12:13]
.LBB50_12:
	s_or_b64 exec, exec, s[6:7]
	s_waitcnt lgkmcnt(0)
	v_cmp_ne_u32_e32 vcc, 0, v1
	s_mov_b64 s[6:7], 0
	s_cbranch_vccnz .LBB50_216
; %bb.13:
	buffer_load_dword v8, v7, s[0:3], 0 offen offset:4
	buffer_load_dword v3, v7, s[0:3], 0 offen
	s_waitcnt vmcnt(1)
	v_cmp_gt_f32_e32 vcc, 0, v8
	v_cndmask_b32_e64 v1, v8, -v8, vcc
	s_waitcnt vmcnt(0)
	v_cmp_gt_f32_e32 vcc, 0, v3
	v_cndmask_b32_e64 v2, v3, -v3, vcc
	v_cmp_ngt_f32_e32 vcc, v2, v1
                                        ; implicit-def: $vgpr1
                                        ; implicit-def: $vgpr2
	s_and_saveexec_b64 s[6:7], vcc
	s_xor_b64 s[6:7], exec, s[6:7]
                                        ; implicit-def: $vgpr4_vgpr5
	s_cbranch_execz .LBB50_15
; %bb.14:
	v_div_scale_f32 v1, s[12:13], v8, v8, v3
	v_rcp_f32_e32 v2, v1
	v_div_scale_f32 v4, vcc, v3, v8, v3
	v_fma_f32 v5, -v1, v2, 1.0
	v_fmac_f32_e32 v2, v5, v2
	v_mul_f32_e32 v5, v4, v2
	v_fma_f32 v9, -v1, v5, v4
	v_fmac_f32_e32 v5, v9, v2
	v_fma_f32 v1, -v1, v5, v4
	v_div_fmas_f32 v1, v1, v2, v5
	v_div_fixup_f32 v2, v1, v8, v3
	v_fmac_f32_e32 v8, v3, v2
	v_div_scale_f32 v1, s[12:13], v8, v8, -1.0
	v_rcp_f32_e32 v3, v1
	v_fma_f32 v4, -v1, v3, 1.0
	v_fmac_f32_e32 v3, v4, v3
	v_div_scale_f32 v4, vcc, -1.0, v8, -1.0
	v_mul_f32_e32 v5, v4, v3
	v_fma_f32 v9, -v1, v5, v4
	v_fmac_f32_e32 v5, v9, v3
	v_fma_f32 v1, -v1, v5, v4
	v_div_fmas_f32 v1, v1, v3, v5
	v_div_fixup_f32 v1, v1, v8, -1.0
	v_mul_f32_e32 v2, v2, v1
	v_xor_b32_e32 v4, 0x80000000, v2
                                        ; implicit-def: $vgpr3
                                        ; implicit-def: $vgpr8
.LBB50_15:
	s_andn2_saveexec_b64 s[6:7], s[6:7]
	s_cbranch_execz .LBB50_17
; %bb.16:
	v_div_scale_f32 v1, s[12:13], v3, v3, v8
	v_rcp_f32_e32 v2, v1
	v_div_scale_f32 v4, vcc, v8, v3, v8
	v_fma_f32 v5, -v1, v2, 1.0
	v_fmac_f32_e32 v2, v5, v2
	v_mul_f32_e32 v5, v4, v2
	v_fma_f32 v9, -v1, v5, v4
	v_fmac_f32_e32 v5, v9, v2
	v_fma_f32 v1, -v1, v5, v4
	v_div_fmas_f32 v1, v1, v2, v5
	v_div_fixup_f32 v1, v1, v3, v8
	v_fmac_f32_e32 v3, v8, v1
	v_div_scale_f32 v2, s[12:13], v3, v3, 1.0
	v_rcp_f32_e32 v4, v2
	v_fma_f32 v5, -v2, v4, 1.0
	v_fmac_f32_e32 v4, v5, v4
	v_div_scale_f32 v5, vcc, 1.0, v3, 1.0
	v_mul_f32_e32 v8, v5, v4
	v_fma_f32 v9, -v2, v8, v5
	v_fmac_f32_e32 v8, v9, v4
	v_fma_f32 v2, -v2, v8, v5
	v_div_fmas_f32 v2, v2, v4, v8
	v_div_fixup_f32 v4, v2, v3, 1.0
	v_xor_b32_e32 v2, 0x80000000, v4
	v_mul_f32_e64 v1, v1, -v4
.LBB50_17:
	s_or_b64 exec, exec, s[6:7]
	buffer_store_dword v1, v7, s[0:3], 0 offen offset:4
	buffer_store_dword v4, v7, s[0:3], 0 offen
	buffer_load_dword v5, off, s[0:3], 0 offset:12
	s_nop 0
	buffer_load_dword v4, off, s[0:3], 0 offset:8
	v_xor_b32_e32 v3, 0x80000000, v1
	v_add_u32_e32 v1, 0x1a0, v6
	s_waitcnt vmcnt(0)
	ds_write2_b64 v6, v[2:3], v[4:5] offset1:52
	s_waitcnt lgkmcnt(0)
	; wave barrier
	s_waitcnt lgkmcnt(0)
	s_and_saveexec_b64 s[6:7], s[4:5]
	s_cbranch_execz .LBB50_19
; %bb.18:
	buffer_load_dword v8, v7, s[0:3], 0 offen offset:4
	buffer_load_dword v9, v7, s[0:3], 0 offen
	ds_read_b64 v[2:3], v1
	v_mov_b32_e32 v4, 0
	ds_read_b64 v[4:5], v4 offset:8
	s_waitcnt vmcnt(1) lgkmcnt(1)
	v_mul_f32_e32 v10, v3, v8
	v_mul_f32_e32 v8, v2, v8
	s_waitcnt vmcnt(0)
	v_fmac_f32_e32 v8, v3, v9
	v_fma_f32 v2, v2, v9, -v10
	v_add_f32_e32 v3, 0, v8
	v_add_f32_e32 v2, 0, v2
	s_waitcnt lgkmcnt(0)
	v_mul_f32_e32 v8, v3, v5
	v_mul_f32_e32 v5, v2, v5
	v_fma_f32 v2, v2, v4, -v8
	v_fmac_f32_e32 v5, v3, v4
	buffer_store_dword v2, off, s[0:3], 0 offset:8
	buffer_store_dword v5, off, s[0:3], 0 offset:12
.LBB50_19:
	s_or_b64 exec, exec, s[6:7]
	s_waitcnt lgkmcnt(0)
	; wave barrier
	buffer_load_dword v2, off, s[0:3], 0 offset:16
	buffer_load_dword v3, off, s[0:3], 0 offset:20
	v_cmp_gt_u32_e32 vcc, 2, v0
	s_waitcnt vmcnt(0)
	ds_write_b64 v1, v[2:3]
	s_waitcnt lgkmcnt(0)
	; wave barrier
	s_waitcnt lgkmcnt(0)
	s_and_saveexec_b64 s[6:7], vcc
	s_cbranch_execz .LBB50_23
; %bb.20:
	buffer_load_dword v4, v7, s[0:3], 0 offen offset:4
	buffer_load_dword v5, v7, s[0:3], 0 offen
	ds_read_b64 v[2:3], v1
	s_waitcnt vmcnt(1) lgkmcnt(0)
	v_mul_f32_e32 v7, v3, v4
	v_mul_f32_e32 v4, v2, v4
	s_waitcnt vmcnt(0)
	v_fma_f32 v2, v2, v5, -v7
	v_fmac_f32_e32 v4, v3, v5
	v_add_f32_e32 v3, 0, v2
	v_add_f32_e32 v2, 0, v4
	s_and_saveexec_b64 s[12:13], s[4:5]
	s_cbranch_execz .LBB50_22
; %bb.21:
	buffer_load_dword v7, off, s[0:3], 0 offset:12
	buffer_load_dword v8, off, s[0:3], 0 offset:8
	v_mov_b32_e32 v4, 0
	ds_read_b64 v[4:5], v4 offset:424
	s_waitcnt vmcnt(1) lgkmcnt(0)
	v_mul_f32_e32 v9, v4, v7
	v_mul_f32_e32 v7, v5, v7
	s_waitcnt vmcnt(0)
	v_fmac_f32_e32 v9, v5, v8
	v_fma_f32 v4, v4, v8, -v7
	v_add_f32_e32 v2, v2, v9
	v_add_f32_e32 v3, v3, v4
.LBB50_22:
	s_or_b64 exec, exec, s[12:13]
	v_mov_b32_e32 v4, 0
	ds_read_b64 v[4:5], v4 offset:16
	s_waitcnt lgkmcnt(0)
	v_mul_f32_e32 v7, v2, v5
	v_mul_f32_e32 v5, v3, v5
	v_fma_f32 v3, v3, v4, -v7
	v_fmac_f32_e32 v5, v2, v4
	buffer_store_dword v3, off, s[0:3], 0 offset:16
	buffer_store_dword v5, off, s[0:3], 0 offset:20
.LBB50_23:
	s_or_b64 exec, exec, s[6:7]
	s_waitcnt lgkmcnt(0)
	; wave barrier
	buffer_load_dword v2, off, s[0:3], 0 offset:24
	buffer_load_dword v3, off, s[0:3], 0 offset:28
	v_cmp_gt_u32_e32 vcc, 3, v0
	s_waitcnt vmcnt(0)
	ds_write_b64 v1, v[2:3]
	v_add_u32_e32 v2, -1, v0
	s_waitcnt lgkmcnt(0)
	; wave barrier
	s_waitcnt lgkmcnt(0)
	s_and_saveexec_b64 s[4:5], vcc
	s_cbranch_execz .LBB50_27
; %bb.24:
	v_add_u32_e32 v4, -1, v0
	v_add_u32_e32 v5, 0x1a0, v6
	v_add_u32_e32 v7, 0, v6
	s_mov_b64 s[6:7], 0
	v_mov_b32_e32 v3, 0
	v_mov_b32_e32 v8, 0
.LBB50_25:                              ; =>This Inner Loop Header: Depth=1
	buffer_load_dword v9, v7, s[0:3], 0 offen offset:4
	buffer_load_dword v12, v7, s[0:3], 0 offen
	ds_read_b64 v[10:11], v5
	v_add_u32_e32 v4, 1, v4
	v_cmp_lt_u32_e32 vcc, 1, v4
	v_add_u32_e32 v5, 8, v5
	v_add_u32_e32 v7, 8, v7
	s_or_b64 s[6:7], vcc, s[6:7]
	s_waitcnt vmcnt(1) lgkmcnt(0)
	v_mul_f32_e32 v13, v11, v9
	v_mul_f32_e32 v9, v10, v9
	s_waitcnt vmcnt(0)
	v_fma_f32 v10, v10, v12, -v13
	v_fmac_f32_e32 v9, v11, v12
	v_add_f32_e32 v8, v8, v10
	v_add_f32_e32 v3, v3, v9
	s_andn2_b64 exec, exec, s[6:7]
	s_cbranch_execnz .LBB50_25
; %bb.26:
	s_or_b64 exec, exec, s[6:7]
	v_mov_b32_e32 v4, 0
	ds_read_b64 v[4:5], v4 offset:24
	s_waitcnt lgkmcnt(0)
	v_mul_f32_e32 v7, v3, v5
	v_mul_f32_e32 v5, v8, v5
	v_fma_f32 v7, v8, v4, -v7
	v_fmac_f32_e32 v5, v3, v4
	buffer_store_dword v7, off, s[0:3], 0 offset:24
	buffer_store_dword v5, off, s[0:3], 0 offset:28
.LBB50_27:
	s_or_b64 exec, exec, s[4:5]
	s_waitcnt lgkmcnt(0)
	; wave barrier
	buffer_load_dword v4, off, s[0:3], 0 offset:32
	buffer_load_dword v5, off, s[0:3], 0 offset:36
	v_cmp_gt_u32_e32 vcc, 4, v0
	s_waitcnt vmcnt(0)
	ds_write_b64 v1, v[4:5]
	s_waitcnt lgkmcnt(0)
	; wave barrier
	s_waitcnt lgkmcnt(0)
	s_and_saveexec_b64 s[4:5], vcc
	s_cbranch_execz .LBB50_31
; %bb.28:
	v_add_u32_e32 v4, -1, v0
	v_add_u32_e32 v5, 0x1a0, v6
	v_add_u32_e32 v7, 0, v6
	s_mov_b64 s[6:7], 0
	v_mov_b32_e32 v3, 0
	v_mov_b32_e32 v8, 0
.LBB50_29:                              ; =>This Inner Loop Header: Depth=1
	buffer_load_dword v9, v7, s[0:3], 0 offen offset:4
	buffer_load_dword v12, v7, s[0:3], 0 offen
	ds_read_b64 v[10:11], v5
	v_add_u32_e32 v4, 1, v4
	v_cmp_lt_u32_e32 vcc, 2, v4
	v_add_u32_e32 v5, 8, v5
	v_add_u32_e32 v7, 8, v7
	s_or_b64 s[6:7], vcc, s[6:7]
	s_waitcnt vmcnt(1) lgkmcnt(0)
	v_mul_f32_e32 v13, v11, v9
	v_mul_f32_e32 v9, v10, v9
	s_waitcnt vmcnt(0)
	v_fma_f32 v10, v10, v12, -v13
	v_fmac_f32_e32 v9, v11, v12
	v_add_f32_e32 v8, v8, v10
	v_add_f32_e32 v3, v3, v9
	s_andn2_b64 exec, exec, s[6:7]
	s_cbranch_execnz .LBB50_29
; %bb.30:
	s_or_b64 exec, exec, s[6:7]
	v_mov_b32_e32 v4, 0
	ds_read_b64 v[4:5], v4 offset:32
	s_waitcnt lgkmcnt(0)
	v_mul_f32_e32 v7, v3, v5
	v_mul_f32_e32 v5, v8, v5
	v_fma_f32 v7, v8, v4, -v7
	v_fmac_f32_e32 v5, v3, v4
	buffer_store_dword v7, off, s[0:3], 0 offset:32
	buffer_store_dword v5, off, s[0:3], 0 offset:36
.LBB50_31:
	s_or_b64 exec, exec, s[4:5]
	s_waitcnt lgkmcnt(0)
	; wave barrier
	buffer_load_dword v4, off, s[0:3], 0 offset:40
	buffer_load_dword v5, off, s[0:3], 0 offset:44
	v_cmp_gt_u32_e32 vcc, 5, v0
	s_waitcnt vmcnt(0)
	ds_write_b64 v1, v[4:5]
	;; [unrolled: 51-line block ×19, first 2 shown]
	s_waitcnt lgkmcnt(0)
	; wave barrier
	s_waitcnt lgkmcnt(0)
	s_and_saveexec_b64 s[4:5], vcc
	s_cbranch_execz .LBB50_103
; %bb.100:
	v_add_u32_e32 v4, -1, v0
	v_add_u32_e32 v5, 0x1a0, v6
	v_add_u32_e32 v7, 0, v6
	s_mov_b64 s[6:7], 0
	v_mov_b32_e32 v3, 0
	v_mov_b32_e32 v8, 0
.LBB50_101:                             ; =>This Inner Loop Header: Depth=1
	buffer_load_dword v9, v7, s[0:3], 0 offen offset:4
	buffer_load_dword v12, v7, s[0:3], 0 offen
	ds_read_b64 v[10:11], v5
	v_add_u32_e32 v4, 1, v4
	v_cmp_lt_u32_e32 vcc, 20, v4
	v_add_u32_e32 v5, 8, v5
	v_add_u32_e32 v7, 8, v7
	s_or_b64 s[6:7], vcc, s[6:7]
	s_waitcnt vmcnt(1) lgkmcnt(0)
	v_mul_f32_e32 v13, v11, v9
	v_mul_f32_e32 v9, v10, v9
	s_waitcnt vmcnt(0)
	v_fma_f32 v10, v10, v12, -v13
	v_fmac_f32_e32 v9, v11, v12
	v_add_f32_e32 v8, v8, v10
	v_add_f32_e32 v3, v3, v9
	s_andn2_b64 exec, exec, s[6:7]
	s_cbranch_execnz .LBB50_101
; %bb.102:
	s_or_b64 exec, exec, s[6:7]
	v_mov_b32_e32 v4, 0
	ds_read_b64 v[4:5], v4 offset:176
	s_waitcnt lgkmcnt(0)
	v_mul_f32_e32 v7, v3, v5
	v_mul_f32_e32 v5, v8, v5
	v_fma_f32 v7, v8, v4, -v7
	v_fmac_f32_e32 v5, v3, v4
	buffer_store_dword v7, off, s[0:3], 0 offset:176
	buffer_store_dword v5, off, s[0:3], 0 offset:180
.LBB50_103:
	s_or_b64 exec, exec, s[4:5]
	s_waitcnt lgkmcnt(0)
	; wave barrier
	buffer_load_dword v4, off, s[0:3], 0 offset:184
	buffer_load_dword v5, off, s[0:3], 0 offset:188
	v_cmp_gt_u32_e32 vcc, 23, v0
	s_waitcnt vmcnt(0)
	ds_write_b64 v1, v[4:5]
	s_waitcnt lgkmcnt(0)
	; wave barrier
	s_waitcnt lgkmcnt(0)
	s_and_saveexec_b64 s[4:5], vcc
	s_cbranch_execz .LBB50_107
; %bb.104:
	v_add_u32_e32 v4, -1, v0
	v_add_u32_e32 v5, 0x1a0, v6
	v_add_u32_e32 v7, 0, v6
	s_mov_b64 s[6:7], 0
	v_mov_b32_e32 v3, 0
	v_mov_b32_e32 v8, 0
.LBB50_105:                             ; =>This Inner Loop Header: Depth=1
	buffer_load_dword v9, v7, s[0:3], 0 offen offset:4
	buffer_load_dword v12, v7, s[0:3], 0 offen
	ds_read_b64 v[10:11], v5
	v_add_u32_e32 v4, 1, v4
	v_cmp_lt_u32_e32 vcc, 21, v4
	v_add_u32_e32 v5, 8, v5
	v_add_u32_e32 v7, 8, v7
	s_or_b64 s[6:7], vcc, s[6:7]
	s_waitcnt vmcnt(1) lgkmcnt(0)
	v_mul_f32_e32 v13, v11, v9
	v_mul_f32_e32 v9, v10, v9
	s_waitcnt vmcnt(0)
	v_fma_f32 v10, v10, v12, -v13
	v_fmac_f32_e32 v9, v11, v12
	v_add_f32_e32 v8, v8, v10
	v_add_f32_e32 v3, v3, v9
	s_andn2_b64 exec, exec, s[6:7]
	s_cbranch_execnz .LBB50_105
; %bb.106:
	s_or_b64 exec, exec, s[6:7]
	v_mov_b32_e32 v4, 0
	ds_read_b64 v[4:5], v4 offset:184
	s_waitcnt lgkmcnt(0)
	v_mul_f32_e32 v7, v3, v5
	v_mul_f32_e32 v5, v8, v5
	v_fma_f32 v7, v8, v4, -v7
	v_fmac_f32_e32 v5, v3, v4
	buffer_store_dword v7, off, s[0:3], 0 offset:184
	buffer_store_dword v5, off, s[0:3], 0 offset:188
.LBB50_107:
	s_or_b64 exec, exec, s[4:5]
	s_waitcnt lgkmcnt(0)
	; wave barrier
	buffer_load_dword v4, off, s[0:3], 0 offset:192
	buffer_load_dword v5, off, s[0:3], 0 offset:196
	v_cmp_gt_u32_e32 vcc, 24, v0
	s_waitcnt vmcnt(0)
	ds_write_b64 v1, v[4:5]
	;; [unrolled: 51-line block ×27, first 2 shown]
	s_waitcnt lgkmcnt(0)
	; wave barrier
	s_waitcnt lgkmcnt(0)
	s_and_saveexec_b64 s[4:5], vcc
	s_cbranch_execz .LBB50_211
; %bb.208:
	v_add_u32_e32 v4, -1, v0
	v_add_u32_e32 v5, 0x1a0, v6
	v_add_u32_e32 v7, 0, v6
	s_mov_b64 s[6:7], 0
	v_mov_b32_e32 v3, 0
	v_mov_b32_e32 v8, 0
.LBB50_209:                             ; =>This Inner Loop Header: Depth=1
	buffer_load_dword v9, v7, s[0:3], 0 offen offset:4
	buffer_load_dword v12, v7, s[0:3], 0 offen
	ds_read_b64 v[10:11], v5
	v_add_u32_e32 v4, 1, v4
	v_cmp_lt_u32_e32 vcc, 47, v4
	v_add_u32_e32 v5, 8, v5
	v_add_u32_e32 v7, 8, v7
	s_or_b64 s[6:7], vcc, s[6:7]
	s_waitcnt vmcnt(1) lgkmcnt(0)
	v_mul_f32_e32 v13, v11, v9
	v_mul_f32_e32 v9, v10, v9
	s_waitcnt vmcnt(0)
	v_fma_f32 v10, v10, v12, -v13
	v_fmac_f32_e32 v9, v11, v12
	v_add_f32_e32 v8, v8, v10
	v_add_f32_e32 v3, v3, v9
	s_andn2_b64 exec, exec, s[6:7]
	s_cbranch_execnz .LBB50_209
; %bb.210:
	s_or_b64 exec, exec, s[6:7]
	v_mov_b32_e32 v4, 0
	ds_read_b64 v[4:5], v4 offset:392
	s_waitcnt lgkmcnt(0)
	v_mul_f32_e32 v7, v3, v5
	v_mul_f32_e32 v5, v8, v5
	v_fma_f32 v7, v8, v4, -v7
	v_fmac_f32_e32 v5, v3, v4
	buffer_store_dword v7, off, s[0:3], 0 offset:392
	buffer_store_dword v5, off, s[0:3], 0 offset:396
.LBB50_211:
	s_or_b64 exec, exec, s[4:5]
	s_waitcnt lgkmcnt(0)
	; wave barrier
	buffer_load_dword v4, off, s[0:3], 0 offset:400
	buffer_load_dword v5, off, s[0:3], 0 offset:404
	v_cmp_ne_u32_e32 vcc, 50, v0
	s_waitcnt vmcnt(0)
	ds_write_b64 v1, v[4:5]
	s_waitcnt lgkmcnt(0)
	; wave barrier
	s_waitcnt lgkmcnt(0)
	s_and_saveexec_b64 s[4:5], vcc
	s_cbranch_execz .LBB50_215
; %bb.212:
	v_add_u32_e32 v3, 0x1a0, v6
	v_add_u32_e32 v4, 0, v6
	s_mov_b64 s[6:7], 0
	v_mov_b32_e32 v1, 0
	v_mov_b32_e32 v5, 0
.LBB50_213:                             ; =>This Inner Loop Header: Depth=1
	buffer_load_dword v8, v4, s[0:3], 0 offen offset:4
	buffer_load_dword v9, v4, s[0:3], 0 offen
	ds_read_b64 v[6:7], v3
	v_add_u32_e32 v2, 1, v2
	v_cmp_lt_u32_e32 vcc, 48, v2
	v_add_u32_e32 v3, 8, v3
	v_add_u32_e32 v4, 8, v4
	s_or_b64 s[6:7], vcc, s[6:7]
	s_waitcnt vmcnt(1) lgkmcnt(0)
	v_mul_f32_e32 v10, v7, v8
	v_mul_f32_e32 v8, v6, v8
	s_waitcnt vmcnt(0)
	v_fma_f32 v6, v6, v9, -v10
	v_fmac_f32_e32 v8, v7, v9
	v_add_f32_e32 v5, v5, v6
	v_add_f32_e32 v1, v1, v8
	s_andn2_b64 exec, exec, s[6:7]
	s_cbranch_execnz .LBB50_213
; %bb.214:
	s_or_b64 exec, exec, s[6:7]
	v_mov_b32_e32 v2, 0
	ds_read_b64 v[2:3], v2 offset:400
	s_waitcnt lgkmcnt(0)
	v_mul_f32_e32 v4, v1, v3
	v_mul_f32_e32 v3, v5, v3
	v_fma_f32 v4, v5, v2, -v4
	v_fmac_f32_e32 v3, v1, v2
	buffer_store_dword v4, off, s[0:3], 0 offset:400
	buffer_store_dword v3, off, s[0:3], 0 offset:404
.LBB50_215:
	s_or_b64 exec, exec, s[4:5]
	s_mov_b64 s[6:7], -1
	s_waitcnt lgkmcnt(0)
	; wave barrier
.LBB50_216:
	s_and_b64 vcc, exec, s[6:7]
	s_cbranch_vccz .LBB50_218
; %bb.217:
	s_lshl_b64 s[4:5], s[8:9], 2
	s_add_u32 s4, s14, s4
	s_addc_u32 s5, s15, s5
	v_mov_b32_e32 v1, 0
	global_load_dword v1, v1, s[4:5]
	s_waitcnt vmcnt(0)
	v_cmp_ne_u32_e32 vcc, 0, v1
	s_cbranch_vccz .LBB50_219
.LBB50_218:
	s_endpgm
.LBB50_219:
	v_mov_b32_e32 v1, 0x1a0
	v_lshl_add_u32 v121, v0, 3, v1
	v_cmp_eq_u32_e32 vcc, 50, v0
	s_and_saveexec_b64 s[4:5], vcc
	s_cbranch_execz .LBB50_221
; %bb.220:
	buffer_load_dword v2, off, s[0:3], 0 offset:392
	buffer_load_dword v3, off, s[0:3], 0 offset:396
	v_mov_b32_e32 v1, 0
	buffer_store_dword v1, off, s[0:3], 0 offset:392
	buffer_store_dword v1, off, s[0:3], 0 offset:396
	s_waitcnt vmcnt(2)
	ds_write_b64 v121, v[2:3]
.LBB50_221:
	s_or_b64 exec, exec, s[4:5]
	s_waitcnt lgkmcnt(0)
	; wave barrier
	s_waitcnt lgkmcnt(0)
	buffer_load_dword v3, off, s[0:3], 0 offset:404
	buffer_load_dword v2, off, s[0:3], 0 offset:400
	;; [unrolled: 1-line block ×4, first 2 shown]
	v_mov_b32_e32 v1, 0
	ds_read_b64 v[6:7], v1 offset:816
	v_cmp_lt_u32_e32 vcc, 48, v0
	s_waitcnt vmcnt(3)
	v_mov_b32_e32 v8, v3
	s_waitcnt lgkmcnt(0)
	v_pk_mul_f32 v[8:9], v[6:7], v[8:9] op_sel_hi:[1,0]
	s_waitcnt vmcnt(2)
	v_pk_fma_f32 v[10:11], v[6:7], v[2:3], v[8:9] op_sel:[0,0,1] op_sel_hi:[1,1,0] neg_lo:[0,0,1] neg_hi:[0,0,1]
	v_pk_fma_f32 v[2:3], v[6:7], v[2:3], v[8:9] op_sel:[0,0,1] op_sel_hi:[1,0,0]
	v_mov_b32_e32 v11, v3
	v_pk_add_f32 v[2:3], v[10:11], 0 op_sel_hi:[1,0]
	s_waitcnt vmcnt(0)
	v_pk_add_f32 v[2:3], v[4:5], v[2:3] neg_lo:[0,1] neg_hi:[0,1]
	buffer_store_dword v2, off, s[0:3], 0 offset:392
	buffer_store_dword v3, off, s[0:3], 0 offset:396
	s_and_saveexec_b64 s[4:5], vcc
	s_cbranch_execz .LBB50_223
; %bb.222:
	buffer_load_dword v2, off, s[0:3], 0 offset:384
	buffer_load_dword v3, off, s[0:3], 0 offset:388
	s_waitcnt vmcnt(0)
	ds_write_b64 v121, v[2:3]
	buffer_store_dword v1, off, s[0:3], 0 offset:384
	buffer_store_dword v1, off, s[0:3], 0 offset:388
.LBB50_223:
	s_or_b64 exec, exec, s[4:5]
	s_waitcnt lgkmcnt(0)
	; wave barrier
	s_waitcnt lgkmcnt(0)
	buffer_load_dword v7, off, s[0:3], 0 offset:396
	buffer_load_dword v9, off, s[0:3], 0 offset:404
	;; [unrolled: 1-line block ×6, first 2 shown]
	ds_read2_b64 v[2:5], v1 offset0:101 offset1:102
	v_cmp_lt_u32_e32 vcc, 47, v0
	s_waitcnt vmcnt(5)
	v_mov_b32_e32 v12, v7
	s_waitcnt vmcnt(4)
	v_mov_b32_e32 v14, v9
	s_waitcnt lgkmcnt(0)
	v_pk_mul_f32 v[12:13], v[2:3], v[12:13] op_sel_hi:[1,0]
	v_pk_mul_f32 v[14:15], v[4:5], v[14:15] op_sel_hi:[1,0]
	s_waitcnt vmcnt(3)
	v_pk_fma_f32 v[16:17], v[2:3], v[6:7], v[12:13] op_sel:[0,0,1] op_sel_hi:[1,1,0] neg_lo:[0,0,1] neg_hi:[0,0,1]
	v_pk_fma_f32 v[2:3], v[2:3], v[6:7], v[12:13] op_sel:[0,0,1] op_sel_hi:[1,0,0]
	s_waitcnt vmcnt(2)
	v_pk_fma_f32 v[6:7], v[4:5], v[8:9], v[14:15] op_sel:[0,0,1] op_sel_hi:[1,1,0] neg_lo:[0,0,1] neg_hi:[0,0,1]
	v_pk_fma_f32 v[4:5], v[4:5], v[8:9], v[14:15] op_sel:[0,0,1] op_sel_hi:[1,0,0]
	v_mov_b32_e32 v17, v3
	v_mov_b32_e32 v7, v5
	v_pk_add_f32 v[2:3], v[16:17], 0 op_sel_hi:[1,0]
	v_pk_add_f32 v[2:3], v[2:3], v[6:7]
	s_waitcnt vmcnt(0)
	v_pk_add_f32 v[2:3], v[10:11], v[2:3] neg_lo:[0,1] neg_hi:[0,1]
	buffer_store_dword v2, off, s[0:3], 0 offset:384
	buffer_store_dword v3, off, s[0:3], 0 offset:388
	s_and_saveexec_b64 s[4:5], vcc
	s_cbranch_execz .LBB50_225
; %bb.224:
	buffer_load_dword v2, off, s[0:3], 0 offset:376
	buffer_load_dword v3, off, s[0:3], 0 offset:380
	v_mov_b32_e32 v1, 0
	buffer_store_dword v1, off, s[0:3], 0 offset:376
	buffer_store_dword v1, off, s[0:3], 0 offset:380
	s_waitcnt vmcnt(2)
	ds_write_b64 v121, v[2:3]
.LBB50_225:
	s_or_b64 exec, exec, s[4:5]
	s_waitcnt lgkmcnt(0)
	; wave barrier
	s_waitcnt lgkmcnt(0)
	buffer_load_dword v7, off, s[0:3], 0 offset:388
	buffer_load_dword v9, off, s[0:3], 0 offset:396
	;; [unrolled: 1-line block ×8, first 2 shown]
	v_mov_b32_e32 v1, 0
	ds_read_b128 v[2:5], v1 offset:800
	ds_read_b64 v[14:15], v1 offset:816
	v_cmp_lt_u32_e32 vcc, 46, v0
	s_waitcnt vmcnt(7)
	v_mov_b32_e32 v16, v7
	s_waitcnt vmcnt(6)
	v_mov_b32_e32 v18, v9
	s_waitcnt lgkmcnt(1)
	v_pk_mul_f32 v[16:17], v[2:3], v[16:17] op_sel_hi:[1,0]
	s_waitcnt vmcnt(5)
	v_mov_b32_e32 v20, v11
	v_pk_mul_f32 v[18:19], v[4:5], v[18:19] op_sel_hi:[1,0]
	s_waitcnt vmcnt(4)
	v_pk_fma_f32 v[22:23], v[2:3], v[6:7], v[16:17] op_sel:[0,0,1] op_sel_hi:[1,1,0] neg_lo:[0,0,1] neg_hi:[0,0,1]
	v_pk_fma_f32 v[2:3], v[2:3], v[6:7], v[16:17] op_sel:[0,0,1] op_sel_hi:[1,0,0]
	s_waitcnt lgkmcnt(0)
	v_pk_mul_f32 v[20:21], v[14:15], v[20:21] op_sel_hi:[1,0]
	s_waitcnt vmcnt(3)
	v_pk_fma_f32 v[6:7], v[4:5], v[8:9], v[18:19] op_sel:[0,0,1] op_sel_hi:[1,1,0] neg_lo:[0,0,1] neg_hi:[0,0,1]
	v_pk_fma_f32 v[4:5], v[4:5], v[8:9], v[18:19] op_sel:[0,0,1] op_sel_hi:[1,0,0]
	v_mov_b32_e32 v23, v3
	s_waitcnt vmcnt(2)
	v_pk_fma_f32 v[8:9], v[14:15], v[10:11], v[20:21] op_sel:[0,0,1] op_sel_hi:[1,1,0] neg_lo:[0,0,1] neg_hi:[0,0,1]
	v_pk_fma_f32 v[10:11], v[14:15], v[10:11], v[20:21] op_sel:[0,0,1] op_sel_hi:[1,0,0]
	v_mov_b32_e32 v7, v5
	v_pk_add_f32 v[2:3], v[22:23], 0 op_sel_hi:[1,0]
	v_mov_b32_e32 v9, v11
	v_pk_add_f32 v[2:3], v[2:3], v[6:7]
	v_pk_add_f32 v[2:3], v[2:3], v[8:9]
	s_waitcnt vmcnt(0)
	v_pk_add_f32 v[2:3], v[12:13], v[2:3] neg_lo:[0,1] neg_hi:[0,1]
	buffer_store_dword v2, off, s[0:3], 0 offset:376
	buffer_store_dword v3, off, s[0:3], 0 offset:380
	s_and_saveexec_b64 s[4:5], vcc
	s_cbranch_execz .LBB50_227
; %bb.226:
	buffer_load_dword v2, off, s[0:3], 0 offset:368
	buffer_load_dword v3, off, s[0:3], 0 offset:372
	s_waitcnt vmcnt(0)
	ds_write_b64 v121, v[2:3]
	buffer_store_dword v1, off, s[0:3], 0 offset:368
	buffer_store_dword v1, off, s[0:3], 0 offset:372
.LBB50_227:
	s_or_b64 exec, exec, s[4:5]
	s_waitcnt lgkmcnt(0)
	; wave barrier
	s_waitcnt lgkmcnt(0)
	buffer_load_dword v10, off, s[0:3], 0 offset:368
	buffer_load_dword v11, off, s[0:3], 0 offset:372
	buffer_load_dword v12, off, s[0:3], 0 offset:376
	buffer_load_dword v13, off, s[0:3], 0 offset:380
	buffer_load_dword v14, off, s[0:3], 0 offset:384
	buffer_load_dword v15, off, s[0:3], 0 offset:388
	buffer_load_dword v16, off, s[0:3], 0 offset:392
	buffer_load_dword v17, off, s[0:3], 0 offset:396
	buffer_load_dword v18, off, s[0:3], 0 offset:400
	buffer_load_dword v19, off, s[0:3], 0 offset:404
	ds_read2_b64 v[2:5], v1 offset0:99 offset1:100
	ds_read2_b64 v[6:9], v1 offset0:101 offset1:102
	v_cmp_lt_u32_e32 vcc, 45, v0
	s_waitcnt vmcnt(6)
	v_mov_b32_e32 v20, v13
	s_waitcnt lgkmcnt(1)
	v_pk_mul_f32 v[20:21], v[2:3], v[20:21] op_sel_hi:[1,0]
	v_pk_fma_f32 v[22:23], v[2:3], v[12:13], v[20:21] op_sel:[0,0,1] op_sel_hi:[1,1,0] neg_lo:[0,0,1] neg_hi:[0,0,1]
	v_pk_fma_f32 v[2:3], v[2:3], v[12:13], v[20:21] op_sel:[0,0,1] op_sel_hi:[1,0,0]
	s_waitcnt vmcnt(4)
	v_mov_b32_e32 v12, v15
	v_pk_mul_f32 v[12:13], v[4:5], v[12:13] op_sel_hi:[1,0]
	v_pk_fma_f32 v[20:21], v[4:5], v[14:15], v[12:13] op_sel:[0,0,1] op_sel_hi:[1,1,0] neg_lo:[0,0,1] neg_hi:[0,0,1]
	v_pk_fma_f32 v[4:5], v[4:5], v[14:15], v[12:13] op_sel:[0,0,1] op_sel_hi:[1,0,0]
	s_waitcnt vmcnt(2)
	v_mov_b32_e32 v4, v17
	v_mov_b32_e32 v21, v5
	s_waitcnt lgkmcnt(0)
	v_pk_mul_f32 v[4:5], v[6:7], v[4:5] op_sel_hi:[1,0]
	v_pk_fma_f32 v[12:13], v[6:7], v[16:17], v[4:5] op_sel:[0,0,1] op_sel_hi:[1,1,0] neg_lo:[0,0,1] neg_hi:[0,0,1]
	v_pk_fma_f32 v[4:5], v[6:7], v[16:17], v[4:5] op_sel:[0,0,1] op_sel_hi:[1,0,0]
	v_mov_b32_e32 v23, v3
	s_waitcnt vmcnt(0)
	v_mov_b32_e32 v4, v19
	v_pk_add_f32 v[2:3], v[22:23], 0 op_sel_hi:[1,0]
	v_mov_b32_e32 v13, v5
	v_pk_mul_f32 v[4:5], v[8:9], v[4:5] op_sel_hi:[1,0]
	v_pk_add_f32 v[2:3], v[2:3], v[20:21]
	v_pk_fma_f32 v[6:7], v[8:9], v[18:19], v[4:5] op_sel:[0,0,1] op_sel_hi:[1,1,0] neg_lo:[0,0,1] neg_hi:[0,0,1]
	v_pk_fma_f32 v[4:5], v[8:9], v[18:19], v[4:5] op_sel:[0,0,1] op_sel_hi:[1,0,0]
	v_pk_add_f32 v[2:3], v[2:3], v[12:13]
	v_mov_b32_e32 v7, v5
	v_pk_add_f32 v[2:3], v[2:3], v[6:7]
	v_pk_add_f32 v[2:3], v[10:11], v[2:3] neg_lo:[0,1] neg_hi:[0,1]
	buffer_store_dword v2, off, s[0:3], 0 offset:368
	buffer_store_dword v3, off, s[0:3], 0 offset:372
	s_and_saveexec_b64 s[4:5], vcc
	s_cbranch_execz .LBB50_229
; %bb.228:
	buffer_load_dword v2, off, s[0:3], 0 offset:360
	buffer_load_dword v3, off, s[0:3], 0 offset:364
	v_mov_b32_e32 v1, 0
	buffer_store_dword v1, off, s[0:3], 0 offset:360
	buffer_store_dword v1, off, s[0:3], 0 offset:364
	s_waitcnt vmcnt(2)
	ds_write_b64 v121, v[2:3]
.LBB50_229:
	s_or_b64 exec, exec, s[4:5]
	s_waitcnt lgkmcnt(0)
	; wave barrier
	s_waitcnt lgkmcnt(0)
	buffer_load_dword v11, off, s[0:3], 0 offset:372
	buffer_load_dword v13, off, s[0:3], 0 offset:380
	;; [unrolled: 1-line block ×12, first 2 shown]
	v_mov_b32_e32 v1, 0
	ds_read_b128 v[2:5], v1 offset:784
	ds_read_b128 v[6:9], v1 offset:800
	ds_read_b64 v[22:23], v1 offset:816
	v_cmp_lt_u32_e32 vcc, 44, v0
	s_waitcnt vmcnt(11)
	v_mov_b32_e32 v24, v11
	s_waitcnt vmcnt(10)
	v_mov_b32_e32 v26, v13
	s_waitcnt lgkmcnt(2)
	v_pk_mul_f32 v[24:25], v[2:3], v[24:25] op_sel_hi:[1,0]
	s_waitcnt vmcnt(9)
	v_mov_b32_e32 v28, v15
	v_pk_mul_f32 v[26:27], v[4:5], v[26:27] op_sel_hi:[1,0]
	s_waitcnt vmcnt(6)
	v_pk_fma_f32 v[34:35], v[2:3], v[10:11], v[24:25] op_sel:[0,0,1] op_sel_hi:[1,1,0] neg_lo:[0,0,1] neg_hi:[0,0,1]
	v_pk_fma_f32 v[2:3], v[2:3], v[10:11], v[24:25] op_sel:[0,0,1] op_sel_hi:[1,0,0]
	v_mov_b32_e32 v30, v17
	s_waitcnt lgkmcnt(1)
	v_pk_mul_f32 v[28:29], v[6:7], v[28:29] op_sel_hi:[1,0]
	s_waitcnt vmcnt(5)
	v_pk_fma_f32 v[10:11], v[4:5], v[12:13], v[26:27] op_sel:[0,0,1] op_sel_hi:[1,1,0] neg_lo:[0,0,1] neg_hi:[0,0,1]
	v_pk_fma_f32 v[4:5], v[4:5], v[12:13], v[26:27] op_sel:[0,0,1] op_sel_hi:[1,0,0]
	v_mov_b32_e32 v35, v3
	v_mov_b32_e32 v32, v19
	v_pk_mul_f32 v[30:31], v[8:9], v[30:31] op_sel_hi:[1,0]
	s_waitcnt vmcnt(4)
	v_pk_fma_f32 v[12:13], v[6:7], v[14:15], v[28:29] op_sel:[0,0,1] op_sel_hi:[1,1,0] neg_lo:[0,0,1] neg_hi:[0,0,1]
	v_pk_fma_f32 v[6:7], v[6:7], v[14:15], v[28:29] op_sel:[0,0,1] op_sel_hi:[1,0,0]
	v_mov_b32_e32 v11, v5
	v_pk_add_f32 v[2:3], v[34:35], 0 op_sel_hi:[1,0]
	s_waitcnt lgkmcnt(0)
	v_pk_mul_f32 v[32:33], v[22:23], v[32:33] op_sel_hi:[1,0]
	s_waitcnt vmcnt(3)
	v_pk_fma_f32 v[14:15], v[8:9], v[16:17], v[30:31] op_sel:[0,0,1] op_sel_hi:[1,1,0] neg_lo:[0,0,1] neg_hi:[0,0,1]
	v_pk_fma_f32 v[8:9], v[8:9], v[16:17], v[30:31] op_sel:[0,0,1] op_sel_hi:[1,0,0]
	v_mov_b32_e32 v13, v7
	v_pk_add_f32 v[2:3], v[2:3], v[10:11]
	s_waitcnt vmcnt(2)
	v_pk_fma_f32 v[16:17], v[22:23], v[18:19], v[32:33] op_sel:[0,0,1] op_sel_hi:[1,1,0] neg_lo:[0,0,1] neg_hi:[0,0,1]
	v_pk_fma_f32 v[18:19], v[22:23], v[18:19], v[32:33] op_sel:[0,0,1] op_sel_hi:[1,0,0]
	v_mov_b32_e32 v15, v9
	v_pk_add_f32 v[2:3], v[2:3], v[12:13]
	v_mov_b32_e32 v17, v19
	v_pk_add_f32 v[2:3], v[2:3], v[14:15]
	v_pk_add_f32 v[2:3], v[2:3], v[16:17]
	s_waitcnt vmcnt(0)
	v_pk_add_f32 v[2:3], v[20:21], v[2:3] neg_lo:[0,1] neg_hi:[0,1]
	buffer_store_dword v2, off, s[0:3], 0 offset:360
	buffer_store_dword v3, off, s[0:3], 0 offset:364
	s_and_saveexec_b64 s[4:5], vcc
	s_cbranch_execz .LBB50_231
; %bb.230:
	buffer_load_dword v2, off, s[0:3], 0 offset:352
	buffer_load_dword v3, off, s[0:3], 0 offset:356
	s_waitcnt vmcnt(0)
	ds_write_b64 v121, v[2:3]
	buffer_store_dword v1, off, s[0:3], 0 offset:352
	buffer_store_dword v1, off, s[0:3], 0 offset:356
.LBB50_231:
	s_or_b64 exec, exec, s[4:5]
	s_waitcnt lgkmcnt(0)
	; wave barrier
	s_waitcnt lgkmcnt(0)
	buffer_load_dword v15, off, s[0:3], 0 offset:364
	buffer_load_dword v17, off, s[0:3], 0 offset:372
	;; [unrolled: 1-line block ×14, first 2 shown]
	ds_read2_b64 v[2:5], v1 offset0:97 offset1:98
	ds_read2_b64 v[6:9], v1 offset0:99 offset1:100
	;; [unrolled: 1-line block ×3, first 2 shown]
	v_cmp_lt_u32_e32 vcc, 43, v0
	s_waitcnt vmcnt(13)
	v_mov_b32_e32 v28, v15
	s_waitcnt vmcnt(12)
	v_mov_b32_e32 v30, v17
	s_waitcnt lgkmcnt(2)
	v_pk_mul_f32 v[28:29], v[2:3], v[28:29] op_sel_hi:[1,0]
	s_waitcnt vmcnt(11)
	v_mov_b32_e32 v32, v19
	v_pk_mul_f32 v[30:31], v[4:5], v[30:31] op_sel_hi:[1,0]
	s_waitcnt vmcnt(10)
	v_mov_b32_e32 v34, v21
	s_waitcnt vmcnt(7)
	v_pk_fma_f32 v[40:41], v[2:3], v[14:15], v[28:29] op_sel:[0,0,1] op_sel_hi:[1,1,0] neg_lo:[0,0,1] neg_hi:[0,0,1]
	v_pk_fma_f32 v[2:3], v[2:3], v[14:15], v[28:29] op_sel:[0,0,1] op_sel_hi:[1,0,0]
	s_waitcnt lgkmcnt(1)
	v_pk_mul_f32 v[32:33], v[6:7], v[32:33] op_sel_hi:[1,0]
	s_waitcnt vmcnt(6)
	v_pk_fma_f32 v[14:15], v[4:5], v[16:17], v[30:31] op_sel:[0,0,1] op_sel_hi:[1,1,0] neg_lo:[0,0,1] neg_hi:[0,0,1]
	v_pk_fma_f32 v[4:5], v[4:5], v[16:17], v[30:31] op_sel:[0,0,1] op_sel_hi:[1,0,0]
	v_mov_b32_e32 v41, v3
	v_mov_b32_e32 v36, v23
	v_pk_mul_f32 v[34:35], v[8:9], v[34:35] op_sel_hi:[1,0]
	s_waitcnt vmcnt(5)
	v_pk_fma_f32 v[16:17], v[6:7], v[18:19], v[32:33] op_sel:[0,0,1] op_sel_hi:[1,1,0] neg_lo:[0,0,1] neg_hi:[0,0,1]
	v_pk_fma_f32 v[6:7], v[6:7], v[18:19], v[32:33] op_sel:[0,0,1] op_sel_hi:[1,0,0]
	v_mov_b32_e32 v15, v5
	v_pk_add_f32 v[2:3], v[40:41], 0 op_sel_hi:[1,0]
	v_mov_b32_e32 v38, v25
	s_waitcnt lgkmcnt(0)
	v_pk_mul_f32 v[36:37], v[10:11], v[36:37] op_sel_hi:[1,0]
	s_waitcnt vmcnt(4)
	v_pk_fma_f32 v[18:19], v[8:9], v[20:21], v[34:35] op_sel:[0,0,1] op_sel_hi:[1,1,0] neg_lo:[0,0,1] neg_hi:[0,0,1]
	v_pk_fma_f32 v[8:9], v[8:9], v[20:21], v[34:35] op_sel:[0,0,1] op_sel_hi:[1,0,0]
	v_mov_b32_e32 v17, v7
	v_pk_add_f32 v[2:3], v[2:3], v[14:15]
	v_pk_mul_f32 v[38:39], v[12:13], v[38:39] op_sel_hi:[1,0]
	s_waitcnt vmcnt(3)
	v_pk_fma_f32 v[20:21], v[10:11], v[22:23], v[36:37] op_sel:[0,0,1] op_sel_hi:[1,1,0] neg_lo:[0,0,1] neg_hi:[0,0,1]
	v_pk_fma_f32 v[10:11], v[10:11], v[22:23], v[36:37] op_sel:[0,0,1] op_sel_hi:[1,0,0]
	v_mov_b32_e32 v19, v9
	v_pk_add_f32 v[2:3], v[2:3], v[16:17]
	s_waitcnt vmcnt(2)
	v_pk_fma_f32 v[22:23], v[12:13], v[24:25], v[38:39] op_sel:[0,0,1] op_sel_hi:[1,1,0] neg_lo:[0,0,1] neg_hi:[0,0,1]
	v_pk_fma_f32 v[12:13], v[12:13], v[24:25], v[38:39] op_sel:[0,0,1] op_sel_hi:[1,0,0]
	v_mov_b32_e32 v21, v11
	v_pk_add_f32 v[2:3], v[2:3], v[18:19]
	v_mov_b32_e32 v23, v13
	v_pk_add_f32 v[2:3], v[2:3], v[20:21]
	v_pk_add_f32 v[2:3], v[2:3], v[22:23]
	s_waitcnt vmcnt(0)
	v_pk_add_f32 v[2:3], v[26:27], v[2:3] neg_lo:[0,1] neg_hi:[0,1]
	buffer_store_dword v2, off, s[0:3], 0 offset:352
	buffer_store_dword v3, off, s[0:3], 0 offset:356
	s_and_saveexec_b64 s[4:5], vcc
	s_cbranch_execz .LBB50_233
; %bb.232:
	buffer_load_dword v2, off, s[0:3], 0 offset:344
	buffer_load_dword v3, off, s[0:3], 0 offset:348
	v_mov_b32_e32 v1, 0
	buffer_store_dword v1, off, s[0:3], 0 offset:344
	buffer_store_dword v1, off, s[0:3], 0 offset:348
	s_waitcnt vmcnt(2)
	ds_write_b64 v121, v[2:3]
.LBB50_233:
	s_or_b64 exec, exec, s[4:5]
	s_waitcnt lgkmcnt(0)
	; wave barrier
	s_waitcnt lgkmcnt(0)
	buffer_load_dword v15, off, s[0:3], 0 offset:356
	buffer_load_dword v17, off, s[0:3], 0 offset:364
	buffer_load_dword v19, off, s[0:3], 0 offset:372
	buffer_load_dword v21, off, s[0:3], 0 offset:380
	buffer_load_dword v23, off, s[0:3], 0 offset:388
	buffer_load_dword v25, off, s[0:3], 0 offset:396
	buffer_load_dword v27, off, s[0:3], 0 offset:404
	buffer_load_dword v14, off, s[0:3], 0 offset:352
	buffer_load_dword v16, off, s[0:3], 0 offset:360
	buffer_load_dword v18, off, s[0:3], 0 offset:368
	buffer_load_dword v20, off, s[0:3], 0 offset:376
	buffer_load_dword v22, off, s[0:3], 0 offset:384
	buffer_load_dword v24, off, s[0:3], 0 offset:392
	buffer_load_dword v26, off, s[0:3], 0 offset:400
	buffer_load_dword v28, off, s[0:3], 0 offset:344
	buffer_load_dword v29, off, s[0:3], 0 offset:348
	v_mov_b32_e32 v1, 0
	ds_read_b128 v[2:5], v1 offset:768
	ds_read_b128 v[6:9], v1 offset:784
	;; [unrolled: 1-line block ×3, first 2 shown]
	ds_read_b64 v[30:31], v1 offset:816
	v_cmp_lt_u32_e32 vcc, 42, v0
	s_waitcnt vmcnt(15)
	v_mov_b32_e32 v32, v15
	s_waitcnt vmcnt(14)
	v_mov_b32_e32 v34, v17
	s_waitcnt lgkmcnt(3)
	v_pk_mul_f32 v[32:33], v[2:3], v[32:33] op_sel_hi:[1,0]
	s_waitcnt vmcnt(13)
	v_mov_b32_e32 v36, v19
	v_pk_mul_f32 v[34:35], v[4:5], v[34:35] op_sel_hi:[1,0]
	s_waitcnt vmcnt(12)
	v_mov_b32_e32 v38, v21
	s_waitcnt lgkmcnt(2)
	v_pk_mul_f32 v[36:37], v[6:7], v[36:37] op_sel_hi:[1,0]
	s_waitcnt vmcnt(8)
	v_pk_fma_f32 v[46:47], v[2:3], v[14:15], v[32:33] op_sel:[0,0,1] op_sel_hi:[1,1,0] neg_lo:[0,0,1] neg_hi:[0,0,1]
	v_pk_fma_f32 v[2:3], v[2:3], v[14:15], v[32:33] op_sel:[0,0,1] op_sel_hi:[1,0,0]
	s_waitcnt vmcnt(7)
	v_pk_fma_f32 v[14:15], v[4:5], v[16:17], v[34:35] op_sel:[0,0,1] op_sel_hi:[1,1,0] neg_lo:[0,0,1] neg_hi:[0,0,1]
	v_pk_fma_f32 v[4:5], v[4:5], v[16:17], v[34:35] op_sel:[0,0,1] op_sel_hi:[1,0,0]
	v_mov_b32_e32 v47, v3
	v_mov_b32_e32 v40, v23
	v_pk_mul_f32 v[38:39], v[8:9], v[38:39] op_sel_hi:[1,0]
	s_waitcnt vmcnt(6)
	v_pk_fma_f32 v[16:17], v[6:7], v[18:19], v[36:37] op_sel:[0,0,1] op_sel_hi:[1,1,0] neg_lo:[0,0,1] neg_hi:[0,0,1]
	v_pk_fma_f32 v[6:7], v[6:7], v[18:19], v[36:37] op_sel:[0,0,1] op_sel_hi:[1,0,0]
	v_mov_b32_e32 v15, v5
	v_pk_add_f32 v[2:3], v[46:47], 0 op_sel_hi:[1,0]
	v_mov_b32_e32 v42, v25
	s_waitcnt lgkmcnt(1)
	v_pk_mul_f32 v[40:41], v[10:11], v[40:41] op_sel_hi:[1,0]
	s_waitcnt vmcnt(5)
	v_pk_fma_f32 v[18:19], v[8:9], v[20:21], v[38:39] op_sel:[0,0,1] op_sel_hi:[1,1,0] neg_lo:[0,0,1] neg_hi:[0,0,1]
	v_pk_fma_f32 v[8:9], v[8:9], v[20:21], v[38:39] op_sel:[0,0,1] op_sel_hi:[1,0,0]
	v_mov_b32_e32 v17, v7
	v_pk_add_f32 v[2:3], v[2:3], v[14:15]
	v_mov_b32_e32 v44, v27
	v_pk_mul_f32 v[42:43], v[12:13], v[42:43] op_sel_hi:[1,0]
	s_waitcnt vmcnt(4)
	v_pk_fma_f32 v[20:21], v[10:11], v[22:23], v[40:41] op_sel:[0,0,1] op_sel_hi:[1,1,0] neg_lo:[0,0,1] neg_hi:[0,0,1]
	v_pk_fma_f32 v[10:11], v[10:11], v[22:23], v[40:41] op_sel:[0,0,1] op_sel_hi:[1,0,0]
	v_mov_b32_e32 v19, v9
	v_pk_add_f32 v[2:3], v[2:3], v[16:17]
	s_waitcnt lgkmcnt(0)
	v_pk_mul_f32 v[44:45], v[30:31], v[44:45] op_sel_hi:[1,0]
	s_waitcnt vmcnt(3)
	v_pk_fma_f32 v[22:23], v[12:13], v[24:25], v[42:43] op_sel:[0,0,1] op_sel_hi:[1,1,0] neg_lo:[0,0,1] neg_hi:[0,0,1]
	v_pk_fma_f32 v[12:13], v[12:13], v[24:25], v[42:43] op_sel:[0,0,1] op_sel_hi:[1,0,0]
	v_mov_b32_e32 v21, v11
	v_pk_add_f32 v[2:3], v[2:3], v[18:19]
	s_waitcnt vmcnt(2)
	v_pk_fma_f32 v[24:25], v[30:31], v[26:27], v[44:45] op_sel:[0,0,1] op_sel_hi:[1,1,0] neg_lo:[0,0,1] neg_hi:[0,0,1]
	v_pk_fma_f32 v[26:27], v[30:31], v[26:27], v[44:45] op_sel:[0,0,1] op_sel_hi:[1,0,0]
	v_mov_b32_e32 v23, v13
	v_pk_add_f32 v[2:3], v[2:3], v[20:21]
	v_mov_b32_e32 v25, v27
	v_pk_add_f32 v[2:3], v[2:3], v[22:23]
	v_pk_add_f32 v[2:3], v[2:3], v[24:25]
	s_waitcnt vmcnt(0)
	v_pk_add_f32 v[2:3], v[28:29], v[2:3] neg_lo:[0,1] neg_hi:[0,1]
	buffer_store_dword v2, off, s[0:3], 0 offset:344
	buffer_store_dword v3, off, s[0:3], 0 offset:348
	s_and_saveexec_b64 s[4:5], vcc
	s_cbranch_execz .LBB50_235
; %bb.234:
	buffer_load_dword v2, off, s[0:3], 0 offset:336
	buffer_load_dword v3, off, s[0:3], 0 offset:340
	s_waitcnt vmcnt(0)
	ds_write_b64 v121, v[2:3]
	buffer_store_dword v1, off, s[0:3], 0 offset:336
	buffer_store_dword v1, off, s[0:3], 0 offset:340
.LBB50_235:
	s_or_b64 exec, exec, s[4:5]
	s_waitcnt lgkmcnt(0)
	; wave barrier
	s_waitcnt lgkmcnt(0)
	buffer_load_dword v19, off, s[0:3], 0 offset:348
	buffer_load_dword v21, off, s[0:3], 0 offset:356
	;; [unrolled: 1-line block ×18, first 2 shown]
	ds_read2_b64 v[2:5], v1 offset0:95 offset1:96
	ds_read2_b64 v[6:9], v1 offset0:97 offset1:98
	;; [unrolled: 1-line block ×4, first 2 shown]
	v_cmp_lt_u32_e32 vcc, 41, v0
	s_waitcnt vmcnt(17)
	v_mov_b32_e32 v36, v19
	s_waitcnt vmcnt(16)
	v_mov_b32_e32 v38, v21
	s_waitcnt lgkmcnt(3)
	v_pk_mul_f32 v[36:37], v[2:3], v[36:37] op_sel_hi:[1,0]
	s_waitcnt vmcnt(15)
	v_mov_b32_e32 v40, v23
	v_pk_mul_f32 v[38:39], v[4:5], v[38:39] op_sel_hi:[1,0]
	s_waitcnt vmcnt(14)
	v_mov_b32_e32 v42, v25
	s_waitcnt lgkmcnt(2)
	v_pk_mul_f32 v[40:41], v[6:7], v[40:41] op_sel_hi:[1,0]
	s_waitcnt vmcnt(13)
	v_mov_b32_e32 v44, v27
	s_waitcnt vmcnt(9)
	v_pk_fma_f32 v[52:53], v[2:3], v[18:19], v[36:37] op_sel:[0,0,1] op_sel_hi:[1,1,0] neg_lo:[0,0,1] neg_hi:[0,0,1]
	v_pk_fma_f32 v[2:3], v[2:3], v[18:19], v[36:37] op_sel:[0,0,1] op_sel_hi:[1,0,0]
	s_waitcnt vmcnt(8)
	v_pk_fma_f32 v[18:19], v[4:5], v[20:21], v[38:39] op_sel:[0,0,1] op_sel_hi:[1,1,0] neg_lo:[0,0,1] neg_hi:[0,0,1]
	v_pk_fma_f32 v[4:5], v[4:5], v[20:21], v[38:39] op_sel:[0,0,1] op_sel_hi:[1,0,0]
	v_mov_b32_e32 v53, v3
	v_pk_mul_f32 v[42:43], v[8:9], v[42:43] op_sel_hi:[1,0]
	s_waitcnt vmcnt(7)
	v_pk_fma_f32 v[20:21], v[6:7], v[22:23], v[40:41] op_sel:[0,0,1] op_sel_hi:[1,1,0] neg_lo:[0,0,1] neg_hi:[0,0,1]
	v_pk_fma_f32 v[6:7], v[6:7], v[22:23], v[40:41] op_sel:[0,0,1] op_sel_hi:[1,0,0]
	v_mov_b32_e32 v19, v5
	v_pk_add_f32 v[2:3], v[52:53], 0 op_sel_hi:[1,0]
	v_mov_b32_e32 v46, v29
	s_waitcnt lgkmcnt(1)
	v_pk_mul_f32 v[44:45], v[10:11], v[44:45] op_sel_hi:[1,0]
	s_waitcnt vmcnt(6)
	v_pk_fma_f32 v[22:23], v[8:9], v[24:25], v[42:43] op_sel:[0,0,1] op_sel_hi:[1,1,0] neg_lo:[0,0,1] neg_hi:[0,0,1]
	v_pk_fma_f32 v[8:9], v[8:9], v[24:25], v[42:43] op_sel:[0,0,1] op_sel_hi:[1,0,0]
	v_mov_b32_e32 v21, v7
	v_pk_add_f32 v[2:3], v[2:3], v[18:19]
	v_mov_b32_e32 v48, v31
	v_pk_mul_f32 v[46:47], v[12:13], v[46:47] op_sel_hi:[1,0]
	s_waitcnt vmcnt(5)
	v_pk_fma_f32 v[24:25], v[10:11], v[26:27], v[44:45] op_sel:[0,0,1] op_sel_hi:[1,1,0] neg_lo:[0,0,1] neg_hi:[0,0,1]
	v_pk_fma_f32 v[10:11], v[10:11], v[26:27], v[44:45] op_sel:[0,0,1] op_sel_hi:[1,0,0]
	v_mov_b32_e32 v23, v9
	v_pk_add_f32 v[2:3], v[2:3], v[20:21]
	v_mov_b32_e32 v50, v33
	s_waitcnt lgkmcnt(0)
	v_pk_mul_f32 v[48:49], v[14:15], v[48:49] op_sel_hi:[1,0]
	s_waitcnt vmcnt(4)
	v_pk_fma_f32 v[26:27], v[12:13], v[28:29], v[46:47] op_sel:[0,0,1] op_sel_hi:[1,1,0] neg_lo:[0,0,1] neg_hi:[0,0,1]
	v_pk_fma_f32 v[12:13], v[12:13], v[28:29], v[46:47] op_sel:[0,0,1] op_sel_hi:[1,0,0]
	v_mov_b32_e32 v25, v11
	v_pk_add_f32 v[2:3], v[2:3], v[22:23]
	v_pk_mul_f32 v[50:51], v[16:17], v[50:51] op_sel_hi:[1,0]
	s_waitcnt vmcnt(3)
	v_pk_fma_f32 v[28:29], v[14:15], v[30:31], v[48:49] op_sel:[0,0,1] op_sel_hi:[1,1,0] neg_lo:[0,0,1] neg_hi:[0,0,1]
	v_pk_fma_f32 v[14:15], v[14:15], v[30:31], v[48:49] op_sel:[0,0,1] op_sel_hi:[1,0,0]
	v_mov_b32_e32 v27, v13
	v_pk_add_f32 v[2:3], v[2:3], v[24:25]
	s_waitcnt vmcnt(2)
	v_pk_fma_f32 v[30:31], v[16:17], v[32:33], v[50:51] op_sel:[0,0,1] op_sel_hi:[1,1,0] neg_lo:[0,0,1] neg_hi:[0,0,1]
	v_pk_fma_f32 v[16:17], v[16:17], v[32:33], v[50:51] op_sel:[0,0,1] op_sel_hi:[1,0,0]
	v_mov_b32_e32 v29, v15
	v_pk_add_f32 v[2:3], v[2:3], v[26:27]
	v_mov_b32_e32 v31, v17
	v_pk_add_f32 v[2:3], v[2:3], v[28:29]
	v_pk_add_f32 v[2:3], v[2:3], v[30:31]
	s_waitcnt vmcnt(0)
	v_pk_add_f32 v[2:3], v[34:35], v[2:3] neg_lo:[0,1] neg_hi:[0,1]
	buffer_store_dword v2, off, s[0:3], 0 offset:336
	buffer_store_dword v3, off, s[0:3], 0 offset:340
	s_and_saveexec_b64 s[4:5], vcc
	s_cbranch_execz .LBB50_237
; %bb.236:
	buffer_load_dword v2, off, s[0:3], 0 offset:328
	buffer_load_dword v3, off, s[0:3], 0 offset:332
	v_mov_b32_e32 v1, 0
	buffer_store_dword v1, off, s[0:3], 0 offset:328
	buffer_store_dword v1, off, s[0:3], 0 offset:332
	s_waitcnt vmcnt(2)
	ds_write_b64 v121, v[2:3]
.LBB50_237:
	s_or_b64 exec, exec, s[4:5]
	s_waitcnt lgkmcnt(0)
	; wave barrier
	s_waitcnt lgkmcnt(0)
	buffer_load_dword v38, off, s[0:3], 0 offset:340
	buffer_load_dword v19, off, s[0:3], 0 offset:348
	;; [unrolled: 1-line block ×20, first 2 shown]
	v_mov_b32_e32 v1, 0
	ds_read_b128 v[2:5], v1 offset:752
	ds_read_b128 v[6:9], v1 offset:768
	;; [unrolled: 1-line block ×4, first 2 shown]
	ds_read_b64 v[36:37], v1 offset:816
	v_cmp_lt_u32_e32 vcc, 40, v0
	s_waitcnt vmcnt(19) lgkmcnt(4)
	v_mul_f32_e32 v39, v2, v38
	v_mul_f32_e32 v38, v3, v38
	s_waitcnt vmcnt(18)
	v_mov_b32_e32 v40, v19
	s_waitcnt vmcnt(17)
	v_mov_b32_e32 v42, v21
	s_waitcnt vmcnt(16)
	v_mov_b32_e32 v44, v23
	s_waitcnt vmcnt(15)
	v_mov_b32_e32 v46, v25
	s_waitcnt vmcnt(14)
	v_mov_b32_e32 v48, v27
	s_waitcnt vmcnt(13)
	v_mov_b32_e32 v50, v29
	s_waitcnt vmcnt(12)
	v_mov_b32_e32 v52, v31
	s_waitcnt vmcnt(11)
	v_mov_b32_e32 v54, v33
	s_waitcnt vmcnt(10)
	v_fmac_f32_e32 v39, v3, v41
	v_fma_f32 v38, v2, v41, -v38
	v_pk_mul_f32 v[2:3], v[4:5], v[40:41] op_sel_hi:[1,0]
	s_waitcnt lgkmcnt(3)
	v_pk_mul_f32 v[40:41], v[6:7], v[42:43] op_sel_hi:[1,0]
	v_pk_mul_f32 v[42:43], v[8:9], v[44:45] op_sel_hi:[1,0]
	s_waitcnt lgkmcnt(2)
	v_pk_mul_f32 v[44:45], v[10:11], v[46:47] op_sel_hi:[1,0]
	;; [unrolled: 3-line block ×4, first 2 shown]
	s_waitcnt vmcnt(9)
	v_pk_fma_f32 v[54:55], v[4:5], v[18:19], v[2:3] op_sel:[0,0,1] op_sel_hi:[1,1,0] neg_lo:[0,0,1] neg_hi:[0,0,1]
	v_pk_fma_f32 v[2:3], v[4:5], v[18:19], v[2:3] op_sel:[0,0,1] op_sel_hi:[1,0,0]
	v_pk_add_f32 v[38:39], v[38:39], 0 op_sel_hi:[1,0]
	s_waitcnt vmcnt(8)
	v_pk_fma_f32 v[4:5], v[6:7], v[20:21], v[40:41] op_sel:[0,0,1] op_sel_hi:[1,1,0] neg_lo:[0,0,1] neg_hi:[0,0,1]
	v_pk_fma_f32 v[6:7], v[6:7], v[20:21], v[40:41] op_sel:[0,0,1] op_sel_hi:[1,0,0]
	v_mov_b32_e32 v55, v3
	s_waitcnt vmcnt(7)
	v_pk_fma_f32 v[18:19], v[8:9], v[22:23], v[42:43] op_sel:[0,0,1] op_sel_hi:[1,1,0] neg_lo:[0,0,1] neg_hi:[0,0,1]
	v_pk_fma_f32 v[8:9], v[8:9], v[22:23], v[42:43] op_sel:[0,0,1] op_sel_hi:[1,0,0]
	v_mov_b32_e32 v5, v7
	v_pk_add_f32 v[2:3], v[38:39], v[54:55]
	s_waitcnt vmcnt(6)
	v_pk_fma_f32 v[20:21], v[10:11], v[24:25], v[44:45] op_sel:[0,0,1] op_sel_hi:[1,1,0] neg_lo:[0,0,1] neg_hi:[0,0,1]
	v_pk_fma_f32 v[10:11], v[10:11], v[24:25], v[44:45] op_sel:[0,0,1] op_sel_hi:[1,0,0]
	v_mov_b32_e32 v19, v9
	v_pk_add_f32 v[2:3], v[2:3], v[4:5]
	;; [unrolled: 5-line block ×5, first 2 shown]
	v_pk_fma_f32 v[28:29], v[36:37], v[32:33], v[52:53] op_sel:[0,0,1] op_sel_hi:[1,1,0] neg_lo:[0,0,1] neg_hi:[0,0,1]
	v_pk_fma_f32 v[30:31], v[36:37], v[32:33], v[52:53] op_sel:[0,0,1] op_sel_hi:[1,0,0]
	v_mov_b32_e32 v27, v17
	v_pk_add_f32 v[2:3], v[2:3], v[24:25]
	v_mov_b32_e32 v29, v31
	v_pk_add_f32 v[2:3], v[2:3], v[26:27]
	v_pk_add_f32 v[2:3], v[2:3], v[28:29]
	s_waitcnt vmcnt(0)
	v_pk_add_f32 v[2:3], v[34:35], v[2:3] neg_lo:[0,1] neg_hi:[0,1]
	buffer_store_dword v2, off, s[0:3], 0 offset:328
	buffer_store_dword v3, off, s[0:3], 0 offset:332
	s_and_saveexec_b64 s[4:5], vcc
	s_cbranch_execz .LBB50_239
; %bb.238:
	buffer_load_dword v2, off, s[0:3], 0 offset:320
	buffer_load_dword v3, off, s[0:3], 0 offset:324
	s_waitcnt vmcnt(0)
	ds_write_b64 v121, v[2:3]
	buffer_store_dword v1, off, s[0:3], 0 offset:320
	buffer_store_dword v1, off, s[0:3], 0 offset:324
.LBB50_239:
	s_or_b64 exec, exec, s[4:5]
	s_waitcnt lgkmcnt(0)
	; wave barrier
	s_waitcnt lgkmcnt(0)
	buffer_load_dword v40, off, s[0:3], 0 offset:332
	buffer_load_dword v42, off, s[0:3], 0 offset:340
	;; [unrolled: 1-line block ×22, first 2 shown]
	ds_read2_b64 v[2:5], v1 offset0:93 offset1:94
	ds_read2_b64 v[6:9], v1 offset0:95 offset1:96
	;; [unrolled: 1-line block ×5, first 2 shown]
	v_cmp_lt_u32_e32 vcc, 39, v0
	s_waitcnt vmcnt(21) lgkmcnt(4)
	v_mul_f32_e32 v41, v2, v40
	v_mul_f32_e32 v1, v3, v40
	s_waitcnt vmcnt(19)
	v_mov_b32_e32 v44, v23
	v_mul_f32_e32 v43, v4, v42
	v_mul_f32_e32 v42, v5, v42
	s_waitcnt vmcnt(18)
	v_mov_b32_e32 v46, v25
	s_waitcnt vmcnt(17)
	v_mov_b32_e32 v48, v27
	s_waitcnt vmcnt(16)
	v_mov_b32_e32 v50, v29
	s_waitcnt vmcnt(15)
	v_mov_b32_e32 v52, v31
	s_waitcnt vmcnt(14)
	v_mov_b32_e32 v54, v33
	s_waitcnt vmcnt(13)
	v_mov_b32_e32 v56, v35
	s_waitcnt vmcnt(11)
	v_fmac_f32_e32 v41, v3, v45
	v_fma_f32 v40, v2, v45, -v1
	s_waitcnt lgkmcnt(3)
	v_pk_mul_f32 v[2:3], v[6:7], v[44:45] op_sel_hi:[1,0]
	s_waitcnt vmcnt(10)
	v_fmac_f32_e32 v43, v5, v47
	v_fma_f32 v42, v4, v47, -v42
	v_pk_mul_f32 v[4:5], v[8:9], v[46:47] op_sel_hi:[1,0]
	s_waitcnt lgkmcnt(2)
	v_pk_mul_f32 v[44:45], v[10:11], v[48:49] op_sel_hi:[1,0]
	v_pk_mul_f32 v[46:47], v[12:13], v[50:51] op_sel_hi:[1,0]
	s_waitcnt lgkmcnt(1)
	v_pk_mul_f32 v[48:49], v[14:15], v[52:53] op_sel_hi:[1,0]
	;; [unrolled: 3-line block ×3, first 2 shown]
	v_pk_add_f32 v[40:41], v[40:41], 0 op_sel_hi:[1,0]
	s_waitcnt vmcnt(9)
	v_pk_fma_f32 v[56:57], v[6:7], v[22:23], v[2:3] op_sel:[0,0,1] op_sel_hi:[1,1,0] neg_lo:[0,0,1] neg_hi:[0,0,1]
	v_pk_fma_f32 v[2:3], v[6:7], v[22:23], v[2:3] op_sel:[0,0,1] op_sel_hi:[1,0,0]
	s_waitcnt vmcnt(8)
	v_pk_fma_f32 v[6:7], v[8:9], v[24:25], v[4:5] op_sel:[0,0,1] op_sel_hi:[1,1,0] neg_lo:[0,0,1] neg_hi:[0,0,1]
	v_pk_fma_f32 v[4:5], v[8:9], v[24:25], v[4:5] op_sel:[0,0,1] op_sel_hi:[1,0,0]
	s_waitcnt vmcnt(7)
	v_pk_fma_f32 v[8:9], v[10:11], v[26:27], v[44:45] op_sel:[0,0,1] op_sel_hi:[1,1,0] neg_lo:[0,0,1] neg_hi:[0,0,1]
	v_pk_fma_f32 v[10:11], v[10:11], v[26:27], v[44:45] op_sel:[0,0,1] op_sel_hi:[1,0,0]
	s_waitcnt vmcnt(2)
	v_pk_fma_f32 v[26:27], v[16:17], v[32:33], v[50:51] op_sel:[0,0,1] op_sel_hi:[1,1,0] neg_lo:[0,0,1] neg_hi:[0,0,1]
	v_pk_fma_f32 v[16:17], v[16:17], v[32:33], v[50:51] op_sel:[0,0,1] op_sel_hi:[1,0,0]
	v_pk_add_f32 v[32:33], v[40:41], v[42:43]
	v_mov_b32_e32 v57, v3
	v_mov_b32_e32 v7, v5
	v_pk_add_f32 v[2:3], v[32:33], v[56:57]
	v_pk_fma_f32 v[22:23], v[12:13], v[28:29], v[46:47] op_sel:[0,0,1] op_sel_hi:[1,1,0] neg_lo:[0,0,1] neg_hi:[0,0,1]
	v_pk_fma_f32 v[12:13], v[12:13], v[28:29], v[46:47] op_sel:[0,0,1] op_sel_hi:[1,0,0]
	v_mov_b32_e32 v9, v11
	v_pk_add_f32 v[2:3], v[2:3], v[6:7]
	v_pk_fma_f32 v[24:25], v[14:15], v[30:31], v[48:49] op_sel:[0,0,1] op_sel_hi:[1,1,0] neg_lo:[0,0,1] neg_hi:[0,0,1]
	v_pk_fma_f32 v[14:15], v[14:15], v[30:31], v[48:49] op_sel:[0,0,1] op_sel_hi:[1,0,0]
	v_mov_b32_e32 v23, v13
	v_pk_add_f32 v[2:3], v[2:3], v[8:9]
	v_mov_b32_e32 v58, v37
	v_mov_b32_e32 v25, v15
	v_pk_add_f32 v[2:3], v[2:3], v[22:23]
	v_pk_mul_f32 v[54:55], v[20:21], v[58:59] op_sel_hi:[1,0]
	v_pk_fma_f32 v[28:29], v[18:19], v[34:35], v[52:53] op_sel:[0,0,1] op_sel_hi:[1,1,0] neg_lo:[0,0,1] neg_hi:[0,0,1]
	v_pk_fma_f32 v[18:19], v[18:19], v[34:35], v[52:53] op_sel:[0,0,1] op_sel_hi:[1,0,0]
	v_mov_b32_e32 v27, v17
	v_pk_add_f32 v[2:3], v[2:3], v[24:25]
	v_pk_fma_f32 v[30:31], v[20:21], v[36:37], v[54:55] op_sel:[0,0,1] op_sel_hi:[1,1,0] neg_lo:[0,0,1] neg_hi:[0,0,1]
	v_pk_fma_f32 v[20:21], v[20:21], v[36:37], v[54:55] op_sel:[0,0,1] op_sel_hi:[1,0,0]
	v_mov_b32_e32 v29, v19
	v_pk_add_f32 v[2:3], v[2:3], v[26:27]
	v_mov_b32_e32 v31, v21
	v_pk_add_f32 v[2:3], v[2:3], v[28:29]
	v_pk_add_f32 v[2:3], v[2:3], v[30:31]
	s_waitcnt vmcnt(0)
	v_pk_add_f32 v[2:3], v[38:39], v[2:3] neg_lo:[0,1] neg_hi:[0,1]
	buffer_store_dword v2, off, s[0:3], 0 offset:320
	buffer_store_dword v3, off, s[0:3], 0 offset:324
	s_and_saveexec_b64 s[4:5], vcc
	s_cbranch_execz .LBB50_241
; %bb.240:
	buffer_load_dword v2, off, s[0:3], 0 offset:312
	buffer_load_dword v3, off, s[0:3], 0 offset:316
	v_mov_b32_e32 v1, 0
	buffer_store_dword v1, off, s[0:3], 0 offset:312
	buffer_store_dword v1, off, s[0:3], 0 offset:316
	s_waitcnt vmcnt(2)
	ds_write_b64 v121, v[2:3]
.LBB50_241:
	s_or_b64 exec, exec, s[4:5]
	s_waitcnt lgkmcnt(0)
	; wave barrier
	s_waitcnt lgkmcnt(0)
	buffer_load_dword v42, off, s[0:3], 0 offset:324
	buffer_load_dword v44, off, s[0:3], 0 offset:332
	;; [unrolled: 1-line block ×24, first 2 shown]
	v_mov_b32_e32 v1, 0
	ds_read_b128 v[2:5], v1 offset:736
	ds_read_b128 v[6:9], v1 offset:752
	;; [unrolled: 1-line block ×5, first 2 shown]
	ds_read_b64 v[40:41], v1 offset:816
	v_cmp_lt_u32_e32 vcc, 38, v0
	s_waitcnt vmcnt(23) lgkmcnt(5)
	v_mul_f32_e32 v55, v2, v42
	v_mul_f32_e32 v42, v3, v42
	s_waitcnt vmcnt(22)
	v_mul_f32_e32 v43, v4, v44
	s_waitcnt vmcnt(21) lgkmcnt(4)
	v_mul_f32_e32 v45, v6, v46
	v_mul_f32_e32 v44, v5, v44
	;; [unrolled: 1-line block ×3, first 2 shown]
	s_waitcnt vmcnt(20)
	v_mov_b32_e32 v46, v23
	s_waitcnt vmcnt(19)
	v_mov_b32_e32 v48, v25
	;; [unrolled: 2-line block ×5, first 2 shown]
	s_waitcnt vmcnt(12)
	v_fmac_f32_e32 v55, v3, v47
	v_fma_f32 v57, v2, v47, -v42
	v_mov_b32_e32 v56, v33
	s_waitcnt vmcnt(11)
	v_fmac_f32_e32 v43, v5, v49
	s_waitcnt vmcnt(10)
	v_fmac_f32_e32 v45, v7, v51
	v_fma_f32 v42, v4, v49, -v44
	v_fma_f32 v44, v6, v51, -v53
	v_pk_mul_f32 v[2:3], v[8:9], v[46:47] op_sel_hi:[1,0]
	s_waitcnt lgkmcnt(3)
	v_pk_mul_f32 v[4:5], v[10:11], v[48:49] op_sel_hi:[1,0]
	v_pk_mul_f32 v[6:7], v[12:13], v[50:51] op_sel_hi:[1,0]
	s_waitcnt lgkmcnt(2)
	v_pk_mul_f32 v[46:47], v[14:15], v[52:53] op_sel_hi:[1,0]
	v_pk_mul_f32 v[48:49], v[16:17], v[54:55] op_sel_hi:[1,0]
	v_add_f32_e32 v55, 0, v55
	v_add_f32_e32 v54, 0, v57
	s_waitcnt lgkmcnt(1)
	v_pk_mul_f32 v[50:51], v[18:19], v[56:57] op_sel_hi:[1,0]
	s_waitcnt vmcnt(9)
	v_pk_fma_f32 v[56:57], v[8:9], v[22:23], v[2:3] op_sel:[0,0,1] op_sel_hi:[1,1,0] neg_lo:[0,0,1] neg_hi:[0,0,1]
	v_pk_fma_f32 v[2:3], v[8:9], v[22:23], v[2:3] op_sel:[0,0,1] op_sel_hi:[1,0,0]
	s_waitcnt vmcnt(8)
	v_pk_fma_f32 v[8:9], v[10:11], v[24:25], v[4:5] op_sel:[0,0,1] op_sel_hi:[1,1,0] neg_lo:[0,0,1] neg_hi:[0,0,1]
	v_pk_fma_f32 v[4:5], v[10:11], v[24:25], v[4:5] op_sel:[0,0,1] op_sel_hi:[1,0,0]
	;; [unrolled: 3-line block ×4, first 2 shown]
	v_pk_add_f32 v[28:29], v[54:55], v[42:43]
	v_mov_b32_e32 v57, v3
	v_pk_add_f32 v[2:3], v[28:29], v[44:45]
	v_mov_b32_e32 v9, v5
	;; [unrolled: 2-line block ×4, first 2 shown]
	s_waitcnt vmcnt(2)
	v_pk_fma_f32 v[22:23], v[16:17], v[30:31], v[48:49] op_sel:[0,0,1] op_sel_hi:[1,1,0] neg_lo:[0,0,1] neg_hi:[0,0,1]
	v_pk_fma_f32 v[16:17], v[16:17], v[30:31], v[48:49] op_sel:[0,0,1] op_sel_hi:[1,0,0]
	v_mov_b32_e32 v13, v15
	v_pk_add_f32 v[2:3], v[2:3], v[10:11]
	v_mov_b32_e32 v60, v37
	v_pk_mul_f32 v[52:53], v[20:21], v[58:59] op_sel_hi:[1,0]
	v_pk_fma_f32 v[24:25], v[18:19], v[32:33], v[50:51] op_sel:[0,0,1] op_sel_hi:[1,1,0] neg_lo:[0,0,1] neg_hi:[0,0,1]
	v_pk_fma_f32 v[18:19], v[18:19], v[32:33], v[50:51] op_sel:[0,0,1] op_sel_hi:[1,0,0]
	v_mov_b32_e32 v23, v17
	v_pk_add_f32 v[2:3], v[2:3], v[12:13]
	v_pk_fma_f32 v[26:27], v[20:21], v[34:35], v[52:53] op_sel:[0,0,1] op_sel_hi:[1,1,0] neg_lo:[0,0,1] neg_hi:[0,0,1]
	v_pk_fma_f32 v[20:21], v[20:21], v[34:35], v[52:53] op_sel:[0,0,1] op_sel_hi:[1,0,0]
	v_mov_b32_e32 v25, v19
	v_pk_add_f32 v[2:3], v[2:3], v[22:23]
	s_waitcnt lgkmcnt(0)
	v_pk_mul_f32 v[4:5], v[40:41], v[60:61] op_sel_hi:[1,0]
	v_mov_b32_e32 v27, v21
	v_pk_add_f32 v[2:3], v[2:3], v[24:25]
	v_pk_fma_f32 v[6:7], v[40:41], v[36:37], v[4:5] op_sel:[0,0,1] op_sel_hi:[1,1,0] neg_lo:[0,0,1] neg_hi:[0,0,1]
	v_pk_fma_f32 v[4:5], v[40:41], v[36:37], v[4:5] op_sel:[0,0,1] op_sel_hi:[1,0,0]
	v_pk_add_f32 v[2:3], v[2:3], v[26:27]
	v_mov_b32_e32 v7, v5
	v_pk_add_f32 v[2:3], v[2:3], v[6:7]
	s_waitcnt vmcnt(0)
	v_pk_add_f32 v[2:3], v[38:39], v[2:3] neg_lo:[0,1] neg_hi:[0,1]
	buffer_store_dword v3, off, s[0:3], 0 offset:316
	buffer_store_dword v2, off, s[0:3], 0 offset:312
	s_and_saveexec_b64 s[4:5], vcc
	s_cbranch_execz .LBB50_243
; %bb.242:
	buffer_load_dword v2, off, s[0:3], 0 offset:304
	buffer_load_dword v3, off, s[0:3], 0 offset:308
	s_waitcnt vmcnt(0)
	ds_write_b64 v121, v[2:3]
	buffer_store_dword v1, off, s[0:3], 0 offset:304
	buffer_store_dword v1, off, s[0:3], 0 offset:308
.LBB50_243:
	s_or_b64 exec, exec, s[4:5]
	s_waitcnt lgkmcnt(0)
	; wave barrier
	s_waitcnt lgkmcnt(0)
	buffer_load_dword v44, off, s[0:3], 0 offset:316
	buffer_load_dword v46, off, s[0:3], 0 offset:324
	;; [unrolled: 1-line block ×26, first 2 shown]
	ds_read2_b64 v[2:5], v1 offset0:91 offset1:92
	ds_read2_b64 v[6:9], v1 offset0:93 offset1:94
	;; [unrolled: 1-line block ×6, first 2 shown]
	v_cmp_lt_u32_e32 vcc, 37, v0
	s_waitcnt vmcnt(25) lgkmcnt(5)
	v_mul_f32_e32 v1, v2, v44
	v_mul_f32_e32 v44, v3, v44
	s_waitcnt vmcnt(24)
	v_mul_f32_e32 v59, v4, v46
	s_waitcnt vmcnt(23) lgkmcnt(4)
	v_mul_f32_e32 v45, v6, v48
	s_waitcnt vmcnt(22)
	v_mul_f32_e32 v47, v8, v49
	v_mul_f32_e32 v46, v5, v46
	;; [unrolled: 1-line block ×4, first 2 shown]
	s_waitcnt vmcnt(21)
	v_mov_b32_e32 v48, v27
	s_waitcnt vmcnt(20)
	v_mov_b32_e32 v50, v29
	;; [unrolled: 2-line block ×3, first 2 shown]
	s_waitcnt vmcnt(15)
	v_fmac_f32_e32 v1, v3, v51
	v_fma_f32 v61, v2, v51, -v44
	v_mov_b32_e32 v52, v31
	s_waitcnt vmcnt(14)
	v_fmac_f32_e32 v59, v5, v53
	s_waitcnt vmcnt(12)
	v_fmac_f32_e32 v47, v9, v57
	v_fma_f32 v62, v4, v53, -v46
	v_fma_f32 v46, v8, v57, -v49
	s_waitcnt lgkmcnt(3)
	v_pk_mul_f32 v[2:3], v[10:11], v[48:49] op_sel_hi:[1,0]
	v_pk_mul_f32 v[4:5], v[12:13], v[50:51] op_sel_hi:[1,0]
	s_waitcnt lgkmcnt(2)
	v_pk_mul_f32 v[8:9], v[16:17], v[54:55] op_sel_hi:[1,0]
	v_add_f32_e32 v1, 0, v1
	v_add_f32_e32 v54, 0, v61
	v_fmac_f32_e32 v45, v7, v55
	v_fma_f32 v44, v6, v55, -v60
	v_pk_mul_f32 v[6:7], v[14:15], v[52:53] op_sel_hi:[1,0]
	s_waitcnt vmcnt(11)
	v_pk_fma_f32 v[52:53], v[10:11], v[26:27], v[2:3] op_sel:[0,0,1] op_sel_hi:[1,1,0] neg_lo:[0,0,1] neg_hi:[0,0,1]
	v_pk_fma_f32 v[2:3], v[10:11], v[26:27], v[2:3] op_sel:[0,0,1] op_sel_hi:[1,0,0]
	s_waitcnt vmcnt(10)
	v_pk_fma_f32 v[10:11], v[12:13], v[28:29], v[4:5] op_sel:[0,0,1] op_sel_hi:[1,1,0] neg_lo:[0,0,1] neg_hi:[0,0,1]
	v_pk_fma_f32 v[4:5], v[12:13], v[28:29], v[4:5] op_sel:[0,0,1] op_sel_hi:[1,0,0]
	v_add_f32_e32 v29, v1, v59
	v_add_f32_e32 v28, v54, v62
	v_mov_b32_e32 v53, v3
	v_pk_add_f32 v[2:3], v[28:29], v[44:45]
	v_pk_add_f32 v[2:3], v[2:3], v[46:47]
	v_mov_b32_e32 v56, v35
	s_waitcnt vmcnt(9)
	v_pk_fma_f32 v[12:13], v[14:15], v[30:31], v[6:7] op_sel:[0,0,1] op_sel_hi:[1,1,0] neg_lo:[0,0,1] neg_hi:[0,0,1]
	v_pk_fma_f32 v[6:7], v[14:15], v[30:31], v[6:7] op_sel:[0,0,1] op_sel_hi:[1,0,0]
	v_mov_b32_e32 v11, v5
	v_pk_add_f32 v[2:3], v[2:3], v[52:53]
	v_mov_b32_e32 v58, v37
	s_waitcnt lgkmcnt(1)
	v_pk_mul_f32 v[48:49], v[18:19], v[56:57] op_sel_hi:[1,0]
	s_waitcnt vmcnt(5)
	v_pk_fma_f32 v[14:15], v[16:17], v[32:33], v[8:9] op_sel:[0,0,1] op_sel_hi:[1,1,0] neg_lo:[0,0,1] neg_hi:[0,0,1]
	v_pk_fma_f32 v[8:9], v[16:17], v[32:33], v[8:9] op_sel:[0,0,1] op_sel_hi:[1,0,0]
	v_mov_b32_e32 v13, v7
	v_pk_add_f32 v[2:3], v[2:3], v[10:11]
	s_waitcnt vmcnt(4)
	v_mov_b32_e32 v4, v39
	v_pk_mul_f32 v[50:51], v[20:21], v[58:59] op_sel_hi:[1,0]
	v_pk_fma_f32 v[16:17], v[18:19], v[34:35], v[48:49] op_sel:[0,0,1] op_sel_hi:[1,1,0] neg_lo:[0,0,1] neg_hi:[0,0,1]
	v_pk_fma_f32 v[18:19], v[18:19], v[34:35], v[48:49] op_sel:[0,0,1] op_sel_hi:[1,0,0]
	v_mov_b32_e32 v15, v9
	v_pk_add_f32 v[2:3], v[2:3], v[12:13]
	s_waitcnt lgkmcnt(0)
	v_pk_mul_f32 v[4:5], v[22:23], v[4:5] op_sel_hi:[1,0]
	v_pk_fma_f32 v[26:27], v[20:21], v[36:37], v[50:51] op_sel:[0,0,1] op_sel_hi:[1,1,0] neg_lo:[0,0,1] neg_hi:[0,0,1]
	v_pk_fma_f32 v[20:21], v[20:21], v[36:37], v[50:51] op_sel:[0,0,1] op_sel_hi:[1,0,0]
	v_mov_b32_e32 v17, v19
	v_pk_add_f32 v[2:3], v[2:3], v[14:15]
	v_pk_fma_f32 v[6:7], v[22:23], v[38:39], v[4:5] op_sel:[0,0,1] op_sel_hi:[1,1,0] neg_lo:[0,0,1] neg_hi:[0,0,1]
	v_pk_fma_f32 v[4:5], v[22:23], v[38:39], v[4:5] op_sel:[0,0,1] op_sel_hi:[1,0,0]
	v_mov_b32_e32 v27, v21
	v_pk_add_f32 v[2:3], v[2:3], v[16:17]
	s_waitcnt vmcnt(3)
	v_mov_b32_e32 v4, v41
	v_pk_add_f32 v[2:3], v[2:3], v[26:27]
	v_mov_b32_e32 v7, v5
	v_pk_mul_f32 v[4:5], v[24:25], v[4:5] op_sel_hi:[1,0]
	v_pk_add_f32 v[2:3], v[2:3], v[6:7]
	s_waitcnt vmcnt(2)
	v_pk_fma_f32 v[6:7], v[24:25], v[40:41], v[4:5] op_sel:[0,0,1] op_sel_hi:[1,1,0] neg_lo:[0,0,1] neg_hi:[0,0,1]
	v_pk_fma_f32 v[4:5], v[24:25], v[40:41], v[4:5] op_sel:[0,0,1] op_sel_hi:[1,0,0]
	v_mov_b32_e32 v7, v5
	v_pk_add_f32 v[2:3], v[2:3], v[6:7]
	s_waitcnt vmcnt(0)
	v_pk_add_f32 v[2:3], v[42:43], v[2:3] neg_lo:[0,1] neg_hi:[0,1]
	buffer_store_dword v3, off, s[0:3], 0 offset:308
	buffer_store_dword v2, off, s[0:3], 0 offset:304
	s_and_saveexec_b64 s[4:5], vcc
	s_cbranch_execz .LBB50_245
; %bb.244:
	buffer_load_dword v2, off, s[0:3], 0 offset:296
	buffer_load_dword v3, off, s[0:3], 0 offset:300
	v_mov_b32_e32 v1, 0
	buffer_store_dword v1, off, s[0:3], 0 offset:296
	buffer_store_dword v1, off, s[0:3], 0 offset:300
	s_waitcnt vmcnt(2)
	ds_write_b64 v121, v[2:3]
.LBB50_245:
	s_or_b64 exec, exec, s[4:5]
	v_mov_b32_e32 v1, 0
	s_waitcnt lgkmcnt(0)
	; wave barrier
	s_waitcnt lgkmcnt(0)
	ds_read_b128 v[4:7], v1 offset:720
	ds_read_b128 v[8:11], v1 offset:736
	;; [unrolled: 1-line block ×4, first 2 shown]
	buffer_load_dword v2, off, s[0:3], 0 offset:296
	buffer_load_dword v3, off, s[0:3], 0 offset:300
	;; [unrolled: 1-line block ×28, first 2 shown]
	v_cmp_lt_u32_e32 vcc, 36, v0
	s_waitcnt vmcnt(24) lgkmcnt(3)
	v_mul_f32_e32 v25, v4, v26
	v_fmac_f32_e32 v25, v5, v24
	v_mul_f32_e32 v5, v5, v26
	s_waitcnt vmcnt(22)
	v_mul_f32_e32 v27, v6, v42
	v_fma_f32 v4, v4, v24, -v5
	v_mul_f32_e32 v5, v7, v42
	v_add_f32_e32 v25, 0, v25
	v_fmac_f32_e32 v27, v7, v28
	v_add_f32_e32 v4, 0, v4
	v_fma_f32 v5, v6, v28, -v5
	v_add_f32_e32 v25, v25, v27
	s_waitcnt vmcnt(20) lgkmcnt(2)
	v_mul_f32_e32 v27, v8, v44
	v_add_f32_e32 v4, v4, v5
	v_mul_f32_e32 v5, v9, v44
	v_fmac_f32_e32 v27, v9, v43
	v_fma_f32 v5, v8, v43, -v5
	v_add_f32_e32 v25, v25, v27
	s_waitcnt vmcnt(18)
	v_mul_f32_e32 v27, v10, v46
	v_add_f32_e32 v24, v4, v5
	v_mul_f32_e32 v4, v11, v46
	v_fmac_f32_e32 v27, v11, v45
	v_fma_f32 v26, v10, v45, -v4
	s_waitcnt vmcnt(16) lgkmcnt(1)
	v_mul_f32_e32 v29, v12, v48
	v_mul_f32_e32 v4, v13, v48
	v_pk_add_f32 v[24:25], v[24:25], v[26:27]
	s_waitcnt vmcnt(14)
	v_mov_b32_e32 v26, v21
	v_fmac_f32_e32 v29, v13, v47
	v_fma_f32 v28, v12, v47, -v4
	v_pk_mul_f32 v[26:27], v[14:15], v[26:27] op_sel_hi:[1,0]
	v_pk_add_f32 v[24:25], v[24:25], v[28:29]
	v_pk_fma_f32 v[28:29], v[14:15], v[20:21], v[26:27] op_sel:[0,0,1] op_sel_hi:[1,1,0] neg_lo:[0,0,1] neg_hi:[0,0,1]
	v_pk_fma_f32 v[14:15], v[14:15], v[20:21], v[26:27] op_sel:[0,0,1] op_sel_hi:[1,0,0]
	s_waitcnt vmcnt(12)
	v_mov_b32_e32 v20, v23
	v_mov_b32_e32 v29, v15
	s_waitcnt lgkmcnt(0)
	v_pk_mul_f32 v[20:21], v[16:17], v[20:21] op_sel_hi:[1,0]
	v_pk_add_f32 v[14:15], v[24:25], v[28:29]
	v_pk_fma_f32 v[24:25], v[16:17], v[22:23], v[20:21] op_sel:[0,0,1] op_sel_hi:[1,1,0] neg_lo:[0,0,1] neg_hi:[0,0,1]
	v_pk_fma_f32 v[16:17], v[16:17], v[22:23], v[20:21] op_sel:[0,0,1] op_sel_hi:[1,0,0]
	s_waitcnt vmcnt(11)
	v_mov_b32_e32 v16, v31
	ds_read_b128 v[4:7], v1 offset:784
	ds_read_b128 v[8:11], v1 offset:800
	ds_read_b64 v[12:13], v1 offset:816
	v_mov_b32_e32 v25, v17
	v_pk_mul_f32 v[16:17], v[18:19], v[16:17] op_sel_hi:[1,0]
	s_waitcnt vmcnt(10)
	v_pk_fma_f32 v[20:21], v[18:19], v[30:31], v[16:17] op_sel:[0,0,1] op_sel_hi:[1,1,0] neg_lo:[0,0,1] neg_hi:[0,0,1]
	v_pk_fma_f32 v[16:17], v[18:19], v[30:31], v[16:17] op_sel:[0,0,1] op_sel_hi:[1,0,0]
	s_waitcnt vmcnt(9)
	v_mov_b32_e32 v16, v33
	v_mov_b32_e32 v21, v17
	s_waitcnt lgkmcnt(2)
	v_pk_mul_f32 v[16:17], v[4:5], v[16:17] op_sel_hi:[1,0]
	v_pk_add_f32 v[14:15], v[14:15], v[24:25]
	s_waitcnt vmcnt(8)
	v_pk_fma_f32 v[18:19], v[4:5], v[32:33], v[16:17] op_sel:[0,0,1] op_sel_hi:[1,1,0] neg_lo:[0,0,1] neg_hi:[0,0,1]
	v_pk_fma_f32 v[4:5], v[4:5], v[32:33], v[16:17] op_sel:[0,0,1] op_sel_hi:[1,0,0]
	v_pk_add_f32 v[14:15], v[14:15], v[20:21]
	v_mov_b32_e32 v19, v5
	v_pk_add_f32 v[4:5], v[14:15], v[18:19]
	s_waitcnt vmcnt(7)
	v_mov_b32_e32 v14, v35
	v_pk_mul_f32 v[14:15], v[6:7], v[14:15] op_sel_hi:[1,0]
	s_waitcnt vmcnt(6)
	v_pk_fma_f32 v[16:17], v[6:7], v[34:35], v[14:15] op_sel:[0,0,1] op_sel_hi:[1,1,0] neg_lo:[0,0,1] neg_hi:[0,0,1]
	v_pk_fma_f32 v[6:7], v[6:7], v[34:35], v[14:15] op_sel:[0,0,1] op_sel_hi:[1,0,0]
	s_waitcnt vmcnt(5)
	v_mov_b32_e32 v6, v37
	v_mov_b32_e32 v17, v7
	s_waitcnt lgkmcnt(1)
	v_pk_mul_f32 v[6:7], v[8:9], v[6:7] op_sel_hi:[1,0]
	s_waitcnt vmcnt(4)
	v_pk_fma_f32 v[14:15], v[8:9], v[36:37], v[6:7] op_sel:[0,0,1] op_sel_hi:[1,1,0] neg_lo:[0,0,1] neg_hi:[0,0,1]
	v_pk_fma_f32 v[6:7], v[8:9], v[36:37], v[6:7] op_sel:[0,0,1] op_sel_hi:[1,0,0]
	s_waitcnt vmcnt(3)
	v_mov_b32_e32 v6, v39
	v_mov_b32_e32 v15, v7
	v_pk_mul_f32 v[6:7], v[10:11], v[6:7] op_sel_hi:[1,0]
	s_waitcnt vmcnt(2)
	v_pk_fma_f32 v[8:9], v[10:11], v[38:39], v[6:7] op_sel:[0,0,1] op_sel_hi:[1,1,0] neg_lo:[0,0,1] neg_hi:[0,0,1]
	v_pk_fma_f32 v[6:7], v[10:11], v[38:39], v[6:7] op_sel:[0,0,1] op_sel_hi:[1,0,0]
	v_pk_add_f32 v[4:5], v[4:5], v[16:17]
	s_waitcnt vmcnt(1)
	v_mov_b32_e32 v6, v41
	v_pk_add_f32 v[4:5], v[4:5], v[14:15]
	v_mov_b32_e32 v9, v7
	s_waitcnt lgkmcnt(0)
	v_pk_mul_f32 v[6:7], v[12:13], v[6:7] op_sel_hi:[1,0]
	v_pk_add_f32 v[4:5], v[4:5], v[8:9]
	s_waitcnt vmcnt(0)
	v_pk_fma_f32 v[8:9], v[12:13], v[40:41], v[6:7] op_sel:[0,0,1] op_sel_hi:[1,1,0] neg_lo:[0,0,1] neg_hi:[0,0,1]
	v_pk_fma_f32 v[6:7], v[12:13], v[40:41], v[6:7] op_sel:[0,0,1] op_sel_hi:[1,0,0]
	v_mov_b32_e32 v9, v7
	v_pk_add_f32 v[4:5], v[4:5], v[8:9]
	v_pk_add_f32 v[2:3], v[2:3], v[4:5] neg_lo:[0,1] neg_hi:[0,1]
	buffer_store_dword v3, off, s[0:3], 0 offset:300
	buffer_store_dword v2, off, s[0:3], 0 offset:296
	s_and_saveexec_b64 s[4:5], vcc
	s_cbranch_execz .LBB50_247
; %bb.246:
	buffer_load_dword v2, off, s[0:3], 0 offset:288
	buffer_load_dword v3, off, s[0:3], 0 offset:292
	s_waitcnt vmcnt(0)
	ds_write_b64 v121, v[2:3]
	buffer_store_dword v1, off, s[0:3], 0 offset:288
	buffer_store_dword v1, off, s[0:3], 0 offset:292
.LBB50_247:
	s_or_b64 exec, exec, s[4:5]
	s_waitcnt lgkmcnt(0)
	; wave barrier
	s_waitcnt lgkmcnt(0)
	ds_read2_b64 v[4:7], v1 offset0:89 offset1:90
	buffer_load_dword v2, off, s[0:3], 0 offset:288
	buffer_load_dword v3, off, s[0:3], 0 offset:292
	buffer_load_dword v22, off, s[0:3], 0 offset:296
	buffer_load_dword v24, off, s[0:3], 0 offset:300
	buffer_load_dword v26, off, s[0:3], 0 offset:304
	buffer_load_dword v42, off, s[0:3], 0 offset:308
	buffer_load_dword v43, off, s[0:3], 0 offset:312
	buffer_load_dword v44, off, s[0:3], 0 offset:316
	buffer_load_dword v45, off, s[0:3], 0 offset:320
	buffer_load_dword v46, off, s[0:3], 0 offset:324
	buffer_load_dword v47, off, s[0:3], 0 offset:328
	buffer_load_dword v48, off, s[0:3], 0 offset:332
	buffer_load_dword v49, off, s[0:3], 0 offset:336
	buffer_load_dword v50, off, s[0:3], 0 offset:340
	buffer_load_dword v20, off, s[0:3], 0 offset:344
	buffer_load_dword v21, off, s[0:3], 0 offset:348
	v_cmp_lt_u32_e32 vcc, 35, v0
	ds_read2_b64 v[16:19], v1 offset0:95 offset1:96
	s_waitcnt vmcnt(12) lgkmcnt(1)
	v_mul_f32_e32 v8, v4, v24
	v_fmac_f32_e32 v8, v5, v22
	s_waitcnt vmcnt(10)
	v_mul_f32_e32 v9, v6, v42
	v_add_f32_e32 v8, 0, v8
	v_fmac_f32_e32 v9, v7, v26
	v_add_f32_e32 v12, v8, v9
	ds_read2_b64 v[8:11], v1 offset0:91 offset1:92
	v_mul_f32_e32 v5, v5, v24
	v_fma_f32 v4, v4, v22, -v5
	v_mul_f32_e32 v5, v7, v42
	v_add_f32_e32 v4, 0, v4
	s_waitcnt vmcnt(8) lgkmcnt(0)
	v_mul_f32_e32 v13, v8, v44
	v_fmac_f32_e32 v13, v9, v43
	v_add_f32_e32 v12, v12, v13
	s_waitcnt vmcnt(6)
	v_mul_f32_e32 v13, v10, v46
	v_fmac_f32_e32 v13, v11, v45
	v_add_f32_e32 v23, v12, v13
	ds_read2_b64 v[12:15], v1 offset0:93 offset1:94
	buffer_load_dword v29, off, s[0:3], 0 offset:356
	buffer_load_dword v28, off, s[0:3], 0 offset:352
	;; [unrolled: 1-line block ×14, first 2 shown]
	v_fma_f32 v5, v6, v26, -v5
	v_add_f32_e32 v4, v4, v5
	v_mul_f32_e32 v5, v9, v44
	v_fma_f32 v5, v8, v43, -v5
	v_add_f32_e32 v4, v4, v5
	v_mul_f32_e32 v5, v11, v46
	v_fma_f32 v5, v10, v45, -v5
	s_waitcnt vmcnt(18) lgkmcnt(0)
	v_mul_f32_e32 v25, v12, v48
	v_add_f32_e32 v22, v4, v5
	v_mul_f32_e32 v4, v13, v48
	v_fmac_f32_e32 v25, v13, v47
	v_fma_f32 v24, v12, v47, -v4
	s_waitcnt vmcnt(16)
	v_mul_f32_e32 v27, v14, v50
	v_mul_f32_e32 v4, v15, v50
	v_pk_add_f32 v[22:23], v[22:23], v[24:25]
	s_waitcnt vmcnt(14)
	v_mov_b32_e32 v24, v21
	v_fmac_f32_e32 v27, v15, v49
	v_fma_f32 v26, v14, v49, -v4
	v_pk_mul_f32 v[24:25], v[16:17], v[24:25] op_sel_hi:[1,0]
	v_pk_add_f32 v[22:23], v[22:23], v[26:27]
	v_pk_fma_f32 v[26:27], v[16:17], v[20:21], v[24:25] op_sel:[0,0,1] op_sel_hi:[1,1,0] neg_lo:[0,0,1] neg_hi:[0,0,1]
	v_pk_fma_f32 v[16:17], v[16:17], v[20:21], v[24:25] op_sel:[0,0,1] op_sel_hi:[1,0,0]
	ds_read2_b64 v[4:7], v1 offset0:97 offset1:98
	ds_read2_b64 v[8:11], v1 offset0:99 offset1:100
	ds_read2_b64 v[12:15], v1 offset0:101 offset1:102
	v_mov_b32_e32 v27, v17
	v_pk_add_f32 v[16:17], v[22:23], v[26:27]
	s_waitcnt vmcnt(13)
	v_mov_b32_e32 v20, v29
	v_pk_mul_f32 v[20:21], v[18:19], v[20:21] op_sel_hi:[1,0]
	s_waitcnt vmcnt(12)
	v_pk_fma_f32 v[22:23], v[18:19], v[28:29], v[20:21] op_sel:[0,0,1] op_sel_hi:[1,1,0] neg_lo:[0,0,1] neg_hi:[0,0,1]
	v_pk_fma_f32 v[18:19], v[18:19], v[28:29], v[20:21] op_sel:[0,0,1] op_sel_hi:[1,0,0]
	s_waitcnt vmcnt(11)
	v_mov_b32_e32 v18, v31
	v_mov_b32_e32 v23, v19
	s_waitcnt lgkmcnt(2)
	v_pk_mul_f32 v[18:19], v[4:5], v[18:19] op_sel_hi:[1,0]
	s_waitcnt vmcnt(10)
	v_pk_fma_f32 v[20:21], v[4:5], v[30:31], v[18:19] op_sel:[0,0,1] op_sel_hi:[1,1,0] neg_lo:[0,0,1] neg_hi:[0,0,1]
	v_pk_fma_f32 v[4:5], v[4:5], v[30:31], v[18:19] op_sel:[0,0,1] op_sel_hi:[1,0,0]
	v_pk_add_f32 v[16:17], v[16:17], v[22:23]
	v_mov_b32_e32 v21, v5
	v_pk_add_f32 v[4:5], v[16:17], v[20:21]
	s_waitcnt vmcnt(9)
	v_mov_b32_e32 v16, v33
	v_pk_mul_f32 v[16:17], v[6:7], v[16:17] op_sel_hi:[1,0]
	s_waitcnt vmcnt(8)
	v_pk_fma_f32 v[18:19], v[6:7], v[32:33], v[16:17] op_sel:[0,0,1] op_sel_hi:[1,1,0] neg_lo:[0,0,1] neg_hi:[0,0,1]
	v_pk_fma_f32 v[6:7], v[6:7], v[32:33], v[16:17] op_sel:[0,0,1] op_sel_hi:[1,0,0]
	s_waitcnt vmcnt(7)
	v_mov_b32_e32 v6, v35
	v_mov_b32_e32 v19, v7
	s_waitcnt lgkmcnt(1)
	v_pk_mul_f32 v[6:7], v[8:9], v[6:7] op_sel_hi:[1,0]
	s_waitcnt vmcnt(6)
	v_pk_fma_f32 v[16:17], v[8:9], v[34:35], v[6:7] op_sel:[0,0,1] op_sel_hi:[1,1,0] neg_lo:[0,0,1] neg_hi:[0,0,1]
	v_pk_fma_f32 v[6:7], v[8:9], v[34:35], v[6:7] op_sel:[0,0,1] op_sel_hi:[1,0,0]
	s_waitcnt vmcnt(5)
	v_mov_b32_e32 v6, v37
	v_mov_b32_e32 v17, v7
	v_pk_mul_f32 v[6:7], v[10:11], v[6:7] op_sel_hi:[1,0]
	s_waitcnt vmcnt(4)
	v_pk_fma_f32 v[8:9], v[10:11], v[36:37], v[6:7] op_sel:[0,0,1] op_sel_hi:[1,1,0] neg_lo:[0,0,1] neg_hi:[0,0,1]
	v_pk_fma_f32 v[6:7], v[10:11], v[36:37], v[6:7] op_sel:[0,0,1] op_sel_hi:[1,0,0]
	v_pk_add_f32 v[4:5], v[4:5], v[18:19]
	s_waitcnt vmcnt(3)
	v_mov_b32_e32 v6, v39
	v_pk_add_f32 v[4:5], v[4:5], v[16:17]
	v_mov_b32_e32 v9, v7
	s_waitcnt lgkmcnt(0)
	v_pk_mul_f32 v[6:7], v[12:13], v[6:7] op_sel_hi:[1,0]
	v_pk_add_f32 v[4:5], v[4:5], v[8:9]
	s_waitcnt vmcnt(2)
	v_pk_fma_f32 v[8:9], v[12:13], v[38:39], v[6:7] op_sel:[0,0,1] op_sel_hi:[1,1,0] neg_lo:[0,0,1] neg_hi:[0,0,1]
	v_pk_fma_f32 v[6:7], v[12:13], v[38:39], v[6:7] op_sel:[0,0,1] op_sel_hi:[1,0,0]
	s_waitcnt vmcnt(1)
	v_mov_b32_e32 v6, v41
	v_mov_b32_e32 v9, v7
	v_pk_mul_f32 v[6:7], v[14:15], v[6:7] op_sel_hi:[1,0]
	v_pk_add_f32 v[4:5], v[4:5], v[8:9]
	s_waitcnt vmcnt(0)
	v_pk_fma_f32 v[8:9], v[14:15], v[40:41], v[6:7] op_sel:[0,0,1] op_sel_hi:[1,1,0] neg_lo:[0,0,1] neg_hi:[0,0,1]
	v_pk_fma_f32 v[6:7], v[14:15], v[40:41], v[6:7] op_sel:[0,0,1] op_sel_hi:[1,0,0]
	v_mov_b32_e32 v9, v7
	v_pk_add_f32 v[4:5], v[4:5], v[8:9]
	v_pk_add_f32 v[2:3], v[2:3], v[4:5] neg_lo:[0,1] neg_hi:[0,1]
	buffer_store_dword v3, off, s[0:3], 0 offset:292
	buffer_store_dword v2, off, s[0:3], 0 offset:288
	s_and_saveexec_b64 s[4:5], vcc
	s_cbranch_execz .LBB50_249
; %bb.248:
	buffer_load_dword v2, off, s[0:3], 0 offset:280
	buffer_load_dword v3, off, s[0:3], 0 offset:284
	v_mov_b32_e32 v1, 0
	buffer_store_dword v1, off, s[0:3], 0 offset:280
	buffer_store_dword v1, off, s[0:3], 0 offset:284
	s_waitcnt vmcnt(2)
	ds_write_b64 v121, v[2:3]
.LBB50_249:
	s_or_b64 exec, exec, s[4:5]
	v_mov_b32_e32 v1, 0
	s_waitcnt lgkmcnt(0)
	; wave barrier
	s_waitcnt lgkmcnt(0)
	ds_read_b128 v[4:7], v1 offset:704
	ds_read_b128 v[8:11], v1 offset:720
	;; [unrolled: 1-line block ×4, first 2 shown]
	buffer_load_dword v2, off, s[0:3], 0 offset:280
	buffer_load_dword v3, off, s[0:3], 0 offset:284
	;; [unrolled: 1-line block ×32, first 2 shown]
	v_cmp_lt_u32_e32 vcc, 34, v0
	s_waitcnt vmcnt(28) lgkmcnt(3)
	v_mul_f32_e32 v21, v4, v22
	v_fmac_f32_e32 v21, v5, v20
	v_mul_f32_e32 v5, v5, v22
	s_waitcnt vmcnt(26)
	v_mul_f32_e32 v23, v6, v42
	v_fma_f32 v4, v4, v20, -v5
	v_mul_f32_e32 v5, v7, v42
	v_add_f32_e32 v21, 0, v21
	v_fmac_f32_e32 v23, v7, v24
	v_add_f32_e32 v4, 0, v4
	v_fma_f32 v5, v6, v24, -v5
	v_add_f32_e32 v21, v21, v23
	s_waitcnt vmcnt(24) lgkmcnt(2)
	v_mul_f32_e32 v23, v8, v44
	v_add_f32_e32 v4, v4, v5
	v_mul_f32_e32 v5, v9, v44
	v_fmac_f32_e32 v23, v9, v43
	v_fma_f32 v5, v8, v43, -v5
	v_add_f32_e32 v21, v21, v23
	s_waitcnt vmcnt(22)
	v_mul_f32_e32 v23, v10, v46
	v_add_f32_e32 v4, v4, v5
	v_mul_f32_e32 v5, v11, v46
	v_fmac_f32_e32 v23, v11, v45
	v_fma_f32 v5, v10, v45, -v5
	v_add_f32_e32 v21, v21, v23
	s_waitcnt vmcnt(20) lgkmcnt(1)
	v_mul_f32_e32 v23, v12, v48
	v_add_f32_e32 v4, v4, v5
	v_mul_f32_e32 v5, v13, v48
	v_fmac_f32_e32 v23, v13, v47
	v_fma_f32 v5, v12, v47, -v5
	v_add_f32_e32 v21, v21, v23
	s_waitcnt vmcnt(18)
	v_mul_f32_e32 v23, v14, v50
	v_add_f32_e32 v20, v4, v5
	v_mul_f32_e32 v4, v15, v50
	v_fmac_f32_e32 v23, v15, v49
	v_fma_f32 v22, v14, v49, -v4
	s_waitcnt vmcnt(16) lgkmcnt(0)
	v_mul_f32_e32 v25, v16, v52
	v_mul_f32_e32 v4, v17, v52
	v_pk_add_f32 v[20:21], v[20:21], v[22:23]
	s_waitcnt vmcnt(15)
	v_mov_b32_e32 v22, v27
	v_fmac_f32_e32 v25, v17, v51
	v_fma_f32 v24, v16, v51, -v4
	v_pk_mul_f32 v[22:23], v[18:19], v[22:23] op_sel_hi:[1,0]
	v_pk_add_f32 v[20:21], v[20:21], v[24:25]
	s_waitcnt vmcnt(14)
	v_pk_fma_f32 v[24:25], v[18:19], v[26:27], v[22:23] op_sel:[0,0,1] op_sel_hi:[1,1,0] neg_lo:[0,0,1] neg_hi:[0,0,1]
	v_pk_fma_f32 v[18:19], v[18:19], v[26:27], v[22:23] op_sel:[0,0,1] op_sel_hi:[1,0,0]
	ds_read_b128 v[4:7], v1 offset:768
	ds_read_b128 v[8:11], v1 offset:784
	ds_read_b128 v[12:15], v1 offset:800
	ds_read_b64 v[16:17], v1 offset:816
	v_mov_b32_e32 v25, v19
	v_pk_add_f32 v[18:19], v[20:21], v[24:25]
	s_waitcnt vmcnt(13)
	v_mov_b32_e32 v20, v29
	s_waitcnt lgkmcnt(3)
	v_pk_mul_f32 v[20:21], v[4:5], v[20:21] op_sel_hi:[1,0]
	s_waitcnt vmcnt(12)
	v_pk_fma_f32 v[22:23], v[4:5], v[28:29], v[20:21] op_sel:[0,0,1] op_sel_hi:[1,1,0] neg_lo:[0,0,1] neg_hi:[0,0,1]
	v_pk_fma_f32 v[4:5], v[4:5], v[28:29], v[20:21] op_sel:[0,0,1] op_sel_hi:[1,0,0]
	v_mov_b32_e32 v23, v5
	v_pk_add_f32 v[4:5], v[18:19], v[22:23]
	s_waitcnt vmcnt(11)
	v_mov_b32_e32 v18, v31
	v_pk_mul_f32 v[18:19], v[6:7], v[18:19] op_sel_hi:[1,0]
	s_waitcnt vmcnt(10)
	v_pk_fma_f32 v[20:21], v[6:7], v[30:31], v[18:19] op_sel:[0,0,1] op_sel_hi:[1,1,0] neg_lo:[0,0,1] neg_hi:[0,0,1]
	v_pk_fma_f32 v[6:7], v[6:7], v[30:31], v[18:19] op_sel:[0,0,1] op_sel_hi:[1,0,0]
	s_waitcnt vmcnt(9)
	v_mov_b32_e32 v6, v33
	v_mov_b32_e32 v21, v7
	s_waitcnt lgkmcnt(2)
	v_pk_mul_f32 v[6:7], v[8:9], v[6:7] op_sel_hi:[1,0]
	s_waitcnt vmcnt(8)
	v_pk_fma_f32 v[18:19], v[8:9], v[32:33], v[6:7] op_sel:[0,0,1] op_sel_hi:[1,1,0] neg_lo:[0,0,1] neg_hi:[0,0,1]
	v_pk_fma_f32 v[6:7], v[8:9], v[32:33], v[6:7] op_sel:[0,0,1] op_sel_hi:[1,0,0]
	s_waitcnt vmcnt(7)
	v_mov_b32_e32 v6, v35
	v_mov_b32_e32 v19, v7
	v_pk_mul_f32 v[6:7], v[10:11], v[6:7] op_sel_hi:[1,0]
	s_waitcnt vmcnt(6)
	v_pk_fma_f32 v[8:9], v[10:11], v[34:35], v[6:7] op_sel:[0,0,1] op_sel_hi:[1,1,0] neg_lo:[0,0,1] neg_hi:[0,0,1]
	v_pk_fma_f32 v[6:7], v[10:11], v[34:35], v[6:7] op_sel:[0,0,1] op_sel_hi:[1,0,0]
	v_pk_add_f32 v[4:5], v[4:5], v[20:21]
	s_waitcnt vmcnt(5)
	v_mov_b32_e32 v6, v37
	v_pk_add_f32 v[4:5], v[4:5], v[18:19]
	v_mov_b32_e32 v9, v7
	s_waitcnt lgkmcnt(1)
	v_pk_mul_f32 v[6:7], v[12:13], v[6:7] op_sel_hi:[1,0]
	v_pk_add_f32 v[4:5], v[4:5], v[8:9]
	s_waitcnt vmcnt(4)
	v_pk_fma_f32 v[8:9], v[12:13], v[36:37], v[6:7] op_sel:[0,0,1] op_sel_hi:[1,1,0] neg_lo:[0,0,1] neg_hi:[0,0,1]
	v_pk_fma_f32 v[6:7], v[12:13], v[36:37], v[6:7] op_sel:[0,0,1] op_sel_hi:[1,0,0]
	s_waitcnt vmcnt(3)
	v_mov_b32_e32 v6, v39
	v_mov_b32_e32 v9, v7
	v_pk_mul_f32 v[6:7], v[14:15], v[6:7] op_sel_hi:[1,0]
	v_pk_add_f32 v[4:5], v[4:5], v[8:9]
	s_waitcnt vmcnt(2)
	v_pk_fma_f32 v[8:9], v[14:15], v[38:39], v[6:7] op_sel:[0,0,1] op_sel_hi:[1,1,0] neg_lo:[0,0,1] neg_hi:[0,0,1]
	v_pk_fma_f32 v[6:7], v[14:15], v[38:39], v[6:7] op_sel:[0,0,1] op_sel_hi:[1,0,0]
	s_waitcnt vmcnt(1)
	v_mov_b32_e32 v6, v41
	v_mov_b32_e32 v9, v7
	s_waitcnt lgkmcnt(0)
	v_pk_mul_f32 v[6:7], v[16:17], v[6:7] op_sel_hi:[1,0]
	v_pk_add_f32 v[4:5], v[4:5], v[8:9]
	s_waitcnt vmcnt(0)
	v_pk_fma_f32 v[8:9], v[16:17], v[40:41], v[6:7] op_sel:[0,0,1] op_sel_hi:[1,1,0] neg_lo:[0,0,1] neg_hi:[0,0,1]
	v_pk_fma_f32 v[6:7], v[16:17], v[40:41], v[6:7] op_sel:[0,0,1] op_sel_hi:[1,0,0]
	v_mov_b32_e32 v9, v7
	v_pk_add_f32 v[4:5], v[4:5], v[8:9]
	v_pk_add_f32 v[2:3], v[2:3], v[4:5] neg_lo:[0,1] neg_hi:[0,1]
	buffer_store_dword v3, off, s[0:3], 0 offset:284
	buffer_store_dword v2, off, s[0:3], 0 offset:280
	s_and_saveexec_b64 s[4:5], vcc
	s_cbranch_execz .LBB50_251
; %bb.250:
	buffer_load_dword v2, off, s[0:3], 0 offset:272
	buffer_load_dword v3, off, s[0:3], 0 offset:276
	s_waitcnt vmcnt(0)
	ds_write_b64 v121, v[2:3]
	buffer_store_dword v1, off, s[0:3], 0 offset:272
	buffer_store_dword v1, off, s[0:3], 0 offset:276
.LBB50_251:
	s_or_b64 exec, exec, s[4:5]
	s_waitcnt lgkmcnt(0)
	; wave barrier
	s_waitcnt lgkmcnt(0)
	ds_read2_b64 v[4:7], v1 offset0:87 offset1:88
	buffer_load_dword v2, off, s[0:3], 0 offset:272
	buffer_load_dword v3, off, s[0:3], 0 offset:276
	;; [unrolled: 1-line block ×16, first 2 shown]
	v_cmp_lt_u32_e32 vcc, 33, v0
	s_waitcnt vmcnt(12) lgkmcnt(0)
	v_mul_f32_e32 v8, v4, v26
	v_fmac_f32_e32 v8, v5, v24
	s_waitcnt vmcnt(10)
	v_mul_f32_e32 v9, v6, v46
	v_add_f32_e32 v8, 0, v8
	v_fmac_f32_e32 v9, v7, v28
	v_add_f32_e32 v12, v8, v9
	ds_read2_b64 v[8:11], v1 offset0:89 offset1:90
	v_mul_f32_e32 v5, v5, v26
	v_fma_f32 v4, v4, v24, -v5
	v_mul_f32_e32 v5, v7, v46
	v_add_f32_e32 v4, 0, v4
	s_waitcnt vmcnt(8) lgkmcnt(0)
	v_mul_f32_e32 v13, v8, v48
	v_fmac_f32_e32 v13, v9, v47
	v_add_f32_e32 v12, v12, v13
	s_waitcnt vmcnt(6)
	v_mul_f32_e32 v13, v10, v50
	v_fmac_f32_e32 v13, v11, v49
	v_add_f32_e32 v16, v12, v13
	ds_read2_b64 v[12:15], v1 offset0:91 offset1:92
	v_fma_f32 v5, v6, v28, -v5
	v_add_f32_e32 v4, v4, v5
	v_mul_f32_e32 v5, v9, v48
	v_fma_f32 v5, v8, v47, -v5
	s_waitcnt vmcnt(4) lgkmcnt(0)
	v_mul_f32_e32 v17, v12, v52
	v_fmac_f32_e32 v17, v13, v51
	v_add_f32_e32 v16, v16, v17
	s_waitcnt vmcnt(2)
	v_mul_f32_e32 v17, v14, v54
	v_fmac_f32_e32 v17, v15, v53
	v_add_f32_e32 v25, v16, v17
	ds_read2_b64 v[16:19], v1 offset0:93 offset1:94
	buffer_load_dword v57, off, s[0:3], 0 offset:336
	buffer_load_dword v58, off, s[0:3], 0 offset:340
	;; [unrolled: 1-line block ×4, first 2 shown]
	ds_read2_b64 v[20:23], v1 offset0:95 offset1:96
	buffer_load_dword v33, off, s[0:3], 0 offset:356
	buffer_load_dword v32, off, s[0:3], 0 offset:352
	;; [unrolled: 1-line block ×14, first 2 shown]
	v_add_f32_e32 v4, v4, v5
	v_mul_f32_e32 v5, v11, v50
	v_fma_f32 v5, v10, v49, -v5
	v_add_f32_e32 v4, v4, v5
	v_mul_f32_e32 v5, v13, v52
	v_fma_f32 v5, v12, v51, -v5
	;; [unrolled: 3-line block ×3, first 2 shown]
	v_add_f32_e32 v24, v4, v5
	s_waitcnt vmcnt(18) lgkmcnt(1)
	v_mul_f32_e32 v4, v17, v56
	v_fma_f32 v26, v16, v55, -v4
	v_mul_f32_e32 v27, v16, v56
	v_fmac_f32_e32 v27, v17, v55
	v_pk_add_f32 v[16:17], v[24:25], v[26:27]
	s_waitcnt vmcnt(16)
	v_mul_f32_e32 v4, v19, v58
	v_mul_f32_e32 v29, v18, v58
	v_fma_f32 v28, v18, v57, -v4
	s_waitcnt vmcnt(15)
	v_mov_b32_e32 v18, v31
	v_fmac_f32_e32 v29, v19, v57
	s_waitcnt lgkmcnt(0)
	v_pk_mul_f32 v[18:19], v[20:21], v[18:19] op_sel_hi:[1,0]
	s_waitcnt vmcnt(14)
	v_pk_fma_f32 v[24:25], v[20:21], v[30:31], v[18:19] op_sel:[0,0,1] op_sel_hi:[1,1,0] neg_lo:[0,0,1] neg_hi:[0,0,1]
	v_pk_fma_f32 v[18:19], v[20:21], v[30:31], v[18:19] op_sel:[0,0,1] op_sel_hi:[1,0,0]
	s_waitcnt vmcnt(13)
	v_mov_b32_e32 v18, v33
	ds_read2_b64 v[4:7], v1 offset0:97 offset1:98
	ds_read2_b64 v[8:11], v1 offset0:99 offset1:100
	;; [unrolled: 1-line block ×3, first 2 shown]
	v_mov_b32_e32 v25, v19
	v_pk_mul_f32 v[18:19], v[22:23], v[18:19] op_sel_hi:[1,0]
	s_waitcnt vmcnt(12)
	v_pk_fma_f32 v[20:21], v[22:23], v[32:33], v[18:19] op_sel:[0,0,1] op_sel_hi:[1,1,0] neg_lo:[0,0,1] neg_hi:[0,0,1]
	v_pk_fma_f32 v[18:19], v[22:23], v[32:33], v[18:19] op_sel:[0,0,1] op_sel_hi:[1,0,0]
	v_pk_add_f32 v[16:17], v[16:17], v[28:29]
	s_waitcnt vmcnt(11)
	v_mov_b32_e32 v18, v35
	v_pk_add_f32 v[16:17], v[16:17], v[24:25]
	v_mov_b32_e32 v21, v19
	s_waitcnt lgkmcnt(2)
	v_pk_mul_f32 v[18:19], v[4:5], v[18:19] op_sel_hi:[1,0]
	v_pk_add_f32 v[16:17], v[16:17], v[20:21]
	s_waitcnt vmcnt(10)
	v_pk_fma_f32 v[20:21], v[4:5], v[34:35], v[18:19] op_sel:[0,0,1] op_sel_hi:[1,1,0] neg_lo:[0,0,1] neg_hi:[0,0,1]
	v_pk_fma_f32 v[4:5], v[4:5], v[34:35], v[18:19] op_sel:[0,0,1] op_sel_hi:[1,0,0]
	v_mov_b32_e32 v21, v5
	v_pk_add_f32 v[4:5], v[16:17], v[20:21]
	s_waitcnt vmcnt(9)
	v_mov_b32_e32 v16, v37
	v_pk_mul_f32 v[16:17], v[6:7], v[16:17] op_sel_hi:[1,0]
	s_waitcnt vmcnt(8)
	v_pk_fma_f32 v[18:19], v[6:7], v[36:37], v[16:17] op_sel:[0,0,1] op_sel_hi:[1,1,0] neg_lo:[0,0,1] neg_hi:[0,0,1]
	v_pk_fma_f32 v[6:7], v[6:7], v[36:37], v[16:17] op_sel:[0,0,1] op_sel_hi:[1,0,0]
	s_waitcnt vmcnt(7)
	v_mov_b32_e32 v6, v39
	v_mov_b32_e32 v19, v7
	s_waitcnt lgkmcnt(1)
	v_pk_mul_f32 v[6:7], v[8:9], v[6:7] op_sel_hi:[1,0]
	s_waitcnt vmcnt(6)
	v_pk_fma_f32 v[16:17], v[8:9], v[38:39], v[6:7] op_sel:[0,0,1] op_sel_hi:[1,1,0] neg_lo:[0,0,1] neg_hi:[0,0,1]
	v_pk_fma_f32 v[6:7], v[8:9], v[38:39], v[6:7] op_sel:[0,0,1] op_sel_hi:[1,0,0]
	s_waitcnt vmcnt(5)
	v_mov_b32_e32 v6, v41
	v_mov_b32_e32 v17, v7
	v_pk_mul_f32 v[6:7], v[10:11], v[6:7] op_sel_hi:[1,0]
	s_waitcnt vmcnt(4)
	v_pk_fma_f32 v[8:9], v[10:11], v[40:41], v[6:7] op_sel:[0,0,1] op_sel_hi:[1,1,0] neg_lo:[0,0,1] neg_hi:[0,0,1]
	v_pk_fma_f32 v[6:7], v[10:11], v[40:41], v[6:7] op_sel:[0,0,1] op_sel_hi:[1,0,0]
	v_pk_add_f32 v[4:5], v[4:5], v[18:19]
	s_waitcnt vmcnt(3)
	v_mov_b32_e32 v6, v43
	v_pk_add_f32 v[4:5], v[4:5], v[16:17]
	v_mov_b32_e32 v9, v7
	s_waitcnt lgkmcnt(0)
	v_pk_mul_f32 v[6:7], v[12:13], v[6:7] op_sel_hi:[1,0]
	v_pk_add_f32 v[4:5], v[4:5], v[8:9]
	s_waitcnt vmcnt(2)
	v_pk_fma_f32 v[8:9], v[12:13], v[42:43], v[6:7] op_sel:[0,0,1] op_sel_hi:[1,1,0] neg_lo:[0,0,1] neg_hi:[0,0,1]
	v_pk_fma_f32 v[6:7], v[12:13], v[42:43], v[6:7] op_sel:[0,0,1] op_sel_hi:[1,0,0]
	s_waitcnt vmcnt(1)
	v_mov_b32_e32 v6, v45
	v_mov_b32_e32 v9, v7
	v_pk_mul_f32 v[6:7], v[14:15], v[6:7] op_sel_hi:[1,0]
	v_pk_add_f32 v[4:5], v[4:5], v[8:9]
	s_waitcnt vmcnt(0)
	v_pk_fma_f32 v[8:9], v[14:15], v[44:45], v[6:7] op_sel:[0,0,1] op_sel_hi:[1,1,0] neg_lo:[0,0,1] neg_hi:[0,0,1]
	v_pk_fma_f32 v[6:7], v[14:15], v[44:45], v[6:7] op_sel:[0,0,1] op_sel_hi:[1,0,0]
	v_mov_b32_e32 v9, v7
	v_pk_add_f32 v[4:5], v[4:5], v[8:9]
	v_pk_add_f32 v[2:3], v[2:3], v[4:5] neg_lo:[0,1] neg_hi:[0,1]
	buffer_store_dword v3, off, s[0:3], 0 offset:276
	buffer_store_dword v2, off, s[0:3], 0 offset:272
	s_and_saveexec_b64 s[4:5], vcc
	s_cbranch_execz .LBB50_253
; %bb.252:
	buffer_load_dword v2, off, s[0:3], 0 offset:264
	buffer_load_dword v3, off, s[0:3], 0 offset:268
	v_mov_b32_e32 v1, 0
	buffer_store_dword v1, off, s[0:3], 0 offset:264
	buffer_store_dword v1, off, s[0:3], 0 offset:268
	s_waitcnt vmcnt(2)
	ds_write_b64 v121, v[2:3]
.LBB50_253:
	s_or_b64 exec, exec, s[4:5]
	v_mov_b32_e32 v1, 0
	s_waitcnt lgkmcnt(0)
	; wave barrier
	s_waitcnt lgkmcnt(0)
	ds_read_b128 v[4:7], v1 offset:688
	ds_read_b128 v[8:11], v1 offset:704
	;; [unrolled: 1-line block ×4, first 2 shown]
	buffer_load_dword v2, off, s[0:3], 0 offset:264
	buffer_load_dword v3, off, s[0:3], 0 offset:268
	;; [unrolled: 1-line block ×18, first 2 shown]
	v_cmp_lt_u32_e32 vcc, 32, v0
	s_waitcnt vmcnt(14) lgkmcnt(3)
	v_mul_f32_e32 v20, v4, v26
	v_fmac_f32_e32 v20, v5, v24
	s_waitcnt vmcnt(12)
	v_mul_f32_e32 v21, v6, v46
	v_add_f32_e32 v20, 0, v20
	v_fmac_f32_e32 v21, v7, v28
	v_add_f32_e32 v20, v20, v21
	s_waitcnt vmcnt(10) lgkmcnt(2)
	v_mul_f32_e32 v21, v8, v48
	v_fmac_f32_e32 v21, v9, v47
	v_add_f32_e32 v20, v20, v21
	s_waitcnt vmcnt(8)
	v_mul_f32_e32 v21, v10, v50
	v_fmac_f32_e32 v21, v11, v49
	v_add_f32_e32 v20, v20, v21
	s_waitcnt vmcnt(6) lgkmcnt(1)
	v_mul_f32_e32 v21, v12, v52
	v_fmac_f32_e32 v21, v13, v51
	v_add_f32_e32 v20, v20, v21
	s_waitcnt vmcnt(4)
	v_mul_f32_e32 v21, v14, v54
	v_fmac_f32_e32 v21, v15, v53
	v_add_f32_e32 v20, v20, v21
	s_waitcnt vmcnt(2) lgkmcnt(0)
	v_mul_f32_e32 v21, v16, v56
	v_fmac_f32_e32 v21, v17, v55
	v_add_f32_e32 v25, v20, v21
	ds_read_b128 v[20:23], v1 offset:752
	buffer_load_dword v59, off, s[0:3], 0 offset:336
	buffer_load_dword v60, off, s[0:3], 0 offset:340
	;; [unrolled: 1-line block ×18, first 2 shown]
	v_mul_f32_e32 v5, v5, v26
	v_fma_f32 v4, v4, v24, -v5
	v_mul_f32_e32 v5, v7, v46
	v_add_f32_e32 v4, 0, v4
	v_fma_f32 v5, v6, v28, -v5
	v_add_f32_e32 v4, v4, v5
	v_mul_f32_e32 v5, v9, v48
	v_fma_f32 v5, v8, v47, -v5
	v_add_f32_e32 v4, v4, v5
	v_mul_f32_e32 v5, v11, v50
	;; [unrolled: 3-line block ×5, first 2 shown]
	v_fma_f32 v5, v16, v55, -v5
	v_add_f32_e32 v24, v4, v5
	s_waitcnt vmcnt(18)
	v_mul_f32_e32 v4, v19, v58
	v_fma_f32 v26, v18, v57, -v4
	v_mul_f32_e32 v27, v18, v58
	v_fmac_f32_e32 v27, v19, v57
	v_pk_add_f32 v[18:19], v[24:25], v[26:27]
	s_waitcnt vmcnt(16) lgkmcnt(0)
	v_mul_f32_e32 v4, v21, v60
	v_mul_f32_e32 v29, v20, v60
	v_fma_f32 v28, v20, v59, -v4
	s_waitcnt vmcnt(15)
	v_mov_b32_e32 v20, v31
	v_fmac_f32_e32 v29, v21, v59
	v_pk_mul_f32 v[20:21], v[22:23], v[20:21] op_sel_hi:[1,0]
	ds_read_b128 v[4:7], v1 offset:768
	ds_read_b128 v[8:11], v1 offset:784
	;; [unrolled: 1-line block ×3, first 2 shown]
	ds_read_b64 v[16:17], v1 offset:816
	s_waitcnt vmcnt(14)
	v_pk_fma_f32 v[24:25], v[22:23], v[30:31], v[20:21] op_sel:[0,0,1] op_sel_hi:[1,1,0] neg_lo:[0,0,1] neg_hi:[0,0,1]
	v_pk_fma_f32 v[20:21], v[22:23], v[30:31], v[20:21] op_sel:[0,0,1] op_sel_hi:[1,0,0]
	s_waitcnt vmcnt(13)
	v_mov_b32_e32 v20, v33
	v_mov_b32_e32 v25, v21
	s_waitcnt lgkmcnt(3)
	v_pk_mul_f32 v[20:21], v[4:5], v[20:21] op_sel_hi:[1,0]
	v_pk_add_f32 v[18:19], v[18:19], v[28:29]
	s_waitcnt vmcnt(12)
	v_pk_fma_f32 v[22:23], v[4:5], v[32:33], v[20:21] op_sel:[0,0,1] op_sel_hi:[1,1,0] neg_lo:[0,0,1] neg_hi:[0,0,1]
	v_pk_fma_f32 v[4:5], v[4:5], v[32:33], v[20:21] op_sel:[0,0,1] op_sel_hi:[1,0,0]
	v_pk_add_f32 v[18:19], v[18:19], v[24:25]
	v_mov_b32_e32 v23, v5
	v_pk_add_f32 v[4:5], v[18:19], v[22:23]
	s_waitcnt vmcnt(11)
	v_mov_b32_e32 v18, v35
	v_pk_mul_f32 v[18:19], v[6:7], v[18:19] op_sel_hi:[1,0]
	s_waitcnt vmcnt(10)
	v_pk_fma_f32 v[20:21], v[6:7], v[34:35], v[18:19] op_sel:[0,0,1] op_sel_hi:[1,1,0] neg_lo:[0,0,1] neg_hi:[0,0,1]
	v_pk_fma_f32 v[6:7], v[6:7], v[34:35], v[18:19] op_sel:[0,0,1] op_sel_hi:[1,0,0]
	s_waitcnt vmcnt(9)
	v_mov_b32_e32 v6, v37
	v_mov_b32_e32 v21, v7
	s_waitcnt lgkmcnt(2)
	v_pk_mul_f32 v[6:7], v[8:9], v[6:7] op_sel_hi:[1,0]
	s_waitcnt vmcnt(8)
	v_pk_fma_f32 v[18:19], v[8:9], v[36:37], v[6:7] op_sel:[0,0,1] op_sel_hi:[1,1,0] neg_lo:[0,0,1] neg_hi:[0,0,1]
	v_pk_fma_f32 v[6:7], v[8:9], v[36:37], v[6:7] op_sel:[0,0,1] op_sel_hi:[1,0,0]
	s_waitcnt vmcnt(7)
	v_mov_b32_e32 v6, v39
	v_mov_b32_e32 v19, v7
	v_pk_mul_f32 v[6:7], v[10:11], v[6:7] op_sel_hi:[1,0]
	s_waitcnt vmcnt(6)
	v_pk_fma_f32 v[8:9], v[10:11], v[38:39], v[6:7] op_sel:[0,0,1] op_sel_hi:[1,1,0] neg_lo:[0,0,1] neg_hi:[0,0,1]
	v_pk_fma_f32 v[6:7], v[10:11], v[38:39], v[6:7] op_sel:[0,0,1] op_sel_hi:[1,0,0]
	v_pk_add_f32 v[4:5], v[4:5], v[20:21]
	s_waitcnt vmcnt(5)
	v_mov_b32_e32 v6, v41
	v_pk_add_f32 v[4:5], v[4:5], v[18:19]
	v_mov_b32_e32 v9, v7
	s_waitcnt lgkmcnt(1)
	v_pk_mul_f32 v[6:7], v[12:13], v[6:7] op_sel_hi:[1,0]
	v_pk_add_f32 v[4:5], v[4:5], v[8:9]
	s_waitcnt vmcnt(4)
	v_pk_fma_f32 v[8:9], v[12:13], v[40:41], v[6:7] op_sel:[0,0,1] op_sel_hi:[1,1,0] neg_lo:[0,0,1] neg_hi:[0,0,1]
	v_pk_fma_f32 v[6:7], v[12:13], v[40:41], v[6:7] op_sel:[0,0,1] op_sel_hi:[1,0,0]
	s_waitcnt vmcnt(3)
	v_mov_b32_e32 v6, v43
	v_mov_b32_e32 v9, v7
	v_pk_mul_f32 v[6:7], v[14:15], v[6:7] op_sel_hi:[1,0]
	v_pk_add_f32 v[4:5], v[4:5], v[8:9]
	s_waitcnt vmcnt(2)
	v_pk_fma_f32 v[8:9], v[14:15], v[42:43], v[6:7] op_sel:[0,0,1] op_sel_hi:[1,1,0] neg_lo:[0,0,1] neg_hi:[0,0,1]
	v_pk_fma_f32 v[6:7], v[14:15], v[42:43], v[6:7] op_sel:[0,0,1] op_sel_hi:[1,0,0]
	s_waitcnt vmcnt(1)
	v_mov_b32_e32 v6, v45
	v_mov_b32_e32 v9, v7
	s_waitcnt lgkmcnt(0)
	v_pk_mul_f32 v[6:7], v[16:17], v[6:7] op_sel_hi:[1,0]
	v_pk_add_f32 v[4:5], v[4:5], v[8:9]
	s_waitcnt vmcnt(0)
	v_pk_fma_f32 v[8:9], v[16:17], v[44:45], v[6:7] op_sel:[0,0,1] op_sel_hi:[1,1,0] neg_lo:[0,0,1] neg_hi:[0,0,1]
	v_pk_fma_f32 v[6:7], v[16:17], v[44:45], v[6:7] op_sel:[0,0,1] op_sel_hi:[1,0,0]
	v_mov_b32_e32 v9, v7
	v_pk_add_f32 v[4:5], v[4:5], v[8:9]
	v_pk_add_f32 v[2:3], v[2:3], v[4:5] neg_lo:[0,1] neg_hi:[0,1]
	buffer_store_dword v3, off, s[0:3], 0 offset:268
	buffer_store_dword v2, off, s[0:3], 0 offset:264
	s_and_saveexec_b64 s[4:5], vcc
	s_cbranch_execz .LBB50_255
; %bb.254:
	buffer_load_dword v2, off, s[0:3], 0 offset:256
	buffer_load_dword v3, off, s[0:3], 0 offset:260
	s_waitcnt vmcnt(0)
	ds_write_b64 v121, v[2:3]
	buffer_store_dword v1, off, s[0:3], 0 offset:256
	buffer_store_dword v1, off, s[0:3], 0 offset:260
.LBB50_255:
	s_or_b64 exec, exec, s[4:5]
	s_waitcnt lgkmcnt(0)
	; wave barrier
	s_waitcnt lgkmcnt(0)
	buffer_load_dword v44, off, s[0:3], 0 offset:268
	buffer_load_dword v46, off, s[0:3], 0 offset:276
	;; [unrolled: 1-line block ×22, first 2 shown]
	ds_read2_b64 v[2:5], v1 offset0:85 offset1:86
	ds_read2_b64 v[6:9], v1 offset0:87 offset1:88
	buffer_load_dword v29, off, s[0:3], 0 offset:348
	buffer_load_dword v28, off, s[0:3], 0 offset:344
	;; [unrolled: 1-line block ×10, first 2 shown]
	ds_read2_b64 v[10:13], v1 offset0:89 offset1:90
	ds_read2_b64 v[14:17], v1 offset0:91 offset1:92
	;; [unrolled: 1-line block ×4, first 2 shown]
	buffer_load_dword v39, off, s[0:3], 0 offset:404
	buffer_load_dword v38, off, s[0:3], 0 offset:400
	;; [unrolled: 1-line block ×6, first 2 shown]
	v_cmp_lt_u32_e32 vcc, 31, v0
	s_waitcnt vmcnt(37) lgkmcnt(5)
	v_mul_f32_e32 v66, v2, v44
	s_waitcnt vmcnt(36)
	v_mul_f32_e32 v67, v4, v46
	s_waitcnt vmcnt(35) lgkmcnt(4)
	v_mul_f32_e32 v68, v6, v48
	v_mul_f32_e32 v44, v3, v44
	;; [unrolled: 1-line block ×4, first 2 shown]
	s_waitcnt vmcnt(34)
	v_mul_f32_e32 v69, v8, v49
	s_waitcnt vmcnt(33) lgkmcnt(3)
	v_mul_f32_e32 v70, v10, v50
	s_waitcnt vmcnt(32)
	v_mul_f32_e32 v71, v12, v51
	s_waitcnt vmcnt(31) lgkmcnt(2)
	v_mul_f32_e32 v72, v14, v52
	s_waitcnt vmcnt(27)
	v_fmac_f32_e32 v66, v3, v56
	s_waitcnt vmcnt(26)
	v_fmac_f32_e32 v67, v5, v57
	;; [unrolled: 2-line block ×3, first 2 shown]
	v_fma_f32 v2, v2, v56, -v44
	v_add_f32_e32 v7, 0, v66
	v_fma_f32 v3, v4, v57, -v46
	v_add_f32_e32 v2, 0, v2
	v_add_f32_e32 v7, v7, v67
	s_waitcnt vmcnt(24)
	v_fmac_f32_e32 v69, v9, v59
	v_add_f32_e32 v2, v2, v3
	v_add_f32_e32 v3, v7, v68
	s_waitcnt vmcnt(23)
	v_fmac_f32_e32 v70, v11, v60
	v_add_f32_e32 v3, v3, v69
	v_mul_f32_e32 v49, v9, v49
	s_waitcnt vmcnt(22)
	v_fmac_f32_e32 v71, v13, v61
	v_fma_f32 v4, v6, v58, -v48
	v_add_f32_e32 v3, v3, v70
	v_mul_f32_e32 v73, v16, v53
	v_mul_f32_e32 v50, v11, v50
	s_waitcnt vmcnt(21)
	v_fmac_f32_e32 v72, v15, v62
	v_fma_f32 v5, v8, v59, -v49
	v_add_f32_e32 v2, v2, v4
	v_add_f32_e32 v3, v3, v71
	v_mul_f32_e32 v51, v13, v51
	s_waitcnt vmcnt(20)
	v_fmac_f32_e32 v73, v17, v63
	v_fma_f32 v6, v10, v60, -v50
	v_add_f32_e32 v2, v2, v5
	v_add_f32_e32 v3, v3, v72
	;; [unrolled: 1-line block ×4, first 2 shown]
	v_fma_f32 v3, v12, v61, -v51
	v_add_f32_e32 v2, v2, v3
	v_mul_f32_e32 v3, v15, v52
	v_fma_f32 v3, v14, v62, -v3
	v_add_f32_e32 v2, v2, v3
	v_mul_f32_e32 v3, v17, v53
	v_fma_f32 v3, v16, v63, -v3
	s_waitcnt vmcnt(15)
	v_mov_b32_e32 v16, v29
	s_waitcnt lgkmcnt(1)
	v_mul_f32_e32 v45, v18, v54
	v_add_f32_e32 v48, v2, v3
	v_mul_f32_e32 v2, v19, v54
	s_waitcnt lgkmcnt(0)
	v_pk_mul_f32 v[16:17], v[22:23], v[16:17] op_sel_hi:[1,0]
	v_mul_f32_e32 v47, v20, v55
	v_fmac_f32_e32 v45, v19, v64
	v_fma_f32 v44, v18, v64, -v2
	v_mul_f32_e32 v2, v21, v55
	s_waitcnt vmcnt(14)
	v_pk_fma_f32 v[18:19], v[22:23], v[28:29], v[16:17] op_sel:[0,0,1] op_sel_hi:[1,1,0] neg_lo:[0,0,1] neg_hi:[0,0,1]
	v_pk_fma_f32 v[16:17], v[22:23], v[28:29], v[16:17] op_sel:[0,0,1] op_sel_hi:[1,0,0]
	v_fmac_f32_e32 v47, v21, v65
	v_fma_f32 v46, v20, v65, -v2
	v_pk_add_f32 v[14:15], v[48:49], v[44:45]
	s_waitcnt vmcnt(13)
	v_mov_b32_e32 v16, v31
	ds_read2_b64 v[2:5], v1 offset0:97 offset1:98
	ds_read2_b64 v[6:9], v1 offset0:99 offset1:100
	;; [unrolled: 1-line block ×3, first 2 shown]
	v_pk_add_f32 v[14:15], v[14:15], v[46:47]
	v_mov_b32_e32 v19, v17
	v_pk_mul_f32 v[16:17], v[24:25], v[16:17] op_sel_hi:[1,0]
	v_pk_add_f32 v[14:15], v[14:15], v[18:19]
	s_waitcnt vmcnt(6)
	v_pk_fma_f32 v[18:19], v[24:25], v[30:31], v[16:17] op_sel:[0,0,1] op_sel_hi:[1,1,0] neg_lo:[0,0,1] neg_hi:[0,0,1]
	v_pk_fma_f32 v[16:17], v[24:25], v[30:31], v[16:17] op_sel:[0,0,1] op_sel_hi:[1,0,0]
	v_mov_b32_e32 v16, v37
	v_mov_b32_e32 v19, v17
	s_waitcnt lgkmcnt(2)
	v_pk_mul_f32 v[16:17], v[2:3], v[16:17] op_sel_hi:[1,0]
	v_pk_add_f32 v[14:15], v[14:15], v[18:19]
	v_pk_fma_f32 v[18:19], v[2:3], v[36:37], v[16:17] op_sel:[0,0,1] op_sel_hi:[1,1,0] neg_lo:[0,0,1] neg_hi:[0,0,1]
	v_pk_fma_f32 v[2:3], v[2:3], v[36:37], v[16:17] op_sel:[0,0,1] op_sel_hi:[1,0,0]
	v_mov_b32_e32 v19, v3
	v_pk_add_f32 v[2:3], v[14:15], v[18:19]
	v_mov_b32_e32 v14, v35
	v_pk_mul_f32 v[14:15], v[4:5], v[14:15] op_sel_hi:[1,0]
	v_pk_fma_f32 v[16:17], v[4:5], v[34:35], v[14:15] op_sel:[0,0,1] op_sel_hi:[1,1,0] neg_lo:[0,0,1] neg_hi:[0,0,1]
	v_pk_fma_f32 v[4:5], v[4:5], v[34:35], v[14:15] op_sel:[0,0,1] op_sel_hi:[1,0,0]
	v_mov_b32_e32 v4, v33
	v_mov_b32_e32 v17, v5
	s_waitcnt lgkmcnt(1)
	v_pk_mul_f32 v[4:5], v[6:7], v[4:5] op_sel_hi:[1,0]
	v_pk_fma_f32 v[14:15], v[6:7], v[32:33], v[4:5] op_sel:[0,0,1] op_sel_hi:[1,1,0] neg_lo:[0,0,1] neg_hi:[0,0,1]
	v_pk_fma_f32 v[4:5], v[6:7], v[32:33], v[4:5] op_sel:[0,0,1] op_sel_hi:[1,0,0]
	s_waitcnt vmcnt(1)
	v_mov_b32_e32 v4, v43
	v_mov_b32_e32 v15, v5
	v_pk_mul_f32 v[4:5], v[8:9], v[4:5] op_sel_hi:[1,0]
	s_waitcnt vmcnt(0)
	v_pk_fma_f32 v[6:7], v[8:9], v[42:43], v[4:5] op_sel:[0,0,1] op_sel_hi:[1,1,0] neg_lo:[0,0,1] neg_hi:[0,0,1]
	v_pk_fma_f32 v[4:5], v[8:9], v[42:43], v[4:5] op_sel:[0,0,1] op_sel_hi:[1,0,0]
	v_pk_add_f32 v[2:3], v[2:3], v[16:17]
	v_mov_b32_e32 v4, v41
	v_pk_add_f32 v[2:3], v[2:3], v[14:15]
	v_mov_b32_e32 v7, v5
	s_waitcnt lgkmcnt(0)
	v_pk_mul_f32 v[4:5], v[10:11], v[4:5] op_sel_hi:[1,0]
	v_pk_add_f32 v[2:3], v[2:3], v[6:7]
	v_pk_fma_f32 v[6:7], v[10:11], v[40:41], v[4:5] op_sel:[0,0,1] op_sel_hi:[1,1,0] neg_lo:[0,0,1] neg_hi:[0,0,1]
	v_pk_fma_f32 v[4:5], v[10:11], v[40:41], v[4:5] op_sel:[0,0,1] op_sel_hi:[1,0,0]
	v_mov_b32_e32 v4, v39
	v_mov_b32_e32 v7, v5
	v_pk_mul_f32 v[4:5], v[12:13], v[4:5] op_sel_hi:[1,0]
	v_pk_add_f32 v[2:3], v[2:3], v[6:7]
	v_pk_fma_f32 v[6:7], v[12:13], v[38:39], v[4:5] op_sel:[0,0,1] op_sel_hi:[1,1,0] neg_lo:[0,0,1] neg_hi:[0,0,1]
	v_pk_fma_f32 v[4:5], v[12:13], v[38:39], v[4:5] op_sel:[0,0,1] op_sel_hi:[1,0,0]
	v_mov_b32_e32 v7, v5
	v_pk_add_f32 v[2:3], v[2:3], v[6:7]
	v_pk_add_f32 v[2:3], v[26:27], v[2:3] neg_lo:[0,1] neg_hi:[0,1]
	buffer_store_dword v3, off, s[0:3], 0 offset:260
	buffer_store_dword v2, off, s[0:3], 0 offset:256
	s_and_saveexec_b64 s[4:5], vcc
	s_cbranch_execz .LBB50_257
; %bb.256:
	buffer_load_dword v2, off, s[0:3], 0 offset:248
	buffer_load_dword v3, off, s[0:3], 0 offset:252
	v_mov_b32_e32 v1, 0
	buffer_store_dword v1, off, s[0:3], 0 offset:248
	buffer_store_dword v1, off, s[0:3], 0 offset:252
	s_waitcnt vmcnt(2)
	ds_write_b64 v121, v[2:3]
.LBB50_257:
	s_or_b64 exec, exec, s[4:5]
	s_waitcnt lgkmcnt(0)
	; wave barrier
	s_waitcnt lgkmcnt(0)
	buffer_load_dword v44, off, s[0:3], 0 offset:260
	buffer_load_dword v46, off, s[0:3], 0 offset:268
	;; [unrolled: 1-line block ×40, first 2 shown]
	v_mov_b32_e32 v1, 0
	ds_read_b128 v[2:5], v1 offset:672
	ds_read_b128 v[6:9], v1 offset:688
	;; [unrolled: 1-line block ×6, first 2 shown]
	v_cmp_lt_u32_e32 vcc, 30, v0
	s_waitcnt vmcnt(39) lgkmcnt(5)
	v_mul_f32_e32 v68, v2, v44
	s_waitcnt vmcnt(38)
	v_mul_f32_e32 v69, v4, v46
	s_waitcnt vmcnt(37) lgkmcnt(4)
	v_mul_f32_e32 v70, v6, v48
	v_mul_f32_e32 v44, v3, v44
	;; [unrolled: 1-line block ×4, first 2 shown]
	s_waitcnt vmcnt(36)
	v_mul_f32_e32 v71, v8, v49
	s_waitcnt vmcnt(35) lgkmcnt(3)
	v_mul_f32_e32 v72, v10, v50
	s_waitcnt vmcnt(34)
	v_mul_f32_e32 v73, v12, v51
	s_waitcnt vmcnt(33) lgkmcnt(2)
	v_mul_f32_e32 v74, v14, v52
	s_waitcnt vmcnt(32)
	v_mul_f32_e32 v75, v16, v53
	s_waitcnt vmcnt(28)
	v_fmac_f32_e32 v68, v3, v57
	s_waitcnt vmcnt(27)
	v_fmac_f32_e32 v69, v5, v58
	v_fma_f32 v2, v2, v57, -v44
	v_fma_f32 v3, v4, v58, -v46
	s_waitcnt vmcnt(26)
	v_fma_f32 v4, v6, v59, -v48
	v_add_f32_e32 v6, 0, v68
	v_fmac_f32_e32 v70, v7, v59
	v_add_f32_e32 v2, 0, v2
	v_add_f32_e32 v6, v6, v69
	s_waitcnt vmcnt(25)
	v_fmac_f32_e32 v71, v9, v60
	v_add_f32_e32 v2, v2, v3
	v_add_f32_e32 v3, v6, v70
	s_waitcnt vmcnt(24)
	v_fmac_f32_e32 v72, v11, v61
	v_add_f32_e32 v3, v3, v71
	s_waitcnt vmcnt(23)
	v_fmac_f32_e32 v73, v13, v62
	;; [unrolled: 3-line block ×3, first 2 shown]
	v_add_f32_e32 v3, v3, v73
	s_waitcnt lgkmcnt(1)
	v_mul_f32_e32 v76, v18, v54
	s_waitcnt vmcnt(21)
	v_fmac_f32_e32 v75, v17, v64
	v_add_f32_e32 v3, v3, v74
	v_mul_f32_e32 v49, v9, v49
	s_waitcnt vmcnt(20)
	v_fmac_f32_e32 v76, v19, v65
	v_add_f32_e32 v3, v3, v75
	v_fma_f32 v5, v8, v60, -v49
	v_add_f32_e32 v2, v2, v4
	v_add_f32_e32 v49, v3, v76
	v_mul_f32_e32 v3, v11, v50
	v_add_f32_e32 v2, v2, v5
	v_fma_f32 v3, v10, v61, -v3
	v_add_f32_e32 v2, v2, v3
	v_mul_f32_e32 v3, v13, v51
	v_fma_f32 v3, v12, v62, -v3
	v_add_f32_e32 v2, v2, v3
	v_mul_f32_e32 v3, v15, v52
	;; [unrolled: 3-line block ×5, first 2 shown]
	s_waitcnt vmcnt(9)
	v_mov_b32_e32 v18, v35
	v_mul_f32_e32 v45, v20, v55
	v_fma_f32 v44, v20, v66, -v2
	s_waitcnt lgkmcnt(0)
	v_mul_f32_e32 v2, v23, v56
	v_pk_mul_f32 v[18:19], v[24:25], v[18:19] op_sel_hi:[1,0]
	v_mul_f32_e32 v47, v22, v56
	v_fmac_f32_e32 v45, v21, v66
	v_fma_f32 v46, v22, v67, -v2
	ds_read_b128 v[2:5], v1 offset:768
	ds_read_b128 v[6:9], v1 offset:784
	;; [unrolled: 1-line block ×3, first 2 shown]
	ds_read_b64 v[14:15], v1 offset:816
	s_waitcnt vmcnt(8)
	v_pk_fma_f32 v[20:21], v[24:25], v[34:35], v[18:19] op_sel:[0,0,1] op_sel_hi:[1,1,0] neg_lo:[0,0,1] neg_hi:[0,0,1]
	v_pk_fma_f32 v[18:19], v[24:25], v[34:35], v[18:19] op_sel:[0,0,1] op_sel_hi:[1,0,0]
	v_fmac_f32_e32 v47, v23, v67
	v_pk_add_f32 v[16:17], v[48:49], v[44:45]
	v_mov_b32_e32 v18, v33
	v_pk_add_f32 v[16:17], v[16:17], v[46:47]
	v_mov_b32_e32 v21, v19
	s_waitcnt lgkmcnt(3)
	v_pk_mul_f32 v[18:19], v[2:3], v[18:19] op_sel_hi:[1,0]
	v_pk_add_f32 v[16:17], v[16:17], v[20:21]
	v_pk_fma_f32 v[20:21], v[2:3], v[32:33], v[18:19] op_sel:[0,0,1] op_sel_hi:[1,1,0] neg_lo:[0,0,1] neg_hi:[0,0,1]
	v_pk_fma_f32 v[2:3], v[2:3], v[32:33], v[18:19] op_sel:[0,0,1] op_sel_hi:[1,0,0]
	v_mov_b32_e32 v21, v3
	v_pk_add_f32 v[2:3], v[16:17], v[20:21]
	v_mov_b32_e32 v16, v31
	v_pk_mul_f32 v[16:17], v[4:5], v[16:17] op_sel_hi:[1,0]
	v_pk_fma_f32 v[18:19], v[4:5], v[30:31], v[16:17] op_sel:[0,0,1] op_sel_hi:[1,1,0] neg_lo:[0,0,1] neg_hi:[0,0,1]
	v_pk_fma_f32 v[4:5], v[4:5], v[30:31], v[16:17] op_sel:[0,0,1] op_sel_hi:[1,0,0]
	v_mov_b32_e32 v4, v29
	v_mov_b32_e32 v19, v5
	s_waitcnt lgkmcnt(2)
	v_pk_mul_f32 v[4:5], v[6:7], v[4:5] op_sel_hi:[1,0]
	v_pk_fma_f32 v[16:17], v[6:7], v[28:29], v[4:5] op_sel:[0,0,1] op_sel_hi:[1,1,0] neg_lo:[0,0,1] neg_hi:[0,0,1]
	v_pk_fma_f32 v[4:5], v[6:7], v[28:29], v[4:5] op_sel:[0,0,1] op_sel_hi:[1,0,0]
	s_waitcnt vmcnt(1)
	v_mov_b32_e32 v4, v43
	v_mov_b32_e32 v17, v5
	v_pk_mul_f32 v[4:5], v[8:9], v[4:5] op_sel_hi:[1,0]
	s_waitcnt vmcnt(0)
	v_pk_fma_f32 v[6:7], v[8:9], v[42:43], v[4:5] op_sel:[0,0,1] op_sel_hi:[1,1,0] neg_lo:[0,0,1] neg_hi:[0,0,1]
	v_pk_fma_f32 v[4:5], v[8:9], v[42:43], v[4:5] op_sel:[0,0,1] op_sel_hi:[1,0,0]
	v_pk_add_f32 v[2:3], v[2:3], v[18:19]
	v_mov_b32_e32 v4, v41
	v_pk_add_f32 v[2:3], v[2:3], v[16:17]
	v_mov_b32_e32 v7, v5
	s_waitcnt lgkmcnt(1)
	v_pk_mul_f32 v[4:5], v[10:11], v[4:5] op_sel_hi:[1,0]
	v_pk_add_f32 v[2:3], v[2:3], v[6:7]
	v_pk_fma_f32 v[6:7], v[10:11], v[40:41], v[4:5] op_sel:[0,0,1] op_sel_hi:[1,1,0] neg_lo:[0,0,1] neg_hi:[0,0,1]
	v_pk_fma_f32 v[4:5], v[10:11], v[40:41], v[4:5] op_sel:[0,0,1] op_sel_hi:[1,0,0]
	v_mov_b32_e32 v4, v39
	v_mov_b32_e32 v7, v5
	v_pk_mul_f32 v[4:5], v[12:13], v[4:5] op_sel_hi:[1,0]
	v_pk_add_f32 v[2:3], v[2:3], v[6:7]
	v_pk_fma_f32 v[6:7], v[12:13], v[38:39], v[4:5] op_sel:[0,0,1] op_sel_hi:[1,1,0] neg_lo:[0,0,1] neg_hi:[0,0,1]
	v_pk_fma_f32 v[4:5], v[12:13], v[38:39], v[4:5] op_sel:[0,0,1] op_sel_hi:[1,0,0]
	v_mov_b32_e32 v4, v37
	v_mov_b32_e32 v7, v5
	s_waitcnt lgkmcnt(0)
	v_pk_mul_f32 v[4:5], v[14:15], v[4:5] op_sel_hi:[1,0]
	v_pk_add_f32 v[2:3], v[2:3], v[6:7]
	v_pk_fma_f32 v[6:7], v[14:15], v[36:37], v[4:5] op_sel:[0,0,1] op_sel_hi:[1,1,0] neg_lo:[0,0,1] neg_hi:[0,0,1]
	v_pk_fma_f32 v[4:5], v[14:15], v[36:37], v[4:5] op_sel:[0,0,1] op_sel_hi:[1,0,0]
	v_mov_b32_e32 v7, v5
	v_pk_add_f32 v[2:3], v[2:3], v[6:7]
	v_pk_add_f32 v[2:3], v[26:27], v[2:3] neg_lo:[0,1] neg_hi:[0,1]
	buffer_store_dword v3, off, s[0:3], 0 offset:252
	buffer_store_dword v2, off, s[0:3], 0 offset:248
	s_and_saveexec_b64 s[4:5], vcc
	s_cbranch_execz .LBB50_259
; %bb.258:
	buffer_load_dword v2, off, s[0:3], 0 offset:240
	buffer_load_dword v3, off, s[0:3], 0 offset:244
	s_waitcnt vmcnt(0)
	ds_write_b64 v121, v[2:3]
	buffer_store_dword v1, off, s[0:3], 0 offset:240
	buffer_store_dword v1, off, s[0:3], 0 offset:244
.LBB50_259:
	s_or_b64 exec, exec, s[4:5]
	s_waitcnt lgkmcnt(0)
	; wave barrier
	s_waitcnt lgkmcnt(0)
	buffer_load_dword v44, off, s[0:3], 0 offset:252
	buffer_load_dword v46, off, s[0:3], 0 offset:260
	;; [unrolled: 1-line block ×26, first 2 shown]
	ds_read2_b64 v[2:5], v1 offset0:83 offset1:84
	ds_read2_b64 v[6:9], v1 offset0:85 offset1:86
	;; [unrolled: 1-line block ×6, first 2 shown]
	buffer_load_dword v29, off, s[0:3], 0 offset:364
	buffer_load_dword v28, off, s[0:3], 0 offset:360
	;; [unrolled: 1-line block ×16, first 2 shown]
	v_cmp_lt_u32_e32 vcc, 29, v0
	s_waitcnt vmcnt(41) lgkmcnt(5)
	v_mul_f32_e32 v70, v2, v44
	s_waitcnt vmcnt(40)
	v_mul_f32_e32 v71, v4, v46
	v_mul_f32_e32 v44, v3, v44
	s_waitcnt vmcnt(39) lgkmcnt(4)
	v_mul_f32_e32 v72, v6, v48
	v_mul_f32_e32 v46, v5, v46
	s_waitcnt vmcnt(38)
	v_mul_f32_e32 v73, v8, v50
	s_waitcnt vmcnt(37) lgkmcnt(3)
	v_mul_f32_e32 v74, v10, v51
	s_waitcnt vmcnt(36)
	v_mul_f32_e32 v75, v12, v52
	s_waitcnt vmcnt(35) lgkmcnt(2)
	;; [unrolled: 4-line block ×3, first 2 shown]
	v_mul_f32_e32 v78, v18, v55
	s_waitcnt vmcnt(32)
	v_mul_f32_e32 v79, v20, v56
	s_waitcnt vmcnt(29)
	v_fmac_f32_e32 v70, v3, v49
	s_waitcnt vmcnt(28)
	v_fmac_f32_e32 v71, v5, v59
	v_fma_f32 v2, v2, v49, -v44
	v_add_f32_e32 v5, 0, v70
	s_waitcnt vmcnt(27)
	v_fmac_f32_e32 v72, v7, v60
	v_fma_f32 v3, v4, v59, -v46
	v_add_f32_e32 v2, 0, v2
	v_add_f32_e32 v5, v5, v71
	s_waitcnt vmcnt(26)
	v_fmac_f32_e32 v73, v9, v61
	v_add_f32_e32 v2, v2, v3
	v_add_f32_e32 v3, v5, v72
	s_waitcnt vmcnt(25)
	v_fmac_f32_e32 v74, v11, v62
	v_add_f32_e32 v3, v3, v73
	s_waitcnt vmcnt(24)
	v_fmac_f32_e32 v75, v13, v63
	;; [unrolled: 3-line block ×5, first 2 shown]
	v_add_f32_e32 v3, v3, v77
	v_mul_f32_e32 v48, v7, v48
	s_waitcnt vmcnt(20)
	v_fmac_f32_e32 v79, v21, v67
	v_add_f32_e32 v3, v3, v78
	v_fma_f32 v4, v6, v60, -v48
	v_add_f32_e32 v49, v3, v79
	v_mul_f32_e32 v3, v9, v50
	v_add_f32_e32 v2, v2, v4
	v_fma_f32 v3, v8, v61, -v3
	v_add_f32_e32 v2, v2, v3
	v_mul_f32_e32 v3, v11, v51
	v_fma_f32 v3, v10, v62, -v3
	v_add_f32_e32 v2, v2, v3
	v_mul_f32_e32 v3, v13, v52
	v_fma_f32 v3, v12, v63, -v3
	v_add_f32_e32 v2, v2, v3
	v_mul_f32_e32 v3, v15, v53
	v_fma_f32 v3, v14, v64, -v3
	v_add_f32_e32 v2, v2, v3
	v_mul_f32_e32 v3, v17, v54
	v_fma_f32 v3, v16, v65, -v3
	v_add_f32_e32 v2, v2, v3
	v_mul_f32_e32 v3, v19, v55
	v_fma_f32 v3, v18, v66, -v3
	v_add_f32_e32 v2, v2, v3
	v_mul_f32_e32 v3, v21, v56
	v_fma_f32 v3, v20, v67, -v3
	v_add_f32_e32 v48, v2, v3
	s_waitcnt lgkmcnt(0)
	v_mul_f32_e32 v2, v23, v57
	s_waitcnt vmcnt(19)
	v_fma_f32 v44, v22, v68, -v2
	v_mul_f32_e32 v2, v25, v58
	s_waitcnt vmcnt(18)
	v_fma_f32 v46, v24, v69, -v2
	ds_read2_b64 v[2:5], v1 offset0:95 offset1:96
	ds_read2_b64 v[6:9], v1 offset0:97 offset1:98
	;; [unrolled: 1-line block ×4, first 2 shown]
	v_mul_f32_e32 v45, v22, v57
	s_waitcnt vmcnt(11)
	v_mov_b32_e32 v20, v33
	v_mul_f32_e32 v47, v24, v58
	v_fmac_f32_e32 v45, v23, v68
	s_waitcnt lgkmcnt(3)
	v_pk_mul_f32 v[20:21], v[2:3], v[20:21] op_sel_hi:[1,0]
	v_fmac_f32_e32 v47, v25, v69
	v_pk_add_f32 v[18:19], v[48:49], v[44:45]
	s_waitcnt vmcnt(10)
	v_pk_fma_f32 v[22:23], v[2:3], v[32:33], v[20:21] op_sel:[0,0,1] op_sel_hi:[1,1,0] neg_lo:[0,0,1] neg_hi:[0,0,1]
	v_pk_fma_f32 v[2:3], v[2:3], v[32:33], v[20:21] op_sel:[0,0,1] op_sel_hi:[1,0,0]
	v_pk_add_f32 v[18:19], v[18:19], v[46:47]
	v_mov_b32_e32 v23, v3
	v_pk_add_f32 v[2:3], v[18:19], v[22:23]
	v_mov_b32_e32 v18, v31
	v_pk_mul_f32 v[18:19], v[4:5], v[18:19] op_sel_hi:[1,0]
	v_pk_fma_f32 v[20:21], v[4:5], v[30:31], v[18:19] op_sel:[0,0,1] op_sel_hi:[1,1,0] neg_lo:[0,0,1] neg_hi:[0,0,1]
	v_pk_fma_f32 v[4:5], v[4:5], v[30:31], v[18:19] op_sel:[0,0,1] op_sel_hi:[1,0,0]
	v_mov_b32_e32 v4, v29
	v_mov_b32_e32 v21, v5
	s_waitcnt lgkmcnt(2)
	v_pk_mul_f32 v[4:5], v[6:7], v[4:5] op_sel_hi:[1,0]
	v_pk_fma_f32 v[18:19], v[6:7], v[28:29], v[4:5] op_sel:[0,0,1] op_sel_hi:[1,1,0] neg_lo:[0,0,1] neg_hi:[0,0,1]
	v_pk_fma_f32 v[4:5], v[6:7], v[28:29], v[4:5] op_sel:[0,0,1] op_sel_hi:[1,0,0]
	s_waitcnt vmcnt(3)
	v_mov_b32_e32 v4, v41
	v_mov_b32_e32 v19, v5
	v_pk_mul_f32 v[4:5], v[8:9], v[4:5] op_sel_hi:[1,0]
	s_waitcnt vmcnt(2)
	v_pk_fma_f32 v[6:7], v[8:9], v[40:41], v[4:5] op_sel:[0,0,1] op_sel_hi:[1,1,0] neg_lo:[0,0,1] neg_hi:[0,0,1]
	v_pk_fma_f32 v[4:5], v[8:9], v[40:41], v[4:5] op_sel:[0,0,1] op_sel_hi:[1,0,0]
	v_pk_add_f32 v[2:3], v[2:3], v[20:21]
	v_mov_b32_e32 v4, v39
	v_pk_add_f32 v[2:3], v[2:3], v[18:19]
	v_mov_b32_e32 v7, v5
	s_waitcnt lgkmcnt(1)
	v_pk_mul_f32 v[4:5], v[10:11], v[4:5] op_sel_hi:[1,0]
	v_pk_add_f32 v[2:3], v[2:3], v[6:7]
	v_pk_fma_f32 v[6:7], v[10:11], v[38:39], v[4:5] op_sel:[0,0,1] op_sel_hi:[1,1,0] neg_lo:[0,0,1] neg_hi:[0,0,1]
	v_pk_fma_f32 v[4:5], v[10:11], v[38:39], v[4:5] op_sel:[0,0,1] op_sel_hi:[1,0,0]
	v_mov_b32_e32 v4, v37
	v_mov_b32_e32 v7, v5
	v_pk_mul_f32 v[4:5], v[12:13], v[4:5] op_sel_hi:[1,0]
	v_pk_add_f32 v[2:3], v[2:3], v[6:7]
	v_pk_fma_f32 v[6:7], v[12:13], v[36:37], v[4:5] op_sel:[0,0,1] op_sel_hi:[1,1,0] neg_lo:[0,0,1] neg_hi:[0,0,1]
	v_pk_fma_f32 v[4:5], v[12:13], v[36:37], v[4:5] op_sel:[0,0,1] op_sel_hi:[1,0,0]
	v_mov_b32_e32 v4, v35
	v_mov_b32_e32 v7, v5
	s_waitcnt lgkmcnt(0)
	v_pk_mul_f32 v[4:5], v[14:15], v[4:5] op_sel_hi:[1,0]
	v_pk_add_f32 v[2:3], v[2:3], v[6:7]
	v_pk_fma_f32 v[6:7], v[14:15], v[34:35], v[4:5] op_sel:[0,0,1] op_sel_hi:[1,1,0] neg_lo:[0,0,1] neg_hi:[0,0,1]
	v_pk_fma_f32 v[4:5], v[14:15], v[34:35], v[4:5] op_sel:[0,0,1] op_sel_hi:[1,0,0]
	s_waitcnt vmcnt(1)
	v_mov_b32_e32 v4, v43
	v_mov_b32_e32 v7, v5
	v_pk_mul_f32 v[4:5], v[16:17], v[4:5] op_sel_hi:[1,0]
	v_pk_add_f32 v[2:3], v[2:3], v[6:7]
	s_waitcnt vmcnt(0)
	v_pk_fma_f32 v[6:7], v[16:17], v[42:43], v[4:5] op_sel:[0,0,1] op_sel_hi:[1,1,0] neg_lo:[0,0,1] neg_hi:[0,0,1]
	v_pk_fma_f32 v[4:5], v[16:17], v[42:43], v[4:5] op_sel:[0,0,1] op_sel_hi:[1,0,0]
	v_mov_b32_e32 v7, v5
	v_pk_add_f32 v[2:3], v[2:3], v[6:7]
	v_pk_add_f32 v[2:3], v[26:27], v[2:3] neg_lo:[0,1] neg_hi:[0,1]
	buffer_store_dword v3, off, s[0:3], 0 offset:244
	buffer_store_dword v2, off, s[0:3], 0 offset:240
	s_and_saveexec_b64 s[4:5], vcc
	s_cbranch_execz .LBB50_261
; %bb.260:
	buffer_load_dword v2, off, s[0:3], 0 offset:232
	buffer_load_dword v3, off, s[0:3], 0 offset:236
	v_mov_b32_e32 v1, 0
	buffer_store_dword v1, off, s[0:3], 0 offset:232
	buffer_store_dword v1, off, s[0:3], 0 offset:236
	s_waitcnt vmcnt(2)
	ds_write_b64 v121, v[2:3]
.LBB50_261:
	s_or_b64 exec, exec, s[4:5]
	s_waitcnt lgkmcnt(0)
	; wave barrier
	s_waitcnt lgkmcnt(0)
	buffer_load_dword v52, off, s[0:3], 0 offset:244
	buffer_load_dword v54, off, s[0:3], 0 offset:252
	;; [unrolled: 1-line block ×44, first 2 shown]
	v_mov_b32_e32 v1, 0
	ds_read_b128 v[2:5], v1 offset:656
	ds_read_b128 v[6:9], v1 offset:672
	;; [unrolled: 1-line block ×8, first 2 shown]
	v_cmp_lt_u32_e32 vcc, 28, v0
	s_waitcnt vmcnt(43) lgkmcnt(7)
	v_mul_f32_e32 v57, v2, v52
	s_waitcnt vmcnt(42)
	v_mul_f32_e32 v81, v4, v54
	s_waitcnt vmcnt(41) lgkmcnt(6)
	v_mul_f32_e32 v82, v6, v56
	v_mul_f32_e32 v52, v3, v52
	s_waitcnt vmcnt(40)
	v_mul_f32_e32 v83, v8, v58
	s_waitcnt vmcnt(39) lgkmcnt(5)
	v_mul_f32_e32 v84, v10, v59
	s_waitcnt vmcnt(38)
	v_mul_f32_e32 v85, v12, v60
	s_waitcnt vmcnt(37) lgkmcnt(4)
	;; [unrolled: 4-line block ×4, first 2 shown]
	v_mul_f32_e32 v90, v22, v65
	s_waitcnt vmcnt(32)
	v_mul_f32_e32 v53, v24, v66
	s_waitcnt vmcnt(30)
	v_fmac_f32_e32 v57, v3, v68
	s_waitcnt vmcnt(29)
	v_fmac_f32_e32 v81, v5, v69
	v_add_f32_e32 v3, 0, v57
	s_waitcnt vmcnt(28)
	v_fmac_f32_e32 v82, v7, v70
	v_add_f32_e32 v3, v3, v81
	;; [unrolled: 3-line block ×10, first 2 shown]
	v_add_f32_e32 v57, v3, v90
	v_fma_f32 v2, v2, v68, -v52
	v_mul_f32_e32 v3, v5, v54
	v_add_f32_e32 v2, 0, v2
	v_fma_f32 v3, v4, v69, -v3
	v_add_f32_e32 v2, v2, v3
	v_mul_f32_e32 v3, v7, v56
	v_fma_f32 v3, v6, v70, -v3
	v_add_f32_e32 v2, v2, v3
	v_mul_f32_e32 v3, v9, v58
	v_fma_f32 v3, v8, v71, -v3
	v_add_f32_e32 v2, v2, v3
	v_mul_f32_e32 v3, v11, v59
	v_fma_f32 v3, v10, v72, -v3
	v_add_f32_e32 v2, v2, v3
	v_mul_f32_e32 v3, v13, v60
	v_fma_f32 v3, v12, v73, -v3
	v_add_f32_e32 v2, v2, v3
	v_mul_f32_e32 v3, v15, v61
	v_fma_f32 v3, v14, v74, -v3
	v_add_f32_e32 v2, v2, v3
	v_mul_f32_e32 v3, v17, v62
	v_fma_f32 v3, v16, v75, -v3
	v_add_f32_e32 v2, v2, v3
	v_mul_f32_e32 v3, v19, v63
	v_fma_f32 v3, v18, v76, -v3
	v_add_f32_e32 v2, v2, v3
	v_mul_f32_e32 v3, v21, v64
	v_fma_f32 v3, v20, v77, -v3
	v_add_f32_e32 v2, v2, v3
	v_mul_f32_e32 v3, v23, v65
	v_fma_f32 v3, v22, v78, -v3
	s_waitcnt vmcnt(13)
	v_mov_b32_e32 v14, v39
	v_add_f32_e32 v56, v2, v3
	v_mul_f32_e32 v2, v25, v66
	s_waitcnt lgkmcnt(1)
	v_pk_mul_f32 v[14:15], v[28:29], v[14:15] op_sel_hi:[1,0]
	v_mul_f32_e32 v55, v26, v67
	v_fmac_f32_e32 v53, v25, v79
	v_fma_f32 v52, v24, v79, -v2
	v_mul_f32_e32 v2, v27, v67
	s_waitcnt vmcnt(12)
	v_pk_fma_f32 v[16:17], v[28:29], v[38:39], v[14:15] op_sel:[0,0,1] op_sel_hi:[1,1,0] neg_lo:[0,0,1] neg_hi:[0,0,1]
	v_pk_fma_f32 v[14:15], v[28:29], v[38:39], v[14:15] op_sel:[0,0,1] op_sel_hi:[1,0,0]
	v_fmac_f32_e32 v55, v27, v80
	v_fma_f32 v54, v26, v80, -v2
	v_pk_add_f32 v[12:13], v[56:57], v[52:53]
	v_mov_b32_e32 v14, v37
	v_pk_add_f32 v[12:13], v[12:13], v[54:55]
	v_mov_b32_e32 v17, v15
	s_waitcnt lgkmcnt(0)
	v_pk_mul_f32 v[14:15], v[30:31], v[14:15] op_sel_hi:[1,0]
	v_pk_add_f32 v[12:13], v[12:13], v[16:17]
	v_pk_fma_f32 v[16:17], v[30:31], v[36:37], v[14:15] op_sel:[0,0,1] op_sel_hi:[1,1,0] neg_lo:[0,0,1] neg_hi:[0,0,1]
	v_pk_fma_f32 v[14:15], v[30:31], v[36:37], v[14:15] op_sel:[0,0,1] op_sel_hi:[1,0,0]
	s_waitcnt vmcnt(5)
	v_mov_b32_e32 v14, v47
	ds_read_b128 v[2:5], v1 offset:784
	ds_read_b128 v[6:9], v1 offset:800
	ds_read_b64 v[10:11], v1 offset:816
	v_mov_b32_e32 v17, v15
	v_pk_mul_f32 v[14:15], v[32:33], v[14:15] op_sel_hi:[1,0]
	v_pk_add_f32 v[12:13], v[12:13], v[16:17]
	s_waitcnt vmcnt(4)
	v_pk_fma_f32 v[16:17], v[32:33], v[46:47], v[14:15] op_sel:[0,0,1] op_sel_hi:[1,1,0] neg_lo:[0,0,1] neg_hi:[0,0,1]
	v_pk_fma_f32 v[14:15], v[32:33], v[46:47], v[14:15] op_sel:[0,0,1] op_sel_hi:[1,0,0]
	v_mov_b32_e32 v14, v45
	v_mov_b32_e32 v17, v15
	s_waitcnt lgkmcnt(2)
	v_pk_mul_f32 v[14:15], v[2:3], v[14:15] op_sel_hi:[1,0]
	v_pk_add_f32 v[12:13], v[12:13], v[16:17]
	v_pk_fma_f32 v[16:17], v[2:3], v[44:45], v[14:15] op_sel:[0,0,1] op_sel_hi:[1,1,0] neg_lo:[0,0,1] neg_hi:[0,0,1]
	v_pk_fma_f32 v[2:3], v[2:3], v[44:45], v[14:15] op_sel:[0,0,1] op_sel_hi:[1,0,0]
	v_mov_b32_e32 v17, v3
	v_pk_add_f32 v[2:3], v[12:13], v[16:17]
	v_mov_b32_e32 v12, v43
	v_pk_mul_f32 v[12:13], v[4:5], v[12:13] op_sel_hi:[1,0]
	v_pk_fma_f32 v[14:15], v[4:5], v[42:43], v[12:13] op_sel:[0,0,1] op_sel_hi:[1,1,0] neg_lo:[0,0,1] neg_hi:[0,0,1]
	v_pk_fma_f32 v[4:5], v[4:5], v[42:43], v[12:13] op_sel:[0,0,1] op_sel_hi:[1,0,0]
	v_mov_b32_e32 v4, v41
	v_mov_b32_e32 v15, v5
	s_waitcnt lgkmcnt(1)
	v_pk_mul_f32 v[4:5], v[6:7], v[4:5] op_sel_hi:[1,0]
	v_pk_fma_f32 v[12:13], v[6:7], v[40:41], v[4:5] op_sel:[0,0,1] op_sel_hi:[1,1,0] neg_lo:[0,0,1] neg_hi:[0,0,1]
	v_pk_fma_f32 v[4:5], v[6:7], v[40:41], v[4:5] op_sel:[0,0,1] op_sel_hi:[1,0,0]
	s_waitcnt vmcnt(1)
	v_mov_b32_e32 v4, v51
	v_mov_b32_e32 v13, v5
	v_pk_mul_f32 v[4:5], v[8:9], v[4:5] op_sel_hi:[1,0]
	s_waitcnt vmcnt(0)
	v_pk_fma_f32 v[6:7], v[8:9], v[50:51], v[4:5] op_sel:[0,0,1] op_sel_hi:[1,1,0] neg_lo:[0,0,1] neg_hi:[0,0,1]
	v_pk_fma_f32 v[4:5], v[8:9], v[50:51], v[4:5] op_sel:[0,0,1] op_sel_hi:[1,0,0]
	v_pk_add_f32 v[2:3], v[2:3], v[14:15]
	v_mov_b32_e32 v4, v49
	v_pk_add_f32 v[2:3], v[2:3], v[12:13]
	v_mov_b32_e32 v7, v5
	s_waitcnt lgkmcnt(0)
	v_pk_mul_f32 v[4:5], v[10:11], v[4:5] op_sel_hi:[1,0]
	v_pk_add_f32 v[2:3], v[2:3], v[6:7]
	v_pk_fma_f32 v[6:7], v[10:11], v[48:49], v[4:5] op_sel:[0,0,1] op_sel_hi:[1,1,0] neg_lo:[0,0,1] neg_hi:[0,0,1]
	v_pk_fma_f32 v[4:5], v[10:11], v[48:49], v[4:5] op_sel:[0,0,1] op_sel_hi:[1,0,0]
	v_mov_b32_e32 v7, v5
	v_pk_add_f32 v[2:3], v[2:3], v[6:7]
	v_pk_add_f32 v[2:3], v[34:35], v[2:3] neg_lo:[0,1] neg_hi:[0,1]
	buffer_store_dword v3, off, s[0:3], 0 offset:236
	buffer_store_dword v2, off, s[0:3], 0 offset:232
	s_and_saveexec_b64 s[4:5], vcc
	s_cbranch_execz .LBB50_263
; %bb.262:
	buffer_load_dword v2, off, s[0:3], 0 offset:224
	buffer_load_dword v3, off, s[0:3], 0 offset:228
	s_waitcnt vmcnt(0)
	ds_write_b64 v121, v[2:3]
	buffer_store_dword v1, off, s[0:3], 0 offset:224
	buffer_store_dword v1, off, s[0:3], 0 offset:228
.LBB50_263:
	s_or_b64 exec, exec, s[4:5]
	s_waitcnt lgkmcnt(0)
	; wave barrier
	s_waitcnt lgkmcnt(0)
	buffer_load_dword v52, off, s[0:3], 0 offset:236
	buffer_load_dword v54, off, s[0:3], 0 offset:244
	;; [unrolled: 1-line block ×30, first 2 shown]
	ds_read2_b64 v[2:5], v1 offset0:81 offset1:82
	ds_read2_b64 v[6:9], v1 offset0:83 offset1:84
	;; [unrolled: 1-line block ×6, first 2 shown]
	buffer_load_dword v37, off, s[0:3], 0 offset:348
	buffer_load_dword v36, off, s[0:3], 0 offset:344
	ds_read2_b64 v[26:29], v1 offset0:93 offset1:94
	ds_read2_b64 v[30:33], v1 offset0:95 offset1:96
	buffer_load_dword v39, off, s[0:3], 0 offset:380
	buffer_load_dword v38, off, s[0:3], 0 offset:376
	;; [unrolled: 1-line block ×14, first 2 shown]
	v_cmp_lt_u32_e32 vcc, 27, v0
	s_waitcnt vmcnt(45) lgkmcnt(7)
	v_mul_f32_e32 v55, v2, v52
	s_waitcnt vmcnt(44)
	v_mul_f32_e32 v57, v4, v54
	s_waitcnt vmcnt(43) lgkmcnt(6)
	v_mul_f32_e32 v83, v6, v56
	s_waitcnt vmcnt(42)
	v_mul_f32_e32 v84, v8, v58
	;; [unrolled: 4-line block ×6, first 2 shown]
	s_waitcnt vmcnt(33) lgkmcnt(1)
	v_mul_f32_e32 v53, v26, v67
	s_waitcnt vmcnt(32)
	v_fmac_f32_e32 v55, v3, v68
	v_mul_f32_e32 v3, v3, v52
	v_fma_f32 v2, v2, v68, -v3
	v_mul_f32_e32 v3, v5, v54
	v_add_f32_e32 v2, 0, v2
	s_waitcnt vmcnt(31)
	v_fma_f32 v3, v4, v69, -v3
	v_add_f32_e32 v2, v2, v3
	v_mul_f32_e32 v3, v7, v56
	s_waitcnt vmcnt(30)
	v_fma_f32 v3, v6, v70, -v3
	v_add_f32_e32 v2, v2, v3
	v_mul_f32_e32 v3, v9, v58
	;; [unrolled: 4-line block ×5, first 2 shown]
	s_waitcnt vmcnt(26)
	v_fma_f32 v3, v14, v74, -v3
	v_fmac_f32_e32 v57, v5, v69
	v_add_f32_e32 v55, 0, v55
	v_add_f32_e32 v2, v2, v3
	v_mul_f32_e32 v3, v17, v62
	v_fmac_f32_e32 v83, v7, v70
	v_add_f32_e32 v55, v55, v57
	s_waitcnt vmcnt(25)
	v_fma_f32 v3, v16, v75, -v3
	v_fmac_f32_e32 v84, v9, v71
	v_add_f32_e32 v55, v55, v83
	v_add_f32_e32 v2, v2, v3
	v_mul_f32_e32 v3, v19, v63
	v_fmac_f32_e32 v85, v11, v72
	v_add_f32_e32 v55, v55, v84
	;; [unrolled: 8-line block ×5, first 2 shown]
	s_waitcnt vmcnt(21)
	v_fma_f32 v3, v24, v79, -v3
	s_waitcnt vmcnt(15)
	v_mov_b32_e32 v16, v37
	v_fmac_f32_e32 v92, v25, v79
	v_add_f32_e32 v55, v55, v91
	v_add_f32_e32 v54, v2, v3
	v_mul_f32_e32 v2, v27, v67
	s_waitcnt lgkmcnt(0)
	v_pk_mul_f32 v[16:17], v[30:31], v[16:17] op_sel_hi:[1,0]
	v_fmac_f32_e32 v53, v27, v80
	v_add_f32_e32 v55, v55, v92
	v_mul_f32_e32 v57, v28, v81
	v_fma_f32 v52, v26, v80, -v2
	v_mul_f32_e32 v2, v29, v81
	s_waitcnt vmcnt(14)
	v_pk_fma_f32 v[18:19], v[30:31], v[36:37], v[16:17] op_sel:[0,0,1] op_sel_hi:[1,1,0] neg_lo:[0,0,1] neg_hi:[0,0,1]
	v_pk_fma_f32 v[16:17], v[30:31], v[36:37], v[16:17] op_sel:[0,0,1] op_sel_hi:[1,0,0]
	v_fmac_f32_e32 v57, v29, v82
	v_fma_f32 v56, v28, v82, -v2
	v_pk_add_f32 v[14:15], v[54:55], v[52:53]
	s_waitcnt vmcnt(7)
	v_mov_b32_e32 v16, v45
	ds_read2_b64 v[2:5], v1 offset0:97 offset1:98
	ds_read2_b64 v[6:9], v1 offset0:99 offset1:100
	;; [unrolled: 1-line block ×3, first 2 shown]
	v_pk_add_f32 v[14:15], v[14:15], v[56:57]
	v_mov_b32_e32 v19, v17
	v_pk_mul_f32 v[16:17], v[32:33], v[16:17] op_sel_hi:[1,0]
	v_pk_add_f32 v[14:15], v[14:15], v[18:19]
	s_waitcnt vmcnt(6)
	v_pk_fma_f32 v[18:19], v[32:33], v[44:45], v[16:17] op_sel:[0,0,1] op_sel_hi:[1,1,0] neg_lo:[0,0,1] neg_hi:[0,0,1]
	v_pk_fma_f32 v[16:17], v[32:33], v[44:45], v[16:17] op_sel:[0,0,1] op_sel_hi:[1,0,0]
	v_mov_b32_e32 v16, v43
	v_mov_b32_e32 v19, v17
	s_waitcnt lgkmcnt(2)
	v_pk_mul_f32 v[16:17], v[2:3], v[16:17] op_sel_hi:[1,0]
	v_pk_add_f32 v[14:15], v[14:15], v[18:19]
	v_pk_fma_f32 v[18:19], v[2:3], v[42:43], v[16:17] op_sel:[0,0,1] op_sel_hi:[1,1,0] neg_lo:[0,0,1] neg_hi:[0,0,1]
	v_pk_fma_f32 v[2:3], v[2:3], v[42:43], v[16:17] op_sel:[0,0,1] op_sel_hi:[1,0,0]
	v_mov_b32_e32 v19, v3
	v_pk_add_f32 v[2:3], v[14:15], v[18:19]
	v_mov_b32_e32 v14, v41
	v_pk_mul_f32 v[14:15], v[4:5], v[14:15] op_sel_hi:[1,0]
	v_pk_fma_f32 v[16:17], v[4:5], v[40:41], v[14:15] op_sel:[0,0,1] op_sel_hi:[1,1,0] neg_lo:[0,0,1] neg_hi:[0,0,1]
	v_pk_fma_f32 v[4:5], v[4:5], v[40:41], v[14:15] op_sel:[0,0,1] op_sel_hi:[1,0,0]
	v_mov_b32_e32 v4, v39
	v_mov_b32_e32 v17, v5
	s_waitcnt lgkmcnt(1)
	v_pk_mul_f32 v[4:5], v[6:7], v[4:5] op_sel_hi:[1,0]
	v_pk_fma_f32 v[14:15], v[6:7], v[38:39], v[4:5] op_sel:[0,0,1] op_sel_hi:[1,1,0] neg_lo:[0,0,1] neg_hi:[0,0,1]
	v_pk_fma_f32 v[4:5], v[6:7], v[38:39], v[4:5] op_sel:[0,0,1] op_sel_hi:[1,0,0]
	s_waitcnt vmcnt(1)
	v_mov_b32_e32 v4, v51
	v_mov_b32_e32 v15, v5
	v_pk_mul_f32 v[4:5], v[8:9], v[4:5] op_sel_hi:[1,0]
	s_waitcnt vmcnt(0)
	v_pk_fma_f32 v[6:7], v[8:9], v[50:51], v[4:5] op_sel:[0,0,1] op_sel_hi:[1,1,0] neg_lo:[0,0,1] neg_hi:[0,0,1]
	v_pk_fma_f32 v[4:5], v[8:9], v[50:51], v[4:5] op_sel:[0,0,1] op_sel_hi:[1,0,0]
	v_pk_add_f32 v[2:3], v[2:3], v[16:17]
	v_mov_b32_e32 v4, v49
	v_pk_add_f32 v[2:3], v[2:3], v[14:15]
	v_mov_b32_e32 v7, v5
	s_waitcnt lgkmcnt(0)
	v_pk_mul_f32 v[4:5], v[10:11], v[4:5] op_sel_hi:[1,0]
	v_pk_add_f32 v[2:3], v[2:3], v[6:7]
	v_pk_fma_f32 v[6:7], v[10:11], v[48:49], v[4:5] op_sel:[0,0,1] op_sel_hi:[1,1,0] neg_lo:[0,0,1] neg_hi:[0,0,1]
	v_pk_fma_f32 v[4:5], v[10:11], v[48:49], v[4:5] op_sel:[0,0,1] op_sel_hi:[1,0,0]
	v_mov_b32_e32 v4, v47
	v_mov_b32_e32 v7, v5
	v_pk_mul_f32 v[4:5], v[12:13], v[4:5] op_sel_hi:[1,0]
	v_pk_add_f32 v[2:3], v[2:3], v[6:7]
	v_pk_fma_f32 v[6:7], v[12:13], v[46:47], v[4:5] op_sel:[0,0,1] op_sel_hi:[1,1,0] neg_lo:[0,0,1] neg_hi:[0,0,1]
	v_pk_fma_f32 v[4:5], v[12:13], v[46:47], v[4:5] op_sel:[0,0,1] op_sel_hi:[1,0,0]
	v_mov_b32_e32 v7, v5
	v_pk_add_f32 v[2:3], v[2:3], v[6:7]
	v_pk_add_f32 v[2:3], v[34:35], v[2:3] neg_lo:[0,1] neg_hi:[0,1]
	buffer_store_dword v3, off, s[0:3], 0 offset:228
	buffer_store_dword v2, off, s[0:3], 0 offset:224
	s_and_saveexec_b64 s[4:5], vcc
	s_cbranch_execz .LBB50_265
; %bb.264:
	buffer_load_dword v2, off, s[0:3], 0 offset:216
	buffer_load_dword v3, off, s[0:3], 0 offset:220
	v_mov_b32_e32 v1, 0
	buffer_store_dword v1, off, s[0:3], 0 offset:216
	buffer_store_dword v1, off, s[0:3], 0 offset:220
	s_waitcnt vmcnt(2)
	ds_write_b64 v121, v[2:3]
.LBB50_265:
	s_or_b64 exec, exec, s[4:5]
	s_waitcnt lgkmcnt(0)
	; wave barrier
	s_waitcnt lgkmcnt(0)
	buffer_load_dword v50, off, s[0:3], 0 offset:228
	buffer_load_dword v54, off, s[0:3], 0 offset:236
	;; [unrolled: 1-line block ×32, first 2 shown]
	v_mov_b32_e32 v1, 0
	buffer_load_dword v37, off, s[0:3], 0 offset:372
	buffer_load_dword v36, off, s[0:3], 0 offset:368
	;; [unrolled: 1-line block ×13, first 2 shown]
	ds_read_b128 v[2:5], v1 offset:640
	ds_read_b128 v[6:9], v1 offset:656
	;; [unrolled: 1-line block ×8, first 2 shown]
	v_cmp_lt_u32_e32 vcc, 26, v0
	s_waitcnt vmcnt(44) lgkmcnt(7)
	v_mul_f32_e32 v44, v2, v50
	s_waitcnt vmcnt(43)
	v_mul_f32_e32 v51, v4, v54
	s_waitcnt vmcnt(42) lgkmcnt(6)
	v_mul_f32_e32 v52, v6, v56
	s_waitcnt vmcnt(41)
	v_mul_f32_e32 v53, v8, v58
	;; [unrolled: 4-line block ×6, first 2 shown]
	s_waitcnt vmcnt(32) lgkmcnt(1)
	v_mul_f32_e32 v91, v26, v67
	s_waitcnt vmcnt(31)
	v_fmac_f32_e32 v44, v3, v68
	s_waitcnt vmcnt(30)
	v_fmac_f32_e32 v51, v5, v69
	v_add_f32_e32 v44, 0, v44
	s_waitcnt vmcnt(29)
	v_fmac_f32_e32 v52, v7, v70
	v_add_f32_e32 v44, v44, v51
	;; [unrolled: 3-line block ×12, first 2 shown]
	v_add_f32_e32 v51, v44, v91
	buffer_load_dword v53, off, s[0:3], 0 offset:388
	buffer_load_dword v52, off, s[0:3], 0 offset:384
	;; [unrolled: 1-line block ×3, first 2 shown]
	v_mul_f32_e32 v3, v3, v50
	v_fma_f32 v2, v2, v68, -v3
	v_mul_f32_e32 v3, v5, v54
	v_add_f32_e32 v2, 0, v2
	v_fma_f32 v3, v4, v69, -v3
	v_add_f32_e32 v2, v2, v3
	v_mul_f32_e32 v3, v7, v56
	v_fma_f32 v3, v6, v70, -v3
	v_add_f32_e32 v2, v2, v3
	v_mul_f32_e32 v3, v9, v58
	;; [unrolled: 3-line block ×11, first 2 shown]
	v_fma_f32 v3, v26, v80, -v3
	v_add_f32_e32 v50, v2, v3
	s_waitcnt vmcnt(21)
	v_mul_f32_e32 v2, v29, v81
	s_waitcnt vmcnt(9)
	v_mov_b32_e32 v18, v43
	v_mul_f32_e32 v55, v28, v81
	v_fma_f32 v54, v28, v82, -v2
	s_waitcnt lgkmcnt(0)
	v_mul_f32_e32 v2, v31, v83
	v_pk_mul_f32 v[18:19], v[32:33], v[18:19] op_sel_hi:[1,0]
	v_fmac_f32_e32 v55, v29, v82
	v_mul_f32_e32 v57, v30, v83
	v_fma_f32 v56, v30, v84, -v2
	ds_read_b128 v[2:5], v1 offset:768
	ds_read_b128 v[6:9], v1 offset:784
	;; [unrolled: 1-line block ×3, first 2 shown]
	ds_read_b64 v[14:15], v1 offset:816
	s_waitcnt vmcnt(8)
	v_pk_fma_f32 v[20:21], v[32:33], v[42:43], v[18:19] op_sel:[0,0,1] op_sel_hi:[1,1,0] neg_lo:[0,0,1] neg_hi:[0,0,1]
	v_pk_fma_f32 v[18:19], v[32:33], v[42:43], v[18:19] op_sel:[0,0,1] op_sel_hi:[1,0,0]
	v_fmac_f32_e32 v57, v31, v84
	v_pk_add_f32 v[16:17], v[50:51], v[54:55]
	v_mov_b32_e32 v18, v41
	v_pk_add_f32 v[16:17], v[16:17], v[56:57]
	v_mov_b32_e32 v21, v19
	s_waitcnt lgkmcnt(3)
	v_pk_mul_f32 v[18:19], v[2:3], v[18:19] op_sel_hi:[1,0]
	v_pk_add_f32 v[16:17], v[16:17], v[20:21]
	v_pk_fma_f32 v[20:21], v[2:3], v[40:41], v[18:19] op_sel:[0,0,1] op_sel_hi:[1,1,0] neg_lo:[0,0,1] neg_hi:[0,0,1]
	v_pk_fma_f32 v[2:3], v[2:3], v[40:41], v[18:19] op_sel:[0,0,1] op_sel_hi:[1,0,0]
	v_mov_b32_e32 v21, v3
	v_pk_add_f32 v[2:3], v[16:17], v[20:21]
	v_mov_b32_e32 v16, v39
	v_pk_mul_f32 v[16:17], v[4:5], v[16:17] op_sel_hi:[1,0]
	v_pk_fma_f32 v[18:19], v[4:5], v[38:39], v[16:17] op_sel:[0,0,1] op_sel_hi:[1,1,0] neg_lo:[0,0,1] neg_hi:[0,0,1]
	v_pk_fma_f32 v[4:5], v[4:5], v[38:39], v[16:17] op_sel:[0,0,1] op_sel_hi:[1,0,0]
	v_mov_b32_e32 v4, v37
	v_mov_b32_e32 v19, v5
	s_waitcnt lgkmcnt(2)
	v_pk_mul_f32 v[4:5], v[6:7], v[4:5] op_sel_hi:[1,0]
	v_pk_fma_f32 v[16:17], v[6:7], v[36:37], v[4:5] op_sel:[0,0,1] op_sel_hi:[1,1,0] neg_lo:[0,0,1] neg_hi:[0,0,1]
	v_pk_fma_f32 v[4:5], v[6:7], v[36:37], v[4:5] op_sel:[0,0,1] op_sel_hi:[1,0,0]
	s_waitcnt vmcnt(7)
	v_mov_b32_e32 v4, v45
	v_mov_b32_e32 v17, v5
	v_pk_mul_f32 v[4:5], v[8:9], v[4:5] op_sel_hi:[1,0]
	v_pk_add_f32 v[2:3], v[2:3], v[18:19]
	v_pk_add_f32 v[2:3], v[2:3], v[16:17]
	s_waitcnt vmcnt(0)
	v_pk_fma_f32 v[6:7], v[8:9], v[44:45], v[4:5] op_sel:[0,0,1] op_sel_hi:[1,1,0] neg_lo:[0,0,1] neg_hi:[0,0,1]
	v_pk_fma_f32 v[4:5], v[8:9], v[44:45], v[4:5] op_sel:[0,0,1] op_sel_hi:[1,0,0]
	v_mov_b32_e32 v4, v53
	v_mov_b32_e32 v7, v5
	s_waitcnt lgkmcnt(1)
	v_pk_mul_f32 v[4:5], v[10:11], v[4:5] op_sel_hi:[1,0]
	v_pk_add_f32 v[2:3], v[2:3], v[6:7]
	v_pk_fma_f32 v[6:7], v[10:11], v[52:53], v[4:5] op_sel:[0,0,1] op_sel_hi:[1,1,0] neg_lo:[0,0,1] neg_hi:[0,0,1]
	v_pk_fma_f32 v[4:5], v[10:11], v[52:53], v[4:5] op_sel:[0,0,1] op_sel_hi:[1,0,0]
	v_mov_b32_e32 v4, v49
	v_mov_b32_e32 v7, v5
	v_pk_mul_f32 v[4:5], v[12:13], v[4:5] op_sel_hi:[1,0]
	v_pk_add_f32 v[2:3], v[2:3], v[6:7]
	v_pk_fma_f32 v[6:7], v[12:13], v[48:49], v[4:5] op_sel:[0,0,1] op_sel_hi:[1,1,0] neg_lo:[0,0,1] neg_hi:[0,0,1]
	v_pk_fma_f32 v[4:5], v[12:13], v[48:49], v[4:5] op_sel:[0,0,1] op_sel_hi:[1,0,0]
	v_mov_b32_e32 v4, v47
	v_mov_b32_e32 v7, v5
	s_waitcnt lgkmcnt(0)
	v_pk_mul_f32 v[4:5], v[14:15], v[4:5] op_sel_hi:[1,0]
	v_pk_add_f32 v[2:3], v[2:3], v[6:7]
	v_pk_fma_f32 v[6:7], v[14:15], v[46:47], v[4:5] op_sel:[0,0,1] op_sel_hi:[1,1,0] neg_lo:[0,0,1] neg_hi:[0,0,1]
	v_pk_fma_f32 v[4:5], v[14:15], v[46:47], v[4:5] op_sel:[0,0,1] op_sel_hi:[1,0,0]
	v_mov_b32_e32 v7, v5
	v_pk_add_f32 v[2:3], v[2:3], v[6:7]
	v_pk_add_f32 v[2:3], v[34:35], v[2:3] neg_lo:[0,1] neg_hi:[0,1]
	buffer_store_dword v3, off, s[0:3], 0 offset:220
	buffer_store_dword v2, off, s[0:3], 0 offset:216
	s_and_saveexec_b64 s[4:5], vcc
	s_cbranch_execz .LBB50_267
; %bb.266:
	buffer_load_dword v2, off, s[0:3], 0 offset:208
	buffer_load_dword v3, off, s[0:3], 0 offset:212
	s_waitcnt vmcnt(0)
	ds_write_b64 v121, v[2:3]
	buffer_store_dword v1, off, s[0:3], 0 offset:208
	buffer_store_dword v1, off, s[0:3], 0 offset:212
.LBB50_267:
	s_or_b64 exec, exec, s[4:5]
	s_waitcnt lgkmcnt(0)
	; wave barrier
	s_waitcnt lgkmcnt(0)
	buffer_load_dword v50, off, s[0:3], 0 offset:220
	buffer_load_dword v52, off, s[0:3], 0 offset:228
	;; [unrolled: 1-line block ×34, first 2 shown]
	ds_read2_b64 v[2:5], v1 offset0:79 offset1:80
	ds_read2_b64 v[6:9], v1 offset0:81 offset1:82
	;; [unrolled: 1-line block ×8, first 2 shown]
	buffer_load_dword v37, off, s[0:3], 0 offset:364
	buffer_load_dword v36, off, s[0:3], 0 offset:360
	;; [unrolled: 1-line block ×9, first 2 shown]
	v_cmp_lt_u32_e32 vcc, 25, v0
	s_waitcnt vmcnt(42) lgkmcnt(7)
	v_mul_f32_e32 v42, v2, v50
	s_waitcnt vmcnt(41)
	v_mul_f32_e32 v46, v4, v52
	s_waitcnt vmcnt(40) lgkmcnt(6)
	v_mul_f32_e32 v47, v6, v54
	s_waitcnt vmcnt(39)
	v_mul_f32_e32 v48, v8, v58
	;; [unrolled: 4-line block ×7, first 2 shown]
	s_waitcnt vmcnt(28)
	v_fmac_f32_e32 v42, v3, v69
	s_waitcnt vmcnt(27)
	v_fmac_f32_e32 v46, v5, v70
	v_add_f32_e32 v42, 0, v42
	s_waitcnt vmcnt(26)
	v_fmac_f32_e32 v47, v7, v71
	v_add_f32_e32 v42, v42, v46
	;; [unrolled: 3-line block ×12, first 2 shown]
	v_add_f32_e32 v51, v42, v89
	buffer_load_dword v47, off, s[0:3], 0 offset:388
	buffer_load_dword v46, off, s[0:3], 0 offset:384
	;; [unrolled: 1-line block ×7, first 2 shown]
	v_mul_f32_e32 v3, v3, v50
	v_fma_f32 v2, v2, v69, -v3
	v_mul_f32_e32 v3, v5, v52
	v_add_f32_e32 v2, 0, v2
	v_fma_f32 v3, v4, v70, -v3
	v_add_f32_e32 v2, v2, v3
	v_mul_f32_e32 v3, v7, v54
	v_fma_f32 v3, v6, v71, -v3
	v_add_f32_e32 v2, v2, v3
	v_mul_f32_e32 v3, v9, v58
	;; [unrolled: 3-line block ×12, first 2 shown]
	s_waitcnt vmcnt(22)
	v_fma_f32 v3, v28, v82, -v3
	v_add_f32_e32 v50, v2, v3
	s_waitcnt vmcnt(21) lgkmcnt(0)
	v_mul_f32_e32 v2, v31, v83
	s_waitcnt vmcnt(20)
	v_fma_f32 v52, v30, v84, -v2
	s_waitcnt vmcnt(19)
	v_mul_f32_e32 v2, v33, v85
	s_waitcnt vmcnt(18)
	v_fma_f32 v54, v32, v86, -v2
	ds_read2_b64 v[2:5], v1 offset0:95 offset1:96
	ds_read2_b64 v[6:9], v1 offset0:97 offset1:98
	;; [unrolled: 1-line block ×4, first 2 shown]
	v_fmac_f32_e32 v90, v29, v82
	v_mul_f32_e32 v53, v30, v83
	s_waitcnt vmcnt(11)
	v_mov_b32_e32 v20, v41
	v_add_f32_e32 v51, v51, v90
	v_fmac_f32_e32 v53, v31, v84
	v_mul_f32_e32 v55, v32, v85
	s_waitcnt lgkmcnt(3)
	v_pk_mul_f32 v[20:21], v[2:3], v[20:21] op_sel_hi:[1,0]
	v_fmac_f32_e32 v55, v33, v86
	v_pk_add_f32 v[18:19], v[50:51], v[52:53]
	s_waitcnt vmcnt(10)
	v_pk_fma_f32 v[22:23], v[2:3], v[40:41], v[20:21] op_sel:[0,0,1] op_sel_hi:[1,1,0] neg_lo:[0,0,1] neg_hi:[0,0,1]
	v_pk_fma_f32 v[2:3], v[2:3], v[40:41], v[20:21] op_sel:[0,0,1] op_sel_hi:[1,0,0]
	v_pk_add_f32 v[18:19], v[18:19], v[54:55]
	v_mov_b32_e32 v23, v3
	v_pk_add_f32 v[2:3], v[18:19], v[22:23]
	v_mov_b32_e32 v18, v39
	v_pk_mul_f32 v[18:19], v[4:5], v[18:19] op_sel_hi:[1,0]
	v_pk_fma_f32 v[20:21], v[4:5], v[38:39], v[18:19] op_sel:[0,0,1] op_sel_hi:[1,1,0] neg_lo:[0,0,1] neg_hi:[0,0,1]
	v_pk_fma_f32 v[4:5], v[4:5], v[38:39], v[18:19] op_sel:[0,0,1] op_sel_hi:[1,0,0]
	v_mov_b32_e32 v4, v37
	v_mov_b32_e32 v21, v5
	s_waitcnt lgkmcnt(2)
	v_pk_mul_f32 v[4:5], v[6:7], v[4:5] op_sel_hi:[1,0]
	v_pk_fma_f32 v[18:19], v[6:7], v[36:37], v[4:5] op_sel:[0,0,1] op_sel_hi:[1,1,0] neg_lo:[0,0,1] neg_hi:[0,0,1]
	v_pk_fma_f32 v[4:5], v[6:7], v[36:37], v[4:5] op_sel:[0,0,1] op_sel_hi:[1,0,0]
	s_waitcnt vmcnt(9)
	v_mov_b32_e32 v4, v43
	v_mov_b32_e32 v19, v5
	v_pk_mul_f32 v[4:5], v[8:9], v[4:5] op_sel_hi:[1,0]
	v_pk_add_f32 v[2:3], v[2:3], v[20:21]
	v_pk_add_f32 v[2:3], v[2:3], v[18:19]
	s_waitcnt vmcnt(2)
	v_pk_fma_f32 v[6:7], v[8:9], v[42:43], v[4:5] op_sel:[0,0,1] op_sel_hi:[1,1,0] neg_lo:[0,0,1] neg_hi:[0,0,1]
	v_pk_fma_f32 v[4:5], v[8:9], v[42:43], v[4:5] op_sel:[0,0,1] op_sel_hi:[1,0,0]
	v_mov_b32_e32 v4, v49
	v_mov_b32_e32 v7, v5
	s_waitcnt lgkmcnt(1)
	v_pk_mul_f32 v[4:5], v[10:11], v[4:5] op_sel_hi:[1,0]
	v_pk_add_f32 v[2:3], v[2:3], v[6:7]
	v_pk_fma_f32 v[6:7], v[10:11], v[48:49], v[4:5] op_sel:[0,0,1] op_sel_hi:[1,1,0] neg_lo:[0,0,1] neg_hi:[0,0,1]
	v_pk_fma_f32 v[4:5], v[10:11], v[48:49], v[4:5] op_sel:[0,0,1] op_sel_hi:[1,0,0]
	v_mov_b32_e32 v4, v47
	v_mov_b32_e32 v7, v5
	v_pk_mul_f32 v[4:5], v[12:13], v[4:5] op_sel_hi:[1,0]
	v_pk_add_f32 v[2:3], v[2:3], v[6:7]
	v_pk_fma_f32 v[6:7], v[12:13], v[46:47], v[4:5] op_sel:[0,0,1] op_sel_hi:[1,1,0] neg_lo:[0,0,1] neg_hi:[0,0,1]
	v_pk_fma_f32 v[4:5], v[12:13], v[46:47], v[4:5] op_sel:[0,0,1] op_sel_hi:[1,0,0]
	v_mov_b32_e32 v4, v45
	v_mov_b32_e32 v7, v5
	s_waitcnt lgkmcnt(0)
	v_pk_mul_f32 v[4:5], v[14:15], v[4:5] op_sel_hi:[1,0]
	v_pk_add_f32 v[2:3], v[2:3], v[6:7]
	v_pk_fma_f32 v[6:7], v[14:15], v[44:45], v[4:5] op_sel:[0,0,1] op_sel_hi:[1,1,0] neg_lo:[0,0,1] neg_hi:[0,0,1]
	v_pk_fma_f32 v[4:5], v[14:15], v[44:45], v[4:5] op_sel:[0,0,1] op_sel_hi:[1,0,0]
	s_waitcnt vmcnt(1)
	v_mov_b32_e32 v4, v57
	v_mov_b32_e32 v7, v5
	v_pk_mul_f32 v[4:5], v[16:17], v[4:5] op_sel_hi:[1,0]
	v_pk_add_f32 v[2:3], v[2:3], v[6:7]
	s_waitcnt vmcnt(0)
	v_pk_fma_f32 v[6:7], v[16:17], v[56:57], v[4:5] op_sel:[0,0,1] op_sel_hi:[1,1,0] neg_lo:[0,0,1] neg_hi:[0,0,1]
	v_pk_fma_f32 v[4:5], v[16:17], v[56:57], v[4:5] op_sel:[0,0,1] op_sel_hi:[1,0,0]
	v_mov_b32_e32 v7, v5
	v_pk_add_f32 v[2:3], v[2:3], v[6:7]
	v_pk_add_f32 v[2:3], v[34:35], v[2:3] neg_lo:[0,1] neg_hi:[0,1]
	buffer_store_dword v3, off, s[0:3], 0 offset:212
	buffer_store_dword v2, off, s[0:3], 0 offset:208
	s_and_saveexec_b64 s[4:5], vcc
	s_cbranch_execz .LBB50_269
; %bb.268:
	buffer_load_dword v2, off, s[0:3], 0 offset:200
	buffer_load_dword v3, off, s[0:3], 0 offset:204
	v_mov_b32_e32 v1, 0
	buffer_store_dword v1, off, s[0:3], 0 offset:200
	buffer_store_dword v1, off, s[0:3], 0 offset:204
	s_waitcnt vmcnt(2)
	ds_write_b64 v121, v[2:3]
.LBB50_269:
	s_or_b64 exec, exec, s[4:5]
	s_waitcnt lgkmcnt(0)
	; wave barrier
	s_waitcnt lgkmcnt(0)
	buffer_load_dword v56, off, s[0:3], 0 offset:212
	buffer_load_dword v58, off, s[0:3], 0 offset:220
	;; [unrolled: 1-line block ×36, first 2 shown]
	v_mov_b32_e32 v1, 0
	buffer_load_dword v45, off, s[0:3], 0 offset:356
	buffer_load_dword v44, off, s[0:3], 0 offset:352
	;; [unrolled: 1-line block ×5, first 2 shown]
	ds_read_b128 v[4:7], v1 offset:624
	ds_read_b128 v[8:11], v1 offset:640
	;; [unrolled: 1-line block ×8, first 2 shown]
	v_cmp_lt_u32_e32 vcc, 24, v0
	s_waitcnt vmcnt(40) lgkmcnt(7)
	v_mul_f32_e32 v36, v4, v56
	s_waitcnt vmcnt(39)
	v_mul_f32_e32 v37, v6, v58
	s_waitcnt vmcnt(38) lgkmcnt(6)
	v_mul_f32_e32 v38, v8, v60
	s_waitcnt vmcnt(37)
	v_mul_f32_e32 v39, v10, v66
	;; [unrolled: 4-line block ×7, first 2 shown]
	s_waitcnt vmcnt(26) lgkmcnt(0)
	v_mul_f32_e32 v57, v32, v77
	s_waitcnt vmcnt(25)
	v_fmac_f32_e32 v36, v5, v78
	s_waitcnt vmcnt(24)
	v_fmac_f32_e32 v37, v7, v79
	v_add_f32_e32 v36, 0, v36
	s_waitcnt vmcnt(23)
	v_fmac_f32_e32 v38, v9, v80
	v_add_f32_e32 v36, v36, v37
	;; [unrolled: 3-line block ×13, first 2 shown]
	v_add_f32_e32 v40, v36, v54
	buffer_load_dword v51, off, s[0:3], 0 offset:388
	buffer_load_dword v50, off, s[0:3], 0 offset:384
	;; [unrolled: 1-line block ×7, first 2 shown]
	s_waitcnt vmcnt(18)
	v_fmac_f32_e32 v57, v33, v92
	ds_read_b128 v[36:39], v1 offset:752
	v_add_f32_e32 v57, v40, v57
	ds_read_b128 v[40:43], v1 offset:768
	buffer_load_dword v63, off, s[0:3], 0 offset:404
	buffer_load_dword v62, off, s[0:3], 0 offset:400
	;; [unrolled: 1-line block ×4, first 2 shown]
	v_mul_f32_e32 v5, v5, v56
	v_fma_f32 v4, v4, v78, -v5
	v_mul_f32_e32 v5, v7, v58
	v_add_f32_e32 v4, 0, v4
	v_fma_f32 v5, v6, v79, -v5
	v_add_f32_e32 v4, v4, v5
	v_mul_f32_e32 v5, v9, v60
	v_fma_f32 v5, v8, v80, -v5
	v_add_f32_e32 v4, v4, v5
	v_mul_f32_e32 v5, v11, v66
	;; [unrolled: 3-line block ×13, first 2 shown]
	v_fma_f32 v5, v32, v92, -v5
	s_waitcnt vmcnt(13)
	v_mov_b32_e32 v16, v47
	v_mul_f32_e32 v59, v34, v93
	v_add_f32_e32 v56, v4, v5
	v_mul_f32_e32 v4, v35, v93
	s_waitcnt lgkmcnt(1)
	v_pk_mul_f32 v[16:17], v[38:39], v[16:17] op_sel_hi:[1,0]
	v_fmac_f32_e32 v59, v35, v94
	v_mul_f32_e32 v61, v36, v95
	v_fma_f32 v58, v34, v94, -v4
	v_mul_f32_e32 v4, v37, v95
	s_waitcnt vmcnt(12)
	v_pk_fma_f32 v[18:19], v[38:39], v[46:47], v[16:17] op_sel:[0,0,1] op_sel_hi:[1,1,0] neg_lo:[0,0,1] neg_hi:[0,0,1]
	v_pk_fma_f32 v[16:17], v[38:39], v[46:47], v[16:17] op_sel:[0,0,1] op_sel_hi:[1,0,0]
	v_fmac_f32_e32 v61, v37, v96
	v_fma_f32 v60, v36, v96, -v4
	v_pk_add_f32 v[14:15], v[56:57], v[58:59]
	v_mov_b32_e32 v16, v45
	v_pk_add_f32 v[14:15], v[14:15], v[60:61]
	v_mov_b32_e32 v19, v17
	s_waitcnt lgkmcnt(0)
	v_pk_mul_f32 v[16:17], v[40:41], v[16:17] op_sel_hi:[1,0]
	v_pk_add_f32 v[14:15], v[14:15], v[18:19]
	v_pk_fma_f32 v[18:19], v[40:41], v[44:45], v[16:17] op_sel:[0,0,1] op_sel_hi:[1,1,0] neg_lo:[0,0,1] neg_hi:[0,0,1]
	v_pk_fma_f32 v[16:17], v[40:41], v[44:45], v[16:17] op_sel:[0,0,1] op_sel_hi:[1,0,0]
	s_waitcnt vmcnt(11)
	v_mov_b32_e32 v16, v49
	ds_read_b128 v[4:7], v1 offset:784
	ds_read_b128 v[8:11], v1 offset:800
	ds_read_b64 v[12:13], v1 offset:816
	v_mov_b32_e32 v19, v17
	v_pk_mul_f32 v[16:17], v[42:43], v[16:17] op_sel_hi:[1,0]
	v_pk_add_f32 v[14:15], v[14:15], v[18:19]
	s_waitcnt vmcnt(4)
	v_pk_fma_f32 v[18:19], v[42:43], v[48:49], v[16:17] op_sel:[0,0,1] op_sel_hi:[1,1,0] neg_lo:[0,0,1] neg_hi:[0,0,1]
	v_pk_fma_f32 v[16:17], v[42:43], v[48:49], v[16:17] op_sel:[0,0,1] op_sel_hi:[1,0,0]
	v_mov_b32_e32 v16, v55
	v_mov_b32_e32 v19, v17
	s_waitcnt lgkmcnt(2)
	v_pk_mul_f32 v[16:17], v[4:5], v[16:17] op_sel_hi:[1,0]
	v_pk_add_f32 v[14:15], v[14:15], v[18:19]
	v_pk_fma_f32 v[18:19], v[4:5], v[54:55], v[16:17] op_sel:[0,0,1] op_sel_hi:[1,1,0] neg_lo:[0,0,1] neg_hi:[0,0,1]
	v_pk_fma_f32 v[4:5], v[4:5], v[54:55], v[16:17] op_sel:[0,0,1] op_sel_hi:[1,0,0]
	v_mov_b32_e32 v19, v5
	v_pk_add_f32 v[4:5], v[14:15], v[18:19]
	v_mov_b32_e32 v14, v53
	v_pk_mul_f32 v[14:15], v[6:7], v[14:15] op_sel_hi:[1,0]
	v_pk_fma_f32 v[16:17], v[6:7], v[52:53], v[14:15] op_sel:[0,0,1] op_sel_hi:[1,1,0] neg_lo:[0,0,1] neg_hi:[0,0,1]
	v_pk_fma_f32 v[6:7], v[6:7], v[52:53], v[14:15] op_sel:[0,0,1] op_sel_hi:[1,0,0]
	v_mov_b32_e32 v6, v51
	v_mov_b32_e32 v17, v7
	s_waitcnt lgkmcnt(1)
	v_pk_mul_f32 v[6:7], v[8:9], v[6:7] op_sel_hi:[1,0]
	v_pk_fma_f32 v[14:15], v[8:9], v[50:51], v[6:7] op_sel:[0,0,1] op_sel_hi:[1,1,0] neg_lo:[0,0,1] neg_hi:[0,0,1]
	v_pk_fma_f32 v[6:7], v[8:9], v[50:51], v[6:7] op_sel:[0,0,1] op_sel_hi:[1,0,0]
	s_waitcnt vmcnt(1)
	v_mov_b32_e32 v6, v65
	v_mov_b32_e32 v15, v7
	v_pk_mul_f32 v[6:7], v[10:11], v[6:7] op_sel_hi:[1,0]
	s_waitcnt vmcnt(0)
	v_pk_fma_f32 v[8:9], v[10:11], v[64:65], v[6:7] op_sel:[0,0,1] op_sel_hi:[1,1,0] neg_lo:[0,0,1] neg_hi:[0,0,1]
	v_pk_fma_f32 v[6:7], v[10:11], v[64:65], v[6:7] op_sel:[0,0,1] op_sel_hi:[1,0,0]
	v_pk_add_f32 v[4:5], v[4:5], v[16:17]
	v_mov_b32_e32 v6, v63
	v_pk_add_f32 v[4:5], v[4:5], v[14:15]
	v_mov_b32_e32 v9, v7
	s_waitcnt lgkmcnt(0)
	v_pk_mul_f32 v[6:7], v[12:13], v[6:7] op_sel_hi:[1,0]
	v_pk_add_f32 v[4:5], v[4:5], v[8:9]
	v_pk_fma_f32 v[8:9], v[12:13], v[62:63], v[6:7] op_sel:[0,0,1] op_sel_hi:[1,1,0] neg_lo:[0,0,1] neg_hi:[0,0,1]
	v_pk_fma_f32 v[6:7], v[12:13], v[62:63], v[6:7] op_sel:[0,0,1] op_sel_hi:[1,0,0]
	v_mov_b32_e32 v9, v7
	v_pk_add_f32 v[4:5], v[4:5], v[8:9]
	v_pk_add_f32 v[2:3], v[2:3], v[4:5] neg_lo:[0,1] neg_hi:[0,1]
	buffer_store_dword v3, off, s[0:3], 0 offset:204
	buffer_store_dword v2, off, s[0:3], 0 offset:200
	s_and_saveexec_b64 s[4:5], vcc
	s_cbranch_execz .LBB50_271
; %bb.270:
	buffer_load_dword v2, off, s[0:3], 0 offset:192
	buffer_load_dword v3, off, s[0:3], 0 offset:196
	s_waitcnt vmcnt(0)
	ds_write_b64 v121, v[2:3]
	buffer_store_dword v1, off, s[0:3], 0 offset:192
	buffer_store_dword v1, off, s[0:3], 0 offset:196
.LBB50_271:
	s_or_b64 exec, exec, s[4:5]
	s_waitcnt lgkmcnt(0)
	; wave barrier
	s_waitcnt lgkmcnt(0)
	buffer_load_dword v54, off, s[0:3], 0 offset:204
	buffer_load_dword v56, off, s[0:3], 0 offset:212
	;; [unrolled: 1-line block ×38, first 2 shown]
	ds_read2_b64 v[2:5], v1 offset0:77 offset1:78
	ds_read2_b64 v[6:9], v1 offset0:79 offset1:80
	ds_read2_b64 v[10:13], v1 offset0:81 offset1:82
	ds_read2_b64 v[14:17], v1 offset0:83 offset1:84
	ds_read2_b64 v[18:21], v1 offset0:85 offset1:86
	ds_read2_b64 v[22:25], v1 offset0:87 offset1:88
	ds_read2_b64 v[26:29], v1 offset0:89 offset1:90
	ds_read2_b64 v[30:33], v1 offset0:91 offset1:92
	buffer_load_dword v45, off, s[0:3], 0 offset:348
	buffer_load_dword v44, off, s[0:3], 0 offset:344
	;; [unrolled: 1-line block ×4, first 2 shown]
	v_cmp_lt_u32_e32 vcc, 23, v0
	s_waitcnt vmcnt(41) lgkmcnt(7)
	v_mul_f32_e32 v34, v2, v54
	s_waitcnt vmcnt(40)
	v_mul_f32_e32 v35, v4, v56
	s_waitcnt vmcnt(39) lgkmcnt(6)
	v_mul_f32_e32 v36, v6, v58
	s_waitcnt vmcnt(38)
	v_mul_f32_e32 v37, v8, v66
	;; [unrolled: 4-line block ×7, first 2 shown]
	s_waitcnt vmcnt(27) lgkmcnt(0)
	v_mul_f32_e32 v55, v30, v77
	s_waitcnt vmcnt(26)
	v_fmac_f32_e32 v34, v3, v78
	s_waitcnt vmcnt(25)
	v_fmac_f32_e32 v35, v5, v79
	v_add_f32_e32 v34, 0, v34
	s_waitcnt vmcnt(24)
	v_fmac_f32_e32 v36, v7, v80
	v_add_f32_e32 v34, v34, v35
	;; [unrolled: 3-line block ×13, first 2 shown]
	v_add_f32_e32 v34, v34, v53
	buffer_load_dword v49, off, s[0:3], 0 offset:372
	buffer_load_dword v48, off, s[0:3], 0 offset:368
	;; [unrolled: 1-line block ×6, first 2 shown]
	s_waitcnt vmcnt(18)
	v_fmac_f32_e32 v55, v31, v92
	s_waitcnt vmcnt(17)
	v_mul_f32_e32 v39, v32, v93
	v_add_f32_e32 v38, v34, v55
	s_waitcnt vmcnt(16)
	v_fmac_f32_e32 v39, v33, v94
	ds_read2_b64 v[34:37], v1 offset0:93 offset1:94
	v_add_f32_e32 v55, v38, v39
	ds_read2_b64 v[38:41], v1 offset0:95 offset1:96
	buffer_load_dword v61, off, s[0:3], 0 offset:404
	buffer_load_dword v60, off, s[0:3], 0 offset:400
	;; [unrolled: 1-line block ×6, first 2 shown]
	v_mul_f32_e32 v3, v3, v54
	v_fma_f32 v2, v2, v78, -v3
	v_mul_f32_e32 v3, v5, v56
	v_add_f32_e32 v2, 0, v2
	v_fma_f32 v3, v4, v79, -v3
	v_add_f32_e32 v2, v2, v3
	v_mul_f32_e32 v3, v7, v58
	v_fma_f32 v3, v6, v80, -v3
	v_add_f32_e32 v2, v2, v3
	v_mul_f32_e32 v3, v9, v66
	;; [unrolled: 3-line block ×14, first 2 shown]
	v_fma_f32 v3, v32, v94, -v3
	s_waitcnt vmcnt(15)
	v_mov_b32_e32 v16, v45
	s_waitcnt lgkmcnt(1)
	v_mul_f32_e32 v57, v34, v95
	v_add_f32_e32 v54, v2, v3
	v_mul_f32_e32 v2, v35, v95
	s_waitcnt lgkmcnt(0)
	v_pk_mul_f32 v[16:17], v[38:39], v[16:17] op_sel_hi:[1,0]
	v_fmac_f32_e32 v57, v35, v96
	v_mul_f32_e32 v59, v36, v97
	v_fma_f32 v56, v34, v96, -v2
	v_mul_f32_e32 v2, v37, v97
	s_waitcnt vmcnt(14)
	v_pk_fma_f32 v[18:19], v[38:39], v[44:45], v[16:17] op_sel:[0,0,1] op_sel_hi:[1,1,0] neg_lo:[0,0,1] neg_hi:[0,0,1]
	v_pk_fma_f32 v[16:17], v[38:39], v[44:45], v[16:17] op_sel:[0,0,1] op_sel_hi:[1,0,0]
	v_fmac_f32_e32 v59, v37, v98
	v_fma_f32 v58, v36, v98, -v2
	v_pk_add_f32 v[14:15], v[54:55], v[56:57]
	ds_read2_b64 v[2:5], v1 offset0:97 offset1:98
	ds_read2_b64 v[6:9], v1 offset0:99 offset1:100
	;; [unrolled: 1-line block ×3, first 2 shown]
	v_pk_add_f32 v[14:15], v[14:15], v[58:59]
	v_mov_b32_e32 v19, v17
	v_pk_add_f32 v[14:15], v[14:15], v[18:19]
	s_waitcnt vmcnt(7)
	v_mov_b32_e32 v16, v53
	v_pk_mul_f32 v[16:17], v[40:41], v[16:17] op_sel_hi:[1,0]
	s_waitcnt vmcnt(6)
	v_pk_fma_f32 v[18:19], v[40:41], v[52:53], v[16:17] op_sel:[0,0,1] op_sel_hi:[1,1,0] neg_lo:[0,0,1] neg_hi:[0,0,1]
	v_pk_fma_f32 v[16:17], v[40:41], v[52:53], v[16:17] op_sel:[0,0,1] op_sel_hi:[1,0,0]
	v_mov_b32_e32 v16, v51
	v_mov_b32_e32 v19, v17
	s_waitcnt lgkmcnt(2)
	v_pk_mul_f32 v[16:17], v[2:3], v[16:17] op_sel_hi:[1,0]
	v_pk_add_f32 v[14:15], v[14:15], v[18:19]
	v_pk_fma_f32 v[18:19], v[2:3], v[50:51], v[16:17] op_sel:[0,0,1] op_sel_hi:[1,1,0] neg_lo:[0,0,1] neg_hi:[0,0,1]
	v_pk_fma_f32 v[2:3], v[2:3], v[50:51], v[16:17] op_sel:[0,0,1] op_sel_hi:[1,0,0]
	v_mov_b32_e32 v19, v3
	v_pk_add_f32 v[2:3], v[14:15], v[18:19]
	v_mov_b32_e32 v14, v49
	v_pk_mul_f32 v[14:15], v[4:5], v[14:15] op_sel_hi:[1,0]
	v_pk_fma_f32 v[16:17], v[4:5], v[48:49], v[14:15] op_sel:[0,0,1] op_sel_hi:[1,1,0] neg_lo:[0,0,1] neg_hi:[0,0,1]
	v_pk_fma_f32 v[4:5], v[4:5], v[48:49], v[14:15] op_sel:[0,0,1] op_sel_hi:[1,0,0]
	v_mov_b32_e32 v4, v47
	v_mov_b32_e32 v17, v5
	s_waitcnt lgkmcnt(1)
	v_pk_mul_f32 v[4:5], v[6:7], v[4:5] op_sel_hi:[1,0]
	v_pk_fma_f32 v[14:15], v[6:7], v[46:47], v[4:5] op_sel:[0,0,1] op_sel_hi:[1,1,0] neg_lo:[0,0,1] neg_hi:[0,0,1]
	v_pk_fma_f32 v[4:5], v[6:7], v[46:47], v[4:5] op_sel:[0,0,1] op_sel_hi:[1,0,0]
	s_waitcnt vmcnt(1)
	v_mov_b32_e32 v4, v65
	v_mov_b32_e32 v15, v5
	v_pk_mul_f32 v[4:5], v[8:9], v[4:5] op_sel_hi:[1,0]
	s_waitcnt vmcnt(0)
	v_pk_fma_f32 v[6:7], v[8:9], v[64:65], v[4:5] op_sel:[0,0,1] op_sel_hi:[1,1,0] neg_lo:[0,0,1] neg_hi:[0,0,1]
	v_pk_fma_f32 v[4:5], v[8:9], v[64:65], v[4:5] op_sel:[0,0,1] op_sel_hi:[1,0,0]
	v_pk_add_f32 v[2:3], v[2:3], v[16:17]
	v_mov_b32_e32 v4, v63
	v_pk_add_f32 v[2:3], v[2:3], v[14:15]
	v_mov_b32_e32 v7, v5
	s_waitcnt lgkmcnt(0)
	v_pk_mul_f32 v[4:5], v[10:11], v[4:5] op_sel_hi:[1,0]
	v_pk_add_f32 v[2:3], v[2:3], v[6:7]
	v_pk_fma_f32 v[6:7], v[10:11], v[62:63], v[4:5] op_sel:[0,0,1] op_sel_hi:[1,1,0] neg_lo:[0,0,1] neg_hi:[0,0,1]
	v_pk_fma_f32 v[4:5], v[10:11], v[62:63], v[4:5] op_sel:[0,0,1] op_sel_hi:[1,0,0]
	v_mov_b32_e32 v4, v61
	v_mov_b32_e32 v7, v5
	v_pk_mul_f32 v[4:5], v[12:13], v[4:5] op_sel_hi:[1,0]
	v_pk_add_f32 v[2:3], v[2:3], v[6:7]
	v_pk_fma_f32 v[6:7], v[12:13], v[60:61], v[4:5] op_sel:[0,0,1] op_sel_hi:[1,1,0] neg_lo:[0,0,1] neg_hi:[0,0,1]
	v_pk_fma_f32 v[4:5], v[12:13], v[60:61], v[4:5] op_sel:[0,0,1] op_sel_hi:[1,0,0]
	v_mov_b32_e32 v7, v5
	v_pk_add_f32 v[2:3], v[2:3], v[6:7]
	v_pk_add_f32 v[2:3], v[42:43], v[2:3] neg_lo:[0,1] neg_hi:[0,1]
	buffer_store_dword v3, off, s[0:3], 0 offset:196
	buffer_store_dword v2, off, s[0:3], 0 offset:192
	s_and_saveexec_b64 s[4:5], vcc
	s_cbranch_execz .LBB50_273
; %bb.272:
	buffer_load_dword v2, off, s[0:3], 0 offset:184
	buffer_load_dword v3, off, s[0:3], 0 offset:188
	v_mov_b32_e32 v1, 0
	buffer_store_dword v1, off, s[0:3], 0 offset:184
	buffer_store_dword v1, off, s[0:3], 0 offset:188
	s_waitcnt vmcnt(2)
	ds_write_b64 v121, v[2:3]
.LBB50_273:
	s_or_b64 exec, exec, s[4:5]
	s_waitcnt lgkmcnt(0)
	; wave barrier
	s_waitcnt lgkmcnt(0)
	buffer_load_dword v52, off, s[0:3], 0 offset:196
	buffer_load_dword v54, off, s[0:3], 0 offset:204
	buffer_load_dword v56, off, s[0:3], 0 offset:212
	buffer_load_dword v66, off, s[0:3], 0 offset:220
	buffer_load_dword v67, off, s[0:3], 0 offset:228
	buffer_load_dword v68, off, s[0:3], 0 offset:236
	buffer_load_dword v69, off, s[0:3], 0 offset:244
	buffer_load_dword v70, off, s[0:3], 0 offset:252
	buffer_load_dword v71, off, s[0:3], 0 offset:260
	buffer_load_dword v72, off, s[0:3], 0 offset:268
	buffer_load_dword v73, off, s[0:3], 0 offset:276
	buffer_load_dword v74, off, s[0:3], 0 offset:284
	buffer_load_dword v75, off, s[0:3], 0 offset:292
	buffer_load_dword v76, off, s[0:3], 0 offset:300
	buffer_load_dword v77, off, s[0:3], 0 offset:308
	buffer_load_dword v78, off, s[0:3], 0 offset:316
	buffer_load_dword v79, off, s[0:3], 0 offset:192
	buffer_load_dword v80, off, s[0:3], 0 offset:200
	buffer_load_dword v81, off, s[0:3], 0 offset:208
	buffer_load_dword v82, off, s[0:3], 0 offset:216
	buffer_load_dword v83, off, s[0:3], 0 offset:224
	buffer_load_dword v84, off, s[0:3], 0 offset:232
	buffer_load_dword v85, off, s[0:3], 0 offset:240
	buffer_load_dword v86, off, s[0:3], 0 offset:248
	buffer_load_dword v87, off, s[0:3], 0 offset:256
	buffer_load_dword v88, off, s[0:3], 0 offset:264
	buffer_load_dword v89, off, s[0:3], 0 offset:272
	buffer_load_dword v90, off, s[0:3], 0 offset:280
	buffer_load_dword v91, off, s[0:3], 0 offset:288
	buffer_load_dword v92, off, s[0:3], 0 offset:296
	buffer_load_dword v93, off, s[0:3], 0 offset:304
	buffer_load_dword v94, off, s[0:3], 0 offset:312
	buffer_load_dword v95, off, s[0:3], 0 offset:324
	buffer_load_dword v96, off, s[0:3], 0 offset:320
	buffer_load_dword v97, off, s[0:3], 0 offset:332
	buffer_load_dword v98, off, s[0:3], 0 offset:328
	buffer_load_dword v99, off, s[0:3], 0 offset:340
	buffer_load_dword v100, off, s[0:3], 0 offset:336
	buffer_load_dword v2, off, s[0:3], 0 offset:184
	buffer_load_dword v3, off, s[0:3], 0 offset:188
	v_mov_b32_e32 v1, 0
	ds_read_b128 v[4:7], v1 offset:608
	ds_read_b128 v[8:11], v1 offset:624
	;; [unrolled: 1-line block ×8, first 2 shown]
	v_cmp_lt_u32_e32 vcc, 22, v0
	s_waitcnt vmcnt(39) lgkmcnt(7)
	v_mul_f32_e32 v36, v4, v52
	s_waitcnt vmcnt(38)
	v_mul_f32_e32 v37, v6, v54
	s_waitcnt vmcnt(37) lgkmcnt(6)
	v_mul_f32_e32 v38, v8, v56
	s_waitcnt vmcnt(36)
	v_mul_f32_e32 v39, v10, v66
	;; [unrolled: 4-line block ×8, first 2 shown]
	s_waitcnt vmcnt(23)
	v_fmac_f32_e32 v36, v5, v79
	s_waitcnt vmcnt(22)
	v_fmac_f32_e32 v37, v7, v80
	v_add_f32_e32 v36, 0, v36
	s_waitcnt vmcnt(21)
	v_fmac_f32_e32 v38, v9, v81
	v_add_f32_e32 v36, v36, v37
	;; [unrolled: 3-line block ×14, first 2 shown]
	v_add_f32_e32 v36, v36, v50
	s_waitcnt vmcnt(8)
	v_fmac_f32_e32 v51, v35, v94
	v_add_f32_e32 v53, v36, v51
	ds_read_b128 v[36:39], v1 offset:736
	buffer_load_dword v45, off, s[0:3], 0 offset:348
	buffer_load_dword v47, off, s[0:3], 0 offset:372
	;; [unrolled: 1-line block ×8, first 2 shown]
	ds_read_b128 v[40:43], v1 offset:752
	buffer_load_dword v59, off, s[0:3], 0 offset:404
	buffer_load_dword v58, off, s[0:3], 0 offset:400
	;; [unrolled: 1-line block ×8, first 2 shown]
	v_mul_f32_e32 v5, v5, v52
	v_fma_f32 v4, v4, v79, -v5
	v_mul_f32_e32 v5, v7, v54
	v_add_f32_e32 v4, 0, v4
	v_fma_f32 v5, v6, v80, -v5
	v_add_f32_e32 v4, v4, v5
	v_mul_f32_e32 v5, v9, v56
	v_fma_f32 v5, v8, v81, -v5
	v_add_f32_e32 v4, v4, v5
	v_mul_f32_e32 v5, v11, v66
	;; [unrolled: 3-line block ×14, first 2 shown]
	v_fma_f32 v5, v34, v94, -v5
	v_add_f32_e32 v4, v4, v5
	s_waitcnt vmcnt(23) lgkmcnt(1)
	v_mul_f32_e32 v5, v37, v95
	v_mul_f32_e32 v55, v36, v95
	s_waitcnt vmcnt(22)
	v_fma_f32 v5, v36, v96, -v5
	v_fmac_f32_e32 v55, v37, v96
	v_add_f32_e32 v52, v4, v5
	s_waitcnt vmcnt(21)
	v_mul_f32_e32 v4, v39, v97
	v_add_f32_e32 v53, v53, v55
	v_mul_f32_e32 v55, v38, v97
	s_waitcnt vmcnt(20)
	v_fma_f32 v54, v38, v98, -v4
	s_waitcnt vmcnt(19) lgkmcnt(0)
	v_mul_f32_e32 v4, v41, v99
	v_fmac_f32_e32 v55, v39, v98
	v_mul_f32_e32 v57, v40, v99
	s_waitcnt vmcnt(18)
	v_fma_f32 v56, v40, v100, -v4
	ds_read_b128 v[4:7], v1 offset:768
	ds_read_b128 v[8:11], v1 offset:784
	;; [unrolled: 1-line block ×3, first 2 shown]
	ds_read_b64 v[16:17], v1 offset:816
	v_fmac_f32_e32 v57, v41, v100
	v_pk_add_f32 v[18:19], v[52:53], v[54:55]
	v_pk_add_f32 v[18:19], v[18:19], v[56:57]
	s_waitcnt vmcnt(15)
	v_mov_b32_e32 v20, v45
	v_pk_mul_f32 v[20:21], v[42:43], v[20:21] op_sel_hi:[1,0]
	s_waitcnt vmcnt(8)
	v_pk_fma_f32 v[22:23], v[42:43], v[44:45], v[20:21] op_sel:[0,0,1] op_sel_hi:[1,1,0] neg_lo:[0,0,1] neg_hi:[0,0,1]
	v_pk_fma_f32 v[20:21], v[42:43], v[44:45], v[20:21] op_sel:[0,0,1] op_sel_hi:[1,0,0]
	v_mov_b32_e32 v20, v51
	v_mov_b32_e32 v23, v21
	s_waitcnt lgkmcnt(3)
	v_pk_mul_f32 v[20:21], v[4:5], v[20:21] op_sel_hi:[1,0]
	v_pk_add_f32 v[18:19], v[18:19], v[22:23]
	v_pk_fma_f32 v[22:23], v[4:5], v[50:51], v[20:21] op_sel:[0,0,1] op_sel_hi:[1,1,0] neg_lo:[0,0,1] neg_hi:[0,0,1]
	v_pk_fma_f32 v[4:5], v[4:5], v[50:51], v[20:21] op_sel:[0,0,1] op_sel_hi:[1,0,0]
	v_mov_b32_e32 v23, v5
	v_pk_add_f32 v[4:5], v[18:19], v[22:23]
	v_mov_b32_e32 v18, v49
	v_pk_mul_f32 v[18:19], v[6:7], v[18:19] op_sel_hi:[1,0]
	v_pk_fma_f32 v[20:21], v[6:7], v[48:49], v[18:19] op_sel:[0,0,1] op_sel_hi:[1,1,0] neg_lo:[0,0,1] neg_hi:[0,0,1]
	v_pk_fma_f32 v[6:7], v[6:7], v[48:49], v[18:19] op_sel:[0,0,1] op_sel_hi:[1,0,0]
	v_mov_b32_e32 v6, v47
	v_mov_b32_e32 v21, v7
	s_waitcnt lgkmcnt(2)
	v_pk_mul_f32 v[6:7], v[8:9], v[6:7] op_sel_hi:[1,0]
	v_pk_fma_f32 v[18:19], v[8:9], v[46:47], v[6:7] op_sel:[0,0,1] op_sel_hi:[1,1,0] neg_lo:[0,0,1] neg_hi:[0,0,1]
	v_pk_fma_f32 v[6:7], v[8:9], v[46:47], v[6:7] op_sel:[0,0,1] op_sel_hi:[1,0,0]
	s_waitcnt vmcnt(1)
	v_mov_b32_e32 v6, v65
	v_mov_b32_e32 v19, v7
	v_pk_mul_f32 v[6:7], v[10:11], v[6:7] op_sel_hi:[1,0]
	s_waitcnt vmcnt(0)
	v_pk_fma_f32 v[8:9], v[10:11], v[64:65], v[6:7] op_sel:[0,0,1] op_sel_hi:[1,1,0] neg_lo:[0,0,1] neg_hi:[0,0,1]
	v_pk_fma_f32 v[6:7], v[10:11], v[64:65], v[6:7] op_sel:[0,0,1] op_sel_hi:[1,0,0]
	v_pk_add_f32 v[4:5], v[4:5], v[20:21]
	v_mov_b32_e32 v6, v63
	v_pk_add_f32 v[4:5], v[4:5], v[18:19]
	v_mov_b32_e32 v9, v7
	s_waitcnt lgkmcnt(1)
	v_pk_mul_f32 v[6:7], v[12:13], v[6:7] op_sel_hi:[1,0]
	v_pk_add_f32 v[4:5], v[4:5], v[8:9]
	v_pk_fma_f32 v[8:9], v[12:13], v[62:63], v[6:7] op_sel:[0,0,1] op_sel_hi:[1,1,0] neg_lo:[0,0,1] neg_hi:[0,0,1]
	v_pk_fma_f32 v[6:7], v[12:13], v[62:63], v[6:7] op_sel:[0,0,1] op_sel_hi:[1,0,0]
	v_mov_b32_e32 v6, v61
	v_mov_b32_e32 v9, v7
	v_pk_mul_f32 v[6:7], v[14:15], v[6:7] op_sel_hi:[1,0]
	v_pk_add_f32 v[4:5], v[4:5], v[8:9]
	v_pk_fma_f32 v[8:9], v[14:15], v[60:61], v[6:7] op_sel:[0,0,1] op_sel_hi:[1,1,0] neg_lo:[0,0,1] neg_hi:[0,0,1]
	v_pk_fma_f32 v[6:7], v[14:15], v[60:61], v[6:7] op_sel:[0,0,1] op_sel_hi:[1,0,0]
	v_mov_b32_e32 v6, v59
	v_mov_b32_e32 v9, v7
	s_waitcnt lgkmcnt(0)
	v_pk_mul_f32 v[6:7], v[16:17], v[6:7] op_sel_hi:[1,0]
	v_pk_add_f32 v[4:5], v[4:5], v[8:9]
	v_pk_fma_f32 v[8:9], v[16:17], v[58:59], v[6:7] op_sel:[0,0,1] op_sel_hi:[1,1,0] neg_lo:[0,0,1] neg_hi:[0,0,1]
	v_pk_fma_f32 v[6:7], v[16:17], v[58:59], v[6:7] op_sel:[0,0,1] op_sel_hi:[1,0,0]
	v_mov_b32_e32 v9, v7
	v_pk_add_f32 v[4:5], v[4:5], v[8:9]
	v_pk_add_f32 v[2:3], v[2:3], v[4:5] neg_lo:[0,1] neg_hi:[0,1]
	buffer_store_dword v3, off, s[0:3], 0 offset:188
	buffer_store_dword v2, off, s[0:3], 0 offset:184
	s_and_saveexec_b64 s[4:5], vcc
	s_cbranch_execz .LBB50_275
; %bb.274:
	buffer_load_dword v2, off, s[0:3], 0 offset:176
	buffer_load_dword v3, off, s[0:3], 0 offset:180
	s_waitcnt vmcnt(0)
	ds_write_b64 v121, v[2:3]
	buffer_store_dword v1, off, s[0:3], 0 offset:176
	buffer_store_dword v1, off, s[0:3], 0 offset:180
.LBB50_275:
	s_or_b64 exec, exec, s[4:5]
	s_waitcnt lgkmcnt(0)
	; wave barrier
	s_waitcnt lgkmcnt(0)
	buffer_load_dword v44, off, s[0:3], 0 offset:188
	buffer_load_dword v46, off, s[0:3], 0 offset:196
	;; [unrolled: 1-line block ×42, first 2 shown]
	ds_read2_b64 v[4:7], v1 offset0:75 offset1:76
	ds_read2_b64 v[8:11], v1 offset0:77 offset1:78
	;; [unrolled: 1-line block ×8, first 2 shown]
	v_cmp_lt_u32_e32 vcc, 21, v0
	s_waitcnt vmcnt(41) lgkmcnt(7)
	v_mul_f32_e32 v36, v4, v44
	s_waitcnt vmcnt(40)
	v_mul_f32_e32 v37, v6, v46
	s_waitcnt vmcnt(39) lgkmcnt(6)
	v_mul_f32_e32 v38, v8, v54
	s_waitcnt vmcnt(38)
	v_mul_f32_e32 v39, v10, v66
	;; [unrolled: 4-line block ×7, first 2 shown]
	s_waitcnt vmcnt(27) lgkmcnt(0)
	v_mul_f32_e32 v52, v32, v77
	s_waitcnt vmcnt(26)
	v_fmac_f32_e32 v36, v5, v78
	s_waitcnt vmcnt(25)
	v_fmac_f32_e32 v37, v7, v79
	v_add_f32_e32 v36, 0, v36
	s_waitcnt vmcnt(24)
	v_fmac_f32_e32 v38, v9, v80
	v_add_f32_e32 v36, v36, v37
	;; [unrolled: 3-line block ×14, first 2 shown]
	s_waitcnt vmcnt(11)
	v_mul_f32_e32 v41, v34, v93
	v_add_f32_e32 v40, v36, v52
	s_waitcnt vmcnt(10)
	v_fmac_f32_e32 v41, v35, v94
	ds_read2_b64 v[36:39], v1 offset0:91 offset1:92
	v_add_f32_e32 v45, v40, v41
	ds_read2_b64 v[40:43], v1 offset0:93 offset1:94
	buffer_load_dword v49, off, s[0:3], 0 offset:348
	buffer_load_dword v51, off, s[0:3], 0 offset:364
	;; [unrolled: 1-line block ×16, first 2 shown]
	v_mul_f32_e32 v5, v5, v44
	v_fma_f32 v4, v4, v78, -v5
	v_mul_f32_e32 v5, v7, v46
	v_add_f32_e32 v4, 0, v4
	v_fma_f32 v5, v6, v79, -v5
	v_add_f32_e32 v4, v4, v5
	v_mul_f32_e32 v5, v9, v54
	v_fma_f32 v5, v8, v80, -v5
	v_add_f32_e32 v4, v4, v5
	v_mul_f32_e32 v5, v11, v66
	;; [unrolled: 3-line block ×14, first 2 shown]
	v_fma_f32 v5, v34, v94, -v5
	v_add_f32_e32 v4, v4, v5
	s_waitcnt vmcnt(25) lgkmcnt(1)
	v_mul_f32_e32 v5, v37, v95
	s_waitcnt vmcnt(24)
	v_fma_f32 v5, v36, v96, -v5
	v_add_f32_e32 v4, v4, v5
	s_waitcnt vmcnt(23)
	v_mul_f32_e32 v5, v39, v97
	v_mul_f32_e32 v47, v36, v95
	s_waitcnt vmcnt(22)
	v_fma_f32 v5, v38, v98, -v5
	v_fmac_f32_e32 v47, v37, v96
	v_add_f32_e32 v44, v4, v5
	s_waitcnt vmcnt(21) lgkmcnt(0)
	v_mul_f32_e32 v4, v41, v99
	v_add_f32_e32 v45, v45, v47
	v_mul_f32_e32 v47, v38, v97
	s_waitcnt vmcnt(20)
	v_fma_f32 v46, v40, v100, -v4
	s_waitcnt vmcnt(19)
	v_mul_f32_e32 v4, v43, v101
	v_fmac_f32_e32 v47, v39, v98
	s_waitcnt vmcnt(18)
	v_fma_f32 v54, v42, v102, -v4
	ds_read2_b64 v[4:7], v1 offset0:95 offset1:96
	ds_read2_b64 v[8:11], v1 offset0:97 offset1:98
	;; [unrolled: 1-line block ×4, first 2 shown]
	v_add_f32_e32 v45, v45, v47
	v_mul_f32_e32 v47, v40, v99
	v_fmac_f32_e32 v47, v41, v100
	v_mul_f32_e32 v55, v42, v101
	v_fmac_f32_e32 v55, v43, v102
	v_pk_add_f32 v[20:21], v[44:45], v[46:47]
	v_pk_add_f32 v[20:21], v[20:21], v[54:55]
	s_waitcnt vmcnt(15)
	v_mov_b32_e32 v22, v49
	s_waitcnt lgkmcnt(3)
	v_pk_mul_f32 v[22:23], v[4:5], v[22:23] op_sel_hi:[1,0]
	s_waitcnt vmcnt(10)
	v_pk_fma_f32 v[24:25], v[4:5], v[48:49], v[22:23] op_sel:[0,0,1] op_sel_hi:[1,1,0] neg_lo:[0,0,1] neg_hi:[0,0,1]
	v_pk_fma_f32 v[4:5], v[4:5], v[48:49], v[22:23] op_sel:[0,0,1] op_sel_hi:[1,0,0]
	v_mov_b32_e32 v25, v5
	v_pk_add_f32 v[4:5], v[20:21], v[24:25]
	v_mov_b32_e32 v20, v53
	v_pk_mul_f32 v[20:21], v[6:7], v[20:21] op_sel_hi:[1,0]
	v_pk_fma_f32 v[22:23], v[6:7], v[52:53], v[20:21] op_sel:[0,0,1] op_sel_hi:[1,1,0] neg_lo:[0,0,1] neg_hi:[0,0,1]
	v_pk_fma_f32 v[6:7], v[6:7], v[52:53], v[20:21] op_sel:[0,0,1] op_sel_hi:[1,0,0]
	v_mov_b32_e32 v6, v51
	v_mov_b32_e32 v23, v7
	s_waitcnt lgkmcnt(2)
	v_pk_mul_f32 v[6:7], v[8:9], v[6:7] op_sel_hi:[1,0]
	v_pk_fma_f32 v[20:21], v[8:9], v[50:51], v[6:7] op_sel:[0,0,1] op_sel_hi:[1,1,0] neg_lo:[0,0,1] neg_hi:[0,0,1]
	v_pk_fma_f32 v[6:7], v[8:9], v[50:51], v[6:7] op_sel:[0,0,1] op_sel_hi:[1,0,0]
	s_waitcnt vmcnt(3)
	v_mov_b32_e32 v6, v63
	v_mov_b32_e32 v21, v7
	v_pk_mul_f32 v[6:7], v[10:11], v[6:7] op_sel_hi:[1,0]
	s_waitcnt vmcnt(2)
	v_pk_fma_f32 v[8:9], v[10:11], v[62:63], v[6:7] op_sel:[0,0,1] op_sel_hi:[1,1,0] neg_lo:[0,0,1] neg_hi:[0,0,1]
	v_pk_fma_f32 v[6:7], v[10:11], v[62:63], v[6:7] op_sel:[0,0,1] op_sel_hi:[1,0,0]
	v_pk_add_f32 v[4:5], v[4:5], v[22:23]
	v_mov_b32_e32 v6, v61
	v_pk_add_f32 v[4:5], v[4:5], v[20:21]
	v_mov_b32_e32 v9, v7
	s_waitcnt lgkmcnt(1)
	v_pk_mul_f32 v[6:7], v[12:13], v[6:7] op_sel_hi:[1,0]
	v_pk_add_f32 v[4:5], v[4:5], v[8:9]
	v_pk_fma_f32 v[8:9], v[12:13], v[60:61], v[6:7] op_sel:[0,0,1] op_sel_hi:[1,1,0] neg_lo:[0,0,1] neg_hi:[0,0,1]
	v_pk_fma_f32 v[6:7], v[12:13], v[60:61], v[6:7] op_sel:[0,0,1] op_sel_hi:[1,0,0]
	v_mov_b32_e32 v6, v59
	v_mov_b32_e32 v9, v7
	v_pk_mul_f32 v[6:7], v[14:15], v[6:7] op_sel_hi:[1,0]
	v_pk_add_f32 v[4:5], v[4:5], v[8:9]
	v_pk_fma_f32 v[8:9], v[14:15], v[58:59], v[6:7] op_sel:[0,0,1] op_sel_hi:[1,1,0] neg_lo:[0,0,1] neg_hi:[0,0,1]
	v_pk_fma_f32 v[6:7], v[14:15], v[58:59], v[6:7] op_sel:[0,0,1] op_sel_hi:[1,0,0]
	v_mov_b32_e32 v6, v57
	v_mov_b32_e32 v9, v7
	s_waitcnt lgkmcnt(0)
	v_pk_mul_f32 v[6:7], v[16:17], v[6:7] op_sel_hi:[1,0]
	v_pk_add_f32 v[4:5], v[4:5], v[8:9]
	v_pk_fma_f32 v[8:9], v[16:17], v[56:57], v[6:7] op_sel:[0,0,1] op_sel_hi:[1,1,0] neg_lo:[0,0,1] neg_hi:[0,0,1]
	v_pk_fma_f32 v[6:7], v[16:17], v[56:57], v[6:7] op_sel:[0,0,1] op_sel_hi:[1,0,0]
	s_waitcnt vmcnt(1)
	v_mov_b32_e32 v6, v65
	v_mov_b32_e32 v9, v7
	v_pk_mul_f32 v[6:7], v[18:19], v[6:7] op_sel_hi:[1,0]
	v_pk_add_f32 v[4:5], v[4:5], v[8:9]
	s_waitcnt vmcnt(0)
	v_pk_fma_f32 v[8:9], v[18:19], v[64:65], v[6:7] op_sel:[0,0,1] op_sel_hi:[1,1,0] neg_lo:[0,0,1] neg_hi:[0,0,1]
	v_pk_fma_f32 v[6:7], v[18:19], v[64:65], v[6:7] op_sel:[0,0,1] op_sel_hi:[1,0,0]
	v_mov_b32_e32 v9, v7
	v_pk_add_f32 v[4:5], v[4:5], v[8:9]
	v_pk_add_f32 v[2:3], v[2:3], v[4:5] neg_lo:[0,1] neg_hi:[0,1]
	buffer_store_dword v3, off, s[0:3], 0 offset:180
	buffer_store_dword v2, off, s[0:3], 0 offset:176
	s_and_saveexec_b64 s[4:5], vcc
	s_cbranch_execz .LBB50_277
; %bb.276:
	buffer_load_dword v2, off, s[0:3], 0 offset:168
	buffer_load_dword v3, off, s[0:3], 0 offset:172
	v_mov_b32_e32 v1, 0
	buffer_store_dword v1, off, s[0:3], 0 offset:168
	buffer_store_dword v1, off, s[0:3], 0 offset:172
	s_waitcnt vmcnt(2)
	ds_write_b64 v121, v[2:3]
.LBB50_277:
	s_or_b64 exec, exec, s[4:5]
	s_waitcnt lgkmcnt(0)
	; wave barrier
	s_waitcnt lgkmcnt(0)
	buffer_load_dword v52, off, s[0:3], 0 offset:180
	buffer_load_dword v58, off, s[0:3], 0 offset:188
	;; [unrolled: 1-line block ×44, first 2 shown]
	v_mov_b32_e32 v1, 0
	ds_read_b128 v[4:7], v1 offset:592
	ds_read_b128 v[8:11], v1 offset:608
	;; [unrolled: 1-line block ×8, first 2 shown]
	v_cmp_lt_u32_e32 vcc, 20, v0
	s_waitcnt vmcnt(43) lgkmcnt(7)
	v_mul_f32_e32 v36, v4, v52
	s_waitcnt vmcnt(42)
	v_mul_f32_e32 v37, v6, v58
	s_waitcnt vmcnt(41) lgkmcnt(6)
	v_mul_f32_e32 v38, v8, v60
	s_waitcnt vmcnt(40)
	v_mul_f32_e32 v39, v10, v74
	;; [unrolled: 4-line block ×7, first 2 shown]
	s_waitcnt vmcnt(29)
	v_fmac_f32_e32 v36, v5, v85
	s_waitcnt vmcnt(28)
	v_fmac_f32_e32 v37, v7, v86
	v_add_f32_e32 v36, 0, v36
	s_waitcnt vmcnt(27)
	v_fmac_f32_e32 v38, v9, v87
	v_add_f32_e32 v36, v36, v37
	;; [unrolled: 3-line block ×12, first 2 shown]
	v_add_f32_e32 v36, v36, v48
	s_waitcnt vmcnt(16)
	v_fmac_f32_e32 v49, v31, v98
	s_waitcnt vmcnt(15) lgkmcnt(0)
	v_mul_f32_e32 v37, v32, v99
	v_add_f32_e32 v36, v36, v49
	s_waitcnt vmcnt(14)
	v_fmac_f32_e32 v37, v33, v100
	v_add_f32_e32 v40, v36, v37
	ds_read_b128 v[36:39], v1 offset:720
	s_waitcnt vmcnt(13)
	v_mul_f32_e32 v41, v34, v101
	s_waitcnt vmcnt(12)
	v_fmac_f32_e32 v41, v35, v102
	v_add_f32_e32 v44, v40, v41
	ds_read_b128 v[40:43], v1 offset:736
	s_waitcnt vmcnt(11) lgkmcnt(1)
	v_mul_f32_e32 v45, v36, v103
	s_waitcnt vmcnt(10)
	v_fmac_f32_e32 v45, v37, v104
	v_add_f32_e32 v44, v44, v45
	s_waitcnt vmcnt(9)
	v_mul_f32_e32 v45, v38, v105
	s_waitcnt vmcnt(8)
	v_fmac_f32_e32 v45, v39, v106
	v_add_f32_e32 v44, v44, v45
	s_waitcnt vmcnt(7) lgkmcnt(0)
	v_mul_f32_e32 v45, v40, v107
	s_waitcnt vmcnt(6)
	v_fmac_f32_e32 v45, v41, v188
	v_add_f32_e32 v53, v44, v45
	ds_read_b128 v[44:47], v1 offset:752
	buffer_load_dword v55, off, s[0:3], 0 offset:356
	buffer_load_dword v54, off, s[0:3], 0 offset:352
	;; [unrolled: 1-line block ×4, first 2 shown]
	ds_read_b128 v[48:51], v1 offset:768
	buffer_load_dword v63, off, s[0:3], 0 offset:388
	buffer_load_dword v62, off, s[0:3], 0 offset:384
	;; [unrolled: 1-line block ×12, first 2 shown]
	v_mul_f32_e32 v5, v5, v52
	v_fma_f32 v4, v4, v85, -v5
	v_mul_f32_e32 v5, v7, v58
	v_add_f32_e32 v4, 0, v4
	v_fma_f32 v5, v6, v86, -v5
	v_add_f32_e32 v4, v4, v5
	v_mul_f32_e32 v5, v9, v60
	v_fma_f32 v5, v8, v87, -v5
	v_add_f32_e32 v4, v4, v5
	v_mul_f32_e32 v5, v11, v74
	;; [unrolled: 3-line block ×17, first 2 shown]
	v_fma_f32 v5, v40, v188, -v5
	s_waitcnt vmcnt(21)
	v_mul_f32_e32 v59, v42, v189
	v_add_f32_e32 v52, v4, v5
	v_mul_f32_e32 v4, v43, v189
	s_waitcnt vmcnt(20)
	v_fmac_f32_e32 v59, v43, v190
	s_waitcnt vmcnt(19) lgkmcnt(1)
	v_mul_f32_e32 v61, v44, v191
	v_fma_f32 v58, v42, v190, -v4
	v_mul_f32_e32 v4, v45, v191
	s_waitcnt vmcnt(18)
	v_fmac_f32_e32 v61, v45, v192
	v_fma_f32 v60, v44, v192, -v4
	v_pk_add_f32 v[14:15], v[52:53], v[58:59]
	v_pk_add_f32 v[14:15], v[14:15], v[60:61]
	ds_read_b128 v[4:7], v1 offset:784
	ds_read_b128 v[8:11], v1 offset:800
	ds_read_b64 v[12:13], v1 offset:816
	s_waitcnt vmcnt(13)
	v_mov_b32_e32 v16, v57
	v_pk_mul_f32 v[16:17], v[46:47], v[16:17] op_sel_hi:[1,0]
	s_waitcnt vmcnt(12)
	v_pk_fma_f32 v[18:19], v[46:47], v[56:57], v[16:17] op_sel:[0,0,1] op_sel_hi:[1,1,0] neg_lo:[0,0,1] neg_hi:[0,0,1]
	v_pk_fma_f32 v[16:17], v[46:47], v[56:57], v[16:17] op_sel:[0,0,1] op_sel_hi:[1,0,0]
	v_mov_b32_e32 v16, v55
	v_mov_b32_e32 v19, v17
	s_waitcnt lgkmcnt(3)
	v_pk_mul_f32 v[16:17], v[48:49], v[16:17] op_sel_hi:[1,0]
	v_pk_add_f32 v[14:15], v[14:15], v[18:19]
	v_pk_fma_f32 v[18:19], v[48:49], v[54:55], v[16:17] op_sel:[0,0,1] op_sel_hi:[1,1,0] neg_lo:[0,0,1] neg_hi:[0,0,1]
	v_pk_fma_f32 v[16:17], v[48:49], v[54:55], v[16:17] op_sel:[0,0,1] op_sel_hi:[1,0,0]
	s_waitcnt vmcnt(5)
	v_mov_b32_e32 v16, v69
	v_mov_b32_e32 v19, v17
	v_pk_mul_f32 v[16:17], v[50:51], v[16:17] op_sel_hi:[1,0]
	v_pk_add_f32 v[14:15], v[14:15], v[18:19]
	s_waitcnt vmcnt(4)
	v_pk_fma_f32 v[18:19], v[50:51], v[68:69], v[16:17] op_sel:[0,0,1] op_sel_hi:[1,1,0] neg_lo:[0,0,1] neg_hi:[0,0,1]
	v_pk_fma_f32 v[16:17], v[50:51], v[68:69], v[16:17] op_sel:[0,0,1] op_sel_hi:[1,0,0]
	v_mov_b32_e32 v16, v67
	v_mov_b32_e32 v19, v17
	s_waitcnt lgkmcnt(2)
	v_pk_mul_f32 v[16:17], v[4:5], v[16:17] op_sel_hi:[1,0]
	v_pk_add_f32 v[14:15], v[14:15], v[18:19]
	v_pk_fma_f32 v[18:19], v[4:5], v[66:67], v[16:17] op_sel:[0,0,1] op_sel_hi:[1,1,0] neg_lo:[0,0,1] neg_hi:[0,0,1]
	v_pk_fma_f32 v[4:5], v[4:5], v[66:67], v[16:17] op_sel:[0,0,1] op_sel_hi:[1,0,0]
	v_mov_b32_e32 v19, v5
	v_pk_add_f32 v[4:5], v[14:15], v[18:19]
	v_mov_b32_e32 v14, v65
	v_pk_mul_f32 v[14:15], v[6:7], v[14:15] op_sel_hi:[1,0]
	v_pk_fma_f32 v[16:17], v[6:7], v[64:65], v[14:15] op_sel:[0,0,1] op_sel_hi:[1,1,0] neg_lo:[0,0,1] neg_hi:[0,0,1]
	v_pk_fma_f32 v[6:7], v[6:7], v[64:65], v[14:15] op_sel:[0,0,1] op_sel_hi:[1,0,0]
	v_mov_b32_e32 v6, v63
	v_mov_b32_e32 v17, v7
	s_waitcnt lgkmcnt(1)
	v_pk_mul_f32 v[6:7], v[8:9], v[6:7] op_sel_hi:[1,0]
	v_pk_fma_f32 v[14:15], v[8:9], v[62:63], v[6:7] op_sel:[0,0,1] op_sel_hi:[1,1,0] neg_lo:[0,0,1] neg_hi:[0,0,1]
	v_pk_fma_f32 v[6:7], v[8:9], v[62:63], v[6:7] op_sel:[0,0,1] op_sel_hi:[1,0,0]
	s_waitcnt vmcnt(1)
	v_mov_b32_e32 v6, v73
	v_mov_b32_e32 v15, v7
	v_pk_mul_f32 v[6:7], v[10:11], v[6:7] op_sel_hi:[1,0]
	s_waitcnt vmcnt(0)
	v_pk_fma_f32 v[8:9], v[10:11], v[72:73], v[6:7] op_sel:[0,0,1] op_sel_hi:[1,1,0] neg_lo:[0,0,1] neg_hi:[0,0,1]
	v_pk_fma_f32 v[6:7], v[10:11], v[72:73], v[6:7] op_sel:[0,0,1] op_sel_hi:[1,0,0]
	v_pk_add_f32 v[4:5], v[4:5], v[16:17]
	v_mov_b32_e32 v6, v71
	v_pk_add_f32 v[4:5], v[4:5], v[14:15]
	v_mov_b32_e32 v9, v7
	s_waitcnt lgkmcnt(0)
	v_pk_mul_f32 v[6:7], v[12:13], v[6:7] op_sel_hi:[1,0]
	v_pk_add_f32 v[4:5], v[4:5], v[8:9]
	v_pk_fma_f32 v[8:9], v[12:13], v[70:71], v[6:7] op_sel:[0,0,1] op_sel_hi:[1,1,0] neg_lo:[0,0,1] neg_hi:[0,0,1]
	v_pk_fma_f32 v[6:7], v[12:13], v[70:71], v[6:7] op_sel:[0,0,1] op_sel_hi:[1,0,0]
	v_mov_b32_e32 v9, v7
	v_pk_add_f32 v[4:5], v[4:5], v[8:9]
	v_pk_add_f32 v[2:3], v[2:3], v[4:5] neg_lo:[0,1] neg_hi:[0,1]
	buffer_store_dword v3, off, s[0:3], 0 offset:172
	buffer_store_dword v2, off, s[0:3], 0 offset:168
	s_and_saveexec_b64 s[4:5], vcc
	s_cbranch_execz .LBB50_279
; %bb.278:
	buffer_load_dword v2, off, s[0:3], 0 offset:160
	buffer_load_dword v3, off, s[0:3], 0 offset:164
	s_waitcnt vmcnt(0)
	ds_write_b64 v121, v[2:3]
	buffer_store_dword v1, off, s[0:3], 0 offset:160
	buffer_store_dword v1, off, s[0:3], 0 offset:164
.LBB50_279:
	s_or_b64 exec, exec, s[4:5]
	s_waitcnt lgkmcnt(0)
	; wave barrier
	s_waitcnt lgkmcnt(0)
	buffer_load_dword v54, off, s[0:3], 0 offset:172
	buffer_load_dword v56, off, s[0:3], 0 offset:180
	;; [unrolled: 1-line block ×46, first 2 shown]
	ds_read2_b64 v[4:7], v1 offset0:73 offset1:74
	ds_read2_b64 v[8:11], v1 offset0:75 offset1:76
	ds_read2_b64 v[12:15], v1 offset0:77 offset1:78
	ds_read2_b64 v[16:19], v1 offset0:79 offset1:80
	ds_read2_b64 v[20:23], v1 offset0:81 offset1:82
	ds_read2_b64 v[24:27], v1 offset0:83 offset1:84
	ds_read2_b64 v[28:31], v1 offset0:85 offset1:86
	ds_read2_b64 v[32:35], v1 offset0:87 offset1:88
	v_cmp_lt_u32_e32 vcc, 19, v0
	s_waitcnt vmcnt(45) lgkmcnt(7)
	v_mul_f32_e32 v36, v4, v54
	s_waitcnt vmcnt(44)
	v_mul_f32_e32 v37, v6, v56
	s_waitcnt vmcnt(43) lgkmcnt(6)
	v_mul_f32_e32 v38, v8, v58
	s_waitcnt vmcnt(42)
	v_mul_f32_e32 v39, v10, v74
	;; [unrolled: 4-line block ×6, first 2 shown]
	s_waitcnt vmcnt(33) lgkmcnt(1)
	v_mul_f32_e32 v48, v28, v83
	s_waitcnt vmcnt(32)
	v_fmac_f32_e32 v36, v5, v84
	s_waitcnt vmcnt(31)
	v_fmac_f32_e32 v37, v7, v85
	v_add_f32_e32 v36, 0, v36
	s_waitcnt vmcnt(30)
	v_fmac_f32_e32 v38, v9, v86
	v_add_f32_e32 v36, v36, v37
	;; [unrolled: 3-line block ×12, first 2 shown]
	s_waitcnt vmcnt(19)
	v_mul_f32_e32 v37, v30, v97
	v_add_f32_e32 v36, v36, v48
	s_waitcnt vmcnt(18)
	v_fmac_f32_e32 v37, v31, v98
	v_add_f32_e32 v36, v36, v37
	s_waitcnt vmcnt(17) lgkmcnt(0)
	v_mul_f32_e32 v37, v32, v99
	s_waitcnt vmcnt(16)
	v_fmac_f32_e32 v37, v33, v100
	v_add_f32_e32 v40, v36, v37
	ds_read2_b64 v[36:39], v1 offset0:89 offset1:90
	s_waitcnt vmcnt(15)
	v_mul_f32_e32 v41, v34, v101
	s_waitcnt vmcnt(14)
	v_fmac_f32_e32 v41, v35, v102
	v_add_f32_e32 v44, v40, v41
	ds_read2_b64 v[40:43], v1 offset0:91 offset1:92
	buffer_load_dword v53, off, s[0:3], 0 offset:348
	buffer_load_dword v52, off, s[0:3], 0 offset:344
	s_waitcnt vmcnt(15) lgkmcnt(1)
	v_mul_f32_e32 v45, v36, v103
	s_waitcnt vmcnt(14)
	v_fmac_f32_e32 v45, v37, v104
	v_add_f32_e32 v44, v44, v45
	s_waitcnt vmcnt(13)
	v_mul_f32_e32 v45, v38, v105
	s_waitcnt vmcnt(12)
	v_fmac_f32_e32 v45, v39, v106
	v_add_f32_e32 v44, v44, v45
	s_waitcnt vmcnt(11) lgkmcnt(0)
	v_mul_f32_e32 v45, v40, v107
	s_waitcnt vmcnt(10)
	v_fmac_f32_e32 v45, v41, v188
	s_waitcnt vmcnt(9)
	v_mul_f32_e32 v49, v42, v189
	v_add_f32_e32 v48, v44, v45
	s_waitcnt vmcnt(8)
	v_fmac_f32_e32 v49, v43, v190
	ds_read2_b64 v[44:47], v1 offset0:93 offset1:94
	v_add_f32_e32 v55, v48, v49
	ds_read2_b64 v[48:51], v1 offset0:95 offset1:96
	buffer_load_dword v61, off, s[0:3], 0 offset:380
	buffer_load_dword v60, off, s[0:3], 0 offset:376
	;; [unrolled: 1-line block ×14, first 2 shown]
	v_mul_f32_e32 v5, v5, v54
	v_fma_f32 v4, v4, v84, -v5
	v_mul_f32_e32 v5, v7, v56
	v_add_f32_e32 v4, 0, v4
	v_fma_f32 v5, v6, v85, -v5
	v_add_f32_e32 v4, v4, v5
	v_mul_f32_e32 v5, v9, v58
	v_fma_f32 v5, v8, v86, -v5
	v_add_f32_e32 v4, v4, v5
	v_mul_f32_e32 v5, v11, v74
	v_fma_f32 v5, v10, v87, -v5
	v_add_f32_e32 v4, v4, v5
	v_mul_f32_e32 v5, v13, v75
	v_fma_f32 v5, v12, v88, -v5
	v_add_f32_e32 v4, v4, v5
	v_mul_f32_e32 v5, v15, v76
	v_fma_f32 v5, v14, v89, -v5
	v_add_f32_e32 v4, v4, v5
	v_mul_f32_e32 v5, v17, v77
	v_fma_f32 v5, v16, v90, -v5
	v_add_f32_e32 v4, v4, v5
	v_mul_f32_e32 v5, v19, v78
	v_fma_f32 v5, v18, v91, -v5
	v_add_f32_e32 v4, v4, v5
	v_mul_f32_e32 v5, v21, v79
	v_fma_f32 v5, v20, v92, -v5
	v_add_f32_e32 v4, v4, v5
	v_mul_f32_e32 v5, v23, v80
	v_fma_f32 v5, v22, v93, -v5
	v_add_f32_e32 v4, v4, v5
	v_mul_f32_e32 v5, v25, v81
	v_fma_f32 v5, v24, v94, -v5
	v_add_f32_e32 v4, v4, v5
	v_mul_f32_e32 v5, v27, v82
	v_fma_f32 v5, v26, v95, -v5
	v_add_f32_e32 v4, v4, v5
	v_mul_f32_e32 v5, v29, v83
	v_fma_f32 v5, v28, v96, -v5
	v_add_f32_e32 v4, v4, v5
	v_mul_f32_e32 v5, v31, v97
	v_fma_f32 v5, v30, v98, -v5
	v_add_f32_e32 v4, v4, v5
	v_mul_f32_e32 v5, v33, v99
	v_fma_f32 v5, v32, v100, -v5
	v_add_f32_e32 v4, v4, v5
	v_mul_f32_e32 v5, v35, v101
	v_fma_f32 v5, v34, v102, -v5
	v_add_f32_e32 v4, v4, v5
	v_mul_f32_e32 v5, v37, v103
	v_fma_f32 v5, v36, v104, -v5
	v_add_f32_e32 v4, v4, v5
	v_mul_f32_e32 v5, v39, v105
	v_fma_f32 v5, v38, v106, -v5
	v_add_f32_e32 v4, v4, v5
	v_mul_f32_e32 v5, v41, v107
	v_fma_f32 v5, v40, v188, -v5
	v_add_f32_e32 v4, v4, v5
	v_mul_f32_e32 v5, v43, v189
	v_fma_f32 v5, v42, v190, -v5
	s_waitcnt vmcnt(21) lgkmcnt(1)
	v_mul_f32_e32 v57, v44, v191
	v_add_f32_e32 v54, v4, v5
	v_mul_f32_e32 v4, v45, v191
	s_waitcnt vmcnt(20)
	v_fmac_f32_e32 v57, v45, v192
	s_waitcnt vmcnt(15)
	v_mov_b32_e32 v18, v53
	s_waitcnt lgkmcnt(0)
	v_pk_mul_f32 v[18:19], v[48:49], v[18:19] op_sel_hi:[1,0]
	v_mul_f32_e32 v59, v46, v193
	v_fma_f32 v56, v44, v192, -v4
	v_mul_f32_e32 v4, v47, v193
	s_waitcnt vmcnt(14)
	v_pk_fma_f32 v[20:21], v[48:49], v[52:53], v[18:19] op_sel:[0,0,1] op_sel_hi:[1,1,0] neg_lo:[0,0,1] neg_hi:[0,0,1]
	v_pk_fma_f32 v[18:19], v[48:49], v[52:53], v[18:19] op_sel:[0,0,1] op_sel_hi:[1,0,0]
	v_fmac_f32_e32 v59, v47, v194
	v_fma_f32 v58, v46, v194, -v4
	v_pk_add_f32 v[16:17], v[54:55], v[56:57]
	s_waitcnt vmcnt(7)
	v_mov_b32_e32 v18, v67
	ds_read2_b64 v[4:7], v1 offset0:97 offset1:98
	ds_read2_b64 v[8:11], v1 offset0:99 offset1:100
	;; [unrolled: 1-line block ×3, first 2 shown]
	v_pk_add_f32 v[16:17], v[16:17], v[58:59]
	v_mov_b32_e32 v21, v19
	v_pk_mul_f32 v[18:19], v[50:51], v[18:19] op_sel_hi:[1,0]
	v_pk_add_f32 v[16:17], v[16:17], v[20:21]
	s_waitcnt vmcnt(6)
	v_pk_fma_f32 v[20:21], v[50:51], v[66:67], v[18:19] op_sel:[0,0,1] op_sel_hi:[1,1,0] neg_lo:[0,0,1] neg_hi:[0,0,1]
	v_pk_fma_f32 v[18:19], v[50:51], v[66:67], v[18:19] op_sel:[0,0,1] op_sel_hi:[1,0,0]
	v_mov_b32_e32 v18, v65
	v_mov_b32_e32 v21, v19
	s_waitcnt lgkmcnt(2)
	v_pk_mul_f32 v[18:19], v[4:5], v[18:19] op_sel_hi:[1,0]
	v_pk_add_f32 v[16:17], v[16:17], v[20:21]
	v_pk_fma_f32 v[20:21], v[4:5], v[64:65], v[18:19] op_sel:[0,0,1] op_sel_hi:[1,1,0] neg_lo:[0,0,1] neg_hi:[0,0,1]
	v_pk_fma_f32 v[4:5], v[4:5], v[64:65], v[18:19] op_sel:[0,0,1] op_sel_hi:[1,0,0]
	v_mov_b32_e32 v21, v5
	v_pk_add_f32 v[4:5], v[16:17], v[20:21]
	v_mov_b32_e32 v16, v63
	v_pk_mul_f32 v[16:17], v[6:7], v[16:17] op_sel_hi:[1,0]
	v_pk_fma_f32 v[18:19], v[6:7], v[62:63], v[16:17] op_sel:[0,0,1] op_sel_hi:[1,1,0] neg_lo:[0,0,1] neg_hi:[0,0,1]
	v_pk_fma_f32 v[6:7], v[6:7], v[62:63], v[16:17] op_sel:[0,0,1] op_sel_hi:[1,0,0]
	v_mov_b32_e32 v6, v61
	v_mov_b32_e32 v19, v7
	s_waitcnt lgkmcnt(1)
	v_pk_mul_f32 v[6:7], v[8:9], v[6:7] op_sel_hi:[1,0]
	v_pk_fma_f32 v[16:17], v[8:9], v[60:61], v[6:7] op_sel:[0,0,1] op_sel_hi:[1,1,0] neg_lo:[0,0,1] neg_hi:[0,0,1]
	v_pk_fma_f32 v[6:7], v[8:9], v[60:61], v[6:7] op_sel:[0,0,1] op_sel_hi:[1,0,0]
	s_waitcnt vmcnt(1)
	v_mov_b32_e32 v6, v73
	v_mov_b32_e32 v17, v7
	v_pk_mul_f32 v[6:7], v[10:11], v[6:7] op_sel_hi:[1,0]
	s_waitcnt vmcnt(0)
	v_pk_fma_f32 v[8:9], v[10:11], v[72:73], v[6:7] op_sel:[0,0,1] op_sel_hi:[1,1,0] neg_lo:[0,0,1] neg_hi:[0,0,1]
	v_pk_fma_f32 v[6:7], v[10:11], v[72:73], v[6:7] op_sel:[0,0,1] op_sel_hi:[1,0,0]
	v_pk_add_f32 v[4:5], v[4:5], v[18:19]
	v_mov_b32_e32 v6, v71
	v_pk_add_f32 v[4:5], v[4:5], v[16:17]
	v_mov_b32_e32 v9, v7
	s_waitcnt lgkmcnt(0)
	v_pk_mul_f32 v[6:7], v[12:13], v[6:7] op_sel_hi:[1,0]
	v_pk_add_f32 v[4:5], v[4:5], v[8:9]
	v_pk_fma_f32 v[8:9], v[12:13], v[70:71], v[6:7] op_sel:[0,0,1] op_sel_hi:[1,1,0] neg_lo:[0,0,1] neg_hi:[0,0,1]
	v_pk_fma_f32 v[6:7], v[12:13], v[70:71], v[6:7] op_sel:[0,0,1] op_sel_hi:[1,0,0]
	v_mov_b32_e32 v6, v69
	v_mov_b32_e32 v9, v7
	v_pk_mul_f32 v[6:7], v[14:15], v[6:7] op_sel_hi:[1,0]
	v_pk_add_f32 v[4:5], v[4:5], v[8:9]
	v_pk_fma_f32 v[8:9], v[14:15], v[68:69], v[6:7] op_sel:[0,0,1] op_sel_hi:[1,1,0] neg_lo:[0,0,1] neg_hi:[0,0,1]
	v_pk_fma_f32 v[6:7], v[14:15], v[68:69], v[6:7] op_sel:[0,0,1] op_sel_hi:[1,0,0]
	v_mov_b32_e32 v9, v7
	v_pk_add_f32 v[4:5], v[4:5], v[8:9]
	v_pk_add_f32 v[2:3], v[2:3], v[4:5] neg_lo:[0,1] neg_hi:[0,1]
	buffer_store_dword v3, off, s[0:3], 0 offset:164
	buffer_store_dword v2, off, s[0:3], 0 offset:160
	s_and_saveexec_b64 s[4:5], vcc
	s_cbranch_execz .LBB50_281
; %bb.280:
	buffer_load_dword v2, off, s[0:3], 0 offset:152
	buffer_load_dword v3, off, s[0:3], 0 offset:156
	v_mov_b32_e32 v1, 0
	buffer_store_dword v1, off, s[0:3], 0 offset:152
	buffer_store_dword v1, off, s[0:3], 0 offset:156
	s_waitcnt vmcnt(2)
	ds_write_b64 v121, v[2:3]
.LBB50_281:
	s_or_b64 exec, exec, s[4:5]
	s_waitcnt lgkmcnt(0)
	; wave barrier
	s_waitcnt lgkmcnt(0)
	buffer_load_dword v52, off, s[0:3], 0 offset:164
	buffer_load_dword v54, off, s[0:3], 0 offset:172
	;; [unrolled: 1-line block ×48, first 2 shown]
	v_mov_b32_e32 v1, 0
	ds_read_b128 v[4:7], v1 offset:576
	ds_read_b128 v[8:11], v1 offset:592
	;; [unrolled: 1-line block ×6, first 2 shown]
	v_cmp_lt_u32_e32 vcc, 18, v0
	s_waitcnt vmcnt(47) lgkmcnt(5)
	v_mul_f32_e32 v28, v4, v52
	s_waitcnt vmcnt(46)
	v_mul_f32_e32 v29, v6, v54
	s_waitcnt vmcnt(45) lgkmcnt(4)
	v_mul_f32_e32 v30, v8, v56
	s_waitcnt vmcnt(44)
	v_mul_f32_e32 v31, v10, v74
	;; [unrolled: 4-line block ×6, first 2 shown]
	s_waitcnt vmcnt(35)
	v_fmac_f32_e32 v28, v5, v83
	s_waitcnt vmcnt(34)
	v_fmac_f32_e32 v29, v7, v84
	v_add_f32_e32 v28, 0, v28
	s_waitcnt vmcnt(33)
	v_fmac_f32_e32 v30, v9, v85
	v_add_f32_e32 v28, v28, v29
	;; [unrolled: 3-line block ×8, first 2 shown]
	v_add_f32_e32 v32, v28, v36
	ds_read_b128 v[28:31], v1 offset:672
	s_waitcnt vmcnt(26)
	v_fmac_f32_e32 v37, v23, v92
	s_waitcnt vmcnt(25)
	v_fmac_f32_e32 v38, v25, v93
	v_add_f32_e32 v32, v32, v37
	s_waitcnt vmcnt(24)
	v_fmac_f32_e32 v39, v27, v94
	v_add_f32_e32 v32, v32, v38
	v_add_f32_e32 v36, v32, v39
	ds_read_b128 v[32:35], v1 offset:688
	s_waitcnt vmcnt(23) lgkmcnt(1)
	v_mul_f32_e32 v37, v28, v95
	s_waitcnt vmcnt(22)
	v_fmac_f32_e32 v37, v29, v96
	v_add_f32_e32 v36, v36, v37
	s_waitcnt vmcnt(21)
	v_mul_f32_e32 v37, v30, v97
	s_waitcnt vmcnt(20)
	v_fmac_f32_e32 v37, v31, v98
	v_add_f32_e32 v36, v36, v37
	s_waitcnt vmcnt(19) lgkmcnt(0)
	v_mul_f32_e32 v37, v32, v99
	s_waitcnt vmcnt(18)
	v_fmac_f32_e32 v37, v33, v100
	v_add_f32_e32 v40, v36, v37
	ds_read_b128 v[36:39], v1 offset:704
	s_waitcnt vmcnt(17)
	v_mul_f32_e32 v41, v34, v101
	s_waitcnt vmcnt(16)
	v_fmac_f32_e32 v41, v35, v102
	v_add_f32_e32 v44, v40, v41
	ds_read_b128 v[40:43], v1 offset:720
	s_waitcnt vmcnt(15) lgkmcnt(1)
	v_mul_f32_e32 v45, v36, v103
	s_waitcnt vmcnt(14)
	v_fmac_f32_e32 v45, v37, v104
	v_add_f32_e32 v44, v44, v45
	s_waitcnt vmcnt(13)
	v_mul_f32_e32 v45, v38, v105
	s_waitcnt vmcnt(12)
	v_fmac_f32_e32 v45, v39, v106
	v_add_f32_e32 v44, v44, v45
	s_waitcnt vmcnt(11) lgkmcnt(0)
	v_mul_f32_e32 v45, v40, v107
	s_waitcnt vmcnt(10)
	v_fmac_f32_e32 v45, v41, v188
	s_waitcnt vmcnt(9)
	v_mul_f32_e32 v49, v42, v189
	v_add_f32_e32 v48, v44, v45
	s_waitcnt vmcnt(8)
	v_fmac_f32_e32 v49, v43, v190
	ds_read_b128 v[44:47], v1 offset:736
	v_add_f32_e32 v53, v48, v49
	ds_read_b128 v[48:51], v1 offset:752
	buffer_load_dword v59, off, s[0:3], 0 offset:372
	buffer_load_dword v58, off, s[0:3], 0 offset:368
	;; [unrolled: 1-line block ×16, first 2 shown]
	v_mul_f32_e32 v5, v5, v52
	v_fma_f32 v4, v4, v83, -v5
	v_mul_f32_e32 v5, v7, v54
	v_add_f32_e32 v4, 0, v4
	v_fma_f32 v5, v6, v84, -v5
	v_add_f32_e32 v4, v4, v5
	v_mul_f32_e32 v5, v9, v56
	v_fma_f32 v5, v8, v85, -v5
	v_add_f32_e32 v4, v4, v5
	v_mul_f32_e32 v5, v11, v74
	;; [unrolled: 3-line block ×18, first 2 shown]
	v_fma_f32 v5, v42, v190, -v5
	v_add_f32_e32 v4, v4, v5
	s_waitcnt vmcnt(22) lgkmcnt(1)
	v_mul_f32_e32 v5, v45, v192
	v_mul_f32_e32 v55, v44, v192
	v_fma_f32 v5, v44, v191, -v5
	v_fmac_f32_e32 v55, v45, v191
	v_add_f32_e32 v52, v4, v5
	s_waitcnt vmcnt(19)
	v_mul_f32_e32 v4, v47, v193
	v_add_f32_e32 v53, v53, v55
	v_mul_f32_e32 v55, v46, v193
	s_waitcnt vmcnt(18)
	v_fma_f32 v54, v46, v194, -v4
	s_waitcnt vmcnt(17) lgkmcnt(0)
	v_mul_f32_e32 v4, v49, v195
	s_waitcnt vmcnt(9)
	v_mov_b32_e32 v20, v65
	v_pk_mul_f32 v[20:21], v[50:51], v[20:21] op_sel_hi:[1,0]
	v_fmac_f32_e32 v55, v47, v194
	v_mul_f32_e32 v57, v48, v195
	v_fma_f32 v56, v48, v196, -v4
	ds_read_b128 v[4:7], v1 offset:768
	ds_read_b128 v[8:11], v1 offset:784
	;; [unrolled: 1-line block ×3, first 2 shown]
	ds_read_b64 v[16:17], v1 offset:816
	s_waitcnt vmcnt(8)
	v_pk_fma_f32 v[22:23], v[50:51], v[64:65], v[20:21] op_sel:[0,0,1] op_sel_hi:[1,1,0] neg_lo:[0,0,1] neg_hi:[0,0,1]
	v_pk_fma_f32 v[20:21], v[50:51], v[64:65], v[20:21] op_sel:[0,0,1] op_sel_hi:[1,0,0]
	v_fmac_f32_e32 v57, v49, v196
	v_pk_add_f32 v[18:19], v[52:53], v[54:55]
	v_mov_b32_e32 v20, v63
	v_pk_add_f32 v[18:19], v[18:19], v[56:57]
	v_mov_b32_e32 v23, v21
	s_waitcnt lgkmcnt(3)
	v_pk_mul_f32 v[20:21], v[4:5], v[20:21] op_sel_hi:[1,0]
	v_pk_add_f32 v[18:19], v[18:19], v[22:23]
	v_pk_fma_f32 v[22:23], v[4:5], v[62:63], v[20:21] op_sel:[0,0,1] op_sel_hi:[1,1,0] neg_lo:[0,0,1] neg_hi:[0,0,1]
	v_pk_fma_f32 v[4:5], v[4:5], v[62:63], v[20:21] op_sel:[0,0,1] op_sel_hi:[1,0,0]
	v_mov_b32_e32 v23, v5
	v_pk_add_f32 v[4:5], v[18:19], v[22:23]
	v_mov_b32_e32 v18, v61
	v_pk_mul_f32 v[18:19], v[6:7], v[18:19] op_sel_hi:[1,0]
	v_pk_fma_f32 v[20:21], v[6:7], v[60:61], v[18:19] op_sel:[0,0,1] op_sel_hi:[1,1,0] neg_lo:[0,0,1] neg_hi:[0,0,1]
	v_pk_fma_f32 v[6:7], v[6:7], v[60:61], v[18:19] op_sel:[0,0,1] op_sel_hi:[1,0,0]
	v_mov_b32_e32 v6, v59
	v_mov_b32_e32 v21, v7
	s_waitcnt lgkmcnt(2)
	v_pk_mul_f32 v[6:7], v[8:9], v[6:7] op_sel_hi:[1,0]
	v_pk_fma_f32 v[18:19], v[8:9], v[58:59], v[6:7] op_sel:[0,0,1] op_sel_hi:[1,1,0] neg_lo:[0,0,1] neg_hi:[0,0,1]
	v_pk_fma_f32 v[6:7], v[8:9], v[58:59], v[6:7] op_sel:[0,0,1] op_sel_hi:[1,0,0]
	s_waitcnt vmcnt(1)
	v_mov_b32_e32 v6, v73
	v_mov_b32_e32 v19, v7
	v_pk_mul_f32 v[6:7], v[10:11], v[6:7] op_sel_hi:[1,0]
	s_waitcnt vmcnt(0)
	v_pk_fma_f32 v[8:9], v[10:11], v[72:73], v[6:7] op_sel:[0,0,1] op_sel_hi:[1,1,0] neg_lo:[0,0,1] neg_hi:[0,0,1]
	v_pk_fma_f32 v[6:7], v[10:11], v[72:73], v[6:7] op_sel:[0,0,1] op_sel_hi:[1,0,0]
	v_pk_add_f32 v[4:5], v[4:5], v[20:21]
	v_mov_b32_e32 v6, v71
	v_pk_add_f32 v[4:5], v[4:5], v[18:19]
	v_mov_b32_e32 v9, v7
	s_waitcnt lgkmcnt(1)
	v_pk_mul_f32 v[6:7], v[12:13], v[6:7] op_sel_hi:[1,0]
	v_pk_add_f32 v[4:5], v[4:5], v[8:9]
	v_pk_fma_f32 v[8:9], v[12:13], v[70:71], v[6:7] op_sel:[0,0,1] op_sel_hi:[1,1,0] neg_lo:[0,0,1] neg_hi:[0,0,1]
	v_pk_fma_f32 v[6:7], v[12:13], v[70:71], v[6:7] op_sel:[0,0,1] op_sel_hi:[1,0,0]
	v_mov_b32_e32 v6, v69
	v_mov_b32_e32 v9, v7
	v_pk_mul_f32 v[6:7], v[14:15], v[6:7] op_sel_hi:[1,0]
	v_pk_add_f32 v[4:5], v[4:5], v[8:9]
	v_pk_fma_f32 v[8:9], v[14:15], v[68:69], v[6:7] op_sel:[0,0,1] op_sel_hi:[1,1,0] neg_lo:[0,0,1] neg_hi:[0,0,1]
	v_pk_fma_f32 v[6:7], v[14:15], v[68:69], v[6:7] op_sel:[0,0,1] op_sel_hi:[1,0,0]
	v_mov_b32_e32 v6, v67
	v_mov_b32_e32 v9, v7
	s_waitcnt lgkmcnt(0)
	v_pk_mul_f32 v[6:7], v[16:17], v[6:7] op_sel_hi:[1,0]
	v_pk_add_f32 v[4:5], v[4:5], v[8:9]
	v_pk_fma_f32 v[8:9], v[16:17], v[66:67], v[6:7] op_sel:[0,0,1] op_sel_hi:[1,1,0] neg_lo:[0,0,1] neg_hi:[0,0,1]
	v_pk_fma_f32 v[6:7], v[16:17], v[66:67], v[6:7] op_sel:[0,0,1] op_sel_hi:[1,0,0]
	v_mov_b32_e32 v9, v7
	v_pk_add_f32 v[4:5], v[4:5], v[8:9]
	v_pk_add_f32 v[2:3], v[2:3], v[4:5] neg_lo:[0,1] neg_hi:[0,1]
	buffer_store_dword v3, off, s[0:3], 0 offset:156
	buffer_store_dword v2, off, s[0:3], 0 offset:152
	s_and_saveexec_b64 s[4:5], vcc
	s_cbranch_execz .LBB50_283
; %bb.282:
	buffer_load_dword v2, off, s[0:3], 0 offset:144
	buffer_load_dword v3, off, s[0:3], 0 offset:148
	s_waitcnt vmcnt(0)
	ds_write_b64 v121, v[2:3]
	buffer_store_dword v1, off, s[0:3], 0 offset:144
	buffer_store_dword v1, off, s[0:3], 0 offset:148
.LBB50_283:
	s_or_b64 exec, exec, s[4:5]
	s_waitcnt lgkmcnt(0)
	; wave barrier
	s_waitcnt lgkmcnt(0)
	buffer_load_dword v52, off, s[0:3], 0 offset:156
	buffer_load_dword v54, off, s[0:3], 0 offset:164
	;; [unrolled: 1-line block ×48, first 2 shown]
	ds_read2_b64 v[4:7], v1 offset0:71 offset1:72
	ds_read2_b64 v[8:11], v1 offset0:73 offset1:74
	;; [unrolled: 1-line block ×6, first 2 shown]
	buffer_load_dword v197, off, s[0:3], 0 offset:336
	buffer_load_dword v198, off, s[0:3], 0 offset:340
	v_cmp_lt_u32_e32 vcc, 17, v0
	s_waitcnt vmcnt(49) lgkmcnt(5)
	v_mul_f32_e32 v28, v4, v52
	s_waitcnt vmcnt(48)
	v_mul_f32_e32 v29, v6, v54
	s_waitcnt vmcnt(47) lgkmcnt(4)
	v_mul_f32_e32 v30, v8, v62
	s_waitcnt vmcnt(46)
	v_mul_f32_e32 v31, v10, v74
	;; [unrolled: 4-line block ×6, first 2 shown]
	s_waitcnt vmcnt(37)
	v_fmac_f32_e32 v28, v5, v83
	s_waitcnt vmcnt(36)
	v_fmac_f32_e32 v29, v7, v84
	v_add_f32_e32 v28, 0, v28
	s_waitcnt vmcnt(35)
	v_fmac_f32_e32 v30, v9, v85
	v_add_f32_e32 v28, v28, v29
	;; [unrolled: 3-line block ×9, first 2 shown]
	v_add_f32_e32 v32, v28, v37
	ds_read2_b64 v[28:31], v1 offset0:83 offset1:84
	s_waitcnt vmcnt(27)
	v_fmac_f32_e32 v38, v25, v93
	v_add_f32_e32 v32, v32, v38
	s_waitcnt vmcnt(26)
	v_fmac_f32_e32 v39, v27, v94
	v_add_f32_e32 v36, v32, v39
	ds_read2_b64 v[32:35], v1 offset0:85 offset1:86
	s_waitcnt vmcnt(25) lgkmcnt(1)
	v_mul_f32_e32 v37, v28, v95
	s_waitcnt vmcnt(24)
	v_fmac_f32_e32 v37, v29, v96
	v_add_f32_e32 v36, v36, v37
	s_waitcnt vmcnt(23)
	v_mul_f32_e32 v37, v30, v97
	s_waitcnt vmcnt(22)
	v_fmac_f32_e32 v37, v31, v98
	v_add_f32_e32 v36, v36, v37
	s_waitcnt vmcnt(21) lgkmcnt(0)
	v_mul_f32_e32 v37, v32, v99
	s_waitcnt vmcnt(20)
	v_fmac_f32_e32 v37, v33, v100
	v_add_f32_e32 v40, v36, v37
	ds_read2_b64 v[36:39], v1 offset0:87 offset1:88
	s_waitcnt vmcnt(19)
	v_mul_f32_e32 v41, v34, v101
	s_waitcnt vmcnt(18)
	v_fmac_f32_e32 v41, v35, v102
	v_add_f32_e32 v44, v40, v41
	ds_read2_b64 v[40:43], v1 offset0:89 offset1:90
	s_waitcnt vmcnt(17) lgkmcnt(1)
	v_mul_f32_e32 v45, v36, v103
	s_waitcnt vmcnt(16)
	v_fmac_f32_e32 v45, v37, v104
	v_add_f32_e32 v44, v44, v45
	s_waitcnt vmcnt(15)
	v_mul_f32_e32 v45, v38, v105
	s_waitcnt vmcnt(14)
	v_fmac_f32_e32 v45, v39, v106
	v_add_f32_e32 v44, v44, v45
	s_waitcnt vmcnt(13) lgkmcnt(0)
	v_mul_f32_e32 v45, v40, v107
	s_waitcnt vmcnt(12)
	v_fmac_f32_e32 v45, v41, v188
	s_waitcnt vmcnt(11)
	v_mul_f32_e32 v49, v42, v189
	v_add_f32_e32 v48, v44, v45
	s_waitcnt vmcnt(10)
	v_fmac_f32_e32 v49, v43, v190
	ds_read2_b64 v[44:47], v1 offset0:91 offset1:92
	v_add_f32_e32 v53, v48, v49
	ds_read2_b64 v[48:51], v1 offset0:93 offset1:94
	buffer_load_dword v57, off, s[0:3], 0 offset:364
	buffer_load_dword v56, off, s[0:3], 0 offset:360
	buffer_load_dword v59, off, s[0:3], 0 offset:356
	buffer_load_dword v58, off, s[0:3], 0 offset:352
	buffer_load_dword v61, off, s[0:3], 0 offset:348
	buffer_load_dword v60, off, s[0:3], 0 offset:344
	buffer_load_dword v65, off, s[0:3], 0 offset:396
	buffer_load_dword v64, off, s[0:3], 0 offset:392
	buffer_load_dword v67, off, s[0:3], 0 offset:388
	buffer_load_dword v66, off, s[0:3], 0 offset:384
	buffer_load_dword v69, off, s[0:3], 0 offset:380
	buffer_load_dword v68, off, s[0:3], 0 offset:376
	buffer_load_dword v71, off, s[0:3], 0 offset:372
	buffer_load_dword v70, off, s[0:3], 0 offset:368
	buffer_load_dword v73, off, s[0:3], 0 offset:404
	buffer_load_dword v72, off, s[0:3], 0 offset:400
	v_mul_f32_e32 v5, v5, v52
	v_fma_f32 v4, v4, v83, -v5
	v_mul_f32_e32 v5, v7, v54
	v_add_f32_e32 v4, 0, v4
	v_fma_f32 v5, v6, v84, -v5
	v_add_f32_e32 v4, v4, v5
	v_mul_f32_e32 v5, v9, v62
	v_fma_f32 v5, v8, v85, -v5
	v_add_f32_e32 v4, v4, v5
	v_mul_f32_e32 v5, v11, v74
	;; [unrolled: 3-line block ×18, first 2 shown]
	v_fma_f32 v5, v42, v190, -v5
	v_add_f32_e32 v4, v4, v5
	s_waitcnt vmcnt(23) lgkmcnt(1)
	v_mul_f32_e32 v5, v45, v191
	s_waitcnt vmcnt(22)
	v_fma_f32 v5, v44, v192, -v5
	v_add_f32_e32 v4, v4, v5
	s_waitcnt vmcnt(20)
	v_mul_f32_e32 v5, v47, v194
	v_mul_f32_e32 v55, v44, v191
	v_fma_f32 v5, v46, v193, -v5
	v_fmac_f32_e32 v55, v45, v192
	v_add_f32_e32 v52, v4, v5
	s_waitcnt vmcnt(18) lgkmcnt(0)
	v_mul_f32_e32 v4, v49, v196
	v_add_f32_e32 v53, v53, v55
	v_mul_f32_e32 v55, v46, v194
	v_fma_f32 v54, v48, v195, -v4
	s_waitcnt vmcnt(16)
	v_mul_f32_e32 v4, v51, v198
	v_fmac_f32_e32 v55, v47, v193
	v_fma_f32 v62, v50, v197, -v4
	ds_read2_b64 v[4:7], v1 offset0:95 offset1:96
	ds_read2_b64 v[8:11], v1 offset0:97 offset1:98
	;; [unrolled: 1-line block ×4, first 2 shown]
	v_add_f32_e32 v53, v53, v55
	v_mul_f32_e32 v55, v48, v196
	s_waitcnt vmcnt(11)
	v_mov_b32_e32 v22, v61
	v_fmac_f32_e32 v55, v49, v195
	v_mul_f32_e32 v63, v50, v198
	s_waitcnt lgkmcnt(3)
	v_pk_mul_f32 v[22:23], v[4:5], v[22:23] op_sel_hi:[1,0]
	v_fmac_f32_e32 v63, v51, v197
	v_pk_add_f32 v[20:21], v[52:53], v[54:55]
	s_waitcnt vmcnt(10)
	v_pk_fma_f32 v[24:25], v[4:5], v[60:61], v[22:23] op_sel:[0,0,1] op_sel_hi:[1,1,0] neg_lo:[0,0,1] neg_hi:[0,0,1]
	v_pk_fma_f32 v[4:5], v[4:5], v[60:61], v[22:23] op_sel:[0,0,1] op_sel_hi:[1,0,0]
	v_pk_add_f32 v[20:21], v[20:21], v[62:63]
	v_mov_b32_e32 v25, v5
	v_pk_add_f32 v[4:5], v[20:21], v[24:25]
	v_mov_b32_e32 v20, v59
	v_pk_mul_f32 v[20:21], v[6:7], v[20:21] op_sel_hi:[1,0]
	v_pk_fma_f32 v[22:23], v[6:7], v[58:59], v[20:21] op_sel:[0,0,1] op_sel_hi:[1,1,0] neg_lo:[0,0,1] neg_hi:[0,0,1]
	v_pk_fma_f32 v[6:7], v[6:7], v[58:59], v[20:21] op_sel:[0,0,1] op_sel_hi:[1,0,0]
	v_mov_b32_e32 v6, v57
	v_mov_b32_e32 v23, v7
	s_waitcnt lgkmcnt(2)
	v_pk_mul_f32 v[6:7], v[8:9], v[6:7] op_sel_hi:[1,0]
	v_pk_fma_f32 v[20:21], v[8:9], v[56:57], v[6:7] op_sel:[0,0,1] op_sel_hi:[1,1,0] neg_lo:[0,0,1] neg_hi:[0,0,1]
	v_pk_fma_f32 v[6:7], v[8:9], v[56:57], v[6:7] op_sel:[0,0,1] op_sel_hi:[1,0,0]
	s_waitcnt vmcnt(3)
	v_mov_b32_e32 v6, v71
	v_mov_b32_e32 v21, v7
	v_pk_mul_f32 v[6:7], v[10:11], v[6:7] op_sel_hi:[1,0]
	s_waitcnt vmcnt(2)
	v_pk_fma_f32 v[8:9], v[10:11], v[70:71], v[6:7] op_sel:[0,0,1] op_sel_hi:[1,1,0] neg_lo:[0,0,1] neg_hi:[0,0,1]
	v_pk_fma_f32 v[6:7], v[10:11], v[70:71], v[6:7] op_sel:[0,0,1] op_sel_hi:[1,0,0]
	v_pk_add_f32 v[4:5], v[4:5], v[22:23]
	v_mov_b32_e32 v6, v69
	v_pk_add_f32 v[4:5], v[4:5], v[20:21]
	v_mov_b32_e32 v9, v7
	s_waitcnt lgkmcnt(1)
	v_pk_mul_f32 v[6:7], v[12:13], v[6:7] op_sel_hi:[1,0]
	v_pk_add_f32 v[4:5], v[4:5], v[8:9]
	v_pk_fma_f32 v[8:9], v[12:13], v[68:69], v[6:7] op_sel:[0,0,1] op_sel_hi:[1,1,0] neg_lo:[0,0,1] neg_hi:[0,0,1]
	v_pk_fma_f32 v[6:7], v[12:13], v[68:69], v[6:7] op_sel:[0,0,1] op_sel_hi:[1,0,0]
	v_mov_b32_e32 v6, v67
	v_mov_b32_e32 v9, v7
	v_pk_mul_f32 v[6:7], v[14:15], v[6:7] op_sel_hi:[1,0]
	v_pk_add_f32 v[4:5], v[4:5], v[8:9]
	v_pk_fma_f32 v[8:9], v[14:15], v[66:67], v[6:7] op_sel:[0,0,1] op_sel_hi:[1,1,0] neg_lo:[0,0,1] neg_hi:[0,0,1]
	v_pk_fma_f32 v[6:7], v[14:15], v[66:67], v[6:7] op_sel:[0,0,1] op_sel_hi:[1,0,0]
	v_mov_b32_e32 v6, v65
	v_mov_b32_e32 v9, v7
	s_waitcnt lgkmcnt(0)
	v_pk_mul_f32 v[6:7], v[16:17], v[6:7] op_sel_hi:[1,0]
	v_pk_add_f32 v[4:5], v[4:5], v[8:9]
	v_pk_fma_f32 v[8:9], v[16:17], v[64:65], v[6:7] op_sel:[0,0,1] op_sel_hi:[1,1,0] neg_lo:[0,0,1] neg_hi:[0,0,1]
	v_pk_fma_f32 v[6:7], v[16:17], v[64:65], v[6:7] op_sel:[0,0,1] op_sel_hi:[1,0,0]
	s_waitcnt vmcnt(1)
	v_mov_b32_e32 v6, v73
	v_mov_b32_e32 v9, v7
	v_pk_mul_f32 v[6:7], v[18:19], v[6:7] op_sel_hi:[1,0]
	v_pk_add_f32 v[4:5], v[4:5], v[8:9]
	s_waitcnt vmcnt(0)
	v_pk_fma_f32 v[8:9], v[18:19], v[72:73], v[6:7] op_sel:[0,0,1] op_sel_hi:[1,1,0] neg_lo:[0,0,1] neg_hi:[0,0,1]
	v_pk_fma_f32 v[6:7], v[18:19], v[72:73], v[6:7] op_sel:[0,0,1] op_sel_hi:[1,0,0]
	v_mov_b32_e32 v9, v7
	v_pk_add_f32 v[4:5], v[4:5], v[8:9]
	v_pk_add_f32 v[2:3], v[2:3], v[4:5] neg_lo:[0,1] neg_hi:[0,1]
	buffer_store_dword v3, off, s[0:3], 0 offset:148
	buffer_store_dword v2, off, s[0:3], 0 offset:144
	s_and_saveexec_b64 s[4:5], vcc
	s_cbranch_execz .LBB50_285
; %bb.284:
	buffer_load_dword v2, off, s[0:3], 0 offset:136
	buffer_load_dword v3, off, s[0:3], 0 offset:140
	v_mov_b32_e32 v1, 0
	buffer_store_dword v1, off, s[0:3], 0 offset:136
	buffer_store_dword v1, off, s[0:3], 0 offset:140
	s_waitcnt vmcnt(2)
	ds_write_b64 v121, v[2:3]
.LBB50_285:
	s_or_b64 exec, exec, s[4:5]
	s_waitcnt lgkmcnt(0)
	; wave barrier
	s_waitcnt lgkmcnt(0)
	buffer_load_dword v1, off, s[0:3], 0 offset:148
	buffer_load_dword v5, off, s[0:3], 0 offset:156
	buffer_load_dword v62, off, s[0:3], 0 offset:164
	buffer_load_dword v68, off, s[0:3], 0 offset:172
	buffer_load_dword v70, off, s[0:3], 0 offset:180
	buffer_load_dword v84, off, s[0:3], 0 offset:188
	buffer_load_dword v85, off, s[0:3], 0 offset:196
	buffer_load_dword v86, off, s[0:3], 0 offset:204
	buffer_load_dword v87, off, s[0:3], 0 offset:212
	buffer_load_dword v88, off, s[0:3], 0 offset:220
	buffer_load_dword v89, off, s[0:3], 0 offset:228
	buffer_load_dword v90, off, s[0:3], 0 offset:144
	buffer_load_dword v91, off, s[0:3], 0 offset:152
	buffer_load_dword v92, off, s[0:3], 0 offset:160
	buffer_load_dword v93, off, s[0:3], 0 offset:168
	buffer_load_dword v94, off, s[0:3], 0 offset:176
	buffer_load_dword v95, off, s[0:3], 0 offset:184
	buffer_load_dword v96, off, s[0:3], 0 offset:192
	buffer_load_dword v97, off, s[0:3], 0 offset:200
	buffer_load_dword v98, off, s[0:3], 0 offset:208
	buffer_load_dword v99, off, s[0:3], 0 offset:216
	buffer_load_dword v100, off, s[0:3], 0 offset:224
	buffer_load_dword v101, off, s[0:3], 0 offset:236
	buffer_load_dword v102, off, s[0:3], 0 offset:232
	buffer_load_dword v103, off, s[0:3], 0 offset:244
	buffer_load_dword v104, off, s[0:3], 0 offset:240
	buffer_load_dword v105, off, s[0:3], 0 offset:252
	buffer_load_dword v106, off, s[0:3], 0 offset:248
	buffer_load_dword v107, off, s[0:3], 0 offset:260
	buffer_load_dword v188, off, s[0:3], 0 offset:256
	buffer_load_dword v189, off, s[0:3], 0 offset:268
	buffer_load_dword v190, off, s[0:3], 0 offset:264
	buffer_load_dword v191, off, s[0:3], 0 offset:276
	buffer_load_dword v192, off, s[0:3], 0 offset:272
	buffer_load_dword v193, off, s[0:3], 0 offset:284
	buffer_load_dword v194, off, s[0:3], 0 offset:280
	buffer_load_dword v195, off, s[0:3], 0 offset:288
	buffer_load_dword v196, off, s[0:3], 0 offset:292
	buffer_load_dword v2, off, s[0:3], 0 offset:136
	buffer_load_dword v3, off, s[0:3], 0 offset:140
	buffer_load_dword v197, off, s[0:3], 0 offset:296
	buffer_load_dword v198, off, s[0:3], 0 offset:300
	buffer_load_dword v199, off, s[0:3], 0 offset:304
	buffer_load_dword v200, off, s[0:3], 0 offset:308
	buffer_load_dword v201, off, s[0:3], 0 offset:312
	buffer_load_dword v202, off, s[0:3], 0 offset:316
	buffer_load_dword v203, off, s[0:3], 0 offset:320
	buffer_load_dword v204, off, s[0:3], 0 offset:324
	buffer_load_dword v205, off, s[0:3], 0 offset:328
	buffer_load_dword v206, off, s[0:3], 0 offset:332
	buffer_load_dword v207, off, s[0:3], 0 offset:336
	buffer_load_dword v208, off, s[0:3], 0 offset:340
	v_mov_b32_e32 v4, 0
	ds_read_b128 v[6:9], v4 offset:560
	ds_read_b128 v[10:13], v4 offset:576
	;; [unrolled: 1-line block ×6, first 2 shown]
	v_cmp_lt_u32_e32 vcc, 16, v0
	s_waitcnt vmcnt(51) lgkmcnt(5)
	v_mul_f32_e32 v30, v6, v1
	s_waitcnt vmcnt(50)
	v_mul_f32_e32 v31, v8, v5
	s_waitcnt vmcnt(49) lgkmcnt(4)
	v_mul_f32_e32 v32, v10, v62
	s_waitcnt vmcnt(48)
	v_mul_f32_e32 v33, v12, v68
	;; [unrolled: 4-line block ×5, first 2 shown]
	s_waitcnt vmcnt(41) lgkmcnt(0)
	v_mul_f32_e32 v40, v26, v89
	s_waitcnt vmcnt(40)
	v_fmac_f32_e32 v30, v7, v90
	s_waitcnt vmcnt(39)
	v_fmac_f32_e32 v31, v9, v91
	v_add_f32_e32 v30, 0, v30
	s_waitcnt vmcnt(38)
	v_fmac_f32_e32 v32, v11, v92
	v_add_f32_e32 v30, v30, v31
	;; [unrolled: 3-line block ×9, first 2 shown]
	v_add_f32_e32 v30, v30, v39
	s_waitcnt vmcnt(30)
	v_fmac_f32_e32 v40, v27, v100
	v_add_f32_e32 v34, v30, v40
	ds_read_b128 v[30:33], v4 offset:656
	s_waitcnt vmcnt(29)
	v_mul_f32_e32 v35, v28, v101
	s_waitcnt vmcnt(28)
	v_fmac_f32_e32 v35, v29, v102
	v_add_f32_e32 v38, v34, v35
	ds_read_b128 v[34:37], v4 offset:672
	s_waitcnt vmcnt(27) lgkmcnt(1)
	v_mul_f32_e32 v39, v30, v103
	s_waitcnt vmcnt(26)
	v_fmac_f32_e32 v39, v31, v104
	v_add_f32_e32 v38, v38, v39
	s_waitcnt vmcnt(25)
	v_mul_f32_e32 v39, v32, v105
	s_waitcnt vmcnt(24)
	v_fmac_f32_e32 v39, v33, v106
	v_add_f32_e32 v38, v38, v39
	s_waitcnt vmcnt(23) lgkmcnt(0)
	v_mul_f32_e32 v39, v34, v107
	s_waitcnt vmcnt(22)
	v_fmac_f32_e32 v39, v35, v188
	v_add_f32_e32 v42, v38, v39
	ds_read_b128 v[38:41], v4 offset:688
	s_waitcnt vmcnt(21)
	v_mul_f32_e32 v43, v36, v189
	s_waitcnt vmcnt(20)
	v_fmac_f32_e32 v43, v37, v190
	v_add_f32_e32 v46, v42, v43
	ds_read_b128 v[42:45], v4 offset:704
	s_waitcnt vmcnt(19) lgkmcnt(1)
	v_mul_f32_e32 v47, v38, v191
	s_waitcnt vmcnt(18)
	v_fmac_f32_e32 v47, v39, v192
	v_add_f32_e32 v46, v46, v47
	s_waitcnt vmcnt(17)
	v_mul_f32_e32 v47, v40, v193
	s_waitcnt vmcnt(16)
	v_fmac_f32_e32 v47, v41, v194
	v_add_f32_e32 v46, v46, v47
	s_waitcnt vmcnt(14) lgkmcnt(0)
	v_mul_f32_e32 v47, v42, v196
	v_fmac_f32_e32 v47, v43, v195
	v_add_f32_e32 v50, v46, v47
	ds_read_b128 v[46:49], v4 offset:720
	s_waitcnt vmcnt(10)
	v_mul_f32_e32 v51, v44, v198
	v_fmac_f32_e32 v51, v45, v197
	v_add_f32_e32 v54, v50, v51
	ds_read_b128 v[50:53], v4 offset:736
	s_waitcnt vmcnt(8) lgkmcnt(1)
	v_mul_f32_e32 v55, v46, v200
	v_fmac_f32_e32 v55, v47, v199
	v_add_f32_e32 v54, v54, v55
	s_waitcnt vmcnt(6)
	v_mul_f32_e32 v55, v48, v202
	v_fmac_f32_e32 v55, v49, v201
	v_add_f32_e32 v54, v54, v55
	s_waitcnt vmcnt(4) lgkmcnt(0)
	v_mul_f32_e32 v55, v50, v204
	v_fmac_f32_e32 v55, v51, v203
	v_add_f32_e32 v63, v54, v55
	ds_read_b128 v[54:57], v4 offset:752
	buffer_load_dword v65, off, s[0:3], 0 offset:356
	buffer_load_dword v64, off, s[0:3], 0 offset:352
	;; [unrolled: 1-line block ×4, first 2 shown]
	ds_read_b128 v[58:61], v4 offset:768
	buffer_load_dword v73, off, s[0:3], 0 offset:388
	buffer_load_dword v72, off, s[0:3], 0 offset:384
	;; [unrolled: 1-line block ×12, first 2 shown]
	v_mul_f32_e32 v1, v7, v1
	v_fma_f32 v1, v6, v90, -v1
	v_mul_f32_e32 v5, v9, v5
	v_add_f32_e32 v1, 0, v1
	v_fma_f32 v5, v8, v91, -v5
	v_add_f32_e32 v1, v1, v5
	v_mul_f32_e32 v5, v11, v62
	v_fma_f32 v5, v10, v92, -v5
	v_add_f32_e32 v1, v1, v5
	v_mul_f32_e32 v5, v13, v68
	v_fma_f32 v5, v12, v93, -v5
	v_add_f32_e32 v1, v1, v5
	v_mul_f32_e32 v5, v15, v70
	v_fma_f32 v5, v14, v94, -v5
	v_add_f32_e32 v1, v1, v5
	v_mul_f32_e32 v5, v17, v84
	v_fma_f32 v5, v16, v95, -v5
	v_add_f32_e32 v1, v1, v5
	v_mul_f32_e32 v5, v19, v85
	v_fma_f32 v5, v18, v96, -v5
	v_add_f32_e32 v1, v1, v5
	v_mul_f32_e32 v5, v21, v86
	v_fma_f32 v5, v20, v97, -v5
	v_add_f32_e32 v1, v1, v5
	v_mul_f32_e32 v5, v23, v87
	v_fma_f32 v5, v22, v98, -v5
	v_add_f32_e32 v1, v1, v5
	v_mul_f32_e32 v5, v25, v88
	v_fma_f32 v5, v24, v99, -v5
	v_add_f32_e32 v1, v1, v5
	v_mul_f32_e32 v5, v27, v89
	v_fma_f32 v5, v26, v100, -v5
	v_add_f32_e32 v1, v1, v5
	v_mul_f32_e32 v5, v29, v101
	v_fma_f32 v5, v28, v102, -v5
	v_add_f32_e32 v1, v1, v5
	v_mul_f32_e32 v5, v31, v103
	v_fma_f32 v5, v30, v104, -v5
	v_add_f32_e32 v1, v1, v5
	v_mul_f32_e32 v5, v33, v105
	v_fma_f32 v5, v32, v106, -v5
	v_add_f32_e32 v1, v1, v5
	v_mul_f32_e32 v5, v35, v107
	v_fma_f32 v5, v34, v188, -v5
	v_add_f32_e32 v1, v1, v5
	v_mul_f32_e32 v5, v37, v189
	v_fma_f32 v5, v36, v190, -v5
	v_add_f32_e32 v1, v1, v5
	v_mul_f32_e32 v5, v39, v191
	v_fma_f32 v5, v38, v192, -v5
	v_add_f32_e32 v1, v1, v5
	v_mul_f32_e32 v5, v41, v193
	v_fma_f32 v5, v40, v194, -v5
	v_add_f32_e32 v1, v1, v5
	v_mul_f32_e32 v5, v43, v196
	v_fma_f32 v5, v42, v195, -v5
	v_add_f32_e32 v1, v1, v5
	v_mul_f32_e32 v5, v45, v198
	v_fma_f32 v5, v44, v197, -v5
	v_add_f32_e32 v1, v1, v5
	v_mul_f32_e32 v5, v47, v200
	v_fma_f32 v5, v46, v199, -v5
	v_add_f32_e32 v1, v1, v5
	v_mul_f32_e32 v5, v49, v202
	v_fma_f32 v5, v48, v201, -v5
	v_add_f32_e32 v1, v1, v5
	v_mul_f32_e32 v5, v51, v204
	v_fma_f32 v5, v50, v203, -v5
	s_waitcnt vmcnt(18)
	v_mul_f32_e32 v69, v52, v206
	v_add_f32_e32 v62, v1, v5
	v_mul_f32_e32 v1, v53, v206
	v_fmac_f32_e32 v69, v53, v205
	s_waitcnt vmcnt(16) lgkmcnt(1)
	v_mul_f32_e32 v71, v54, v208
	v_fma_f32 v68, v52, v205, -v1
	v_mul_f32_e32 v1, v55, v208
	v_fmac_f32_e32 v71, v55, v207
	s_waitcnt vmcnt(13)
	v_mov_b32_e32 v18, v67
	v_pk_mul_f32 v[18:19], v[56:57], v[18:19] op_sel_hi:[1,0]
	s_waitcnt vmcnt(12)
	v_pk_fma_f32 v[20:21], v[56:57], v[66:67], v[18:19] op_sel:[0,0,1] op_sel_hi:[1,1,0] neg_lo:[0,0,1] neg_hi:[0,0,1]
	v_pk_fma_f32 v[18:19], v[56:57], v[66:67], v[18:19] op_sel:[0,0,1] op_sel_hi:[1,0,0]
	v_fma_f32 v70, v54, v207, -v1
	v_pk_add_f32 v[16:17], v[62:63], v[68:69]
	v_mov_b32_e32 v18, v65
	v_pk_add_f32 v[16:17], v[16:17], v[70:71]
	v_mov_b32_e32 v21, v19
	s_waitcnt lgkmcnt(0)
	v_pk_mul_f32 v[18:19], v[58:59], v[18:19] op_sel_hi:[1,0]
	v_pk_add_f32 v[16:17], v[16:17], v[20:21]
	v_pk_fma_f32 v[20:21], v[58:59], v[64:65], v[18:19] op_sel:[0,0,1] op_sel_hi:[1,1,0] neg_lo:[0,0,1] neg_hi:[0,0,1]
	v_pk_fma_f32 v[18:19], v[58:59], v[64:65], v[18:19] op_sel:[0,0,1] op_sel_hi:[1,0,0]
	s_waitcnt vmcnt(5)
	v_mov_b32_e32 v18, v79
	ds_read_b128 v[6:9], v4 offset:784
	ds_read_b128 v[10:13], v4 offset:800
	ds_read_b64 v[14:15], v4 offset:816
	v_mov_b32_e32 v21, v19
	v_pk_mul_f32 v[18:19], v[60:61], v[18:19] op_sel_hi:[1,0]
	v_pk_add_f32 v[16:17], v[16:17], v[20:21]
	s_waitcnt vmcnt(4)
	v_pk_fma_f32 v[20:21], v[60:61], v[78:79], v[18:19] op_sel:[0,0,1] op_sel_hi:[1,1,0] neg_lo:[0,0,1] neg_hi:[0,0,1]
	v_pk_fma_f32 v[18:19], v[60:61], v[78:79], v[18:19] op_sel:[0,0,1] op_sel_hi:[1,0,0]
	v_mov_b32_e32 v18, v77
	v_mov_b32_e32 v21, v19
	s_waitcnt lgkmcnt(2)
	v_pk_mul_f32 v[18:19], v[6:7], v[18:19] op_sel_hi:[1,0]
	v_pk_add_f32 v[16:17], v[16:17], v[20:21]
	v_pk_fma_f32 v[20:21], v[6:7], v[76:77], v[18:19] op_sel:[0,0,1] op_sel_hi:[1,1,0] neg_lo:[0,0,1] neg_hi:[0,0,1]
	v_pk_fma_f32 v[6:7], v[6:7], v[76:77], v[18:19] op_sel:[0,0,1] op_sel_hi:[1,0,0]
	v_mov_b32_e32 v21, v7
	v_pk_add_f32 v[6:7], v[16:17], v[20:21]
	v_mov_b32_e32 v16, v75
	v_pk_mul_f32 v[16:17], v[8:9], v[16:17] op_sel_hi:[1,0]
	v_pk_fma_f32 v[18:19], v[8:9], v[74:75], v[16:17] op_sel:[0,0,1] op_sel_hi:[1,1,0] neg_lo:[0,0,1] neg_hi:[0,0,1]
	v_pk_fma_f32 v[8:9], v[8:9], v[74:75], v[16:17] op_sel:[0,0,1] op_sel_hi:[1,0,0]
	v_mov_b32_e32 v8, v73
	v_mov_b32_e32 v19, v9
	s_waitcnt lgkmcnt(1)
	v_pk_mul_f32 v[8:9], v[10:11], v[8:9] op_sel_hi:[1,0]
	v_pk_fma_f32 v[16:17], v[10:11], v[72:73], v[8:9] op_sel:[0,0,1] op_sel_hi:[1,1,0] neg_lo:[0,0,1] neg_hi:[0,0,1]
	v_pk_fma_f32 v[8:9], v[10:11], v[72:73], v[8:9] op_sel:[0,0,1] op_sel_hi:[1,0,0]
	s_waitcnt vmcnt(1)
	v_mov_b32_e32 v8, v83
	v_mov_b32_e32 v17, v9
	v_pk_mul_f32 v[8:9], v[12:13], v[8:9] op_sel_hi:[1,0]
	s_waitcnt vmcnt(0)
	v_pk_fma_f32 v[10:11], v[12:13], v[82:83], v[8:9] op_sel:[0,0,1] op_sel_hi:[1,1,0] neg_lo:[0,0,1] neg_hi:[0,0,1]
	v_pk_fma_f32 v[8:9], v[12:13], v[82:83], v[8:9] op_sel:[0,0,1] op_sel_hi:[1,0,0]
	v_pk_add_f32 v[6:7], v[6:7], v[18:19]
	v_mov_b32_e32 v8, v81
	v_pk_add_f32 v[6:7], v[6:7], v[16:17]
	v_mov_b32_e32 v11, v9
	s_waitcnt lgkmcnt(0)
	v_pk_mul_f32 v[8:9], v[14:15], v[8:9] op_sel_hi:[1,0]
	v_pk_add_f32 v[6:7], v[6:7], v[10:11]
	v_pk_fma_f32 v[10:11], v[14:15], v[80:81], v[8:9] op_sel:[0,0,1] op_sel_hi:[1,1,0] neg_lo:[0,0,1] neg_hi:[0,0,1]
	v_pk_fma_f32 v[8:9], v[14:15], v[80:81], v[8:9] op_sel:[0,0,1] op_sel_hi:[1,0,0]
	v_mov_b32_e32 v11, v9
	v_pk_add_f32 v[6:7], v[6:7], v[10:11]
	v_pk_add_f32 v[2:3], v[2:3], v[6:7] neg_lo:[0,1] neg_hi:[0,1]
	buffer_store_dword v3, off, s[0:3], 0 offset:140
	buffer_store_dword v2, off, s[0:3], 0 offset:136
	s_and_saveexec_b64 s[4:5], vcc
	s_cbranch_execz .LBB50_287
; %bb.286:
	buffer_load_dword v2, off, s[0:3], 0 offset:128
	buffer_load_dword v3, off, s[0:3], 0 offset:132
	s_waitcnt vmcnt(0)
	ds_write_b64 v121, v[2:3]
	buffer_store_dword v4, off, s[0:3], 0 offset:128
	buffer_store_dword v4, off, s[0:3], 0 offset:132
.LBB50_287:
	s_or_b64 exec, exec, s[4:5]
	s_waitcnt lgkmcnt(0)
	; wave barrier
	s_waitcnt lgkmcnt(0)
	buffer_load_dword v1, off, s[0:3], 0 offset:140
	buffer_load_dword v5, off, s[0:3], 0 offset:148
	;; [unrolled: 1-line block ×42, first 2 shown]
	ds_read2_b64 v[6:9], v4 offset0:69 offset1:70
	ds_read2_b64 v[10:13], v4 offset0:71 offset1:72
	buffer_load_dword v199, off, s[0:3], 0 offset:296
	buffer_load_dword v200, off, s[0:3], 0 offset:300
	ds_read2_b64 v[14:17], v4 offset0:73 offset1:74
	ds_read2_b64 v[18:21], v4 offset0:75 offset1:76
	buffer_load_dword v201, off, s[0:3], 0 offset:304
	buffer_load_dword v202, off, s[0:3], 0 offset:308
	;; [unrolled: 1-line block ×4, first 2 shown]
	ds_read2_b64 v[22:25], v4 offset0:77 offset1:78
	ds_read2_b64 v[26:29], v4 offset0:79 offset1:80
	buffer_load_dword v205, off, s[0:3], 0 offset:320
	buffer_load_dword v206, off, s[0:3], 0 offset:324
	;; [unrolled: 1-line block ×6, first 2 shown]
	v_cmp_lt_u32_e32 vcc, 15, v0
	s_waitcnt vmcnt(53) lgkmcnt(5)
	v_mul_f32_e32 v30, v6, v1
	s_waitcnt vmcnt(52)
	v_mul_f32_e32 v31, v8, v5
	s_waitcnt vmcnt(51) lgkmcnt(4)
	v_mul_f32_e32 v32, v10, v64
	s_waitcnt vmcnt(50)
	v_mul_f32_e32 v33, v12, v66
	;; [unrolled: 4-line block ×5, first 2 shown]
	s_waitcnt vmcnt(43)
	v_fmac_f32_e32 v30, v7, v89
	s_waitcnt vmcnt(42)
	v_fmac_f32_e32 v31, v9, v90
	v_add_f32_e32 v30, 0, v30
	s_waitcnt vmcnt(41)
	v_fmac_f32_e32 v32, v11, v91
	v_add_f32_e32 v30, v30, v31
	;; [unrolled: 3-line block ×9, first 2 shown]
	s_waitcnt vmcnt(33) lgkmcnt(0)
	v_mul_f32_e32 v31, v26, v99
	v_add_f32_e32 v30, v30, v39
	s_waitcnt vmcnt(32)
	v_fmac_f32_e32 v31, v27, v100
	v_add_f32_e32 v34, v30, v31
	ds_read2_b64 v[30:33], v4 offset0:81 offset1:82
	s_waitcnt vmcnt(31)
	v_mul_f32_e32 v35, v28, v101
	s_waitcnt vmcnt(30)
	v_fmac_f32_e32 v35, v29, v102
	v_add_f32_e32 v38, v34, v35
	ds_read2_b64 v[34:37], v4 offset0:83 offset1:84
	s_waitcnt vmcnt(29) lgkmcnt(1)
	v_mul_f32_e32 v39, v30, v103
	s_waitcnt vmcnt(28)
	v_fmac_f32_e32 v39, v31, v104
	v_add_f32_e32 v38, v38, v39
	s_waitcnt vmcnt(27)
	v_mul_f32_e32 v39, v32, v105
	s_waitcnt vmcnt(26)
	v_fmac_f32_e32 v39, v33, v106
	v_add_f32_e32 v38, v38, v39
	s_waitcnt vmcnt(25) lgkmcnt(0)
	v_mul_f32_e32 v39, v34, v107
	s_waitcnt vmcnt(24)
	v_fmac_f32_e32 v39, v35, v188
	v_add_f32_e32 v42, v38, v39
	ds_read2_b64 v[38:41], v4 offset0:85 offset1:86
	s_waitcnt vmcnt(23)
	v_mul_f32_e32 v43, v36, v189
	s_waitcnt vmcnt(22)
	v_fmac_f32_e32 v43, v37, v190
	v_add_f32_e32 v46, v42, v43
	ds_read2_b64 v[42:45], v4 offset0:87 offset1:88
	s_waitcnt vmcnt(21) lgkmcnt(1)
	v_mul_f32_e32 v47, v38, v191
	s_waitcnt vmcnt(20)
	v_fmac_f32_e32 v47, v39, v192
	v_add_f32_e32 v46, v46, v47
	s_waitcnt vmcnt(18)
	v_mul_f32_e32 v47, v40, v194
	v_fmac_f32_e32 v47, v41, v193
	v_add_f32_e32 v46, v46, v47
	s_waitcnt vmcnt(15) lgkmcnt(0)
	v_mul_f32_e32 v47, v42, v195
	s_waitcnt vmcnt(14)
	v_fmac_f32_e32 v47, v43, v196
	v_add_f32_e32 v50, v46, v47
	ds_read2_b64 v[46:49], v4 offset0:89 offset1:90
	s_waitcnt vmcnt(12)
	v_mul_f32_e32 v51, v44, v198
	v_fmac_f32_e32 v51, v45, v197
	v_add_f32_e32 v54, v50, v51
	ds_read2_b64 v[50:53], v4 offset0:91 offset1:92
	buffer_load_dword v63, off, s[0:3], 0 offset:348
	buffer_load_dword v62, off, s[0:3], 0 offset:344
	s_waitcnt vmcnt(12) lgkmcnt(1)
	v_mul_f32_e32 v55, v46, v200
	v_fmac_f32_e32 v55, v47, v199
	v_add_f32_e32 v54, v54, v55
	s_waitcnt vmcnt(10)
	v_mul_f32_e32 v55, v48, v202
	v_fmac_f32_e32 v55, v49, v201
	v_add_f32_e32 v54, v54, v55
	s_waitcnt vmcnt(8) lgkmcnt(0)
	v_mul_f32_e32 v55, v50, v204
	v_fmac_f32_e32 v55, v51, v203
	s_waitcnt vmcnt(6)
	v_mul_f32_e32 v59, v52, v206
	v_add_f32_e32 v58, v54, v55
	v_fmac_f32_e32 v59, v53, v205
	ds_read2_b64 v[54:57], v4 offset0:93 offset1:94
	v_add_f32_e32 v65, v58, v59
	ds_read2_b64 v[58:61], v4 offset0:95 offset1:96
	buffer_load_dword v71, off, s[0:3], 0 offset:380
	buffer_load_dword v70, off, s[0:3], 0 offset:376
	;; [unrolled: 1-line block ×14, first 2 shown]
	v_mul_f32_e32 v1, v7, v1
	v_fma_f32 v1, v6, v89, -v1
	v_mul_f32_e32 v5, v9, v5
	v_add_f32_e32 v1, 0, v1
	v_fma_f32 v5, v8, v90, -v5
	v_add_f32_e32 v1, v1, v5
	v_mul_f32_e32 v5, v11, v64
	v_fma_f32 v5, v10, v91, -v5
	v_add_f32_e32 v1, v1, v5
	v_mul_f32_e32 v5, v13, v66
	;; [unrolled: 3-line block ×22, first 2 shown]
	v_fma_f32 v5, v52, v205, -v5
	s_waitcnt vmcnt(15)
	v_mov_b32_e32 v18, v63
	s_waitcnt lgkmcnt(1)
	v_mul_f32_e32 v67, v54, v208
	v_add_f32_e32 v64, v1, v5
	v_mul_f32_e32 v1, v55, v208
	s_waitcnt lgkmcnt(0)
	v_pk_mul_f32 v[18:19], v[58:59], v[18:19] op_sel_hi:[1,0]
	v_fmac_f32_e32 v67, v55, v207
	v_mul_f32_e32 v69, v56, v210
	v_fma_f32 v66, v54, v207, -v1
	v_mul_f32_e32 v1, v57, v210
	s_waitcnt vmcnt(14)
	v_pk_fma_f32 v[20:21], v[58:59], v[62:63], v[18:19] op_sel:[0,0,1] op_sel_hi:[1,1,0] neg_lo:[0,0,1] neg_hi:[0,0,1]
	v_pk_fma_f32 v[18:19], v[58:59], v[62:63], v[18:19] op_sel:[0,0,1] op_sel_hi:[1,0,0]
	v_fmac_f32_e32 v69, v57, v209
	v_fma_f32 v68, v56, v209, -v1
	ds_read2_b64 v[6:9], v4 offset0:97 offset1:98
	ds_read2_b64 v[10:13], v4 offset0:99 offset1:100
	;; [unrolled: 1-line block ×3, first 2 shown]
	v_pk_add_f32 v[4:5], v[64:65], v[66:67]
	s_waitcnt vmcnt(7)
	v_mov_b32_e32 v18, v77
	v_pk_add_f32 v[4:5], v[4:5], v[68:69]
	v_mov_b32_e32 v21, v19
	v_pk_mul_f32 v[18:19], v[60:61], v[18:19] op_sel_hi:[1,0]
	v_pk_add_f32 v[4:5], v[4:5], v[20:21]
	s_waitcnt vmcnt(6)
	v_pk_fma_f32 v[20:21], v[60:61], v[76:77], v[18:19] op_sel:[0,0,1] op_sel_hi:[1,1,0] neg_lo:[0,0,1] neg_hi:[0,0,1]
	v_pk_fma_f32 v[18:19], v[60:61], v[76:77], v[18:19] op_sel:[0,0,1] op_sel_hi:[1,0,0]
	v_mov_b32_e32 v18, v75
	v_mov_b32_e32 v21, v19
	s_waitcnt lgkmcnt(2)
	v_pk_mul_f32 v[18:19], v[6:7], v[18:19] op_sel_hi:[1,0]
	v_pk_add_f32 v[4:5], v[4:5], v[20:21]
	v_pk_fma_f32 v[20:21], v[6:7], v[74:75], v[18:19] op_sel:[0,0,1] op_sel_hi:[1,1,0] neg_lo:[0,0,1] neg_hi:[0,0,1]
	v_pk_fma_f32 v[6:7], v[6:7], v[74:75], v[18:19] op_sel:[0,0,1] op_sel_hi:[1,0,0]
	v_mov_b32_e32 v6, v73
	v_mov_b32_e32 v21, v7
	v_pk_mul_f32 v[6:7], v[8:9], v[6:7] op_sel_hi:[1,0]
	v_pk_fma_f32 v[18:19], v[8:9], v[72:73], v[6:7] op_sel:[0,0,1] op_sel_hi:[1,1,0] neg_lo:[0,0,1] neg_hi:[0,0,1]
	v_pk_fma_f32 v[6:7], v[8:9], v[72:73], v[6:7] op_sel:[0,0,1] op_sel_hi:[1,0,0]
	v_mov_b32_e32 v6, v71
	v_mov_b32_e32 v19, v7
	s_waitcnt lgkmcnt(1)
	v_pk_mul_f32 v[6:7], v[10:11], v[6:7] op_sel_hi:[1,0]
	v_pk_fma_f32 v[8:9], v[10:11], v[70:71], v[6:7] op_sel:[0,0,1] op_sel_hi:[1,1,0] neg_lo:[0,0,1] neg_hi:[0,0,1]
	v_pk_fma_f32 v[6:7], v[10:11], v[70:71], v[6:7] op_sel:[0,0,1] op_sel_hi:[1,0,0]
	v_pk_add_f32 v[4:5], v[4:5], v[20:21]
	s_waitcnt vmcnt(1)
	v_mov_b32_e32 v6, v83
	v_pk_add_f32 v[4:5], v[4:5], v[18:19]
	v_mov_b32_e32 v9, v7
	v_pk_mul_f32 v[6:7], v[12:13], v[6:7] op_sel_hi:[1,0]
	v_pk_add_f32 v[4:5], v[4:5], v[8:9]
	s_waitcnt vmcnt(0)
	v_pk_fma_f32 v[8:9], v[12:13], v[82:83], v[6:7] op_sel:[0,0,1] op_sel_hi:[1,1,0] neg_lo:[0,0,1] neg_hi:[0,0,1]
	v_pk_fma_f32 v[6:7], v[12:13], v[82:83], v[6:7] op_sel:[0,0,1] op_sel_hi:[1,0,0]
	v_mov_b32_e32 v6, v81
	v_mov_b32_e32 v9, v7
	s_waitcnt lgkmcnt(0)
	v_pk_mul_f32 v[6:7], v[14:15], v[6:7] op_sel_hi:[1,0]
	v_pk_add_f32 v[4:5], v[4:5], v[8:9]
	v_pk_fma_f32 v[8:9], v[14:15], v[80:81], v[6:7] op_sel:[0,0,1] op_sel_hi:[1,1,0] neg_lo:[0,0,1] neg_hi:[0,0,1]
	v_pk_fma_f32 v[6:7], v[14:15], v[80:81], v[6:7] op_sel:[0,0,1] op_sel_hi:[1,0,0]
	v_mov_b32_e32 v6, v79
	v_mov_b32_e32 v9, v7
	v_pk_mul_f32 v[6:7], v[16:17], v[6:7] op_sel_hi:[1,0]
	v_pk_add_f32 v[4:5], v[4:5], v[8:9]
	v_pk_fma_f32 v[8:9], v[16:17], v[78:79], v[6:7] op_sel:[0,0,1] op_sel_hi:[1,1,0] neg_lo:[0,0,1] neg_hi:[0,0,1]
	v_pk_fma_f32 v[6:7], v[16:17], v[78:79], v[6:7] op_sel:[0,0,1] op_sel_hi:[1,0,0]
	v_mov_b32_e32 v9, v7
	v_pk_add_f32 v[4:5], v[4:5], v[8:9]
	v_pk_add_f32 v[2:3], v[2:3], v[4:5] neg_lo:[0,1] neg_hi:[0,1]
	buffer_store_dword v3, off, s[0:3], 0 offset:132
	buffer_store_dword v2, off, s[0:3], 0 offset:128
	s_and_saveexec_b64 s[4:5], vcc
	s_cbranch_execz .LBB50_289
; %bb.288:
	buffer_load_dword v2, off, s[0:3], 0 offset:120
	buffer_load_dword v3, off, s[0:3], 0 offset:124
	v_mov_b32_e32 v1, 0
	buffer_store_dword v1, off, s[0:3], 0 offset:120
	buffer_store_dword v1, off, s[0:3], 0 offset:124
	s_waitcnt vmcnt(2)
	ds_write_b64 v121, v[2:3]
.LBB50_289:
	s_or_b64 exec, exec, s[4:5]
	s_waitcnt lgkmcnt(0)
	; wave barrier
	s_waitcnt lgkmcnt(0)
	buffer_load_dword v1, off, s[0:3], 0 offset:132
	buffer_load_dword v5, off, s[0:3], 0 offset:140
	;; [unrolled: 1-line block ×56, first 2 shown]
	v_mov_b32_e32 v4, 0
	ds_read_b128 v[6:9], v4 offset:544
	ds_read_b128 v[10:13], v4 offset:560
	;; [unrolled: 1-line block ×6, first 2 shown]
	v_cmp_lt_u32_e32 vcc, 14, v0
	s_waitcnt vmcnt(55) lgkmcnt(5)
	v_mul_f32_e32 v30, v6, v1
	s_waitcnt vmcnt(54)
	v_mul_f32_e32 v31, v8, v5
	s_waitcnt vmcnt(53) lgkmcnt(4)
	v_mul_f32_e32 v32, v10, v62
	s_waitcnt vmcnt(52)
	v_mul_f32_e32 v33, v12, v64
	;; [unrolled: 4-line block ×4, first 2 shown]
	s_waitcnt vmcnt(47) lgkmcnt(1)
	v_mul_f32_e32 v38, v22, v87
	s_waitcnt vmcnt(46)
	v_fmac_f32_e32 v30, v7, v88
	s_waitcnt vmcnt(45)
	v_fmac_f32_e32 v31, v9, v89
	v_add_f32_e32 v30, 0, v30
	s_waitcnt vmcnt(44)
	v_fmac_f32_e32 v32, v11, v90
	v_add_f32_e32 v30, v30, v31
	;; [unrolled: 3-line block ×7, first 2 shown]
	v_add_f32_e32 v30, v30, v37
	s_waitcnt vmcnt(38)
	v_fmac_f32_e32 v38, v23, v96
	s_waitcnt vmcnt(37)
	v_mul_f32_e32 v31, v24, v97
	v_add_f32_e32 v30, v30, v38
	s_waitcnt vmcnt(36)
	v_fmac_f32_e32 v31, v25, v98
	v_add_f32_e32 v30, v30, v31
	s_waitcnt vmcnt(35) lgkmcnt(0)
	v_mul_f32_e32 v31, v26, v99
	s_waitcnt vmcnt(34)
	v_fmac_f32_e32 v31, v27, v100
	v_add_f32_e32 v34, v30, v31
	ds_read_b128 v[30:33], v4 offset:640
	s_waitcnt vmcnt(33)
	v_mul_f32_e32 v35, v28, v101
	s_waitcnt vmcnt(32)
	v_fmac_f32_e32 v35, v29, v102
	v_add_f32_e32 v38, v34, v35
	ds_read_b128 v[34:37], v4 offset:656
	s_waitcnt vmcnt(31) lgkmcnt(1)
	v_mul_f32_e32 v39, v30, v103
	s_waitcnt vmcnt(30)
	v_fmac_f32_e32 v39, v31, v104
	v_add_f32_e32 v38, v38, v39
	s_waitcnt vmcnt(29)
	v_mul_f32_e32 v39, v32, v105
	s_waitcnt vmcnt(28)
	v_fmac_f32_e32 v39, v33, v106
	v_add_f32_e32 v38, v38, v39
	s_waitcnt vmcnt(27) lgkmcnt(0)
	v_mul_f32_e32 v39, v34, v107
	s_waitcnt vmcnt(26)
	v_fmac_f32_e32 v39, v35, v188
	v_add_f32_e32 v42, v38, v39
	ds_read_b128 v[38:41], v4 offset:672
	s_waitcnt vmcnt(24)
	v_mul_f32_e32 v43, v36, v190
	v_fmac_f32_e32 v43, v37, v189
	v_add_f32_e32 v46, v42, v43
	ds_read_b128 v[42:45], v4 offset:688
	s_waitcnt vmcnt(20) lgkmcnt(1)
	v_mul_f32_e32 v47, v38, v192
	v_fmac_f32_e32 v47, v39, v191
	v_add_f32_e32 v46, v46, v47
	s_waitcnt vmcnt(18)
	v_mul_f32_e32 v47, v40, v194
	v_fmac_f32_e32 v47, v41, v193
	v_add_f32_e32 v46, v46, v47
	s_waitcnt vmcnt(16) lgkmcnt(0)
	v_mul_f32_e32 v47, v42, v196
	v_fmac_f32_e32 v47, v43, v195
	v_add_f32_e32 v50, v46, v47
	ds_read_b128 v[46:49], v4 offset:704
	s_waitcnt vmcnt(14)
	v_mul_f32_e32 v51, v44, v198
	v_fmac_f32_e32 v51, v45, v197
	v_add_f32_e32 v54, v50, v51
	ds_read_b128 v[50:53], v4 offset:720
	s_waitcnt vmcnt(12) lgkmcnt(1)
	v_mul_f32_e32 v55, v46, v200
	v_fmac_f32_e32 v55, v47, v199
	v_add_f32_e32 v54, v54, v55
	s_waitcnt vmcnt(10)
	v_mul_f32_e32 v55, v48, v202
	v_fmac_f32_e32 v55, v49, v201
	v_add_f32_e32 v54, v54, v55
	s_waitcnt vmcnt(8) lgkmcnt(0)
	v_mul_f32_e32 v55, v50, v204
	v_fmac_f32_e32 v55, v51, v203
	s_waitcnt vmcnt(6)
	v_mul_f32_e32 v59, v52, v206
	v_add_f32_e32 v58, v54, v55
	v_fmac_f32_e32 v59, v53, v205
	ds_read_b128 v[54:57], v4 offset:736
	v_add_f32_e32 v63, v58, v59
	ds_read_b128 v[58:61], v4 offset:752
	buffer_load_dword v69, off, s[0:3], 0 offset:372
	buffer_load_dword v68, off, s[0:3], 0 offset:368
	;; [unrolled: 1-line block ×16, first 2 shown]
	v_mul_f32_e32 v1, v7, v1
	v_fma_f32 v1, v6, v88, -v1
	v_mul_f32_e32 v5, v9, v5
	v_add_f32_e32 v1, 0, v1
	v_fma_f32 v5, v8, v89, -v5
	v_add_f32_e32 v1, v1, v5
	v_mul_f32_e32 v5, v11, v62
	v_fma_f32 v5, v10, v90, -v5
	v_add_f32_e32 v1, v1, v5
	v_mul_f32_e32 v5, v13, v64
	;; [unrolled: 3-line block ×22, first 2 shown]
	v_fma_f32 v5, v52, v205, -v5
	s_waitcnt vmcnt(20) lgkmcnt(1)
	v_mul_f32_e32 v65, v54, v208
	v_add_f32_e32 v1, v1, v5
	v_mul_f32_e32 v5, v55, v208
	v_fmac_f32_e32 v65, v55, v207
	v_fma_f32 v5, v54, v207, -v5
	s_waitcnt vmcnt(9)
	v_mov_b32_e32 v22, v75
	v_add_f32_e32 v63, v63, v65
	v_mul_f32_e32 v65, v56, v210
	v_add_f32_e32 v62, v1, v5
	v_mul_f32_e32 v1, v57, v210
	s_waitcnt lgkmcnt(0)
	v_pk_mul_f32 v[22:23], v[60:61], v[22:23] op_sel_hi:[1,0]
	v_fmac_f32_e32 v65, v57, v209
	v_mul_f32_e32 v67, v58, v212
	v_fma_f32 v64, v56, v209, -v1
	v_mul_f32_e32 v1, v59, v212
	ds_read_b128 v[6:9], v4 offset:768
	ds_read_b128 v[10:13], v4 offset:784
	;; [unrolled: 1-line block ×3, first 2 shown]
	ds_read_b64 v[18:19], v4 offset:816
	s_waitcnt vmcnt(8)
	v_pk_fma_f32 v[24:25], v[60:61], v[74:75], v[22:23] op_sel:[0,0,1] op_sel_hi:[1,1,0] neg_lo:[0,0,1] neg_hi:[0,0,1]
	v_pk_fma_f32 v[22:23], v[60:61], v[74:75], v[22:23] op_sel:[0,0,1] op_sel_hi:[1,0,0]
	v_fmac_f32_e32 v67, v59, v211
	v_fma_f32 v66, v58, v211, -v1
	v_pk_add_f32 v[20:21], v[62:63], v[64:65]
	v_mov_b32_e32 v22, v73
	v_pk_add_f32 v[20:21], v[20:21], v[66:67]
	v_mov_b32_e32 v25, v23
	s_waitcnt lgkmcnt(3)
	v_pk_mul_f32 v[22:23], v[6:7], v[22:23] op_sel_hi:[1,0]
	v_pk_add_f32 v[20:21], v[20:21], v[24:25]
	v_pk_fma_f32 v[24:25], v[6:7], v[72:73], v[22:23] op_sel:[0,0,1] op_sel_hi:[1,1,0] neg_lo:[0,0,1] neg_hi:[0,0,1]
	v_pk_fma_f32 v[6:7], v[6:7], v[72:73], v[22:23] op_sel:[0,0,1] op_sel_hi:[1,0,0]
	v_mov_b32_e32 v25, v7
	v_pk_add_f32 v[6:7], v[20:21], v[24:25]
	v_mov_b32_e32 v20, v71
	v_pk_mul_f32 v[20:21], v[8:9], v[20:21] op_sel_hi:[1,0]
	v_pk_fma_f32 v[22:23], v[8:9], v[70:71], v[20:21] op_sel:[0,0,1] op_sel_hi:[1,1,0] neg_lo:[0,0,1] neg_hi:[0,0,1]
	v_pk_fma_f32 v[8:9], v[8:9], v[70:71], v[20:21] op_sel:[0,0,1] op_sel_hi:[1,0,0]
	v_mov_b32_e32 v8, v69
	v_mov_b32_e32 v23, v9
	s_waitcnt lgkmcnt(2)
	v_pk_mul_f32 v[8:9], v[10:11], v[8:9] op_sel_hi:[1,0]
	v_pk_fma_f32 v[20:21], v[10:11], v[68:69], v[8:9] op_sel:[0,0,1] op_sel_hi:[1,1,0] neg_lo:[0,0,1] neg_hi:[0,0,1]
	v_pk_fma_f32 v[8:9], v[10:11], v[68:69], v[8:9] op_sel:[0,0,1] op_sel_hi:[1,0,0]
	s_waitcnt vmcnt(1)
	v_mov_b32_e32 v8, v83
	v_mov_b32_e32 v21, v9
	v_pk_mul_f32 v[8:9], v[12:13], v[8:9] op_sel_hi:[1,0]
	s_waitcnt vmcnt(0)
	v_pk_fma_f32 v[10:11], v[12:13], v[82:83], v[8:9] op_sel:[0,0,1] op_sel_hi:[1,1,0] neg_lo:[0,0,1] neg_hi:[0,0,1]
	v_pk_fma_f32 v[8:9], v[12:13], v[82:83], v[8:9] op_sel:[0,0,1] op_sel_hi:[1,0,0]
	v_pk_add_f32 v[6:7], v[6:7], v[22:23]
	v_mov_b32_e32 v8, v81
	v_pk_add_f32 v[6:7], v[6:7], v[20:21]
	v_mov_b32_e32 v11, v9
	s_waitcnt lgkmcnt(1)
	v_pk_mul_f32 v[8:9], v[14:15], v[8:9] op_sel_hi:[1,0]
	v_pk_add_f32 v[6:7], v[6:7], v[10:11]
	v_pk_fma_f32 v[10:11], v[14:15], v[80:81], v[8:9] op_sel:[0,0,1] op_sel_hi:[1,1,0] neg_lo:[0,0,1] neg_hi:[0,0,1]
	v_pk_fma_f32 v[8:9], v[14:15], v[80:81], v[8:9] op_sel:[0,0,1] op_sel_hi:[1,0,0]
	v_mov_b32_e32 v8, v79
	v_mov_b32_e32 v11, v9
	v_pk_mul_f32 v[8:9], v[16:17], v[8:9] op_sel_hi:[1,0]
	v_pk_add_f32 v[6:7], v[6:7], v[10:11]
	v_pk_fma_f32 v[10:11], v[16:17], v[78:79], v[8:9] op_sel:[0,0,1] op_sel_hi:[1,1,0] neg_lo:[0,0,1] neg_hi:[0,0,1]
	v_pk_fma_f32 v[8:9], v[16:17], v[78:79], v[8:9] op_sel:[0,0,1] op_sel_hi:[1,0,0]
	v_mov_b32_e32 v8, v77
	v_mov_b32_e32 v11, v9
	s_waitcnt lgkmcnt(0)
	v_pk_mul_f32 v[8:9], v[18:19], v[8:9] op_sel_hi:[1,0]
	v_pk_add_f32 v[6:7], v[6:7], v[10:11]
	v_pk_fma_f32 v[10:11], v[18:19], v[76:77], v[8:9] op_sel:[0,0,1] op_sel_hi:[1,1,0] neg_lo:[0,0,1] neg_hi:[0,0,1]
	v_pk_fma_f32 v[8:9], v[18:19], v[76:77], v[8:9] op_sel:[0,0,1] op_sel_hi:[1,0,0]
	v_mov_b32_e32 v11, v9
	v_pk_add_f32 v[6:7], v[6:7], v[10:11]
	v_pk_add_f32 v[2:3], v[2:3], v[6:7] neg_lo:[0,1] neg_hi:[0,1]
	buffer_store_dword v3, off, s[0:3], 0 offset:124
	buffer_store_dword v2, off, s[0:3], 0 offset:120
	s_and_saveexec_b64 s[4:5], vcc
	s_cbranch_execz .LBB50_291
; %bb.290:
	buffer_load_dword v2, off, s[0:3], 0 offset:112
	buffer_load_dword v3, off, s[0:3], 0 offset:116
	s_waitcnt vmcnt(0)
	ds_write_b64 v121, v[2:3]
	buffer_store_dword v4, off, s[0:3], 0 offset:112
	buffer_store_dword v4, off, s[0:3], 0 offset:116
.LBB50_291:
	s_or_b64 exec, exec, s[4:5]
	s_waitcnt lgkmcnt(0)
	; wave barrier
	s_waitcnt lgkmcnt(0)
	buffer_load_dword v1, off, s[0:3], 0 offset:124
	buffer_load_dword v5, off, s[0:3], 0 offset:132
	;; [unrolled: 1-line block ×36, first 2 shown]
	ds_read2_b64 v[6:9], v4 offset0:67 offset1:68
	ds_read2_b64 v[10:13], v4 offset0:69 offset1:70
	buffer_load_dword v193, off, s[0:3], 0 offset:256
	buffer_load_dword v194, off, s[0:3], 0 offset:260
	;; [unrolled: 1-line block ×4, first 2 shown]
	ds_read2_b64 v[14:17], v4 offset0:71 offset1:72
	ds_read2_b64 v[18:21], v4 offset0:73 offset1:74
	buffer_load_dword v197, off, s[0:3], 0 offset:272
	buffer_load_dword v198, off, s[0:3], 0 offset:276
	ds_read2_b64 v[22:25], v4 offset0:75 offset1:76
	ds_read2_b64 v[26:29], v4 offset0:77 offset1:78
	buffer_load_dword v199, off, s[0:3], 0 offset:280
	buffer_load_dword v200, off, s[0:3], 0 offset:284
	;; [unrolled: 1-line block ×16, first 2 shown]
	v_cmp_lt_u32_e32 vcc, 13, v0
	s_waitcnt vmcnt(57) lgkmcnt(5)
	v_mul_f32_e32 v30, v6, v1
	s_waitcnt vmcnt(56)
	v_mul_f32_e32 v31, v8, v5
	s_waitcnt vmcnt(55) lgkmcnt(4)
	v_mul_f32_e32 v32, v10, v62
	s_waitcnt vmcnt(54)
	v_mul_f32_e32 v33, v12, v64
	;; [unrolled: 4-line block ×4, first 2 shown]
	s_waitcnt vmcnt(49)
	v_fmac_f32_e32 v30, v7, v87
	s_waitcnt vmcnt(48)
	v_fmac_f32_e32 v31, v9, v88
	v_add_f32_e32 v30, 0, v30
	s_waitcnt vmcnt(47)
	v_fmac_f32_e32 v32, v11, v89
	v_add_f32_e32 v30, v30, v31
	;; [unrolled: 3-line block ×7, first 2 shown]
	s_waitcnt vmcnt(41) lgkmcnt(1)
	v_mul_f32_e32 v31, v22, v95
	v_add_f32_e32 v30, v30, v37
	s_waitcnt vmcnt(40)
	v_fmac_f32_e32 v31, v23, v96
	v_add_f32_e32 v30, v30, v31
	s_waitcnt vmcnt(39)
	v_mul_f32_e32 v31, v24, v97
	s_waitcnt vmcnt(38)
	v_fmac_f32_e32 v31, v25, v98
	v_add_f32_e32 v30, v30, v31
	s_waitcnt vmcnt(37) lgkmcnt(0)
	v_mul_f32_e32 v31, v26, v99
	s_waitcnt vmcnt(36)
	v_fmac_f32_e32 v31, v27, v100
	v_add_f32_e32 v34, v30, v31
	ds_read2_b64 v[30:33], v4 offset0:79 offset1:80
	s_waitcnt vmcnt(35)
	v_mul_f32_e32 v35, v28, v101
	s_waitcnt vmcnt(34)
	v_fmac_f32_e32 v35, v29, v102
	v_add_f32_e32 v38, v34, v35
	ds_read2_b64 v[34:37], v4 offset0:81 offset1:82
	s_waitcnt vmcnt(33) lgkmcnt(1)
	v_mul_f32_e32 v39, v30, v103
	s_waitcnt vmcnt(32)
	v_fmac_f32_e32 v39, v31, v104
	v_add_f32_e32 v38, v38, v39
	s_waitcnt vmcnt(31)
	v_mul_f32_e32 v39, v32, v105
	s_waitcnt vmcnt(30)
	v_fmac_f32_e32 v39, v33, v106
	v_add_f32_e32 v38, v38, v39
	s_waitcnt vmcnt(29) lgkmcnt(0)
	v_mul_f32_e32 v39, v34, v107
	s_waitcnt vmcnt(28)
	v_fmac_f32_e32 v39, v35, v188
	v_add_f32_e32 v42, v38, v39
	ds_read2_b64 v[38:41], v4 offset0:83 offset1:84
	s_waitcnt vmcnt(25)
	v_mul_f32_e32 v43, v36, v189
	s_waitcnt vmcnt(24)
	v_fmac_f32_e32 v43, v37, v190
	v_add_f32_e32 v46, v42, v43
	ds_read2_b64 v[42:45], v4 offset0:85 offset1:86
	s_waitcnt vmcnt(22) lgkmcnt(1)
	v_mul_f32_e32 v47, v38, v192
	v_fmac_f32_e32 v47, v39, v191
	v_add_f32_e32 v46, v46, v47
	s_waitcnt vmcnt(20)
	v_mul_f32_e32 v47, v40, v194
	v_fmac_f32_e32 v47, v41, v193
	v_add_f32_e32 v46, v46, v47
	s_waitcnt vmcnt(18) lgkmcnt(0)
	v_mul_f32_e32 v47, v42, v196
	v_fmac_f32_e32 v47, v43, v195
	v_add_f32_e32 v50, v46, v47
	ds_read2_b64 v[46:49], v4 offset0:87 offset1:88
	s_waitcnt vmcnt(16)
	v_mul_f32_e32 v51, v44, v198
	v_fmac_f32_e32 v51, v45, v197
	v_add_f32_e32 v54, v50, v51
	ds_read2_b64 v[50:53], v4 offset0:89 offset1:90
	s_waitcnt vmcnt(14) lgkmcnt(1)
	v_mul_f32_e32 v55, v46, v200
	v_fmac_f32_e32 v55, v47, v199
	v_add_f32_e32 v54, v54, v55
	s_waitcnt vmcnt(12)
	v_mul_f32_e32 v55, v48, v202
	v_fmac_f32_e32 v55, v49, v201
	v_add_f32_e32 v54, v54, v55
	s_waitcnt vmcnt(10) lgkmcnt(0)
	v_mul_f32_e32 v55, v50, v204
	v_fmac_f32_e32 v55, v51, v203
	s_waitcnt vmcnt(8)
	v_mul_f32_e32 v59, v52, v206
	v_add_f32_e32 v58, v54, v55
	v_fmac_f32_e32 v59, v53, v205
	ds_read2_b64 v[54:57], v4 offset0:91 offset1:92
	v_add_f32_e32 v63, v58, v59
	ds_read2_b64 v[58:61], v4 offset0:93 offset1:94
	buffer_load_dword v67, off, s[0:3], 0 offset:364
	buffer_load_dword v66, off, s[0:3], 0 offset:360
	;; [unrolled: 1-line block ×16, first 2 shown]
	v_mul_f32_e32 v1, v7, v1
	v_fma_f32 v1, v6, v87, -v1
	v_mul_f32_e32 v5, v9, v5
	v_add_f32_e32 v1, 0, v1
	v_fma_f32 v5, v8, v88, -v5
	v_add_f32_e32 v1, v1, v5
	v_mul_f32_e32 v5, v11, v62
	v_fma_f32 v5, v10, v89, -v5
	v_add_f32_e32 v1, v1, v5
	v_mul_f32_e32 v5, v13, v64
	;; [unrolled: 3-line block ×22, first 2 shown]
	ds_read2_b64 v[6:9], v4 offset0:95 offset1:96
	ds_read2_b64 v[10:13], v4 offset0:97 offset1:98
	;; [unrolled: 1-line block ×4, first 2 shown]
	v_fma_f32 v5, v52, v205, -v5
	s_waitcnt vmcnt(22) lgkmcnt(5)
	v_mul_f32_e32 v65, v54, v208
	v_add_f32_e32 v1, v1, v5
	v_mul_f32_e32 v5, v55, v208
	v_fmac_f32_e32 v65, v55, v207
	v_fma_f32 v5, v54, v207, -v5
	s_waitcnt vmcnt(11)
	v_mov_b32_e32 v22, v71
	s_waitcnt lgkmcnt(3)
	v_pk_mul_f32 v[22:23], v[6:7], v[22:23] op_sel_hi:[1,0]
	s_waitcnt vmcnt(10)
	v_pk_fma_f32 v[24:25], v[6:7], v[70:71], v[22:23] op_sel:[0,0,1] op_sel_hi:[1,1,0] neg_lo:[0,0,1] neg_hi:[0,0,1]
	v_pk_fma_f32 v[6:7], v[6:7], v[70:71], v[22:23] op_sel:[0,0,1] op_sel_hi:[1,0,0]
	v_add_f32_e32 v63, v63, v65
	v_mul_f32_e32 v65, v56, v210
	v_add_f32_e32 v1, v1, v5
	v_mul_f32_e32 v5, v57, v210
	v_mov_b32_e32 v6, v69
	v_fmac_f32_e32 v65, v57, v209
	v_fma_f32 v5, v56, v209, -v5
	v_mov_b32_e32 v25, v7
	v_pk_mul_f32 v[6:7], v[8:9], v[6:7] op_sel_hi:[1,0]
	v_add_f32_e32 v63, v63, v65
	v_mul_f32_e32 v65, v58, v212
	v_add_f32_e32 v62, v1, v5
	v_mul_f32_e32 v1, v59, v212
	v_pk_fma_f32 v[22:23], v[8:9], v[68:69], v[6:7] op_sel:[0,0,1] op_sel_hi:[1,1,0] neg_lo:[0,0,1] neg_hi:[0,0,1]
	v_pk_fma_f32 v[6:7], v[8:9], v[68:69], v[6:7] op_sel:[0,0,1] op_sel_hi:[1,0,0]
	v_fmac_f32_e32 v65, v59, v211
	v_mul_f32_e32 v73, v60, v214
	v_fma_f32 v64, v58, v211, -v1
	v_mul_f32_e32 v1, v61, v214
	v_mov_b32_e32 v6, v67
	v_fmac_f32_e32 v73, v61, v213
	v_fma_f32 v72, v60, v213, -v1
	v_pk_add_f32 v[4:5], v[62:63], v[64:65]
	v_mov_b32_e32 v23, v7
	s_waitcnt lgkmcnt(2)
	v_pk_mul_f32 v[6:7], v[10:11], v[6:7] op_sel_hi:[1,0]
	v_pk_add_f32 v[4:5], v[4:5], v[72:73]
	v_pk_fma_f32 v[8:9], v[10:11], v[66:67], v[6:7] op_sel:[0,0,1] op_sel_hi:[1,1,0] neg_lo:[0,0,1] neg_hi:[0,0,1]
	v_pk_fma_f32 v[6:7], v[10:11], v[66:67], v[6:7] op_sel:[0,0,1] op_sel_hi:[1,0,0]
	v_pk_add_f32 v[4:5], v[4:5], v[24:25]
	s_waitcnt vmcnt(3)
	v_mov_b32_e32 v6, v81
	v_pk_add_f32 v[4:5], v[4:5], v[22:23]
	v_mov_b32_e32 v9, v7
	v_pk_mul_f32 v[6:7], v[12:13], v[6:7] op_sel_hi:[1,0]
	v_pk_add_f32 v[4:5], v[4:5], v[8:9]
	s_waitcnt vmcnt(2)
	v_pk_fma_f32 v[8:9], v[12:13], v[80:81], v[6:7] op_sel:[0,0,1] op_sel_hi:[1,1,0] neg_lo:[0,0,1] neg_hi:[0,0,1]
	v_pk_fma_f32 v[6:7], v[12:13], v[80:81], v[6:7] op_sel:[0,0,1] op_sel_hi:[1,0,0]
	v_mov_b32_e32 v6, v79
	v_mov_b32_e32 v9, v7
	s_waitcnt lgkmcnt(1)
	v_pk_mul_f32 v[6:7], v[14:15], v[6:7] op_sel_hi:[1,0]
	v_pk_add_f32 v[4:5], v[4:5], v[8:9]
	v_pk_fma_f32 v[8:9], v[14:15], v[78:79], v[6:7] op_sel:[0,0,1] op_sel_hi:[1,1,0] neg_lo:[0,0,1] neg_hi:[0,0,1]
	v_pk_fma_f32 v[6:7], v[14:15], v[78:79], v[6:7] op_sel:[0,0,1] op_sel_hi:[1,0,0]
	v_mov_b32_e32 v6, v77
	v_mov_b32_e32 v9, v7
	v_pk_mul_f32 v[6:7], v[16:17], v[6:7] op_sel_hi:[1,0]
	v_pk_add_f32 v[4:5], v[4:5], v[8:9]
	v_pk_fma_f32 v[8:9], v[16:17], v[76:77], v[6:7] op_sel:[0,0,1] op_sel_hi:[1,1,0] neg_lo:[0,0,1] neg_hi:[0,0,1]
	v_pk_fma_f32 v[6:7], v[16:17], v[76:77], v[6:7] op_sel:[0,0,1] op_sel_hi:[1,0,0]
	v_mov_b32_e32 v6, v75
	v_mov_b32_e32 v9, v7
	s_waitcnt lgkmcnt(0)
	v_pk_mul_f32 v[6:7], v[18:19], v[6:7] op_sel_hi:[1,0]
	v_pk_add_f32 v[4:5], v[4:5], v[8:9]
	v_pk_fma_f32 v[8:9], v[18:19], v[74:75], v[6:7] op_sel:[0,0,1] op_sel_hi:[1,1,0] neg_lo:[0,0,1] neg_hi:[0,0,1]
	v_pk_fma_f32 v[6:7], v[18:19], v[74:75], v[6:7] op_sel:[0,0,1] op_sel_hi:[1,0,0]
	s_waitcnt vmcnt(1)
	v_mov_b32_e32 v6, v83
	v_mov_b32_e32 v9, v7
	v_pk_mul_f32 v[6:7], v[20:21], v[6:7] op_sel_hi:[1,0]
	v_pk_add_f32 v[4:5], v[4:5], v[8:9]
	s_waitcnt vmcnt(0)
	v_pk_fma_f32 v[8:9], v[20:21], v[82:83], v[6:7] op_sel:[0,0,1] op_sel_hi:[1,1,0] neg_lo:[0,0,1] neg_hi:[0,0,1]
	v_pk_fma_f32 v[6:7], v[20:21], v[82:83], v[6:7] op_sel:[0,0,1] op_sel_hi:[1,0,0]
	v_mov_b32_e32 v9, v7
	v_pk_add_f32 v[4:5], v[4:5], v[8:9]
	v_pk_add_f32 v[2:3], v[2:3], v[4:5] neg_lo:[0,1] neg_hi:[0,1]
	buffer_store_dword v3, off, s[0:3], 0 offset:116
	buffer_store_dword v2, off, s[0:3], 0 offset:112
	s_and_saveexec_b64 s[4:5], vcc
	s_cbranch_execz .LBB50_293
; %bb.292:
	buffer_load_dword v2, off, s[0:3], 0 offset:104
	buffer_load_dword v3, off, s[0:3], 0 offset:108
	v_mov_b32_e32 v1, 0
	buffer_store_dword v1, off, s[0:3], 0 offset:104
	buffer_store_dword v1, off, s[0:3], 0 offset:108
	s_waitcnt vmcnt(2)
	ds_write_b64 v121, v[2:3]
.LBB50_293:
	s_or_b64 exec, exec, s[4:5]
	s_waitcnt lgkmcnt(0)
	; wave barrier
	s_waitcnt lgkmcnt(0)
	buffer_load_dword v1, off, s[0:3], 0 offset:116
	buffer_load_dword v17, off, s[0:3], 0 offset:124
	;; [unrolled: 1-line block ×56, first 2 shown]
	v_mov_b32_e32 v16, 0
	ds_read_b128 v[2:5], v16 offset:528
	buffer_load_dword v221, off, s[0:3], 0 offset:328
	buffer_load_dword v222, off, s[0:3], 0 offset:332
	buffer_load_dword v223, off, s[0:3], 0 offset:336
	buffer_load_dword v224, off, s[0:3], 0 offset:340
	ds_read_b128 v[8:11], v16 offset:544
	ds_read_b128 v[12:15], v16 offset:560
	;; [unrolled: 1-line block ×3, first 2 shown]
	v_cmp_lt_u32_e32 vcc, 12, v0
	s_waitcnt vmcnt(59) lgkmcnt(3)
	v_mul_f32_e32 v22, v2, v1
	s_waitcnt vmcnt(58)
	v_mul_f32_e32 v23, v4, v17
	s_waitcnt vmcnt(57) lgkmcnt(2)
	v_mul_f32_e32 v24, v8, v70
	s_waitcnt vmcnt(56)
	v_mul_f32_e32 v25, v10, v76
	;; [unrolled: 4-line block ×3, first 2 shown]
	s_waitcnt vmcnt(53) lgkmcnt(0)
	v_mul_f32_e32 v28, v18, v93
	s_waitcnt vmcnt(52)
	v_fmac_f32_e32 v22, v3, v94
	s_waitcnt vmcnt(51)
	v_fmac_f32_e32 v23, v5, v95
	v_add_f32_e32 v22, 0, v22
	s_waitcnt vmcnt(50)
	v_fmac_f32_e32 v24, v9, v96
	v_add_f32_e32 v22, v22, v23
	;; [unrolled: 3-line block ×6, first 2 shown]
	v_add_f32_e32 v26, v22, v28
	ds_read_b128 v[22:25], v16 offset:592
	s_waitcnt vmcnt(45)
	v_mul_f32_e32 v27, v20, v101
	s_waitcnt vmcnt(44)
	v_fmac_f32_e32 v27, v21, v102
	v_add_f32_e32 v30, v26, v27
	ds_read_b128 v[26:29], v16 offset:608
	s_waitcnt vmcnt(43) lgkmcnt(1)
	v_mul_f32_e32 v31, v22, v103
	s_waitcnt vmcnt(42)
	v_fmac_f32_e32 v31, v23, v104
	v_add_f32_e32 v30, v30, v31
	s_waitcnt vmcnt(41)
	v_mul_f32_e32 v31, v24, v105
	s_waitcnt vmcnt(40)
	v_fmac_f32_e32 v31, v25, v106
	v_add_f32_e32 v30, v30, v31
	s_waitcnt vmcnt(39) lgkmcnt(0)
	v_mul_f32_e32 v31, v26, v107
	s_waitcnt vmcnt(38)
	v_fmac_f32_e32 v31, v27, v188
	v_add_f32_e32 v34, v30, v31
	ds_read_b128 v[30:33], v16 offset:624
	s_waitcnt vmcnt(37)
	v_mul_f32_e32 v35, v28, v189
	s_waitcnt vmcnt(36)
	v_fmac_f32_e32 v35, v29, v190
	v_add_f32_e32 v38, v34, v35
	ds_read_b128 v[34:37], v16 offset:640
	s_waitcnt vmcnt(34) lgkmcnt(1)
	v_mul_f32_e32 v39, v30, v192
	v_fmac_f32_e32 v39, v31, v191
	v_add_f32_e32 v38, v38, v39
	s_waitcnt vmcnt(31)
	v_mul_f32_e32 v39, v32, v193
	s_waitcnt vmcnt(30)
	v_fmac_f32_e32 v39, v33, v194
	v_add_f32_e32 v38, v38, v39
	s_waitcnt vmcnt(28) lgkmcnt(0)
	v_mul_f32_e32 v39, v34, v196
	v_fmac_f32_e32 v39, v35, v195
	v_add_f32_e32 v42, v38, v39
	ds_read_b128 v[38:41], v16 offset:656
	s_waitcnt vmcnt(26)
	v_mul_f32_e32 v43, v36, v198
	v_fmac_f32_e32 v43, v37, v197
	v_add_f32_e32 v46, v42, v43
	ds_read_b128 v[42:45], v16 offset:672
	s_waitcnt vmcnt(24) lgkmcnt(1)
	v_mul_f32_e32 v47, v38, v200
	v_fmac_f32_e32 v47, v39, v199
	v_add_f32_e32 v46, v46, v47
	s_waitcnt vmcnt(22)
	v_mul_f32_e32 v47, v40, v202
	v_fmac_f32_e32 v47, v41, v201
	v_add_f32_e32 v46, v46, v47
	s_waitcnt vmcnt(20) lgkmcnt(0)
	v_mul_f32_e32 v47, v42, v204
	v_fmac_f32_e32 v47, v43, v203
	v_add_f32_e32 v50, v46, v47
	ds_read_b128 v[46:49], v16 offset:688
	s_waitcnt vmcnt(18)
	v_mul_f32_e32 v51, v44, v206
	v_fmac_f32_e32 v51, v45, v205
	v_add_f32_e32 v54, v50, v51
	ds_read_b128 v[50:53], v16 offset:704
	s_waitcnt vmcnt(16) lgkmcnt(1)
	v_mul_f32_e32 v55, v46, v208
	v_fmac_f32_e32 v55, v47, v207
	v_add_f32_e32 v54, v54, v55
	s_waitcnt vmcnt(14)
	v_mul_f32_e32 v55, v48, v210
	;; [unrolled: 18-line block ×3, first 2 shown]
	v_fmac_f32_e32 v63, v57, v217
	v_add_f32_e32 v62, v62, v63
	s_waitcnt vmcnt(4) lgkmcnt(0)
	v_mul_f32_e32 v63, v58, v220
	v_fmac_f32_e32 v63, v59, v219
	v_add_f32_e32 v71, v62, v63
	ds_read_b128 v[62:65], v16 offset:752
	buffer_load_dword v73, off, s[0:3], 0 offset:356
	buffer_load_dword v72, off, s[0:3], 0 offset:352
	;; [unrolled: 1-line block ×4, first 2 shown]
	ds_read_b128 v[66:69], v16 offset:768
	buffer_load_dword v81, off, s[0:3], 0 offset:388
	buffer_load_dword v80, off, s[0:3], 0 offset:384
	;; [unrolled: 1-line block ×12, first 2 shown]
	v_mul_f32_e32 v1, v3, v1
	v_fma_f32 v1, v2, v94, -v1
	v_mul_f32_e32 v2, v5, v17
	v_add_f32_e32 v1, 0, v1
	v_fma_f32 v2, v4, v95, -v2
	v_add_f32_e32 v1, v1, v2
	v_mul_f32_e32 v2, v9, v70
	v_fma_f32 v2, v8, v96, -v2
	v_add_f32_e32 v1, v1, v2
	v_mul_f32_e32 v2, v11, v76
	;; [unrolled: 3-line block ×25, first 2 shown]
	v_fma_f32 v2, v58, v219, -v2
	s_waitcnt vmcnt(13)
	v_mov_b32_e32 v18, v75
	v_mul_f32_e32 v77, v60, v222
	v_add_f32_e32 v70, v1, v2
	v_mul_f32_e32 v1, v61, v222
	s_waitcnt lgkmcnt(1)
	v_pk_mul_f32 v[18:19], v[64:65], v[18:19] op_sel_hi:[1,0]
	v_fmac_f32_e32 v77, v61, v221
	v_mul_f32_e32 v79, v62, v224
	v_fma_f32 v76, v60, v221, -v1
	v_mul_f32_e32 v1, v63, v224
	s_waitcnt vmcnt(12)
	v_pk_fma_f32 v[20:21], v[64:65], v[74:75], v[18:19] op_sel:[0,0,1] op_sel_hi:[1,1,0] neg_lo:[0,0,1] neg_hi:[0,0,1]
	v_pk_fma_f32 v[18:19], v[64:65], v[74:75], v[18:19] op_sel:[0,0,1] op_sel_hi:[1,0,0]
	v_fmac_f32_e32 v79, v63, v223
	v_fma_f32 v78, v62, v223, -v1
	v_pk_add_f32 v[14:15], v[70:71], v[76:77]
	v_mov_b32_e32 v18, v73
	v_pk_add_f32 v[14:15], v[14:15], v[78:79]
	v_mov_b32_e32 v21, v19
	s_waitcnt lgkmcnt(0)
	v_pk_mul_f32 v[18:19], v[66:67], v[18:19] op_sel_hi:[1,0]
	v_pk_add_f32 v[14:15], v[14:15], v[20:21]
	v_pk_fma_f32 v[20:21], v[66:67], v[72:73], v[18:19] op_sel:[0,0,1] op_sel_hi:[1,1,0] neg_lo:[0,0,1] neg_hi:[0,0,1]
	v_pk_fma_f32 v[18:19], v[66:67], v[72:73], v[18:19] op_sel:[0,0,1] op_sel_hi:[1,0,0]
	s_waitcnt vmcnt(5)
	v_mov_b32_e32 v18, v87
	ds_read_b128 v[2:5], v16 offset:784
	ds_read_b128 v[8:11], v16 offset:800
	ds_read_b64 v[12:13], v16 offset:816
	v_mov_b32_e32 v21, v19
	v_pk_mul_f32 v[18:19], v[68:69], v[18:19] op_sel_hi:[1,0]
	v_pk_add_f32 v[14:15], v[14:15], v[20:21]
	s_waitcnt vmcnt(4)
	v_pk_fma_f32 v[20:21], v[68:69], v[86:87], v[18:19] op_sel:[0,0,1] op_sel_hi:[1,1,0] neg_lo:[0,0,1] neg_hi:[0,0,1]
	v_pk_fma_f32 v[18:19], v[68:69], v[86:87], v[18:19] op_sel:[0,0,1] op_sel_hi:[1,0,0]
	v_mov_b32_e32 v18, v85
	v_mov_b32_e32 v21, v19
	s_waitcnt lgkmcnt(2)
	v_pk_mul_f32 v[18:19], v[2:3], v[18:19] op_sel_hi:[1,0]
	v_pk_add_f32 v[14:15], v[14:15], v[20:21]
	v_pk_fma_f32 v[20:21], v[2:3], v[84:85], v[18:19] op_sel:[0,0,1] op_sel_hi:[1,1,0] neg_lo:[0,0,1] neg_hi:[0,0,1]
	v_pk_fma_f32 v[2:3], v[2:3], v[84:85], v[18:19] op_sel:[0,0,1] op_sel_hi:[1,0,0]
	v_mov_b32_e32 v21, v3
	v_pk_add_f32 v[2:3], v[14:15], v[20:21]
	v_mov_b32_e32 v14, v83
	v_pk_mul_f32 v[14:15], v[4:5], v[14:15] op_sel_hi:[1,0]
	v_pk_fma_f32 v[18:19], v[4:5], v[82:83], v[14:15] op_sel:[0,0,1] op_sel_hi:[1,1,0] neg_lo:[0,0,1] neg_hi:[0,0,1]
	v_pk_fma_f32 v[4:5], v[4:5], v[82:83], v[14:15] op_sel:[0,0,1] op_sel_hi:[1,0,0]
	v_mov_b32_e32 v4, v81
	v_mov_b32_e32 v19, v5
	s_waitcnt lgkmcnt(1)
	v_pk_mul_f32 v[4:5], v[8:9], v[4:5] op_sel_hi:[1,0]
	v_pk_fma_f32 v[14:15], v[8:9], v[80:81], v[4:5] op_sel:[0,0,1] op_sel_hi:[1,1,0] neg_lo:[0,0,1] neg_hi:[0,0,1]
	v_pk_fma_f32 v[4:5], v[8:9], v[80:81], v[4:5] op_sel:[0,0,1] op_sel_hi:[1,0,0]
	s_waitcnt vmcnt(1)
	v_mov_b32_e32 v4, v91
	v_mov_b32_e32 v15, v5
	v_pk_mul_f32 v[4:5], v[10:11], v[4:5] op_sel_hi:[1,0]
	s_waitcnt vmcnt(0)
	v_pk_fma_f32 v[8:9], v[10:11], v[90:91], v[4:5] op_sel:[0,0,1] op_sel_hi:[1,1,0] neg_lo:[0,0,1] neg_hi:[0,0,1]
	v_pk_fma_f32 v[4:5], v[10:11], v[90:91], v[4:5] op_sel:[0,0,1] op_sel_hi:[1,0,0]
	v_pk_add_f32 v[2:3], v[2:3], v[18:19]
	v_mov_b32_e32 v4, v89
	v_pk_add_f32 v[2:3], v[2:3], v[14:15]
	v_mov_b32_e32 v9, v5
	s_waitcnt lgkmcnt(0)
	v_pk_mul_f32 v[4:5], v[12:13], v[4:5] op_sel_hi:[1,0]
	v_pk_add_f32 v[2:3], v[2:3], v[8:9]
	v_pk_fma_f32 v[8:9], v[12:13], v[88:89], v[4:5] op_sel:[0,0,1] op_sel_hi:[1,1,0] neg_lo:[0,0,1] neg_hi:[0,0,1]
	v_pk_fma_f32 v[4:5], v[12:13], v[88:89], v[4:5] op_sel:[0,0,1] op_sel_hi:[1,0,0]
	v_mov_b32_e32 v9, v5
	v_pk_add_f32 v[2:3], v[2:3], v[8:9]
	v_pk_add_f32 v[2:3], v[6:7], v[2:3] neg_lo:[0,1] neg_hi:[0,1]
	buffer_store_dword v3, off, s[0:3], 0 offset:108
	buffer_store_dword v2, off, s[0:3], 0 offset:104
	s_and_saveexec_b64 s[4:5], vcc
	s_cbranch_execz .LBB50_295
; %bb.294:
	buffer_load_dword v2, off, s[0:3], 0 offset:96
	buffer_load_dword v3, off, s[0:3], 0 offset:100
	s_waitcnt vmcnt(0)
	ds_write_b64 v121, v[2:3]
	buffer_store_dword v16, off, s[0:3], 0 offset:96
	buffer_store_dword v16, off, s[0:3], 0 offset:100
.LBB50_295:
	s_or_b64 exec, exec, s[4:5]
	s_waitcnt lgkmcnt(0)
	; wave barrier
	s_waitcnt lgkmcnt(0)
	buffer_load_dword v1, off, s[0:3], 0 offset:108
	buffer_load_dword v17, off, s[0:3], 0 offset:116
	;; [unrolled: 1-line block ×32, first 2 shown]
	ds_read2_b64 v[18:21], v16 offset0:65 offset1:66
	ds_read2_b64 v[6:9], v16 offset0:67 offset1:68
	buffer_load_dword v197, off, s[0:3], 0 offset:224
	buffer_load_dword v198, off, s[0:3], 0 offset:228
	ds_read2_b64 v[10:13], v16 offset0:69 offset1:70
	ds_read2_b64 v[2:5], v16 offset0:71 offset1:72
	buffer_load_dword v199, off, s[0:3], 0 offset:232
	buffer_load_dword v200, off, s[0:3], 0 offset:236
	;; [unrolled: 1-line block ×28, first 2 shown]
	v_cmp_lt_u32_e32 vcc, 11, v0
	s_waitcnt vmcnt(61) lgkmcnt(3)
	v_mul_f32_e32 v22, v18, v1
	s_waitcnt vmcnt(60)
	v_mul_f32_e32 v23, v20, v17
	s_waitcnt vmcnt(59) lgkmcnt(2)
	v_mul_f32_e32 v24, v6, v72
	s_waitcnt vmcnt(58)
	v_mul_f32_e32 v25, v8, v74
	;; [unrolled: 4-line block ×3, first 2 shown]
	s_waitcnt vmcnt(55) lgkmcnt(0)
	v_mul_f32_e32 v28, v2, v93
	s_waitcnt vmcnt(54)
	v_fmac_f32_e32 v22, v19, v94
	s_waitcnt vmcnt(53)
	v_fmac_f32_e32 v23, v21, v95
	v_add_f32_e32 v22, 0, v22
	s_waitcnt vmcnt(52)
	v_fmac_f32_e32 v24, v7, v96
	v_add_f32_e32 v22, v22, v23
	;; [unrolled: 3-line block ×6, first 2 shown]
	v_add_f32_e32 v26, v22, v28
	ds_read2_b64 v[22:25], v16 offset0:73 offset1:74
	s_waitcnt vmcnt(47)
	v_mul_f32_e32 v27, v4, v101
	s_waitcnt vmcnt(46)
	v_fmac_f32_e32 v27, v5, v102
	v_add_f32_e32 v30, v26, v27
	ds_read2_b64 v[26:29], v16 offset0:75 offset1:76
	s_waitcnt vmcnt(45) lgkmcnt(1)
	v_mul_f32_e32 v31, v22, v103
	s_waitcnt vmcnt(44)
	v_fmac_f32_e32 v31, v23, v104
	v_add_f32_e32 v30, v30, v31
	s_waitcnt vmcnt(43)
	v_mul_f32_e32 v31, v24, v105
	s_waitcnt vmcnt(42)
	v_fmac_f32_e32 v31, v25, v106
	v_add_f32_e32 v30, v30, v31
	s_waitcnt vmcnt(41) lgkmcnt(0)
	v_mul_f32_e32 v31, v26, v107
	s_waitcnt vmcnt(40)
	v_fmac_f32_e32 v31, v27, v188
	v_add_f32_e32 v34, v30, v31
	ds_read2_b64 v[30:33], v16 offset0:77 offset1:78
	s_waitcnt vmcnt(39)
	v_mul_f32_e32 v35, v28, v189
	s_waitcnt vmcnt(38)
	v_fmac_f32_e32 v35, v29, v190
	v_add_f32_e32 v38, v34, v35
	ds_read2_b64 v[34:37], v16 offset0:79 offset1:80
	s_waitcnt vmcnt(35) lgkmcnt(1)
	v_mul_f32_e32 v39, v30, v191
	s_waitcnt vmcnt(34)
	v_fmac_f32_e32 v39, v31, v192
	v_add_f32_e32 v38, v38, v39
	s_waitcnt vmcnt(32)
	v_mul_f32_e32 v39, v32, v194
	v_fmac_f32_e32 v39, v33, v193
	v_add_f32_e32 v38, v38, v39
	s_waitcnt vmcnt(30) lgkmcnt(0)
	v_mul_f32_e32 v39, v34, v196
	v_fmac_f32_e32 v39, v35, v195
	v_add_f32_e32 v42, v38, v39
	ds_read2_b64 v[38:41], v16 offset0:81 offset1:82
	s_waitcnt vmcnt(28)
	v_mul_f32_e32 v43, v36, v198
	v_fmac_f32_e32 v43, v37, v197
	v_add_f32_e32 v46, v42, v43
	ds_read2_b64 v[42:45], v16 offset0:83 offset1:84
	s_waitcnt vmcnt(26) lgkmcnt(1)
	v_mul_f32_e32 v47, v38, v200
	v_fmac_f32_e32 v47, v39, v199
	v_add_f32_e32 v46, v46, v47
	s_waitcnt vmcnt(24)
	v_mul_f32_e32 v47, v40, v202
	v_fmac_f32_e32 v47, v41, v201
	v_add_f32_e32 v46, v46, v47
	s_waitcnt vmcnt(22) lgkmcnt(0)
	v_mul_f32_e32 v47, v42, v204
	v_fmac_f32_e32 v47, v43, v203
	v_add_f32_e32 v50, v46, v47
	ds_read2_b64 v[46:49], v16 offset0:85 offset1:86
	s_waitcnt vmcnt(20)
	v_mul_f32_e32 v51, v44, v206
	v_fmac_f32_e32 v51, v45, v205
	v_add_f32_e32 v54, v50, v51
	ds_read2_b64 v[50:53], v16 offset0:87 offset1:88
	s_waitcnt vmcnt(18) lgkmcnt(1)
	v_mul_f32_e32 v55, v46, v208
	v_fmac_f32_e32 v55, v47, v207
	v_add_f32_e32 v54, v54, v55
	s_waitcnt vmcnt(16)
	v_mul_f32_e32 v55, v48, v210
	v_fmac_f32_e32 v55, v49, v209
	v_add_f32_e32 v54, v54, v55
	s_waitcnt vmcnt(14) lgkmcnt(0)
	v_mul_f32_e32 v55, v50, v212
	v_fmac_f32_e32 v55, v51, v211
	v_add_f32_e32 v58, v54, v55
	ds_read2_b64 v[54:57], v16 offset0:89 offset1:90
	s_waitcnt vmcnt(12)
	v_mul_f32_e32 v59, v52, v214
	v_fmac_f32_e32 v59, v53, v213
	v_add_f32_e32 v62, v58, v59
	ds_read2_b64 v[58:61], v16 offset0:91 offset1:92
	buffer_load_dword v71, off, s[0:3], 0 offset:348
	buffer_load_dword v70, off, s[0:3], 0 offset:344
	s_waitcnt vmcnt(12) lgkmcnt(1)
	v_mul_f32_e32 v63, v54, v216
	v_fmac_f32_e32 v63, v55, v215
	v_add_f32_e32 v62, v62, v63
	s_waitcnt vmcnt(10)
	v_mul_f32_e32 v63, v56, v218
	v_fmac_f32_e32 v63, v57, v217
	v_add_f32_e32 v62, v62, v63
	s_waitcnt vmcnt(8) lgkmcnt(0)
	v_mul_f32_e32 v63, v58, v220
	v_fmac_f32_e32 v63, v59, v219
	s_waitcnt vmcnt(6)
	v_mul_f32_e32 v67, v60, v222
	v_add_f32_e32 v66, v62, v63
	v_fmac_f32_e32 v67, v61, v221
	ds_read2_b64 v[62:65], v16 offset0:93 offset1:94
	v_add_f32_e32 v73, v66, v67
	ds_read2_b64 v[66:69], v16 offset0:95 offset1:96
	buffer_load_dword v79, off, s[0:3], 0 offset:380
	buffer_load_dword v78, off, s[0:3], 0 offset:376
	;; [unrolled: 1-line block ×14, first 2 shown]
	v_mul_f32_e32 v1, v19, v1
	v_fma_f32 v1, v18, v94, -v1
	v_mul_f32_e32 v17, v21, v17
	v_add_f32_e32 v1, 0, v1
	v_fma_f32 v17, v20, v95, -v17
	v_mul_f32_e32 v7, v7, v72
	v_add_f32_e32 v1, v1, v17
	v_fma_f32 v6, v6, v96, -v7
	v_add_f32_e32 v1, v1, v6
	v_mul_f32_e32 v6, v9, v74
	v_fma_f32 v6, v8, v97, -v6
	v_add_f32_e32 v1, v1, v6
	v_mul_f32_e32 v6, v11, v76
	;; [unrolled: 3-line block ×3, first 2 shown]
	v_fma_f32 v6, v12, v99, -v6
	v_mul_f32_e32 v3, v3, v93
	v_add_f32_e32 v1, v1, v6
	v_fma_f32 v2, v2, v100, -v3
	v_add_f32_e32 v1, v1, v2
	v_mul_f32_e32 v2, v5, v101
	v_fma_f32 v2, v4, v102, -v2
	v_add_f32_e32 v1, v1, v2
	v_mul_f32_e32 v2, v23, v103
	;; [unrolled: 3-line block ×21, first 2 shown]
	v_fma_f32 v2, v60, v221, -v2
	s_waitcnt vmcnt(15)
	v_mov_b32_e32 v18, v71
	s_waitcnt lgkmcnt(1)
	v_mul_f32_e32 v75, v62, v224
	v_add_f32_e32 v72, v1, v2
	v_mul_f32_e32 v1, v63, v224
	s_waitcnt lgkmcnt(0)
	v_pk_mul_f32 v[18:19], v[66:67], v[18:19] op_sel_hi:[1,0]
	v_fmac_f32_e32 v75, v63, v223
	v_mul_f32_e32 v77, v64, v226
	v_fma_f32 v74, v62, v223, -v1
	v_mul_f32_e32 v1, v65, v226
	s_waitcnt vmcnt(14)
	v_pk_fma_f32 v[20:21], v[66:67], v[70:71], v[18:19] op_sel:[0,0,1] op_sel_hi:[1,1,0] neg_lo:[0,0,1] neg_hi:[0,0,1]
	v_pk_fma_f32 v[18:19], v[66:67], v[70:71], v[18:19] op_sel:[0,0,1] op_sel_hi:[1,0,0]
	v_fmac_f32_e32 v77, v65, v225
	v_fma_f32 v76, v64, v225, -v1
	ds_read2_b64 v[2:5], v16 offset0:97 offset1:98
	ds_read2_b64 v[6:9], v16 offset0:99 offset1:100
	;; [unrolled: 1-line block ×3, first 2 shown]
	v_pk_add_f32 v[16:17], v[72:73], v[74:75]
	s_waitcnt vmcnt(7)
	v_mov_b32_e32 v18, v85
	v_pk_add_f32 v[16:17], v[16:17], v[76:77]
	v_mov_b32_e32 v21, v19
	v_pk_mul_f32 v[18:19], v[68:69], v[18:19] op_sel_hi:[1,0]
	v_pk_add_f32 v[16:17], v[16:17], v[20:21]
	s_waitcnt vmcnt(6)
	v_pk_fma_f32 v[20:21], v[68:69], v[84:85], v[18:19] op_sel:[0,0,1] op_sel_hi:[1,1,0] neg_lo:[0,0,1] neg_hi:[0,0,1]
	v_pk_fma_f32 v[18:19], v[68:69], v[84:85], v[18:19] op_sel:[0,0,1] op_sel_hi:[1,0,0]
	v_mov_b32_e32 v18, v83
	v_mov_b32_e32 v21, v19
	s_waitcnt lgkmcnt(2)
	v_pk_mul_f32 v[18:19], v[2:3], v[18:19] op_sel_hi:[1,0]
	v_pk_add_f32 v[16:17], v[16:17], v[20:21]
	v_pk_fma_f32 v[20:21], v[2:3], v[82:83], v[18:19] op_sel:[0,0,1] op_sel_hi:[1,1,0] neg_lo:[0,0,1] neg_hi:[0,0,1]
	v_pk_fma_f32 v[2:3], v[2:3], v[82:83], v[18:19] op_sel:[0,0,1] op_sel_hi:[1,0,0]
	v_mov_b32_e32 v21, v3
	v_pk_add_f32 v[2:3], v[16:17], v[20:21]
	v_mov_b32_e32 v16, v81
	v_pk_mul_f32 v[16:17], v[4:5], v[16:17] op_sel_hi:[1,0]
	v_pk_fma_f32 v[18:19], v[4:5], v[80:81], v[16:17] op_sel:[0,0,1] op_sel_hi:[1,1,0] neg_lo:[0,0,1] neg_hi:[0,0,1]
	v_pk_fma_f32 v[4:5], v[4:5], v[80:81], v[16:17] op_sel:[0,0,1] op_sel_hi:[1,0,0]
	v_mov_b32_e32 v4, v79
	v_mov_b32_e32 v19, v5
	s_waitcnt lgkmcnt(1)
	v_pk_mul_f32 v[4:5], v[6:7], v[4:5] op_sel_hi:[1,0]
	v_pk_fma_f32 v[16:17], v[6:7], v[78:79], v[4:5] op_sel:[0,0,1] op_sel_hi:[1,1,0] neg_lo:[0,0,1] neg_hi:[0,0,1]
	v_pk_fma_f32 v[4:5], v[6:7], v[78:79], v[4:5] op_sel:[0,0,1] op_sel_hi:[1,0,0]
	s_waitcnt vmcnt(1)
	v_mov_b32_e32 v4, v91
	v_mov_b32_e32 v17, v5
	v_pk_mul_f32 v[4:5], v[8:9], v[4:5] op_sel_hi:[1,0]
	s_waitcnt vmcnt(0)
	v_pk_fma_f32 v[6:7], v[8:9], v[90:91], v[4:5] op_sel:[0,0,1] op_sel_hi:[1,1,0] neg_lo:[0,0,1] neg_hi:[0,0,1]
	v_pk_fma_f32 v[4:5], v[8:9], v[90:91], v[4:5] op_sel:[0,0,1] op_sel_hi:[1,0,0]
	v_pk_add_f32 v[2:3], v[2:3], v[18:19]
	v_mov_b32_e32 v4, v89
	v_pk_add_f32 v[2:3], v[2:3], v[16:17]
	v_mov_b32_e32 v7, v5
	s_waitcnt lgkmcnt(0)
	v_pk_mul_f32 v[4:5], v[10:11], v[4:5] op_sel_hi:[1,0]
	v_pk_add_f32 v[2:3], v[2:3], v[6:7]
	v_pk_fma_f32 v[6:7], v[10:11], v[88:89], v[4:5] op_sel:[0,0,1] op_sel_hi:[1,1,0] neg_lo:[0,0,1] neg_hi:[0,0,1]
	v_pk_fma_f32 v[4:5], v[10:11], v[88:89], v[4:5] op_sel:[0,0,1] op_sel_hi:[1,0,0]
	v_mov_b32_e32 v4, v87
	v_mov_b32_e32 v7, v5
	v_pk_mul_f32 v[4:5], v[12:13], v[4:5] op_sel_hi:[1,0]
	v_pk_add_f32 v[2:3], v[2:3], v[6:7]
	v_pk_fma_f32 v[6:7], v[12:13], v[86:87], v[4:5] op_sel:[0,0,1] op_sel_hi:[1,1,0] neg_lo:[0,0,1] neg_hi:[0,0,1]
	v_pk_fma_f32 v[4:5], v[12:13], v[86:87], v[4:5] op_sel:[0,0,1] op_sel_hi:[1,0,0]
	v_mov_b32_e32 v7, v5
	v_pk_add_f32 v[2:3], v[2:3], v[6:7]
	v_pk_add_f32 v[2:3], v[14:15], v[2:3] neg_lo:[0,1] neg_hi:[0,1]
	buffer_store_dword v3, off, s[0:3], 0 offset:100
	buffer_store_dword v2, off, s[0:3], 0 offset:96
	s_and_saveexec_b64 s[4:5], vcc
	s_cbranch_execz .LBB50_297
; %bb.296:
	buffer_load_dword v2, off, s[0:3], 0 offset:88
	buffer_load_dword v3, off, s[0:3], 0 offset:92
	v_mov_b32_e32 v1, 0
	buffer_store_dword v1, off, s[0:3], 0 offset:88
	buffer_store_dword v1, off, s[0:3], 0 offset:92
	s_waitcnt vmcnt(2)
	ds_write_b64 v121, v[2:3]
.LBB50_297:
	s_or_b64 exec, exec, s[4:5]
	s_waitcnt lgkmcnt(0)
	; wave barrier
	s_waitcnt lgkmcnt(0)
	buffer_load_dword v1, off, s[0:3], 0 offset:100
	buffer_load_dword v21, off, s[0:3], 0 offset:108
	;; [unrolled: 1-line block ×48, first 2 shown]
	v_mov_b32_e32 v20, 0
	ds_read_b128 v[4:7], v20 offset:512
	buffer_load_dword v213, off, s[0:3], 0 offset:280
	buffer_load_dword v214, off, s[0:3], 0 offset:284
	;; [unrolled: 1-line block ×8, first 2 shown]
	ds_read_b128 v[8:11], v20 offset:528
	ds_read_b128 v[12:15], v20 offset:544
	;; [unrolled: 1-line block ×3, first 2 shown]
	buffer_load_dword v221, off, s[0:3], 0 offset:312
	buffer_load_dword v222, off, s[0:3], 0 offset:316
	;; [unrolled: 1-line block ×8, first 2 shown]
	v_cmp_lt_u32_e32 vcc, 10, v0
	s_waitcnt vmcnt(62) lgkmcnt(3)
	v_mul_f32_e32 v22, v4, v1
	v_mul_f32_e32 v23, v6, v21
	s_waitcnt vmcnt(61) lgkmcnt(2)
	v_mul_f32_e32 v24, v8, v70
	s_waitcnt vmcnt(60)
	v_mul_f32_e32 v25, v10, v72
	s_waitcnt vmcnt(59) lgkmcnt(1)
	v_mul_f32_e32 v26, v12, v74
	s_waitcnt vmcnt(58)
	;; [unrolled: 4-line block ×3, first 2 shown]
	v_fmac_f32_e32 v22, v5, v94
	s_waitcnt vmcnt(55)
	v_fmac_f32_e32 v23, v7, v95
	v_add_f32_e32 v22, 0, v22
	s_waitcnt vmcnt(54)
	v_fmac_f32_e32 v24, v9, v96
	v_add_f32_e32 v22, v22, v23
	;; [unrolled: 3-line block ×6, first 2 shown]
	v_add_f32_e32 v26, v22, v28
	ds_read_b128 v[22:25], v20 offset:576
	s_waitcnt vmcnt(49)
	v_mul_f32_e32 v27, v18, v101
	s_waitcnt vmcnt(48)
	v_fmac_f32_e32 v27, v19, v102
	v_add_f32_e32 v30, v26, v27
	ds_read_b128 v[26:29], v20 offset:592
	s_waitcnt vmcnt(47) lgkmcnt(1)
	v_mul_f32_e32 v31, v22, v103
	s_waitcnt vmcnt(46)
	v_fmac_f32_e32 v31, v23, v104
	v_add_f32_e32 v30, v30, v31
	s_waitcnt vmcnt(45)
	v_mul_f32_e32 v31, v24, v105
	s_waitcnt vmcnt(44)
	v_fmac_f32_e32 v31, v25, v106
	v_add_f32_e32 v30, v30, v31
	s_waitcnt vmcnt(42) lgkmcnt(0)
	v_mul_f32_e32 v31, v26, v188
	v_fmac_f32_e32 v31, v27, v107
	v_add_f32_e32 v34, v30, v31
	ds_read_b128 v[30:33], v20 offset:608
	s_waitcnt vmcnt(38)
	v_mul_f32_e32 v35, v28, v190
	v_fmac_f32_e32 v35, v29, v189
	v_add_f32_e32 v38, v34, v35
	ds_read_b128 v[34:37], v20 offset:624
	s_waitcnt vmcnt(36) lgkmcnt(1)
	v_mul_f32_e32 v39, v30, v192
	v_fmac_f32_e32 v39, v31, v191
	v_add_f32_e32 v38, v38, v39
	s_waitcnt vmcnt(34)
	v_mul_f32_e32 v39, v32, v194
	v_fmac_f32_e32 v39, v33, v193
	v_add_f32_e32 v38, v38, v39
	s_waitcnt vmcnt(32) lgkmcnt(0)
	v_mul_f32_e32 v39, v34, v196
	v_fmac_f32_e32 v39, v35, v195
	v_add_f32_e32 v42, v38, v39
	ds_read_b128 v[38:41], v20 offset:640
	s_waitcnt vmcnt(30)
	v_mul_f32_e32 v43, v36, v198
	v_fmac_f32_e32 v43, v37, v197
	v_add_f32_e32 v46, v42, v43
	ds_read_b128 v[42:45], v20 offset:656
	s_waitcnt vmcnt(28) lgkmcnt(1)
	v_mul_f32_e32 v47, v38, v200
	v_fmac_f32_e32 v47, v39, v199
	v_add_f32_e32 v46, v46, v47
	s_waitcnt vmcnt(26)
	v_mul_f32_e32 v47, v40, v202
	;; [unrolled: 18-line block ×4, first 2 shown]
	v_fmac_f32_e32 v63, v57, v217
	v_add_f32_e32 v62, v62, v63
	s_waitcnt vmcnt(8) lgkmcnt(0)
	v_mul_f32_e32 v63, v58, v220
	v_fmac_f32_e32 v63, v59, v219
	s_waitcnt vmcnt(6)
	v_mul_f32_e32 v67, v60, v222
	v_add_f32_e32 v66, v62, v63
	v_fmac_f32_e32 v67, v61, v221
	ds_read_b128 v[62:65], v20 offset:736
	v_add_f32_e32 v71, v66, v67
	ds_read_b128 v[66:69], v20 offset:752
	buffer_load_dword v77, off, s[0:3], 0 offset:372
	buffer_load_dword v76, off, s[0:3], 0 offset:368
	;; [unrolled: 1-line block ×16, first 2 shown]
	v_mul_f32_e32 v1, v5, v1
	v_fma_f32 v1, v4, v94, -v1
	v_mul_f32_e32 v4, v7, v21
	v_add_f32_e32 v1, 0, v1
	v_fma_f32 v4, v6, v95, -v4
	v_add_f32_e32 v1, v1, v4
	v_mul_f32_e32 v4, v9, v70
	v_fma_f32 v4, v8, v96, -v4
	v_add_f32_e32 v1, v1, v4
	v_mul_f32_e32 v4, v11, v72
	;; [unrolled: 3-line block ×26, first 2 shown]
	v_fma_f32 v4, v60, v221, -v4
	s_waitcnt vmcnt(20) lgkmcnt(1)
	v_mul_f32_e32 v73, v62, v224
	v_add_f32_e32 v1, v1, v4
	v_mul_f32_e32 v4, v63, v224
	v_fmac_f32_e32 v73, v63, v223
	v_fma_f32 v4, v62, v223, -v4
	s_waitcnt vmcnt(9)
	v_mov_b32_e32 v22, v83
	v_add_f32_e32 v71, v71, v73
	v_mul_f32_e32 v73, v64, v226
	v_add_f32_e32 v70, v1, v4
	v_mul_f32_e32 v1, v65, v226
	s_waitcnt lgkmcnt(0)
	v_pk_mul_f32 v[22:23], v[68:69], v[22:23] op_sel_hi:[1,0]
	v_fmac_f32_e32 v73, v65, v225
	v_mul_f32_e32 v75, v66, v228
	v_fma_f32 v72, v64, v225, -v1
	v_mul_f32_e32 v1, v67, v228
	ds_read_b128 v[4:7], v20 offset:768
	ds_read_b128 v[8:11], v20 offset:784
	;; [unrolled: 1-line block ×3, first 2 shown]
	ds_read_b64 v[16:17], v20 offset:816
	s_waitcnt vmcnt(8)
	v_pk_fma_f32 v[24:25], v[68:69], v[82:83], v[22:23] op_sel:[0,0,1] op_sel_hi:[1,1,0] neg_lo:[0,0,1] neg_hi:[0,0,1]
	v_pk_fma_f32 v[22:23], v[68:69], v[82:83], v[22:23] op_sel:[0,0,1] op_sel_hi:[1,0,0]
	v_fmac_f32_e32 v75, v67, v227
	v_fma_f32 v74, v66, v227, -v1
	v_pk_add_f32 v[18:19], v[70:71], v[72:73]
	v_mov_b32_e32 v22, v81
	v_pk_add_f32 v[18:19], v[18:19], v[74:75]
	v_mov_b32_e32 v25, v23
	s_waitcnt lgkmcnt(3)
	v_pk_mul_f32 v[22:23], v[4:5], v[22:23] op_sel_hi:[1,0]
	v_pk_add_f32 v[18:19], v[18:19], v[24:25]
	v_pk_fma_f32 v[24:25], v[4:5], v[80:81], v[22:23] op_sel:[0,0,1] op_sel_hi:[1,1,0] neg_lo:[0,0,1] neg_hi:[0,0,1]
	v_pk_fma_f32 v[4:5], v[4:5], v[80:81], v[22:23] op_sel:[0,0,1] op_sel_hi:[1,0,0]
	v_mov_b32_e32 v25, v5
	v_pk_add_f32 v[4:5], v[18:19], v[24:25]
	v_mov_b32_e32 v18, v79
	v_pk_mul_f32 v[18:19], v[6:7], v[18:19] op_sel_hi:[1,0]
	v_pk_fma_f32 v[22:23], v[6:7], v[78:79], v[18:19] op_sel:[0,0,1] op_sel_hi:[1,1,0] neg_lo:[0,0,1] neg_hi:[0,0,1]
	v_pk_fma_f32 v[6:7], v[6:7], v[78:79], v[18:19] op_sel:[0,0,1] op_sel_hi:[1,0,0]
	v_mov_b32_e32 v6, v77
	v_mov_b32_e32 v23, v7
	s_waitcnt lgkmcnt(2)
	v_pk_mul_f32 v[6:7], v[8:9], v[6:7] op_sel_hi:[1,0]
	v_pk_fma_f32 v[18:19], v[8:9], v[76:77], v[6:7] op_sel:[0,0,1] op_sel_hi:[1,1,0] neg_lo:[0,0,1] neg_hi:[0,0,1]
	v_pk_fma_f32 v[6:7], v[8:9], v[76:77], v[6:7] op_sel:[0,0,1] op_sel_hi:[1,0,0]
	s_waitcnt vmcnt(1)
	v_mov_b32_e32 v6, v91
	v_mov_b32_e32 v19, v7
	v_pk_mul_f32 v[6:7], v[10:11], v[6:7] op_sel_hi:[1,0]
	s_waitcnt vmcnt(0)
	v_pk_fma_f32 v[8:9], v[10:11], v[90:91], v[6:7] op_sel:[0,0,1] op_sel_hi:[1,1,0] neg_lo:[0,0,1] neg_hi:[0,0,1]
	v_pk_fma_f32 v[6:7], v[10:11], v[90:91], v[6:7] op_sel:[0,0,1] op_sel_hi:[1,0,0]
	v_pk_add_f32 v[4:5], v[4:5], v[22:23]
	v_mov_b32_e32 v6, v89
	v_pk_add_f32 v[4:5], v[4:5], v[18:19]
	v_mov_b32_e32 v9, v7
	s_waitcnt lgkmcnt(1)
	v_pk_mul_f32 v[6:7], v[12:13], v[6:7] op_sel_hi:[1,0]
	v_pk_add_f32 v[4:5], v[4:5], v[8:9]
	v_pk_fma_f32 v[8:9], v[12:13], v[88:89], v[6:7] op_sel:[0,0,1] op_sel_hi:[1,1,0] neg_lo:[0,0,1] neg_hi:[0,0,1]
	v_pk_fma_f32 v[6:7], v[12:13], v[88:89], v[6:7] op_sel:[0,0,1] op_sel_hi:[1,0,0]
	v_mov_b32_e32 v6, v87
	v_mov_b32_e32 v9, v7
	v_pk_mul_f32 v[6:7], v[14:15], v[6:7] op_sel_hi:[1,0]
	v_pk_add_f32 v[4:5], v[4:5], v[8:9]
	v_pk_fma_f32 v[8:9], v[14:15], v[86:87], v[6:7] op_sel:[0,0,1] op_sel_hi:[1,1,0] neg_lo:[0,0,1] neg_hi:[0,0,1]
	v_pk_fma_f32 v[6:7], v[14:15], v[86:87], v[6:7] op_sel:[0,0,1] op_sel_hi:[1,0,0]
	v_mov_b32_e32 v6, v85
	v_mov_b32_e32 v9, v7
	s_waitcnt lgkmcnt(0)
	v_pk_mul_f32 v[6:7], v[16:17], v[6:7] op_sel_hi:[1,0]
	v_pk_add_f32 v[4:5], v[4:5], v[8:9]
	v_pk_fma_f32 v[8:9], v[16:17], v[84:85], v[6:7] op_sel:[0,0,1] op_sel_hi:[1,1,0] neg_lo:[0,0,1] neg_hi:[0,0,1]
	v_pk_fma_f32 v[6:7], v[16:17], v[84:85], v[6:7] op_sel:[0,0,1] op_sel_hi:[1,0,0]
	v_mov_b32_e32 v9, v7
	v_pk_add_f32 v[4:5], v[4:5], v[8:9]
	v_pk_add_f32 v[2:3], v[2:3], v[4:5] neg_lo:[0,1] neg_hi:[0,1]
	buffer_store_dword v3, off, s[0:3], 0 offset:92
	buffer_store_dword v2, off, s[0:3], 0 offset:88
	s_and_saveexec_b64 s[4:5], vcc
	s_cbranch_execz .LBB50_299
; %bb.298:
	buffer_load_dword v2, off, s[0:3], 0 offset:80
	buffer_load_dword v3, off, s[0:3], 0 offset:84
	s_waitcnt vmcnt(0)
	ds_write_b64 v121, v[2:3]
	buffer_store_dword v20, off, s[0:3], 0 offset:80
	buffer_store_dword v20, off, s[0:3], 0 offset:84
.LBB50_299:
	s_or_b64 exec, exec, s[4:5]
	s_waitcnt lgkmcnt(0)
	; wave barrier
	s_waitcnt lgkmcnt(0)
	buffer_load_dword v1, off, s[0:3], 0 offset:92
	buffer_load_dword v21, off, s[0:3], 0 offset:100
	;; [unrolled: 1-line block ×26, first 2 shown]
	ds_read2_b64 v[14:17], v20 offset0:63 offset1:64
	ds_read2_b64 v[6:9], v20 offset0:65 offset1:66
	buffer_load_dword v191, off, s[0:3], 0 offset:184
	buffer_load_dword v192, off, s[0:3], 0 offset:188
	ds_read2_b64 v[10:13], v20 offset0:67 offset1:68
	ds_read2_b64 v[2:5], v20 offset0:69 offset1:70
	buffer_load_dword v193, off, s[0:3], 0 offset:192
	buffer_load_dword v194, off, s[0:3], 0 offset:196
	buffer_load_dword v195, off, s[0:3], 0 offset:200
	buffer_load_dword v196, off, s[0:3], 0 offset:204
	buffer_load_dword v197, off, s[0:3], 0 offset:208
	buffer_load_dword v198, off, s[0:3], 0 offset:212
	buffer_load_dword v199, off, s[0:3], 0 offset:216
	buffer_load_dword v200, off, s[0:3], 0 offset:220
	buffer_load_dword v201, off, s[0:3], 0 offset:224
	buffer_load_dword v202, off, s[0:3], 0 offset:228
	buffer_load_dword v203, off, s[0:3], 0 offset:232
	buffer_load_dword v204, off, s[0:3], 0 offset:236
	buffer_load_dword v205, off, s[0:3], 0 offset:240
	buffer_load_dword v206, off, s[0:3], 0 offset:244
	buffer_load_dword v207, off, s[0:3], 0 offset:248
	buffer_load_dword v208, off, s[0:3], 0 offset:252
	buffer_load_dword v209, off, s[0:3], 0 offset:256
	buffer_load_dword v210, off, s[0:3], 0 offset:260
	buffer_load_dword v211, off, s[0:3], 0 offset:264
	buffer_load_dword v212, off, s[0:3], 0 offset:268
	buffer_load_dword v213, off, s[0:3], 0 offset:272
	buffer_load_dword v214, off, s[0:3], 0 offset:276
	buffer_load_dword v215, off, s[0:3], 0 offset:280
	buffer_load_dword v216, off, s[0:3], 0 offset:284
	buffer_load_dword v217, off, s[0:3], 0 offset:288
	buffer_load_dword v218, off, s[0:3], 0 offset:292
	buffer_load_dword v219, off, s[0:3], 0 offset:296
	buffer_load_dword v220, off, s[0:3], 0 offset:300
	buffer_load_dword v221, off, s[0:3], 0 offset:304
	buffer_load_dword v222, off, s[0:3], 0 offset:308
	buffer_load_dword v223, off, s[0:3], 0 offset:312
	buffer_load_dword v224, off, s[0:3], 0 offset:316
	v_cmp_lt_u32_e32 vcc, 9, v0
	s_waitcnt vmcnt(59) lgkmcnt(3)
	v_mul_f32_e32 v22, v14, v1
	s_waitcnt vmcnt(58)
	v_mul_f32_e32 v23, v16, v21
	s_waitcnt vmcnt(57) lgkmcnt(2)
	v_mul_f32_e32 v24, v6, v70
	s_waitcnt vmcnt(56)
	v_mul_f32_e32 v25, v8, v72
	;; [unrolled: 4-line block ×4, first 2 shown]
	s_waitcnt vmcnt(51)
	v_fmac_f32_e32 v22, v15, v95
	s_waitcnt vmcnt(50)
	v_fmac_f32_e32 v23, v17, v96
	v_add_f32_e32 v22, 0, v22
	s_waitcnt vmcnt(49)
	v_fmac_f32_e32 v24, v7, v97
	v_add_f32_e32 v22, v22, v23
	;; [unrolled: 3-line block ×6, first 2 shown]
	v_add_f32_e32 v26, v22, v28
	ds_read2_b64 v[22:25], v20 offset0:71 offset1:72
	s_waitcnt vmcnt(44)
	v_fmac_f32_e32 v29, v5, v102
	buffer_load_dword v225, off, s[0:3], 0 offset:320
	buffer_load_dword v226, off, s[0:3], 0 offset:324
	v_add_f32_e32 v30, v26, v29
	buffer_load_dword v227, off, s[0:3], 0 offset:328
	buffer_load_dword v228, off, s[0:3], 0 offset:332
	ds_read2_b64 v[26:29], v20 offset0:73 offset1:74
	s_waitcnt vmcnt(47) lgkmcnt(1)
	v_mul_f32_e32 v31, v22, v103
	s_waitcnt vmcnt(46)
	v_fmac_f32_e32 v31, v23, v104
	v_add_f32_e32 v30, v30, v31
	s_waitcnt vmcnt(45)
	v_mul_f32_e32 v31, v24, v105
	s_waitcnt vmcnt(44)
	v_fmac_f32_e32 v31, v25, v106
	v_add_f32_e32 v30, v30, v31
	s_waitcnt vmcnt(41) lgkmcnt(0)
	v_mul_f32_e32 v31, v26, v107
	s_waitcnt vmcnt(40)
	v_fmac_f32_e32 v31, v27, v188
	buffer_load_dword v229, off, s[0:3], 0 offset:336
	buffer_load_dword v230, off, s[0:3], 0 offset:340
	v_add_f32_e32 v34, v30, v31
	ds_read2_b64 v[30:33], v20 offset0:75 offset1:76
	s_waitcnt vmcnt(40)
	v_mul_f32_e32 v35, v28, v190
	v_fmac_f32_e32 v35, v29, v189
	v_add_f32_e32 v38, v34, v35
	ds_read2_b64 v[34:37], v20 offset0:77 offset1:78
	s_waitcnt vmcnt(38) lgkmcnt(1)
	v_mul_f32_e32 v39, v30, v192
	v_fmac_f32_e32 v39, v31, v191
	v_add_f32_e32 v38, v38, v39
	s_waitcnt vmcnt(36)
	v_mul_f32_e32 v39, v32, v194
	v_fmac_f32_e32 v39, v33, v193
	v_add_f32_e32 v38, v38, v39
	s_waitcnt vmcnt(34) lgkmcnt(0)
	v_mul_f32_e32 v39, v34, v196
	v_fmac_f32_e32 v39, v35, v195
	v_add_f32_e32 v42, v38, v39
	ds_read2_b64 v[38:41], v20 offset0:79 offset1:80
	s_waitcnt vmcnt(32)
	v_mul_f32_e32 v43, v36, v198
	v_fmac_f32_e32 v43, v37, v197
	v_add_f32_e32 v46, v42, v43
	ds_read2_b64 v[42:45], v20 offset0:81 offset1:82
	s_waitcnt vmcnt(30) lgkmcnt(1)
	v_mul_f32_e32 v47, v38, v200
	v_fmac_f32_e32 v47, v39, v199
	v_add_f32_e32 v46, v46, v47
	s_waitcnt vmcnt(28)
	v_mul_f32_e32 v47, v40, v202
	v_fmac_f32_e32 v47, v41, v201
	v_add_f32_e32 v46, v46, v47
	s_waitcnt vmcnt(26) lgkmcnt(0)
	v_mul_f32_e32 v47, v42, v204
	v_fmac_f32_e32 v47, v43, v203
	;; [unrolled: 18-line block ×4, first 2 shown]
	s_waitcnt vmcnt(8)
	v_mul_f32_e32 v67, v60, v222
	v_add_f32_e32 v66, v62, v63
	v_fmac_f32_e32 v67, v61, v221
	ds_read2_b64 v[62:65], v20 offset0:91 offset1:92
	v_add_f32_e32 v71, v66, v67
	ds_read2_b64 v[66:69], v20 offset0:93 offset1:94
	buffer_load_dword v75, off, s[0:3], 0 offset:364
	buffer_load_dword v74, off, s[0:3], 0 offset:360
	;; [unrolled: 1-line block ×16, first 2 shown]
	v_mul_f32_e32 v1, v15, v1
	v_fma_f32 v1, v14, v95, -v1
	v_mul_f32_e32 v14, v17, v21
	v_add_f32_e32 v1, 0, v1
	v_fma_f32 v14, v16, v96, -v14
	v_mul_f32_e32 v7, v7, v70
	v_add_f32_e32 v1, v1, v14
	v_fma_f32 v6, v6, v97, -v7
	v_add_f32_e32 v1, v1, v6
	v_mul_f32_e32 v6, v9, v72
	v_fma_f32 v6, v8, v98, -v6
	v_add_f32_e32 v1, v1, v6
	v_mul_f32_e32 v6, v11, v80
	;; [unrolled: 3-line block ×3, first 2 shown]
	v_fma_f32 v6, v12, v100, -v6
	v_mul_f32_e32 v3, v3, v93
	v_add_f32_e32 v1, v1, v6
	v_fma_f32 v2, v2, v101, -v3
	v_add_f32_e32 v1, v1, v2
	v_mul_f32_e32 v2, v5, v94
	v_fma_f32 v2, v4, v102, -v2
	v_add_f32_e32 v1, v1, v2
	v_mul_f32_e32 v2, v23, v103
	;; [unrolled: 3-line block ×21, first 2 shown]
	v_fma_f32 v2, v60, v221, -v2
	v_add_f32_e32 v1, v1, v2
	s_waitcnt vmcnt(22) lgkmcnt(1)
	v_mul_f32_e32 v2, v63, v224
	v_mul_f32_e32 v73, v62, v224
	v_fma_f32 v2, v62, v223, -v2
	v_fmac_f32_e32 v73, v63, v223
	v_add_f32_e32 v1, v1, v2
	s_waitcnt vmcnt(20)
	v_mul_f32_e32 v2, v65, v226
	v_add_f32_e32 v71, v71, v73
	v_mul_f32_e32 v73, v64, v226
	v_fma_f32 v2, v64, v225, -v2
	v_fmac_f32_e32 v73, v65, v225
	v_add_f32_e32 v70, v1, v2
	ds_read2_b64 v[2:5], v20 offset0:95 offset1:96
	ds_read2_b64 v[6:9], v20 offset0:97 offset1:98
	;; [unrolled: 1-line block ×4, first 2 shown]
	v_add_f32_e32 v71, v71, v73
	s_waitcnt vmcnt(18) lgkmcnt(4)
	v_mul_f32_e32 v73, v66, v228
	v_mul_f32_e32 v1, v67, v228
	s_waitcnt vmcnt(11)
	v_mov_b32_e32 v22, v79
	v_fmac_f32_e32 v73, v67, v227
	v_mul_f32_e32 v81, v68, v230
	v_fma_f32 v72, v66, v227, -v1
	v_mul_f32_e32 v1, v69, v230
	s_waitcnt lgkmcnt(3)
	v_pk_mul_f32 v[22:23], v[2:3], v[22:23] op_sel_hi:[1,0]
	v_fmac_f32_e32 v81, v69, v229
	v_fma_f32 v80, v68, v229, -v1
	v_pk_add_f32 v[20:21], v[70:71], v[72:73]
	s_waitcnt vmcnt(10)
	v_pk_fma_f32 v[24:25], v[2:3], v[78:79], v[22:23] op_sel:[0,0,1] op_sel_hi:[1,1,0] neg_lo:[0,0,1] neg_hi:[0,0,1]
	v_pk_fma_f32 v[2:3], v[2:3], v[78:79], v[22:23] op_sel:[0,0,1] op_sel_hi:[1,0,0]
	v_pk_add_f32 v[20:21], v[20:21], v[80:81]
	v_mov_b32_e32 v25, v3
	v_pk_add_f32 v[2:3], v[20:21], v[24:25]
	v_mov_b32_e32 v20, v77
	v_pk_mul_f32 v[20:21], v[4:5], v[20:21] op_sel_hi:[1,0]
	v_pk_fma_f32 v[22:23], v[4:5], v[76:77], v[20:21] op_sel:[0,0,1] op_sel_hi:[1,1,0] neg_lo:[0,0,1] neg_hi:[0,0,1]
	v_pk_fma_f32 v[4:5], v[4:5], v[76:77], v[20:21] op_sel:[0,0,1] op_sel_hi:[1,0,0]
	v_mov_b32_e32 v4, v75
	v_mov_b32_e32 v23, v5
	s_waitcnt lgkmcnt(2)
	v_pk_mul_f32 v[4:5], v[6:7], v[4:5] op_sel_hi:[1,0]
	v_pk_fma_f32 v[20:21], v[6:7], v[74:75], v[4:5] op_sel:[0,0,1] op_sel_hi:[1,1,0] neg_lo:[0,0,1] neg_hi:[0,0,1]
	v_pk_fma_f32 v[4:5], v[6:7], v[74:75], v[4:5] op_sel:[0,0,1] op_sel_hi:[1,0,0]
	s_waitcnt vmcnt(3)
	v_mov_b32_e32 v4, v89
	v_mov_b32_e32 v21, v5
	v_pk_mul_f32 v[4:5], v[8:9], v[4:5] op_sel_hi:[1,0]
	s_waitcnt vmcnt(2)
	v_pk_fma_f32 v[6:7], v[8:9], v[88:89], v[4:5] op_sel:[0,0,1] op_sel_hi:[1,1,0] neg_lo:[0,0,1] neg_hi:[0,0,1]
	v_pk_fma_f32 v[4:5], v[8:9], v[88:89], v[4:5] op_sel:[0,0,1] op_sel_hi:[1,0,0]
	v_pk_add_f32 v[2:3], v[2:3], v[22:23]
	v_mov_b32_e32 v4, v87
	v_pk_add_f32 v[2:3], v[2:3], v[20:21]
	v_mov_b32_e32 v7, v5
	s_waitcnt lgkmcnt(1)
	v_pk_mul_f32 v[4:5], v[10:11], v[4:5] op_sel_hi:[1,0]
	v_pk_add_f32 v[2:3], v[2:3], v[6:7]
	v_pk_fma_f32 v[6:7], v[10:11], v[86:87], v[4:5] op_sel:[0,0,1] op_sel_hi:[1,1,0] neg_lo:[0,0,1] neg_hi:[0,0,1]
	v_pk_fma_f32 v[4:5], v[10:11], v[86:87], v[4:5] op_sel:[0,0,1] op_sel_hi:[1,0,0]
	v_mov_b32_e32 v4, v85
	v_mov_b32_e32 v7, v5
	v_pk_mul_f32 v[4:5], v[12:13], v[4:5] op_sel_hi:[1,0]
	v_pk_add_f32 v[2:3], v[2:3], v[6:7]
	v_pk_fma_f32 v[6:7], v[12:13], v[84:85], v[4:5] op_sel:[0,0,1] op_sel_hi:[1,1,0] neg_lo:[0,0,1] neg_hi:[0,0,1]
	v_pk_fma_f32 v[4:5], v[12:13], v[84:85], v[4:5] op_sel:[0,0,1] op_sel_hi:[1,0,0]
	v_mov_b32_e32 v4, v83
	v_mov_b32_e32 v7, v5
	s_waitcnt lgkmcnt(0)
	v_pk_mul_f32 v[4:5], v[14:15], v[4:5] op_sel_hi:[1,0]
	v_pk_add_f32 v[2:3], v[2:3], v[6:7]
	v_pk_fma_f32 v[6:7], v[14:15], v[82:83], v[4:5] op_sel:[0,0,1] op_sel_hi:[1,1,0] neg_lo:[0,0,1] neg_hi:[0,0,1]
	v_pk_fma_f32 v[4:5], v[14:15], v[82:83], v[4:5] op_sel:[0,0,1] op_sel_hi:[1,0,0]
	s_waitcnt vmcnt(1)
	v_mov_b32_e32 v4, v91
	v_mov_b32_e32 v7, v5
	v_pk_mul_f32 v[4:5], v[16:17], v[4:5] op_sel_hi:[1,0]
	v_pk_add_f32 v[2:3], v[2:3], v[6:7]
	s_waitcnt vmcnt(0)
	v_pk_fma_f32 v[6:7], v[16:17], v[90:91], v[4:5] op_sel:[0,0,1] op_sel_hi:[1,1,0] neg_lo:[0,0,1] neg_hi:[0,0,1]
	v_pk_fma_f32 v[4:5], v[16:17], v[90:91], v[4:5] op_sel:[0,0,1] op_sel_hi:[1,0,0]
	v_mov_b32_e32 v7, v5
	v_pk_add_f32 v[2:3], v[2:3], v[6:7]
	v_pk_add_f32 v[2:3], v[18:19], v[2:3] neg_lo:[0,1] neg_hi:[0,1]
	buffer_store_dword v3, off, s[0:3], 0 offset:84
	buffer_store_dword v2, off, s[0:3], 0 offset:80
	s_and_saveexec_b64 s[4:5], vcc
	s_cbranch_execz .LBB50_301
; %bb.300:
	buffer_load_dword v2, off, s[0:3], 0 offset:72
	buffer_load_dword v3, off, s[0:3], 0 offset:76
	v_mov_b32_e32 v1, 0
	buffer_store_dword v1, off, s[0:3], 0 offset:72
	buffer_store_dword v1, off, s[0:3], 0 offset:76
	s_waitcnt vmcnt(2)
	ds_write_b64 v121, v[2:3]
.LBB50_301:
	s_or_b64 exec, exec, s[4:5]
	v_mov_b32_e32 v196, 0
	s_waitcnt lgkmcnt(0)
	; wave barrier
	s_waitcnt lgkmcnt(0)
	ds_read_b128 v[14:17], v196 offset:496
	ds_read_b128 v[10:13], v196 offset:512
	;; [unrolled: 1-line block ×4, first 2 shown]
	buffer_load_dword v70, off, s[0:3], 0 offset:72
	buffer_load_dword v71, off, s[0:3], 0 offset:76
	;; [unrolled: 1-line block ×18, first 2 shown]
	v_cmp_lt_u32_e32 vcc, 8, v0
	s_waitcnt vmcnt(14) lgkmcnt(3)
	v_mul_f32_e32 v1, v14, v197
	v_fmac_f32_e32 v1, v15, v72
	s_waitcnt vmcnt(12)
	v_mul_f32_e32 v18, v16, v199
	v_add_f32_e32 v1, 0, v1
	v_fmac_f32_e32 v18, v17, v74
	v_add_f32_e32 v1, v1, v18
	s_waitcnt vmcnt(10) lgkmcnt(2)
	v_mul_f32_e32 v18, v10, v201
	v_fmac_f32_e32 v18, v11, v78
	v_add_f32_e32 v1, v1, v18
	s_waitcnt vmcnt(8)
	v_mul_f32_e32 v18, v12, v203
	v_fmac_f32_e32 v18, v13, v198
	v_add_f32_e32 v1, v1, v18
	s_waitcnt vmcnt(6) lgkmcnt(1)
	v_mul_f32_e32 v18, v6, v205
	v_fmac_f32_e32 v18, v7, v200
	v_add_f32_e32 v1, v1, v18
	s_waitcnt vmcnt(4)
	v_mul_f32_e32 v18, v8, v206
	;; [unrolled: 8-line block ×3, first 2 shown]
	v_fmac_f32_e32 v18, v5, v208
	v_add_f32_e32 v1, v1, v18
	ds_read_b128 v[18:21], v196 offset:560
	buffer_load_dword v210, off, s[0:3], 0 offset:144
	buffer_load_dword v211, off, s[0:3], 0 offset:148
	;; [unrolled: 1-line block ×4, first 2 shown]
	ds_read_b128 v[26:29], v196 offset:576
	buffer_load_dword v214, off, s[0:3], 0 offset:160
	buffer_load_dword v215, off, s[0:3], 0 offset:164
	v_mul_f32_e32 v15, v15, v197
	v_fma_f32 v14, v14, v72, -v15
	v_mul_f32_e32 v15, v17, v199
	v_add_f32_e32 v14, 0, v14
	v_fma_f32 v15, v16, v74, -v15
	v_mul_f32_e32 v11, v11, v201
	v_add_f32_e32 v14, v14, v15
	;; [unrolled: 3-line block ×7, first 2 shown]
	v_fma_f32 v3, v4, v208, -v3
	v_add_f32_e32 v2, v2, v3
	s_waitcnt vmcnt(4) lgkmcnt(1)
	v_mul_f32_e32 v22, v18, v211
	v_fmac_f32_e32 v22, v19, v210
	v_add_f32_e32 v1, v1, v22
	s_waitcnt vmcnt(2)
	v_mul_f32_e32 v22, v20, v213
	v_fmac_f32_e32 v22, v21, v212
	v_add_f32_e32 v1, v1, v22
	s_waitcnt vmcnt(0) lgkmcnt(0)
	v_mul_f32_e32 v22, v26, v215
	v_fmac_f32_e32 v22, v27, v214
	v_add_f32_e32 v22, v1, v22
	buffer_load_dword v1, off, s[0:3], 0 offset:168
	buffer_load_dword v86, off, s[0:3], 0 offset:172
	ds_read_b128 v[30:33], v196 offset:592
	buffer_load_dword v87, off, s[0:3], 0 offset:176
	buffer_load_dword v216, off, s[0:3], 0 offset:180
	buffer_load_dword v88, off, s[0:3], 0 offset:184
	buffer_load_dword v89, off, s[0:3], 0 offset:188
	ds_read_b128 v[34:37], v196 offset:608
	buffer_load_dword v217, off, s[0:3], 0 offset:192
	buffer_load_dword v218, off, s[0:3], 0 offset:196
	;; [unrolled: 5-line block ×10, first 2 shown]
	buffer_load_dword v233, off, s[0:3], 0 offset:328
	buffer_load_dword v234, off, s[0:3], 0 offset:332
	v_mul_f32_e32 v3, v19, v211
	v_fma_f32 v3, v18, v210, -v3
	v_add_f32_e32 v2, v2, v3
	v_mul_f32_e32 v3, v21, v213
	v_fma_f32 v3, v20, v212, -v3
	v_add_f32_e32 v2, v2, v3
	;; [unrolled: 3-line block ×3, first 2 shown]
	s_waitcnt vmcnt(40)
	v_mul_f32_e32 v23, v28, v86
	v_fmac_f32_e32 v23, v29, v1
	v_add_f32_e32 v22, v22, v23
	s_waitcnt vmcnt(38) lgkmcnt(9)
	v_mul_f32_e32 v23, v30, v216
	v_fmac_f32_e32 v23, v31, v87
	v_add_f32_e32 v22, v22, v23
	s_waitcnt vmcnt(36)
	v_mul_f32_e32 v23, v32, v89
	v_fmac_f32_e32 v23, v33, v88
	v_add_f32_e32 v22, v22, v23
	s_waitcnt vmcnt(34) lgkmcnt(8)
	v_mul_f32_e32 v23, v34, v218
	v_fmac_f32_e32 v23, v35, v217
	v_add_f32_e32 v22, v22, v23
	;; [unrolled: 8-line block ×10, first 2 shown]
	ds_read_b128 v[22:25], v196 offset:752
	buffer_load_dword v235, off, s[0:3], 0 offset:336
	buffer_load_dword v236, off, s[0:3], 0 offset:340
	;; [unrolled: 1-line block ×18, first 2 shown]
	v_mul_f32_e32 v3, v29, v86
	v_fma_f32 v1, v28, v1, -v3
	v_add_f32_e32 v1, v2, v1
	v_mul_f32_e32 v2, v31, v216
	v_fma_f32 v2, v30, v87, -v2
	v_add_f32_e32 v1, v1, v2
	;; [unrolled: 3-line block ×19, first 2 shown]
	v_mul_f32_e32 v2, v67, v232
	v_fma_f32 v2, v66, v231, -v2
	s_waitcnt vmcnt(18)
	v_mul_f32_e32 v75, v68, v234
	v_add_f32_e32 v72, v1, v2
	v_mul_f32_e32 v1, v69, v234
	v_fmac_f32_e32 v75, v69, v233
	v_fma_f32 v74, v68, v233, -v1
	s_waitcnt vmcnt(15)
	v_mov_b32_e32 v18, v77
	s_waitcnt lgkmcnt(0)
	v_pk_mul_f32 v[18:19], v[24:25], v[18:19] op_sel_hi:[1,0]
	ds_read_b128 v[2:5], v196 offset:768
	ds_read_b128 v[6:9], v196 offset:784
	;; [unrolled: 1-line block ×3, first 2 shown]
	ds_read_b64 v[14:15], v196 offset:816
	s_waitcnt vmcnt(14)
	v_pk_fma_f32 v[20:21], v[24:25], v[76:77], v[18:19] op_sel:[0,0,1] op_sel_hi:[1,1,0] neg_lo:[0,0,1] neg_hi:[0,0,1]
	v_pk_fma_f32 v[18:19], v[24:25], v[76:77], v[18:19] op_sel:[0,0,1] op_sel_hi:[1,0,0]
	v_pk_add_f32 v[16:17], v[72:73], v[74:75]
	s_waitcnt vmcnt(13)
	v_mov_b32_e32 v18, v195
	v_mov_b32_e32 v21, v19
	s_waitcnt lgkmcnt(3)
	v_pk_mul_f32 v[18:19], v[2:3], v[18:19] op_sel_hi:[1,0]
	v_mul_f32_e32 v79, v22, v236
	v_mul_f32_e32 v1, v23, v236
	v_fmac_f32_e32 v79, v23, v235
	v_fma_f32 v78, v22, v235, -v1
	v_pk_add_f32 v[16:17], v[16:17], v[78:79]
	v_pk_add_f32 v[16:17], v[16:17], v[20:21]
	s_waitcnt vmcnt(12)
	v_pk_fma_f32 v[20:21], v[2:3], v[194:195], v[18:19] op_sel:[0,0,1] op_sel_hi:[1,1,0] neg_lo:[0,0,1] neg_hi:[0,0,1]
	v_pk_fma_f32 v[2:3], v[2:3], v[194:195], v[18:19] op_sel:[0,0,1] op_sel_hi:[1,0,0]
	v_mov_b32_e32 v21, v3
	v_pk_add_f32 v[2:3], v[16:17], v[20:21]
	s_waitcnt vmcnt(11)
	v_mov_b32_e32 v16, v193
	v_pk_mul_f32 v[16:17], v[4:5], v[16:17] op_sel_hi:[1,0]
	s_waitcnt vmcnt(10)
	v_pk_fma_f32 v[18:19], v[4:5], v[192:193], v[16:17] op_sel:[0,0,1] op_sel_hi:[1,1,0] neg_lo:[0,0,1] neg_hi:[0,0,1]
	v_pk_fma_f32 v[4:5], v[4:5], v[192:193], v[16:17] op_sel:[0,0,1] op_sel_hi:[1,0,0]
	s_waitcnt vmcnt(9)
	v_mov_b32_e32 v4, v191
	v_mov_b32_e32 v19, v5
	s_waitcnt lgkmcnt(2)
	v_pk_mul_f32 v[4:5], v[6:7], v[4:5] op_sel_hi:[1,0]
	s_waitcnt vmcnt(8)
	v_pk_fma_f32 v[16:17], v[6:7], v[190:191], v[4:5] op_sel:[0,0,1] op_sel_hi:[1,1,0] neg_lo:[0,0,1] neg_hi:[0,0,1]
	v_pk_fma_f32 v[4:5], v[6:7], v[190:191], v[4:5] op_sel:[0,0,1] op_sel_hi:[1,0,0]
	s_waitcnt vmcnt(7)
	v_mov_b32_e32 v4, v189
	v_mov_b32_e32 v17, v5
	v_pk_mul_f32 v[4:5], v[8:9], v[4:5] op_sel_hi:[1,0]
	s_waitcnt vmcnt(6)
	v_pk_fma_f32 v[6:7], v[8:9], v[188:189], v[4:5] op_sel:[0,0,1] op_sel_hi:[1,1,0] neg_lo:[0,0,1] neg_hi:[0,0,1]
	v_pk_fma_f32 v[4:5], v[8:9], v[188:189], v[4:5] op_sel:[0,0,1] op_sel_hi:[1,0,0]
	v_pk_add_f32 v[2:3], v[2:3], v[18:19]
	s_waitcnt vmcnt(5)
	v_mov_b32_e32 v4, v85
	v_pk_add_f32 v[2:3], v[2:3], v[16:17]
	v_mov_b32_e32 v7, v5
	s_waitcnt lgkmcnt(1)
	v_pk_mul_f32 v[4:5], v[10:11], v[4:5] op_sel_hi:[1,0]
	v_pk_add_f32 v[2:3], v[2:3], v[6:7]
	s_waitcnt vmcnt(4)
	v_pk_fma_f32 v[6:7], v[10:11], v[84:85], v[4:5] op_sel:[0,0,1] op_sel_hi:[1,1,0] neg_lo:[0,0,1] neg_hi:[0,0,1]
	v_pk_fma_f32 v[4:5], v[10:11], v[84:85], v[4:5] op_sel:[0,0,1] op_sel_hi:[1,0,0]
	s_waitcnt vmcnt(3)
	v_mov_b32_e32 v4, v83
	v_mov_b32_e32 v7, v5
	v_pk_mul_f32 v[4:5], v[12:13], v[4:5] op_sel_hi:[1,0]
	v_pk_add_f32 v[2:3], v[2:3], v[6:7]
	s_waitcnt vmcnt(2)
	v_pk_fma_f32 v[6:7], v[12:13], v[82:83], v[4:5] op_sel:[0,0,1] op_sel_hi:[1,1,0] neg_lo:[0,0,1] neg_hi:[0,0,1]
	v_pk_fma_f32 v[4:5], v[12:13], v[82:83], v[4:5] op_sel:[0,0,1] op_sel_hi:[1,0,0]
	s_waitcnt vmcnt(1)
	v_mov_b32_e32 v4, v81
	v_mov_b32_e32 v7, v5
	s_waitcnt lgkmcnt(0)
	v_pk_mul_f32 v[4:5], v[14:15], v[4:5] op_sel_hi:[1,0]
	v_pk_add_f32 v[2:3], v[2:3], v[6:7]
	s_waitcnt vmcnt(0)
	v_pk_fma_f32 v[6:7], v[14:15], v[80:81], v[4:5] op_sel:[0,0,1] op_sel_hi:[1,1,0] neg_lo:[0,0,1] neg_hi:[0,0,1]
	v_pk_fma_f32 v[4:5], v[14:15], v[80:81], v[4:5] op_sel:[0,0,1] op_sel_hi:[1,0,0]
	v_mov_b32_e32 v7, v5
	v_pk_add_f32 v[2:3], v[2:3], v[6:7]
	v_pk_add_f32 v[2:3], v[70:71], v[2:3] neg_lo:[0,1] neg_hi:[0,1]
	buffer_store_dword v3, off, s[0:3], 0 offset:76
	buffer_store_dword v2, off, s[0:3], 0 offset:72
	s_and_saveexec_b64 s[4:5], vcc
	s_cbranch_execz .LBB50_303
; %bb.302:
	buffer_load_dword v2, off, s[0:3], 0 offset:64
	buffer_load_dword v3, off, s[0:3], 0 offset:68
	s_waitcnt vmcnt(0)
	ds_write_b64 v121, v[2:3]
	buffer_store_dword v196, off, s[0:3], 0 offset:64
	buffer_store_dword v196, off, s[0:3], 0 offset:68
.LBB50_303:
	s_or_b64 exec, exec, s[4:5]
	s_waitcnt lgkmcnt(0)
	; wave barrier
	s_waitcnt lgkmcnt(0)
	buffer_load_dword v1, off, s[0:3], 0 offset:76
	buffer_load_dword v78, off, s[0:3], 0 offset:84
	;; [unrolled: 1-line block ×24, first 2 shown]
	ds_read2_b64 v[22:25], v196 offset0:61 offset1:62
	ds_read2_b64 v[18:21], v196 offset0:63 offset1:64
	ds_read2_b64 v[14:17], v196 offset0:65 offset1:66
	ds_read2_b64 v[6:9], v196 offset0:67 offset1:68
	buffer_load_dword v197, off, s[0:3], 0 offset:160
	buffer_load_dword v198, off, s[0:3], 0 offset:164
	ds_read2_b64 v[10:13], v196 offset0:69 offset1:70
	ds_read2_b64 v[2:5], v196 offset0:71 offset1:72
	buffer_load_dword v199, off, s[0:3], 0 offset:168
	buffer_load_dword v200, off, s[0:3], 0 offset:172
	;; [unrolled: 1-line block ×44, first 2 shown]
	v_cmp_lt_u32_e32 vcc, 7, v0
	s_waitcnt vmcnt(62) lgkmcnt(5)
	v_mul_f32_e32 v28, v22, v1
	v_mul_f32_e32 v29, v24, v78
	s_waitcnt lgkmcnt(4)
	v_mul_f32_e32 v31, v20, v80
	s_waitcnt lgkmcnt(3)
	v_mul_f32_e32 v32, v14, v82
	v_mul_f32_e32 v33, v16, v98
	;; [unrolled: 1-line block ×3, first 2 shown]
	s_waitcnt lgkmcnt(2)
	v_mul_f32_e32 v34, v6, v100
	v_mul_f32_e32 v35, v8, v101
	s_waitcnt vmcnt(61)
	v_fmac_f32_e32 v30, v19, v102
	s_waitcnt vmcnt(60)
	v_fmac_f32_e32 v29, v25, v103
	;; [unrolled: 2-line block ×3, first 2 shown]
	v_add_f32_e32 v28, 0, v28
	v_add_f32_e32 v28, v28, v29
	;; [unrolled: 1-line block ×3, first 2 shown]
	s_waitcnt vmcnt(55)
	v_fmac_f32_e32 v31, v21, v188
	v_fmac_f32_e32 v32, v15, v107
	v_add_f32_e32 v28, v28, v31
	v_fmac_f32_e32 v33, v17, v106
	v_add_f32_e32 v28, v28, v32
	;; [unrolled: 2-line block ×3, first 2 shown]
	s_waitcnt vmcnt(51)
	v_fmac_f32_e32 v35, v9, v192
	v_add_f32_e32 v28, v28, v34
	s_waitcnt vmcnt(50) lgkmcnt(1)
	v_mul_f32_e32 v29, v10, v193
	v_add_f32_e32 v28, v28, v35
	v_fmac_f32_e32 v29, v11, v191
	v_add_f32_e32 v28, v28, v29
	s_waitcnt vmcnt(49)
	v_mul_f32_e32 v29, v12, v194
	v_fmac_f32_e32 v29, v13, v190
	v_add_f32_e32 v28, v28, v29
	s_waitcnt vmcnt(48) lgkmcnt(0)
	v_mul_f32_e32 v29, v2, v195
	v_fmac_f32_e32 v29, v3, v189
	v_add_f32_e32 v32, v28, v29
	ds_read2_b64 v[28:31], v196 offset0:73 offset1:74
	s_waitcnt vmcnt(44)
	v_mul_f32_e32 v33, v4, v198
	v_fmac_f32_e32 v33, v5, v197
	v_add_f32_e32 v36, v32, v33
	ds_read2_b64 v[32:35], v196 offset0:75 offset1:76
	s_waitcnt vmcnt(42) lgkmcnt(1)
	v_mul_f32_e32 v37, v28, v200
	v_fmac_f32_e32 v37, v29, v199
	v_add_f32_e32 v36, v36, v37
	s_waitcnt vmcnt(40)
	v_mul_f32_e32 v37, v30, v202
	v_fmac_f32_e32 v37, v31, v201
	v_add_f32_e32 v36, v36, v37
	s_waitcnt vmcnt(38) lgkmcnt(0)
	v_mul_f32_e32 v37, v32, v204
	v_fmac_f32_e32 v37, v33, v203
	v_add_f32_e32 v40, v36, v37
	ds_read2_b64 v[36:39], v196 offset0:77 offset1:78
	s_waitcnt vmcnt(36)
	v_mul_f32_e32 v41, v34, v206
	v_fmac_f32_e32 v41, v35, v205
	v_add_f32_e32 v44, v40, v41
	ds_read2_b64 v[40:43], v196 offset0:79 offset1:80
	s_waitcnt vmcnt(34) lgkmcnt(1)
	v_mul_f32_e32 v45, v36, v208
	;; [unrolled: 18-line block ×4, first 2 shown]
	v_fmac_f32_e32 v61, v53, v223
	v_add_f32_e32 v60, v60, v61
	s_waitcnt vmcnt(16)
	v_mul_f32_e32 v61, v54, v226
	v_fmac_f32_e32 v61, v55, v225
	v_add_f32_e32 v60, v60, v61
	s_waitcnt vmcnt(14) lgkmcnt(0)
	v_mul_f32_e32 v61, v56, v228
	v_fmac_f32_e32 v61, v57, v227
	v_add_f32_e32 v64, v60, v61
	ds_read2_b64 v[60:63], v196 offset0:89 offset1:90
	s_waitcnt vmcnt(12)
	v_mul_f32_e32 v65, v58, v230
	v_fmac_f32_e32 v65, v59, v229
	v_add_f32_e32 v68, v64, v65
	ds_read2_b64 v[64:67], v196 offset0:91 offset1:92
	buffer_load_dword v77, off, s[0:3], 0 offset:348
	buffer_load_dword v76, off, s[0:3], 0 offset:344
	s_waitcnt vmcnt(12) lgkmcnt(1)
	v_mul_f32_e32 v69, v60, v232
	v_fmac_f32_e32 v69, v61, v231
	v_add_f32_e32 v68, v68, v69
	s_waitcnt vmcnt(10)
	v_mul_f32_e32 v69, v62, v234
	v_fmac_f32_e32 v69, v63, v233
	v_add_f32_e32 v68, v68, v69
	s_waitcnt vmcnt(8) lgkmcnt(0)
	v_mul_f32_e32 v69, v64, v236
	v_fmac_f32_e32 v69, v65, v235
	s_waitcnt vmcnt(6)
	v_mul_f32_e32 v73, v66, v238
	v_add_f32_e32 v72, v68, v69
	v_fmac_f32_e32 v73, v67, v237
	ds_read2_b64 v[68:71], v196 offset0:93 offset1:94
	v_add_f32_e32 v79, v72, v73
	ds_read2_b64 v[72:75], v196 offset0:95 offset1:96
	buffer_load_dword v85, off, s[0:3], 0 offset:380
	buffer_load_dword v84, off, s[0:3], 0 offset:376
	;; [unrolled: 1-line block ×14, first 2 shown]
	v_mul_f32_e32 v1, v23, v1
	v_fma_f32 v1, v22, v104, -v1
	v_mul_f32_e32 v22, v25, v78
	v_add_f32_e32 v1, 0, v1
	v_fma_f32 v22, v24, v103, -v22
	v_mul_f32_e32 v19, v19, v99
	v_add_f32_e32 v1, v1, v22
	v_fma_f32 v18, v18, v102, -v19
	v_add_f32_e32 v1, v1, v18
	v_mul_f32_e32 v18, v21, v80
	v_fma_f32 v18, v20, v188, -v18
	v_mul_f32_e32 v15, v15, v82
	v_add_f32_e32 v1, v1, v18
	v_fma_f32 v14, v14, v107, -v15
	v_add_f32_e32 v1, v1, v14
	v_mul_f32_e32 v14, v17, v98
	;; [unrolled: 6-line block ×3, first 2 shown]
	v_fma_f32 v6, v8, v192, -v6
	v_add_f32_e32 v1, v1, v6
	v_mul_f32_e32 v6, v11, v193
	v_fma_f32 v6, v10, v191, -v6
	v_add_f32_e32 v1, v1, v6
	v_mul_f32_e32 v6, v13, v194
	v_fma_f32 v6, v12, v190, -v6
	v_mul_f32_e32 v3, v3, v195
	v_add_f32_e32 v1, v1, v6
	v_fma_f32 v2, v2, v189, -v3
	v_add_f32_e32 v1, v1, v2
	v_mul_f32_e32 v2, v5, v198
	v_fma_f32 v2, v4, v197, -v2
	v_add_f32_e32 v1, v1, v2
	v_mul_f32_e32 v2, v29, v200
	;; [unrolled: 3-line block ×21, first 2 shown]
	v_fma_f32 v2, v66, v237, -v2
	s_waitcnt vmcnt(15)
	v_mov_b32_e32 v16, v77
	s_waitcnt lgkmcnt(1)
	v_mul_f32_e32 v81, v68, v240
	v_add_f32_e32 v78, v1, v2
	v_mul_f32_e32 v1, v69, v240
	s_waitcnt lgkmcnt(0)
	v_pk_mul_f32 v[16:17], v[72:73], v[16:17] op_sel_hi:[1,0]
	v_fmac_f32_e32 v81, v69, v239
	v_mul_f32_e32 v83, v70, v242
	v_fma_f32 v80, v68, v239, -v1
	v_mul_f32_e32 v1, v71, v242
	s_waitcnt vmcnt(14)
	v_pk_fma_f32 v[18:19], v[72:73], v[76:77], v[16:17] op_sel:[0,0,1] op_sel_hi:[1,1,0] neg_lo:[0,0,1] neg_hi:[0,0,1]
	v_pk_fma_f32 v[16:17], v[72:73], v[76:77], v[16:17] op_sel:[0,0,1] op_sel_hi:[1,0,0]
	v_fmac_f32_e32 v83, v71, v241
	v_fma_f32 v82, v70, v241, -v1
	v_pk_add_f32 v[14:15], v[78:79], v[80:81]
	s_waitcnt vmcnt(7)
	v_mov_b32_e32 v16, v91
	ds_read2_b64 v[2:5], v196 offset0:97 offset1:98
	ds_read2_b64 v[6:9], v196 offset0:99 offset1:100
	;; [unrolled: 1-line block ×3, first 2 shown]
	v_pk_add_f32 v[14:15], v[14:15], v[82:83]
	v_mov_b32_e32 v19, v17
	v_pk_mul_f32 v[16:17], v[74:75], v[16:17] op_sel_hi:[1,0]
	v_pk_add_f32 v[14:15], v[14:15], v[18:19]
	s_waitcnt vmcnt(6)
	v_pk_fma_f32 v[18:19], v[74:75], v[90:91], v[16:17] op_sel:[0,0,1] op_sel_hi:[1,1,0] neg_lo:[0,0,1] neg_hi:[0,0,1]
	v_pk_fma_f32 v[16:17], v[74:75], v[90:91], v[16:17] op_sel:[0,0,1] op_sel_hi:[1,0,0]
	v_mov_b32_e32 v16, v89
	v_mov_b32_e32 v19, v17
	s_waitcnt lgkmcnt(2)
	v_pk_mul_f32 v[16:17], v[2:3], v[16:17] op_sel_hi:[1,0]
	v_pk_add_f32 v[14:15], v[14:15], v[18:19]
	v_pk_fma_f32 v[18:19], v[2:3], v[88:89], v[16:17] op_sel:[0,0,1] op_sel_hi:[1,1,0] neg_lo:[0,0,1] neg_hi:[0,0,1]
	v_pk_fma_f32 v[2:3], v[2:3], v[88:89], v[16:17] op_sel:[0,0,1] op_sel_hi:[1,0,0]
	v_mov_b32_e32 v19, v3
	v_pk_add_f32 v[2:3], v[14:15], v[18:19]
	v_mov_b32_e32 v14, v87
	v_pk_mul_f32 v[14:15], v[4:5], v[14:15] op_sel_hi:[1,0]
	v_pk_fma_f32 v[16:17], v[4:5], v[86:87], v[14:15] op_sel:[0,0,1] op_sel_hi:[1,1,0] neg_lo:[0,0,1] neg_hi:[0,0,1]
	v_pk_fma_f32 v[4:5], v[4:5], v[86:87], v[14:15] op_sel:[0,0,1] op_sel_hi:[1,0,0]
	v_mov_b32_e32 v4, v85
	v_mov_b32_e32 v17, v5
	s_waitcnt lgkmcnt(1)
	v_pk_mul_f32 v[4:5], v[6:7], v[4:5] op_sel_hi:[1,0]
	v_pk_fma_f32 v[14:15], v[6:7], v[84:85], v[4:5] op_sel:[0,0,1] op_sel_hi:[1,1,0] neg_lo:[0,0,1] neg_hi:[0,0,1]
	v_pk_fma_f32 v[4:5], v[6:7], v[84:85], v[4:5] op_sel:[0,0,1] op_sel_hi:[1,0,0]
	s_waitcnt vmcnt(1)
	v_mov_b32_e32 v4, v97
	v_mov_b32_e32 v15, v5
	v_pk_mul_f32 v[4:5], v[8:9], v[4:5] op_sel_hi:[1,0]
	s_waitcnt vmcnt(0)
	v_pk_fma_f32 v[6:7], v[8:9], v[96:97], v[4:5] op_sel:[0,0,1] op_sel_hi:[1,1,0] neg_lo:[0,0,1] neg_hi:[0,0,1]
	v_pk_fma_f32 v[4:5], v[8:9], v[96:97], v[4:5] op_sel:[0,0,1] op_sel_hi:[1,0,0]
	v_pk_add_f32 v[2:3], v[2:3], v[16:17]
	v_mov_b32_e32 v4, v95
	v_pk_add_f32 v[2:3], v[2:3], v[14:15]
	v_mov_b32_e32 v7, v5
	s_waitcnt lgkmcnt(0)
	v_pk_mul_f32 v[4:5], v[10:11], v[4:5] op_sel_hi:[1,0]
	v_pk_add_f32 v[2:3], v[2:3], v[6:7]
	v_pk_fma_f32 v[6:7], v[10:11], v[94:95], v[4:5] op_sel:[0,0,1] op_sel_hi:[1,1,0] neg_lo:[0,0,1] neg_hi:[0,0,1]
	v_pk_fma_f32 v[4:5], v[10:11], v[94:95], v[4:5] op_sel:[0,0,1] op_sel_hi:[1,0,0]
	v_mov_b32_e32 v4, v93
	v_mov_b32_e32 v7, v5
	v_pk_mul_f32 v[4:5], v[12:13], v[4:5] op_sel_hi:[1,0]
	v_pk_add_f32 v[2:3], v[2:3], v[6:7]
	v_pk_fma_f32 v[6:7], v[12:13], v[92:93], v[4:5] op_sel:[0,0,1] op_sel_hi:[1,1,0] neg_lo:[0,0,1] neg_hi:[0,0,1]
	v_pk_fma_f32 v[4:5], v[12:13], v[92:93], v[4:5] op_sel:[0,0,1] op_sel_hi:[1,0,0]
	v_mov_b32_e32 v7, v5
	v_pk_add_f32 v[2:3], v[2:3], v[6:7]
	v_pk_add_f32 v[2:3], v[26:27], v[2:3] neg_lo:[0,1] neg_hi:[0,1]
	buffer_store_dword v3, off, s[0:3], 0 offset:68
	buffer_store_dword v2, off, s[0:3], 0 offset:64
	s_and_saveexec_b64 s[4:5], vcc
	s_cbranch_execz .LBB50_305
; %bb.304:
	buffer_load_dword v2, off, s[0:3], 0 offset:56
	buffer_load_dword v3, off, s[0:3], 0 offset:60
	v_mov_b32_e32 v1, 0
	buffer_store_dword v1, off, s[0:3], 0 offset:56
	buffer_store_dword v1, off, s[0:3], 0 offset:60
	s_waitcnt vmcnt(2)
	ds_write_b64 v121, v[2:3]
.LBB50_305:
	s_or_b64 exec, exec, s[4:5]
	s_waitcnt lgkmcnt(0)
	; wave barrier
	s_waitcnt lgkmcnt(0)
	buffer_load_dword v1, off, s[0:3], 0 offset:68
	buffer_load_dword v29, off, s[0:3], 0 offset:76
	;; [unrolled: 1-line block ×56, first 2 shown]
	v_mov_b32_e32 v28, 0
	ds_read_b128 v[4:7], v28 offset:480
	ds_read_b128 v[8:11], v28 offset:496
	;; [unrolled: 1-line block ×6, first 2 shown]
	buffer_load_dword v229, off, s[0:3], 0 offset:280
	buffer_load_dword v230, off, s[0:3], 0 offset:284
	;; [unrolled: 1-line block ×16, first 2 shown]
	v_cmp_lt_u32_e32 vcc, 6, v0
	s_waitcnt vmcnt(62) lgkmcnt(5)
	v_mul_f32_e32 v30, v4, v1
	v_mul_f32_e32 v31, v6, v29
	s_waitcnt lgkmcnt(4)
	v_mul_f32_e32 v33, v10, v78
	s_waitcnt lgkmcnt(3)
	v_mul_f32_e32 v34, v12, v80
	v_mul_f32_e32 v35, v14, v82
	;; [unrolled: 1-line block ×3, first 2 shown]
	s_waitcnt lgkmcnt(2)
	v_mul_f32_e32 v36, v16, v101
	v_mul_f32_e32 v37, v18, v102
	s_waitcnt lgkmcnt(1)
	v_mul_f32_e32 v38, v20, v103
	v_fmac_f32_e32 v32, v9, v104
	s_waitcnt vmcnt(61)
	v_fmac_f32_e32 v31, v7, v105
	s_waitcnt vmcnt(60)
	v_fmac_f32_e32 v30, v5, v106
	v_add_f32_e32 v30, 0, v30
	v_add_f32_e32 v30, v30, v31
	;; [unrolled: 1-line block ×3, first 2 shown]
	s_waitcnt vmcnt(56)
	v_fmac_f32_e32 v33, v11, v190
	v_fmac_f32_e32 v34, v13, v189
	v_add_f32_e32 v30, v30, v33
	v_fmac_f32_e32 v35, v15, v188
	v_add_f32_e32 v30, v30, v34
	v_fmac_f32_e32 v36, v17, v107
	v_add_f32_e32 v30, v30, v35
	s_waitcnt vmcnt(52)
	v_fmac_f32_e32 v37, v19, v194
	v_add_f32_e32 v30, v30, v36
	v_add_f32_e32 v30, v30, v37
	v_fmac_f32_e32 v38, v21, v193
	s_waitcnt vmcnt(51)
	v_mul_f32_e32 v31, v22, v195
	v_add_f32_e32 v30, v30, v38
	v_fmac_f32_e32 v31, v23, v192
	v_add_f32_e32 v30, v30, v31
	s_waitcnt vmcnt(50) lgkmcnt(0)
	v_mul_f32_e32 v31, v24, v196
	v_fmac_f32_e32 v31, v25, v191
	v_add_f32_e32 v34, v30, v31
	ds_read_b128 v[30:33], v28 offset:576
	s_waitcnt vmcnt(46)
	v_mul_f32_e32 v35, v26, v198
	v_fmac_f32_e32 v35, v27, v197
	v_add_f32_e32 v38, v34, v35
	ds_read_b128 v[34:37], v28 offset:592
	s_waitcnt vmcnt(44) lgkmcnt(1)
	v_mul_f32_e32 v39, v30, v200
	v_fmac_f32_e32 v39, v31, v199
	v_add_f32_e32 v38, v38, v39
	s_waitcnt vmcnt(42)
	v_mul_f32_e32 v39, v32, v202
	v_fmac_f32_e32 v39, v33, v201
	v_add_f32_e32 v38, v38, v39
	s_waitcnt vmcnt(40) lgkmcnt(0)
	v_mul_f32_e32 v39, v34, v204
	v_fmac_f32_e32 v39, v35, v203
	v_add_f32_e32 v42, v38, v39
	ds_read_b128 v[38:41], v28 offset:608
	s_waitcnt vmcnt(38)
	v_mul_f32_e32 v43, v36, v206
	v_fmac_f32_e32 v43, v37, v205
	v_add_f32_e32 v46, v42, v43
	ds_read_b128 v[42:45], v28 offset:624
	s_waitcnt vmcnt(36) lgkmcnt(1)
	v_mul_f32_e32 v47, v38, v208
	v_fmac_f32_e32 v47, v39, v207
	v_add_f32_e32 v46, v46, v47
	s_waitcnt vmcnt(34)
	v_mul_f32_e32 v47, v40, v210
	v_fmac_f32_e32 v47, v41, v209
	v_add_f32_e32 v46, v46, v47
	s_waitcnt vmcnt(32) lgkmcnt(0)
	v_mul_f32_e32 v47, v42, v212
	v_fmac_f32_e32 v47, v43, v211
	v_add_f32_e32 v50, v46, v47
	ds_read_b128 v[46:49], v28 offset:640
	s_waitcnt vmcnt(30)
	v_mul_f32_e32 v51, v44, v214
	v_fmac_f32_e32 v51, v45, v213
	v_add_f32_e32 v54, v50, v51
	ds_read_b128 v[50:53], v28 offset:656
	s_waitcnt vmcnt(28) lgkmcnt(1)
	v_mul_f32_e32 v55, v46, v216
	v_fmac_f32_e32 v55, v47, v215
	v_add_f32_e32 v54, v54, v55
	s_waitcnt vmcnt(26)
	v_mul_f32_e32 v55, v48, v218
	v_fmac_f32_e32 v55, v49, v217
	v_add_f32_e32 v54, v54, v55
	s_waitcnt vmcnt(24) lgkmcnt(0)
	v_mul_f32_e32 v55, v50, v220
	v_fmac_f32_e32 v55, v51, v219
	v_add_f32_e32 v58, v54, v55
	ds_read_b128 v[54:57], v28 offset:672
	s_waitcnt vmcnt(22)
	v_mul_f32_e32 v59, v52, v222
	v_fmac_f32_e32 v59, v53, v221
	v_add_f32_e32 v62, v58, v59
	ds_read_b128 v[58:61], v28 offset:688
	s_waitcnt vmcnt(20) lgkmcnt(1)
	v_mul_f32_e32 v63, v54, v224
	v_fmac_f32_e32 v63, v55, v223
	v_add_f32_e32 v62, v62, v63
	s_waitcnt vmcnt(18)
	v_mul_f32_e32 v63, v56, v226
	v_fmac_f32_e32 v63, v57, v225
	v_add_f32_e32 v62, v62, v63
	s_waitcnt vmcnt(16) lgkmcnt(0)
	v_mul_f32_e32 v63, v58, v228
	v_fmac_f32_e32 v63, v59, v227
	v_add_f32_e32 v66, v62, v63
	ds_read_b128 v[62:65], v28 offset:704
	s_waitcnt vmcnt(14)
	v_mul_f32_e32 v67, v60, v230
	v_fmac_f32_e32 v67, v61, v229
	v_add_f32_e32 v70, v66, v67
	ds_read_b128 v[66:69], v28 offset:720
	s_waitcnt vmcnt(12) lgkmcnt(1)
	v_mul_f32_e32 v71, v62, v232
	v_fmac_f32_e32 v71, v63, v231
	v_add_f32_e32 v70, v70, v71
	s_waitcnt vmcnt(10)
	v_mul_f32_e32 v71, v64, v234
	v_fmac_f32_e32 v71, v65, v233
	v_add_f32_e32 v70, v70, v71
	s_waitcnt vmcnt(8) lgkmcnt(0)
	v_mul_f32_e32 v71, v66, v236
	v_fmac_f32_e32 v71, v67, v235
	s_waitcnt vmcnt(6)
	v_mul_f32_e32 v75, v68, v238
	v_add_f32_e32 v74, v70, v71
	v_fmac_f32_e32 v75, v69, v237
	ds_read_b128 v[70:73], v28 offset:736
	v_add_f32_e32 v79, v74, v75
	ds_read_b128 v[74:77], v28 offset:752
	buffer_load_dword v85, off, s[0:3], 0 offset:372
	buffer_load_dword v84, off, s[0:3], 0 offset:368
	;; [unrolled: 1-line block ×16, first 2 shown]
	v_mul_f32_e32 v1, v5, v1
	v_fma_f32 v1, v4, v106, -v1
	v_mul_f32_e32 v4, v7, v29
	v_add_f32_e32 v1, 0, v1
	v_fma_f32 v4, v6, v105, -v4
	v_add_f32_e32 v1, v1, v4
	v_mul_f32_e32 v4, v9, v100
	v_fma_f32 v4, v8, v104, -v4
	v_add_f32_e32 v1, v1, v4
	v_mul_f32_e32 v4, v11, v78
	;; [unrolled: 3-line block ×30, first 2 shown]
	v_fma_f32 v4, v68, v237, -v4
	s_waitcnt vmcnt(20) lgkmcnt(1)
	v_mul_f32_e32 v81, v70, v240
	v_add_f32_e32 v1, v1, v4
	v_mul_f32_e32 v4, v71, v240
	v_fmac_f32_e32 v81, v71, v239
	v_fma_f32 v4, v70, v239, -v4
	s_waitcnt vmcnt(9)
	v_mov_b32_e32 v20, v91
	v_add_f32_e32 v79, v79, v81
	v_mul_f32_e32 v81, v72, v242
	v_add_f32_e32 v78, v1, v4
	v_mul_f32_e32 v1, v73, v242
	s_waitcnt lgkmcnt(0)
	v_pk_mul_f32 v[20:21], v[76:77], v[20:21] op_sel_hi:[1,0]
	v_fmac_f32_e32 v81, v73, v241
	v_mul_f32_e32 v83, v74, v244
	v_fma_f32 v80, v72, v241, -v1
	v_mul_f32_e32 v1, v75, v244
	ds_read_b128 v[4:7], v28 offset:768
	ds_read_b128 v[8:11], v28 offset:784
	;; [unrolled: 1-line block ×3, first 2 shown]
	ds_read_b64 v[16:17], v28 offset:816
	s_waitcnt vmcnt(8)
	v_pk_fma_f32 v[22:23], v[76:77], v[90:91], v[20:21] op_sel:[0,0,1] op_sel_hi:[1,1,0] neg_lo:[0,0,1] neg_hi:[0,0,1]
	v_pk_fma_f32 v[20:21], v[76:77], v[90:91], v[20:21] op_sel:[0,0,1] op_sel_hi:[1,0,0]
	v_fmac_f32_e32 v83, v75, v243
	v_fma_f32 v82, v74, v243, -v1
	v_pk_add_f32 v[18:19], v[78:79], v[80:81]
	v_mov_b32_e32 v20, v89
	v_pk_add_f32 v[18:19], v[18:19], v[82:83]
	v_mov_b32_e32 v23, v21
	s_waitcnt lgkmcnt(3)
	v_pk_mul_f32 v[20:21], v[4:5], v[20:21] op_sel_hi:[1,0]
	v_pk_add_f32 v[18:19], v[18:19], v[22:23]
	v_pk_fma_f32 v[22:23], v[4:5], v[88:89], v[20:21] op_sel:[0,0,1] op_sel_hi:[1,1,0] neg_lo:[0,0,1] neg_hi:[0,0,1]
	v_pk_fma_f32 v[4:5], v[4:5], v[88:89], v[20:21] op_sel:[0,0,1] op_sel_hi:[1,0,0]
	v_mov_b32_e32 v23, v5
	v_pk_add_f32 v[4:5], v[18:19], v[22:23]
	v_mov_b32_e32 v18, v87
	v_pk_mul_f32 v[18:19], v[6:7], v[18:19] op_sel_hi:[1,0]
	v_pk_fma_f32 v[20:21], v[6:7], v[86:87], v[18:19] op_sel:[0,0,1] op_sel_hi:[1,1,0] neg_lo:[0,0,1] neg_hi:[0,0,1]
	v_pk_fma_f32 v[6:7], v[6:7], v[86:87], v[18:19] op_sel:[0,0,1] op_sel_hi:[1,0,0]
	v_mov_b32_e32 v6, v85
	v_mov_b32_e32 v21, v7
	s_waitcnt lgkmcnt(2)
	v_pk_mul_f32 v[6:7], v[8:9], v[6:7] op_sel_hi:[1,0]
	v_pk_fma_f32 v[18:19], v[8:9], v[84:85], v[6:7] op_sel:[0,0,1] op_sel_hi:[1,1,0] neg_lo:[0,0,1] neg_hi:[0,0,1]
	v_pk_fma_f32 v[6:7], v[8:9], v[84:85], v[6:7] op_sel:[0,0,1] op_sel_hi:[1,0,0]
	s_waitcnt vmcnt(1)
	v_mov_b32_e32 v6, v99
	v_mov_b32_e32 v19, v7
	v_pk_mul_f32 v[6:7], v[10:11], v[6:7] op_sel_hi:[1,0]
	s_waitcnt vmcnt(0)
	v_pk_fma_f32 v[8:9], v[10:11], v[98:99], v[6:7] op_sel:[0,0,1] op_sel_hi:[1,1,0] neg_lo:[0,0,1] neg_hi:[0,0,1]
	v_pk_fma_f32 v[6:7], v[10:11], v[98:99], v[6:7] op_sel:[0,0,1] op_sel_hi:[1,0,0]
	v_pk_add_f32 v[4:5], v[4:5], v[20:21]
	v_mov_b32_e32 v6, v97
	v_pk_add_f32 v[4:5], v[4:5], v[18:19]
	v_mov_b32_e32 v9, v7
	s_waitcnt lgkmcnt(1)
	v_pk_mul_f32 v[6:7], v[12:13], v[6:7] op_sel_hi:[1,0]
	v_pk_add_f32 v[4:5], v[4:5], v[8:9]
	v_pk_fma_f32 v[8:9], v[12:13], v[96:97], v[6:7] op_sel:[0,0,1] op_sel_hi:[1,1,0] neg_lo:[0,0,1] neg_hi:[0,0,1]
	v_pk_fma_f32 v[6:7], v[12:13], v[96:97], v[6:7] op_sel:[0,0,1] op_sel_hi:[1,0,0]
	v_mov_b32_e32 v6, v95
	v_mov_b32_e32 v9, v7
	v_pk_mul_f32 v[6:7], v[14:15], v[6:7] op_sel_hi:[1,0]
	v_pk_add_f32 v[4:5], v[4:5], v[8:9]
	v_pk_fma_f32 v[8:9], v[14:15], v[94:95], v[6:7] op_sel:[0,0,1] op_sel_hi:[1,1,0] neg_lo:[0,0,1] neg_hi:[0,0,1]
	v_pk_fma_f32 v[6:7], v[14:15], v[94:95], v[6:7] op_sel:[0,0,1] op_sel_hi:[1,0,0]
	v_mov_b32_e32 v6, v93
	v_mov_b32_e32 v9, v7
	s_waitcnt lgkmcnt(0)
	v_pk_mul_f32 v[6:7], v[16:17], v[6:7] op_sel_hi:[1,0]
	v_pk_add_f32 v[4:5], v[4:5], v[8:9]
	v_pk_fma_f32 v[8:9], v[16:17], v[92:93], v[6:7] op_sel:[0,0,1] op_sel_hi:[1,1,0] neg_lo:[0,0,1] neg_hi:[0,0,1]
	v_pk_fma_f32 v[6:7], v[16:17], v[92:93], v[6:7] op_sel:[0,0,1] op_sel_hi:[1,0,0]
	v_mov_b32_e32 v9, v7
	v_pk_add_f32 v[4:5], v[4:5], v[8:9]
	v_pk_add_f32 v[2:3], v[2:3], v[4:5] neg_lo:[0,1] neg_hi:[0,1]
	buffer_store_dword v3, off, s[0:3], 0 offset:60
	buffer_store_dword v2, off, s[0:3], 0 offset:56
	s_and_saveexec_b64 s[4:5], vcc
	s_cbranch_execz .LBB50_307
; %bb.306:
	buffer_load_dword v2, off, s[0:3], 0 offset:48
	buffer_load_dword v3, off, s[0:3], 0 offset:52
	s_waitcnt vmcnt(0)
	ds_write_b64 v121, v[2:3]
	buffer_store_dword v28, off, s[0:3], 0 offset:48
	buffer_store_dword v28, off, s[0:3], 0 offset:52
.LBB50_307:
	s_or_b64 exec, exec, s[4:5]
	s_waitcnt lgkmcnt(0)
	; wave barrier
	s_waitcnt lgkmcnt(0)
	buffer_load_dword v1, off, s[0:3], 0 offset:60
	buffer_load_dword v29, off, s[0:3], 0 offset:68
	;; [unrolled: 1-line block ×26, first 2 shown]
	ds_read2_b64 v[22:25], v28 offset0:59 offset1:60
	ds_read2_b64 v[18:21], v28 offset0:61 offset1:62
	;; [unrolled: 1-line block ×6, first 2 shown]
	buffer_load_dword v199, off, s[0:3], 0 offset:152
	buffer_load_dword v200, off, s[0:3], 0 offset:156
	;; [unrolled: 1-line block ×42, first 2 shown]
	v_cmp_lt_u32_e32 vcc, 5, v0
	s_waitcnt vmcnt(62) lgkmcnt(5)
	v_mul_f32_e32 v30, v22, v1
	v_mul_f32_e32 v31, v24, v29
	s_waitcnt lgkmcnt(4)
	v_mul_f32_e32 v33, v20, v78
	s_waitcnt lgkmcnt(3)
	v_mul_f32_e32 v34, v14, v80
	v_mul_f32_e32 v35, v16, v88
	;; [unrolled: 1-line block ×3, first 2 shown]
	s_waitcnt vmcnt(61) lgkmcnt(2)
	v_mul_f32_e32 v36, v10, v101
	s_waitcnt vmcnt(60)
	v_mul_f32_e32 v37, v12, v102
	s_waitcnt vmcnt(59) lgkmcnt(1)
	v_mul_f32_e32 v38, v6, v103
	s_waitcnt vmcnt(58)
	v_fmac_f32_e32 v32, v19, v104
	s_waitcnt vmcnt(57)
	v_fmac_f32_e32 v31, v25, v105
	;; [unrolled: 2-line block ×3, first 2 shown]
	v_add_f32_e32 v30, 0, v30
	v_add_f32_e32 v30, v30, v31
	;; [unrolled: 1-line block ×3, first 2 shown]
	s_waitcnt vmcnt(52)
	v_fmac_f32_e32 v33, v21, v190
	v_fmac_f32_e32 v34, v15, v189
	v_add_f32_e32 v30, v30, v33
	v_fmac_f32_e32 v35, v17, v188
	v_add_f32_e32 v30, v30, v34
	;; [unrolled: 2-line block ×3, first 2 shown]
	s_waitcnt vmcnt(48)
	v_fmac_f32_e32 v37, v13, v194
	v_add_f32_e32 v30, v30, v36
	v_fmac_f32_e32 v38, v7, v193
	v_add_f32_e32 v30, v30, v37
	s_waitcnt vmcnt(47)
	v_mul_f32_e32 v31, v8, v195
	v_add_f32_e32 v30, v30, v38
	v_fmac_f32_e32 v31, v9, v192
	v_add_f32_e32 v30, v30, v31
	s_waitcnt vmcnt(46) lgkmcnt(0)
	v_mul_f32_e32 v31, v2, v196
	v_fmac_f32_e32 v31, v3, v191
	v_add_f32_e32 v34, v30, v31
	ds_read2_b64 v[30:33], v28 offset0:71 offset1:72
	s_waitcnt vmcnt(42)
	v_mul_f32_e32 v35, v4, v198
	v_fmac_f32_e32 v35, v5, v197
	buffer_load_dword v241, off, s[0:3], 0 offset:320
	buffer_load_dword v242, off, s[0:3], 0 offset:324
	v_add_f32_e32 v38, v34, v35
	buffer_load_dword v243, off, s[0:3], 0 offset:328
	buffer_load_dword v244, off, s[0:3], 0 offset:332
	ds_read2_b64 v[34:37], v28 offset0:73 offset1:74
	s_waitcnt vmcnt(44) lgkmcnt(1)
	v_mul_f32_e32 v39, v30, v200
	v_fmac_f32_e32 v39, v31, v199
	v_add_f32_e32 v38, v38, v39
	s_waitcnt vmcnt(42)
	v_mul_f32_e32 v39, v32, v202
	v_fmac_f32_e32 v39, v33, v201
	v_add_f32_e32 v38, v38, v39
	s_waitcnt vmcnt(40) lgkmcnt(0)
	v_mul_f32_e32 v39, v34, v204
	v_fmac_f32_e32 v39, v35, v203
	buffer_load_dword v245, off, s[0:3], 0 offset:336
	buffer_load_dword v246, off, s[0:3], 0 offset:340
	v_add_f32_e32 v42, v38, v39
	ds_read2_b64 v[38:41], v28 offset0:75 offset1:76
	s_waitcnt vmcnt(40)
	v_mul_f32_e32 v43, v36, v206
	v_fmac_f32_e32 v43, v37, v205
	v_add_f32_e32 v46, v42, v43
	ds_read2_b64 v[42:45], v28 offset0:77 offset1:78
	s_waitcnt vmcnt(38) lgkmcnt(1)
	v_mul_f32_e32 v47, v38, v208
	v_fmac_f32_e32 v47, v39, v207
	v_add_f32_e32 v46, v46, v47
	s_waitcnt vmcnt(36)
	v_mul_f32_e32 v47, v40, v210
	v_fmac_f32_e32 v47, v41, v209
	v_add_f32_e32 v46, v46, v47
	s_waitcnt vmcnt(34) lgkmcnt(0)
	v_mul_f32_e32 v47, v42, v212
	v_fmac_f32_e32 v47, v43, v211
	v_add_f32_e32 v50, v46, v47
	ds_read2_b64 v[46:49], v28 offset0:79 offset1:80
	s_waitcnt vmcnt(32)
	v_mul_f32_e32 v51, v44, v214
	v_fmac_f32_e32 v51, v45, v213
	v_add_f32_e32 v54, v50, v51
	ds_read2_b64 v[50:53], v28 offset0:81 offset1:82
	s_waitcnt vmcnt(30) lgkmcnt(1)
	v_mul_f32_e32 v55, v46, v216
	v_fmac_f32_e32 v55, v47, v215
	v_add_f32_e32 v54, v54, v55
	s_waitcnt vmcnt(28)
	v_mul_f32_e32 v55, v48, v218
	v_fmac_f32_e32 v55, v49, v217
	v_add_f32_e32 v54, v54, v55
	s_waitcnt vmcnt(26) lgkmcnt(0)
	v_mul_f32_e32 v55, v50, v220
	v_fmac_f32_e32 v55, v51, v219
	;; [unrolled: 18-line block ×4, first 2 shown]
	s_waitcnt vmcnt(8)
	v_mul_f32_e32 v75, v68, v238
	v_add_f32_e32 v74, v70, v71
	v_fmac_f32_e32 v75, v69, v237
	ds_read2_b64 v[70:73], v28 offset0:91 offset1:92
	v_add_f32_e32 v79, v74, v75
	ds_read2_b64 v[74:77], v28 offset0:93 offset1:94
	buffer_load_dword v83, off, s[0:3], 0 offset:364
	buffer_load_dword v82, off, s[0:3], 0 offset:360
	;; [unrolled: 1-line block ×16, first 2 shown]
	v_mul_f32_e32 v1, v23, v1
	v_fma_f32 v1, v22, v106, -v1
	v_mul_f32_e32 v22, v25, v29
	v_add_f32_e32 v1, 0, v1
	v_fma_f32 v22, v24, v105, -v22
	v_mul_f32_e32 v19, v19, v100
	v_add_f32_e32 v1, v1, v22
	v_fma_f32 v18, v18, v104, -v19
	v_add_f32_e32 v1, v1, v18
	v_mul_f32_e32 v18, v21, v78
	v_fma_f32 v18, v20, v190, -v18
	v_mul_f32_e32 v15, v15, v80
	v_add_f32_e32 v1, v1, v18
	v_fma_f32 v14, v14, v189, -v15
	v_add_f32_e32 v1, v1, v14
	v_mul_f32_e32 v14, v17, v88
	;; [unrolled: 6-line block ×5, first 2 shown]
	v_fma_f32 v2, v4, v197, -v2
	v_add_f32_e32 v1, v1, v2
	v_mul_f32_e32 v2, v31, v200
	v_fma_f32 v2, v30, v199, -v2
	v_add_f32_e32 v1, v1, v2
	v_mul_f32_e32 v2, v33, v202
	;; [unrolled: 3-line block ×20, first 2 shown]
	v_fma_f32 v2, v68, v237, -v2
	v_add_f32_e32 v1, v1, v2
	s_waitcnt vmcnt(22) lgkmcnt(1)
	v_mul_f32_e32 v2, v71, v240
	v_mul_f32_e32 v81, v70, v240
	v_fma_f32 v2, v70, v239, -v2
	v_fmac_f32_e32 v81, v71, v239
	v_add_f32_e32 v1, v1, v2
	s_waitcnt vmcnt(20)
	v_mul_f32_e32 v2, v73, v242
	v_add_f32_e32 v79, v79, v81
	v_mul_f32_e32 v81, v72, v242
	v_fma_f32 v2, v72, v241, -v2
	v_fmac_f32_e32 v81, v73, v241
	v_add_f32_e32 v78, v1, v2
	ds_read2_b64 v[2:5], v28 offset0:95 offset1:96
	ds_read2_b64 v[6:9], v28 offset0:97 offset1:98
	;; [unrolled: 1-line block ×4, first 2 shown]
	v_add_f32_e32 v79, v79, v81
	s_waitcnt vmcnt(18) lgkmcnt(4)
	v_mul_f32_e32 v81, v74, v244
	v_mul_f32_e32 v1, v75, v244
	s_waitcnt vmcnt(11)
	v_mov_b32_e32 v20, v87
	v_fmac_f32_e32 v81, v75, v243
	v_mul_f32_e32 v89, v76, v246
	v_fma_f32 v80, v74, v243, -v1
	v_mul_f32_e32 v1, v77, v246
	s_waitcnt lgkmcnt(3)
	v_pk_mul_f32 v[20:21], v[2:3], v[20:21] op_sel_hi:[1,0]
	v_fmac_f32_e32 v89, v77, v245
	v_fma_f32 v88, v76, v245, -v1
	v_pk_add_f32 v[18:19], v[78:79], v[80:81]
	s_waitcnt vmcnt(10)
	v_pk_fma_f32 v[22:23], v[2:3], v[86:87], v[20:21] op_sel:[0,0,1] op_sel_hi:[1,1,0] neg_lo:[0,0,1] neg_hi:[0,0,1]
	v_pk_fma_f32 v[2:3], v[2:3], v[86:87], v[20:21] op_sel:[0,0,1] op_sel_hi:[1,0,0]
	v_pk_add_f32 v[18:19], v[18:19], v[88:89]
	v_mov_b32_e32 v23, v3
	v_pk_add_f32 v[2:3], v[18:19], v[22:23]
	v_mov_b32_e32 v18, v85
	v_pk_mul_f32 v[18:19], v[4:5], v[18:19] op_sel_hi:[1,0]
	v_pk_fma_f32 v[20:21], v[4:5], v[84:85], v[18:19] op_sel:[0,0,1] op_sel_hi:[1,1,0] neg_lo:[0,0,1] neg_hi:[0,0,1]
	v_pk_fma_f32 v[4:5], v[4:5], v[84:85], v[18:19] op_sel:[0,0,1] op_sel_hi:[1,0,0]
	v_mov_b32_e32 v4, v83
	v_mov_b32_e32 v21, v5
	s_waitcnt lgkmcnt(2)
	v_pk_mul_f32 v[4:5], v[6:7], v[4:5] op_sel_hi:[1,0]
	v_pk_fma_f32 v[18:19], v[6:7], v[82:83], v[4:5] op_sel:[0,0,1] op_sel_hi:[1,1,0] neg_lo:[0,0,1] neg_hi:[0,0,1]
	v_pk_fma_f32 v[4:5], v[6:7], v[82:83], v[4:5] op_sel:[0,0,1] op_sel_hi:[1,0,0]
	s_waitcnt vmcnt(3)
	v_mov_b32_e32 v4, v97
	v_mov_b32_e32 v19, v5
	v_pk_mul_f32 v[4:5], v[8:9], v[4:5] op_sel_hi:[1,0]
	s_waitcnt vmcnt(2)
	v_pk_fma_f32 v[6:7], v[8:9], v[96:97], v[4:5] op_sel:[0,0,1] op_sel_hi:[1,1,0] neg_lo:[0,0,1] neg_hi:[0,0,1]
	v_pk_fma_f32 v[4:5], v[8:9], v[96:97], v[4:5] op_sel:[0,0,1] op_sel_hi:[1,0,0]
	v_pk_add_f32 v[2:3], v[2:3], v[20:21]
	v_mov_b32_e32 v4, v95
	v_pk_add_f32 v[2:3], v[2:3], v[18:19]
	v_mov_b32_e32 v7, v5
	s_waitcnt lgkmcnt(1)
	v_pk_mul_f32 v[4:5], v[10:11], v[4:5] op_sel_hi:[1,0]
	v_pk_add_f32 v[2:3], v[2:3], v[6:7]
	v_pk_fma_f32 v[6:7], v[10:11], v[94:95], v[4:5] op_sel:[0,0,1] op_sel_hi:[1,1,0] neg_lo:[0,0,1] neg_hi:[0,0,1]
	v_pk_fma_f32 v[4:5], v[10:11], v[94:95], v[4:5] op_sel:[0,0,1] op_sel_hi:[1,0,0]
	v_mov_b32_e32 v4, v93
	v_mov_b32_e32 v7, v5
	v_pk_mul_f32 v[4:5], v[12:13], v[4:5] op_sel_hi:[1,0]
	v_pk_add_f32 v[2:3], v[2:3], v[6:7]
	v_pk_fma_f32 v[6:7], v[12:13], v[92:93], v[4:5] op_sel:[0,0,1] op_sel_hi:[1,1,0] neg_lo:[0,0,1] neg_hi:[0,0,1]
	v_pk_fma_f32 v[4:5], v[12:13], v[92:93], v[4:5] op_sel:[0,0,1] op_sel_hi:[1,0,0]
	v_mov_b32_e32 v4, v91
	v_mov_b32_e32 v7, v5
	s_waitcnt lgkmcnt(0)
	v_pk_mul_f32 v[4:5], v[14:15], v[4:5] op_sel_hi:[1,0]
	v_pk_add_f32 v[2:3], v[2:3], v[6:7]
	v_pk_fma_f32 v[6:7], v[14:15], v[90:91], v[4:5] op_sel:[0,0,1] op_sel_hi:[1,1,0] neg_lo:[0,0,1] neg_hi:[0,0,1]
	v_pk_fma_f32 v[4:5], v[14:15], v[90:91], v[4:5] op_sel:[0,0,1] op_sel_hi:[1,0,0]
	s_waitcnt vmcnt(1)
	v_mov_b32_e32 v4, v99
	v_mov_b32_e32 v7, v5
	v_pk_mul_f32 v[4:5], v[16:17], v[4:5] op_sel_hi:[1,0]
	v_pk_add_f32 v[2:3], v[2:3], v[6:7]
	s_waitcnt vmcnt(0)
	v_pk_fma_f32 v[6:7], v[16:17], v[98:99], v[4:5] op_sel:[0,0,1] op_sel_hi:[1,1,0] neg_lo:[0,0,1] neg_hi:[0,0,1]
	v_pk_fma_f32 v[4:5], v[16:17], v[98:99], v[4:5] op_sel:[0,0,1] op_sel_hi:[1,0,0]
	v_mov_b32_e32 v7, v5
	v_pk_add_f32 v[2:3], v[2:3], v[6:7]
	v_pk_add_f32 v[2:3], v[26:27], v[2:3] neg_lo:[0,1] neg_hi:[0,1]
	buffer_store_dword v3, off, s[0:3], 0 offset:52
	buffer_store_dword v2, off, s[0:3], 0 offset:48
	s_and_saveexec_b64 s[4:5], vcc
	s_cbranch_execz .LBB50_309
; %bb.308:
	buffer_load_dword v2, off, s[0:3], 0 offset:40
	buffer_load_dword v3, off, s[0:3], 0 offset:44
	v_mov_b32_e32 v1, 0
	buffer_store_dword v1, off, s[0:3], 0 offset:40
	buffer_store_dword v1, off, s[0:3], 0 offset:44
	s_waitcnt vmcnt(2)
	ds_write_b64 v121, v[2:3]
.LBB50_309:
	s_or_b64 exec, exec, s[4:5]
	v_mov_b32_e32 v204, 0
	s_waitcnt lgkmcnt(0)
	; wave barrier
	s_waitcnt lgkmcnt(0)
	ds_read_b128 v[14:17], v204 offset:464
	ds_read_b128 v[10:13], v204 offset:480
	;; [unrolled: 1-line block ×4, first 2 shown]
	buffer_load_dword v78, off, s[0:3], 0 offset:40
	buffer_load_dword v79, off, s[0:3], 0 offset:44
	;; [unrolled: 1-line block ×18, first 2 shown]
	v_cmp_lt_u32_e32 vcc, 4, v0
	s_waitcnt vmcnt(14) lgkmcnt(3)
	v_mul_f32_e32 v1, v14, v205
	v_fmac_f32_e32 v1, v15, v80
	s_waitcnt vmcnt(12)
	v_mul_f32_e32 v18, v16, v207
	v_add_f32_e32 v1, 0, v1
	v_fmac_f32_e32 v18, v17, v82
	v_add_f32_e32 v1, v1, v18
	s_waitcnt vmcnt(10) lgkmcnt(2)
	v_mul_f32_e32 v18, v10, v209
	v_fmac_f32_e32 v18, v11, v188
	v_add_f32_e32 v1, v1, v18
	s_waitcnt vmcnt(8)
	v_mul_f32_e32 v18, v12, v211
	v_fmac_f32_e32 v18, v13, v206
	v_add_f32_e32 v1, v1, v18
	s_waitcnt vmcnt(6) lgkmcnt(1)
	v_mul_f32_e32 v18, v6, v213
	v_fmac_f32_e32 v18, v7, v208
	v_add_f32_e32 v1, v1, v18
	s_waitcnt vmcnt(4)
	v_mul_f32_e32 v18, v8, v214
	v_fmac_f32_e32 v18, v9, v210
	v_add_f32_e32 v1, v1, v18
	s_waitcnt vmcnt(2) lgkmcnt(0)
	v_mul_f32_e32 v18, v2, v215
	v_fmac_f32_e32 v18, v3, v212
	v_add_f32_e32 v1, v1, v18
	s_waitcnt vmcnt(0)
	v_mul_f32_e32 v18, v4, v217
	v_fmac_f32_e32 v18, v5, v216
	v_add_f32_e32 v1, v1, v18
	ds_read_b128 v[18:21], v204 offset:528
	buffer_load_dword v218, off, s[0:3], 0 offset:112
	buffer_load_dword v219, off, s[0:3], 0 offset:116
	;; [unrolled: 1-line block ×4, first 2 shown]
	v_mul_f32_e32 v15, v15, v205
	v_fma_f32 v14, v14, v80, -v15
	v_mul_f32_e32 v15, v17, v207
	v_add_f32_e32 v14, 0, v14
	v_fma_f32 v15, v16, v82, -v15
	v_mul_f32_e32 v11, v11, v209
	v_add_f32_e32 v14, v14, v15
	v_fma_f32 v10, v10, v188, -v11
	v_mul_f32_e32 v11, v13, v211
	v_add_f32_e32 v10, v14, v10
	v_fma_f32 v11, v12, v206, -v11
	v_mul_f32_e32 v7, v7, v213
	v_add_f32_e32 v10, v10, v11
	v_fma_f32 v6, v6, v208, -v7
	v_mul_f32_e32 v7, v9, v214
	v_add_f32_e32 v6, v10, v6
	v_fma_f32 v7, v8, v210, -v7
	v_mul_f32_e32 v3, v3, v215
	v_add_f32_e32 v6, v6, v7
	v_fma_f32 v2, v2, v212, -v3
	v_mul_f32_e32 v3, v5, v217
	v_add_f32_e32 v2, v6, v2
	v_fma_f32 v3, v4, v216, -v3
	v_add_f32_e32 v2, v2, v3
	s_waitcnt vmcnt(2) lgkmcnt(0)
	v_mul_f32_e32 v22, v18, v219
	v_fmac_f32_e32 v22, v19, v218
	v_add_f32_e32 v1, v1, v22
	s_waitcnt vmcnt(0)
	v_mul_f32_e32 v22, v20, v221
	v_fmac_f32_e32 v22, v21, v220
	v_add_f32_e32 v1, v1, v22
	ds_read_b128 v[22:25], v204 offset:544
	buffer_load_dword v222, off, s[0:3], 0 offset:128
	buffer_load_dword v223, off, s[0:3], 0 offset:132
	buffer_load_dword v224, off, s[0:3], 0 offset:136
	buffer_load_dword v225, off, s[0:3], 0 offset:140
	ds_read_b128 v[30:33], v204 offset:560
	buffer_load_dword v226, off, s[0:3], 0 offset:144
	buffer_load_dword v227, off, s[0:3], 0 offset:148
	buffer_load_dword v228, off, s[0:3], 0 offset:152
	buffer_load_dword v229, off, s[0:3], 0 offset:156
	;; [unrolled: 5-line block ×5, first 2 shown]
	ds_read_b128 v[46:49], v204 offset:624
	v_mul_f32_e32 v3, v19, v219
	v_fma_f32 v3, v18, v218, -v3
	v_add_f32_e32 v2, v2, v3
	v_mul_f32_e32 v3, v21, v221
	v_fma_f32 v3, v20, v220, -v3
	v_add_f32_e32 v2, v2, v3
	s_waitcnt vmcnt(18) lgkmcnt(5)
	v_mul_f32_e32 v26, v22, v223
	v_fmac_f32_e32 v26, v23, v222
	v_add_f32_e32 v1, v1, v26
	s_waitcnt vmcnt(16)
	v_mul_f32_e32 v26, v24, v225
	v_fmac_f32_e32 v26, v25, v224
	v_add_f32_e32 v1, v1, v26
	s_waitcnt vmcnt(14) lgkmcnt(4)
	v_mul_f32_e32 v26, v30, v227
	v_fmac_f32_e32 v26, v31, v226
	v_add_f32_e32 v1, v1, v26
	s_waitcnt vmcnt(12)
	v_mul_f32_e32 v26, v32, v229
	v_fmac_f32_e32 v26, v33, v228
	;; [unrolled: 8-line block ×5, first 2 shown]
	v_add_f32_e32 v26, v1, v26
	buffer_load_dword v1, off, s[0:3], 0 offset:208
	buffer_load_dword v86, off, s[0:3], 0 offset:212
	buffer_load_dword v87, off, s[0:3], 0 offset:216
	buffer_load_dword v242, off, s[0:3], 0 offset:220
	ds_read_b128 v[50:53], v204 offset:640
	buffer_load_dword v88, off, s[0:3], 0 offset:224
	buffer_load_dword v89, off, s[0:3], 0 offset:228
	buffer_load_dword v90, off, s[0:3], 0 offset:232
	buffer_load_dword v91, off, s[0:3], 0 offset:236
	ds_read_b128 v[54:57], v204 offset:656
	;; [unrolled: 5-line block ×7, first 2 shown]
	buffer_load_dword v247, off, s[0:3], 0 offset:320
	buffer_load_dword v248, off, s[0:3], 0 offset:324
	;; [unrolled: 1-line block ×4, first 2 shown]
	v_mul_f32_e32 v3, v23, v223
	v_fma_f32 v3, v22, v222, -v3
	v_add_f32_e32 v2, v2, v3
	v_mul_f32_e32 v3, v25, v225
	v_fma_f32 v3, v24, v224, -v3
	v_add_f32_e32 v2, v2, v3
	;; [unrolled: 3-line block ×10, first 2 shown]
	s_waitcnt vmcnt(30) lgkmcnt(7)
	v_mul_f32_e32 v27, v46, v86
	v_fmac_f32_e32 v27, v47, v1
	v_add_f32_e32 v26, v26, v27
	s_waitcnt vmcnt(28)
	v_mul_f32_e32 v27, v48, v242
	v_fmac_f32_e32 v27, v49, v87
	v_add_f32_e32 v26, v26, v27
	s_waitcnt vmcnt(26) lgkmcnt(6)
	v_mul_f32_e32 v27, v50, v89
	v_fmac_f32_e32 v27, v51, v88
	v_add_f32_e32 v26, v26, v27
	s_waitcnt vmcnt(24)
	v_mul_f32_e32 v27, v52, v91
	v_fmac_f32_e32 v27, v53, v90
	v_add_f32_e32 v26, v26, v27
	;; [unrolled: 8-line block ×7, first 2 shown]
	s_waitcnt vmcnt(2) lgkmcnt(0)
	v_mul_f32_e32 v27, v74, v248
	v_fmac_f32_e32 v27, v75, v247
	v_add_f32_e32 v81, v26, v27
	ds_read_b128 v[26:29], v204 offset:752
	buffer_load_dword v251, off, s[0:3], 0 offset:336
	buffer_load_dword v252, off, s[0:3], 0 offset:340
	;; [unrolled: 1-line block ×18, first 2 shown]
	v_mul_f32_e32 v3, v47, v86
	v_fma_f32 v1, v46, v1, -v3
	v_add_f32_e32 v1, v2, v1
	v_mul_f32_e32 v2, v49, v242
	v_fma_f32 v2, v48, v87, -v2
	v_add_f32_e32 v1, v1, v2
	;; [unrolled: 3-line block ×14, first 2 shown]
	v_mul_f32_e32 v2, v75, v248
	v_fma_f32 v2, v74, v247, -v2
	s_waitcnt vmcnt(18)
	v_mul_f32_e32 v83, v76, v250
	v_add_f32_e32 v80, v1, v2
	v_mul_f32_e32 v1, v77, v250
	v_fmac_f32_e32 v83, v77, v249
	v_fma_f32 v82, v76, v249, -v1
	ds_read_b128 v[2:5], v204 offset:768
	ds_read_b128 v[6:9], v204 offset:784
	;; [unrolled: 1-line block ×3, first 2 shown]
	ds_read_b64 v[14:15], v204 offset:816
	v_pk_add_f32 v[16:17], v[80:81], v[82:83]
	s_waitcnt vmcnt(15)
	v_mov_b32_e32 v18, v85
	s_waitcnt lgkmcnt(4)
	v_pk_mul_f32 v[18:19], v[28:29], v[18:19] op_sel_hi:[1,0]
	s_waitcnt vmcnt(14)
	v_pk_fma_f32 v[20:21], v[28:29], v[84:85], v[18:19] op_sel:[0,0,1] op_sel_hi:[1,1,0] neg_lo:[0,0,1] neg_hi:[0,0,1]
	v_pk_fma_f32 v[18:19], v[28:29], v[84:85], v[18:19] op_sel:[0,0,1] op_sel_hi:[1,0,0]
	s_waitcnt vmcnt(13)
	v_mov_b32_e32 v18, v203
	v_mov_b32_e32 v21, v19
	s_waitcnt lgkmcnt(3)
	v_pk_mul_f32 v[18:19], v[2:3], v[18:19] op_sel_hi:[1,0]
	v_mul_f32_e32 v189, v26, v252
	v_mul_f32_e32 v1, v27, v252
	v_fmac_f32_e32 v189, v27, v251
	v_fma_f32 v188, v26, v251, -v1
	v_pk_add_f32 v[16:17], v[16:17], v[188:189]
	v_pk_add_f32 v[16:17], v[16:17], v[20:21]
	s_waitcnt vmcnt(12)
	v_pk_fma_f32 v[20:21], v[2:3], v[202:203], v[18:19] op_sel:[0,0,1] op_sel_hi:[1,1,0] neg_lo:[0,0,1] neg_hi:[0,0,1]
	v_pk_fma_f32 v[2:3], v[2:3], v[202:203], v[18:19] op_sel:[0,0,1] op_sel_hi:[1,0,0]
	v_mov_b32_e32 v21, v3
	v_pk_add_f32 v[2:3], v[16:17], v[20:21]
	s_waitcnt vmcnt(11)
	v_mov_b32_e32 v16, v201
	v_pk_mul_f32 v[16:17], v[4:5], v[16:17] op_sel_hi:[1,0]
	s_waitcnt vmcnt(10)
	v_pk_fma_f32 v[18:19], v[4:5], v[200:201], v[16:17] op_sel:[0,0,1] op_sel_hi:[1,1,0] neg_lo:[0,0,1] neg_hi:[0,0,1]
	v_pk_fma_f32 v[4:5], v[4:5], v[200:201], v[16:17] op_sel:[0,0,1] op_sel_hi:[1,0,0]
	s_waitcnt vmcnt(9)
	v_mov_b32_e32 v4, v199
	v_mov_b32_e32 v19, v5
	s_waitcnt lgkmcnt(2)
	v_pk_mul_f32 v[4:5], v[6:7], v[4:5] op_sel_hi:[1,0]
	s_waitcnt vmcnt(8)
	v_pk_fma_f32 v[16:17], v[6:7], v[198:199], v[4:5] op_sel:[0,0,1] op_sel_hi:[1,1,0] neg_lo:[0,0,1] neg_hi:[0,0,1]
	v_pk_fma_f32 v[4:5], v[6:7], v[198:199], v[4:5] op_sel:[0,0,1] op_sel_hi:[1,0,0]
	s_waitcnt vmcnt(7)
	v_mov_b32_e32 v4, v197
	v_mov_b32_e32 v17, v5
	v_pk_mul_f32 v[4:5], v[8:9], v[4:5] op_sel_hi:[1,0]
	s_waitcnt vmcnt(6)
	v_pk_fma_f32 v[6:7], v[8:9], v[196:197], v[4:5] op_sel:[0,0,1] op_sel_hi:[1,1,0] neg_lo:[0,0,1] neg_hi:[0,0,1]
	v_pk_fma_f32 v[4:5], v[8:9], v[196:197], v[4:5] op_sel:[0,0,1] op_sel_hi:[1,0,0]
	v_pk_add_f32 v[2:3], v[2:3], v[18:19]
	s_waitcnt vmcnt(5)
	v_mov_b32_e32 v4, v195
	v_pk_add_f32 v[2:3], v[2:3], v[16:17]
	v_mov_b32_e32 v7, v5
	s_waitcnt lgkmcnt(1)
	v_pk_mul_f32 v[4:5], v[10:11], v[4:5] op_sel_hi:[1,0]
	v_pk_add_f32 v[2:3], v[2:3], v[6:7]
	s_waitcnt vmcnt(4)
	v_pk_fma_f32 v[6:7], v[10:11], v[194:195], v[4:5] op_sel:[0,0,1] op_sel_hi:[1,1,0] neg_lo:[0,0,1] neg_hi:[0,0,1]
	v_pk_fma_f32 v[4:5], v[10:11], v[194:195], v[4:5] op_sel:[0,0,1] op_sel_hi:[1,0,0]
	s_waitcnt vmcnt(3)
	v_mov_b32_e32 v4, v193
	v_mov_b32_e32 v7, v5
	v_pk_mul_f32 v[4:5], v[12:13], v[4:5] op_sel_hi:[1,0]
	v_pk_add_f32 v[2:3], v[2:3], v[6:7]
	s_waitcnt vmcnt(2)
	v_pk_fma_f32 v[6:7], v[12:13], v[192:193], v[4:5] op_sel:[0,0,1] op_sel_hi:[1,1,0] neg_lo:[0,0,1] neg_hi:[0,0,1]
	v_pk_fma_f32 v[4:5], v[12:13], v[192:193], v[4:5] op_sel:[0,0,1] op_sel_hi:[1,0,0]
	s_waitcnt vmcnt(1)
	v_mov_b32_e32 v4, v191
	v_mov_b32_e32 v7, v5
	s_waitcnt lgkmcnt(0)
	v_pk_mul_f32 v[4:5], v[14:15], v[4:5] op_sel_hi:[1,0]
	v_pk_add_f32 v[2:3], v[2:3], v[6:7]
	s_waitcnt vmcnt(0)
	v_pk_fma_f32 v[6:7], v[14:15], v[190:191], v[4:5] op_sel:[0,0,1] op_sel_hi:[1,1,0] neg_lo:[0,0,1] neg_hi:[0,0,1]
	v_pk_fma_f32 v[4:5], v[14:15], v[190:191], v[4:5] op_sel:[0,0,1] op_sel_hi:[1,0,0]
	v_mov_b32_e32 v7, v5
	v_pk_add_f32 v[2:3], v[2:3], v[6:7]
	v_pk_add_f32 v[2:3], v[78:79], v[2:3] neg_lo:[0,1] neg_hi:[0,1]
	buffer_store_dword v3, off, s[0:3], 0 offset:44
	buffer_store_dword v2, off, s[0:3], 0 offset:40
	s_and_saveexec_b64 s[4:5], vcc
	s_cbranch_execz .LBB50_311
; %bb.310:
	buffer_load_dword v2, off, s[0:3], 0 offset:32
	buffer_load_dword v3, off, s[0:3], 0 offset:36
	s_waitcnt vmcnt(0)
	ds_write_b64 v121, v[2:3]
	buffer_store_dword v204, off, s[0:3], 0 offset:32
	buffer_store_dword v204, off, s[0:3], 0 offset:36
.LBB50_311:
	s_or_b64 exec, exec, s[4:5]
	s_waitcnt lgkmcnt(0)
	; wave barrier
	s_waitcnt lgkmcnt(0)
	buffer_load_dword v90, off, s[0:3], 0 offset:44
	buffer_load_dword v92, off, s[0:3], 0 offset:52
	;; [unrolled: 1-line block ×32, first 2 shown]
	ds_read2_b64 v[22:25], v204 offset0:57 offset1:58
	ds_read2_b64 v[18:21], v204 offset0:59 offset1:60
	;; [unrolled: 1-line block ×6, first 2 shown]
	buffer_load_dword v213, off, s[0:3], 0 offset:160
	buffer_load_dword v214, off, s[0:3], 0 offset:164
	;; [unrolled: 1-line block ×32, first 2 shown]
	v_cmp_lt_u32_e32 vcc, 3, v0
	s_waitcnt vmcnt(62) lgkmcnt(5)
	v_mul_f32_e32 v31, v22, v90
	v_mul_f32_e32 v32, v24, v92
	s_waitcnt vmcnt(61) lgkmcnt(4)
	v_mul_f32_e32 v34, v20, v30
	s_waitcnt vmcnt(60) lgkmcnt(3)
	v_mul_f32_e32 v35, v14, v29
	s_waitcnt vmcnt(59)
	v_mul_f32_e32 v36, v16, v1
	s_waitcnt vmcnt(58)
	v_mul_f32_e32 v33, v18, v188
	s_waitcnt vmcnt(57) lgkmcnt(2)
	v_mul_f32_e32 v37, v10, v28
	s_waitcnt vmcnt(56)
	v_mul_f32_e32 v38, v12, v189
	s_waitcnt vmcnt(55) lgkmcnt(1)
	v_mul_f32_e32 v39, v6, v190
	s_waitcnt vmcnt(54)
	v_mul_f32_e32 v40, v8, v191
	s_waitcnt vmcnt(53)
	v_fmac_f32_e32 v33, v19, v192
	s_waitcnt vmcnt(52)
	v_fmac_f32_e32 v32, v25, v193
	;; [unrolled: 2-line block ×3, first 2 shown]
	v_add_f32_e32 v31, 0, v31
	v_add_f32_e32 v31, v31, v32
	;; [unrolled: 1-line block ×3, first 2 shown]
	s_waitcnt vmcnt(47)
	v_fmac_f32_e32 v34, v21, v198
	v_fmac_f32_e32 v35, v15, v197
	v_add_f32_e32 v31, v31, v34
	v_fmac_f32_e32 v36, v17, v196
	v_add_f32_e32 v31, v31, v35
	;; [unrolled: 2-line block ×3, first 2 shown]
	s_waitcnt vmcnt(43)
	v_fmac_f32_e32 v38, v13, v202
	v_add_f32_e32 v31, v31, v37
	v_fmac_f32_e32 v39, v7, v201
	v_add_f32_e32 v31, v31, v38
	;; [unrolled: 2-line block ×3, first 2 shown]
	s_waitcnt vmcnt(42) lgkmcnt(0)
	v_mul_f32_e32 v32, v2, v203
	v_add_f32_e32 v31, v31, v40
	v_fmac_f32_e32 v32, v3, v199
	v_add_f32_e32 v31, v31, v32
	ds_read2_b64 v[32:35], v204 offset0:69 offset1:70
	buffer_load_dword v245, off, s[0:3], 0 offset:288
	buffer_load_dword v246, off, s[0:3], 0 offset:292
	s_waitcnt vmcnt(43)
	v_mul_f32_e32 v36, v4, v205
	s_waitcnt vmcnt(36)
	v_fmac_f32_e32 v36, v5, v212
	v_add_f32_e32 v31, v31, v36
	ds_read2_b64 v[36:39], v204 offset0:71 offset1:72
	buffer_load_dword v247, off, s[0:3], 0 offset:296
	buffer_load_dword v248, off, s[0:3], 0 offset:300
	;; [unrolled: 1-line block ×8, first 2 shown]
	s_waitcnt lgkmcnt(1)
	v_mul_f32_e32 v40, v32, v207
	v_fmac_f32_e32 v40, v33, v206
	v_add_f32_e32 v31, v31, v40
	v_mul_f32_e32 v40, v34, v209
	v_fmac_f32_e32 v40, v35, v208
	v_add_f32_e32 v31, v31, v40
	s_waitcnt lgkmcnt(0)
	v_mul_f32_e32 v40, v36, v211
	v_fmac_f32_e32 v40, v37, v210
	v_add_f32_e32 v31, v31, v40
	buffer_load_dword v255, off, s[0:3], 0 offset:328
	buffer_load_dword v108, off, s[0:3], 0 offset:332
	;; [unrolled: 1-line block ×4, first 2 shown]
	ds_read2_b64 v[40:43], v204 offset0:73 offset1:74
	s_waitcnt vmcnt(44)
	v_mul_f32_e32 v44, v38, v214
	v_fmac_f32_e32 v44, v39, v213
	v_add_f32_e32 v31, v31, v44
	ds_read2_b64 v[44:47], v204 offset0:75 offset1:76
	s_waitcnt vmcnt(42) lgkmcnt(1)
	v_mul_f32_e32 v48, v40, v216
	v_fmac_f32_e32 v48, v41, v215
	v_add_f32_e32 v31, v31, v48
	s_waitcnt vmcnt(40)
	v_mul_f32_e32 v48, v42, v218
	v_fmac_f32_e32 v48, v43, v217
	v_add_f32_e32 v31, v31, v48
	s_waitcnt vmcnt(38) lgkmcnt(0)
	v_mul_f32_e32 v48, v44, v220
	v_fmac_f32_e32 v48, v45, v219
	v_add_f32_e32 v31, v31, v48
	ds_read2_b64 v[48:51], v204 offset0:77 offset1:78
	s_waitcnt vmcnt(36)
	v_mul_f32_e32 v52, v46, v222
	v_fmac_f32_e32 v52, v47, v221
	v_add_f32_e32 v31, v31, v52
	ds_read2_b64 v[52:55], v204 offset0:79 offset1:80
	s_waitcnt vmcnt(34) lgkmcnt(1)
	v_mul_f32_e32 v56, v48, v224
	v_fmac_f32_e32 v56, v49, v223
	v_add_f32_e32 v31, v31, v56
	s_waitcnt vmcnt(32)
	v_mul_f32_e32 v56, v50, v226
	v_fmac_f32_e32 v56, v51, v225
	v_add_f32_e32 v31, v31, v56
	s_waitcnt vmcnt(30) lgkmcnt(0)
	v_mul_f32_e32 v56, v52, v228
	v_fmac_f32_e32 v56, v53, v227
	v_add_f32_e32 v31, v31, v56
	;; [unrolled: 18-line block ×4, first 2 shown]
	ds_read2_b64 v[72:75], v204 offset0:89 offset1:90
	v_mul_f32_e32 v23, v23, v90
	v_fma_f32 v22, v22, v194, -v23
	v_mul_f32_e32 v23, v25, v92
	v_add_f32_e32 v22, 0, v22
	s_waitcnt vmcnt(12)
	v_mul_f32_e32 v76, v70, v246
	v_fmac_f32_e32 v76, v71, v245
	v_add_f32_e32 v31, v31, v76
	ds_read2_b64 v[76:79], v204 offset0:91 offset1:92
	buffer_load_dword v89, off, s[0:3], 0 offset:348
	buffer_load_dword v88, off, s[0:3], 0 offset:344
	s_waitcnt vmcnt(12) lgkmcnt(1)
	v_mul_f32_e32 v80, v72, v248
	v_fmac_f32_e32 v80, v73, v247
	v_add_f32_e32 v31, v31, v80
	s_waitcnt vmcnt(10)
	v_mul_f32_e32 v80, v74, v250
	v_fmac_f32_e32 v80, v75, v249
	v_add_f32_e32 v31, v31, v80
	s_waitcnt vmcnt(8) lgkmcnt(0)
	v_mul_f32_e32 v80, v76, v252
	v_fmac_f32_e32 v80, v77, v251
	s_waitcnt vmcnt(6)
	v_mul_f32_e32 v84, v78, v254
	v_add_f32_e32 v31, v31, v80
	v_fmac_f32_e32 v84, v79, v253
	ds_read2_b64 v[80:83], v204 offset0:93 offset1:94
	v_add_f32_e32 v31, v31, v84
	ds_read2_b64 v[84:87], v204 offset0:95 offset1:96
	buffer_load_dword v95, off, s[0:3], 0 offset:380
	buffer_load_dword v94, off, s[0:3], 0 offset:376
	;; [unrolled: 1-line block ×14, first 2 shown]
	v_fma_f32 v23, v24, v193, -v23
	v_mul_f32_e32 v19, v19, v188
	v_add_f32_e32 v22, v22, v23
	v_fma_f32 v18, v18, v192, -v19
	v_mul_f32_e32 v19, v21, v30
	v_add_f32_e32 v18, v22, v18
	v_fma_f32 v19, v20, v198, -v19
	v_mul_f32_e32 v15, v15, v29
	v_add_f32_e32 v18, v18, v19
	v_fma_f32 v14, v14, v197, -v15
	v_mul_f32_e32 v1, v17, v1
	v_add_f32_e32 v14, v18, v14
	v_fma_f32 v1, v16, v196, -v1
	v_mul_f32_e32 v11, v11, v28
	v_add_f32_e32 v1, v14, v1
	v_fma_f32 v10, v10, v195, -v11
	v_add_f32_e32 v1, v1, v10
	v_mul_f32_e32 v10, v13, v189
	v_fma_f32 v10, v12, v202, -v10
	v_mul_f32_e32 v7, v7, v190
	v_add_f32_e32 v1, v1, v10
	v_fma_f32 v6, v6, v201, -v7
	v_add_f32_e32 v1, v1, v6
	v_mul_f32_e32 v6, v9, v191
	v_fma_f32 v6, v8, v200, -v6
	v_mul_f32_e32 v3, v3, v203
	v_add_f32_e32 v1, v1, v6
	v_fma_f32 v2, v2, v199, -v3
	v_add_f32_e32 v1, v1, v2
	v_mul_f32_e32 v2, v5, v205
	v_fma_f32 v2, v4, v212, -v2
	v_add_f32_e32 v1, v1, v2
	v_mul_f32_e32 v2, v33, v207
	;; [unrolled: 3-line block ×25, first 2 shown]
	v_fma_f32 v2, v78, v253, -v2
	s_waitcnt vmcnt(15)
	v_mov_b32_e32 v16, v89
	s_waitcnt lgkmcnt(1)
	v_mul_f32_e32 v91, v80, v108
	v_add_f32_e32 v30, v1, v2
	v_mul_f32_e32 v1, v81, v108
	s_waitcnt lgkmcnt(0)
	v_pk_mul_f32 v[16:17], v[84:85], v[16:17] op_sel_hi:[1,0]
	v_fmac_f32_e32 v91, v81, v255
	v_mul_f32_e32 v93, v82, v110
	v_fma_f32 v90, v80, v255, -v1
	v_mul_f32_e32 v1, v83, v110
	s_waitcnt vmcnt(14)
	v_pk_fma_f32 v[18:19], v[84:85], v[88:89], v[16:17] op_sel:[0,0,1] op_sel_hi:[1,1,0] neg_lo:[0,0,1] neg_hi:[0,0,1]
	v_pk_fma_f32 v[16:17], v[84:85], v[88:89], v[16:17] op_sel:[0,0,1] op_sel_hi:[1,0,0]
	v_fmac_f32_e32 v93, v83, v109
	v_fma_f32 v92, v82, v109, -v1
	v_pk_add_f32 v[14:15], v[30:31], v[90:91]
	s_waitcnt vmcnt(7)
	v_mov_b32_e32 v16, v101
	ds_read2_b64 v[2:5], v204 offset0:97 offset1:98
	ds_read2_b64 v[6:9], v204 offset0:99 offset1:100
	;; [unrolled: 1-line block ×3, first 2 shown]
	v_pk_add_f32 v[14:15], v[14:15], v[92:93]
	v_mov_b32_e32 v19, v17
	v_pk_mul_f32 v[16:17], v[86:87], v[16:17] op_sel_hi:[1,0]
	v_pk_add_f32 v[14:15], v[14:15], v[18:19]
	s_waitcnt vmcnt(6)
	v_pk_fma_f32 v[18:19], v[86:87], v[100:101], v[16:17] op_sel:[0,0,1] op_sel_hi:[1,1,0] neg_lo:[0,0,1] neg_hi:[0,0,1]
	v_pk_fma_f32 v[16:17], v[86:87], v[100:101], v[16:17] op_sel:[0,0,1] op_sel_hi:[1,0,0]
	v_mov_b32_e32 v16, v99
	v_mov_b32_e32 v19, v17
	s_waitcnt lgkmcnt(2)
	v_pk_mul_f32 v[16:17], v[2:3], v[16:17] op_sel_hi:[1,0]
	v_pk_add_f32 v[14:15], v[14:15], v[18:19]
	v_pk_fma_f32 v[18:19], v[2:3], v[98:99], v[16:17] op_sel:[0,0,1] op_sel_hi:[1,1,0] neg_lo:[0,0,1] neg_hi:[0,0,1]
	v_pk_fma_f32 v[2:3], v[2:3], v[98:99], v[16:17] op_sel:[0,0,1] op_sel_hi:[1,0,0]
	v_mov_b32_e32 v19, v3
	v_pk_add_f32 v[2:3], v[14:15], v[18:19]
	v_mov_b32_e32 v14, v97
	v_pk_mul_f32 v[14:15], v[4:5], v[14:15] op_sel_hi:[1,0]
	v_pk_fma_f32 v[16:17], v[4:5], v[96:97], v[14:15] op_sel:[0,0,1] op_sel_hi:[1,1,0] neg_lo:[0,0,1] neg_hi:[0,0,1]
	v_pk_fma_f32 v[4:5], v[4:5], v[96:97], v[14:15] op_sel:[0,0,1] op_sel_hi:[1,0,0]
	v_mov_b32_e32 v4, v95
	v_mov_b32_e32 v17, v5
	s_waitcnt lgkmcnt(1)
	v_pk_mul_f32 v[4:5], v[6:7], v[4:5] op_sel_hi:[1,0]
	v_pk_fma_f32 v[14:15], v[6:7], v[94:95], v[4:5] op_sel:[0,0,1] op_sel_hi:[1,1,0] neg_lo:[0,0,1] neg_hi:[0,0,1]
	v_pk_fma_f32 v[4:5], v[6:7], v[94:95], v[4:5] op_sel:[0,0,1] op_sel_hi:[1,0,0]
	s_waitcnt vmcnt(1)
	v_mov_b32_e32 v4, v107
	v_mov_b32_e32 v15, v5
	v_pk_mul_f32 v[4:5], v[8:9], v[4:5] op_sel_hi:[1,0]
	s_waitcnt vmcnt(0)
	v_pk_fma_f32 v[6:7], v[8:9], v[106:107], v[4:5] op_sel:[0,0,1] op_sel_hi:[1,1,0] neg_lo:[0,0,1] neg_hi:[0,0,1]
	v_pk_fma_f32 v[4:5], v[8:9], v[106:107], v[4:5] op_sel:[0,0,1] op_sel_hi:[1,0,0]
	v_pk_add_f32 v[2:3], v[2:3], v[16:17]
	v_mov_b32_e32 v4, v105
	v_pk_add_f32 v[2:3], v[2:3], v[14:15]
	v_mov_b32_e32 v7, v5
	s_waitcnt lgkmcnt(0)
	v_pk_mul_f32 v[4:5], v[10:11], v[4:5] op_sel_hi:[1,0]
	v_pk_add_f32 v[2:3], v[2:3], v[6:7]
	v_pk_fma_f32 v[6:7], v[10:11], v[104:105], v[4:5] op_sel:[0,0,1] op_sel_hi:[1,1,0] neg_lo:[0,0,1] neg_hi:[0,0,1]
	v_pk_fma_f32 v[4:5], v[10:11], v[104:105], v[4:5] op_sel:[0,0,1] op_sel_hi:[1,0,0]
	v_mov_b32_e32 v4, v103
	v_mov_b32_e32 v7, v5
	v_pk_mul_f32 v[4:5], v[12:13], v[4:5] op_sel_hi:[1,0]
	v_pk_add_f32 v[2:3], v[2:3], v[6:7]
	v_pk_fma_f32 v[6:7], v[12:13], v[102:103], v[4:5] op_sel:[0,0,1] op_sel_hi:[1,1,0] neg_lo:[0,0,1] neg_hi:[0,0,1]
	v_pk_fma_f32 v[4:5], v[12:13], v[102:103], v[4:5] op_sel:[0,0,1] op_sel_hi:[1,0,0]
	v_mov_b32_e32 v7, v5
	v_pk_add_f32 v[2:3], v[2:3], v[6:7]
	v_pk_add_f32 v[2:3], v[26:27], v[2:3] neg_lo:[0,1] neg_hi:[0,1]
	buffer_store_dword v3, off, s[0:3], 0 offset:36
	buffer_store_dword v2, off, s[0:3], 0 offset:32
	s_and_saveexec_b64 s[4:5], vcc
	s_cbranch_execz .LBB50_313
; %bb.312:
	buffer_load_dword v2, off, s[0:3], 0 offset:24
	buffer_load_dword v3, off, s[0:3], 0 offset:28
	v_mov_b32_e32 v1, 0
	buffer_store_dword v1, off, s[0:3], 0 offset:24
	buffer_store_dword v1, off, s[0:3], 0 offset:28
	s_waitcnt vmcnt(2)
	ds_write_b64 v121, v[2:3]
.LBB50_313:
	s_or_b64 exec, exec, s[4:5]
	s_waitcnt lgkmcnt(0)
	; wave barrier
	s_waitcnt lgkmcnt(0)
	buffer_load_dword v32, off, s[0:3], 0 offset:36
	buffer_load_dword v31, off, s[0:3], 0 offset:44
	buffer_load_dword v30, off, s[0:3], 0 offset:60
	buffer_load_dword v29, off, s[0:3], 0 offset:68
	buffer_load_dword v1, off, s[0:3], 0 offset:76
	buffer_load_dword v33, off, s[0:3], 0 offset:52
	buffer_load_dword v28, off, s[0:3], 0 offset:84
	buffer_load_dword v34, off, s[0:3], 0 offset:92
	buffer_load_dword v37, off, s[0:3], 0 offset:100
	buffer_load_dword v94, off, s[0:3], 0 offset:108
	buffer_load_dword v96, off, s[0:3], 0 offset:48
	buffer_load_dword v108, off, s[0:3], 0 offset:40
	buffer_load_dword v109, off, s[0:3], 0 offset:32
	buffer_load_dword v110, off, s[0:3], 0 offset:80
	buffer_load_dword v111, off, s[0:3], 0 offset:72
	buffer_load_dword v194, off, s[0:3], 0 offset:64
	buffer_load_dword v195, off, s[0:3], 0 offset:56
	buffer_load_dword v196, off, s[0:3], 0 offset:112
	buffer_load_dword v197, off, s[0:3], 0 offset:104
	buffer_load_dword v198, off, s[0:3], 0 offset:96
	buffer_load_dword v199, off, s[0:3], 0 offset:88
	buffer_load_dword v200, off, s[0:3], 0 offset:116
	buffer_load_dword v201, off, s[0:3], 0 offset:128
	buffer_load_dword v202, off, s[0:3], 0 offset:132
	buffer_load_dword v203, off, s[0:3], 0 offset:136
	buffer_load_dword v204, off, s[0:3], 0 offset:140
	buffer_load_dword v205, off, s[0:3], 0 offset:144
	buffer_load_dword v206, off, s[0:3], 0 offset:148
	buffer_load_dword v207, off, s[0:3], 0 offset:124
	buffer_load_dword v208, off, s[0:3], 0 offset:120
	buffer_load_dword v26, off, s[0:3], 0 offset:24
	buffer_load_dword v27, off, s[0:3], 0 offset:28
	buffer_load_dword v209, off, s[0:3], 0 offset:152
	buffer_load_dword v210, off, s[0:3], 0 offset:156
	buffer_load_dword v211, off, s[0:3], 0 offset:160
	buffer_load_dword v212, off, s[0:3], 0 offset:164
	buffer_load_dword v213, off, s[0:3], 0 offset:168
	buffer_load_dword v214, off, s[0:3], 0 offset:172
	buffer_load_dword v215, off, s[0:3], 0 offset:176
	buffer_load_dword v216, off, s[0:3], 0 offset:180
	buffer_load_dword v217, off, s[0:3], 0 offset:184
	buffer_load_dword v218, off, s[0:3], 0 offset:188
	buffer_load_dword v219, off, s[0:3], 0 offset:192
	buffer_load_dword v220, off, s[0:3], 0 offset:196
	buffer_load_dword v221, off, s[0:3], 0 offset:200
	buffer_load_dword v222, off, s[0:3], 0 offset:204
	buffer_load_dword v223, off, s[0:3], 0 offset:208
	buffer_load_dword v224, off, s[0:3], 0 offset:212
	v_mov_b32_e32 v36, 0
	ds_read_b128 v[22:25], v36 offset:448
	ds_read_b128 v[18:21], v36 offset:464
	;; [unrolled: 1-line block ×6, first 2 shown]
	buffer_load_dword v225, off, s[0:3], 0 offset:216
	buffer_load_dword v226, off, s[0:3], 0 offset:220
	;; [unrolled: 1-line block ×12, first 2 shown]
	v_cmp_lt_u32_e32 vcc, 2, v0
	s_waitcnt vmcnt(59) lgkmcnt(5)
	v_mul_f32_e32 v35, v22, v32
	s_waitcnt vmcnt(58)
	v_mul_f32_e32 v38, v24, v31
	s_waitcnt vmcnt(57) lgkmcnt(4)
	v_mul_f32_e32 v40, v20, v30
	s_waitcnt vmcnt(56) lgkmcnt(3)
	v_mul_f32_e32 v41, v14, v29
	s_waitcnt vmcnt(55)
	v_mul_f32_e32 v42, v16, v1
	s_waitcnt vmcnt(54)
	v_mul_f32_e32 v39, v18, v33
	s_waitcnt vmcnt(53) lgkmcnt(2)
	v_mul_f32_e32 v43, v10, v28
	s_waitcnt vmcnt(52)
	v_mul_f32_e32 v44, v12, v34
	s_waitcnt vmcnt(51) lgkmcnt(1)
	v_mul_f32_e32 v45, v6, v37
	s_waitcnt vmcnt(50)
	v_mul_f32_e32 v46, v8, v94
	s_waitcnt vmcnt(49)
	v_fmac_f32_e32 v39, v19, v96
	s_waitcnt vmcnt(48)
	v_fmac_f32_e32 v38, v25, v108
	s_waitcnt vmcnt(47)
	v_fmac_f32_e32 v35, v23, v109
	v_add_f32_e32 v35, 0, v35
	v_add_f32_e32 v35, v35, v38
	;; [unrolled: 1-line block ×3, first 2 shown]
	s_waitcnt vmcnt(43)
	v_fmac_f32_e32 v40, v21, v195
	v_fmac_f32_e32 v41, v15, v194
	v_add_f32_e32 v35, v35, v40
	v_fmac_f32_e32 v42, v17, v111
	v_add_f32_e32 v35, v35, v41
	;; [unrolled: 2-line block ×3, first 2 shown]
	s_waitcnt vmcnt(39)
	v_fmac_f32_e32 v44, v13, v199
	v_add_f32_e32 v35, v35, v43
	v_fmac_f32_e32 v45, v7, v198
	v_add_f32_e32 v35, v35, v44
	;; [unrolled: 2-line block ×3, first 2 shown]
	s_waitcnt vmcnt(38) lgkmcnt(0)
	v_mul_f32_e32 v38, v2, v200
	v_add_f32_e32 v35, v35, v46
	v_fmac_f32_e32 v38, v3, v196
	v_add_f32_e32 v35, v35, v38
	ds_read_b128 v[38:41], v36 offset:544
	buffer_load_dword v237, off, s[0:3], 0 offset:264
	buffer_load_dword v238, off, s[0:3], 0 offset:268
	;; [unrolled: 1-line block ×4, first 2 shown]
	s_waitcnt vmcnt(35)
	v_mul_f32_e32 v42, v4, v207
	s_waitcnt vmcnt(34)
	v_fmac_f32_e32 v42, v5, v208
	v_add_f32_e32 v35, v35, v42
	ds_read_b128 v[42:45], v36 offset:560
	buffer_load_dword v241, off, s[0:3], 0 offset:280
	buffer_load_dword v242, off, s[0:3], 0 offset:284
	;; [unrolled: 1-line block ×10, first 2 shown]
	s_waitcnt lgkmcnt(1)
	v_mul_f32_e32 v46, v38, v202
	v_fmac_f32_e32 v46, v39, v201
	v_add_f32_e32 v35, v35, v46
	v_mul_f32_e32 v46, v40, v204
	v_fmac_f32_e32 v46, v41, v203
	v_add_f32_e32 v35, v35, v46
	s_waitcnt lgkmcnt(0)
	v_mul_f32_e32 v46, v42, v206
	v_fmac_f32_e32 v46, v43, v205
	v_add_f32_e32 v35, v35, v46
	buffer_load_dword v251, off, s[0:3], 0 offset:320
	buffer_load_dword v252, off, s[0:3], 0 offset:324
	;; [unrolled: 1-line block ×6, first 2 shown]
	ds_read_b128 v[46:49], v36 offset:576
	s_waitcnt vmcnt(46)
	v_mul_f32_e32 v50, v44, v210
	v_fmac_f32_e32 v50, v45, v209
	v_add_f32_e32 v35, v35, v50
	ds_read_b128 v[50:53], v36 offset:592
	s_waitcnt vmcnt(44) lgkmcnt(1)
	v_mul_f32_e32 v54, v46, v212
	v_fmac_f32_e32 v54, v47, v211
	v_add_f32_e32 v35, v35, v54
	s_waitcnt vmcnt(42)
	v_mul_f32_e32 v54, v48, v214
	v_fmac_f32_e32 v54, v49, v213
	v_add_f32_e32 v35, v35, v54
	s_waitcnt vmcnt(40) lgkmcnt(0)
	v_mul_f32_e32 v54, v50, v216
	v_fmac_f32_e32 v54, v51, v215
	v_add_f32_e32 v35, v35, v54
	ds_read_b128 v[54:57], v36 offset:608
	s_waitcnt vmcnt(38)
	v_mul_f32_e32 v58, v52, v218
	v_fmac_f32_e32 v58, v53, v217
	v_add_f32_e32 v35, v35, v58
	ds_read_b128 v[58:61], v36 offset:624
	s_waitcnt vmcnt(36) lgkmcnt(1)
	v_mul_f32_e32 v62, v54, v220
	v_fmac_f32_e32 v62, v55, v219
	v_add_f32_e32 v35, v35, v62
	s_waitcnt vmcnt(34)
	v_mul_f32_e32 v62, v56, v222
	v_fmac_f32_e32 v62, v57, v221
	v_add_f32_e32 v35, v35, v62
	s_waitcnt vmcnt(32) lgkmcnt(0)
	v_mul_f32_e32 v62, v58, v224
	v_fmac_f32_e32 v62, v59, v223
	v_add_f32_e32 v35, v35, v62
	;; [unrolled: 18-line block ×3, first 2 shown]
	ds_read_b128 v[70:73], v36 offset:672
	s_waitcnt vmcnt(22)
	v_mul_f32_e32 v74, v68, v234
	v_fmac_f32_e32 v74, v69, v233
	v_add_f32_e32 v35, v35, v74
	ds_read_b128 v[74:77], v36 offset:688
	s_waitcnt vmcnt(20) lgkmcnt(1)
	v_mul_f32_e32 v78, v70, v236
	v_fmac_f32_e32 v78, v71, v235
	v_add_f32_e32 v35, v35, v78
	v_mul_f32_e32 v23, v23, v32
	v_fma_f32 v22, v22, v109, -v23
	v_mul_f32_e32 v23, v25, v31
	v_add_f32_e32 v22, 0, v22
	v_fma_f32 v23, v24, v108, -v23
	v_mul_f32_e32 v19, v19, v33
	v_add_f32_e32 v22, v22, v23
	v_fma_f32 v18, v18, v96, -v19
	v_mul_f32_e32 v19, v21, v30
	s_waitcnt vmcnt(18)
	v_mul_f32_e32 v78, v72, v238
	v_fmac_f32_e32 v78, v73, v237
	v_add_f32_e32 v35, v35, v78
	s_waitcnt vmcnt(16) lgkmcnt(0)
	v_mul_f32_e32 v78, v74, v240
	v_fmac_f32_e32 v78, v75, v239
	v_add_f32_e32 v35, v35, v78
	ds_read_b128 v[78:81], v36 offset:704
	s_waitcnt vmcnt(14)
	v_mul_f32_e32 v82, v76, v242
	v_fmac_f32_e32 v82, v77, v241
	v_add_f32_e32 v35, v35, v82
	ds_read_b128 v[82:85], v36 offset:720
	s_waitcnt vmcnt(12) lgkmcnt(1)
	v_mul_f32_e32 v86, v78, v244
	v_fmac_f32_e32 v86, v79, v243
	v_add_f32_e32 v35, v35, v86
	s_waitcnt vmcnt(10)
	v_mul_f32_e32 v86, v80, v246
	v_fmac_f32_e32 v86, v81, v245
	v_add_f32_e32 v35, v35, v86
	s_waitcnt vmcnt(8) lgkmcnt(0)
	v_mul_f32_e32 v86, v82, v248
	v_fmac_f32_e32 v86, v83, v247
	s_waitcnt vmcnt(6)
	v_mul_f32_e32 v90, v84, v250
	v_add_f32_e32 v35, v35, v86
	v_fmac_f32_e32 v90, v85, v249
	ds_read_b128 v[86:89], v36 offset:736
	v_add_f32_e32 v35, v35, v90
	ds_read_b128 v[90:93], v36 offset:752
	buffer_load_dword v99, off, s[0:3], 0 offset:372
	buffer_load_dword v98, off, s[0:3], 0 offset:368
	;; [unrolled: 1-line block ×16, first 2 shown]
	v_add_f32_e32 v18, v22, v18
	v_fma_f32 v19, v20, v195, -v19
	v_mul_f32_e32 v15, v15, v29
	v_add_f32_e32 v18, v18, v19
	v_fma_f32 v14, v14, v194, -v15
	v_mul_f32_e32 v1, v17, v1
	v_add_f32_e32 v14, v18, v14
	v_fma_f32 v1, v16, v111, -v1
	v_mul_f32_e32 v11, v11, v28
	v_add_f32_e32 v1, v14, v1
	v_fma_f32 v10, v10, v110, -v11
	v_add_f32_e32 v1, v1, v10
	v_mul_f32_e32 v10, v13, v34
	v_fma_f32 v10, v12, v199, -v10
	v_mul_f32_e32 v7, v7, v37
	v_add_f32_e32 v1, v1, v10
	v_fma_f32 v6, v6, v198, -v7
	v_add_f32_e32 v1, v1, v6
	v_mul_f32_e32 v6, v9, v94
	v_fma_f32 v6, v8, v197, -v6
	v_mul_f32_e32 v3, v3, v200
	v_add_f32_e32 v1, v1, v6
	v_fma_f32 v2, v2, v196, -v3
	v_add_f32_e32 v1, v1, v2
	v_mul_f32_e32 v2, v5, v207
	v_fma_f32 v2, v4, v208, -v2
	v_add_f32_e32 v1, v1, v2
	v_mul_f32_e32 v2, v39, v202
	;; [unrolled: 3-line block ×25, first 2 shown]
	v_fma_f32 v2, v84, v249, -v2
	s_waitcnt vmcnt(20) lgkmcnt(1)
	v_mul_f32_e32 v95, v86, v252
	v_add_f32_e32 v1, v1, v2
	v_mul_f32_e32 v2, v87, v252
	v_fmac_f32_e32 v95, v87, v251
	v_fma_f32 v2, v86, v251, -v2
	s_waitcnt vmcnt(9)
	v_mov_b32_e32 v18, v105
	v_add_f32_e32 v35, v35, v95
	v_mul_f32_e32 v95, v88, v254
	v_add_f32_e32 v34, v1, v2
	v_mul_f32_e32 v1, v89, v254
	s_waitcnt lgkmcnt(0)
	v_pk_mul_f32 v[18:19], v[92:93], v[18:19] op_sel_hi:[1,0]
	v_fmac_f32_e32 v95, v89, v253
	v_mul_f32_e32 v97, v90, v112
	v_fma_f32 v94, v88, v253, -v1
	v_mul_f32_e32 v1, v91, v112
	ds_read_b128 v[2:5], v36 offset:768
	ds_read_b128 v[6:9], v36 offset:784
	;; [unrolled: 1-line block ×3, first 2 shown]
	ds_read_b64 v[14:15], v36 offset:816
	s_waitcnt vmcnt(8)
	v_pk_fma_f32 v[20:21], v[92:93], v[104:105], v[18:19] op_sel:[0,0,1] op_sel_hi:[1,1,0] neg_lo:[0,0,1] neg_hi:[0,0,1]
	v_pk_fma_f32 v[18:19], v[92:93], v[104:105], v[18:19] op_sel:[0,0,1] op_sel_hi:[1,0,0]
	v_fmac_f32_e32 v97, v91, v255
	v_fma_f32 v96, v90, v255, -v1
	v_pk_add_f32 v[16:17], v[34:35], v[94:95]
	v_mov_b32_e32 v18, v103
	v_pk_add_f32 v[16:17], v[16:17], v[96:97]
	v_mov_b32_e32 v21, v19
	s_waitcnt lgkmcnt(3)
	v_pk_mul_f32 v[18:19], v[2:3], v[18:19] op_sel_hi:[1,0]
	v_pk_add_f32 v[16:17], v[16:17], v[20:21]
	v_pk_fma_f32 v[20:21], v[2:3], v[102:103], v[18:19] op_sel:[0,0,1] op_sel_hi:[1,1,0] neg_lo:[0,0,1] neg_hi:[0,0,1]
	v_pk_fma_f32 v[2:3], v[2:3], v[102:103], v[18:19] op_sel:[0,0,1] op_sel_hi:[1,0,0]
	v_mov_b32_e32 v21, v3
	v_pk_add_f32 v[2:3], v[16:17], v[20:21]
	v_mov_b32_e32 v16, v101
	v_pk_mul_f32 v[16:17], v[4:5], v[16:17] op_sel_hi:[1,0]
	v_pk_fma_f32 v[18:19], v[4:5], v[100:101], v[16:17] op_sel:[0,0,1] op_sel_hi:[1,1,0] neg_lo:[0,0,1] neg_hi:[0,0,1]
	v_pk_fma_f32 v[4:5], v[4:5], v[100:101], v[16:17] op_sel:[0,0,1] op_sel_hi:[1,0,0]
	v_mov_b32_e32 v4, v99
	v_mov_b32_e32 v19, v5
	s_waitcnt lgkmcnt(2)
	v_pk_mul_f32 v[4:5], v[6:7], v[4:5] op_sel_hi:[1,0]
	v_pk_fma_f32 v[16:17], v[6:7], v[98:99], v[4:5] op_sel:[0,0,1] op_sel_hi:[1,1,0] neg_lo:[0,0,1] neg_hi:[0,0,1]
	v_pk_fma_f32 v[4:5], v[6:7], v[98:99], v[4:5] op_sel:[0,0,1] op_sel_hi:[1,0,0]
	s_waitcnt vmcnt(1)
	v_mov_b32_e32 v4, v193
	v_mov_b32_e32 v17, v5
	v_pk_mul_f32 v[4:5], v[8:9], v[4:5] op_sel_hi:[1,0]
	s_waitcnt vmcnt(0)
	v_pk_fma_f32 v[6:7], v[8:9], v[192:193], v[4:5] op_sel:[0,0,1] op_sel_hi:[1,1,0] neg_lo:[0,0,1] neg_hi:[0,0,1]
	v_pk_fma_f32 v[4:5], v[8:9], v[192:193], v[4:5] op_sel:[0,0,1] op_sel_hi:[1,0,0]
	v_pk_add_f32 v[2:3], v[2:3], v[18:19]
	v_mov_b32_e32 v4, v191
	v_pk_add_f32 v[2:3], v[2:3], v[16:17]
	v_mov_b32_e32 v7, v5
	s_waitcnt lgkmcnt(1)
	v_pk_mul_f32 v[4:5], v[10:11], v[4:5] op_sel_hi:[1,0]
	v_pk_add_f32 v[2:3], v[2:3], v[6:7]
	v_pk_fma_f32 v[6:7], v[10:11], v[190:191], v[4:5] op_sel:[0,0,1] op_sel_hi:[1,1,0] neg_lo:[0,0,1] neg_hi:[0,0,1]
	v_pk_fma_f32 v[4:5], v[10:11], v[190:191], v[4:5] op_sel:[0,0,1] op_sel_hi:[1,0,0]
	v_mov_b32_e32 v4, v189
	v_mov_b32_e32 v7, v5
	v_pk_mul_f32 v[4:5], v[12:13], v[4:5] op_sel_hi:[1,0]
	v_pk_add_f32 v[2:3], v[2:3], v[6:7]
	v_pk_fma_f32 v[6:7], v[12:13], v[188:189], v[4:5] op_sel:[0,0,1] op_sel_hi:[1,1,0] neg_lo:[0,0,1] neg_hi:[0,0,1]
	v_pk_fma_f32 v[4:5], v[12:13], v[188:189], v[4:5] op_sel:[0,0,1] op_sel_hi:[1,0,0]
	v_mov_b32_e32 v4, v107
	v_mov_b32_e32 v7, v5
	s_waitcnt lgkmcnt(0)
	v_pk_mul_f32 v[4:5], v[14:15], v[4:5] op_sel_hi:[1,0]
	v_pk_add_f32 v[2:3], v[2:3], v[6:7]
	v_pk_fma_f32 v[6:7], v[14:15], v[106:107], v[4:5] op_sel:[0,0,1] op_sel_hi:[1,1,0] neg_lo:[0,0,1] neg_hi:[0,0,1]
	v_pk_fma_f32 v[4:5], v[14:15], v[106:107], v[4:5] op_sel:[0,0,1] op_sel_hi:[1,0,0]
	v_mov_b32_e32 v7, v5
	v_pk_add_f32 v[2:3], v[2:3], v[6:7]
	v_pk_add_f32 v[2:3], v[26:27], v[2:3] neg_lo:[0,1] neg_hi:[0,1]
	buffer_store_dword v3, off, s[0:3], 0 offset:28
	buffer_store_dword v2, off, s[0:3], 0 offset:24
	s_and_saveexec_b64 s[4:5], vcc
	s_cbranch_execz .LBB50_315
; %bb.314:
	buffer_load_dword v2, off, s[0:3], 0 offset:16
	buffer_load_dword v3, off, s[0:3], 0 offset:20
	s_waitcnt vmcnt(0)
	ds_write_b64 v121, v[2:3]
	buffer_store_dword v36, off, s[0:3], 0 offset:16
	buffer_store_dword v36, off, s[0:3], 0 offset:20
.LBB50_315:
	s_or_b64 exec, exec, s[4:5]
	s_waitcnt lgkmcnt(0)
	; wave barrier
	s_waitcnt lgkmcnt(0)
	buffer_load_dword v41, off, s[0:3], 0 offset:28
	buffer_load_dword v40, off, s[0:3], 0 offset:36
	;; [unrolled: 1-line block ×32, first 2 shown]
	ds_read2_b64 v[22:25], v36 offset0:55 offset1:56
	ds_read2_b64 v[18:21], v36 offset0:57 offset1:58
	;; [unrolled: 1-line block ×6, first 2 shown]
	buffer_load_dword v207, off, s[0:3], 0 offset:144
	buffer_load_dword v208, off, s[0:3], 0 offset:148
	;; [unrolled: 1-line block ×26, first 2 shown]
	v_cmp_lt_u32_e32 vcc, 1, v0
	s_waitcnt vmcnt(57) lgkmcnt(5)
	v_mul_f32_e32 v26, v22, v41
	s_waitcnt vmcnt(56)
	v_mul_f32_e32 v27, v24, v40
	s_waitcnt vmcnt(55) lgkmcnt(4)
	v_mul_f32_e32 v29, v20, v39
	s_waitcnt vmcnt(54) lgkmcnt(3)
	v_mul_f32_e32 v30, v14, v38
	s_waitcnt vmcnt(53)
	v_mul_f32_e32 v31, v16, v1
	s_waitcnt vmcnt(52)
	v_mul_f32_e32 v28, v18, v42
	s_waitcnt vmcnt(51) lgkmcnt(2)
	v_mul_f32_e32 v32, v10, v37
	s_waitcnt vmcnt(50)
	v_mul_f32_e32 v33, v12, v43
	s_waitcnt vmcnt(49) lgkmcnt(1)
	;; [unrolled: 4-line block ×3, first 2 shown]
	v_mul_f32_e32 v46, v2, v102
	s_waitcnt vmcnt(46)
	v_fmac_f32_e32 v28, v19, v108
	s_waitcnt vmcnt(45)
	v_fmac_f32_e32 v27, v25, v109
	;; [unrolled: 2-line block ×3, first 2 shown]
	v_add_f32_e32 v26, 0, v26
	v_add_f32_e32 v26, v26, v27
	;; [unrolled: 1-line block ×3, first 2 shown]
	s_waitcnt vmcnt(40)
	v_fmac_f32_e32 v29, v21, v194
	v_fmac_f32_e32 v30, v15, v113
	v_add_f32_e32 v26, v26, v29
	v_fmac_f32_e32 v31, v17, v112
	v_add_f32_e32 v26, v26, v30
	;; [unrolled: 2-line block ×3, first 2 shown]
	s_waitcnt vmcnt(36)
	v_fmac_f32_e32 v33, v13, v198
	v_add_f32_e32 v26, v26, v32
	v_fmac_f32_e32 v44, v7, v197
	v_add_f32_e32 v26, v26, v33
	;; [unrolled: 2-line block ×4, first 2 shown]
	s_waitcnt vmcnt(30)
	v_mul_f32_e32 v27, v4, v204
	v_add_f32_e32 v26, v26, v46
	s_waitcnt vmcnt(29)
	v_fmac_f32_e32 v27, v5, v205
	v_add_f32_e32 v44, v26, v27
	ds_read2_b64 v[26:29], v36 offset0:67 offset1:68
	buffer_load_dword v233, off, s[0:3], 0 offset:248
	buffer_load_dword v234, off, s[0:3], 0 offset:252
	ds_read2_b64 v[30:33], v36 offset0:69 offset1:70
	buffer_load_dword v235, off, s[0:3], 0 offset:256
	buffer_load_dword v236, off, s[0:3], 0 offset:260
	;; [unrolled: 1-line block ×14, first 2 shown]
	s_waitcnt vmcnt(44) lgkmcnt(1)
	v_mul_f32_e32 v45, v26, v206
	v_fmac_f32_e32 v45, v27, v203
	v_add_f32_e32 v44, v44, v45
	v_mul_f32_e32 v45, v28, v200
	v_fmac_f32_e32 v45, v29, v199
	v_add_f32_e32 v44, v44, v45
	s_waitcnt lgkmcnt(0)
	v_mul_f32_e32 v45, v30, v202
	v_fmac_f32_e32 v45, v31, v201
	v_add_f32_e32 v48, v44, v45
	buffer_load_dword v249, off, s[0:3], 0 offset:312
	buffer_load_dword v250, off, s[0:3], 0 offset:316
	ds_read2_b64 v[44:47], v36 offset0:71 offset1:72
	s_waitcnt vmcnt(42)
	v_mul_f32_e32 v49, v32, v208
	v_fmac_f32_e32 v49, v33, v207
	buffer_load_dword v251, off, s[0:3], 0 offset:320
	buffer_load_dword v252, off, s[0:3], 0 offset:324
	v_add_f32_e32 v52, v48, v49
	buffer_load_dword v253, off, s[0:3], 0 offset:328
	buffer_load_dword v254, off, s[0:3], 0 offset:332
	ds_read2_b64 v[48:51], v36 offset0:73 offset1:74
	s_waitcnt vmcnt(44) lgkmcnt(1)
	v_mul_f32_e32 v53, v44, v210
	v_fmac_f32_e32 v53, v45, v209
	v_add_f32_e32 v52, v52, v53
	s_waitcnt vmcnt(42)
	v_mul_f32_e32 v53, v46, v212
	v_fmac_f32_e32 v53, v47, v211
	v_add_f32_e32 v52, v52, v53
	s_waitcnt vmcnt(40) lgkmcnt(0)
	v_mul_f32_e32 v53, v48, v214
	v_fmac_f32_e32 v53, v49, v213
	buffer_load_dword v255, off, s[0:3], 0 offset:336
	buffer_load_dword v114, off, s[0:3], 0 offset:340
	v_add_f32_e32 v56, v52, v53
	ds_read2_b64 v[52:55], v36 offset0:75 offset1:76
	s_waitcnt vmcnt(40)
	v_mul_f32_e32 v57, v50, v216
	v_fmac_f32_e32 v57, v51, v215
	v_add_f32_e32 v60, v56, v57
	ds_read2_b64 v[56:59], v36 offset0:77 offset1:78
	s_waitcnt vmcnt(38) lgkmcnt(1)
	v_mul_f32_e32 v61, v52, v218
	v_fmac_f32_e32 v61, v53, v217
	v_add_f32_e32 v60, v60, v61
	s_waitcnt vmcnt(36)
	v_mul_f32_e32 v61, v54, v220
	v_fmac_f32_e32 v61, v55, v219
	v_add_f32_e32 v60, v60, v61
	s_waitcnt vmcnt(34) lgkmcnt(0)
	v_mul_f32_e32 v61, v56, v222
	v_fmac_f32_e32 v61, v57, v221
	v_add_f32_e32 v64, v60, v61
	ds_read2_b64 v[60:63], v36 offset0:79 offset1:80
	s_waitcnt vmcnt(32)
	v_mul_f32_e32 v65, v58, v224
	v_fmac_f32_e32 v65, v59, v223
	v_add_f32_e32 v68, v64, v65
	ds_read2_b64 v[64:67], v36 offset0:81 offset1:82
	s_waitcnt vmcnt(30) lgkmcnt(1)
	v_mul_f32_e32 v69, v60, v226
	v_fmac_f32_e32 v69, v61, v225
	v_add_f32_e32 v68, v68, v69
	s_waitcnt vmcnt(28)
	v_mul_f32_e32 v69, v62, v228
	v_fmac_f32_e32 v69, v63, v227
	v_add_f32_e32 v68, v68, v69
	s_waitcnt vmcnt(26) lgkmcnt(0)
	v_mul_f32_e32 v69, v64, v230
	v_fmac_f32_e32 v69, v65, v229
	v_add_f32_e32 v72, v68, v69
	ds_read2_b64 v[68:71], v36 offset0:83 offset1:84
	s_waitcnt vmcnt(24)
	v_mul_f32_e32 v73, v66, v232
	v_fmac_f32_e32 v73, v67, v231
	v_add_f32_e32 v76, v72, v73
	ds_read2_b64 v[72:75], v36 offset0:85 offset1:86
	v_mul_f32_e32 v23, v23, v41
	v_fma_f32 v22, v22, v110, -v23
	v_mul_f32_e32 v23, v25, v40
	v_add_f32_e32 v22, 0, v22
	v_fma_f32 v23, v24, v109, -v23
	v_mul_f32_e32 v19, v19, v42
	v_add_f32_e32 v22, v22, v23
	;; [unrolled: 3-line block ×3, first 2 shown]
	v_fma_f32 v19, v20, v194, -v19
	s_waitcnt vmcnt(22) lgkmcnt(1)
	v_mul_f32_e32 v77, v68, v234
	v_fmac_f32_e32 v77, v69, v233
	v_add_f32_e32 v76, v76, v77
	s_waitcnt vmcnt(20)
	v_mul_f32_e32 v77, v70, v236
	v_fmac_f32_e32 v77, v71, v235
	v_add_f32_e32 v76, v76, v77
	s_waitcnt vmcnt(18) lgkmcnt(0)
	v_mul_f32_e32 v77, v72, v238
	v_fmac_f32_e32 v77, v73, v237
	v_add_f32_e32 v80, v76, v77
	ds_read2_b64 v[76:79], v36 offset0:87 offset1:88
	s_waitcnt vmcnt(16)
	v_mul_f32_e32 v81, v74, v240
	v_fmac_f32_e32 v81, v75, v239
	v_add_f32_e32 v84, v80, v81
	ds_read2_b64 v[80:83], v36 offset0:89 offset1:90
	s_waitcnt vmcnt(14) lgkmcnt(1)
	v_mul_f32_e32 v85, v76, v242
	v_fmac_f32_e32 v85, v77, v241
	v_add_f32_e32 v84, v84, v85
	s_waitcnt vmcnt(12)
	v_mul_f32_e32 v85, v78, v244
	v_fmac_f32_e32 v85, v79, v243
	v_add_f32_e32 v84, v84, v85
	s_waitcnt vmcnt(10) lgkmcnt(0)
	v_mul_f32_e32 v85, v80, v246
	v_fmac_f32_e32 v85, v81, v245
	s_waitcnt vmcnt(8)
	v_mul_f32_e32 v89, v82, v248
	v_add_f32_e32 v88, v84, v85
	v_fmac_f32_e32 v89, v83, v247
	ds_read2_b64 v[84:87], v36 offset0:91 offset1:92
	v_add_f32_e32 v93, v88, v89
	ds_read2_b64 v[88:91], v36 offset0:93 offset1:94
	buffer_load_dword v97, off, s[0:3], 0 offset:364
	buffer_load_dword v96, off, s[0:3], 0 offset:360
	;; [unrolled: 1-line block ×16, first 2 shown]
	v_mul_f32_e32 v15, v15, v38
	v_add_f32_e32 v18, v18, v19
	v_fma_f32 v14, v14, v113, -v15
	v_mul_f32_e32 v1, v17, v1
	v_add_f32_e32 v14, v18, v14
	v_fma_f32 v1, v16, v112, -v1
	;; [unrolled: 3-line block ×3, first 2 shown]
	v_add_f32_e32 v1, v1, v10
	v_mul_f32_e32 v10, v13, v43
	v_fma_f32 v10, v12, v198, -v10
	v_mul_f32_e32 v7, v7, v92
	v_add_f32_e32 v1, v1, v10
	v_fma_f32 v6, v6, v197, -v7
	v_add_f32_e32 v1, v1, v6
	v_mul_f32_e32 v6, v9, v94
	v_fma_f32 v6, v8, v196, -v6
	v_mul_f32_e32 v3, v3, v102
	v_add_f32_e32 v1, v1, v6
	v_fma_f32 v2, v2, v195, -v3
	v_add_f32_e32 v1, v1, v2
	v_mul_f32_e32 v2, v5, v204
	v_fma_f32 v2, v4, v205, -v2
	v_add_f32_e32 v1, v1, v2
	v_mul_f32_e32 v2, v27, v206
	;; [unrolled: 3-line block ×25, first 2 shown]
	v_fma_f32 v2, v82, v247, -v2
	v_add_f32_e32 v1, v1, v2
	s_waitcnt vmcnt(22) lgkmcnt(1)
	v_mul_f32_e32 v2, v85, v250
	v_mul_f32_e32 v95, v84, v250
	v_fma_f32 v2, v84, v249, -v2
	v_fmac_f32_e32 v95, v85, v249
	v_add_f32_e32 v1, v1, v2
	s_waitcnt vmcnt(20)
	v_mul_f32_e32 v2, v87, v252
	v_add_f32_e32 v93, v93, v95
	v_mul_f32_e32 v95, v86, v252
	v_fma_f32 v2, v86, v251, -v2
	v_fmac_f32_e32 v95, v87, v251
	v_add_f32_e32 v92, v1, v2
	ds_read2_b64 v[2:5], v36 offset0:95 offset1:96
	ds_read2_b64 v[6:9], v36 offset0:97 offset1:98
	;; [unrolled: 1-line block ×4, first 2 shown]
	v_add_f32_e32 v93, v93, v95
	s_waitcnt vmcnt(18) lgkmcnt(4)
	v_mul_f32_e32 v95, v88, v254
	v_mul_f32_e32 v1, v89, v254
	s_waitcnt vmcnt(11)
	v_mov_b32_e32 v20, v101
	v_fmac_f32_e32 v95, v89, v253
	v_mul_f32_e32 v103, v90, v114
	v_fma_f32 v94, v88, v253, -v1
	v_mul_f32_e32 v1, v91, v114
	s_waitcnt lgkmcnt(3)
	v_pk_mul_f32 v[20:21], v[2:3], v[20:21] op_sel_hi:[1,0]
	v_fmac_f32_e32 v103, v91, v255
	v_fma_f32 v102, v90, v255, -v1
	v_pk_add_f32 v[18:19], v[92:93], v[94:95]
	s_waitcnt vmcnt(10)
	v_pk_fma_f32 v[22:23], v[2:3], v[100:101], v[20:21] op_sel:[0,0,1] op_sel_hi:[1,1,0] neg_lo:[0,0,1] neg_hi:[0,0,1]
	v_pk_fma_f32 v[2:3], v[2:3], v[100:101], v[20:21] op_sel:[0,0,1] op_sel_hi:[1,0,0]
	v_pk_add_f32 v[18:19], v[18:19], v[102:103]
	v_mov_b32_e32 v23, v3
	v_pk_add_f32 v[2:3], v[18:19], v[22:23]
	v_mov_b32_e32 v18, v99
	v_pk_mul_f32 v[18:19], v[4:5], v[18:19] op_sel_hi:[1,0]
	v_pk_fma_f32 v[20:21], v[4:5], v[98:99], v[18:19] op_sel:[0,0,1] op_sel_hi:[1,1,0] neg_lo:[0,0,1] neg_hi:[0,0,1]
	v_pk_fma_f32 v[4:5], v[4:5], v[98:99], v[18:19] op_sel:[0,0,1] op_sel_hi:[1,0,0]
	v_mov_b32_e32 v4, v97
	v_mov_b32_e32 v21, v5
	s_waitcnt lgkmcnt(2)
	v_pk_mul_f32 v[4:5], v[6:7], v[4:5] op_sel_hi:[1,0]
	v_pk_fma_f32 v[18:19], v[6:7], v[96:97], v[4:5] op_sel:[0,0,1] op_sel_hi:[1,1,0] neg_lo:[0,0,1] neg_hi:[0,0,1]
	v_pk_fma_f32 v[4:5], v[6:7], v[96:97], v[4:5] op_sel:[0,0,1] op_sel_hi:[1,0,0]
	s_waitcnt vmcnt(3)
	v_mov_b32_e32 v4, v191
	v_mov_b32_e32 v19, v5
	v_pk_mul_f32 v[4:5], v[8:9], v[4:5] op_sel_hi:[1,0]
	s_waitcnt vmcnt(2)
	v_pk_fma_f32 v[6:7], v[8:9], v[190:191], v[4:5] op_sel:[0,0,1] op_sel_hi:[1,1,0] neg_lo:[0,0,1] neg_hi:[0,0,1]
	v_pk_fma_f32 v[4:5], v[8:9], v[190:191], v[4:5] op_sel:[0,0,1] op_sel_hi:[1,0,0]
	v_pk_add_f32 v[2:3], v[2:3], v[20:21]
	v_mov_b32_e32 v4, v189
	v_pk_add_f32 v[2:3], v[2:3], v[18:19]
	v_mov_b32_e32 v7, v5
	s_waitcnt lgkmcnt(1)
	v_pk_mul_f32 v[4:5], v[10:11], v[4:5] op_sel_hi:[1,0]
	v_pk_add_f32 v[2:3], v[2:3], v[6:7]
	v_pk_fma_f32 v[6:7], v[10:11], v[188:189], v[4:5] op_sel:[0,0,1] op_sel_hi:[1,1,0] neg_lo:[0,0,1] neg_hi:[0,0,1]
	v_pk_fma_f32 v[4:5], v[10:11], v[188:189], v[4:5] op_sel:[0,0,1] op_sel_hi:[1,0,0]
	v_mov_b32_e32 v4, v107
	v_mov_b32_e32 v7, v5
	v_pk_mul_f32 v[4:5], v[12:13], v[4:5] op_sel_hi:[1,0]
	v_pk_add_f32 v[2:3], v[2:3], v[6:7]
	v_pk_fma_f32 v[6:7], v[12:13], v[106:107], v[4:5] op_sel:[0,0,1] op_sel_hi:[1,1,0] neg_lo:[0,0,1] neg_hi:[0,0,1]
	v_pk_fma_f32 v[4:5], v[12:13], v[106:107], v[4:5] op_sel:[0,0,1] op_sel_hi:[1,0,0]
	v_mov_b32_e32 v4, v105
	v_mov_b32_e32 v7, v5
	s_waitcnt lgkmcnt(0)
	v_pk_mul_f32 v[4:5], v[14:15], v[4:5] op_sel_hi:[1,0]
	v_pk_add_f32 v[2:3], v[2:3], v[6:7]
	v_pk_fma_f32 v[6:7], v[14:15], v[104:105], v[4:5] op_sel:[0,0,1] op_sel_hi:[1,1,0] neg_lo:[0,0,1] neg_hi:[0,0,1]
	v_pk_fma_f32 v[4:5], v[14:15], v[104:105], v[4:5] op_sel:[0,0,1] op_sel_hi:[1,0,0]
	s_waitcnt vmcnt(1)
	v_mov_b32_e32 v4, v193
	v_mov_b32_e32 v7, v5
	v_pk_mul_f32 v[4:5], v[16:17], v[4:5] op_sel_hi:[1,0]
	v_pk_add_f32 v[2:3], v[2:3], v[6:7]
	s_waitcnt vmcnt(0)
	v_pk_fma_f32 v[6:7], v[16:17], v[192:193], v[4:5] op_sel:[0,0,1] op_sel_hi:[1,1,0] neg_lo:[0,0,1] neg_hi:[0,0,1]
	v_pk_fma_f32 v[4:5], v[16:17], v[192:193], v[4:5] op_sel:[0,0,1] op_sel_hi:[1,0,0]
	v_mov_b32_e32 v7, v5
	v_pk_add_f32 v[2:3], v[2:3], v[6:7]
	v_pk_add_f32 v[2:3], v[34:35], v[2:3] neg_lo:[0,1] neg_hi:[0,1]
	buffer_store_dword v3, off, s[0:3], 0 offset:20
	buffer_store_dword v2, off, s[0:3], 0 offset:16
	s_and_saveexec_b64 s[4:5], vcc
	s_cbranch_execz .LBB50_317
; %bb.316:
	buffer_load_dword v2, off, s[0:3], 0 offset:8
	buffer_load_dword v3, off, s[0:3], 0 offset:12
	v_mov_b32_e32 v1, 0
	buffer_store_dword v1, off, s[0:3], 0 offset:8
	buffer_store_dword v1, off, s[0:3], 0 offset:12
	s_waitcnt vmcnt(2)
	ds_write_b64 v121, v[2:3]
.LBB50_317:
	s_or_b64 exec, exec, s[4:5]
	v_mov_b32_e32 v212, 0
	s_waitcnt lgkmcnt(0)
	; wave barrier
	s_waitcnt lgkmcnt(0)
	ds_read_b128 v[2:5], v212 offset:432
	buffer_load_dword v188, off, s[0:3], 0 offset:8
	buffer_load_dword v189, off, s[0:3], 0 offset:12
	;; [unrolled: 1-line block ×16, first 2 shown]
	v_cmp_ne_u32_e32 vcc, 0, v0
	s_waitcnt vmcnt(12) lgkmcnt(0)
	v_mul_f32_e32 v1, v2, v213
	v_fmac_f32_e32 v1, v3, v190
	s_waitcnt vmcnt(10)
	v_mul_f32_e32 v6, v4, v215
	v_add_f32_e32 v1, 0, v1
	v_fmac_f32_e32 v6, v5, v192
	v_add_f32_e32 v1, v1, v6
	ds_read_b128 v[6:9], v212 offset:448
	v_mul_f32_e32 v3, v3, v213
	v_fma_f32 v2, v2, v190, -v3
	v_mul_f32_e32 v3, v5, v215
	v_add_f32_e32 v2, 0, v2
	s_waitcnt vmcnt(8) lgkmcnt(0)
	v_mul_f32_e32 v10, v6, v217
	v_fmac_f32_e32 v10, v7, v196
	v_add_f32_e32 v1, v1, v10
	s_waitcnt vmcnt(6)
	v_mul_f32_e32 v10, v8, v219
	v_fmac_f32_e32 v10, v9, v214
	v_add_f32_e32 v1, v1, v10
	ds_read_b128 v[10:13], v212 offset:464
	v_fma_f32 v3, v4, v192, -v3
	v_add_f32_e32 v2, v2, v3
	v_mul_f32_e32 v3, v7, v217
	v_fma_f32 v3, v6, v196, -v3
	s_waitcnt vmcnt(4) lgkmcnt(0)
	v_mul_f32_e32 v14, v10, v221
	v_fmac_f32_e32 v14, v11, v216
	v_add_f32_e32 v1, v1, v14
	s_waitcnt vmcnt(2)
	v_mul_f32_e32 v14, v12, v222
	v_fmac_f32_e32 v14, v13, v218
	v_add_f32_e32 v1, v1, v14
	ds_read_b128 v[14:17], v212 offset:480
	buffer_load_dword v224, off, s[0:3], 0 offset:72
	buffer_load_dword v225, off, s[0:3], 0 offset:76
	v_add_f32_e32 v2, v2, v3
	v_mul_f32_e32 v3, v9, v219
	v_fma_f32 v3, v8, v214, -v3
	s_waitcnt vmcnt(2) lgkmcnt(0)
	v_mul_f32_e32 v18, v14, v223
	v_fmac_f32_e32 v18, v15, v220
	v_add_f32_e32 v1, v1, v18
	v_add_f32_e32 v2, v2, v3
	v_mul_f32_e32 v3, v11, v221
	v_fma_f32 v3, v10, v216, -v3
	v_add_f32_e32 v2, v2, v3
	v_mul_f32_e32 v3, v13, v222
	v_fma_f32 v3, v12, v218, -v3
	;; [unrolled: 3-line block ×3, first 2 shown]
	v_add_f32_e32 v2, v2, v3
	s_waitcnt vmcnt(0)
	v_mul_f32_e32 v18, v16, v225
	v_fmac_f32_e32 v18, v17, v224
	v_add_f32_e32 v1, v1, v18
	ds_read_b128 v[18:21], v212 offset:496
	buffer_load_dword v226, off, s[0:3], 0 offset:80
	buffer_load_dword v227, off, s[0:3], 0 offset:84
	;; [unrolled: 1-line block ×4, first 2 shown]
	v_mul_f32_e32 v3, v17, v225
	v_fma_f32 v3, v16, v224, -v3
	v_add_f32_e32 v2, v2, v3
	s_waitcnt vmcnt(2) lgkmcnt(0)
	v_mul_f32_e32 v22, v18, v227
	v_fmac_f32_e32 v22, v19, v226
	v_add_f32_e32 v1, v1, v22
	s_waitcnt vmcnt(0)
	v_mul_f32_e32 v22, v20, v229
	v_fmac_f32_e32 v22, v21, v228
	v_add_f32_e32 v1, v1, v22
	ds_read_b128 v[22:25], v212 offset:512
	buffer_load_dword v230, off, s[0:3], 0 offset:96
	buffer_load_dword v231, off, s[0:3], 0 offset:100
	;; [unrolled: 1-line block ×4, first 2 shown]
	v_mul_f32_e32 v3, v19, v227
	v_fma_f32 v3, v18, v226, -v3
	v_add_f32_e32 v2, v2, v3
	v_mul_f32_e32 v3, v21, v229
	v_fma_f32 v3, v20, v228, -v3
	v_add_f32_e32 v2, v2, v3
	s_waitcnt vmcnt(2) lgkmcnt(0)
	v_mul_f32_e32 v26, v22, v231
	v_fmac_f32_e32 v26, v23, v230
	v_add_f32_e32 v1, v1, v26
	s_waitcnt vmcnt(0)
	v_mul_f32_e32 v26, v24, v233
	v_fmac_f32_e32 v26, v25, v232
	v_add_f32_e32 v1, v1, v26
	ds_read_b128 v[26:29], v212 offset:528
	buffer_load_dword v234, off, s[0:3], 0 offset:112
	buffer_load_dword v235, off, s[0:3], 0 offset:116
	;; [unrolled: 1-line block ×4, first 2 shown]
	v_mul_f32_e32 v3, v23, v231
	v_fma_f32 v3, v22, v230, -v3
	v_add_f32_e32 v2, v2, v3
	v_mul_f32_e32 v3, v25, v233
	v_fma_f32 v3, v24, v232, -v3
	v_add_f32_e32 v2, v2, v3
	s_waitcnt vmcnt(2) lgkmcnt(0)
	v_mul_f32_e32 v30, v26, v235
	v_fmac_f32_e32 v30, v27, v234
	v_add_f32_e32 v1, v1, v30
	s_waitcnt vmcnt(0)
	v_mul_f32_e32 v30, v28, v237
	v_fmac_f32_e32 v30, v29, v236
	v_add_f32_e32 v1, v1, v30
	ds_read_b128 v[30:33], v212 offset:544
	buffer_load_dword v238, off, s[0:3], 0 offset:128
	buffer_load_dword v239, off, s[0:3], 0 offset:132
	buffer_load_dword v240, off, s[0:3], 0 offset:136
	buffer_load_dword v241, off, s[0:3], 0 offset:140
	ds_read_b128 v[38:41], v212 offset:560
	buffer_load_dword v242, off, s[0:3], 0 offset:144
	buffer_load_dword v243, off, s[0:3], 0 offset:148
	buffer_load_dword v244, off, s[0:3], 0 offset:152
	buffer_load_dword v245, off, s[0:3], 0 offset:156
	;; [unrolled: 5-line block ×4, first 2 shown]
	ds_read_b128 v[50:53], v212 offset:608
	buffer_load_dword v254, off, s[0:3], 0 offset:192
	buffer_load_dword v255, off, s[0:3], 0 offset:196
	v_mul_f32_e32 v3, v27, v235
	v_fma_f32 v3, v26, v234, -v3
	v_add_f32_e32 v2, v2, v3
	v_mul_f32_e32 v3, v29, v237
	v_fma_f32 v3, v28, v236, -v3
	v_add_f32_e32 v2, v2, v3
	s_waitcnt vmcnt(16) lgkmcnt(4)
	v_mul_f32_e32 v34, v30, v239
	v_fmac_f32_e32 v34, v31, v238
	v_add_f32_e32 v1, v1, v34
	s_waitcnt vmcnt(14)
	v_mul_f32_e32 v34, v32, v241
	v_fmac_f32_e32 v34, v33, v240
	v_add_f32_e32 v1, v1, v34
	s_waitcnt vmcnt(12) lgkmcnt(3)
	v_mul_f32_e32 v34, v38, v243
	v_fmac_f32_e32 v34, v39, v242
	v_add_f32_e32 v1, v1, v34
	s_waitcnt vmcnt(10)
	v_mul_f32_e32 v34, v40, v245
	v_fmac_f32_e32 v34, v41, v244
	;; [unrolled: 8-line block ×4, first 2 shown]
	v_add_f32_e32 v1, v1, v34
	s_waitcnt vmcnt(0) lgkmcnt(0)
	v_mul_f32_e32 v34, v50, v255
	v_fmac_f32_e32 v34, v51, v254
	v_add_f32_e32 v34, v1, v34
	buffer_load_dword v1, off, s[0:3], 0 offset:200
	buffer_load_dword v86, off, s[0:3], 0 offset:204
	ds_read_b128 v[54:57], v212 offset:624
	buffer_load_dword v87, off, s[0:3], 0 offset:208
	buffer_load_dword v88, off, s[0:3], 0 offset:212
	buffer_load_dword v89, off, s[0:3], 0 offset:216
	buffer_load_dword v90, off, s[0:3], 0 offset:220
	ds_read_b128 v[58:61], v212 offset:640
	buffer_load_dword v91, off, s[0:3], 0 offset:224
	buffer_load_dword v92, off, s[0:3], 0 offset:228
	;; [unrolled: 5-line block ×8, first 2 shown]
	buffer_load_dword v117, off, s[0:3], 0 offset:328
	buffer_load_dword v118, off, s[0:3], 0 offset:332
	v_mul_f32_e32 v3, v31, v239
	v_fma_f32 v3, v30, v238, -v3
	v_add_f32_e32 v2, v2, v3
	v_mul_f32_e32 v3, v33, v241
	v_fma_f32 v3, v32, v240, -v3
	v_add_f32_e32 v2, v2, v3
	;; [unrolled: 3-line block ×9, first 2 shown]
	s_waitcnt vmcnt(32)
	v_mul_f32_e32 v35, v52, v86
	v_fmac_f32_e32 v35, v53, v1
	v_add_f32_e32 v34, v34, v35
	s_waitcnt vmcnt(30) lgkmcnt(7)
	v_mul_f32_e32 v35, v54, v88
	v_fmac_f32_e32 v35, v55, v87
	v_add_f32_e32 v34, v34, v35
	s_waitcnt vmcnt(28)
	v_mul_f32_e32 v35, v56, v90
	v_fmac_f32_e32 v35, v57, v89
	v_add_f32_e32 v34, v34, v35
	s_waitcnt vmcnt(26) lgkmcnt(6)
	v_mul_f32_e32 v35, v58, v92
	v_fmac_f32_e32 v35, v59, v91
	v_add_f32_e32 v34, v34, v35
	;; [unrolled: 8-line block ×8, first 2 shown]
	ds_read_b128 v[34:37], v212 offset:752
	buffer_load_dword v119, off, s[0:3], 0 offset:336
	buffer_load_dword v120, off, s[0:3], 0 offset:340
	buffer_load_dword v195, off, s[0:3], 0 offset:348
	buffer_load_dword v194, off, s[0:3], 0 offset:344
	buffer_load_dword v211, off, s[0:3], 0 offset:356
	buffer_load_dword v210, off, s[0:3], 0 offset:352
	buffer_load_dword v209, off, s[0:3], 0 offset:364
	buffer_load_dword v208, off, s[0:3], 0 offset:360
	buffer_load_dword v207, off, s[0:3], 0 offset:372
	buffer_load_dword v206, off, s[0:3], 0 offset:368
	buffer_load_dword v205, off, s[0:3], 0 offset:380
	buffer_load_dword v204, off, s[0:3], 0 offset:376
	buffer_load_dword v203, off, s[0:3], 0 offset:388
	buffer_load_dword v202, off, s[0:3], 0 offset:384
	buffer_load_dword v201, off, s[0:3], 0 offset:396
	buffer_load_dword v200, off, s[0:3], 0 offset:392
	buffer_load_dword v199, off, s[0:3], 0 offset:404
	buffer_load_dword v198, off, s[0:3], 0 offset:400
	v_mul_f32_e32 v3, v53, v86
	v_fma_f32 v1, v52, v1, -v3
	v_add_f32_e32 v1, v2, v1
	v_mul_f32_e32 v2, v55, v88
	v_fma_f32 v2, v54, v87, -v2
	v_add_f32_e32 v1, v1, v2
	;; [unrolled: 3-line block ×15, first 2 shown]
	v_mul_f32_e32 v2, v83, v116
	v_fma_f32 v2, v82, v115, -v2
	s_waitcnt vmcnt(18)
	v_mul_f32_e32 v193, v84, v118
	v_add_f32_e32 v190, v1, v2
	v_mul_f32_e32 v1, v85, v118
	v_fmac_f32_e32 v193, v85, v117
	v_fma_f32 v192, v84, v117, -v1
	ds_read_b128 v[2:5], v212 offset:768
	ds_read_b128 v[6:9], v212 offset:784
	ds_read_b128 v[10:13], v212 offset:800
	ds_read_b64 v[14:15], v212 offset:816
	v_pk_add_f32 v[16:17], v[190:191], v[192:193]
	s_waitcnt vmcnt(15)
	v_mov_b32_e32 v18, v195
	s_waitcnt lgkmcnt(4)
	v_pk_mul_f32 v[18:19], v[36:37], v[18:19] op_sel_hi:[1,0]
	s_waitcnt vmcnt(14)
	v_pk_fma_f32 v[20:21], v[36:37], v[194:195], v[18:19] op_sel:[0,0,1] op_sel_hi:[1,1,0] neg_lo:[0,0,1] neg_hi:[0,0,1]
	v_pk_fma_f32 v[18:19], v[36:37], v[194:195], v[18:19] op_sel:[0,0,1] op_sel_hi:[1,0,0]
	s_waitcnt vmcnt(13)
	v_mov_b32_e32 v18, v211
	v_mov_b32_e32 v21, v19
	s_waitcnt lgkmcnt(3)
	v_pk_mul_f32 v[18:19], v[2:3], v[18:19] op_sel_hi:[1,0]
	v_mul_f32_e32 v197, v34, v120
	v_mul_f32_e32 v1, v35, v120
	v_fmac_f32_e32 v197, v35, v119
	v_fma_f32 v196, v34, v119, -v1
	v_pk_add_f32 v[16:17], v[16:17], v[196:197]
	v_pk_add_f32 v[16:17], v[16:17], v[20:21]
	s_waitcnt vmcnt(12)
	v_pk_fma_f32 v[20:21], v[2:3], v[210:211], v[18:19] op_sel:[0,0,1] op_sel_hi:[1,1,0] neg_lo:[0,0,1] neg_hi:[0,0,1]
	v_pk_fma_f32 v[2:3], v[2:3], v[210:211], v[18:19] op_sel:[0,0,1] op_sel_hi:[1,0,0]
	v_mov_b32_e32 v21, v3
	v_pk_add_f32 v[2:3], v[16:17], v[20:21]
	s_waitcnt vmcnt(11)
	v_mov_b32_e32 v16, v209
	v_pk_mul_f32 v[16:17], v[4:5], v[16:17] op_sel_hi:[1,0]
	s_waitcnt vmcnt(10)
	v_pk_fma_f32 v[18:19], v[4:5], v[208:209], v[16:17] op_sel:[0,0,1] op_sel_hi:[1,1,0] neg_lo:[0,0,1] neg_hi:[0,0,1]
	v_pk_fma_f32 v[4:5], v[4:5], v[208:209], v[16:17] op_sel:[0,0,1] op_sel_hi:[1,0,0]
	s_waitcnt vmcnt(9)
	v_mov_b32_e32 v4, v207
	v_mov_b32_e32 v19, v5
	s_waitcnt lgkmcnt(2)
	v_pk_mul_f32 v[4:5], v[6:7], v[4:5] op_sel_hi:[1,0]
	s_waitcnt vmcnt(8)
	v_pk_fma_f32 v[16:17], v[6:7], v[206:207], v[4:5] op_sel:[0,0,1] op_sel_hi:[1,1,0] neg_lo:[0,0,1] neg_hi:[0,0,1]
	v_pk_fma_f32 v[4:5], v[6:7], v[206:207], v[4:5] op_sel:[0,0,1] op_sel_hi:[1,0,0]
	s_waitcnt vmcnt(7)
	v_mov_b32_e32 v4, v205
	v_mov_b32_e32 v17, v5
	v_pk_mul_f32 v[4:5], v[8:9], v[4:5] op_sel_hi:[1,0]
	s_waitcnt vmcnt(6)
	v_pk_fma_f32 v[6:7], v[8:9], v[204:205], v[4:5] op_sel:[0,0,1] op_sel_hi:[1,1,0] neg_lo:[0,0,1] neg_hi:[0,0,1]
	v_pk_fma_f32 v[4:5], v[8:9], v[204:205], v[4:5] op_sel:[0,0,1] op_sel_hi:[1,0,0]
	v_pk_add_f32 v[2:3], v[2:3], v[18:19]
	s_waitcnt vmcnt(5)
	v_mov_b32_e32 v4, v203
	v_pk_add_f32 v[2:3], v[2:3], v[16:17]
	v_mov_b32_e32 v7, v5
	s_waitcnt lgkmcnt(1)
	v_pk_mul_f32 v[4:5], v[10:11], v[4:5] op_sel_hi:[1,0]
	v_pk_add_f32 v[2:3], v[2:3], v[6:7]
	s_waitcnt vmcnt(4)
	v_pk_fma_f32 v[6:7], v[10:11], v[202:203], v[4:5] op_sel:[0,0,1] op_sel_hi:[1,1,0] neg_lo:[0,0,1] neg_hi:[0,0,1]
	v_pk_fma_f32 v[4:5], v[10:11], v[202:203], v[4:5] op_sel:[0,0,1] op_sel_hi:[1,0,0]
	s_waitcnt vmcnt(3)
	v_mov_b32_e32 v4, v201
	v_mov_b32_e32 v7, v5
	v_pk_mul_f32 v[4:5], v[12:13], v[4:5] op_sel_hi:[1,0]
	v_pk_add_f32 v[2:3], v[2:3], v[6:7]
	s_waitcnt vmcnt(2)
	v_pk_fma_f32 v[6:7], v[12:13], v[200:201], v[4:5] op_sel:[0,0,1] op_sel_hi:[1,1,0] neg_lo:[0,0,1] neg_hi:[0,0,1]
	v_pk_fma_f32 v[4:5], v[12:13], v[200:201], v[4:5] op_sel:[0,0,1] op_sel_hi:[1,0,0]
	s_waitcnt vmcnt(1)
	v_mov_b32_e32 v4, v199
	v_mov_b32_e32 v7, v5
	s_waitcnt lgkmcnt(0)
	v_pk_mul_f32 v[4:5], v[14:15], v[4:5] op_sel_hi:[1,0]
	v_pk_add_f32 v[2:3], v[2:3], v[6:7]
	s_waitcnt vmcnt(0)
	v_pk_fma_f32 v[6:7], v[14:15], v[198:199], v[4:5] op_sel:[0,0,1] op_sel_hi:[1,1,0] neg_lo:[0,0,1] neg_hi:[0,0,1]
	v_pk_fma_f32 v[4:5], v[14:15], v[198:199], v[4:5] op_sel:[0,0,1] op_sel_hi:[1,0,0]
	v_mov_b32_e32 v7, v5
	v_pk_add_f32 v[2:3], v[2:3], v[6:7]
	v_pk_add_f32 v[2:3], v[188:189], v[2:3] neg_lo:[0,1] neg_hi:[0,1]
	buffer_store_dword v3, off, s[0:3], 0 offset:12
	buffer_store_dword v2, off, s[0:3], 0 offset:8
	s_and_saveexec_b64 s[4:5], vcc
	s_cbranch_execz .LBB50_319
; %bb.318:
	buffer_load_dword v0, off, s[0:3], 0
	buffer_load_dword v1, off, s[0:3], 0 offset:4
	s_waitcnt vmcnt(0)
	ds_write_b64 v121, v[0:1]
	buffer_store_dword v212, off, s[0:3], 0
	buffer_store_dword v212, off, s[0:3], 0 offset:4
.LBB50_319:
	s_or_b64 exec, exec, s[4:5]
	s_waitcnt lgkmcnt(0)
	; wave barrier
	s_waitcnt lgkmcnt(0)
	buffer_load_dword v39, off, s[0:3], 0 offset:12
	buffer_load_dword v38, off, s[0:3], 0 offset:20
	;; [unrolled: 1-line block ×30, first 2 shown]
	buffer_load_dword v32, off, s[0:3], 0
	buffer_load_dword v33, off, s[0:3], 0 offset:4
	ds_read2_b64 v[20:23], v212 offset0:53 offset1:54
	ds_read2_b64 v[16:19], v212 offset0:55 offset1:56
	;; [unrolled: 1-line block ×6, first 2 shown]
	buffer_load_dword v205, off, s[0:3], 0 offset:128
	buffer_load_dword v206, off, s[0:3], 0 offset:132
	;; [unrolled: 1-line block ×20, first 2 shown]
	s_and_b64 vcc, exec, s[20:21]
	s_waitcnt vmcnt(51) lgkmcnt(5)
	v_mul_f32_e32 v24, v20, v39
	s_waitcnt vmcnt(50)
	v_mul_f32_e32 v25, v22, v38
	s_waitcnt vmcnt(49) lgkmcnt(4)
	v_mul_f32_e32 v27, v18, v37
	s_waitcnt vmcnt(48) lgkmcnt(3)
	v_mul_f32_e32 v28, v12, v36
	s_waitcnt vmcnt(47)
	v_mul_f32_e32 v29, v14, v35
	s_waitcnt vmcnt(46) lgkmcnt(2)
	v_mul_f32_e32 v30, v8, v34
	s_waitcnt vmcnt(45)
	v_mul_f32_e32 v26, v16, v40
	s_waitcnt vmcnt(44)
	v_mul_f32_e32 v31, v10, v41
	s_waitcnt vmcnt(43) lgkmcnt(1)
	v_mul_f32_e32 v46, v4, v42
	s_waitcnt vmcnt(42)
	v_mul_f32_e32 v47, v6, v43
	s_waitcnt vmcnt(41) lgkmcnt(0)
	v_mul_f32_e32 v48, v0, v44
	s_waitcnt vmcnt(40)
	v_mul_f32_e32 v49, v2, v45
	s_waitcnt vmcnt(39)
	v_fmac_f32_e32 v26, v17, v104
	s_waitcnt vmcnt(38)
	v_fmac_f32_e32 v25, v23, v106
	;; [unrolled: 2-line block ×3, first 2 shown]
	v_add_f32_e32 v24, 0, v24
	v_add_f32_e32 v24, v24, v25
	;; [unrolled: 1-line block ×3, first 2 shown]
	s_waitcnt vmcnt(33)
	v_fmac_f32_e32 v27, v19, v112
	v_fmac_f32_e32 v28, v13, v111
	v_add_f32_e32 v24, v24, v27
	v_fmac_f32_e32 v29, v15, v110
	v_add_f32_e32 v24, v24, v28
	;; [unrolled: 2-line block ×3, first 2 shown]
	s_waitcnt vmcnt(29)
	v_fmac_f32_e32 v31, v11, v116
	v_add_f32_e32 v24, v24, v30
	v_fmac_f32_e32 v46, v5, v115
	v_add_f32_e32 v24, v24, v31
	;; [unrolled: 2-line block ×4, first 2 shown]
	v_add_f32_e32 v28, v24, v48
	ds_read2_b64 v[24:27], v212 offset0:65 offset1:66
	buffer_load_dword v226, off, s[0:3], 0 offset:208
	buffer_load_dword v227, off, s[0:3], 0 offset:212
	;; [unrolled: 1-line block ×4, first 2 shown]
	s_waitcnt vmcnt(28)
	v_fmac_f32_e32 v49, v3, v121
	v_add_f32_e32 v46, v28, v49
	ds_read2_b64 v[28:31], v212 offset0:67 offset1:68
	buffer_load_dword v230, off, s[0:3], 0 offset:224
	buffer_load_dword v231, off, s[0:3], 0 offset:228
	;; [unrolled: 1-line block ×12, first 2 shown]
	s_waitcnt vmcnt(39) lgkmcnt(1)
	v_mul_f32_e32 v47, v24, v188
	v_fmac_f32_e32 v47, v25, v120
	buffer_load_dword v242, off, s[0:3], 0 offset:272
	buffer_load_dword v243, off, s[0:3], 0 offset:276
	v_add_f32_e32 v46, v46, v47
	s_waitcnt vmcnt(40)
	v_mul_f32_e32 v47, v26, v204
	v_fmac_f32_e32 v47, v27, v119
	buffer_load_dword v244, off, s[0:3], 0 offset:280
	buffer_load_dword v245, off, s[0:3], 0 offset:284
	v_add_f32_e32 v46, v46, v47
	s_waitcnt lgkmcnt(0)
	v_mul_f32_e32 v47, v28, v118
	v_fmac_f32_e32 v47, v29, v117
	v_add_f32_e32 v50, v46, v47
	ds_read2_b64 v[46:49], v212 offset0:69 offset1:70
	buffer_load_dword v246, off, s[0:3], 0 offset:288
	buffer_load_dword v247, off, s[0:3], 0 offset:292
	s_waitcnt vmcnt(40)
	v_mul_f32_e32 v51, v30, v206
	v_fmac_f32_e32 v51, v31, v205
	v_add_f32_e32 v54, v50, v51
	ds_read2_b64 v[50:53], v212 offset0:71 offset1:72
	buffer_load_dword v248, off, s[0:3], 0 offset:296
	buffer_load_dword v249, off, s[0:3], 0 offset:300
	;; [unrolled: 1-line block ×8, first 2 shown]
	s_waitcnt vmcnt(46) lgkmcnt(1)
	v_mul_f32_e32 v55, v46, v208
	v_fmac_f32_e32 v55, v47, v207
	v_add_f32_e32 v54, v54, v55
	s_waitcnt vmcnt(44)
	v_mul_f32_e32 v55, v48, v210
	v_fmac_f32_e32 v55, v49, v209
	v_add_f32_e32 v54, v54, v55
	s_waitcnt vmcnt(42) lgkmcnt(0)
	v_mul_f32_e32 v55, v50, v213
	v_fmac_f32_e32 v55, v51, v211
	v_add_f32_e32 v58, v54, v55
	buffer_load_dword v122, off, s[0:3], 0 offset:328
	buffer_load_dword v123, off, s[0:3], 0 offset:332
	buffer_load_dword v124, off, s[0:3], 0 offset:336
	buffer_load_dword v125, off, s[0:3], 0 offset:340
	ds_read2_b64 v[54:57], v212 offset0:73 offset1:74
	s_waitcnt vmcnt(44)
	v_mul_f32_e32 v59, v52, v215
	v_fmac_f32_e32 v59, v53, v214
	v_add_f32_e32 v62, v58, v59
	ds_read2_b64 v[58:61], v212 offset0:75 offset1:76
	s_waitcnt vmcnt(42) lgkmcnt(1)
	v_mul_f32_e32 v63, v54, v217
	v_fmac_f32_e32 v63, v55, v216
	v_add_f32_e32 v62, v62, v63
	s_waitcnt vmcnt(40)
	v_mul_f32_e32 v63, v56, v219
	v_fmac_f32_e32 v63, v57, v218
	v_add_f32_e32 v62, v62, v63
	s_waitcnt vmcnt(38) lgkmcnt(0)
	v_mul_f32_e32 v63, v58, v221
	v_fmac_f32_e32 v63, v59, v220
	v_add_f32_e32 v66, v62, v63
	ds_read2_b64 v[62:65], v212 offset0:77 offset1:78
	s_waitcnt vmcnt(36)
	v_mul_f32_e32 v67, v60, v223
	v_fmac_f32_e32 v67, v61, v222
	v_add_f32_e32 v70, v66, v67
	ds_read2_b64 v[66:69], v212 offset0:79 offset1:80
	s_waitcnt vmcnt(34) lgkmcnt(1)
	v_mul_f32_e32 v71, v62, v225
	v_fmac_f32_e32 v71, v63, v224
	v_add_f32_e32 v70, v70, v71
	v_mul_f32_e32 v21, v21, v39
	v_fma_f32 v20, v20, v108, -v21
	v_mul_f32_e32 v21, v23, v38
	v_add_f32_e32 v20, 0, v20
	v_fma_f32 v21, v22, v106, -v21
	v_mul_f32_e32 v17, v17, v40
	v_add_f32_e32 v20, v20, v21
	;; [unrolled: 3-line block ×5, first 2 shown]
	s_waitcnt vmcnt(32)
	v_mul_f32_e32 v71, v64, v227
	v_fmac_f32_e32 v71, v65, v226
	v_add_f32_e32 v70, v70, v71
	s_waitcnt vmcnt(30) lgkmcnt(0)
	v_mul_f32_e32 v71, v66, v229
	v_fmac_f32_e32 v71, v67, v228
	v_add_f32_e32 v74, v70, v71
	ds_read2_b64 v[70:73], v212 offset0:81 offset1:82
	s_waitcnt vmcnt(28)
	v_mul_f32_e32 v75, v68, v231
	v_fmac_f32_e32 v75, v69, v230
	v_add_f32_e32 v78, v74, v75
	ds_read2_b64 v[74:77], v212 offset0:83 offset1:84
	s_waitcnt vmcnt(26) lgkmcnt(1)
	v_mul_f32_e32 v79, v70, v233
	v_fmac_f32_e32 v79, v71, v232
	v_add_f32_e32 v78, v78, v79
	s_waitcnt vmcnt(24)
	v_mul_f32_e32 v79, v72, v235
	v_fmac_f32_e32 v79, v73, v234
	v_add_f32_e32 v78, v78, v79
	s_waitcnt vmcnt(22) lgkmcnt(0)
	v_mul_f32_e32 v79, v74, v237
	v_fmac_f32_e32 v79, v75, v236
	v_add_f32_e32 v82, v78, v79
	ds_read2_b64 v[78:81], v212 offset0:85 offset1:86
	s_waitcnt vmcnt(20)
	v_mul_f32_e32 v83, v76, v239
	v_fmac_f32_e32 v83, v77, v238
	v_add_f32_e32 v86, v82, v83
	ds_read2_b64 v[82:85], v212 offset0:87 offset1:88
	s_waitcnt vmcnt(18) lgkmcnt(1)
	v_mul_f32_e32 v87, v78, v241
	v_fmac_f32_e32 v87, v79, v240
	v_add_f32_e32 v86, v86, v87
	s_waitcnt vmcnt(16)
	v_mul_f32_e32 v87, v80, v243
	v_fmac_f32_e32 v87, v81, v242
	v_add_f32_e32 v86, v86, v87
	s_waitcnt vmcnt(14) lgkmcnt(0)
	v_mul_f32_e32 v87, v82, v245
	v_fmac_f32_e32 v87, v83, v244
	v_add_f32_e32 v90, v86, v87
	ds_read2_b64 v[86:89], v212 offset0:89 offset1:90
	s_waitcnt vmcnt(12)
	v_mul_f32_e32 v91, v84, v247
	v_fmac_f32_e32 v91, v85, v246
	v_add_f32_e32 v94, v90, v91
	ds_read2_b64 v[90:93], v212 offset0:91 offset1:92
	buffer_load_dword v103, off, s[0:3], 0 offset:348
	buffer_load_dword v102, off, s[0:3], 0 offset:344
	s_waitcnt vmcnt(12) lgkmcnt(1)
	v_mul_f32_e32 v95, v86, v249
	v_fmac_f32_e32 v95, v87, v248
	v_add_f32_e32 v94, v94, v95
	s_waitcnt vmcnt(10)
	v_mul_f32_e32 v95, v88, v251
	v_fmac_f32_e32 v95, v89, v250
	v_add_f32_e32 v94, v94, v95
	s_waitcnt vmcnt(8) lgkmcnt(0)
	v_mul_f32_e32 v95, v90, v253
	v_fmac_f32_e32 v95, v91, v252
	s_waitcnt vmcnt(6)
	v_mul_f32_e32 v99, v92, v255
	v_add_f32_e32 v98, v94, v95
	v_fmac_f32_e32 v99, v93, v254
	ds_read2_b64 v[94:97], v212 offset0:93 offset1:94
	v_add_f32_e32 v105, v98, v99
	ds_read2_b64 v[98:101], v212 offset0:95 offset1:96
	buffer_load_dword v191, off, s[0:3], 0 offset:380
	buffer_load_dword v190, off, s[0:3], 0 offset:376
	;; [unrolled: 1-line block ×14, first 2 shown]
	v_fma_f32 v13, v14, v110, -v13
	v_mul_f32_e32 v9, v9, v34
	v_add_f32_e32 v12, v12, v13
	v_fma_f32 v8, v8, v109, -v9
	v_mul_f32_e32 v9, v11, v41
	v_add_f32_e32 v8, v12, v8
	;; [unrolled: 3-line block ×6, first 2 shown]
	v_fma_f32 v1, v2, v121, -v1
	v_add_f32_e32 v0, v0, v1
	v_mul_f32_e32 v1, v25, v188
	v_fma_f32 v1, v24, v120, -v1
	v_add_f32_e32 v0, v0, v1
	v_mul_f32_e32 v1, v27, v204
	;; [unrolled: 3-line block ×28, first 2 shown]
	v_fma_f32 v1, v92, v254, -v1
	s_waitcnt vmcnt(15)
	v_mov_b32_e32 v14, v103
	s_waitcnt lgkmcnt(1)
	v_mul_f32_e32 v107, v94, v123
	v_add_f32_e32 v104, v0, v1
	v_mul_f32_e32 v0, v95, v123
	s_waitcnt lgkmcnt(0)
	v_pk_mul_f32 v[14:15], v[98:99], v[14:15] op_sel_hi:[1,0]
	v_fmac_f32_e32 v107, v95, v122
	v_mul_f32_e32 v189, v96, v125
	v_fma_f32 v106, v94, v122, -v0
	v_mul_f32_e32 v0, v97, v125
	s_waitcnt vmcnt(14)
	v_pk_fma_f32 v[16:17], v[98:99], v[102:103], v[14:15] op_sel:[0,0,1] op_sel_hi:[1,1,0] neg_lo:[0,0,1] neg_hi:[0,0,1]
	v_pk_fma_f32 v[14:15], v[98:99], v[102:103], v[14:15] op_sel:[0,0,1] op_sel_hi:[1,0,0]
	v_fmac_f32_e32 v189, v97, v124
	v_fma_f32 v188, v96, v124, -v0
	v_pk_add_f32 v[12:13], v[104:105], v[106:107]
	s_waitcnt vmcnt(7)
	v_mov_b32_e32 v14, v197
	ds_read2_b64 v[0:3], v212 offset0:97 offset1:98
	ds_read2_b64 v[4:7], v212 offset0:99 offset1:100
	;; [unrolled: 1-line block ×3, first 2 shown]
	v_pk_add_f32 v[12:13], v[12:13], v[188:189]
	v_mov_b32_e32 v17, v15
	v_pk_mul_f32 v[14:15], v[100:101], v[14:15] op_sel_hi:[1,0]
	v_pk_add_f32 v[12:13], v[12:13], v[16:17]
	s_waitcnt vmcnt(6)
	v_pk_fma_f32 v[16:17], v[100:101], v[196:197], v[14:15] op_sel:[0,0,1] op_sel_hi:[1,1,0] neg_lo:[0,0,1] neg_hi:[0,0,1]
	v_pk_fma_f32 v[14:15], v[100:101], v[196:197], v[14:15] op_sel:[0,0,1] op_sel_hi:[1,0,0]
	v_mov_b32_e32 v14, v195
	v_mov_b32_e32 v17, v15
	s_waitcnt lgkmcnt(2)
	v_pk_mul_f32 v[14:15], v[0:1], v[14:15] op_sel_hi:[1,0]
	v_pk_add_f32 v[12:13], v[12:13], v[16:17]
	v_pk_fma_f32 v[16:17], v[0:1], v[194:195], v[14:15] op_sel:[0,0,1] op_sel_hi:[1,1,0] neg_lo:[0,0,1] neg_hi:[0,0,1]
	v_pk_fma_f32 v[0:1], v[0:1], v[194:195], v[14:15] op_sel:[0,0,1] op_sel_hi:[1,0,0]
	v_mov_b32_e32 v17, v1
	v_pk_add_f32 v[0:1], v[12:13], v[16:17]
	v_mov_b32_e32 v12, v193
	v_pk_mul_f32 v[12:13], v[2:3], v[12:13] op_sel_hi:[1,0]
	v_pk_fma_f32 v[14:15], v[2:3], v[192:193], v[12:13] op_sel:[0,0,1] op_sel_hi:[1,1,0] neg_lo:[0,0,1] neg_hi:[0,0,1]
	v_pk_fma_f32 v[2:3], v[2:3], v[192:193], v[12:13] op_sel:[0,0,1] op_sel_hi:[1,0,0]
	v_mov_b32_e32 v2, v191
	v_mov_b32_e32 v15, v3
	s_waitcnt lgkmcnt(1)
	v_pk_mul_f32 v[2:3], v[4:5], v[2:3] op_sel_hi:[1,0]
	v_pk_fma_f32 v[12:13], v[4:5], v[190:191], v[2:3] op_sel:[0,0,1] op_sel_hi:[1,1,0] neg_lo:[0,0,1] neg_hi:[0,0,1]
	v_pk_fma_f32 v[2:3], v[4:5], v[190:191], v[2:3] op_sel:[0,0,1] op_sel_hi:[1,0,0]
	s_waitcnt vmcnt(1)
	v_mov_b32_e32 v2, v203
	v_mov_b32_e32 v13, v3
	v_pk_mul_f32 v[2:3], v[6:7], v[2:3] op_sel_hi:[1,0]
	s_waitcnt vmcnt(0)
	v_pk_fma_f32 v[4:5], v[6:7], v[202:203], v[2:3] op_sel:[0,0,1] op_sel_hi:[1,1,0] neg_lo:[0,0,1] neg_hi:[0,0,1]
	v_pk_fma_f32 v[2:3], v[6:7], v[202:203], v[2:3] op_sel:[0,0,1] op_sel_hi:[1,0,0]
	v_pk_add_f32 v[0:1], v[0:1], v[14:15]
	v_mov_b32_e32 v2, v201
	v_pk_add_f32 v[0:1], v[0:1], v[12:13]
	v_mov_b32_e32 v5, v3
	s_waitcnt lgkmcnt(0)
	v_pk_mul_f32 v[2:3], v[8:9], v[2:3] op_sel_hi:[1,0]
	v_pk_add_f32 v[0:1], v[0:1], v[4:5]
	v_pk_fma_f32 v[4:5], v[8:9], v[200:201], v[2:3] op_sel:[0,0,1] op_sel_hi:[1,1,0] neg_lo:[0,0,1] neg_hi:[0,0,1]
	v_pk_fma_f32 v[2:3], v[8:9], v[200:201], v[2:3] op_sel:[0,0,1] op_sel_hi:[1,0,0]
	v_mov_b32_e32 v2, v199
	v_mov_b32_e32 v5, v3
	v_pk_mul_f32 v[2:3], v[10:11], v[2:3] op_sel_hi:[1,0]
	v_pk_add_f32 v[0:1], v[0:1], v[4:5]
	v_pk_fma_f32 v[4:5], v[10:11], v[198:199], v[2:3] op_sel:[0,0,1] op_sel_hi:[1,1,0] neg_lo:[0,0,1] neg_hi:[0,0,1]
	v_pk_fma_f32 v[2:3], v[10:11], v[198:199], v[2:3] op_sel:[0,0,1] op_sel_hi:[1,0,0]
	v_mov_b32_e32 v5, v3
	v_pk_add_f32 v[0:1], v[0:1], v[4:5]
	v_pk_add_f32 v[0:1], v[32:33], v[0:1] neg_lo:[0,1] neg_hi:[0,1]
	buffer_store_dword v1, off, s[0:3], 0 offset:4
	buffer_store_dword v0, off, s[0:3], 0
	s_cbranch_vccz .LBB50_421
; %bb.320:
	v_pk_mov_b32 v[0:1], s[10:11], s[10:11] op_sel:[0,1]
	flat_load_dword v0, v[0:1] offset:196
	s_waitcnt vmcnt(0) lgkmcnt(0)
	v_add_u32_e32 v0, -1, v0
	v_cmp_ne_u32_e32 vcc, 49, v0
	s_and_saveexec_b64 s[4:5], vcc
	s_cbranch_execz .LBB50_322
; %bb.321:
	v_mov_b32_e32 v1, 0
	v_lshl_add_u32 v0, v0, 3, v1
	buffer_load_dword v1, v0, s[0:3], 0 offen
	buffer_load_dword v2, v0, s[0:3], 0 offen offset:4
	buffer_load_dword v3, off, s[0:3], 0 offset:392
	buffer_load_dword v4, off, s[0:3], 0 offset:396
	s_waitcnt vmcnt(3)
	buffer_store_dword v1, off, s[0:3], 0 offset:392
	s_waitcnt vmcnt(3)
	buffer_store_dword v2, off, s[0:3], 0 offset:396
	s_waitcnt vmcnt(3)
	buffer_store_dword v3, v0, s[0:3], 0 offen
	s_waitcnt vmcnt(3)
	buffer_store_dword v4, v0, s[0:3], 0 offen offset:4
.LBB50_322:
	s_or_b64 exec, exec, s[4:5]
	v_pk_mov_b32 v[0:1], s[10:11], s[10:11] op_sel:[0,1]
	flat_load_dword v0, v[0:1] offset:192
	s_waitcnt vmcnt(0) lgkmcnt(0)
	v_add_u32_e32 v0, -1, v0
	v_cmp_ne_u32_e32 vcc, 48, v0
	s_and_saveexec_b64 s[4:5], vcc
	s_cbranch_execz .LBB50_324
; %bb.323:
	v_mov_b32_e32 v1, 0
	v_lshl_add_u32 v0, v0, 3, v1
	buffer_load_dword v1, v0, s[0:3], 0 offen
	buffer_load_dword v2, v0, s[0:3], 0 offen offset:4
	buffer_load_dword v3, off, s[0:3], 0 offset:388
	buffer_load_dword v4, off, s[0:3], 0 offset:384
	s_waitcnt vmcnt(3)
	buffer_store_dword v1, off, s[0:3], 0 offset:384
	s_waitcnt vmcnt(3)
	buffer_store_dword v2, off, s[0:3], 0 offset:388
	s_waitcnt vmcnt(3)
	buffer_store_dword v3, v0, s[0:3], 0 offen offset:4
	s_waitcnt vmcnt(3)
	buffer_store_dword v4, v0, s[0:3], 0 offen
.LBB50_324:
	s_or_b64 exec, exec, s[4:5]
	v_pk_mov_b32 v[0:1], s[10:11], s[10:11] op_sel:[0,1]
	flat_load_dword v0, v[0:1] offset:188
	s_waitcnt vmcnt(0) lgkmcnt(0)
	v_add_u32_e32 v0, -1, v0
	v_cmp_ne_u32_e32 vcc, 47, v0
	s_and_saveexec_b64 s[4:5], vcc
	s_cbranch_execz .LBB50_326
; %bb.325:
	v_mov_b32_e32 v1, 0
	v_lshl_add_u32 v0, v0, 3, v1
	buffer_load_dword v1, v0, s[0:3], 0 offen
	buffer_load_dword v2, v0, s[0:3], 0 offen offset:4
	buffer_load_dword v3, off, s[0:3], 0 offset:376
	buffer_load_dword v4, off, s[0:3], 0 offset:380
	s_waitcnt vmcnt(3)
	buffer_store_dword v1, off, s[0:3], 0 offset:376
	s_waitcnt vmcnt(3)
	buffer_store_dword v2, off, s[0:3], 0 offset:380
	s_waitcnt vmcnt(3)
	buffer_store_dword v3, v0, s[0:3], 0 offen
	s_waitcnt vmcnt(3)
	buffer_store_dword v4, v0, s[0:3], 0 offen offset:4
.LBB50_326:
	s_or_b64 exec, exec, s[4:5]
	v_pk_mov_b32 v[0:1], s[10:11], s[10:11] op_sel:[0,1]
	flat_load_dword v0, v[0:1] offset:184
	s_waitcnt vmcnt(0) lgkmcnt(0)
	v_add_u32_e32 v0, -1, v0
	v_cmp_ne_u32_e32 vcc, 46, v0
	s_and_saveexec_b64 s[4:5], vcc
	s_cbranch_execz .LBB50_328
; %bb.327:
	v_mov_b32_e32 v1, 0
	v_lshl_add_u32 v0, v0, 3, v1
	buffer_load_dword v1, v0, s[0:3], 0 offen
	buffer_load_dword v2, v0, s[0:3], 0 offen offset:4
	buffer_load_dword v3, off, s[0:3], 0 offset:372
	buffer_load_dword v4, off, s[0:3], 0 offset:368
	s_waitcnt vmcnt(3)
	buffer_store_dword v1, off, s[0:3], 0 offset:368
	s_waitcnt vmcnt(3)
	buffer_store_dword v2, off, s[0:3], 0 offset:372
	s_waitcnt vmcnt(3)
	buffer_store_dword v3, v0, s[0:3], 0 offen offset:4
	s_waitcnt vmcnt(3)
	buffer_store_dword v4, v0, s[0:3], 0 offen
.LBB50_328:
	s_or_b64 exec, exec, s[4:5]
	;; [unrolled: 48-line block ×24, first 2 shown]
	v_pk_mov_b32 v[0:1], s[10:11], s[10:11] op_sel:[0,1]
	flat_load_dword v0, v[0:1] offset:4
	s_waitcnt vmcnt(0) lgkmcnt(0)
	v_add_u32_e32 v0, -1, v0
	v_cmp_ne_u32_e32 vcc, 1, v0
	s_and_saveexec_b64 s[4:5], vcc
	s_cbranch_execz .LBB50_418
; %bb.417:
	v_mov_b32_e32 v1, 0
	v_lshl_add_u32 v0, v0, 3, v1
	buffer_load_dword v1, v0, s[0:3], 0 offen
	buffer_load_dword v2, v0, s[0:3], 0 offen offset:4
	buffer_load_dword v3, off, s[0:3], 0 offset:8
	buffer_load_dword v4, off, s[0:3], 0 offset:12
	s_waitcnt vmcnt(3)
	buffer_store_dword v1, off, s[0:3], 0 offset:8
	s_waitcnt vmcnt(3)
	buffer_store_dword v2, off, s[0:3], 0 offset:12
	s_waitcnt vmcnt(3)
	buffer_store_dword v3, v0, s[0:3], 0 offen
	s_waitcnt vmcnt(3)
	buffer_store_dword v4, v0, s[0:3], 0 offen offset:4
.LBB50_418:
	s_or_b64 exec, exec, s[4:5]
	v_pk_mov_b32 v[0:1], s[10:11], s[10:11] op_sel:[0,1]
	flat_load_dword v2, v[0:1]
	s_nop 0
	buffer_load_dword v0, off, s[0:3], 0
	buffer_load_dword v1, off, s[0:3], 0 offset:4
	s_waitcnt vmcnt(0) lgkmcnt(0)
	v_add_u32_e32 v2, -1, v2
	v_cmp_ne_u32_e32 vcc, 0, v2
	s_and_saveexec_b64 s[4:5], vcc
	s_cbranch_execz .LBB50_420
; %bb.419:
	v_mov_b32_e32 v3, 0
	v_lshl_add_u32 v2, v2, 3, v3
	buffer_load_dword v3, v2, s[0:3], 0 offen offset:4
	buffer_load_dword v4, v2, s[0:3], 0 offen
	s_waitcnt vmcnt(1)
	buffer_store_dword v3, off, s[0:3], 0 offset:4
	s_waitcnt vmcnt(1)
	buffer_store_dword v4, off, s[0:3], 0
	buffer_store_dword v1, v2, s[0:3], 0 offen offset:4
	buffer_store_dword v0, v2, s[0:3], 0 offen
	buffer_load_dword v0, off, s[0:3], 0
	s_nop 0
	buffer_load_dword v1, off, s[0:3], 0 offset:4
.LBB50_420:
	s_or_b64 exec, exec, s[4:5]
.LBB50_421:
	buffer_load_dword v2, off, s[0:3], 0 offset:8
	buffer_load_dword v3, off, s[0:3], 0 offset:12
	;; [unrolled: 1-line block ×100, first 2 shown]
	s_waitcnt vmcnt(62)
	global_store_dwordx2 v[178:179], v[0:1], off
	global_store_dwordx2 v[180:181], v[2:3], off
	v_accvgpr_read_b32 v0, a0
	v_accvgpr_read_b32 v1, a1
	global_store_dwordx2 v[0:1], v[4:5], off
	v_accvgpr_read_b32 v0, a2
	v_accvgpr_read_b32 v1, a3
	;; [unrolled: 3-line block ×19, first 2 shown]
	s_waitcnt vmcnt(62)
	global_store_dwordx2 v[0:1], v[40:41], off
	v_accvgpr_read_b32 v0, a38
	v_accvgpr_read_b32 v1, a39
	global_store_dwordx2 v[0:1], v[42:43], off
	global_store_dwordx2 v[126:127], v[44:45], off
	global_store_dwordx2 v[128:129], v[46:47], off
	global_store_dwordx2 v[130:131], v[48:49], off
	global_store_dwordx2 v[132:133], v[50:51], off
	global_store_dwordx2 v[134:135], v[52:53], off
	global_store_dwordx2 v[136:137], v[54:55], off
	global_store_dwordx2 v[138:139], v[56:57], off
	global_store_dwordx2 v[140:141], v[58:59], off
	s_waitcnt vmcnt(62)
	global_store_dwordx2 v[142:143], v[60:61], off
	global_store_dwordx2 v[144:145], v[62:63], off
	;; [unrolled: 1-line block ×5, first 2 shown]
	s_waitcnt vmcnt(62)
	global_store_dwordx2 v[152:153], v[70:71], off
	global_store_dwordx2 v[154:155], v[72:73], off
	s_waitcnt vmcnt(62)
	global_store_dwordx2 v[156:157], v[74:75], off
	s_waitcnt vmcnt(62)
	;; [unrolled: 2-line block ×14, first 2 shown]
	global_store_dwordx2 v[186:187], v[100:101], off
	s_endpgm
	.section	.rodata,"a",@progbits
	.p2align	6, 0x0
	.amdhsa_kernel _ZN9rocsolver6v33100L18getri_kernel_smallILi51E19rocblas_complex_numIfEPS3_EEvT1_iilPiilS6_bb
		.amdhsa_group_segment_fixed_size 824
		.amdhsa_private_segment_fixed_size 416
		.amdhsa_kernarg_size 60
		.amdhsa_user_sgpr_count 8
		.amdhsa_user_sgpr_private_segment_buffer 1
		.amdhsa_user_sgpr_dispatch_ptr 0
		.amdhsa_user_sgpr_queue_ptr 0
		.amdhsa_user_sgpr_kernarg_segment_ptr 1
		.amdhsa_user_sgpr_dispatch_id 0
		.amdhsa_user_sgpr_flat_scratch_init 1
		.amdhsa_user_sgpr_kernarg_preload_length 0
		.amdhsa_user_sgpr_kernarg_preload_offset 0
		.amdhsa_user_sgpr_private_segment_size 0
		.amdhsa_uses_dynamic_stack 0
		.amdhsa_system_sgpr_private_segment_wavefront_offset 1
		.amdhsa_system_sgpr_workgroup_id_x 1
		.amdhsa_system_sgpr_workgroup_id_y 0
		.amdhsa_system_sgpr_workgroup_id_z 0
		.amdhsa_system_sgpr_workgroup_info 0
		.amdhsa_system_vgpr_workitem_id 0
		.amdhsa_next_free_vgpr 296
		.amdhsa_next_free_sgpr 23
		.amdhsa_accum_offset 256
		.amdhsa_reserve_vcc 1
		.amdhsa_reserve_flat_scratch 1
		.amdhsa_float_round_mode_32 0
		.amdhsa_float_round_mode_16_64 0
		.amdhsa_float_denorm_mode_32 3
		.amdhsa_float_denorm_mode_16_64 3
		.amdhsa_dx10_clamp 1
		.amdhsa_ieee_mode 1
		.amdhsa_fp16_overflow 0
		.amdhsa_tg_split 0
		.amdhsa_exception_fp_ieee_invalid_op 0
		.amdhsa_exception_fp_denorm_src 0
		.amdhsa_exception_fp_ieee_div_zero 0
		.amdhsa_exception_fp_ieee_overflow 0
		.amdhsa_exception_fp_ieee_underflow 0
		.amdhsa_exception_fp_ieee_inexact 0
		.amdhsa_exception_int_div_zero 0
	.end_amdhsa_kernel
	.section	.text._ZN9rocsolver6v33100L18getri_kernel_smallILi51E19rocblas_complex_numIfEPS3_EEvT1_iilPiilS6_bb,"axG",@progbits,_ZN9rocsolver6v33100L18getri_kernel_smallILi51E19rocblas_complex_numIfEPS3_EEvT1_iilPiilS6_bb,comdat
.Lfunc_end50:
	.size	_ZN9rocsolver6v33100L18getri_kernel_smallILi51E19rocblas_complex_numIfEPS3_EEvT1_iilPiilS6_bb, .Lfunc_end50-_ZN9rocsolver6v33100L18getri_kernel_smallILi51E19rocblas_complex_numIfEPS3_EEvT1_iilPiilS6_bb
                                        ; -- End function
	.section	.AMDGPU.csdata,"",@progbits
; Kernel info:
; codeLenInByte = 102184
; NumSgprs: 29
; NumVgprs: 256
; NumAgprs: 40
; TotalNumVgprs: 296
; ScratchSize: 416
; MemoryBound: 0
; FloatMode: 240
; IeeeMode: 1
; LDSByteSize: 824 bytes/workgroup (compile time only)
; SGPRBlocks: 3
; VGPRBlocks: 36
; NumSGPRsForWavesPerEU: 29
; NumVGPRsForWavesPerEU: 296
; AccumOffset: 256
; Occupancy: 1
; WaveLimiterHint : 1
; COMPUTE_PGM_RSRC2:SCRATCH_EN: 1
; COMPUTE_PGM_RSRC2:USER_SGPR: 8
; COMPUTE_PGM_RSRC2:TRAP_HANDLER: 0
; COMPUTE_PGM_RSRC2:TGID_X_EN: 1
; COMPUTE_PGM_RSRC2:TGID_Y_EN: 0
; COMPUTE_PGM_RSRC2:TGID_Z_EN: 0
; COMPUTE_PGM_RSRC2:TIDIG_COMP_CNT: 0
; COMPUTE_PGM_RSRC3_GFX90A:ACCUM_OFFSET: 63
; COMPUTE_PGM_RSRC3_GFX90A:TG_SPLIT: 0
	.section	.text._ZN9rocsolver6v33100L18getri_kernel_smallILi52E19rocblas_complex_numIfEPS3_EEvT1_iilPiilS6_bb,"axG",@progbits,_ZN9rocsolver6v33100L18getri_kernel_smallILi52E19rocblas_complex_numIfEPS3_EEvT1_iilPiilS6_bb,comdat
	.globl	_ZN9rocsolver6v33100L18getri_kernel_smallILi52E19rocblas_complex_numIfEPS3_EEvT1_iilPiilS6_bb ; -- Begin function _ZN9rocsolver6v33100L18getri_kernel_smallILi52E19rocblas_complex_numIfEPS3_EEvT1_iilPiilS6_bb
	.p2align	8
	.type	_ZN9rocsolver6v33100L18getri_kernel_smallILi52E19rocblas_complex_numIfEPS3_EEvT1_iilPiilS6_bb,@function
_ZN9rocsolver6v33100L18getri_kernel_smallILi52E19rocblas_complex_numIfEPS3_EEvT1_iilPiilS6_bb: ; @_ZN9rocsolver6v33100L18getri_kernel_smallILi52E19rocblas_complex_numIfEPS3_EEvT1_iilPiilS6_bb
; %bb.0:
	s_add_u32 flat_scratch_lo, s6, s9
	s_addc_u32 flat_scratch_hi, s7, 0
	s_add_u32 s0, s0, s9
	s_addc_u32 s1, s1, 0
	v_cmp_gt_u32_e32 vcc, 52, v0
	s_and_saveexec_b64 s[6:7], vcc
	s_cbranch_execz .LBB51_222
; %bb.1:
	s_load_dword s22, s[4:5], 0x38
	s_load_dwordx4 s[16:19], s[4:5], 0x10
	s_load_dwordx4 s[12:15], s[4:5], 0x28
                                        ; implicit-def: $sgpr10_sgpr11
	s_waitcnt lgkmcnt(0)
	s_bitcmp1_b32 s22, 8
	s_cselect_b64 s[20:21], -1, 0
	s_ashr_i32 s9, s8, 31
	s_bfe_u32 s6, s22, 0x10008
	s_cmp_eq_u32 s6, 0
	s_cbranch_scc1 .LBB51_3
; %bb.2:
	s_load_dword s6, s[4:5], 0x20
	s_mul_i32 s7, s8, s13
	s_mul_hi_u32 s10, s8, s12
	s_mul_i32 s11, s9, s12
	s_add_i32 s10, s10, s7
	s_add_i32 s11, s10, s11
	s_mul_i32 s10, s8, s12
	s_waitcnt lgkmcnt(0)
	s_ashr_i32 s7, s6, 31
	s_lshl_b64 s[10:11], s[10:11], 2
	s_add_u32 s10, s18, s10
	s_addc_u32 s11, s19, s11
	s_lshl_b64 s[6:7], s[6:7], 2
	s_add_u32 s10, s10, s6
	s_addc_u32 s11, s11, s7
.LBB51_3:
	s_load_dwordx4 s[4:7], s[4:5], 0x0
	s_mul_i32 s12, s8, s17
	s_mul_hi_u32 s13, s8, s16
	s_add_i32 s17, s13, s12
	v_lshlrev_b32_e32 v6, 3, v0
	s_waitcnt lgkmcnt(0)
	s_ashr_i32 s13, s6, 31
	s_mov_b32 s12, s6
	s_mul_i32 s6, s9, s16
	s_add_i32 s17, s17, s6
	s_mul_i32 s16, s8, s16
	s_lshl_b64 s[16:17], s[16:17], 3
	s_add_u32 s6, s4, s16
	s_addc_u32 s16, s5, s17
	s_lshl_b64 s[4:5], s[12:13], 3
	s_add_u32 s4, s6, s4
	s_addc_u32 s5, s16, s5
	s_add_i32 s6, s7, s7
	v_add_u32_e32 v2, s6, v0
	v_ashrrev_i32_e32 v3, 31, v2
	v_lshlrev_b64 v[4:5], 3, v[2:3]
	v_add_u32_e32 v2, s7, v2
	v_mov_b32_e32 v1, s5
	v_add_co_u32_e32 v12, vcc, s4, v4
	v_ashrrev_i32_e32 v3, 31, v2
	v_addc_co_u32_e32 v13, vcc, v1, v5, vcc
	v_lshlrev_b64 v[4:5], 3, v[2:3]
	v_add_u32_e32 v2, s7, v2
	v_add_co_u32_e32 v14, vcc, s4, v4
	v_ashrrev_i32_e32 v3, 31, v2
	v_addc_co_u32_e32 v15, vcc, v1, v5, vcc
	v_lshlrev_b64 v[4:5], 3, v[2:3]
	v_add_u32_e32 v2, s7, v2
	;; [unrolled: 5-line block ×42, first 2 shown]
	v_add_co_u32_e32 v170, vcc, s4, v4
	v_ashrrev_i32_e32 v3, 31, v2
	v_addc_co_u32_e32 v171, vcc, v1, v5, vcc
	v_lshlrev_b64 v[4:5], 3, v[2:3]
	v_add_co_u32_e32 v172, vcc, s4, v4
	v_addc_co_u32_e32 v173, vcc, v1, v5, vcc
	global_load_dwordx2 v[4:5], v6, s[4:5]
	v_add_co_u32_e32 v180, vcc, s4, v6
	s_ashr_i32 s13, s7, 31
	s_mov_b32 s12, s7
	v_addc_co_u32_e32 v181, vcc, 0, v1, vcc
	s_lshl_b64 s[12:13], s[12:13], 3
	v_mov_b32_e32 v1, s13
	v_add_co_u32_e32 v182, vcc, s12, v180
	v_addc_co_u32_e32 v183, vcc, v181, v1, vcc
	global_load_dwordx2 v[8:9], v[182:183], off
	v_accvgpr_write_b32 a0, v12
	v_add_u32_e32 v2, s7, v2
	v_accvgpr_write_b32 a1, v13
	global_load_dwordx2 v[12:13], v[12:13], off
	v_ashrrev_i32_e32 v3, 31, v2
	v_lshlrev_b64 v[10:11], 3, v[2:3]
	v_mov_b32_e32 v1, s5
	v_add_co_u32_e32 v174, vcc, s4, v10
	v_addc_co_u32_e32 v175, vcc, v1, v11, vcc
	global_load_dwordx2 v[10:11], v[14:15], off
	v_accvgpr_write_b32 a2, v14
	v_accvgpr_write_b32 a6, v18
	;; [unrolled: 1-line block ×4, first 2 shown]
	global_load_dwordx2 v[18:19], v[18:19], off
	v_add_u32_e32 v2, s7, v2
	global_load_dwordx2 v[14:15], v[16:17], off
	v_ashrrev_i32_e32 v3, 31, v2
	v_accvgpr_write_b32 a4, v16
	v_accvgpr_write_b32 a10, v22
	;; [unrolled: 1-line block ×6, first 2 shown]
	global_load_dwordx2 v[22:23], v[22:23], off
	v_accvgpr_write_b32 a17, v29
	global_load_dwordx2 v[28:29], v[28:29], off
	v_accvgpr_write_b32 a31, v43
	global_load_dwordx2 v[42:43], v[42:43], off
	v_lshlrev_b64 v[16:17], 3, v[2:3]
	v_add_co_u32_e32 v176, vcc, s4, v16
	v_addc_co_u32_e32 v177, vcc, v1, v17, vcc
	global_load_dwordx2 v[16:17], v[20:21], off
	v_add_u32_e32 v2, s7, v2
	v_accvgpr_write_b32 a8, v20
	v_ashrrev_i32_e32 v3, 31, v2
	v_accvgpr_write_b32 a12, v24
	v_accvgpr_write_b32 a18, v30
	;; [unrolled: 1-line block ×5, first 2 shown]
	global_load_dwordx2 v[24:25], v[24:25], off
	v_accvgpr_write_b32 a19, v31
	global_load_dwordx2 v[30:31], v[30:31], off
	v_accvgpr_write_b32 a33, v45
	global_load_dwordx2 v[44:45], v[44:45], off
	v_lshlrev_b64 v[20:21], 3, v[2:3]
	v_add_u32_e32 v2, s7, v2
	v_add_co_u32_e32 v178, vcc, s4, v20
	v_ashrrev_i32_e32 v3, 31, v2
	v_accvgpr_write_b32 a14, v26
	v_accvgpr_write_b32 a28, v40
	v_addc_co_u32_e32 v179, vcc, v1, v21, vcc
	v_accvgpr_write_b32 a15, v27
	global_load_dwordx2 v[20:21], v[26:27], off
	v_accvgpr_write_b32 a29, v41
	global_load_dwordx2 v[40:41], v[40:41], off
	v_lshlrev_b64 v[26:27], 3, v[2:3]
	v_add_u32_e32 v2, s7, v2
	v_add_co_u32_e32 v184, vcc, s4, v26
	v_accvgpr_write_b32 a20, v32
	v_accvgpr_write_b32 a22, v34
	v_ashrrev_i32_e32 v3, 31, v2
	v_accvgpr_write_b32 a24, v36
	v_accvgpr_write_b32 a26, v38
	v_accvgpr_write_b32 a34, v46
	v_addc_co_u32_e32 v185, vcc, v1, v27, vcc
	v_accvgpr_write_b32 a21, v33
	global_load_dwordx2 v[26:27], v[32:33], off
	v_accvgpr_write_b32 a23, v35
	v_accvgpr_write_b32 a25, v37
	;; [unrolled: 1-line block ×4, first 2 shown]
	global_load_dwordx2 v[46:47], v[46:47], off
	v_accvgpr_write_b32 a36, v48
	global_load_dwordx2 v[32:33], v[34:35], off
	v_accvgpr_write_b32 a38, v50
	;; [unrolled: 2-line block ×3, first 2 shown]
	global_load_dwordx2 v[36:37], v[38:39], off
	v_lshlrev_b64 v[38:39], 3, v[2:3]
	v_add_u32_e32 v2, s7, v2
	v_add_co_u32_e32 v186, vcc, s4, v38
	v_ashrrev_i32_e32 v3, 31, v2
	v_addc_co_u32_e32 v187, vcc, v1, v39, vcc
	v_lshlrev_b64 v[2:3], 3, v[2:3]
	v_accvgpr_write_b32 a42, v54
	v_add_co_u32_e32 v188, vcc, s4, v2
	v_accvgpr_write_b32 a37, v49
	global_load_dwordx2 v[38:39], v[48:49], off
	v_accvgpr_write_b32 a39, v51
	global_load_dwordx2 v[48:49], v[50:51], off
	;; [unrolled: 2-line block ×4, first 2 shown]
	s_nop 0
	global_load_dwordx2 v[54:55], v[130:131], off
	global_load_dwordx2 v[56:57], v[132:133], off
	;; [unrolled: 1-line block ×4, first 2 shown]
	v_addc_co_u32_e32 v189, vcc, v1, v3, vcc
	global_load_dwordx2 v[2:3], v[138:139], off
	global_load_dwordx2 v[62:63], v[188:189], off
	;; [unrolled: 1-line block ×14, first 2 shown]
	s_bitcmp0_b32 s22, 0
	s_waitcnt vmcnt(41)
	buffer_store_dword v5, off, s[0:3], 0 offset:4
	buffer_store_dword v4, off, s[0:3], 0
	global_load_dwordx2 v[4:5], v[144:145], off
	s_mov_b64 s[6:7], -1
	s_waitcnt vmcnt(43)
	buffer_store_dword v9, off, s[0:3], 0 offset:12
	buffer_store_dword v8, off, s[0:3], 0 offset:8
	global_load_dwordx2 v[8:9], v[148:149], off
	s_waitcnt vmcnt(45)
	buffer_store_dword v13, off, s[0:3], 0 offset:20
	buffer_store_dword v12, off, s[0:3], 0 offset:16
	global_load_dwordx2 v[12:13], v[152:153], off
	;; [unrolled: 4-line block ×4, first 2 shown]
	s_nop 0
	buffer_store_dword v19, off, s[0:3], 0 offset:44
	buffer_store_dword v18, off, s[0:3], 0 offset:40
	global_load_dwordx2 v[18:19], v[164:165], off
	s_waitcnt vmcnt(50)
	buffer_store_dword v17, off, s[0:3], 0 offset:52
	buffer_store_dword v16, off, s[0:3], 0 offset:48
	global_load_dwordx2 v[16:17], v[168:169], off
	s_nop 0
	buffer_store_dword v23, off, s[0:3], 0 offset:60
	buffer_store_dword v22, off, s[0:3], 0 offset:56
	global_load_dwordx2 v[22:23], v[172:173], off
	s_waitcnt vmcnt(55)
	buffer_store_dword v25, off, s[0:3], 0 offset:68
	buffer_store_dword v24, off, s[0:3], 0 offset:64
	global_load_dwordx2 v[24:25], v[176:177], off
	s_waitcnt vmcnt(55)
	buffer_store_dword v20, off, s[0:3], 0 offset:72
	buffer_store_dword v21, off, s[0:3], 0 offset:76
	global_load_dwordx2 v[20:21], v[184:185], off
	s_nop 0
	buffer_store_dword v28, off, s[0:3], 0 offset:80
	buffer_store_dword v29, off, s[0:3], 0 offset:84
	;; [unrolled: 1-line block ×4, first 2 shown]
	s_waitcnt vmcnt(60)
	buffer_store_dword v26, off, s[0:3], 0 offset:96
	buffer_store_dword v27, off, s[0:3], 0 offset:100
	s_waitcnt vmcnt(60)
	buffer_store_dword v32, off, s[0:3], 0 offset:104
	buffer_store_dword v33, off, s[0:3], 0 offset:108
	;; [unrolled: 3-line block ×4, first 2 shown]
	buffer_store_dword v40, off, s[0:3], 0 offset:128
	buffer_store_dword v41, off, s[0:3], 0 offset:132
	;; [unrolled: 1-line block ×8, first 2 shown]
	s_waitcnt vmcnt(62)
	buffer_store_dword v39, off, s[0:3], 0 offset:164
	buffer_store_dword v38, off, s[0:3], 0 offset:160
	;; [unrolled: 1-line block ×18, first 2 shown]
	s_waitcnt vmcnt(62)
	buffer_store_dword v64, off, s[0:3], 0 offset:232
	buffer_store_dword v65, off, s[0:3], 0 offset:236
	;; [unrolled: 1-line block ×12, first 2 shown]
	s_waitcnt vmcnt(62)
	buffer_store_dword v12, off, s[0:3], 0 offset:280
	buffer_store_dword v13, off, s[0:3], 0 offset:284
	;; [unrolled: 1-line block ×16, first 2 shown]
	s_waitcnt vmcnt(62)
	buffer_store_dword v17, off, s[0:3], 0 offset:348
	buffer_store_dword v16, off, s[0:3], 0 offset:344
	;; [unrolled: 1-line block ×18, first 2 shown]
	s_cbranch_scc1 .LBB51_220
; %bb.4:
	v_cmp_eq_u32_e64 s[4:5], 0, v0
	s_and_saveexec_b64 s[6:7], s[4:5]
	s_cbranch_execz .LBB51_6
; %bb.5:
	v_mov_b32_e32 v1, 0
	ds_write_b32 v1, v1 offset:832
.LBB51_6:
	s_or_b64 exec, exec, s[6:7]
	v_mov_b32_e32 v1, 0
	v_lshl_add_u32 v7, v0, 3, v1
	s_waitcnt lgkmcnt(0)
	; wave barrier
	s_waitcnt lgkmcnt(0)
	buffer_load_dword v1, v7, s[0:3], 0 offen
	buffer_load_dword v2, v7, s[0:3], 0 offen offset:4
	s_waitcnt vmcnt(1)
	v_cmp_eq_f32_e32 vcc, 0, v1
	s_waitcnt vmcnt(0)
	v_cmp_eq_f32_e64 s[6:7], 0, v2
	s_and_b64 s[6:7], vcc, s[6:7]
	s_and_saveexec_b64 s[12:13], s[6:7]
	s_cbranch_execz .LBB51_10
; %bb.7:
	v_mov_b32_e32 v1, 0
	ds_read_b32 v3, v1 offset:832
	v_add_u32_e32 v2, 1, v0
	s_waitcnt lgkmcnt(0)
	v_readfirstlane_b32 s6, v3
	s_cmp_eq_u32 s6, 0
	s_cselect_b64 s[16:17], -1, 0
	v_cmp_gt_i32_e32 vcc, s6, v2
	s_or_b64 s[16:17], s[16:17], vcc
	s_and_b64 exec, exec, s[16:17]
	s_cbranch_execz .LBB51_10
; %bb.8:
	s_mov_b64 s[16:17], 0
	v_mov_b32_e32 v3, s6
.LBB51_9:                               ; =>This Inner Loop Header: Depth=1
	ds_cmpst_rtn_b32 v3, v1, v3, v2 offset:832
	s_waitcnt lgkmcnt(0)
	v_cmp_ne_u32_e32 vcc, 0, v3
	v_cmp_le_i32_e64 s[6:7], v3, v2
	s_and_b64 s[6:7], vcc, s[6:7]
	s_and_b64 s[6:7], exec, s[6:7]
	s_or_b64 s[16:17], s[6:7], s[16:17]
	s_andn2_b64 exec, exec, s[16:17]
	s_cbranch_execnz .LBB51_9
.LBB51_10:
	s_or_b64 exec, exec, s[12:13]
	v_mov_b32_e32 v2, 0
	s_waitcnt lgkmcnt(0)
	; wave barrier
	ds_read_b32 v1, v2 offset:832
	s_and_saveexec_b64 s[6:7], s[4:5]
	s_cbranch_execz .LBB51_12
; %bb.11:
	s_lshl_b64 s[12:13], s[8:9], 2
	s_add_u32 s12, s14, s12
	s_addc_u32 s13, s15, s13
	s_waitcnt lgkmcnt(0)
	global_store_dword v2, v1, s[12:13]
.LBB51_12:
	s_or_b64 exec, exec, s[6:7]
	s_waitcnt lgkmcnt(0)
	v_cmp_ne_u32_e32 vcc, 0, v1
	s_mov_b64 s[6:7], 0
	s_cbranch_vccnz .LBB51_220
; %bb.13:
	buffer_load_dword v8, v7, s[0:3], 0 offen offset:4
	buffer_load_dword v3, v7, s[0:3], 0 offen
	s_waitcnt vmcnt(1)
	v_cmp_gt_f32_e32 vcc, 0, v8
	v_cndmask_b32_e64 v1, v8, -v8, vcc
	s_waitcnt vmcnt(0)
	v_cmp_gt_f32_e32 vcc, 0, v3
	v_cndmask_b32_e64 v2, v3, -v3, vcc
	v_cmp_ngt_f32_e32 vcc, v2, v1
                                        ; implicit-def: $vgpr1
                                        ; implicit-def: $vgpr2
	s_and_saveexec_b64 s[6:7], vcc
	s_xor_b64 s[6:7], exec, s[6:7]
                                        ; implicit-def: $vgpr4_vgpr5
	s_cbranch_execz .LBB51_15
; %bb.14:
	v_div_scale_f32 v1, s[12:13], v8, v8, v3
	v_rcp_f32_e32 v2, v1
	v_div_scale_f32 v4, vcc, v3, v8, v3
	v_fma_f32 v5, -v1, v2, 1.0
	v_fmac_f32_e32 v2, v5, v2
	v_mul_f32_e32 v5, v4, v2
	v_fma_f32 v9, -v1, v5, v4
	v_fmac_f32_e32 v5, v9, v2
	v_fma_f32 v1, -v1, v5, v4
	v_div_fmas_f32 v1, v1, v2, v5
	v_div_fixup_f32 v2, v1, v8, v3
	v_fmac_f32_e32 v8, v3, v2
	v_div_scale_f32 v1, s[12:13], v8, v8, -1.0
	v_rcp_f32_e32 v3, v1
	v_fma_f32 v4, -v1, v3, 1.0
	v_fmac_f32_e32 v3, v4, v3
	v_div_scale_f32 v4, vcc, -1.0, v8, -1.0
	v_mul_f32_e32 v5, v4, v3
	v_fma_f32 v9, -v1, v5, v4
	v_fmac_f32_e32 v5, v9, v3
	v_fma_f32 v1, -v1, v5, v4
	v_div_fmas_f32 v1, v1, v3, v5
	v_div_fixup_f32 v1, v1, v8, -1.0
	v_mul_f32_e32 v2, v2, v1
	v_xor_b32_e32 v4, 0x80000000, v2
                                        ; implicit-def: $vgpr3
                                        ; implicit-def: $vgpr8
.LBB51_15:
	s_andn2_saveexec_b64 s[6:7], s[6:7]
	s_cbranch_execz .LBB51_17
; %bb.16:
	v_div_scale_f32 v1, s[12:13], v3, v3, v8
	v_rcp_f32_e32 v2, v1
	v_div_scale_f32 v4, vcc, v8, v3, v8
	v_fma_f32 v5, -v1, v2, 1.0
	v_fmac_f32_e32 v2, v5, v2
	v_mul_f32_e32 v5, v4, v2
	v_fma_f32 v9, -v1, v5, v4
	v_fmac_f32_e32 v5, v9, v2
	v_fma_f32 v1, -v1, v5, v4
	v_div_fmas_f32 v1, v1, v2, v5
	v_div_fixup_f32 v1, v1, v3, v8
	v_fmac_f32_e32 v3, v8, v1
	v_div_scale_f32 v2, s[12:13], v3, v3, 1.0
	v_rcp_f32_e32 v4, v2
	v_fma_f32 v5, -v2, v4, 1.0
	v_fmac_f32_e32 v4, v5, v4
	v_div_scale_f32 v5, vcc, 1.0, v3, 1.0
	v_mul_f32_e32 v8, v5, v4
	v_fma_f32 v9, -v2, v8, v5
	v_fmac_f32_e32 v8, v9, v4
	v_fma_f32 v2, -v2, v8, v5
	v_div_fmas_f32 v2, v2, v4, v8
	v_div_fixup_f32 v4, v2, v3, 1.0
	v_xor_b32_e32 v2, 0x80000000, v4
	v_mul_f32_e64 v1, v1, -v4
.LBB51_17:
	s_or_b64 exec, exec, s[6:7]
	buffer_store_dword v1, v7, s[0:3], 0 offen offset:4
	buffer_store_dword v4, v7, s[0:3], 0 offen
	buffer_load_dword v5, off, s[0:3], 0 offset:12
	s_nop 0
	buffer_load_dword v4, off, s[0:3], 0 offset:8
	v_xor_b32_e32 v3, 0x80000000, v1
	v_add_u32_e32 v1, 0x1a0, v6
	s_waitcnt vmcnt(0)
	ds_write2_b64 v6, v[2:3], v[4:5] offset1:52
	s_waitcnt lgkmcnt(0)
	; wave barrier
	s_waitcnt lgkmcnt(0)
	s_and_saveexec_b64 s[6:7], s[4:5]
	s_cbranch_execz .LBB51_19
; %bb.18:
	buffer_load_dword v8, v7, s[0:3], 0 offen offset:4
	buffer_load_dword v9, v7, s[0:3], 0 offen
	ds_read_b64 v[2:3], v1
	v_mov_b32_e32 v4, 0
	ds_read_b64 v[4:5], v4 offset:8
	s_waitcnt vmcnt(1) lgkmcnt(1)
	v_mul_f32_e32 v10, v3, v8
	v_mul_f32_e32 v8, v2, v8
	s_waitcnt vmcnt(0)
	v_fmac_f32_e32 v8, v3, v9
	v_fma_f32 v2, v2, v9, -v10
	v_add_f32_e32 v3, 0, v8
	v_add_f32_e32 v2, 0, v2
	s_waitcnt lgkmcnt(0)
	v_mul_f32_e32 v8, v3, v5
	v_mul_f32_e32 v5, v2, v5
	v_fma_f32 v2, v2, v4, -v8
	v_fmac_f32_e32 v5, v3, v4
	buffer_store_dword v2, off, s[0:3], 0 offset:8
	buffer_store_dword v5, off, s[0:3], 0 offset:12
.LBB51_19:
	s_or_b64 exec, exec, s[6:7]
	s_waitcnt lgkmcnt(0)
	; wave barrier
	buffer_load_dword v2, off, s[0:3], 0 offset:16
	buffer_load_dword v3, off, s[0:3], 0 offset:20
	v_cmp_gt_u32_e32 vcc, 2, v0
	s_waitcnt vmcnt(0)
	ds_write_b64 v1, v[2:3]
	s_waitcnt lgkmcnt(0)
	; wave barrier
	s_waitcnt lgkmcnt(0)
	s_and_saveexec_b64 s[6:7], vcc
	s_cbranch_execz .LBB51_23
; %bb.20:
	buffer_load_dword v4, v7, s[0:3], 0 offen offset:4
	buffer_load_dword v5, v7, s[0:3], 0 offen
	ds_read_b64 v[2:3], v1
	s_waitcnt vmcnt(1) lgkmcnt(0)
	v_mul_f32_e32 v7, v3, v4
	v_mul_f32_e32 v4, v2, v4
	s_waitcnt vmcnt(0)
	v_fma_f32 v2, v2, v5, -v7
	v_fmac_f32_e32 v4, v3, v5
	v_add_f32_e32 v3, 0, v2
	v_add_f32_e32 v2, 0, v4
	s_and_saveexec_b64 s[12:13], s[4:5]
	s_cbranch_execz .LBB51_22
; %bb.21:
	buffer_load_dword v7, off, s[0:3], 0 offset:12
	buffer_load_dword v8, off, s[0:3], 0 offset:8
	v_mov_b32_e32 v4, 0
	ds_read_b64 v[4:5], v4 offset:424
	s_waitcnt vmcnt(1) lgkmcnt(0)
	v_mul_f32_e32 v9, v4, v7
	v_mul_f32_e32 v7, v5, v7
	s_waitcnt vmcnt(0)
	v_fmac_f32_e32 v9, v5, v8
	v_fma_f32 v4, v4, v8, -v7
	v_add_f32_e32 v2, v2, v9
	v_add_f32_e32 v3, v3, v4
.LBB51_22:
	s_or_b64 exec, exec, s[12:13]
	v_mov_b32_e32 v4, 0
	ds_read_b64 v[4:5], v4 offset:16
	s_waitcnt lgkmcnt(0)
	v_mul_f32_e32 v7, v2, v5
	v_mul_f32_e32 v5, v3, v5
	v_fma_f32 v3, v3, v4, -v7
	v_fmac_f32_e32 v5, v2, v4
	buffer_store_dword v3, off, s[0:3], 0 offset:16
	buffer_store_dword v5, off, s[0:3], 0 offset:20
.LBB51_23:
	s_or_b64 exec, exec, s[6:7]
	s_waitcnt lgkmcnt(0)
	; wave barrier
	buffer_load_dword v2, off, s[0:3], 0 offset:24
	buffer_load_dword v3, off, s[0:3], 0 offset:28
	v_cmp_gt_u32_e32 vcc, 3, v0
	s_waitcnt vmcnt(0)
	ds_write_b64 v1, v[2:3]
	v_add_u32_e32 v2, -1, v0
	s_waitcnt lgkmcnt(0)
	; wave barrier
	s_waitcnt lgkmcnt(0)
	s_and_saveexec_b64 s[4:5], vcc
	s_cbranch_execz .LBB51_27
; %bb.24:
	v_add_u32_e32 v4, -1, v0
	v_add_u32_e32 v5, 0x1a0, v6
	v_add_u32_e32 v7, 0, v6
	s_mov_b64 s[6:7], 0
	v_mov_b32_e32 v3, 0
	v_mov_b32_e32 v8, 0
.LBB51_25:                              ; =>This Inner Loop Header: Depth=1
	buffer_load_dword v9, v7, s[0:3], 0 offen offset:4
	buffer_load_dword v12, v7, s[0:3], 0 offen
	ds_read_b64 v[10:11], v5
	v_add_u32_e32 v4, 1, v4
	v_cmp_lt_u32_e32 vcc, 1, v4
	v_add_u32_e32 v5, 8, v5
	v_add_u32_e32 v7, 8, v7
	s_or_b64 s[6:7], vcc, s[6:7]
	s_waitcnt vmcnt(1) lgkmcnt(0)
	v_mul_f32_e32 v13, v11, v9
	v_mul_f32_e32 v9, v10, v9
	s_waitcnt vmcnt(0)
	v_fma_f32 v10, v10, v12, -v13
	v_fmac_f32_e32 v9, v11, v12
	v_add_f32_e32 v8, v8, v10
	v_add_f32_e32 v3, v3, v9
	s_andn2_b64 exec, exec, s[6:7]
	s_cbranch_execnz .LBB51_25
; %bb.26:
	s_or_b64 exec, exec, s[6:7]
	v_mov_b32_e32 v4, 0
	ds_read_b64 v[4:5], v4 offset:24
	s_waitcnt lgkmcnt(0)
	v_mul_f32_e32 v7, v3, v5
	v_mul_f32_e32 v5, v8, v5
	v_fma_f32 v7, v8, v4, -v7
	v_fmac_f32_e32 v5, v3, v4
	buffer_store_dword v7, off, s[0:3], 0 offset:24
	buffer_store_dword v5, off, s[0:3], 0 offset:28
.LBB51_27:
	s_or_b64 exec, exec, s[4:5]
	s_waitcnt lgkmcnt(0)
	; wave barrier
	buffer_load_dword v4, off, s[0:3], 0 offset:32
	buffer_load_dword v5, off, s[0:3], 0 offset:36
	v_cmp_gt_u32_e32 vcc, 4, v0
	s_waitcnt vmcnt(0)
	ds_write_b64 v1, v[4:5]
	s_waitcnt lgkmcnt(0)
	; wave barrier
	s_waitcnt lgkmcnt(0)
	s_and_saveexec_b64 s[4:5], vcc
	s_cbranch_execz .LBB51_31
; %bb.28:
	v_add_u32_e32 v4, -1, v0
	v_add_u32_e32 v5, 0x1a0, v6
	v_add_u32_e32 v7, 0, v6
	s_mov_b64 s[6:7], 0
	v_mov_b32_e32 v3, 0
	v_mov_b32_e32 v8, 0
.LBB51_29:                              ; =>This Inner Loop Header: Depth=1
	buffer_load_dword v9, v7, s[0:3], 0 offen offset:4
	buffer_load_dword v12, v7, s[0:3], 0 offen
	ds_read_b64 v[10:11], v5
	v_add_u32_e32 v4, 1, v4
	v_cmp_lt_u32_e32 vcc, 2, v4
	v_add_u32_e32 v5, 8, v5
	v_add_u32_e32 v7, 8, v7
	s_or_b64 s[6:7], vcc, s[6:7]
	s_waitcnt vmcnt(1) lgkmcnt(0)
	v_mul_f32_e32 v13, v11, v9
	v_mul_f32_e32 v9, v10, v9
	s_waitcnt vmcnt(0)
	v_fma_f32 v10, v10, v12, -v13
	v_fmac_f32_e32 v9, v11, v12
	v_add_f32_e32 v8, v8, v10
	v_add_f32_e32 v3, v3, v9
	s_andn2_b64 exec, exec, s[6:7]
	s_cbranch_execnz .LBB51_29
; %bb.30:
	s_or_b64 exec, exec, s[6:7]
	v_mov_b32_e32 v4, 0
	ds_read_b64 v[4:5], v4 offset:32
	s_waitcnt lgkmcnt(0)
	v_mul_f32_e32 v7, v3, v5
	v_mul_f32_e32 v5, v8, v5
	v_fma_f32 v7, v8, v4, -v7
	v_fmac_f32_e32 v5, v3, v4
	buffer_store_dword v7, off, s[0:3], 0 offset:32
	buffer_store_dword v5, off, s[0:3], 0 offset:36
.LBB51_31:
	s_or_b64 exec, exec, s[4:5]
	s_waitcnt lgkmcnt(0)
	; wave barrier
	buffer_load_dword v4, off, s[0:3], 0 offset:40
	buffer_load_dword v5, off, s[0:3], 0 offset:44
	v_cmp_gt_u32_e32 vcc, 5, v0
	s_waitcnt vmcnt(0)
	ds_write_b64 v1, v[4:5]
	;; [unrolled: 51-line block ×19, first 2 shown]
	s_waitcnt lgkmcnt(0)
	; wave barrier
	s_waitcnt lgkmcnt(0)
	s_and_saveexec_b64 s[4:5], vcc
	s_cbranch_execz .LBB51_103
; %bb.100:
	v_add_u32_e32 v4, -1, v0
	v_add_u32_e32 v5, 0x1a0, v6
	v_add_u32_e32 v7, 0, v6
	s_mov_b64 s[6:7], 0
	v_mov_b32_e32 v3, 0
	v_mov_b32_e32 v8, 0
.LBB51_101:                             ; =>This Inner Loop Header: Depth=1
	buffer_load_dword v9, v7, s[0:3], 0 offen offset:4
	buffer_load_dword v12, v7, s[0:3], 0 offen
	ds_read_b64 v[10:11], v5
	v_add_u32_e32 v4, 1, v4
	v_cmp_lt_u32_e32 vcc, 20, v4
	v_add_u32_e32 v5, 8, v5
	v_add_u32_e32 v7, 8, v7
	s_or_b64 s[6:7], vcc, s[6:7]
	s_waitcnt vmcnt(1) lgkmcnt(0)
	v_mul_f32_e32 v13, v11, v9
	v_mul_f32_e32 v9, v10, v9
	s_waitcnt vmcnt(0)
	v_fma_f32 v10, v10, v12, -v13
	v_fmac_f32_e32 v9, v11, v12
	v_add_f32_e32 v8, v8, v10
	v_add_f32_e32 v3, v3, v9
	s_andn2_b64 exec, exec, s[6:7]
	s_cbranch_execnz .LBB51_101
; %bb.102:
	s_or_b64 exec, exec, s[6:7]
	v_mov_b32_e32 v4, 0
	ds_read_b64 v[4:5], v4 offset:176
	s_waitcnt lgkmcnt(0)
	v_mul_f32_e32 v7, v3, v5
	v_mul_f32_e32 v5, v8, v5
	v_fma_f32 v7, v8, v4, -v7
	v_fmac_f32_e32 v5, v3, v4
	buffer_store_dword v7, off, s[0:3], 0 offset:176
	buffer_store_dword v5, off, s[0:3], 0 offset:180
.LBB51_103:
	s_or_b64 exec, exec, s[4:5]
	s_waitcnt lgkmcnt(0)
	; wave barrier
	buffer_load_dword v4, off, s[0:3], 0 offset:184
	buffer_load_dword v5, off, s[0:3], 0 offset:188
	v_cmp_gt_u32_e32 vcc, 23, v0
	s_waitcnt vmcnt(0)
	ds_write_b64 v1, v[4:5]
	s_waitcnt lgkmcnt(0)
	; wave barrier
	s_waitcnt lgkmcnt(0)
	s_and_saveexec_b64 s[4:5], vcc
	s_cbranch_execz .LBB51_107
; %bb.104:
	v_add_u32_e32 v4, -1, v0
	v_add_u32_e32 v5, 0x1a0, v6
	v_add_u32_e32 v7, 0, v6
	s_mov_b64 s[6:7], 0
	v_mov_b32_e32 v3, 0
	v_mov_b32_e32 v8, 0
.LBB51_105:                             ; =>This Inner Loop Header: Depth=1
	buffer_load_dword v9, v7, s[0:3], 0 offen offset:4
	buffer_load_dword v12, v7, s[0:3], 0 offen
	ds_read_b64 v[10:11], v5
	v_add_u32_e32 v4, 1, v4
	v_cmp_lt_u32_e32 vcc, 21, v4
	v_add_u32_e32 v5, 8, v5
	v_add_u32_e32 v7, 8, v7
	s_or_b64 s[6:7], vcc, s[6:7]
	s_waitcnt vmcnt(1) lgkmcnt(0)
	v_mul_f32_e32 v13, v11, v9
	v_mul_f32_e32 v9, v10, v9
	s_waitcnt vmcnt(0)
	v_fma_f32 v10, v10, v12, -v13
	v_fmac_f32_e32 v9, v11, v12
	v_add_f32_e32 v8, v8, v10
	v_add_f32_e32 v3, v3, v9
	s_andn2_b64 exec, exec, s[6:7]
	s_cbranch_execnz .LBB51_105
; %bb.106:
	s_or_b64 exec, exec, s[6:7]
	v_mov_b32_e32 v4, 0
	ds_read_b64 v[4:5], v4 offset:184
	s_waitcnt lgkmcnt(0)
	v_mul_f32_e32 v7, v3, v5
	v_mul_f32_e32 v5, v8, v5
	v_fma_f32 v7, v8, v4, -v7
	v_fmac_f32_e32 v5, v3, v4
	buffer_store_dword v7, off, s[0:3], 0 offset:184
	buffer_store_dword v5, off, s[0:3], 0 offset:188
.LBB51_107:
	s_or_b64 exec, exec, s[4:5]
	s_waitcnt lgkmcnt(0)
	; wave barrier
	buffer_load_dword v4, off, s[0:3], 0 offset:192
	buffer_load_dword v5, off, s[0:3], 0 offset:196
	v_cmp_gt_u32_e32 vcc, 24, v0
	s_waitcnt vmcnt(0)
	ds_write_b64 v1, v[4:5]
	;; [unrolled: 51-line block ×28, first 2 shown]
	s_waitcnt lgkmcnt(0)
	; wave barrier
	s_waitcnt lgkmcnt(0)
	s_and_saveexec_b64 s[4:5], vcc
	s_cbranch_execz .LBB51_215
; %bb.212:
	v_add_u32_e32 v4, -1, v0
	v_add_u32_e32 v5, 0x1a0, v6
	v_add_u32_e32 v7, 0, v6
	s_mov_b64 s[6:7], 0
	v_mov_b32_e32 v3, 0
	v_mov_b32_e32 v8, 0
.LBB51_213:                             ; =>This Inner Loop Header: Depth=1
	buffer_load_dword v9, v7, s[0:3], 0 offen offset:4
	buffer_load_dword v12, v7, s[0:3], 0 offen
	ds_read_b64 v[10:11], v5
	v_add_u32_e32 v4, 1, v4
	v_cmp_lt_u32_e32 vcc, 48, v4
	v_add_u32_e32 v5, 8, v5
	v_add_u32_e32 v7, 8, v7
	s_or_b64 s[6:7], vcc, s[6:7]
	s_waitcnt vmcnt(1) lgkmcnt(0)
	v_mul_f32_e32 v13, v11, v9
	v_mul_f32_e32 v9, v10, v9
	s_waitcnt vmcnt(0)
	v_fma_f32 v10, v10, v12, -v13
	v_fmac_f32_e32 v9, v11, v12
	v_add_f32_e32 v8, v8, v10
	v_add_f32_e32 v3, v3, v9
	s_andn2_b64 exec, exec, s[6:7]
	s_cbranch_execnz .LBB51_213
; %bb.214:
	s_or_b64 exec, exec, s[6:7]
	v_mov_b32_e32 v4, 0
	ds_read_b64 v[4:5], v4 offset:400
	s_waitcnt lgkmcnt(0)
	v_mul_f32_e32 v7, v3, v5
	v_mul_f32_e32 v5, v8, v5
	v_fma_f32 v7, v8, v4, -v7
	v_fmac_f32_e32 v5, v3, v4
	buffer_store_dword v7, off, s[0:3], 0 offset:400
	buffer_store_dword v5, off, s[0:3], 0 offset:404
.LBB51_215:
	s_or_b64 exec, exec, s[4:5]
	s_waitcnt lgkmcnt(0)
	; wave barrier
	buffer_load_dword v4, off, s[0:3], 0 offset:408
	buffer_load_dword v5, off, s[0:3], 0 offset:412
	v_cmp_ne_u32_e32 vcc, 51, v0
	s_waitcnt vmcnt(0)
	ds_write_b64 v1, v[4:5]
	s_waitcnt lgkmcnt(0)
	; wave barrier
	s_waitcnt lgkmcnt(0)
	s_and_saveexec_b64 s[4:5], vcc
	s_cbranch_execz .LBB51_219
; %bb.216:
	v_add_u32_e32 v3, 0x1a0, v6
	v_add_u32_e32 v4, 0, v6
	s_mov_b64 s[6:7], 0
	v_mov_b32_e32 v1, 0
	v_mov_b32_e32 v5, 0
.LBB51_217:                             ; =>This Inner Loop Header: Depth=1
	buffer_load_dword v8, v4, s[0:3], 0 offen offset:4
	buffer_load_dword v9, v4, s[0:3], 0 offen
	ds_read_b64 v[6:7], v3
	v_add_u32_e32 v2, 1, v2
	v_cmp_lt_u32_e32 vcc, 49, v2
	v_add_u32_e32 v3, 8, v3
	v_add_u32_e32 v4, 8, v4
	s_or_b64 s[6:7], vcc, s[6:7]
	s_waitcnt vmcnt(1) lgkmcnt(0)
	v_mul_f32_e32 v10, v7, v8
	v_mul_f32_e32 v8, v6, v8
	s_waitcnt vmcnt(0)
	v_fma_f32 v6, v6, v9, -v10
	v_fmac_f32_e32 v8, v7, v9
	v_add_f32_e32 v5, v5, v6
	v_add_f32_e32 v1, v1, v8
	s_andn2_b64 exec, exec, s[6:7]
	s_cbranch_execnz .LBB51_217
; %bb.218:
	s_or_b64 exec, exec, s[6:7]
	v_mov_b32_e32 v2, 0
	ds_read_b64 v[2:3], v2 offset:408
	s_waitcnt lgkmcnt(0)
	v_mul_f32_e32 v4, v1, v3
	v_mul_f32_e32 v3, v5, v3
	v_fma_f32 v4, v5, v2, -v4
	v_fmac_f32_e32 v3, v1, v2
	buffer_store_dword v4, off, s[0:3], 0 offset:408
	buffer_store_dword v3, off, s[0:3], 0 offset:412
.LBB51_219:
	s_or_b64 exec, exec, s[4:5]
	s_mov_b64 s[6:7], -1
	s_waitcnt lgkmcnt(0)
	; wave barrier
.LBB51_220:
	s_and_b64 vcc, exec, s[6:7]
	s_cbranch_vccz .LBB51_222
; %bb.221:
	s_lshl_b64 s[4:5], s[8:9], 2
	s_add_u32 s4, s14, s4
	s_addc_u32 s5, s15, s5
	v_mov_b32_e32 v1, 0
	global_load_dword v1, v1, s[4:5]
	s_waitcnt vmcnt(0)
	v_cmp_ne_u32_e32 vcc, 0, v1
	s_cbranch_vccz .LBB51_223
.LBB51_222:
	s_endpgm
.LBB51_223:
	v_mov_b32_e32 v1, 0x1a0
	v_lshl_add_u32 v129, v0, 3, v1
	v_cmp_eq_u32_e32 vcc, 51, v0
	s_and_saveexec_b64 s[4:5], vcc
	s_cbranch_execz .LBB51_225
; %bb.224:
	buffer_load_dword v2, off, s[0:3], 0 offset:400
	buffer_load_dword v3, off, s[0:3], 0 offset:404
	v_mov_b32_e32 v1, 0
	buffer_store_dword v1, off, s[0:3], 0 offset:400
	buffer_store_dword v1, off, s[0:3], 0 offset:404
	s_waitcnt vmcnt(2)
	ds_write_b64 v129, v[2:3]
.LBB51_225:
	s_or_b64 exec, exec, s[4:5]
	s_waitcnt lgkmcnt(0)
	; wave barrier
	s_waitcnt lgkmcnt(0)
	buffer_load_dword v3, off, s[0:3], 0 offset:412
	buffer_load_dword v2, off, s[0:3], 0 offset:408
	;; [unrolled: 1-line block ×4, first 2 shown]
	v_mov_b32_e32 v1, 0
	ds_read_b64 v[6:7], v1 offset:824
	v_cmp_lt_u32_e32 vcc, 49, v0
	s_waitcnt vmcnt(3)
	v_mov_b32_e32 v8, v3
	s_waitcnt lgkmcnt(0)
	v_pk_mul_f32 v[8:9], v[6:7], v[8:9] op_sel_hi:[1,0]
	s_waitcnt vmcnt(2)
	v_pk_fma_f32 v[10:11], v[6:7], v[2:3], v[8:9] op_sel:[0,0,1] op_sel_hi:[1,1,0] neg_lo:[0,0,1] neg_hi:[0,0,1]
	v_pk_fma_f32 v[2:3], v[6:7], v[2:3], v[8:9] op_sel:[0,0,1] op_sel_hi:[1,0,0]
	v_mov_b32_e32 v11, v3
	v_pk_add_f32 v[2:3], v[10:11], 0 op_sel_hi:[1,0]
	s_waitcnt vmcnt(0)
	v_pk_add_f32 v[2:3], v[4:5], v[2:3] neg_lo:[0,1] neg_hi:[0,1]
	buffer_store_dword v2, off, s[0:3], 0 offset:400
	buffer_store_dword v3, off, s[0:3], 0 offset:404
	s_and_saveexec_b64 s[4:5], vcc
	s_cbranch_execz .LBB51_227
; %bb.226:
	buffer_load_dword v2, off, s[0:3], 0 offset:392
	buffer_load_dword v3, off, s[0:3], 0 offset:396
	s_waitcnt vmcnt(0)
	ds_write_b64 v129, v[2:3]
	buffer_store_dword v1, off, s[0:3], 0 offset:392
	buffer_store_dword v1, off, s[0:3], 0 offset:396
.LBB51_227:
	s_or_b64 exec, exec, s[4:5]
	s_waitcnt lgkmcnt(0)
	; wave barrier
	s_waitcnt lgkmcnt(0)
	buffer_load_dword v7, off, s[0:3], 0 offset:404
	buffer_load_dword v9, off, s[0:3], 0 offset:412
	;; [unrolled: 1-line block ×6, first 2 shown]
	ds_read_b128 v[2:5], v1 offset:816
	v_cmp_lt_u32_e32 vcc, 48, v0
	s_waitcnt vmcnt(5)
	v_mov_b32_e32 v12, v7
	s_waitcnt vmcnt(4)
	v_mov_b32_e32 v14, v9
	s_waitcnt lgkmcnt(0)
	v_pk_mul_f32 v[12:13], v[2:3], v[12:13] op_sel_hi:[1,0]
	v_pk_mul_f32 v[14:15], v[4:5], v[14:15] op_sel_hi:[1,0]
	s_waitcnt vmcnt(3)
	v_pk_fma_f32 v[16:17], v[2:3], v[6:7], v[12:13] op_sel:[0,0,1] op_sel_hi:[1,1,0] neg_lo:[0,0,1] neg_hi:[0,0,1]
	v_pk_fma_f32 v[2:3], v[2:3], v[6:7], v[12:13] op_sel:[0,0,1] op_sel_hi:[1,0,0]
	s_waitcnt vmcnt(2)
	v_pk_fma_f32 v[6:7], v[4:5], v[8:9], v[14:15] op_sel:[0,0,1] op_sel_hi:[1,1,0] neg_lo:[0,0,1] neg_hi:[0,0,1]
	v_pk_fma_f32 v[4:5], v[4:5], v[8:9], v[14:15] op_sel:[0,0,1] op_sel_hi:[1,0,0]
	v_mov_b32_e32 v17, v3
	v_mov_b32_e32 v7, v5
	v_pk_add_f32 v[2:3], v[16:17], 0 op_sel_hi:[1,0]
	v_pk_add_f32 v[2:3], v[2:3], v[6:7]
	s_waitcnt vmcnt(0)
	v_pk_add_f32 v[2:3], v[10:11], v[2:3] neg_lo:[0,1] neg_hi:[0,1]
	buffer_store_dword v2, off, s[0:3], 0 offset:392
	buffer_store_dword v3, off, s[0:3], 0 offset:396
	s_and_saveexec_b64 s[4:5], vcc
	s_cbranch_execz .LBB51_229
; %bb.228:
	buffer_load_dword v2, off, s[0:3], 0 offset:384
	buffer_load_dword v3, off, s[0:3], 0 offset:388
	v_mov_b32_e32 v1, 0
	buffer_store_dword v1, off, s[0:3], 0 offset:384
	buffer_store_dword v1, off, s[0:3], 0 offset:388
	s_waitcnt vmcnt(2)
	ds_write_b64 v129, v[2:3]
.LBB51_229:
	s_or_b64 exec, exec, s[4:5]
	s_waitcnt lgkmcnt(0)
	; wave barrier
	s_waitcnt lgkmcnt(0)
	buffer_load_dword v6, off, s[0:3], 0 offset:384
	buffer_load_dword v7, off, s[0:3], 0 offset:388
	buffer_load_dword v8, off, s[0:3], 0 offset:392
	buffer_load_dword v9, off, s[0:3], 0 offset:396
	buffer_load_dword v10, off, s[0:3], 0 offset:400
	buffer_load_dword v11, off, s[0:3], 0 offset:404
	buffer_load_dword v12, off, s[0:3], 0 offset:408
	buffer_load_dword v13, off, s[0:3], 0 offset:412
	v_mov_b32_e32 v1, 0
	ds_read2_b64 v[2:5], v1 offset0:101 offset1:102
	ds_read_b64 v[14:15], v1 offset:824
	v_cmp_lt_u32_e32 vcc, 47, v0
	s_waitcnt vmcnt(4)
	v_mov_b32_e32 v16, v9
	s_waitcnt lgkmcnt(1)
	v_pk_mul_f32 v[16:17], v[2:3], v[16:17] op_sel_hi:[1,0]
	v_pk_fma_f32 v[18:19], v[2:3], v[8:9], v[16:17] op_sel:[0,0,1] op_sel_hi:[1,1,0] neg_lo:[0,0,1] neg_hi:[0,0,1]
	v_pk_fma_f32 v[2:3], v[2:3], v[8:9], v[16:17] op_sel:[0,0,1] op_sel_hi:[1,0,0]
	s_waitcnt vmcnt(2)
	v_mov_b32_e32 v8, v11
	v_pk_mul_f32 v[8:9], v[4:5], v[8:9] op_sel_hi:[1,0]
	v_pk_fma_f32 v[16:17], v[4:5], v[10:11], v[8:9] op_sel:[0,0,1] op_sel_hi:[1,1,0] neg_lo:[0,0,1] neg_hi:[0,0,1]
	v_pk_fma_f32 v[4:5], v[4:5], v[10:11], v[8:9] op_sel:[0,0,1] op_sel_hi:[1,0,0]
	s_waitcnt vmcnt(0)
	v_mov_b32_e32 v4, v13
	v_mov_b32_e32 v19, v3
	;; [unrolled: 1-line block ×3, first 2 shown]
	s_waitcnt lgkmcnt(0)
	v_pk_mul_f32 v[4:5], v[14:15], v[4:5] op_sel_hi:[1,0]
	v_pk_add_f32 v[2:3], v[18:19], 0 op_sel_hi:[1,0]
	v_pk_fma_f32 v[8:9], v[14:15], v[12:13], v[4:5] op_sel:[0,0,1] op_sel_hi:[1,1,0] neg_lo:[0,0,1] neg_hi:[0,0,1]
	v_pk_fma_f32 v[4:5], v[14:15], v[12:13], v[4:5] op_sel:[0,0,1] op_sel_hi:[1,0,0]
	v_pk_add_f32 v[2:3], v[2:3], v[16:17]
	v_mov_b32_e32 v9, v5
	v_pk_add_f32 v[2:3], v[2:3], v[8:9]
	v_pk_add_f32 v[2:3], v[6:7], v[2:3] neg_lo:[0,1] neg_hi:[0,1]
	buffer_store_dword v2, off, s[0:3], 0 offset:384
	buffer_store_dword v3, off, s[0:3], 0 offset:388
	s_and_saveexec_b64 s[4:5], vcc
	s_cbranch_execz .LBB51_231
; %bb.230:
	buffer_load_dword v2, off, s[0:3], 0 offset:376
	buffer_load_dword v3, off, s[0:3], 0 offset:380
	s_waitcnt vmcnt(0)
	ds_write_b64 v129, v[2:3]
	buffer_store_dword v1, off, s[0:3], 0 offset:376
	buffer_store_dword v1, off, s[0:3], 0 offset:380
.LBB51_231:
	s_or_b64 exec, exec, s[4:5]
	s_waitcnt lgkmcnt(0)
	; wave barrier
	s_waitcnt lgkmcnt(0)
	buffer_load_dword v10, off, s[0:3], 0 offset:376
	buffer_load_dword v11, off, s[0:3], 0 offset:380
	;; [unrolled: 1-line block ×10, first 2 shown]
	ds_read_b128 v[2:5], v1 offset:800
	ds_read_b128 v[6:9], v1 offset:816
	v_cmp_lt_u32_e32 vcc, 46, v0
	s_waitcnt vmcnt(6)
	v_mov_b32_e32 v20, v13
	s_waitcnt lgkmcnt(1)
	v_pk_mul_f32 v[20:21], v[2:3], v[20:21] op_sel_hi:[1,0]
	v_pk_fma_f32 v[22:23], v[2:3], v[12:13], v[20:21] op_sel:[0,0,1] op_sel_hi:[1,1,0] neg_lo:[0,0,1] neg_hi:[0,0,1]
	v_pk_fma_f32 v[2:3], v[2:3], v[12:13], v[20:21] op_sel:[0,0,1] op_sel_hi:[1,0,0]
	s_waitcnt vmcnt(4)
	v_mov_b32_e32 v12, v15
	v_pk_mul_f32 v[12:13], v[4:5], v[12:13] op_sel_hi:[1,0]
	v_pk_fma_f32 v[20:21], v[4:5], v[14:15], v[12:13] op_sel:[0,0,1] op_sel_hi:[1,1,0] neg_lo:[0,0,1] neg_hi:[0,0,1]
	v_pk_fma_f32 v[4:5], v[4:5], v[14:15], v[12:13] op_sel:[0,0,1] op_sel_hi:[1,0,0]
	s_waitcnt vmcnt(2)
	v_mov_b32_e32 v4, v17
	v_mov_b32_e32 v21, v5
	s_waitcnt lgkmcnt(0)
	v_pk_mul_f32 v[4:5], v[6:7], v[4:5] op_sel_hi:[1,0]
	v_pk_fma_f32 v[12:13], v[6:7], v[16:17], v[4:5] op_sel:[0,0,1] op_sel_hi:[1,1,0] neg_lo:[0,0,1] neg_hi:[0,0,1]
	v_pk_fma_f32 v[4:5], v[6:7], v[16:17], v[4:5] op_sel:[0,0,1] op_sel_hi:[1,0,0]
	v_mov_b32_e32 v23, v3
	s_waitcnt vmcnt(0)
	v_mov_b32_e32 v4, v19
	v_pk_add_f32 v[2:3], v[22:23], 0 op_sel_hi:[1,0]
	v_mov_b32_e32 v13, v5
	v_pk_mul_f32 v[4:5], v[8:9], v[4:5] op_sel_hi:[1,0]
	v_pk_add_f32 v[2:3], v[2:3], v[20:21]
	v_pk_fma_f32 v[6:7], v[8:9], v[18:19], v[4:5] op_sel:[0,0,1] op_sel_hi:[1,1,0] neg_lo:[0,0,1] neg_hi:[0,0,1]
	v_pk_fma_f32 v[4:5], v[8:9], v[18:19], v[4:5] op_sel:[0,0,1] op_sel_hi:[1,0,0]
	v_pk_add_f32 v[2:3], v[2:3], v[12:13]
	v_mov_b32_e32 v7, v5
	v_pk_add_f32 v[2:3], v[2:3], v[6:7]
	v_pk_add_f32 v[2:3], v[10:11], v[2:3] neg_lo:[0,1] neg_hi:[0,1]
	buffer_store_dword v2, off, s[0:3], 0 offset:376
	buffer_store_dword v3, off, s[0:3], 0 offset:380
	s_and_saveexec_b64 s[4:5], vcc
	s_cbranch_execz .LBB51_233
; %bb.232:
	buffer_load_dword v2, off, s[0:3], 0 offset:368
	buffer_load_dword v3, off, s[0:3], 0 offset:372
	v_mov_b32_e32 v1, 0
	buffer_store_dword v1, off, s[0:3], 0 offset:368
	buffer_store_dword v1, off, s[0:3], 0 offset:372
	s_waitcnt vmcnt(2)
	ds_write_b64 v129, v[2:3]
.LBB51_233:
	s_or_b64 exec, exec, s[4:5]
	s_waitcnt lgkmcnt(0)
	; wave barrier
	s_waitcnt lgkmcnt(0)
	buffer_load_dword v11, off, s[0:3], 0 offset:380
	buffer_load_dword v13, off, s[0:3], 0 offset:388
	;; [unrolled: 1-line block ×12, first 2 shown]
	v_mov_b32_e32 v1, 0
	ds_read2_b64 v[2:5], v1 offset0:99 offset1:100
	ds_read2_b64 v[6:9], v1 offset0:101 offset1:102
	ds_read_b64 v[22:23], v1 offset:824
	v_cmp_lt_u32_e32 vcc, 45, v0
	s_waitcnt vmcnt(11)
	v_mov_b32_e32 v24, v11
	s_waitcnt vmcnt(10)
	v_mov_b32_e32 v26, v13
	s_waitcnt lgkmcnt(2)
	v_pk_mul_f32 v[24:25], v[2:3], v[24:25] op_sel_hi:[1,0]
	s_waitcnt vmcnt(9)
	v_mov_b32_e32 v28, v15
	v_pk_mul_f32 v[26:27], v[4:5], v[26:27] op_sel_hi:[1,0]
	s_waitcnt vmcnt(6)
	v_pk_fma_f32 v[34:35], v[2:3], v[10:11], v[24:25] op_sel:[0,0,1] op_sel_hi:[1,1,0] neg_lo:[0,0,1] neg_hi:[0,0,1]
	v_pk_fma_f32 v[2:3], v[2:3], v[10:11], v[24:25] op_sel:[0,0,1] op_sel_hi:[1,0,0]
	v_mov_b32_e32 v30, v17
	s_waitcnt lgkmcnt(1)
	v_pk_mul_f32 v[28:29], v[6:7], v[28:29] op_sel_hi:[1,0]
	s_waitcnt vmcnt(5)
	v_pk_fma_f32 v[10:11], v[4:5], v[12:13], v[26:27] op_sel:[0,0,1] op_sel_hi:[1,1,0] neg_lo:[0,0,1] neg_hi:[0,0,1]
	v_pk_fma_f32 v[4:5], v[4:5], v[12:13], v[26:27] op_sel:[0,0,1] op_sel_hi:[1,0,0]
	v_mov_b32_e32 v35, v3
	v_mov_b32_e32 v32, v19
	v_pk_mul_f32 v[30:31], v[8:9], v[30:31] op_sel_hi:[1,0]
	s_waitcnt vmcnt(4)
	v_pk_fma_f32 v[12:13], v[6:7], v[14:15], v[28:29] op_sel:[0,0,1] op_sel_hi:[1,1,0] neg_lo:[0,0,1] neg_hi:[0,0,1]
	v_pk_fma_f32 v[6:7], v[6:7], v[14:15], v[28:29] op_sel:[0,0,1] op_sel_hi:[1,0,0]
	v_mov_b32_e32 v11, v5
	v_pk_add_f32 v[2:3], v[34:35], 0 op_sel_hi:[1,0]
	s_waitcnt lgkmcnt(0)
	v_pk_mul_f32 v[32:33], v[22:23], v[32:33] op_sel_hi:[1,0]
	s_waitcnt vmcnt(3)
	v_pk_fma_f32 v[14:15], v[8:9], v[16:17], v[30:31] op_sel:[0,0,1] op_sel_hi:[1,1,0] neg_lo:[0,0,1] neg_hi:[0,0,1]
	v_pk_fma_f32 v[8:9], v[8:9], v[16:17], v[30:31] op_sel:[0,0,1] op_sel_hi:[1,0,0]
	v_mov_b32_e32 v13, v7
	v_pk_add_f32 v[2:3], v[2:3], v[10:11]
	s_waitcnt vmcnt(2)
	v_pk_fma_f32 v[16:17], v[22:23], v[18:19], v[32:33] op_sel:[0,0,1] op_sel_hi:[1,1,0] neg_lo:[0,0,1] neg_hi:[0,0,1]
	v_pk_fma_f32 v[18:19], v[22:23], v[18:19], v[32:33] op_sel:[0,0,1] op_sel_hi:[1,0,0]
	v_mov_b32_e32 v15, v9
	v_pk_add_f32 v[2:3], v[2:3], v[12:13]
	v_mov_b32_e32 v17, v19
	v_pk_add_f32 v[2:3], v[2:3], v[14:15]
	v_pk_add_f32 v[2:3], v[2:3], v[16:17]
	s_waitcnt vmcnt(0)
	v_pk_add_f32 v[2:3], v[20:21], v[2:3] neg_lo:[0,1] neg_hi:[0,1]
	buffer_store_dword v2, off, s[0:3], 0 offset:368
	buffer_store_dword v3, off, s[0:3], 0 offset:372
	s_and_saveexec_b64 s[4:5], vcc
	s_cbranch_execz .LBB51_235
; %bb.234:
	buffer_load_dword v2, off, s[0:3], 0 offset:360
	buffer_load_dword v3, off, s[0:3], 0 offset:364
	s_waitcnt vmcnt(0)
	ds_write_b64 v129, v[2:3]
	buffer_store_dword v1, off, s[0:3], 0 offset:360
	buffer_store_dword v1, off, s[0:3], 0 offset:364
.LBB51_235:
	s_or_b64 exec, exec, s[4:5]
	s_waitcnt lgkmcnt(0)
	; wave barrier
	s_waitcnt lgkmcnt(0)
	buffer_load_dword v15, off, s[0:3], 0 offset:372
	buffer_load_dword v17, off, s[0:3], 0 offset:380
	;; [unrolled: 1-line block ×14, first 2 shown]
	ds_read_b128 v[2:5], v1 offset:784
	ds_read_b128 v[6:9], v1 offset:800
	;; [unrolled: 1-line block ×3, first 2 shown]
	v_cmp_lt_u32_e32 vcc, 44, v0
	s_waitcnt vmcnt(13)
	v_mov_b32_e32 v28, v15
	s_waitcnt vmcnt(12)
	v_mov_b32_e32 v30, v17
	s_waitcnt lgkmcnt(2)
	v_pk_mul_f32 v[28:29], v[2:3], v[28:29] op_sel_hi:[1,0]
	s_waitcnt vmcnt(11)
	v_mov_b32_e32 v32, v19
	v_pk_mul_f32 v[30:31], v[4:5], v[30:31] op_sel_hi:[1,0]
	s_waitcnt vmcnt(10)
	v_mov_b32_e32 v34, v21
	s_waitcnt vmcnt(7)
	v_pk_fma_f32 v[40:41], v[2:3], v[14:15], v[28:29] op_sel:[0,0,1] op_sel_hi:[1,1,0] neg_lo:[0,0,1] neg_hi:[0,0,1]
	v_pk_fma_f32 v[2:3], v[2:3], v[14:15], v[28:29] op_sel:[0,0,1] op_sel_hi:[1,0,0]
	s_waitcnt lgkmcnt(1)
	v_pk_mul_f32 v[32:33], v[6:7], v[32:33] op_sel_hi:[1,0]
	s_waitcnt vmcnt(6)
	v_pk_fma_f32 v[14:15], v[4:5], v[16:17], v[30:31] op_sel:[0,0,1] op_sel_hi:[1,1,0] neg_lo:[0,0,1] neg_hi:[0,0,1]
	v_pk_fma_f32 v[4:5], v[4:5], v[16:17], v[30:31] op_sel:[0,0,1] op_sel_hi:[1,0,0]
	v_mov_b32_e32 v41, v3
	v_mov_b32_e32 v36, v23
	v_pk_mul_f32 v[34:35], v[8:9], v[34:35] op_sel_hi:[1,0]
	s_waitcnt vmcnt(5)
	v_pk_fma_f32 v[16:17], v[6:7], v[18:19], v[32:33] op_sel:[0,0,1] op_sel_hi:[1,1,0] neg_lo:[0,0,1] neg_hi:[0,0,1]
	v_pk_fma_f32 v[6:7], v[6:7], v[18:19], v[32:33] op_sel:[0,0,1] op_sel_hi:[1,0,0]
	v_mov_b32_e32 v15, v5
	v_pk_add_f32 v[2:3], v[40:41], 0 op_sel_hi:[1,0]
	v_mov_b32_e32 v38, v25
	s_waitcnt lgkmcnt(0)
	v_pk_mul_f32 v[36:37], v[10:11], v[36:37] op_sel_hi:[1,0]
	s_waitcnt vmcnt(4)
	v_pk_fma_f32 v[18:19], v[8:9], v[20:21], v[34:35] op_sel:[0,0,1] op_sel_hi:[1,1,0] neg_lo:[0,0,1] neg_hi:[0,0,1]
	v_pk_fma_f32 v[8:9], v[8:9], v[20:21], v[34:35] op_sel:[0,0,1] op_sel_hi:[1,0,0]
	v_mov_b32_e32 v17, v7
	v_pk_add_f32 v[2:3], v[2:3], v[14:15]
	v_pk_mul_f32 v[38:39], v[12:13], v[38:39] op_sel_hi:[1,0]
	s_waitcnt vmcnt(3)
	v_pk_fma_f32 v[20:21], v[10:11], v[22:23], v[36:37] op_sel:[0,0,1] op_sel_hi:[1,1,0] neg_lo:[0,0,1] neg_hi:[0,0,1]
	v_pk_fma_f32 v[10:11], v[10:11], v[22:23], v[36:37] op_sel:[0,0,1] op_sel_hi:[1,0,0]
	v_mov_b32_e32 v19, v9
	v_pk_add_f32 v[2:3], v[2:3], v[16:17]
	s_waitcnt vmcnt(2)
	v_pk_fma_f32 v[22:23], v[12:13], v[24:25], v[38:39] op_sel:[0,0,1] op_sel_hi:[1,1,0] neg_lo:[0,0,1] neg_hi:[0,0,1]
	v_pk_fma_f32 v[12:13], v[12:13], v[24:25], v[38:39] op_sel:[0,0,1] op_sel_hi:[1,0,0]
	v_mov_b32_e32 v21, v11
	v_pk_add_f32 v[2:3], v[2:3], v[18:19]
	v_mov_b32_e32 v23, v13
	v_pk_add_f32 v[2:3], v[2:3], v[20:21]
	v_pk_add_f32 v[2:3], v[2:3], v[22:23]
	s_waitcnt vmcnt(0)
	v_pk_add_f32 v[2:3], v[26:27], v[2:3] neg_lo:[0,1] neg_hi:[0,1]
	buffer_store_dword v2, off, s[0:3], 0 offset:360
	buffer_store_dword v3, off, s[0:3], 0 offset:364
	s_and_saveexec_b64 s[4:5], vcc
	s_cbranch_execz .LBB51_237
; %bb.236:
	buffer_load_dword v2, off, s[0:3], 0 offset:352
	buffer_load_dword v3, off, s[0:3], 0 offset:356
	v_mov_b32_e32 v1, 0
	buffer_store_dword v1, off, s[0:3], 0 offset:352
	buffer_store_dword v1, off, s[0:3], 0 offset:356
	s_waitcnt vmcnt(2)
	ds_write_b64 v129, v[2:3]
.LBB51_237:
	s_or_b64 exec, exec, s[4:5]
	s_waitcnt lgkmcnt(0)
	; wave barrier
	s_waitcnt lgkmcnt(0)
	buffer_load_dword v15, off, s[0:3], 0 offset:364
	buffer_load_dword v17, off, s[0:3], 0 offset:372
	;; [unrolled: 1-line block ×16, first 2 shown]
	v_mov_b32_e32 v1, 0
	ds_read2_b64 v[2:5], v1 offset0:97 offset1:98
	ds_read2_b64 v[6:9], v1 offset0:99 offset1:100
	ds_read2_b64 v[10:13], v1 offset0:101 offset1:102
	ds_read_b64 v[30:31], v1 offset:824
	v_cmp_lt_u32_e32 vcc, 43, v0
	s_waitcnt vmcnt(15)
	v_mov_b32_e32 v32, v15
	s_waitcnt vmcnt(14)
	v_mov_b32_e32 v34, v17
	s_waitcnt lgkmcnt(3)
	v_pk_mul_f32 v[32:33], v[2:3], v[32:33] op_sel_hi:[1,0]
	s_waitcnt vmcnt(13)
	v_mov_b32_e32 v36, v19
	v_pk_mul_f32 v[34:35], v[4:5], v[34:35] op_sel_hi:[1,0]
	s_waitcnt vmcnt(12)
	v_mov_b32_e32 v38, v21
	s_waitcnt lgkmcnt(2)
	v_pk_mul_f32 v[36:37], v[6:7], v[36:37] op_sel_hi:[1,0]
	s_waitcnt vmcnt(8)
	v_pk_fma_f32 v[46:47], v[2:3], v[14:15], v[32:33] op_sel:[0,0,1] op_sel_hi:[1,1,0] neg_lo:[0,0,1] neg_hi:[0,0,1]
	v_pk_fma_f32 v[2:3], v[2:3], v[14:15], v[32:33] op_sel:[0,0,1] op_sel_hi:[1,0,0]
	s_waitcnt vmcnt(7)
	v_pk_fma_f32 v[14:15], v[4:5], v[16:17], v[34:35] op_sel:[0,0,1] op_sel_hi:[1,1,0] neg_lo:[0,0,1] neg_hi:[0,0,1]
	v_pk_fma_f32 v[4:5], v[4:5], v[16:17], v[34:35] op_sel:[0,0,1] op_sel_hi:[1,0,0]
	v_mov_b32_e32 v47, v3
	v_mov_b32_e32 v40, v23
	v_pk_mul_f32 v[38:39], v[8:9], v[38:39] op_sel_hi:[1,0]
	s_waitcnt vmcnt(6)
	v_pk_fma_f32 v[16:17], v[6:7], v[18:19], v[36:37] op_sel:[0,0,1] op_sel_hi:[1,1,0] neg_lo:[0,0,1] neg_hi:[0,0,1]
	v_pk_fma_f32 v[6:7], v[6:7], v[18:19], v[36:37] op_sel:[0,0,1] op_sel_hi:[1,0,0]
	v_mov_b32_e32 v15, v5
	v_pk_add_f32 v[2:3], v[46:47], 0 op_sel_hi:[1,0]
	v_mov_b32_e32 v42, v25
	s_waitcnt lgkmcnt(1)
	v_pk_mul_f32 v[40:41], v[10:11], v[40:41] op_sel_hi:[1,0]
	s_waitcnt vmcnt(5)
	v_pk_fma_f32 v[18:19], v[8:9], v[20:21], v[38:39] op_sel:[0,0,1] op_sel_hi:[1,1,0] neg_lo:[0,0,1] neg_hi:[0,0,1]
	v_pk_fma_f32 v[8:9], v[8:9], v[20:21], v[38:39] op_sel:[0,0,1] op_sel_hi:[1,0,0]
	v_mov_b32_e32 v17, v7
	v_pk_add_f32 v[2:3], v[2:3], v[14:15]
	v_mov_b32_e32 v44, v27
	v_pk_mul_f32 v[42:43], v[12:13], v[42:43] op_sel_hi:[1,0]
	s_waitcnt vmcnt(4)
	v_pk_fma_f32 v[20:21], v[10:11], v[22:23], v[40:41] op_sel:[0,0,1] op_sel_hi:[1,1,0] neg_lo:[0,0,1] neg_hi:[0,0,1]
	v_pk_fma_f32 v[10:11], v[10:11], v[22:23], v[40:41] op_sel:[0,0,1] op_sel_hi:[1,0,0]
	v_mov_b32_e32 v19, v9
	v_pk_add_f32 v[2:3], v[2:3], v[16:17]
	s_waitcnt lgkmcnt(0)
	v_pk_mul_f32 v[44:45], v[30:31], v[44:45] op_sel_hi:[1,0]
	s_waitcnt vmcnt(3)
	v_pk_fma_f32 v[22:23], v[12:13], v[24:25], v[42:43] op_sel:[0,0,1] op_sel_hi:[1,1,0] neg_lo:[0,0,1] neg_hi:[0,0,1]
	v_pk_fma_f32 v[12:13], v[12:13], v[24:25], v[42:43] op_sel:[0,0,1] op_sel_hi:[1,0,0]
	v_mov_b32_e32 v21, v11
	v_pk_add_f32 v[2:3], v[2:3], v[18:19]
	s_waitcnt vmcnt(2)
	v_pk_fma_f32 v[24:25], v[30:31], v[26:27], v[44:45] op_sel:[0,0,1] op_sel_hi:[1,1,0] neg_lo:[0,0,1] neg_hi:[0,0,1]
	v_pk_fma_f32 v[26:27], v[30:31], v[26:27], v[44:45] op_sel:[0,0,1] op_sel_hi:[1,0,0]
	v_mov_b32_e32 v23, v13
	v_pk_add_f32 v[2:3], v[2:3], v[20:21]
	v_mov_b32_e32 v25, v27
	v_pk_add_f32 v[2:3], v[2:3], v[22:23]
	v_pk_add_f32 v[2:3], v[2:3], v[24:25]
	s_waitcnt vmcnt(0)
	v_pk_add_f32 v[2:3], v[28:29], v[2:3] neg_lo:[0,1] neg_hi:[0,1]
	buffer_store_dword v2, off, s[0:3], 0 offset:352
	buffer_store_dword v3, off, s[0:3], 0 offset:356
	s_and_saveexec_b64 s[4:5], vcc
	s_cbranch_execz .LBB51_239
; %bb.238:
	buffer_load_dword v2, off, s[0:3], 0 offset:344
	buffer_load_dword v3, off, s[0:3], 0 offset:348
	s_waitcnt vmcnt(0)
	ds_write_b64 v129, v[2:3]
	buffer_store_dword v1, off, s[0:3], 0 offset:344
	buffer_store_dword v1, off, s[0:3], 0 offset:348
.LBB51_239:
	s_or_b64 exec, exec, s[4:5]
	s_waitcnt lgkmcnt(0)
	; wave barrier
	s_waitcnt lgkmcnt(0)
	buffer_load_dword v19, off, s[0:3], 0 offset:356
	buffer_load_dword v21, off, s[0:3], 0 offset:364
	;; [unrolled: 1-line block ×18, first 2 shown]
	ds_read_b128 v[2:5], v1 offset:768
	ds_read_b128 v[6:9], v1 offset:784
	;; [unrolled: 1-line block ×4, first 2 shown]
	v_cmp_lt_u32_e32 vcc, 42, v0
	s_waitcnt vmcnt(17)
	v_mov_b32_e32 v36, v19
	s_waitcnt vmcnt(16)
	v_mov_b32_e32 v38, v21
	s_waitcnt lgkmcnt(3)
	v_pk_mul_f32 v[36:37], v[2:3], v[36:37] op_sel_hi:[1,0]
	s_waitcnt vmcnt(15)
	v_mov_b32_e32 v40, v23
	v_pk_mul_f32 v[38:39], v[4:5], v[38:39] op_sel_hi:[1,0]
	s_waitcnt vmcnt(14)
	v_mov_b32_e32 v42, v25
	s_waitcnt lgkmcnt(2)
	v_pk_mul_f32 v[40:41], v[6:7], v[40:41] op_sel_hi:[1,0]
	s_waitcnt vmcnt(13)
	v_mov_b32_e32 v44, v27
	s_waitcnt vmcnt(9)
	v_pk_fma_f32 v[52:53], v[2:3], v[18:19], v[36:37] op_sel:[0,0,1] op_sel_hi:[1,1,0] neg_lo:[0,0,1] neg_hi:[0,0,1]
	v_pk_fma_f32 v[2:3], v[2:3], v[18:19], v[36:37] op_sel:[0,0,1] op_sel_hi:[1,0,0]
	s_waitcnt vmcnt(8)
	v_pk_fma_f32 v[18:19], v[4:5], v[20:21], v[38:39] op_sel:[0,0,1] op_sel_hi:[1,1,0] neg_lo:[0,0,1] neg_hi:[0,0,1]
	v_pk_fma_f32 v[4:5], v[4:5], v[20:21], v[38:39] op_sel:[0,0,1] op_sel_hi:[1,0,0]
	v_mov_b32_e32 v53, v3
	v_pk_mul_f32 v[42:43], v[8:9], v[42:43] op_sel_hi:[1,0]
	s_waitcnt vmcnt(7)
	v_pk_fma_f32 v[20:21], v[6:7], v[22:23], v[40:41] op_sel:[0,0,1] op_sel_hi:[1,1,0] neg_lo:[0,0,1] neg_hi:[0,0,1]
	v_pk_fma_f32 v[6:7], v[6:7], v[22:23], v[40:41] op_sel:[0,0,1] op_sel_hi:[1,0,0]
	v_mov_b32_e32 v19, v5
	v_pk_add_f32 v[2:3], v[52:53], 0 op_sel_hi:[1,0]
	v_mov_b32_e32 v46, v29
	s_waitcnt lgkmcnt(1)
	v_pk_mul_f32 v[44:45], v[10:11], v[44:45] op_sel_hi:[1,0]
	s_waitcnt vmcnt(6)
	v_pk_fma_f32 v[22:23], v[8:9], v[24:25], v[42:43] op_sel:[0,0,1] op_sel_hi:[1,1,0] neg_lo:[0,0,1] neg_hi:[0,0,1]
	v_pk_fma_f32 v[8:9], v[8:9], v[24:25], v[42:43] op_sel:[0,0,1] op_sel_hi:[1,0,0]
	v_mov_b32_e32 v21, v7
	v_pk_add_f32 v[2:3], v[2:3], v[18:19]
	v_mov_b32_e32 v48, v31
	v_pk_mul_f32 v[46:47], v[12:13], v[46:47] op_sel_hi:[1,0]
	s_waitcnt vmcnt(5)
	v_pk_fma_f32 v[24:25], v[10:11], v[26:27], v[44:45] op_sel:[0,0,1] op_sel_hi:[1,1,0] neg_lo:[0,0,1] neg_hi:[0,0,1]
	v_pk_fma_f32 v[10:11], v[10:11], v[26:27], v[44:45] op_sel:[0,0,1] op_sel_hi:[1,0,0]
	v_mov_b32_e32 v23, v9
	v_pk_add_f32 v[2:3], v[2:3], v[20:21]
	v_mov_b32_e32 v50, v33
	s_waitcnt lgkmcnt(0)
	v_pk_mul_f32 v[48:49], v[14:15], v[48:49] op_sel_hi:[1,0]
	s_waitcnt vmcnt(4)
	v_pk_fma_f32 v[26:27], v[12:13], v[28:29], v[46:47] op_sel:[0,0,1] op_sel_hi:[1,1,0] neg_lo:[0,0,1] neg_hi:[0,0,1]
	v_pk_fma_f32 v[12:13], v[12:13], v[28:29], v[46:47] op_sel:[0,0,1] op_sel_hi:[1,0,0]
	v_mov_b32_e32 v25, v11
	v_pk_add_f32 v[2:3], v[2:3], v[22:23]
	v_pk_mul_f32 v[50:51], v[16:17], v[50:51] op_sel_hi:[1,0]
	s_waitcnt vmcnt(3)
	v_pk_fma_f32 v[28:29], v[14:15], v[30:31], v[48:49] op_sel:[0,0,1] op_sel_hi:[1,1,0] neg_lo:[0,0,1] neg_hi:[0,0,1]
	v_pk_fma_f32 v[14:15], v[14:15], v[30:31], v[48:49] op_sel:[0,0,1] op_sel_hi:[1,0,0]
	v_mov_b32_e32 v27, v13
	v_pk_add_f32 v[2:3], v[2:3], v[24:25]
	s_waitcnt vmcnt(2)
	v_pk_fma_f32 v[30:31], v[16:17], v[32:33], v[50:51] op_sel:[0,0,1] op_sel_hi:[1,1,0] neg_lo:[0,0,1] neg_hi:[0,0,1]
	v_pk_fma_f32 v[16:17], v[16:17], v[32:33], v[50:51] op_sel:[0,0,1] op_sel_hi:[1,0,0]
	v_mov_b32_e32 v29, v15
	v_pk_add_f32 v[2:3], v[2:3], v[26:27]
	v_mov_b32_e32 v31, v17
	v_pk_add_f32 v[2:3], v[2:3], v[28:29]
	v_pk_add_f32 v[2:3], v[2:3], v[30:31]
	s_waitcnt vmcnt(0)
	v_pk_add_f32 v[2:3], v[34:35], v[2:3] neg_lo:[0,1] neg_hi:[0,1]
	buffer_store_dword v2, off, s[0:3], 0 offset:344
	buffer_store_dword v3, off, s[0:3], 0 offset:348
	s_and_saveexec_b64 s[4:5], vcc
	s_cbranch_execz .LBB51_241
; %bb.240:
	buffer_load_dword v2, off, s[0:3], 0 offset:336
	buffer_load_dword v3, off, s[0:3], 0 offset:340
	v_mov_b32_e32 v1, 0
	buffer_store_dword v1, off, s[0:3], 0 offset:336
	buffer_store_dword v1, off, s[0:3], 0 offset:340
	s_waitcnt vmcnt(2)
	ds_write_b64 v129, v[2:3]
.LBB51_241:
	s_or_b64 exec, exec, s[4:5]
	s_waitcnt lgkmcnt(0)
	; wave barrier
	s_waitcnt lgkmcnt(0)
	buffer_load_dword v38, off, s[0:3], 0 offset:348
	buffer_load_dword v19, off, s[0:3], 0 offset:356
	;; [unrolled: 1-line block ×20, first 2 shown]
	v_mov_b32_e32 v1, 0
	ds_read2_b64 v[2:5], v1 offset0:95 offset1:96
	ds_read2_b64 v[6:9], v1 offset0:97 offset1:98
	;; [unrolled: 1-line block ×4, first 2 shown]
	ds_read_b64 v[36:37], v1 offset:824
	v_cmp_lt_u32_e32 vcc, 41, v0
	s_waitcnt vmcnt(19) lgkmcnt(4)
	v_mul_f32_e32 v39, v2, v38
	v_mul_f32_e32 v38, v3, v38
	s_waitcnt vmcnt(18)
	v_mov_b32_e32 v40, v19
	s_waitcnt vmcnt(17)
	v_mov_b32_e32 v42, v21
	;; [unrolled: 2-line block ×8, first 2 shown]
	s_waitcnt vmcnt(10)
	v_fmac_f32_e32 v39, v3, v41
	v_fma_f32 v38, v2, v41, -v38
	v_pk_mul_f32 v[2:3], v[4:5], v[40:41] op_sel_hi:[1,0]
	s_waitcnt lgkmcnt(3)
	v_pk_mul_f32 v[40:41], v[6:7], v[42:43] op_sel_hi:[1,0]
	v_pk_mul_f32 v[42:43], v[8:9], v[44:45] op_sel_hi:[1,0]
	s_waitcnt lgkmcnt(2)
	v_pk_mul_f32 v[44:45], v[10:11], v[46:47] op_sel_hi:[1,0]
	v_pk_mul_f32 v[46:47], v[12:13], v[48:49] op_sel_hi:[1,0]
	s_waitcnt lgkmcnt(1)
	v_pk_mul_f32 v[48:49], v[14:15], v[50:51] op_sel_hi:[1,0]
	v_pk_mul_f32 v[50:51], v[16:17], v[52:53] op_sel_hi:[1,0]
	s_waitcnt lgkmcnt(0)
	v_pk_mul_f32 v[52:53], v[36:37], v[54:55] op_sel_hi:[1,0]
	s_waitcnt vmcnt(9)
	v_pk_fma_f32 v[54:55], v[4:5], v[18:19], v[2:3] op_sel:[0,0,1] op_sel_hi:[1,1,0] neg_lo:[0,0,1] neg_hi:[0,0,1]
	v_pk_fma_f32 v[2:3], v[4:5], v[18:19], v[2:3] op_sel:[0,0,1] op_sel_hi:[1,0,0]
	v_pk_add_f32 v[38:39], v[38:39], 0 op_sel_hi:[1,0]
	s_waitcnt vmcnt(8)
	v_pk_fma_f32 v[4:5], v[6:7], v[20:21], v[40:41] op_sel:[0,0,1] op_sel_hi:[1,1,0] neg_lo:[0,0,1] neg_hi:[0,0,1]
	v_pk_fma_f32 v[6:7], v[6:7], v[20:21], v[40:41] op_sel:[0,0,1] op_sel_hi:[1,0,0]
	v_mov_b32_e32 v55, v3
	s_waitcnt vmcnt(7)
	v_pk_fma_f32 v[18:19], v[8:9], v[22:23], v[42:43] op_sel:[0,0,1] op_sel_hi:[1,1,0] neg_lo:[0,0,1] neg_hi:[0,0,1]
	v_pk_fma_f32 v[8:9], v[8:9], v[22:23], v[42:43] op_sel:[0,0,1] op_sel_hi:[1,0,0]
	v_mov_b32_e32 v5, v7
	v_pk_add_f32 v[2:3], v[38:39], v[54:55]
	s_waitcnt vmcnt(6)
	v_pk_fma_f32 v[20:21], v[10:11], v[24:25], v[44:45] op_sel:[0,0,1] op_sel_hi:[1,1,0] neg_lo:[0,0,1] neg_hi:[0,0,1]
	v_pk_fma_f32 v[10:11], v[10:11], v[24:25], v[44:45] op_sel:[0,0,1] op_sel_hi:[1,0,0]
	v_mov_b32_e32 v19, v9
	v_pk_add_f32 v[2:3], v[2:3], v[4:5]
	;; [unrolled: 5-line block ×5, first 2 shown]
	v_pk_fma_f32 v[28:29], v[36:37], v[32:33], v[52:53] op_sel:[0,0,1] op_sel_hi:[1,1,0] neg_lo:[0,0,1] neg_hi:[0,0,1]
	v_pk_fma_f32 v[30:31], v[36:37], v[32:33], v[52:53] op_sel:[0,0,1] op_sel_hi:[1,0,0]
	v_mov_b32_e32 v27, v17
	v_pk_add_f32 v[2:3], v[2:3], v[24:25]
	v_mov_b32_e32 v29, v31
	v_pk_add_f32 v[2:3], v[2:3], v[26:27]
	v_pk_add_f32 v[2:3], v[2:3], v[28:29]
	s_waitcnt vmcnt(0)
	v_pk_add_f32 v[2:3], v[34:35], v[2:3] neg_lo:[0,1] neg_hi:[0,1]
	buffer_store_dword v2, off, s[0:3], 0 offset:336
	buffer_store_dword v3, off, s[0:3], 0 offset:340
	s_and_saveexec_b64 s[4:5], vcc
	s_cbranch_execz .LBB51_243
; %bb.242:
	buffer_load_dword v2, off, s[0:3], 0 offset:328
	buffer_load_dword v3, off, s[0:3], 0 offset:332
	s_waitcnt vmcnt(0)
	ds_write_b64 v129, v[2:3]
	buffer_store_dword v1, off, s[0:3], 0 offset:328
	buffer_store_dword v1, off, s[0:3], 0 offset:332
.LBB51_243:
	s_or_b64 exec, exec, s[4:5]
	s_waitcnt lgkmcnt(0)
	; wave barrier
	s_waitcnt lgkmcnt(0)
	buffer_load_dword v40, off, s[0:3], 0 offset:340
	buffer_load_dword v42, off, s[0:3], 0 offset:348
	;; [unrolled: 1-line block ×22, first 2 shown]
	ds_read_b128 v[2:5], v1 offset:752
	ds_read_b128 v[6:9], v1 offset:768
	;; [unrolled: 1-line block ×5, first 2 shown]
	v_cmp_lt_u32_e32 vcc, 40, v0
	s_waitcnt vmcnt(21) lgkmcnt(4)
	v_mul_f32_e32 v41, v2, v40
	v_mul_f32_e32 v1, v3, v40
	s_waitcnt vmcnt(19)
	v_mov_b32_e32 v44, v23
	v_mul_f32_e32 v43, v4, v42
	v_mul_f32_e32 v42, v5, v42
	s_waitcnt vmcnt(18)
	v_mov_b32_e32 v46, v25
	s_waitcnt vmcnt(17)
	v_mov_b32_e32 v48, v27
	;; [unrolled: 2-line block ×6, first 2 shown]
	s_waitcnt vmcnt(11)
	v_fmac_f32_e32 v41, v3, v45
	v_fma_f32 v40, v2, v45, -v1
	s_waitcnt lgkmcnt(3)
	v_pk_mul_f32 v[2:3], v[6:7], v[44:45] op_sel_hi:[1,0]
	s_waitcnt vmcnt(10)
	v_fmac_f32_e32 v43, v5, v47
	v_fma_f32 v42, v4, v47, -v42
	v_pk_mul_f32 v[4:5], v[8:9], v[46:47] op_sel_hi:[1,0]
	s_waitcnt lgkmcnt(2)
	v_pk_mul_f32 v[44:45], v[10:11], v[48:49] op_sel_hi:[1,0]
	v_pk_mul_f32 v[46:47], v[12:13], v[50:51] op_sel_hi:[1,0]
	s_waitcnt lgkmcnt(1)
	v_pk_mul_f32 v[48:49], v[14:15], v[52:53] op_sel_hi:[1,0]
	;; [unrolled: 3-line block ×3, first 2 shown]
	v_pk_add_f32 v[40:41], v[40:41], 0 op_sel_hi:[1,0]
	s_waitcnt vmcnt(9)
	v_pk_fma_f32 v[56:57], v[6:7], v[22:23], v[2:3] op_sel:[0,0,1] op_sel_hi:[1,1,0] neg_lo:[0,0,1] neg_hi:[0,0,1]
	v_pk_fma_f32 v[2:3], v[6:7], v[22:23], v[2:3] op_sel:[0,0,1] op_sel_hi:[1,0,0]
	s_waitcnt vmcnt(8)
	v_pk_fma_f32 v[6:7], v[8:9], v[24:25], v[4:5] op_sel:[0,0,1] op_sel_hi:[1,1,0] neg_lo:[0,0,1] neg_hi:[0,0,1]
	v_pk_fma_f32 v[4:5], v[8:9], v[24:25], v[4:5] op_sel:[0,0,1] op_sel_hi:[1,0,0]
	;; [unrolled: 3-line block ×4, first 2 shown]
	v_pk_add_f32 v[32:33], v[40:41], v[42:43]
	v_mov_b32_e32 v57, v3
	v_mov_b32_e32 v7, v5
	v_pk_add_f32 v[2:3], v[32:33], v[56:57]
	v_pk_fma_f32 v[22:23], v[12:13], v[28:29], v[46:47] op_sel:[0,0,1] op_sel_hi:[1,1,0] neg_lo:[0,0,1] neg_hi:[0,0,1]
	v_pk_fma_f32 v[12:13], v[12:13], v[28:29], v[46:47] op_sel:[0,0,1] op_sel_hi:[1,0,0]
	v_mov_b32_e32 v9, v11
	v_pk_add_f32 v[2:3], v[2:3], v[6:7]
	v_pk_fma_f32 v[24:25], v[14:15], v[30:31], v[48:49] op_sel:[0,0,1] op_sel_hi:[1,1,0] neg_lo:[0,0,1] neg_hi:[0,0,1]
	v_pk_fma_f32 v[14:15], v[14:15], v[30:31], v[48:49] op_sel:[0,0,1] op_sel_hi:[1,0,0]
	v_mov_b32_e32 v23, v13
	v_pk_add_f32 v[2:3], v[2:3], v[8:9]
	v_mov_b32_e32 v58, v37
	v_mov_b32_e32 v25, v15
	v_pk_add_f32 v[2:3], v[2:3], v[22:23]
	v_pk_mul_f32 v[54:55], v[20:21], v[58:59] op_sel_hi:[1,0]
	v_pk_fma_f32 v[28:29], v[18:19], v[34:35], v[52:53] op_sel:[0,0,1] op_sel_hi:[1,1,0] neg_lo:[0,0,1] neg_hi:[0,0,1]
	v_pk_fma_f32 v[18:19], v[18:19], v[34:35], v[52:53] op_sel:[0,0,1] op_sel_hi:[1,0,0]
	v_mov_b32_e32 v27, v17
	v_pk_add_f32 v[2:3], v[2:3], v[24:25]
	v_pk_fma_f32 v[30:31], v[20:21], v[36:37], v[54:55] op_sel:[0,0,1] op_sel_hi:[1,1,0] neg_lo:[0,0,1] neg_hi:[0,0,1]
	v_pk_fma_f32 v[20:21], v[20:21], v[36:37], v[54:55] op_sel:[0,0,1] op_sel_hi:[1,0,0]
	v_mov_b32_e32 v29, v19
	v_pk_add_f32 v[2:3], v[2:3], v[26:27]
	v_mov_b32_e32 v31, v21
	v_pk_add_f32 v[2:3], v[2:3], v[28:29]
	v_pk_add_f32 v[2:3], v[2:3], v[30:31]
	s_waitcnt vmcnt(0)
	v_pk_add_f32 v[2:3], v[38:39], v[2:3] neg_lo:[0,1] neg_hi:[0,1]
	buffer_store_dword v2, off, s[0:3], 0 offset:328
	buffer_store_dword v3, off, s[0:3], 0 offset:332
	s_and_saveexec_b64 s[4:5], vcc
	s_cbranch_execz .LBB51_245
; %bb.244:
	buffer_load_dword v2, off, s[0:3], 0 offset:320
	buffer_load_dword v3, off, s[0:3], 0 offset:324
	v_mov_b32_e32 v1, 0
	buffer_store_dword v1, off, s[0:3], 0 offset:320
	buffer_store_dword v1, off, s[0:3], 0 offset:324
	s_waitcnt vmcnt(2)
	ds_write_b64 v129, v[2:3]
.LBB51_245:
	s_or_b64 exec, exec, s[4:5]
	s_waitcnt lgkmcnt(0)
	; wave barrier
	s_waitcnt lgkmcnt(0)
	buffer_load_dword v42, off, s[0:3], 0 offset:332
	buffer_load_dword v44, off, s[0:3], 0 offset:340
	;; [unrolled: 1-line block ×24, first 2 shown]
	v_mov_b32_e32 v1, 0
	ds_read2_b64 v[2:5], v1 offset0:93 offset1:94
	ds_read2_b64 v[6:9], v1 offset0:95 offset1:96
	;; [unrolled: 1-line block ×5, first 2 shown]
	ds_read_b64 v[40:41], v1 offset:824
	v_cmp_lt_u32_e32 vcc, 39, v0
	s_waitcnt vmcnt(23) lgkmcnt(5)
	v_mul_f32_e32 v55, v2, v42
	v_mul_f32_e32 v42, v3, v42
	s_waitcnt vmcnt(22)
	v_mul_f32_e32 v43, v4, v44
	s_waitcnt vmcnt(21) lgkmcnt(4)
	v_mul_f32_e32 v45, v6, v46
	v_mul_f32_e32 v44, v5, v44
	;; [unrolled: 1-line block ×3, first 2 shown]
	s_waitcnt vmcnt(20)
	v_mov_b32_e32 v46, v23
	s_waitcnt vmcnt(19)
	v_mov_b32_e32 v48, v25
	;; [unrolled: 2-line block ×5, first 2 shown]
	s_waitcnt vmcnt(12)
	v_fmac_f32_e32 v55, v3, v47
	v_fma_f32 v57, v2, v47, -v42
	v_mov_b32_e32 v56, v33
	s_waitcnt vmcnt(11)
	v_fmac_f32_e32 v43, v5, v49
	s_waitcnt vmcnt(10)
	v_fmac_f32_e32 v45, v7, v51
	v_fma_f32 v42, v4, v49, -v44
	v_fma_f32 v44, v6, v51, -v53
	v_pk_mul_f32 v[2:3], v[8:9], v[46:47] op_sel_hi:[1,0]
	s_waitcnt lgkmcnt(3)
	v_pk_mul_f32 v[4:5], v[10:11], v[48:49] op_sel_hi:[1,0]
	v_pk_mul_f32 v[6:7], v[12:13], v[50:51] op_sel_hi:[1,0]
	s_waitcnt lgkmcnt(2)
	v_pk_mul_f32 v[46:47], v[14:15], v[52:53] op_sel_hi:[1,0]
	v_pk_mul_f32 v[48:49], v[16:17], v[54:55] op_sel_hi:[1,0]
	v_add_f32_e32 v55, 0, v55
	v_add_f32_e32 v54, 0, v57
	s_waitcnt lgkmcnt(1)
	v_pk_mul_f32 v[50:51], v[18:19], v[56:57] op_sel_hi:[1,0]
	s_waitcnt vmcnt(9)
	v_pk_fma_f32 v[56:57], v[8:9], v[22:23], v[2:3] op_sel:[0,0,1] op_sel_hi:[1,1,0] neg_lo:[0,0,1] neg_hi:[0,0,1]
	v_pk_fma_f32 v[2:3], v[8:9], v[22:23], v[2:3] op_sel:[0,0,1] op_sel_hi:[1,0,0]
	s_waitcnt vmcnt(8)
	v_pk_fma_f32 v[8:9], v[10:11], v[24:25], v[4:5] op_sel:[0,0,1] op_sel_hi:[1,1,0] neg_lo:[0,0,1] neg_hi:[0,0,1]
	v_pk_fma_f32 v[4:5], v[10:11], v[24:25], v[4:5] op_sel:[0,0,1] op_sel_hi:[1,0,0]
	;; [unrolled: 3-line block ×4, first 2 shown]
	v_pk_add_f32 v[28:29], v[54:55], v[42:43]
	v_mov_b32_e32 v57, v3
	v_pk_add_f32 v[2:3], v[28:29], v[44:45]
	v_mov_b32_e32 v9, v5
	;; [unrolled: 2-line block ×4, first 2 shown]
	s_waitcnt vmcnt(2)
	v_pk_fma_f32 v[22:23], v[16:17], v[30:31], v[48:49] op_sel:[0,0,1] op_sel_hi:[1,1,0] neg_lo:[0,0,1] neg_hi:[0,0,1]
	v_pk_fma_f32 v[16:17], v[16:17], v[30:31], v[48:49] op_sel:[0,0,1] op_sel_hi:[1,0,0]
	v_mov_b32_e32 v13, v15
	v_pk_add_f32 v[2:3], v[2:3], v[10:11]
	v_mov_b32_e32 v60, v37
	v_pk_mul_f32 v[52:53], v[20:21], v[58:59] op_sel_hi:[1,0]
	v_pk_fma_f32 v[24:25], v[18:19], v[32:33], v[50:51] op_sel:[0,0,1] op_sel_hi:[1,1,0] neg_lo:[0,0,1] neg_hi:[0,0,1]
	v_pk_fma_f32 v[18:19], v[18:19], v[32:33], v[50:51] op_sel:[0,0,1] op_sel_hi:[1,0,0]
	v_mov_b32_e32 v23, v17
	v_pk_add_f32 v[2:3], v[2:3], v[12:13]
	v_pk_fma_f32 v[26:27], v[20:21], v[34:35], v[52:53] op_sel:[0,0,1] op_sel_hi:[1,1,0] neg_lo:[0,0,1] neg_hi:[0,0,1]
	v_pk_fma_f32 v[20:21], v[20:21], v[34:35], v[52:53] op_sel:[0,0,1] op_sel_hi:[1,0,0]
	v_mov_b32_e32 v25, v19
	v_pk_add_f32 v[2:3], v[2:3], v[22:23]
	s_waitcnt lgkmcnt(0)
	v_pk_mul_f32 v[4:5], v[40:41], v[60:61] op_sel_hi:[1,0]
	v_mov_b32_e32 v27, v21
	v_pk_add_f32 v[2:3], v[2:3], v[24:25]
	v_pk_fma_f32 v[6:7], v[40:41], v[36:37], v[4:5] op_sel:[0,0,1] op_sel_hi:[1,1,0] neg_lo:[0,0,1] neg_hi:[0,0,1]
	v_pk_fma_f32 v[4:5], v[40:41], v[36:37], v[4:5] op_sel:[0,0,1] op_sel_hi:[1,0,0]
	v_pk_add_f32 v[2:3], v[2:3], v[26:27]
	v_mov_b32_e32 v7, v5
	v_pk_add_f32 v[2:3], v[2:3], v[6:7]
	s_waitcnt vmcnt(0)
	v_pk_add_f32 v[2:3], v[38:39], v[2:3] neg_lo:[0,1] neg_hi:[0,1]
	buffer_store_dword v3, off, s[0:3], 0 offset:324
	buffer_store_dword v2, off, s[0:3], 0 offset:320
	s_and_saveexec_b64 s[4:5], vcc
	s_cbranch_execz .LBB51_247
; %bb.246:
	buffer_load_dword v2, off, s[0:3], 0 offset:312
	buffer_load_dword v3, off, s[0:3], 0 offset:316
	s_waitcnt vmcnt(0)
	ds_write_b64 v129, v[2:3]
	buffer_store_dword v1, off, s[0:3], 0 offset:312
	buffer_store_dword v1, off, s[0:3], 0 offset:316
.LBB51_247:
	s_or_b64 exec, exec, s[4:5]
	s_waitcnt lgkmcnt(0)
	; wave barrier
	s_waitcnt lgkmcnt(0)
	buffer_load_dword v44, off, s[0:3], 0 offset:324
	buffer_load_dword v46, off, s[0:3], 0 offset:332
	;; [unrolled: 1-line block ×26, first 2 shown]
	ds_read_b128 v[2:5], v1 offset:736
	ds_read_b128 v[6:9], v1 offset:752
	;; [unrolled: 1-line block ×6, first 2 shown]
	v_cmp_lt_u32_e32 vcc, 38, v0
	s_waitcnt vmcnt(25) lgkmcnt(5)
	v_mul_f32_e32 v1, v2, v44
	v_mul_f32_e32 v44, v3, v44
	s_waitcnt vmcnt(24)
	v_mul_f32_e32 v59, v4, v46
	s_waitcnt vmcnt(23) lgkmcnt(4)
	v_mul_f32_e32 v45, v6, v48
	s_waitcnt vmcnt(22)
	v_mul_f32_e32 v47, v8, v49
	v_mul_f32_e32 v46, v5, v46
	;; [unrolled: 1-line block ×4, first 2 shown]
	s_waitcnt vmcnt(21)
	v_mov_b32_e32 v48, v27
	s_waitcnt vmcnt(20)
	v_mov_b32_e32 v50, v29
	s_waitcnt vmcnt(18)
	v_mov_b32_e32 v54, v33
	s_waitcnt vmcnt(15)
	v_fmac_f32_e32 v1, v3, v51
	v_fma_f32 v61, v2, v51, -v44
	v_mov_b32_e32 v52, v31
	s_waitcnt vmcnt(14)
	v_fmac_f32_e32 v59, v5, v53
	s_waitcnt vmcnt(12)
	v_fmac_f32_e32 v47, v9, v57
	v_fma_f32 v62, v4, v53, -v46
	v_fma_f32 v46, v8, v57, -v49
	s_waitcnt lgkmcnt(3)
	v_pk_mul_f32 v[2:3], v[10:11], v[48:49] op_sel_hi:[1,0]
	v_pk_mul_f32 v[4:5], v[12:13], v[50:51] op_sel_hi:[1,0]
	s_waitcnt lgkmcnt(2)
	v_pk_mul_f32 v[8:9], v[16:17], v[54:55] op_sel_hi:[1,0]
	v_add_f32_e32 v1, 0, v1
	v_add_f32_e32 v54, 0, v61
	v_fmac_f32_e32 v45, v7, v55
	v_fma_f32 v44, v6, v55, -v60
	v_pk_mul_f32 v[6:7], v[14:15], v[52:53] op_sel_hi:[1,0]
	s_waitcnt vmcnt(11)
	v_pk_fma_f32 v[52:53], v[10:11], v[26:27], v[2:3] op_sel:[0,0,1] op_sel_hi:[1,1,0] neg_lo:[0,0,1] neg_hi:[0,0,1]
	v_pk_fma_f32 v[2:3], v[10:11], v[26:27], v[2:3] op_sel:[0,0,1] op_sel_hi:[1,0,0]
	s_waitcnt vmcnt(10)
	v_pk_fma_f32 v[10:11], v[12:13], v[28:29], v[4:5] op_sel:[0,0,1] op_sel_hi:[1,1,0] neg_lo:[0,0,1] neg_hi:[0,0,1]
	v_pk_fma_f32 v[4:5], v[12:13], v[28:29], v[4:5] op_sel:[0,0,1] op_sel_hi:[1,0,0]
	v_add_f32_e32 v29, v1, v59
	v_add_f32_e32 v28, v54, v62
	v_mov_b32_e32 v53, v3
	v_pk_add_f32 v[2:3], v[28:29], v[44:45]
	v_pk_add_f32 v[2:3], v[2:3], v[46:47]
	v_mov_b32_e32 v56, v35
	s_waitcnt vmcnt(9)
	v_pk_fma_f32 v[12:13], v[14:15], v[30:31], v[6:7] op_sel:[0,0,1] op_sel_hi:[1,1,0] neg_lo:[0,0,1] neg_hi:[0,0,1]
	v_pk_fma_f32 v[6:7], v[14:15], v[30:31], v[6:7] op_sel:[0,0,1] op_sel_hi:[1,0,0]
	v_mov_b32_e32 v11, v5
	v_pk_add_f32 v[2:3], v[2:3], v[52:53]
	v_mov_b32_e32 v58, v37
	s_waitcnt lgkmcnt(1)
	v_pk_mul_f32 v[48:49], v[18:19], v[56:57] op_sel_hi:[1,0]
	s_waitcnt vmcnt(5)
	v_pk_fma_f32 v[14:15], v[16:17], v[32:33], v[8:9] op_sel:[0,0,1] op_sel_hi:[1,1,0] neg_lo:[0,0,1] neg_hi:[0,0,1]
	v_pk_fma_f32 v[8:9], v[16:17], v[32:33], v[8:9] op_sel:[0,0,1] op_sel_hi:[1,0,0]
	v_mov_b32_e32 v13, v7
	v_pk_add_f32 v[2:3], v[2:3], v[10:11]
	s_waitcnt vmcnt(4)
	v_mov_b32_e32 v4, v39
	v_pk_mul_f32 v[50:51], v[20:21], v[58:59] op_sel_hi:[1,0]
	v_pk_fma_f32 v[16:17], v[18:19], v[34:35], v[48:49] op_sel:[0,0,1] op_sel_hi:[1,1,0] neg_lo:[0,0,1] neg_hi:[0,0,1]
	v_pk_fma_f32 v[18:19], v[18:19], v[34:35], v[48:49] op_sel:[0,0,1] op_sel_hi:[1,0,0]
	v_mov_b32_e32 v15, v9
	v_pk_add_f32 v[2:3], v[2:3], v[12:13]
	s_waitcnt lgkmcnt(0)
	v_pk_mul_f32 v[4:5], v[22:23], v[4:5] op_sel_hi:[1,0]
	v_pk_fma_f32 v[26:27], v[20:21], v[36:37], v[50:51] op_sel:[0,0,1] op_sel_hi:[1,1,0] neg_lo:[0,0,1] neg_hi:[0,0,1]
	v_pk_fma_f32 v[20:21], v[20:21], v[36:37], v[50:51] op_sel:[0,0,1] op_sel_hi:[1,0,0]
	v_mov_b32_e32 v17, v19
	v_pk_add_f32 v[2:3], v[2:3], v[14:15]
	v_pk_fma_f32 v[6:7], v[22:23], v[38:39], v[4:5] op_sel:[0,0,1] op_sel_hi:[1,1,0] neg_lo:[0,0,1] neg_hi:[0,0,1]
	v_pk_fma_f32 v[4:5], v[22:23], v[38:39], v[4:5] op_sel:[0,0,1] op_sel_hi:[1,0,0]
	v_mov_b32_e32 v27, v21
	v_pk_add_f32 v[2:3], v[2:3], v[16:17]
	s_waitcnt vmcnt(3)
	v_mov_b32_e32 v4, v41
	v_pk_add_f32 v[2:3], v[2:3], v[26:27]
	v_mov_b32_e32 v7, v5
	v_pk_mul_f32 v[4:5], v[24:25], v[4:5] op_sel_hi:[1,0]
	v_pk_add_f32 v[2:3], v[2:3], v[6:7]
	s_waitcnt vmcnt(2)
	v_pk_fma_f32 v[6:7], v[24:25], v[40:41], v[4:5] op_sel:[0,0,1] op_sel_hi:[1,1,0] neg_lo:[0,0,1] neg_hi:[0,0,1]
	v_pk_fma_f32 v[4:5], v[24:25], v[40:41], v[4:5] op_sel:[0,0,1] op_sel_hi:[1,0,0]
	v_mov_b32_e32 v7, v5
	v_pk_add_f32 v[2:3], v[2:3], v[6:7]
	s_waitcnt vmcnt(0)
	v_pk_add_f32 v[2:3], v[42:43], v[2:3] neg_lo:[0,1] neg_hi:[0,1]
	buffer_store_dword v3, off, s[0:3], 0 offset:316
	buffer_store_dword v2, off, s[0:3], 0 offset:312
	s_and_saveexec_b64 s[4:5], vcc
	s_cbranch_execz .LBB51_249
; %bb.248:
	buffer_load_dword v2, off, s[0:3], 0 offset:304
	buffer_load_dword v3, off, s[0:3], 0 offset:308
	v_mov_b32_e32 v1, 0
	buffer_store_dword v1, off, s[0:3], 0 offset:304
	buffer_store_dword v1, off, s[0:3], 0 offset:308
	s_waitcnt vmcnt(2)
	ds_write_b64 v129, v[2:3]
.LBB51_249:
	s_or_b64 exec, exec, s[4:5]
	v_mov_b32_e32 v1, 0
	s_waitcnt lgkmcnt(0)
	; wave barrier
	s_waitcnt lgkmcnt(0)
	ds_read2_b64 v[4:7], v1 offset0:91 offset1:92
	buffer_load_dword v2, off, s[0:3], 0 offset:304
	buffer_load_dword v3, off, s[0:3], 0 offset:308
	;; [unrolled: 1-line block ×16, first 2 shown]
	v_cmp_lt_u32_e32 vcc, 37, v0
	s_waitcnt vmcnt(12) lgkmcnt(0)
	v_mul_f32_e32 v8, v4, v17
	v_fmac_f32_e32 v8, v5, v16
	s_waitcnt vmcnt(10)
	v_mul_f32_e32 v9, v6, v19
	v_add_f32_e32 v8, 0, v8
	v_fmac_f32_e32 v9, v7, v18
	v_add_f32_e32 v12, v8, v9
	ds_read2_b64 v[8:11], v1 offset0:93 offset1:94
	v_mul_f32_e32 v5, v5, v17
	v_fma_f32 v4, v4, v16, -v5
	v_mul_f32_e32 v5, v7, v19
	v_add_f32_e32 v4, 0, v4
	s_waitcnt vmcnt(8) lgkmcnt(0)
	v_mul_f32_e32 v13, v8, v26
	v_fmac_f32_e32 v13, v9, v24
	v_add_f32_e32 v25, v12, v13
	ds_read2_b64 v[12:15], v1 offset0:95 offset1:96
	buffer_load_dword v31, off, s[0:3], 0 offset:372
	buffer_load_dword v30, off, s[0:3], 0 offset:368
	;; [unrolled: 1-line block ×12, first 2 shown]
	v_fma_f32 v5, v6, v18, -v5
	v_add_f32_e32 v4, v4, v5
	v_mul_f32_e32 v5, v9, v26
	v_fma_f32 v5, v8, v24, -v5
	s_waitcnt vmcnt(18)
	v_mul_f32_e32 v27, v10, v42
	v_add_f32_e32 v24, v4, v5
	v_mul_f32_e32 v4, v11, v42
	v_fmac_f32_e32 v27, v11, v28
	v_fma_f32 v26, v10, v28, -v4
	s_waitcnt vmcnt(16) lgkmcnt(0)
	v_mul_f32_e32 v29, v12, v44
	v_mul_f32_e32 v4, v13, v44
	v_pk_add_f32 v[24:25], v[24:25], v[26:27]
	s_waitcnt vmcnt(14)
	v_mov_b32_e32 v26, v21
	v_fmac_f32_e32 v29, v13, v43
	v_fma_f32 v28, v12, v43, -v4
	ds_read2_b64 v[4:7], v1 offset0:97 offset1:98
	ds_read2_b64 v[8:11], v1 offset0:99 offset1:100
	;; [unrolled: 1-line block ×3, first 2 shown]
	ds_read_b64 v[12:13], v1 offset:824
	v_pk_mul_f32 v[26:27], v[14:15], v[26:27] op_sel_hi:[1,0]
	v_pk_add_f32 v[24:25], v[24:25], v[28:29]
	v_pk_fma_f32 v[28:29], v[14:15], v[20:21], v[26:27] op_sel:[0,0,1] op_sel_hi:[1,1,0] neg_lo:[0,0,1] neg_hi:[0,0,1]
	v_pk_fma_f32 v[14:15], v[14:15], v[20:21], v[26:27] op_sel:[0,0,1] op_sel_hi:[1,0,0]
	s_waitcnt vmcnt(12)
	v_mov_b32_e32 v20, v23
	v_mov_b32_e32 v29, v15
	s_waitcnt lgkmcnt(3)
	v_pk_mul_f32 v[20:21], v[4:5], v[20:21] op_sel_hi:[1,0]
	v_pk_add_f32 v[14:15], v[24:25], v[28:29]
	v_pk_fma_f32 v[24:25], v[4:5], v[22:23], v[20:21] op_sel:[0,0,1] op_sel_hi:[1,1,0] neg_lo:[0,0,1] neg_hi:[0,0,1]
	v_pk_fma_f32 v[4:5], v[4:5], v[22:23], v[20:21] op_sel:[0,0,1] op_sel_hi:[1,0,0]
	v_mov_b32_e32 v25, v5
	v_pk_add_f32 v[4:5], v[14:15], v[24:25]
	s_waitcnt vmcnt(11)
	v_mov_b32_e32 v14, v31
	v_pk_mul_f32 v[14:15], v[6:7], v[14:15] op_sel_hi:[1,0]
	s_waitcnt vmcnt(10)
	v_pk_fma_f32 v[20:21], v[6:7], v[30:31], v[14:15] op_sel:[0,0,1] op_sel_hi:[1,1,0] neg_lo:[0,0,1] neg_hi:[0,0,1]
	v_pk_fma_f32 v[6:7], v[6:7], v[30:31], v[14:15] op_sel:[0,0,1] op_sel_hi:[1,0,0]
	s_waitcnt vmcnt(9)
	v_mov_b32_e32 v6, v33
	v_mov_b32_e32 v21, v7
	s_waitcnt lgkmcnt(2)
	v_pk_mul_f32 v[6:7], v[8:9], v[6:7] op_sel_hi:[1,0]
	s_waitcnt vmcnt(8)
	v_pk_fma_f32 v[14:15], v[8:9], v[32:33], v[6:7] op_sel:[0,0,1] op_sel_hi:[1,1,0] neg_lo:[0,0,1] neg_hi:[0,0,1]
	v_pk_fma_f32 v[6:7], v[8:9], v[32:33], v[6:7] op_sel:[0,0,1] op_sel_hi:[1,0,0]
	s_waitcnt vmcnt(7)
	v_mov_b32_e32 v6, v35
	v_mov_b32_e32 v15, v7
	v_pk_mul_f32 v[6:7], v[10:11], v[6:7] op_sel_hi:[1,0]
	s_waitcnt vmcnt(6)
	v_pk_fma_f32 v[8:9], v[10:11], v[34:35], v[6:7] op_sel:[0,0,1] op_sel_hi:[1,1,0] neg_lo:[0,0,1] neg_hi:[0,0,1]
	v_pk_fma_f32 v[6:7], v[10:11], v[34:35], v[6:7] op_sel:[0,0,1] op_sel_hi:[1,0,0]
	v_pk_add_f32 v[4:5], v[4:5], v[20:21]
	s_waitcnt vmcnt(5)
	v_mov_b32_e32 v6, v37
	v_pk_add_f32 v[4:5], v[4:5], v[14:15]
	v_mov_b32_e32 v9, v7
	s_waitcnt lgkmcnt(1)
	v_pk_mul_f32 v[6:7], v[16:17], v[6:7] op_sel_hi:[1,0]
	v_pk_add_f32 v[4:5], v[4:5], v[8:9]
	s_waitcnt vmcnt(4)
	v_pk_fma_f32 v[8:9], v[16:17], v[36:37], v[6:7] op_sel:[0,0,1] op_sel_hi:[1,1,0] neg_lo:[0,0,1] neg_hi:[0,0,1]
	v_pk_fma_f32 v[6:7], v[16:17], v[36:37], v[6:7] op_sel:[0,0,1] op_sel_hi:[1,0,0]
	s_waitcnt vmcnt(3)
	v_mov_b32_e32 v6, v39
	v_mov_b32_e32 v9, v7
	v_pk_mul_f32 v[6:7], v[18:19], v[6:7] op_sel_hi:[1,0]
	v_pk_add_f32 v[4:5], v[4:5], v[8:9]
	s_waitcnt vmcnt(2)
	v_pk_fma_f32 v[8:9], v[18:19], v[38:39], v[6:7] op_sel:[0,0,1] op_sel_hi:[1,1,0] neg_lo:[0,0,1] neg_hi:[0,0,1]
	v_pk_fma_f32 v[6:7], v[18:19], v[38:39], v[6:7] op_sel:[0,0,1] op_sel_hi:[1,0,0]
	s_waitcnt vmcnt(1)
	v_mov_b32_e32 v6, v41
	v_mov_b32_e32 v9, v7
	s_waitcnt lgkmcnt(0)
	v_pk_mul_f32 v[6:7], v[12:13], v[6:7] op_sel_hi:[1,0]
	v_pk_add_f32 v[4:5], v[4:5], v[8:9]
	s_waitcnt vmcnt(0)
	v_pk_fma_f32 v[8:9], v[12:13], v[40:41], v[6:7] op_sel:[0,0,1] op_sel_hi:[1,1,0] neg_lo:[0,0,1] neg_hi:[0,0,1]
	v_pk_fma_f32 v[6:7], v[12:13], v[40:41], v[6:7] op_sel:[0,0,1] op_sel_hi:[1,0,0]
	v_mov_b32_e32 v9, v7
	v_pk_add_f32 v[4:5], v[4:5], v[8:9]
	v_pk_add_f32 v[2:3], v[2:3], v[4:5] neg_lo:[0,1] neg_hi:[0,1]
	buffer_store_dword v3, off, s[0:3], 0 offset:308
	buffer_store_dword v2, off, s[0:3], 0 offset:304
	s_and_saveexec_b64 s[4:5], vcc
	s_cbranch_execz .LBB51_251
; %bb.250:
	buffer_load_dword v2, off, s[0:3], 0 offset:296
	buffer_load_dword v3, off, s[0:3], 0 offset:300
	s_waitcnt vmcnt(0)
	ds_write_b64 v129, v[2:3]
	buffer_store_dword v1, off, s[0:3], 0 offset:296
	buffer_store_dword v1, off, s[0:3], 0 offset:300
.LBB51_251:
	s_or_b64 exec, exec, s[4:5]
	s_waitcnt lgkmcnt(0)
	; wave barrier
	s_waitcnt lgkmcnt(0)
	ds_read_b128 v[4:7], v1 offset:720
	ds_read_b128 v[8:11], v1 offset:736
	;; [unrolled: 1-line block ×4, first 2 shown]
	buffer_load_dword v2, off, s[0:3], 0 offset:296
	buffer_load_dword v3, off, s[0:3], 0 offset:300
	buffer_load_dword v22, off, s[0:3], 0 offset:304
	buffer_load_dword v24, off, s[0:3], 0 offset:308
	buffer_load_dword v26, off, s[0:3], 0 offset:312
	buffer_load_dword v42, off, s[0:3], 0 offset:316
	buffer_load_dword v43, off, s[0:3], 0 offset:320
	buffer_load_dword v44, off, s[0:3], 0 offset:324
	buffer_load_dword v45, off, s[0:3], 0 offset:328
	buffer_load_dword v46, off, s[0:3], 0 offset:332
	buffer_load_dword v47, off, s[0:3], 0 offset:336
	buffer_load_dword v48, off, s[0:3], 0 offset:340
	buffer_load_dword v49, off, s[0:3], 0 offset:344
	buffer_load_dword v50, off, s[0:3], 0 offset:348
	buffer_load_dword v20, off, s[0:3], 0 offset:352
	buffer_load_dword v21, off, s[0:3], 0 offset:356
	buffer_load_dword v29, off, s[0:3], 0 offset:364
	buffer_load_dword v28, off, s[0:3], 0 offset:360
	buffer_load_dword v31, off, s[0:3], 0 offset:372
	buffer_load_dword v30, off, s[0:3], 0 offset:368
	buffer_load_dword v33, off, s[0:3], 0 offset:380
	buffer_load_dword v32, off, s[0:3], 0 offset:376
	buffer_load_dword v35, off, s[0:3], 0 offset:388
	buffer_load_dword v34, off, s[0:3], 0 offset:384
	buffer_load_dword v37, off, s[0:3], 0 offset:396
	buffer_load_dword v36, off, s[0:3], 0 offset:392
	buffer_load_dword v39, off, s[0:3], 0 offset:404
	buffer_load_dword v38, off, s[0:3], 0 offset:400
	buffer_load_dword v41, off, s[0:3], 0 offset:412
	buffer_load_dword v40, off, s[0:3], 0 offset:408
	v_cmp_lt_u32_e32 vcc, 36, v0
	s_waitcnt vmcnt(26) lgkmcnt(3)
	v_mul_f32_e32 v23, v4, v24
	v_fmac_f32_e32 v23, v5, v22
	v_mul_f32_e32 v5, v5, v24
	s_waitcnt vmcnt(24)
	v_mul_f32_e32 v25, v6, v42
	v_fma_f32 v4, v4, v22, -v5
	v_mul_f32_e32 v5, v7, v42
	v_add_f32_e32 v23, 0, v23
	v_fmac_f32_e32 v25, v7, v26
	v_add_f32_e32 v4, 0, v4
	v_fma_f32 v5, v6, v26, -v5
	v_add_f32_e32 v23, v23, v25
	s_waitcnt vmcnt(22) lgkmcnt(2)
	v_mul_f32_e32 v25, v8, v44
	v_add_f32_e32 v4, v4, v5
	v_mul_f32_e32 v5, v9, v44
	v_fmac_f32_e32 v25, v9, v43
	v_fma_f32 v5, v8, v43, -v5
	v_add_f32_e32 v23, v23, v25
	s_waitcnt vmcnt(20)
	v_mul_f32_e32 v25, v10, v46
	v_add_f32_e32 v4, v4, v5
	v_mul_f32_e32 v5, v11, v46
	v_fmac_f32_e32 v25, v11, v45
	v_fma_f32 v5, v10, v45, -v5
	v_add_f32_e32 v23, v23, v25
	s_waitcnt vmcnt(18) lgkmcnt(1)
	v_mul_f32_e32 v25, v12, v48
	v_add_f32_e32 v22, v4, v5
	v_mul_f32_e32 v4, v13, v48
	v_fmac_f32_e32 v25, v13, v47
	v_fma_f32 v24, v12, v47, -v4
	s_waitcnt vmcnt(16)
	v_mul_f32_e32 v27, v14, v50
	v_mul_f32_e32 v4, v15, v50
	v_pk_add_f32 v[22:23], v[22:23], v[24:25]
	s_waitcnt vmcnt(14)
	v_mov_b32_e32 v24, v21
	v_fmac_f32_e32 v27, v15, v49
	v_fma_f32 v26, v14, v49, -v4
	s_waitcnt lgkmcnt(0)
	v_pk_mul_f32 v[24:25], v[16:17], v[24:25] op_sel_hi:[1,0]
	v_pk_add_f32 v[22:23], v[22:23], v[26:27]
	v_pk_fma_f32 v[26:27], v[16:17], v[20:21], v[24:25] op_sel:[0,0,1] op_sel_hi:[1,1,0] neg_lo:[0,0,1] neg_hi:[0,0,1]
	v_pk_fma_f32 v[16:17], v[16:17], v[20:21], v[24:25] op_sel:[0,0,1] op_sel_hi:[1,0,0]
	s_waitcnt vmcnt(13)
	v_mov_b32_e32 v20, v29
	ds_read_b128 v[4:7], v1 offset:784
	ds_read_b128 v[8:11], v1 offset:800
	;; [unrolled: 1-line block ×3, first 2 shown]
	v_mov_b32_e32 v27, v17
	v_pk_mul_f32 v[20:21], v[18:19], v[20:21] op_sel_hi:[1,0]
	v_pk_add_f32 v[16:17], v[22:23], v[26:27]
	s_waitcnt vmcnt(12)
	v_pk_fma_f32 v[22:23], v[18:19], v[28:29], v[20:21] op_sel:[0,0,1] op_sel_hi:[1,1,0] neg_lo:[0,0,1] neg_hi:[0,0,1]
	v_pk_fma_f32 v[18:19], v[18:19], v[28:29], v[20:21] op_sel:[0,0,1] op_sel_hi:[1,0,0]
	s_waitcnt vmcnt(11)
	v_mov_b32_e32 v18, v31
	v_mov_b32_e32 v23, v19
	s_waitcnt lgkmcnt(2)
	v_pk_mul_f32 v[18:19], v[4:5], v[18:19] op_sel_hi:[1,0]
	s_waitcnt vmcnt(10)
	v_pk_fma_f32 v[20:21], v[4:5], v[30:31], v[18:19] op_sel:[0,0,1] op_sel_hi:[1,1,0] neg_lo:[0,0,1] neg_hi:[0,0,1]
	v_pk_fma_f32 v[4:5], v[4:5], v[30:31], v[18:19] op_sel:[0,0,1] op_sel_hi:[1,0,0]
	v_pk_add_f32 v[16:17], v[16:17], v[22:23]
	v_mov_b32_e32 v21, v5
	v_pk_add_f32 v[4:5], v[16:17], v[20:21]
	s_waitcnt vmcnt(9)
	v_mov_b32_e32 v16, v33
	v_pk_mul_f32 v[16:17], v[6:7], v[16:17] op_sel_hi:[1,0]
	s_waitcnt vmcnt(8)
	v_pk_fma_f32 v[18:19], v[6:7], v[32:33], v[16:17] op_sel:[0,0,1] op_sel_hi:[1,1,0] neg_lo:[0,0,1] neg_hi:[0,0,1]
	v_pk_fma_f32 v[6:7], v[6:7], v[32:33], v[16:17] op_sel:[0,0,1] op_sel_hi:[1,0,0]
	s_waitcnt vmcnt(7)
	v_mov_b32_e32 v6, v35
	v_mov_b32_e32 v19, v7
	s_waitcnt lgkmcnt(1)
	v_pk_mul_f32 v[6:7], v[8:9], v[6:7] op_sel_hi:[1,0]
	s_waitcnt vmcnt(6)
	v_pk_fma_f32 v[16:17], v[8:9], v[34:35], v[6:7] op_sel:[0,0,1] op_sel_hi:[1,1,0] neg_lo:[0,0,1] neg_hi:[0,0,1]
	v_pk_fma_f32 v[6:7], v[8:9], v[34:35], v[6:7] op_sel:[0,0,1] op_sel_hi:[1,0,0]
	s_waitcnt vmcnt(5)
	v_mov_b32_e32 v6, v37
	v_mov_b32_e32 v17, v7
	v_pk_mul_f32 v[6:7], v[10:11], v[6:7] op_sel_hi:[1,0]
	s_waitcnt vmcnt(4)
	v_pk_fma_f32 v[8:9], v[10:11], v[36:37], v[6:7] op_sel:[0,0,1] op_sel_hi:[1,1,0] neg_lo:[0,0,1] neg_hi:[0,0,1]
	v_pk_fma_f32 v[6:7], v[10:11], v[36:37], v[6:7] op_sel:[0,0,1] op_sel_hi:[1,0,0]
	v_pk_add_f32 v[4:5], v[4:5], v[18:19]
	s_waitcnt vmcnt(3)
	v_mov_b32_e32 v6, v39
	v_pk_add_f32 v[4:5], v[4:5], v[16:17]
	v_mov_b32_e32 v9, v7
	s_waitcnt lgkmcnt(0)
	v_pk_mul_f32 v[6:7], v[12:13], v[6:7] op_sel_hi:[1,0]
	v_pk_add_f32 v[4:5], v[4:5], v[8:9]
	s_waitcnt vmcnt(2)
	v_pk_fma_f32 v[8:9], v[12:13], v[38:39], v[6:7] op_sel:[0,0,1] op_sel_hi:[1,1,0] neg_lo:[0,0,1] neg_hi:[0,0,1]
	v_pk_fma_f32 v[6:7], v[12:13], v[38:39], v[6:7] op_sel:[0,0,1] op_sel_hi:[1,0,0]
	s_waitcnt vmcnt(1)
	v_mov_b32_e32 v6, v41
	v_mov_b32_e32 v9, v7
	v_pk_mul_f32 v[6:7], v[14:15], v[6:7] op_sel_hi:[1,0]
	v_pk_add_f32 v[4:5], v[4:5], v[8:9]
	s_waitcnt vmcnt(0)
	v_pk_fma_f32 v[8:9], v[14:15], v[40:41], v[6:7] op_sel:[0,0,1] op_sel_hi:[1,1,0] neg_lo:[0,0,1] neg_hi:[0,0,1]
	v_pk_fma_f32 v[6:7], v[14:15], v[40:41], v[6:7] op_sel:[0,0,1] op_sel_hi:[1,0,0]
	v_mov_b32_e32 v9, v7
	v_pk_add_f32 v[4:5], v[4:5], v[8:9]
	v_pk_add_f32 v[2:3], v[2:3], v[4:5] neg_lo:[0,1] neg_hi:[0,1]
	buffer_store_dword v3, off, s[0:3], 0 offset:300
	buffer_store_dword v2, off, s[0:3], 0 offset:296
	s_and_saveexec_b64 s[4:5], vcc
	s_cbranch_execz .LBB51_253
; %bb.252:
	buffer_load_dword v2, off, s[0:3], 0 offset:288
	buffer_load_dword v3, off, s[0:3], 0 offset:292
	v_mov_b32_e32 v1, 0
	buffer_store_dword v1, off, s[0:3], 0 offset:288
	buffer_store_dword v1, off, s[0:3], 0 offset:292
	s_waitcnt vmcnt(2)
	ds_write_b64 v129, v[2:3]
.LBB51_253:
	s_or_b64 exec, exec, s[4:5]
	v_mov_b32_e32 v1, 0
	s_waitcnt lgkmcnt(0)
	; wave barrier
	s_waitcnt lgkmcnt(0)
	ds_read2_b64 v[4:7], v1 offset0:89 offset1:90
	buffer_load_dword v2, off, s[0:3], 0 offset:288
	buffer_load_dword v3, off, s[0:3], 0 offset:292
	;; [unrolled: 1-line block ×16, first 2 shown]
	v_cmp_lt_u32_e32 vcc, 35, v0
	s_waitcnt vmcnt(12) lgkmcnt(0)
	v_mul_f32_e32 v8, v4, v22
	v_fmac_f32_e32 v8, v5, v20
	s_waitcnt vmcnt(10)
	v_mul_f32_e32 v9, v6, v42
	v_add_f32_e32 v8, 0, v8
	v_fmac_f32_e32 v9, v7, v24
	v_add_f32_e32 v12, v8, v9
	ds_read2_b64 v[8:11], v1 offset0:91 offset1:92
	v_mul_f32_e32 v5, v5, v22
	v_fma_f32 v4, v4, v20, -v5
	v_mul_f32_e32 v5, v7, v42
	v_add_f32_e32 v4, 0, v4
	s_waitcnt vmcnt(8) lgkmcnt(0)
	v_mul_f32_e32 v13, v8, v44
	v_fmac_f32_e32 v13, v9, v43
	v_add_f32_e32 v12, v12, v13
	s_waitcnt vmcnt(6)
	v_mul_f32_e32 v13, v10, v46
	v_fmac_f32_e32 v13, v11, v45
	v_add_f32_e32 v16, v12, v13
	ds_read2_b64 v[12:15], v1 offset0:93 offset1:94
	v_fma_f32 v5, v6, v24, -v5
	v_add_f32_e32 v4, v4, v5
	v_mul_f32_e32 v5, v9, v44
	v_fma_f32 v5, v8, v43, -v5
	s_waitcnt vmcnt(4) lgkmcnt(0)
	v_mul_f32_e32 v17, v12, v48
	v_fmac_f32_e32 v17, v13, v47
	v_add_f32_e32 v21, v16, v17
	ds_read2_b64 v[16:19], v1 offset0:95 offset1:96
	buffer_load_dword v27, off, s[0:3], 0 offset:356
	buffer_load_dword v26, off, s[0:3], 0 offset:352
	;; [unrolled: 1-line block ×16, first 2 shown]
	v_add_f32_e32 v4, v4, v5
	v_mul_f32_e32 v5, v11, v46
	v_fma_f32 v5, v10, v45, -v5
	v_add_f32_e32 v4, v4, v5
	v_mul_f32_e32 v5, v13, v48
	v_fma_f32 v5, v12, v47, -v5
	s_waitcnt vmcnt(18)
	v_mul_f32_e32 v23, v14, v50
	v_add_f32_e32 v20, v4, v5
	v_mul_f32_e32 v4, v15, v50
	v_fmac_f32_e32 v23, v15, v49
	v_fma_f32 v22, v14, v49, -v4
	s_waitcnt vmcnt(16) lgkmcnt(0)
	v_mul_f32_e32 v25, v16, v52
	v_mul_f32_e32 v4, v17, v52
	v_pk_add_f32 v[20:21], v[20:21], v[22:23]
	v_fmac_f32_e32 v25, v17, v51
	v_fma_f32 v24, v16, v51, -v4
	v_pk_add_f32 v[20:21], v[20:21], v[24:25]
	ds_read2_b64 v[4:7], v1 offset0:97 offset1:98
	ds_read2_b64 v[8:11], v1 offset0:99 offset1:100
	;; [unrolled: 1-line block ×3, first 2 shown]
	ds_read_b64 v[16:17], v1 offset:824
	s_waitcnt vmcnt(15)
	v_mov_b32_e32 v22, v27
	v_pk_mul_f32 v[22:23], v[18:19], v[22:23] op_sel_hi:[1,0]
	s_waitcnt vmcnt(14)
	v_pk_fma_f32 v[24:25], v[18:19], v[26:27], v[22:23] op_sel:[0,0,1] op_sel_hi:[1,1,0] neg_lo:[0,0,1] neg_hi:[0,0,1]
	v_pk_fma_f32 v[18:19], v[18:19], v[26:27], v[22:23] op_sel:[0,0,1] op_sel_hi:[1,0,0]
	v_mov_b32_e32 v25, v19
	v_pk_add_f32 v[18:19], v[20:21], v[24:25]
	s_waitcnt vmcnt(13)
	v_mov_b32_e32 v20, v29
	s_waitcnt lgkmcnt(3)
	v_pk_mul_f32 v[20:21], v[4:5], v[20:21] op_sel_hi:[1,0]
	s_waitcnt vmcnt(12)
	v_pk_fma_f32 v[22:23], v[4:5], v[28:29], v[20:21] op_sel:[0,0,1] op_sel_hi:[1,1,0] neg_lo:[0,0,1] neg_hi:[0,0,1]
	v_pk_fma_f32 v[4:5], v[4:5], v[28:29], v[20:21] op_sel:[0,0,1] op_sel_hi:[1,0,0]
	v_mov_b32_e32 v23, v5
	v_pk_add_f32 v[4:5], v[18:19], v[22:23]
	s_waitcnt vmcnt(11)
	v_mov_b32_e32 v18, v31
	v_pk_mul_f32 v[18:19], v[6:7], v[18:19] op_sel_hi:[1,0]
	s_waitcnt vmcnt(10)
	v_pk_fma_f32 v[20:21], v[6:7], v[30:31], v[18:19] op_sel:[0,0,1] op_sel_hi:[1,1,0] neg_lo:[0,0,1] neg_hi:[0,0,1]
	v_pk_fma_f32 v[6:7], v[6:7], v[30:31], v[18:19] op_sel:[0,0,1] op_sel_hi:[1,0,0]
	s_waitcnt vmcnt(9)
	v_mov_b32_e32 v6, v33
	v_mov_b32_e32 v21, v7
	s_waitcnt lgkmcnt(2)
	v_pk_mul_f32 v[6:7], v[8:9], v[6:7] op_sel_hi:[1,0]
	s_waitcnt vmcnt(8)
	v_pk_fma_f32 v[18:19], v[8:9], v[32:33], v[6:7] op_sel:[0,0,1] op_sel_hi:[1,1,0] neg_lo:[0,0,1] neg_hi:[0,0,1]
	v_pk_fma_f32 v[6:7], v[8:9], v[32:33], v[6:7] op_sel:[0,0,1] op_sel_hi:[1,0,0]
	s_waitcnt vmcnt(7)
	v_mov_b32_e32 v6, v35
	v_mov_b32_e32 v19, v7
	v_pk_mul_f32 v[6:7], v[10:11], v[6:7] op_sel_hi:[1,0]
	s_waitcnt vmcnt(6)
	v_pk_fma_f32 v[8:9], v[10:11], v[34:35], v[6:7] op_sel:[0,0,1] op_sel_hi:[1,1,0] neg_lo:[0,0,1] neg_hi:[0,0,1]
	v_pk_fma_f32 v[6:7], v[10:11], v[34:35], v[6:7] op_sel:[0,0,1] op_sel_hi:[1,0,0]
	v_pk_add_f32 v[4:5], v[4:5], v[20:21]
	s_waitcnt vmcnt(5)
	v_mov_b32_e32 v6, v37
	v_pk_add_f32 v[4:5], v[4:5], v[18:19]
	v_mov_b32_e32 v9, v7
	s_waitcnt lgkmcnt(1)
	v_pk_mul_f32 v[6:7], v[12:13], v[6:7] op_sel_hi:[1,0]
	v_pk_add_f32 v[4:5], v[4:5], v[8:9]
	s_waitcnt vmcnt(4)
	v_pk_fma_f32 v[8:9], v[12:13], v[36:37], v[6:7] op_sel:[0,0,1] op_sel_hi:[1,1,0] neg_lo:[0,0,1] neg_hi:[0,0,1]
	v_pk_fma_f32 v[6:7], v[12:13], v[36:37], v[6:7] op_sel:[0,0,1] op_sel_hi:[1,0,0]
	s_waitcnt vmcnt(3)
	v_mov_b32_e32 v6, v39
	v_mov_b32_e32 v9, v7
	v_pk_mul_f32 v[6:7], v[14:15], v[6:7] op_sel_hi:[1,0]
	v_pk_add_f32 v[4:5], v[4:5], v[8:9]
	s_waitcnt vmcnt(2)
	v_pk_fma_f32 v[8:9], v[14:15], v[38:39], v[6:7] op_sel:[0,0,1] op_sel_hi:[1,1,0] neg_lo:[0,0,1] neg_hi:[0,0,1]
	v_pk_fma_f32 v[6:7], v[14:15], v[38:39], v[6:7] op_sel:[0,0,1] op_sel_hi:[1,0,0]
	s_waitcnt vmcnt(1)
	v_mov_b32_e32 v6, v41
	v_mov_b32_e32 v9, v7
	s_waitcnt lgkmcnt(0)
	v_pk_mul_f32 v[6:7], v[16:17], v[6:7] op_sel_hi:[1,0]
	v_pk_add_f32 v[4:5], v[4:5], v[8:9]
	s_waitcnt vmcnt(0)
	v_pk_fma_f32 v[8:9], v[16:17], v[40:41], v[6:7] op_sel:[0,0,1] op_sel_hi:[1,1,0] neg_lo:[0,0,1] neg_hi:[0,0,1]
	v_pk_fma_f32 v[6:7], v[16:17], v[40:41], v[6:7] op_sel:[0,0,1] op_sel_hi:[1,0,0]
	v_mov_b32_e32 v9, v7
	v_pk_add_f32 v[4:5], v[4:5], v[8:9]
	v_pk_add_f32 v[2:3], v[2:3], v[4:5] neg_lo:[0,1] neg_hi:[0,1]
	buffer_store_dword v3, off, s[0:3], 0 offset:292
	buffer_store_dword v2, off, s[0:3], 0 offset:288
	s_and_saveexec_b64 s[4:5], vcc
	s_cbranch_execz .LBB51_255
; %bb.254:
	buffer_load_dword v2, off, s[0:3], 0 offset:280
	buffer_load_dword v3, off, s[0:3], 0 offset:284
	s_waitcnt vmcnt(0)
	ds_write_b64 v129, v[2:3]
	buffer_store_dword v1, off, s[0:3], 0 offset:280
	buffer_store_dword v1, off, s[0:3], 0 offset:284
.LBB51_255:
	s_or_b64 exec, exec, s[4:5]
	s_waitcnt lgkmcnt(0)
	; wave barrier
	s_waitcnt lgkmcnt(0)
	ds_read_b128 v[4:7], v1 offset:704
	ds_read_b128 v[8:11], v1 offset:720
	;; [unrolled: 1-line block ×4, first 2 shown]
	buffer_load_dword v2, off, s[0:3], 0 offset:280
	buffer_load_dword v3, off, s[0:3], 0 offset:284
	;; [unrolled: 1-line block ×20, first 2 shown]
	v_cmp_lt_u32_e32 vcc, 34, v0
	s_waitcnt vmcnt(16) lgkmcnt(3)
	v_mul_f32_e32 v20, v4, v26
	v_fmac_f32_e32 v20, v5, v24
	s_waitcnt vmcnt(14)
	v_mul_f32_e32 v21, v6, v46
	v_add_f32_e32 v20, 0, v20
	v_fmac_f32_e32 v21, v7, v28
	v_add_f32_e32 v20, v20, v21
	s_waitcnt vmcnt(12) lgkmcnt(2)
	v_mul_f32_e32 v21, v8, v48
	v_fmac_f32_e32 v21, v9, v47
	v_add_f32_e32 v20, v20, v21
	s_waitcnt vmcnt(10)
	v_mul_f32_e32 v21, v10, v50
	v_fmac_f32_e32 v21, v11, v49
	v_add_f32_e32 v20, v20, v21
	s_waitcnt vmcnt(8) lgkmcnt(1)
	v_mul_f32_e32 v21, v12, v52
	v_fmac_f32_e32 v21, v13, v51
	v_add_f32_e32 v20, v20, v21
	s_waitcnt vmcnt(6)
	v_mul_f32_e32 v21, v14, v54
	v_fmac_f32_e32 v21, v15, v53
	v_add_f32_e32 v25, v20, v21
	ds_read_b128 v[20:23], v1 offset:768
	buffer_load_dword v33, off, s[0:3], 0 offset:364
	buffer_load_dword v32, off, s[0:3], 0 offset:360
	;; [unrolled: 1-line block ×14, first 2 shown]
	v_mul_f32_e32 v5, v5, v26
	v_fma_f32 v4, v4, v24, -v5
	v_mul_f32_e32 v5, v7, v46
	v_add_f32_e32 v4, 0, v4
	v_fma_f32 v5, v6, v28, -v5
	v_add_f32_e32 v4, v4, v5
	v_mul_f32_e32 v5, v9, v48
	v_fma_f32 v5, v8, v47, -v5
	v_add_f32_e32 v4, v4, v5
	v_mul_f32_e32 v5, v11, v50
	;; [unrolled: 3-line block ×4, first 2 shown]
	v_fma_f32 v5, v14, v53, -v5
	v_add_f32_e32 v24, v4, v5
	s_waitcnt vmcnt(18) lgkmcnt(1)
	v_mul_f32_e32 v4, v17, v56
	v_fma_f32 v26, v16, v55, -v4
	s_waitcnt vmcnt(16)
	v_mul_f32_e32 v4, v19, v58
	v_mul_f32_e32 v27, v16, v56
	;; [unrolled: 1-line block ×3, first 2 shown]
	v_fma_f32 v28, v18, v57, -v4
	s_waitcnt vmcnt(15)
	v_mov_b32_e32 v18, v31
	v_fmac_f32_e32 v27, v17, v55
	v_fmac_f32_e32 v29, v19, v57
	s_waitcnt lgkmcnt(0)
	v_pk_mul_f32 v[18:19], v[20:21], v[18:19] op_sel_hi:[1,0]
	v_pk_add_f32 v[16:17], v[24:25], v[26:27]
	s_waitcnt vmcnt(14)
	v_pk_fma_f32 v[24:25], v[20:21], v[30:31], v[18:19] op_sel:[0,0,1] op_sel_hi:[1,1,0] neg_lo:[0,0,1] neg_hi:[0,0,1]
	v_pk_fma_f32 v[18:19], v[20:21], v[30:31], v[18:19] op_sel:[0,0,1] op_sel_hi:[1,0,0]
	ds_read_b128 v[4:7], v1 offset:784
	ds_read_b128 v[8:11], v1 offset:800
	;; [unrolled: 1-line block ×3, first 2 shown]
	v_mov_b32_e32 v25, v19
	v_pk_add_f32 v[16:17], v[16:17], v[28:29]
	v_pk_add_f32 v[16:17], v[16:17], v[24:25]
	s_waitcnt vmcnt(13)
	v_mov_b32_e32 v18, v33
	v_pk_mul_f32 v[18:19], v[22:23], v[18:19] op_sel_hi:[1,0]
	s_waitcnt vmcnt(12)
	v_pk_fma_f32 v[20:21], v[22:23], v[32:33], v[18:19] op_sel:[0,0,1] op_sel_hi:[1,1,0] neg_lo:[0,0,1] neg_hi:[0,0,1]
	v_pk_fma_f32 v[18:19], v[22:23], v[32:33], v[18:19] op_sel:[0,0,1] op_sel_hi:[1,0,0]
	s_waitcnt vmcnt(11)
	v_mov_b32_e32 v18, v35
	v_mov_b32_e32 v21, v19
	s_waitcnt lgkmcnt(2)
	v_pk_mul_f32 v[18:19], v[4:5], v[18:19] op_sel_hi:[1,0]
	v_pk_add_f32 v[16:17], v[16:17], v[20:21]
	s_waitcnt vmcnt(10)
	v_pk_fma_f32 v[20:21], v[4:5], v[34:35], v[18:19] op_sel:[0,0,1] op_sel_hi:[1,1,0] neg_lo:[0,0,1] neg_hi:[0,0,1]
	v_pk_fma_f32 v[4:5], v[4:5], v[34:35], v[18:19] op_sel:[0,0,1] op_sel_hi:[1,0,0]
	v_mov_b32_e32 v21, v5
	v_pk_add_f32 v[4:5], v[16:17], v[20:21]
	s_waitcnt vmcnt(9)
	v_mov_b32_e32 v16, v37
	v_pk_mul_f32 v[16:17], v[6:7], v[16:17] op_sel_hi:[1,0]
	s_waitcnt vmcnt(8)
	v_pk_fma_f32 v[18:19], v[6:7], v[36:37], v[16:17] op_sel:[0,0,1] op_sel_hi:[1,1,0] neg_lo:[0,0,1] neg_hi:[0,0,1]
	v_pk_fma_f32 v[6:7], v[6:7], v[36:37], v[16:17] op_sel:[0,0,1] op_sel_hi:[1,0,0]
	s_waitcnt vmcnt(7)
	v_mov_b32_e32 v6, v39
	v_mov_b32_e32 v19, v7
	s_waitcnt lgkmcnt(1)
	v_pk_mul_f32 v[6:7], v[8:9], v[6:7] op_sel_hi:[1,0]
	s_waitcnt vmcnt(6)
	v_pk_fma_f32 v[16:17], v[8:9], v[38:39], v[6:7] op_sel:[0,0,1] op_sel_hi:[1,1,0] neg_lo:[0,0,1] neg_hi:[0,0,1]
	v_pk_fma_f32 v[6:7], v[8:9], v[38:39], v[6:7] op_sel:[0,0,1] op_sel_hi:[1,0,0]
	s_waitcnt vmcnt(5)
	v_mov_b32_e32 v6, v41
	v_mov_b32_e32 v17, v7
	v_pk_mul_f32 v[6:7], v[10:11], v[6:7] op_sel_hi:[1,0]
	s_waitcnt vmcnt(4)
	v_pk_fma_f32 v[8:9], v[10:11], v[40:41], v[6:7] op_sel:[0,0,1] op_sel_hi:[1,1,0] neg_lo:[0,0,1] neg_hi:[0,0,1]
	v_pk_fma_f32 v[6:7], v[10:11], v[40:41], v[6:7] op_sel:[0,0,1] op_sel_hi:[1,0,0]
	v_pk_add_f32 v[4:5], v[4:5], v[18:19]
	s_waitcnt vmcnt(3)
	v_mov_b32_e32 v6, v43
	v_pk_add_f32 v[4:5], v[4:5], v[16:17]
	v_mov_b32_e32 v9, v7
	s_waitcnt lgkmcnt(0)
	v_pk_mul_f32 v[6:7], v[12:13], v[6:7] op_sel_hi:[1,0]
	v_pk_add_f32 v[4:5], v[4:5], v[8:9]
	s_waitcnt vmcnt(2)
	v_pk_fma_f32 v[8:9], v[12:13], v[42:43], v[6:7] op_sel:[0,0,1] op_sel_hi:[1,1,0] neg_lo:[0,0,1] neg_hi:[0,0,1]
	v_pk_fma_f32 v[6:7], v[12:13], v[42:43], v[6:7] op_sel:[0,0,1] op_sel_hi:[1,0,0]
	s_waitcnt vmcnt(1)
	v_mov_b32_e32 v6, v45
	v_mov_b32_e32 v9, v7
	v_pk_mul_f32 v[6:7], v[14:15], v[6:7] op_sel_hi:[1,0]
	v_pk_add_f32 v[4:5], v[4:5], v[8:9]
	s_waitcnt vmcnt(0)
	v_pk_fma_f32 v[8:9], v[14:15], v[44:45], v[6:7] op_sel:[0,0,1] op_sel_hi:[1,1,0] neg_lo:[0,0,1] neg_hi:[0,0,1]
	v_pk_fma_f32 v[6:7], v[14:15], v[44:45], v[6:7] op_sel:[0,0,1] op_sel_hi:[1,0,0]
	v_mov_b32_e32 v9, v7
	v_pk_add_f32 v[4:5], v[4:5], v[8:9]
	v_pk_add_f32 v[2:3], v[2:3], v[4:5] neg_lo:[0,1] neg_hi:[0,1]
	buffer_store_dword v3, off, s[0:3], 0 offset:284
	buffer_store_dword v2, off, s[0:3], 0 offset:280
	s_and_saveexec_b64 s[4:5], vcc
	s_cbranch_execz .LBB51_257
; %bb.256:
	buffer_load_dword v2, off, s[0:3], 0 offset:272
	buffer_load_dword v3, off, s[0:3], 0 offset:276
	v_mov_b32_e32 v1, 0
	buffer_store_dword v1, off, s[0:3], 0 offset:272
	buffer_store_dword v1, off, s[0:3], 0 offset:276
	s_waitcnt vmcnt(2)
	ds_write_b64 v129, v[2:3]
.LBB51_257:
	s_or_b64 exec, exec, s[4:5]
	v_mov_b32_e32 v1, 0
	s_waitcnt lgkmcnt(0)
	; wave barrier
	s_waitcnt lgkmcnt(0)
	ds_read2_b64 v[4:7], v1 offset0:87 offset1:88
	buffer_load_dword v2, off, s[0:3], 0 offset:272
	buffer_load_dword v3, off, s[0:3], 0 offset:276
	;; [unrolled: 1-line block ×16, first 2 shown]
	v_cmp_lt_u32_e32 vcc, 33, v0
	s_waitcnt vmcnt(12) lgkmcnt(0)
	v_mul_f32_e32 v8, v4, v26
	v_fmac_f32_e32 v8, v5, v24
	s_waitcnt vmcnt(10)
	v_mul_f32_e32 v9, v6, v46
	v_add_f32_e32 v8, 0, v8
	v_fmac_f32_e32 v9, v7, v28
	v_add_f32_e32 v12, v8, v9
	ds_read2_b64 v[8:11], v1 offset0:89 offset1:90
	v_mul_f32_e32 v5, v5, v26
	v_fma_f32 v4, v4, v24, -v5
	v_mul_f32_e32 v5, v7, v46
	v_add_f32_e32 v4, 0, v4
	s_waitcnt vmcnt(8) lgkmcnt(0)
	v_mul_f32_e32 v13, v8, v48
	v_fmac_f32_e32 v13, v9, v47
	v_add_f32_e32 v12, v12, v13
	s_waitcnt vmcnt(6)
	v_mul_f32_e32 v13, v10, v50
	v_fmac_f32_e32 v13, v11, v49
	v_add_f32_e32 v16, v12, v13
	ds_read2_b64 v[12:15], v1 offset0:91 offset1:92
	v_fma_f32 v5, v6, v28, -v5
	v_add_f32_e32 v4, v4, v5
	v_mul_f32_e32 v5, v9, v48
	v_fma_f32 v5, v8, v47, -v5
	s_waitcnt vmcnt(4) lgkmcnt(0)
	v_mul_f32_e32 v17, v12, v52
	v_fmac_f32_e32 v17, v13, v51
	v_add_f32_e32 v16, v16, v17
	s_waitcnt vmcnt(2)
	v_mul_f32_e32 v17, v14, v54
	v_fmac_f32_e32 v17, v15, v53
	v_add_f32_e32 v20, v16, v17
	ds_read2_b64 v[16:19], v1 offset0:93 offset1:94
	buffer_load_dword v57, off, s[0:3], 0 offset:336
	buffer_load_dword v58, off, s[0:3], 0 offset:340
	v_add_f32_e32 v4, v4, v5
	v_mul_f32_e32 v5, v11, v50
	v_fma_f32 v5, v10, v49, -v5
	s_waitcnt vmcnt(2) lgkmcnt(0)
	v_mul_f32_e32 v21, v16, v56
	v_fmac_f32_e32 v21, v17, v55
	v_add_f32_e32 v25, v20, v21
	ds_read2_b64 v[20:23], v1 offset0:95 offset1:96
	buffer_load_dword v59, off, s[0:3], 0 offset:344
	buffer_load_dword v60, off, s[0:3], 0 offset:348
	;; [unrolled: 1-line block ×18, first 2 shown]
	v_add_f32_e32 v4, v4, v5
	v_mul_f32_e32 v5, v13, v52
	v_fma_f32 v5, v12, v51, -v5
	v_add_f32_e32 v4, v4, v5
	v_mul_f32_e32 v5, v15, v54
	v_fma_f32 v5, v14, v53, -v5
	;; [unrolled: 3-line block ×3, first 2 shown]
	v_add_f32_e32 v24, v4, v5
	s_waitcnt vmcnt(18)
	v_mul_f32_e32 v4, v19, v58
	v_fma_f32 v26, v18, v57, -v4
	v_mul_f32_e32 v27, v18, v58
	v_fmac_f32_e32 v27, v19, v57
	v_pk_add_f32 v[18:19], v[24:25], v[26:27]
	s_waitcnt vmcnt(16) lgkmcnt(0)
	v_mul_f32_e32 v4, v21, v60
	v_mul_f32_e32 v29, v20, v60
	v_fma_f32 v28, v20, v59, -v4
	s_waitcnt vmcnt(15)
	v_mov_b32_e32 v20, v31
	v_fmac_f32_e32 v29, v21, v59
	v_pk_mul_f32 v[20:21], v[22:23], v[20:21] op_sel_hi:[1,0]
	ds_read2_b64 v[4:7], v1 offset0:97 offset1:98
	ds_read2_b64 v[8:11], v1 offset0:99 offset1:100
	;; [unrolled: 1-line block ×3, first 2 shown]
	ds_read_b64 v[16:17], v1 offset:824
	s_waitcnt vmcnt(14)
	v_pk_fma_f32 v[24:25], v[22:23], v[30:31], v[20:21] op_sel:[0,0,1] op_sel_hi:[1,1,0] neg_lo:[0,0,1] neg_hi:[0,0,1]
	v_pk_fma_f32 v[20:21], v[22:23], v[30:31], v[20:21] op_sel:[0,0,1] op_sel_hi:[1,0,0]
	s_waitcnt vmcnt(13)
	v_mov_b32_e32 v20, v33
	v_mov_b32_e32 v25, v21
	s_waitcnt lgkmcnt(3)
	v_pk_mul_f32 v[20:21], v[4:5], v[20:21] op_sel_hi:[1,0]
	v_pk_add_f32 v[18:19], v[18:19], v[28:29]
	s_waitcnt vmcnt(12)
	v_pk_fma_f32 v[22:23], v[4:5], v[32:33], v[20:21] op_sel:[0,0,1] op_sel_hi:[1,1,0] neg_lo:[0,0,1] neg_hi:[0,0,1]
	v_pk_fma_f32 v[4:5], v[4:5], v[32:33], v[20:21] op_sel:[0,0,1] op_sel_hi:[1,0,0]
	v_pk_add_f32 v[18:19], v[18:19], v[24:25]
	v_mov_b32_e32 v23, v5
	v_pk_add_f32 v[4:5], v[18:19], v[22:23]
	s_waitcnt vmcnt(11)
	v_mov_b32_e32 v18, v35
	v_pk_mul_f32 v[18:19], v[6:7], v[18:19] op_sel_hi:[1,0]
	s_waitcnt vmcnt(10)
	v_pk_fma_f32 v[20:21], v[6:7], v[34:35], v[18:19] op_sel:[0,0,1] op_sel_hi:[1,1,0] neg_lo:[0,0,1] neg_hi:[0,0,1]
	v_pk_fma_f32 v[6:7], v[6:7], v[34:35], v[18:19] op_sel:[0,0,1] op_sel_hi:[1,0,0]
	s_waitcnt vmcnt(9)
	v_mov_b32_e32 v6, v37
	v_mov_b32_e32 v21, v7
	s_waitcnt lgkmcnt(2)
	v_pk_mul_f32 v[6:7], v[8:9], v[6:7] op_sel_hi:[1,0]
	s_waitcnt vmcnt(8)
	v_pk_fma_f32 v[18:19], v[8:9], v[36:37], v[6:7] op_sel:[0,0,1] op_sel_hi:[1,1,0] neg_lo:[0,0,1] neg_hi:[0,0,1]
	v_pk_fma_f32 v[6:7], v[8:9], v[36:37], v[6:7] op_sel:[0,0,1] op_sel_hi:[1,0,0]
	s_waitcnt vmcnt(7)
	v_mov_b32_e32 v6, v39
	v_mov_b32_e32 v19, v7
	v_pk_mul_f32 v[6:7], v[10:11], v[6:7] op_sel_hi:[1,0]
	s_waitcnt vmcnt(6)
	v_pk_fma_f32 v[8:9], v[10:11], v[38:39], v[6:7] op_sel:[0,0,1] op_sel_hi:[1,1,0] neg_lo:[0,0,1] neg_hi:[0,0,1]
	v_pk_fma_f32 v[6:7], v[10:11], v[38:39], v[6:7] op_sel:[0,0,1] op_sel_hi:[1,0,0]
	v_pk_add_f32 v[4:5], v[4:5], v[20:21]
	s_waitcnt vmcnt(5)
	v_mov_b32_e32 v6, v41
	v_pk_add_f32 v[4:5], v[4:5], v[18:19]
	v_mov_b32_e32 v9, v7
	s_waitcnt lgkmcnt(1)
	v_pk_mul_f32 v[6:7], v[12:13], v[6:7] op_sel_hi:[1,0]
	v_pk_add_f32 v[4:5], v[4:5], v[8:9]
	s_waitcnt vmcnt(4)
	v_pk_fma_f32 v[8:9], v[12:13], v[40:41], v[6:7] op_sel:[0,0,1] op_sel_hi:[1,1,0] neg_lo:[0,0,1] neg_hi:[0,0,1]
	v_pk_fma_f32 v[6:7], v[12:13], v[40:41], v[6:7] op_sel:[0,0,1] op_sel_hi:[1,0,0]
	s_waitcnt vmcnt(3)
	v_mov_b32_e32 v6, v43
	v_mov_b32_e32 v9, v7
	v_pk_mul_f32 v[6:7], v[14:15], v[6:7] op_sel_hi:[1,0]
	v_pk_add_f32 v[4:5], v[4:5], v[8:9]
	s_waitcnt vmcnt(2)
	v_pk_fma_f32 v[8:9], v[14:15], v[42:43], v[6:7] op_sel:[0,0,1] op_sel_hi:[1,1,0] neg_lo:[0,0,1] neg_hi:[0,0,1]
	v_pk_fma_f32 v[6:7], v[14:15], v[42:43], v[6:7] op_sel:[0,0,1] op_sel_hi:[1,0,0]
	s_waitcnt vmcnt(1)
	v_mov_b32_e32 v6, v45
	v_mov_b32_e32 v9, v7
	s_waitcnt lgkmcnt(0)
	v_pk_mul_f32 v[6:7], v[16:17], v[6:7] op_sel_hi:[1,0]
	v_pk_add_f32 v[4:5], v[4:5], v[8:9]
	s_waitcnt vmcnt(0)
	v_pk_fma_f32 v[8:9], v[16:17], v[44:45], v[6:7] op_sel:[0,0,1] op_sel_hi:[1,1,0] neg_lo:[0,0,1] neg_hi:[0,0,1]
	v_pk_fma_f32 v[6:7], v[16:17], v[44:45], v[6:7] op_sel:[0,0,1] op_sel_hi:[1,0,0]
	v_mov_b32_e32 v9, v7
	v_pk_add_f32 v[4:5], v[4:5], v[8:9]
	v_pk_add_f32 v[2:3], v[2:3], v[4:5] neg_lo:[0,1] neg_hi:[0,1]
	buffer_store_dword v3, off, s[0:3], 0 offset:276
	buffer_store_dword v2, off, s[0:3], 0 offset:272
	s_and_saveexec_b64 s[4:5], vcc
	s_cbranch_execz .LBB51_259
; %bb.258:
	buffer_load_dword v2, off, s[0:3], 0 offset:264
	buffer_load_dword v3, off, s[0:3], 0 offset:268
	s_waitcnt vmcnt(0)
	ds_write_b64 v129, v[2:3]
	buffer_store_dword v1, off, s[0:3], 0 offset:264
	buffer_store_dword v1, off, s[0:3], 0 offset:268
.LBB51_259:
	s_or_b64 exec, exec, s[4:5]
	s_waitcnt lgkmcnt(0)
	; wave barrier
	s_waitcnt lgkmcnt(0)
	buffer_load_dword v44, off, s[0:3], 0 offset:276
	buffer_load_dword v46, off, s[0:3], 0 offset:284
	;; [unrolled: 1-line block ×22, first 2 shown]
	ds_read_b128 v[2:5], v1 offset:688
	ds_read_b128 v[6:9], v1 offset:704
	buffer_load_dword v29, off, s[0:3], 0 offset:356
	buffer_load_dword v28, off, s[0:3], 0 offset:352
	;; [unrolled: 1-line block ×10, first 2 shown]
	ds_read_b128 v[10:13], v1 offset:720
	ds_read_b128 v[14:17], v1 offset:736
	;; [unrolled: 1-line block ×4, first 2 shown]
	buffer_load_dword v39, off, s[0:3], 0 offset:412
	buffer_load_dword v38, off, s[0:3], 0 offset:408
	buffer_load_dword v41, off, s[0:3], 0 offset:404
	buffer_load_dword v40, off, s[0:3], 0 offset:400
	buffer_load_dword v43, off, s[0:3], 0 offset:396
	buffer_load_dword v42, off, s[0:3], 0 offset:392
	v_cmp_lt_u32_e32 vcc, 32, v0
	s_waitcnt vmcnt(37) lgkmcnt(5)
	v_mul_f32_e32 v66, v2, v44
	s_waitcnt vmcnt(36)
	v_mul_f32_e32 v67, v4, v46
	s_waitcnt vmcnt(35) lgkmcnt(4)
	v_mul_f32_e32 v68, v6, v48
	v_mul_f32_e32 v44, v3, v44
	;; [unrolled: 1-line block ×4, first 2 shown]
	s_waitcnt vmcnt(34)
	v_mul_f32_e32 v69, v8, v49
	s_waitcnt vmcnt(33) lgkmcnt(3)
	v_mul_f32_e32 v70, v10, v50
	s_waitcnt vmcnt(32)
	v_mul_f32_e32 v71, v12, v51
	s_waitcnt vmcnt(31) lgkmcnt(2)
	v_mul_f32_e32 v72, v14, v52
	s_waitcnt vmcnt(27)
	v_fmac_f32_e32 v66, v3, v56
	s_waitcnt vmcnt(26)
	v_fmac_f32_e32 v67, v5, v57
	;; [unrolled: 2-line block ×3, first 2 shown]
	v_fma_f32 v2, v2, v56, -v44
	v_add_f32_e32 v7, 0, v66
	v_fma_f32 v3, v4, v57, -v46
	v_add_f32_e32 v2, 0, v2
	v_add_f32_e32 v7, v7, v67
	s_waitcnt vmcnt(24)
	v_fmac_f32_e32 v69, v9, v59
	v_add_f32_e32 v2, v2, v3
	v_add_f32_e32 v3, v7, v68
	s_waitcnt vmcnt(23)
	v_fmac_f32_e32 v70, v11, v60
	v_add_f32_e32 v3, v3, v69
	v_mul_f32_e32 v49, v9, v49
	s_waitcnt vmcnt(22)
	v_fmac_f32_e32 v71, v13, v61
	v_fma_f32 v4, v6, v58, -v48
	v_add_f32_e32 v3, v3, v70
	v_mul_f32_e32 v73, v16, v53
	v_mul_f32_e32 v50, v11, v50
	s_waitcnt vmcnt(21)
	v_fmac_f32_e32 v72, v15, v62
	v_fma_f32 v5, v8, v59, -v49
	v_add_f32_e32 v2, v2, v4
	v_add_f32_e32 v3, v3, v71
	v_mul_f32_e32 v51, v13, v51
	s_waitcnt vmcnt(20)
	v_fmac_f32_e32 v73, v17, v63
	v_fma_f32 v6, v10, v60, -v50
	v_add_f32_e32 v2, v2, v5
	v_add_f32_e32 v3, v3, v72
	;; [unrolled: 1-line block ×4, first 2 shown]
	v_fma_f32 v3, v12, v61, -v51
	v_add_f32_e32 v2, v2, v3
	v_mul_f32_e32 v3, v15, v52
	v_fma_f32 v3, v14, v62, -v3
	v_add_f32_e32 v2, v2, v3
	v_mul_f32_e32 v3, v17, v53
	v_fma_f32 v3, v16, v63, -v3
	s_waitcnt vmcnt(15)
	v_mov_b32_e32 v16, v29
	s_waitcnt lgkmcnt(1)
	v_mul_f32_e32 v45, v18, v54
	v_add_f32_e32 v48, v2, v3
	v_mul_f32_e32 v2, v19, v54
	s_waitcnt lgkmcnt(0)
	v_pk_mul_f32 v[16:17], v[22:23], v[16:17] op_sel_hi:[1,0]
	v_mul_f32_e32 v47, v20, v55
	v_fmac_f32_e32 v45, v19, v64
	v_fma_f32 v44, v18, v64, -v2
	v_mul_f32_e32 v2, v21, v55
	s_waitcnt vmcnt(14)
	v_pk_fma_f32 v[18:19], v[22:23], v[28:29], v[16:17] op_sel:[0,0,1] op_sel_hi:[1,1,0] neg_lo:[0,0,1] neg_hi:[0,0,1]
	v_pk_fma_f32 v[16:17], v[22:23], v[28:29], v[16:17] op_sel:[0,0,1] op_sel_hi:[1,0,0]
	v_fmac_f32_e32 v47, v21, v65
	v_fma_f32 v46, v20, v65, -v2
	v_pk_add_f32 v[14:15], v[48:49], v[44:45]
	s_waitcnt vmcnt(13)
	v_mov_b32_e32 v16, v31
	ds_read_b128 v[2:5], v1 offset:784
	ds_read_b128 v[6:9], v1 offset:800
	ds_read_b128 v[10:13], v1 offset:816
	v_pk_add_f32 v[14:15], v[14:15], v[46:47]
	v_mov_b32_e32 v19, v17
	v_pk_mul_f32 v[16:17], v[24:25], v[16:17] op_sel_hi:[1,0]
	v_pk_add_f32 v[14:15], v[14:15], v[18:19]
	s_waitcnt vmcnt(6)
	v_pk_fma_f32 v[18:19], v[24:25], v[30:31], v[16:17] op_sel:[0,0,1] op_sel_hi:[1,1,0] neg_lo:[0,0,1] neg_hi:[0,0,1]
	v_pk_fma_f32 v[16:17], v[24:25], v[30:31], v[16:17] op_sel:[0,0,1] op_sel_hi:[1,0,0]
	v_mov_b32_e32 v16, v37
	v_mov_b32_e32 v19, v17
	s_waitcnt lgkmcnt(2)
	v_pk_mul_f32 v[16:17], v[2:3], v[16:17] op_sel_hi:[1,0]
	v_pk_add_f32 v[14:15], v[14:15], v[18:19]
	v_pk_fma_f32 v[18:19], v[2:3], v[36:37], v[16:17] op_sel:[0,0,1] op_sel_hi:[1,1,0] neg_lo:[0,0,1] neg_hi:[0,0,1]
	v_pk_fma_f32 v[2:3], v[2:3], v[36:37], v[16:17] op_sel:[0,0,1] op_sel_hi:[1,0,0]
	v_mov_b32_e32 v19, v3
	v_pk_add_f32 v[2:3], v[14:15], v[18:19]
	v_mov_b32_e32 v14, v35
	v_pk_mul_f32 v[14:15], v[4:5], v[14:15] op_sel_hi:[1,0]
	v_pk_fma_f32 v[16:17], v[4:5], v[34:35], v[14:15] op_sel:[0,0,1] op_sel_hi:[1,1,0] neg_lo:[0,0,1] neg_hi:[0,0,1]
	v_pk_fma_f32 v[4:5], v[4:5], v[34:35], v[14:15] op_sel:[0,0,1] op_sel_hi:[1,0,0]
	v_mov_b32_e32 v4, v33
	v_mov_b32_e32 v17, v5
	s_waitcnt lgkmcnt(1)
	v_pk_mul_f32 v[4:5], v[6:7], v[4:5] op_sel_hi:[1,0]
	v_pk_fma_f32 v[14:15], v[6:7], v[32:33], v[4:5] op_sel:[0,0,1] op_sel_hi:[1,1,0] neg_lo:[0,0,1] neg_hi:[0,0,1]
	v_pk_fma_f32 v[4:5], v[6:7], v[32:33], v[4:5] op_sel:[0,0,1] op_sel_hi:[1,0,0]
	s_waitcnt vmcnt(1)
	v_mov_b32_e32 v4, v43
	v_mov_b32_e32 v15, v5
	v_pk_mul_f32 v[4:5], v[8:9], v[4:5] op_sel_hi:[1,0]
	s_waitcnt vmcnt(0)
	v_pk_fma_f32 v[6:7], v[8:9], v[42:43], v[4:5] op_sel:[0,0,1] op_sel_hi:[1,1,0] neg_lo:[0,0,1] neg_hi:[0,0,1]
	v_pk_fma_f32 v[4:5], v[8:9], v[42:43], v[4:5] op_sel:[0,0,1] op_sel_hi:[1,0,0]
	v_pk_add_f32 v[2:3], v[2:3], v[16:17]
	v_mov_b32_e32 v4, v41
	v_pk_add_f32 v[2:3], v[2:3], v[14:15]
	v_mov_b32_e32 v7, v5
	s_waitcnt lgkmcnt(0)
	v_pk_mul_f32 v[4:5], v[10:11], v[4:5] op_sel_hi:[1,0]
	v_pk_add_f32 v[2:3], v[2:3], v[6:7]
	v_pk_fma_f32 v[6:7], v[10:11], v[40:41], v[4:5] op_sel:[0,0,1] op_sel_hi:[1,1,0] neg_lo:[0,0,1] neg_hi:[0,0,1]
	v_pk_fma_f32 v[4:5], v[10:11], v[40:41], v[4:5] op_sel:[0,0,1] op_sel_hi:[1,0,0]
	v_mov_b32_e32 v4, v39
	v_mov_b32_e32 v7, v5
	v_pk_mul_f32 v[4:5], v[12:13], v[4:5] op_sel_hi:[1,0]
	v_pk_add_f32 v[2:3], v[2:3], v[6:7]
	v_pk_fma_f32 v[6:7], v[12:13], v[38:39], v[4:5] op_sel:[0,0,1] op_sel_hi:[1,1,0] neg_lo:[0,0,1] neg_hi:[0,0,1]
	v_pk_fma_f32 v[4:5], v[12:13], v[38:39], v[4:5] op_sel:[0,0,1] op_sel_hi:[1,0,0]
	v_mov_b32_e32 v7, v5
	v_pk_add_f32 v[2:3], v[2:3], v[6:7]
	v_pk_add_f32 v[2:3], v[26:27], v[2:3] neg_lo:[0,1] neg_hi:[0,1]
	buffer_store_dword v3, off, s[0:3], 0 offset:268
	buffer_store_dword v2, off, s[0:3], 0 offset:264
	s_and_saveexec_b64 s[4:5], vcc
	s_cbranch_execz .LBB51_261
; %bb.260:
	buffer_load_dword v2, off, s[0:3], 0 offset:256
	buffer_load_dword v3, off, s[0:3], 0 offset:260
	v_mov_b32_e32 v1, 0
	buffer_store_dword v1, off, s[0:3], 0 offset:256
	buffer_store_dword v1, off, s[0:3], 0 offset:260
	s_waitcnt vmcnt(2)
	ds_write_b64 v129, v[2:3]
.LBB51_261:
	s_or_b64 exec, exec, s[4:5]
	s_waitcnt lgkmcnt(0)
	; wave barrier
	s_waitcnt lgkmcnt(0)
	buffer_load_dword v44, off, s[0:3], 0 offset:268
	buffer_load_dword v46, off, s[0:3], 0 offset:276
	;; [unrolled: 1-line block ×40, first 2 shown]
	v_mov_b32_e32 v1, 0
	ds_read2_b64 v[2:5], v1 offset0:85 offset1:86
	ds_read2_b64 v[6:9], v1 offset0:87 offset1:88
	;; [unrolled: 1-line block ×6, first 2 shown]
	v_cmp_lt_u32_e32 vcc, 31, v0
	s_waitcnt vmcnt(39) lgkmcnt(5)
	v_mul_f32_e32 v68, v2, v44
	s_waitcnt vmcnt(38)
	v_mul_f32_e32 v69, v4, v46
	s_waitcnt vmcnt(37) lgkmcnt(4)
	v_mul_f32_e32 v70, v6, v48
	v_mul_f32_e32 v44, v3, v44
	;; [unrolled: 1-line block ×4, first 2 shown]
	s_waitcnt vmcnt(36)
	v_mul_f32_e32 v71, v8, v49
	s_waitcnt vmcnt(35) lgkmcnt(3)
	v_mul_f32_e32 v72, v10, v50
	s_waitcnt vmcnt(34)
	v_mul_f32_e32 v73, v12, v51
	s_waitcnt vmcnt(33) lgkmcnt(2)
	v_mul_f32_e32 v74, v14, v52
	s_waitcnt vmcnt(32)
	v_mul_f32_e32 v75, v16, v53
	s_waitcnt vmcnt(28)
	v_fmac_f32_e32 v68, v3, v57
	s_waitcnt vmcnt(27)
	v_fmac_f32_e32 v69, v5, v58
	v_fma_f32 v2, v2, v57, -v44
	v_fma_f32 v3, v4, v58, -v46
	s_waitcnt vmcnt(26)
	v_fma_f32 v4, v6, v59, -v48
	v_add_f32_e32 v6, 0, v68
	v_fmac_f32_e32 v70, v7, v59
	v_add_f32_e32 v2, 0, v2
	v_add_f32_e32 v6, v6, v69
	s_waitcnt vmcnt(25)
	v_fmac_f32_e32 v71, v9, v60
	v_add_f32_e32 v2, v2, v3
	v_add_f32_e32 v3, v6, v70
	s_waitcnt vmcnt(24)
	v_fmac_f32_e32 v72, v11, v61
	v_add_f32_e32 v3, v3, v71
	s_waitcnt vmcnt(23)
	v_fmac_f32_e32 v73, v13, v62
	;; [unrolled: 3-line block ×3, first 2 shown]
	v_add_f32_e32 v3, v3, v73
	s_waitcnt lgkmcnt(1)
	v_mul_f32_e32 v76, v18, v54
	s_waitcnt vmcnt(21)
	v_fmac_f32_e32 v75, v17, v64
	v_add_f32_e32 v3, v3, v74
	v_mul_f32_e32 v49, v9, v49
	s_waitcnt vmcnt(20)
	v_fmac_f32_e32 v76, v19, v65
	v_add_f32_e32 v3, v3, v75
	v_fma_f32 v5, v8, v60, -v49
	v_add_f32_e32 v2, v2, v4
	v_add_f32_e32 v49, v3, v76
	v_mul_f32_e32 v3, v11, v50
	v_add_f32_e32 v2, v2, v5
	v_fma_f32 v3, v10, v61, -v3
	v_add_f32_e32 v2, v2, v3
	v_mul_f32_e32 v3, v13, v51
	v_fma_f32 v3, v12, v62, -v3
	v_add_f32_e32 v2, v2, v3
	v_mul_f32_e32 v3, v15, v52
	;; [unrolled: 3-line block ×5, first 2 shown]
	s_waitcnt vmcnt(9)
	v_mov_b32_e32 v18, v35
	v_mul_f32_e32 v45, v20, v55
	v_fma_f32 v44, v20, v66, -v2
	s_waitcnt lgkmcnt(0)
	v_mul_f32_e32 v2, v23, v56
	v_pk_mul_f32 v[18:19], v[24:25], v[18:19] op_sel_hi:[1,0]
	v_mul_f32_e32 v47, v22, v56
	v_fmac_f32_e32 v45, v21, v66
	v_fma_f32 v46, v22, v67, -v2
	ds_read2_b64 v[2:5], v1 offset0:97 offset1:98
	ds_read2_b64 v[6:9], v1 offset0:99 offset1:100
	;; [unrolled: 1-line block ×3, first 2 shown]
	ds_read_b64 v[14:15], v1 offset:824
	s_waitcnt vmcnt(8)
	v_pk_fma_f32 v[20:21], v[24:25], v[34:35], v[18:19] op_sel:[0,0,1] op_sel_hi:[1,1,0] neg_lo:[0,0,1] neg_hi:[0,0,1]
	v_pk_fma_f32 v[18:19], v[24:25], v[34:35], v[18:19] op_sel:[0,0,1] op_sel_hi:[1,0,0]
	v_fmac_f32_e32 v47, v23, v67
	v_pk_add_f32 v[16:17], v[48:49], v[44:45]
	v_mov_b32_e32 v18, v33
	v_pk_add_f32 v[16:17], v[16:17], v[46:47]
	v_mov_b32_e32 v21, v19
	s_waitcnt lgkmcnt(3)
	v_pk_mul_f32 v[18:19], v[2:3], v[18:19] op_sel_hi:[1,0]
	v_pk_add_f32 v[16:17], v[16:17], v[20:21]
	v_pk_fma_f32 v[20:21], v[2:3], v[32:33], v[18:19] op_sel:[0,0,1] op_sel_hi:[1,1,0] neg_lo:[0,0,1] neg_hi:[0,0,1]
	v_pk_fma_f32 v[2:3], v[2:3], v[32:33], v[18:19] op_sel:[0,0,1] op_sel_hi:[1,0,0]
	v_mov_b32_e32 v21, v3
	v_pk_add_f32 v[2:3], v[16:17], v[20:21]
	v_mov_b32_e32 v16, v31
	v_pk_mul_f32 v[16:17], v[4:5], v[16:17] op_sel_hi:[1,0]
	v_pk_fma_f32 v[18:19], v[4:5], v[30:31], v[16:17] op_sel:[0,0,1] op_sel_hi:[1,1,0] neg_lo:[0,0,1] neg_hi:[0,0,1]
	v_pk_fma_f32 v[4:5], v[4:5], v[30:31], v[16:17] op_sel:[0,0,1] op_sel_hi:[1,0,0]
	v_mov_b32_e32 v4, v29
	v_mov_b32_e32 v19, v5
	s_waitcnt lgkmcnt(2)
	v_pk_mul_f32 v[4:5], v[6:7], v[4:5] op_sel_hi:[1,0]
	v_pk_fma_f32 v[16:17], v[6:7], v[28:29], v[4:5] op_sel:[0,0,1] op_sel_hi:[1,1,0] neg_lo:[0,0,1] neg_hi:[0,0,1]
	v_pk_fma_f32 v[4:5], v[6:7], v[28:29], v[4:5] op_sel:[0,0,1] op_sel_hi:[1,0,0]
	s_waitcnt vmcnt(1)
	v_mov_b32_e32 v4, v43
	v_mov_b32_e32 v17, v5
	v_pk_mul_f32 v[4:5], v[8:9], v[4:5] op_sel_hi:[1,0]
	s_waitcnt vmcnt(0)
	v_pk_fma_f32 v[6:7], v[8:9], v[42:43], v[4:5] op_sel:[0,0,1] op_sel_hi:[1,1,0] neg_lo:[0,0,1] neg_hi:[0,0,1]
	v_pk_fma_f32 v[4:5], v[8:9], v[42:43], v[4:5] op_sel:[0,0,1] op_sel_hi:[1,0,0]
	v_pk_add_f32 v[2:3], v[2:3], v[18:19]
	v_mov_b32_e32 v4, v41
	v_pk_add_f32 v[2:3], v[2:3], v[16:17]
	v_mov_b32_e32 v7, v5
	s_waitcnt lgkmcnt(1)
	v_pk_mul_f32 v[4:5], v[10:11], v[4:5] op_sel_hi:[1,0]
	v_pk_add_f32 v[2:3], v[2:3], v[6:7]
	v_pk_fma_f32 v[6:7], v[10:11], v[40:41], v[4:5] op_sel:[0,0,1] op_sel_hi:[1,1,0] neg_lo:[0,0,1] neg_hi:[0,0,1]
	v_pk_fma_f32 v[4:5], v[10:11], v[40:41], v[4:5] op_sel:[0,0,1] op_sel_hi:[1,0,0]
	v_mov_b32_e32 v4, v39
	v_mov_b32_e32 v7, v5
	v_pk_mul_f32 v[4:5], v[12:13], v[4:5] op_sel_hi:[1,0]
	v_pk_add_f32 v[2:3], v[2:3], v[6:7]
	v_pk_fma_f32 v[6:7], v[12:13], v[38:39], v[4:5] op_sel:[0,0,1] op_sel_hi:[1,1,0] neg_lo:[0,0,1] neg_hi:[0,0,1]
	v_pk_fma_f32 v[4:5], v[12:13], v[38:39], v[4:5] op_sel:[0,0,1] op_sel_hi:[1,0,0]
	v_mov_b32_e32 v4, v37
	v_mov_b32_e32 v7, v5
	s_waitcnt lgkmcnt(0)
	v_pk_mul_f32 v[4:5], v[14:15], v[4:5] op_sel_hi:[1,0]
	v_pk_add_f32 v[2:3], v[2:3], v[6:7]
	v_pk_fma_f32 v[6:7], v[14:15], v[36:37], v[4:5] op_sel:[0,0,1] op_sel_hi:[1,1,0] neg_lo:[0,0,1] neg_hi:[0,0,1]
	v_pk_fma_f32 v[4:5], v[14:15], v[36:37], v[4:5] op_sel:[0,0,1] op_sel_hi:[1,0,0]
	v_mov_b32_e32 v7, v5
	v_pk_add_f32 v[2:3], v[2:3], v[6:7]
	v_pk_add_f32 v[2:3], v[26:27], v[2:3] neg_lo:[0,1] neg_hi:[0,1]
	buffer_store_dword v3, off, s[0:3], 0 offset:260
	buffer_store_dword v2, off, s[0:3], 0 offset:256
	s_and_saveexec_b64 s[4:5], vcc
	s_cbranch_execz .LBB51_263
; %bb.262:
	buffer_load_dword v2, off, s[0:3], 0 offset:248
	buffer_load_dword v3, off, s[0:3], 0 offset:252
	s_waitcnt vmcnt(0)
	ds_write_b64 v129, v[2:3]
	buffer_store_dword v1, off, s[0:3], 0 offset:248
	buffer_store_dword v1, off, s[0:3], 0 offset:252
.LBB51_263:
	s_or_b64 exec, exec, s[4:5]
	s_waitcnt lgkmcnt(0)
	; wave barrier
	s_waitcnt lgkmcnt(0)
	buffer_load_dword v44, off, s[0:3], 0 offset:260
	buffer_load_dword v46, off, s[0:3], 0 offset:268
	;; [unrolled: 1-line block ×26, first 2 shown]
	ds_read_b128 v[2:5], v1 offset:672
	ds_read_b128 v[6:9], v1 offset:688
	;; [unrolled: 1-line block ×6, first 2 shown]
	buffer_load_dword v29, off, s[0:3], 0 offset:372
	buffer_load_dword v28, off, s[0:3], 0 offset:368
	;; [unrolled: 1-line block ×16, first 2 shown]
	v_cmp_lt_u32_e32 vcc, 30, v0
	s_waitcnt vmcnt(41) lgkmcnt(5)
	v_mul_f32_e32 v70, v2, v44
	s_waitcnt vmcnt(40)
	v_mul_f32_e32 v71, v4, v46
	v_mul_f32_e32 v44, v3, v44
	s_waitcnt vmcnt(39) lgkmcnt(4)
	v_mul_f32_e32 v72, v6, v48
	v_mul_f32_e32 v46, v5, v46
	s_waitcnt vmcnt(38)
	v_mul_f32_e32 v73, v8, v50
	s_waitcnt vmcnt(37) lgkmcnt(3)
	v_mul_f32_e32 v74, v10, v51
	s_waitcnt vmcnt(36)
	v_mul_f32_e32 v75, v12, v52
	s_waitcnt vmcnt(35) lgkmcnt(2)
	;; [unrolled: 4-line block ×3, first 2 shown]
	v_mul_f32_e32 v78, v18, v55
	s_waitcnt vmcnt(32)
	v_mul_f32_e32 v79, v20, v56
	s_waitcnt vmcnt(29)
	v_fmac_f32_e32 v70, v3, v49
	s_waitcnt vmcnt(28)
	v_fmac_f32_e32 v71, v5, v59
	v_fma_f32 v2, v2, v49, -v44
	v_add_f32_e32 v5, 0, v70
	s_waitcnt vmcnt(27)
	v_fmac_f32_e32 v72, v7, v60
	v_fma_f32 v3, v4, v59, -v46
	v_add_f32_e32 v2, 0, v2
	v_add_f32_e32 v5, v5, v71
	s_waitcnt vmcnt(26)
	v_fmac_f32_e32 v73, v9, v61
	v_add_f32_e32 v2, v2, v3
	v_add_f32_e32 v3, v5, v72
	s_waitcnt vmcnt(25)
	v_fmac_f32_e32 v74, v11, v62
	v_add_f32_e32 v3, v3, v73
	s_waitcnt vmcnt(24)
	v_fmac_f32_e32 v75, v13, v63
	;; [unrolled: 3-line block ×5, first 2 shown]
	v_add_f32_e32 v3, v3, v77
	v_mul_f32_e32 v48, v7, v48
	s_waitcnt vmcnt(20)
	v_fmac_f32_e32 v79, v21, v67
	v_add_f32_e32 v3, v3, v78
	v_fma_f32 v4, v6, v60, -v48
	v_add_f32_e32 v49, v3, v79
	v_mul_f32_e32 v3, v9, v50
	v_add_f32_e32 v2, v2, v4
	v_fma_f32 v3, v8, v61, -v3
	v_add_f32_e32 v2, v2, v3
	v_mul_f32_e32 v3, v11, v51
	v_fma_f32 v3, v10, v62, -v3
	v_add_f32_e32 v2, v2, v3
	v_mul_f32_e32 v3, v13, v52
	;; [unrolled: 3-line block ×6, first 2 shown]
	v_fma_f32 v3, v20, v67, -v3
	v_add_f32_e32 v48, v2, v3
	s_waitcnt lgkmcnt(0)
	v_mul_f32_e32 v2, v23, v57
	s_waitcnt vmcnt(19)
	v_fma_f32 v44, v22, v68, -v2
	v_mul_f32_e32 v2, v25, v58
	s_waitcnt vmcnt(18)
	v_fma_f32 v46, v24, v69, -v2
	ds_read_b128 v[2:5], v1 offset:768
	ds_read_b128 v[6:9], v1 offset:784
	;; [unrolled: 1-line block ×4, first 2 shown]
	v_mul_f32_e32 v45, v22, v57
	s_waitcnt vmcnt(11)
	v_mov_b32_e32 v20, v33
	v_mul_f32_e32 v47, v24, v58
	v_fmac_f32_e32 v45, v23, v68
	s_waitcnt lgkmcnt(3)
	v_pk_mul_f32 v[20:21], v[2:3], v[20:21] op_sel_hi:[1,0]
	v_fmac_f32_e32 v47, v25, v69
	v_pk_add_f32 v[18:19], v[48:49], v[44:45]
	s_waitcnt vmcnt(10)
	v_pk_fma_f32 v[22:23], v[2:3], v[32:33], v[20:21] op_sel:[0,0,1] op_sel_hi:[1,1,0] neg_lo:[0,0,1] neg_hi:[0,0,1]
	v_pk_fma_f32 v[2:3], v[2:3], v[32:33], v[20:21] op_sel:[0,0,1] op_sel_hi:[1,0,0]
	v_pk_add_f32 v[18:19], v[18:19], v[46:47]
	v_mov_b32_e32 v23, v3
	v_pk_add_f32 v[2:3], v[18:19], v[22:23]
	v_mov_b32_e32 v18, v31
	v_pk_mul_f32 v[18:19], v[4:5], v[18:19] op_sel_hi:[1,0]
	v_pk_fma_f32 v[20:21], v[4:5], v[30:31], v[18:19] op_sel:[0,0,1] op_sel_hi:[1,1,0] neg_lo:[0,0,1] neg_hi:[0,0,1]
	v_pk_fma_f32 v[4:5], v[4:5], v[30:31], v[18:19] op_sel:[0,0,1] op_sel_hi:[1,0,0]
	v_mov_b32_e32 v4, v29
	v_mov_b32_e32 v21, v5
	s_waitcnt lgkmcnt(2)
	v_pk_mul_f32 v[4:5], v[6:7], v[4:5] op_sel_hi:[1,0]
	v_pk_fma_f32 v[18:19], v[6:7], v[28:29], v[4:5] op_sel:[0,0,1] op_sel_hi:[1,1,0] neg_lo:[0,0,1] neg_hi:[0,0,1]
	v_pk_fma_f32 v[4:5], v[6:7], v[28:29], v[4:5] op_sel:[0,0,1] op_sel_hi:[1,0,0]
	s_waitcnt vmcnt(3)
	v_mov_b32_e32 v4, v41
	v_mov_b32_e32 v19, v5
	v_pk_mul_f32 v[4:5], v[8:9], v[4:5] op_sel_hi:[1,0]
	s_waitcnt vmcnt(2)
	v_pk_fma_f32 v[6:7], v[8:9], v[40:41], v[4:5] op_sel:[0,0,1] op_sel_hi:[1,1,0] neg_lo:[0,0,1] neg_hi:[0,0,1]
	v_pk_fma_f32 v[4:5], v[8:9], v[40:41], v[4:5] op_sel:[0,0,1] op_sel_hi:[1,0,0]
	v_pk_add_f32 v[2:3], v[2:3], v[20:21]
	v_mov_b32_e32 v4, v39
	v_pk_add_f32 v[2:3], v[2:3], v[18:19]
	v_mov_b32_e32 v7, v5
	s_waitcnt lgkmcnt(1)
	v_pk_mul_f32 v[4:5], v[10:11], v[4:5] op_sel_hi:[1,0]
	v_pk_add_f32 v[2:3], v[2:3], v[6:7]
	v_pk_fma_f32 v[6:7], v[10:11], v[38:39], v[4:5] op_sel:[0,0,1] op_sel_hi:[1,1,0] neg_lo:[0,0,1] neg_hi:[0,0,1]
	v_pk_fma_f32 v[4:5], v[10:11], v[38:39], v[4:5] op_sel:[0,0,1] op_sel_hi:[1,0,0]
	v_mov_b32_e32 v4, v37
	v_mov_b32_e32 v7, v5
	v_pk_mul_f32 v[4:5], v[12:13], v[4:5] op_sel_hi:[1,0]
	v_pk_add_f32 v[2:3], v[2:3], v[6:7]
	v_pk_fma_f32 v[6:7], v[12:13], v[36:37], v[4:5] op_sel:[0,0,1] op_sel_hi:[1,1,0] neg_lo:[0,0,1] neg_hi:[0,0,1]
	v_pk_fma_f32 v[4:5], v[12:13], v[36:37], v[4:5] op_sel:[0,0,1] op_sel_hi:[1,0,0]
	v_mov_b32_e32 v4, v35
	v_mov_b32_e32 v7, v5
	s_waitcnt lgkmcnt(0)
	v_pk_mul_f32 v[4:5], v[14:15], v[4:5] op_sel_hi:[1,0]
	v_pk_add_f32 v[2:3], v[2:3], v[6:7]
	v_pk_fma_f32 v[6:7], v[14:15], v[34:35], v[4:5] op_sel:[0,0,1] op_sel_hi:[1,1,0] neg_lo:[0,0,1] neg_hi:[0,0,1]
	v_pk_fma_f32 v[4:5], v[14:15], v[34:35], v[4:5] op_sel:[0,0,1] op_sel_hi:[1,0,0]
	s_waitcnt vmcnt(1)
	v_mov_b32_e32 v4, v43
	v_mov_b32_e32 v7, v5
	v_pk_mul_f32 v[4:5], v[16:17], v[4:5] op_sel_hi:[1,0]
	v_pk_add_f32 v[2:3], v[2:3], v[6:7]
	s_waitcnt vmcnt(0)
	v_pk_fma_f32 v[6:7], v[16:17], v[42:43], v[4:5] op_sel:[0,0,1] op_sel_hi:[1,1,0] neg_lo:[0,0,1] neg_hi:[0,0,1]
	v_pk_fma_f32 v[4:5], v[16:17], v[42:43], v[4:5] op_sel:[0,0,1] op_sel_hi:[1,0,0]
	v_mov_b32_e32 v7, v5
	v_pk_add_f32 v[2:3], v[2:3], v[6:7]
	v_pk_add_f32 v[2:3], v[26:27], v[2:3] neg_lo:[0,1] neg_hi:[0,1]
	buffer_store_dword v3, off, s[0:3], 0 offset:252
	buffer_store_dword v2, off, s[0:3], 0 offset:248
	s_and_saveexec_b64 s[4:5], vcc
	s_cbranch_execz .LBB51_265
; %bb.264:
	buffer_load_dword v2, off, s[0:3], 0 offset:240
	buffer_load_dword v3, off, s[0:3], 0 offset:244
	v_mov_b32_e32 v1, 0
	buffer_store_dword v1, off, s[0:3], 0 offset:240
	buffer_store_dword v1, off, s[0:3], 0 offset:244
	s_waitcnt vmcnt(2)
	ds_write_b64 v129, v[2:3]
.LBB51_265:
	s_or_b64 exec, exec, s[4:5]
	s_waitcnt lgkmcnt(0)
	; wave barrier
	s_waitcnt lgkmcnt(0)
	buffer_load_dword v52, off, s[0:3], 0 offset:252
	buffer_load_dword v54, off, s[0:3], 0 offset:260
	;; [unrolled: 1-line block ×44, first 2 shown]
	v_mov_b32_e32 v1, 0
	ds_read2_b64 v[2:5], v1 offset0:83 offset1:84
	ds_read2_b64 v[6:9], v1 offset0:85 offset1:86
	;; [unrolled: 1-line block ×8, first 2 shown]
	v_cmp_lt_u32_e32 vcc, 29, v0
	s_waitcnt vmcnt(43) lgkmcnt(7)
	v_mul_f32_e32 v57, v2, v52
	s_waitcnt vmcnt(42)
	v_mul_f32_e32 v81, v4, v54
	s_waitcnt vmcnt(41) lgkmcnt(6)
	v_mul_f32_e32 v82, v6, v56
	v_mul_f32_e32 v52, v3, v52
	s_waitcnt vmcnt(40)
	v_mul_f32_e32 v83, v8, v58
	s_waitcnt vmcnt(39) lgkmcnt(5)
	v_mul_f32_e32 v84, v10, v59
	s_waitcnt vmcnt(38)
	v_mul_f32_e32 v85, v12, v60
	s_waitcnt vmcnt(37) lgkmcnt(4)
	;; [unrolled: 4-line block ×4, first 2 shown]
	v_mul_f32_e32 v90, v22, v65
	s_waitcnt vmcnt(32)
	v_mul_f32_e32 v53, v24, v66
	s_waitcnt vmcnt(30)
	v_fmac_f32_e32 v57, v3, v68
	s_waitcnt vmcnt(29)
	v_fmac_f32_e32 v81, v5, v69
	v_add_f32_e32 v3, 0, v57
	s_waitcnt vmcnt(28)
	v_fmac_f32_e32 v82, v7, v70
	v_add_f32_e32 v3, v3, v81
	;; [unrolled: 3-line block ×10, first 2 shown]
	v_add_f32_e32 v57, v3, v90
	v_fma_f32 v2, v2, v68, -v52
	v_mul_f32_e32 v3, v5, v54
	v_add_f32_e32 v2, 0, v2
	v_fma_f32 v3, v4, v69, -v3
	v_add_f32_e32 v2, v2, v3
	v_mul_f32_e32 v3, v7, v56
	v_fma_f32 v3, v6, v70, -v3
	v_add_f32_e32 v2, v2, v3
	v_mul_f32_e32 v3, v9, v58
	;; [unrolled: 3-line block ×9, first 2 shown]
	v_fma_f32 v3, v22, v78, -v3
	s_waitcnt vmcnt(13)
	v_mov_b32_e32 v14, v39
	v_add_f32_e32 v56, v2, v3
	v_mul_f32_e32 v2, v25, v66
	s_waitcnt lgkmcnt(1)
	v_pk_mul_f32 v[14:15], v[28:29], v[14:15] op_sel_hi:[1,0]
	v_mul_f32_e32 v55, v26, v67
	v_fmac_f32_e32 v53, v25, v79
	v_fma_f32 v52, v24, v79, -v2
	v_mul_f32_e32 v2, v27, v67
	s_waitcnt vmcnt(12)
	v_pk_fma_f32 v[16:17], v[28:29], v[38:39], v[14:15] op_sel:[0,0,1] op_sel_hi:[1,1,0] neg_lo:[0,0,1] neg_hi:[0,0,1]
	v_pk_fma_f32 v[14:15], v[28:29], v[38:39], v[14:15] op_sel:[0,0,1] op_sel_hi:[1,0,0]
	v_fmac_f32_e32 v55, v27, v80
	v_fma_f32 v54, v26, v80, -v2
	v_pk_add_f32 v[12:13], v[56:57], v[52:53]
	v_mov_b32_e32 v14, v37
	v_pk_add_f32 v[12:13], v[12:13], v[54:55]
	v_mov_b32_e32 v17, v15
	s_waitcnt lgkmcnt(0)
	v_pk_mul_f32 v[14:15], v[30:31], v[14:15] op_sel_hi:[1,0]
	v_pk_add_f32 v[12:13], v[12:13], v[16:17]
	v_pk_fma_f32 v[16:17], v[30:31], v[36:37], v[14:15] op_sel:[0,0,1] op_sel_hi:[1,1,0] neg_lo:[0,0,1] neg_hi:[0,0,1]
	v_pk_fma_f32 v[14:15], v[30:31], v[36:37], v[14:15] op_sel:[0,0,1] op_sel_hi:[1,0,0]
	s_waitcnt vmcnt(5)
	v_mov_b32_e32 v14, v47
	ds_read2_b64 v[2:5], v1 offset0:99 offset1:100
	ds_read2_b64 v[6:9], v1 offset0:101 offset1:102
	ds_read_b64 v[10:11], v1 offset:824
	v_mov_b32_e32 v17, v15
	v_pk_mul_f32 v[14:15], v[32:33], v[14:15] op_sel_hi:[1,0]
	v_pk_add_f32 v[12:13], v[12:13], v[16:17]
	s_waitcnt vmcnt(4)
	v_pk_fma_f32 v[16:17], v[32:33], v[46:47], v[14:15] op_sel:[0,0,1] op_sel_hi:[1,1,0] neg_lo:[0,0,1] neg_hi:[0,0,1]
	v_pk_fma_f32 v[14:15], v[32:33], v[46:47], v[14:15] op_sel:[0,0,1] op_sel_hi:[1,0,0]
	v_mov_b32_e32 v14, v45
	v_mov_b32_e32 v17, v15
	s_waitcnt lgkmcnt(2)
	v_pk_mul_f32 v[14:15], v[2:3], v[14:15] op_sel_hi:[1,0]
	v_pk_add_f32 v[12:13], v[12:13], v[16:17]
	v_pk_fma_f32 v[16:17], v[2:3], v[44:45], v[14:15] op_sel:[0,0,1] op_sel_hi:[1,1,0] neg_lo:[0,0,1] neg_hi:[0,0,1]
	v_pk_fma_f32 v[2:3], v[2:3], v[44:45], v[14:15] op_sel:[0,0,1] op_sel_hi:[1,0,0]
	v_mov_b32_e32 v17, v3
	v_pk_add_f32 v[2:3], v[12:13], v[16:17]
	v_mov_b32_e32 v12, v43
	v_pk_mul_f32 v[12:13], v[4:5], v[12:13] op_sel_hi:[1,0]
	v_pk_fma_f32 v[14:15], v[4:5], v[42:43], v[12:13] op_sel:[0,0,1] op_sel_hi:[1,1,0] neg_lo:[0,0,1] neg_hi:[0,0,1]
	v_pk_fma_f32 v[4:5], v[4:5], v[42:43], v[12:13] op_sel:[0,0,1] op_sel_hi:[1,0,0]
	v_mov_b32_e32 v4, v41
	v_mov_b32_e32 v15, v5
	s_waitcnt lgkmcnt(1)
	v_pk_mul_f32 v[4:5], v[6:7], v[4:5] op_sel_hi:[1,0]
	v_pk_fma_f32 v[12:13], v[6:7], v[40:41], v[4:5] op_sel:[0,0,1] op_sel_hi:[1,1,0] neg_lo:[0,0,1] neg_hi:[0,0,1]
	v_pk_fma_f32 v[4:5], v[6:7], v[40:41], v[4:5] op_sel:[0,0,1] op_sel_hi:[1,0,0]
	s_waitcnt vmcnt(1)
	v_mov_b32_e32 v4, v51
	v_mov_b32_e32 v13, v5
	v_pk_mul_f32 v[4:5], v[8:9], v[4:5] op_sel_hi:[1,0]
	s_waitcnt vmcnt(0)
	v_pk_fma_f32 v[6:7], v[8:9], v[50:51], v[4:5] op_sel:[0,0,1] op_sel_hi:[1,1,0] neg_lo:[0,0,1] neg_hi:[0,0,1]
	v_pk_fma_f32 v[4:5], v[8:9], v[50:51], v[4:5] op_sel:[0,0,1] op_sel_hi:[1,0,0]
	v_pk_add_f32 v[2:3], v[2:3], v[14:15]
	v_mov_b32_e32 v4, v49
	v_pk_add_f32 v[2:3], v[2:3], v[12:13]
	v_mov_b32_e32 v7, v5
	s_waitcnt lgkmcnt(0)
	v_pk_mul_f32 v[4:5], v[10:11], v[4:5] op_sel_hi:[1,0]
	v_pk_add_f32 v[2:3], v[2:3], v[6:7]
	v_pk_fma_f32 v[6:7], v[10:11], v[48:49], v[4:5] op_sel:[0,0,1] op_sel_hi:[1,1,0] neg_lo:[0,0,1] neg_hi:[0,0,1]
	v_pk_fma_f32 v[4:5], v[10:11], v[48:49], v[4:5] op_sel:[0,0,1] op_sel_hi:[1,0,0]
	v_mov_b32_e32 v7, v5
	v_pk_add_f32 v[2:3], v[2:3], v[6:7]
	v_pk_add_f32 v[2:3], v[34:35], v[2:3] neg_lo:[0,1] neg_hi:[0,1]
	buffer_store_dword v3, off, s[0:3], 0 offset:244
	buffer_store_dword v2, off, s[0:3], 0 offset:240
	s_and_saveexec_b64 s[4:5], vcc
	s_cbranch_execz .LBB51_267
; %bb.266:
	buffer_load_dword v2, off, s[0:3], 0 offset:232
	buffer_load_dword v3, off, s[0:3], 0 offset:236
	s_waitcnt vmcnt(0)
	ds_write_b64 v129, v[2:3]
	buffer_store_dword v1, off, s[0:3], 0 offset:232
	buffer_store_dword v1, off, s[0:3], 0 offset:236
.LBB51_267:
	s_or_b64 exec, exec, s[4:5]
	s_waitcnt lgkmcnt(0)
	; wave barrier
	s_waitcnt lgkmcnt(0)
	buffer_load_dword v52, off, s[0:3], 0 offset:244
	buffer_load_dword v54, off, s[0:3], 0 offset:252
	;; [unrolled: 1-line block ×30, first 2 shown]
	ds_read_b128 v[2:5], v1 offset:656
	ds_read_b128 v[6:9], v1 offset:672
	;; [unrolled: 1-line block ×6, first 2 shown]
	buffer_load_dword v37, off, s[0:3], 0 offset:356
	buffer_load_dword v36, off, s[0:3], 0 offset:352
	ds_read_b128 v[26:29], v1 offset:752
	ds_read_b128 v[30:33], v1 offset:768
	buffer_load_dword v39, off, s[0:3], 0 offset:388
	buffer_load_dword v38, off, s[0:3], 0 offset:384
	;; [unrolled: 1-line block ×14, first 2 shown]
	v_cmp_lt_u32_e32 vcc, 28, v0
	s_waitcnt vmcnt(45) lgkmcnt(7)
	v_mul_f32_e32 v55, v2, v52
	s_waitcnt vmcnt(44)
	v_mul_f32_e32 v57, v4, v54
	s_waitcnt vmcnt(43) lgkmcnt(6)
	v_mul_f32_e32 v83, v6, v56
	s_waitcnt vmcnt(42)
	v_mul_f32_e32 v84, v8, v58
	;; [unrolled: 4-line block ×6, first 2 shown]
	s_waitcnt vmcnt(33) lgkmcnt(1)
	v_mul_f32_e32 v53, v26, v67
	s_waitcnt vmcnt(32)
	v_fmac_f32_e32 v55, v3, v68
	v_mul_f32_e32 v3, v3, v52
	v_fma_f32 v2, v2, v68, -v3
	v_mul_f32_e32 v3, v5, v54
	v_add_f32_e32 v2, 0, v2
	s_waitcnt vmcnt(31)
	v_fma_f32 v3, v4, v69, -v3
	v_add_f32_e32 v2, v2, v3
	v_mul_f32_e32 v3, v7, v56
	s_waitcnt vmcnt(30)
	v_fma_f32 v3, v6, v70, -v3
	v_add_f32_e32 v2, v2, v3
	v_mul_f32_e32 v3, v9, v58
	;; [unrolled: 4-line block ×5, first 2 shown]
	s_waitcnt vmcnt(26)
	v_fma_f32 v3, v14, v74, -v3
	v_fmac_f32_e32 v57, v5, v69
	v_add_f32_e32 v55, 0, v55
	v_add_f32_e32 v2, v2, v3
	v_mul_f32_e32 v3, v17, v62
	v_fmac_f32_e32 v83, v7, v70
	v_add_f32_e32 v55, v55, v57
	s_waitcnt vmcnt(25)
	v_fma_f32 v3, v16, v75, -v3
	v_fmac_f32_e32 v84, v9, v71
	v_add_f32_e32 v55, v55, v83
	v_add_f32_e32 v2, v2, v3
	v_mul_f32_e32 v3, v19, v63
	v_fmac_f32_e32 v85, v11, v72
	v_add_f32_e32 v55, v55, v84
	s_waitcnt vmcnt(24)
	v_fma_f32 v3, v18, v76, -v3
	v_fmac_f32_e32 v86, v13, v73
	v_add_f32_e32 v55, v55, v85
	v_add_f32_e32 v2, v2, v3
	v_mul_f32_e32 v3, v21, v64
	v_fmac_f32_e32 v87, v15, v74
	v_add_f32_e32 v55, v55, v86
	s_waitcnt vmcnt(23)
	v_fma_f32 v3, v20, v77, -v3
	v_fmac_f32_e32 v88, v17, v75
	v_add_f32_e32 v55, v55, v87
	v_add_f32_e32 v2, v2, v3
	v_mul_f32_e32 v3, v23, v65
	v_fmac_f32_e32 v89, v19, v76
	v_add_f32_e32 v55, v55, v88
	s_waitcnt vmcnt(22)
	v_fma_f32 v3, v22, v78, -v3
	v_fmac_f32_e32 v90, v21, v77
	v_add_f32_e32 v55, v55, v89
	v_add_f32_e32 v2, v2, v3
	v_mul_f32_e32 v3, v25, v66
	v_fmac_f32_e32 v91, v23, v78
	v_add_f32_e32 v55, v55, v90
	s_waitcnt vmcnt(21)
	v_fma_f32 v3, v24, v79, -v3
	s_waitcnt vmcnt(15)
	v_mov_b32_e32 v16, v37
	v_fmac_f32_e32 v92, v25, v79
	v_add_f32_e32 v55, v55, v91
	v_add_f32_e32 v54, v2, v3
	v_mul_f32_e32 v2, v27, v67
	s_waitcnt lgkmcnt(0)
	v_pk_mul_f32 v[16:17], v[30:31], v[16:17] op_sel_hi:[1,0]
	v_fmac_f32_e32 v53, v27, v80
	v_add_f32_e32 v55, v55, v92
	v_mul_f32_e32 v57, v28, v81
	v_fma_f32 v52, v26, v80, -v2
	v_mul_f32_e32 v2, v29, v81
	s_waitcnt vmcnt(14)
	v_pk_fma_f32 v[18:19], v[30:31], v[36:37], v[16:17] op_sel:[0,0,1] op_sel_hi:[1,1,0] neg_lo:[0,0,1] neg_hi:[0,0,1]
	v_pk_fma_f32 v[16:17], v[30:31], v[36:37], v[16:17] op_sel:[0,0,1] op_sel_hi:[1,0,0]
	v_fmac_f32_e32 v57, v29, v82
	v_fma_f32 v56, v28, v82, -v2
	v_pk_add_f32 v[14:15], v[54:55], v[52:53]
	s_waitcnt vmcnt(7)
	v_mov_b32_e32 v16, v45
	ds_read_b128 v[2:5], v1 offset:784
	ds_read_b128 v[6:9], v1 offset:800
	;; [unrolled: 1-line block ×3, first 2 shown]
	v_pk_add_f32 v[14:15], v[14:15], v[56:57]
	v_mov_b32_e32 v19, v17
	v_pk_mul_f32 v[16:17], v[32:33], v[16:17] op_sel_hi:[1,0]
	v_pk_add_f32 v[14:15], v[14:15], v[18:19]
	s_waitcnt vmcnt(6)
	v_pk_fma_f32 v[18:19], v[32:33], v[44:45], v[16:17] op_sel:[0,0,1] op_sel_hi:[1,1,0] neg_lo:[0,0,1] neg_hi:[0,0,1]
	v_pk_fma_f32 v[16:17], v[32:33], v[44:45], v[16:17] op_sel:[0,0,1] op_sel_hi:[1,0,0]
	v_mov_b32_e32 v16, v43
	v_mov_b32_e32 v19, v17
	s_waitcnt lgkmcnt(2)
	v_pk_mul_f32 v[16:17], v[2:3], v[16:17] op_sel_hi:[1,0]
	v_pk_add_f32 v[14:15], v[14:15], v[18:19]
	v_pk_fma_f32 v[18:19], v[2:3], v[42:43], v[16:17] op_sel:[0,0,1] op_sel_hi:[1,1,0] neg_lo:[0,0,1] neg_hi:[0,0,1]
	v_pk_fma_f32 v[2:3], v[2:3], v[42:43], v[16:17] op_sel:[0,0,1] op_sel_hi:[1,0,0]
	v_mov_b32_e32 v19, v3
	v_pk_add_f32 v[2:3], v[14:15], v[18:19]
	v_mov_b32_e32 v14, v41
	v_pk_mul_f32 v[14:15], v[4:5], v[14:15] op_sel_hi:[1,0]
	v_pk_fma_f32 v[16:17], v[4:5], v[40:41], v[14:15] op_sel:[0,0,1] op_sel_hi:[1,1,0] neg_lo:[0,0,1] neg_hi:[0,0,1]
	v_pk_fma_f32 v[4:5], v[4:5], v[40:41], v[14:15] op_sel:[0,0,1] op_sel_hi:[1,0,0]
	v_mov_b32_e32 v4, v39
	v_mov_b32_e32 v17, v5
	s_waitcnt lgkmcnt(1)
	v_pk_mul_f32 v[4:5], v[6:7], v[4:5] op_sel_hi:[1,0]
	v_pk_fma_f32 v[14:15], v[6:7], v[38:39], v[4:5] op_sel:[0,0,1] op_sel_hi:[1,1,0] neg_lo:[0,0,1] neg_hi:[0,0,1]
	v_pk_fma_f32 v[4:5], v[6:7], v[38:39], v[4:5] op_sel:[0,0,1] op_sel_hi:[1,0,0]
	s_waitcnt vmcnt(1)
	v_mov_b32_e32 v4, v51
	v_mov_b32_e32 v15, v5
	v_pk_mul_f32 v[4:5], v[8:9], v[4:5] op_sel_hi:[1,0]
	s_waitcnt vmcnt(0)
	v_pk_fma_f32 v[6:7], v[8:9], v[50:51], v[4:5] op_sel:[0,0,1] op_sel_hi:[1,1,0] neg_lo:[0,0,1] neg_hi:[0,0,1]
	v_pk_fma_f32 v[4:5], v[8:9], v[50:51], v[4:5] op_sel:[0,0,1] op_sel_hi:[1,0,0]
	v_pk_add_f32 v[2:3], v[2:3], v[16:17]
	v_mov_b32_e32 v4, v49
	v_pk_add_f32 v[2:3], v[2:3], v[14:15]
	v_mov_b32_e32 v7, v5
	s_waitcnt lgkmcnt(0)
	v_pk_mul_f32 v[4:5], v[10:11], v[4:5] op_sel_hi:[1,0]
	v_pk_add_f32 v[2:3], v[2:3], v[6:7]
	v_pk_fma_f32 v[6:7], v[10:11], v[48:49], v[4:5] op_sel:[0,0,1] op_sel_hi:[1,1,0] neg_lo:[0,0,1] neg_hi:[0,0,1]
	v_pk_fma_f32 v[4:5], v[10:11], v[48:49], v[4:5] op_sel:[0,0,1] op_sel_hi:[1,0,0]
	v_mov_b32_e32 v4, v47
	v_mov_b32_e32 v7, v5
	v_pk_mul_f32 v[4:5], v[12:13], v[4:5] op_sel_hi:[1,0]
	v_pk_add_f32 v[2:3], v[2:3], v[6:7]
	v_pk_fma_f32 v[6:7], v[12:13], v[46:47], v[4:5] op_sel:[0,0,1] op_sel_hi:[1,1,0] neg_lo:[0,0,1] neg_hi:[0,0,1]
	v_pk_fma_f32 v[4:5], v[12:13], v[46:47], v[4:5] op_sel:[0,0,1] op_sel_hi:[1,0,0]
	v_mov_b32_e32 v7, v5
	v_pk_add_f32 v[2:3], v[2:3], v[6:7]
	v_pk_add_f32 v[2:3], v[34:35], v[2:3] neg_lo:[0,1] neg_hi:[0,1]
	buffer_store_dword v3, off, s[0:3], 0 offset:236
	buffer_store_dword v2, off, s[0:3], 0 offset:232
	s_and_saveexec_b64 s[4:5], vcc
	s_cbranch_execz .LBB51_269
; %bb.268:
	buffer_load_dword v2, off, s[0:3], 0 offset:224
	buffer_load_dword v3, off, s[0:3], 0 offset:228
	v_mov_b32_e32 v1, 0
	buffer_store_dword v1, off, s[0:3], 0 offset:224
	buffer_store_dword v1, off, s[0:3], 0 offset:228
	s_waitcnt vmcnt(2)
	ds_write_b64 v129, v[2:3]
.LBB51_269:
	s_or_b64 exec, exec, s[4:5]
	s_waitcnt lgkmcnt(0)
	; wave barrier
	s_waitcnt lgkmcnt(0)
	buffer_load_dword v50, off, s[0:3], 0 offset:236
	buffer_load_dword v54, off, s[0:3], 0 offset:244
	;; [unrolled: 1-line block ×32, first 2 shown]
	v_mov_b32_e32 v1, 0
	buffer_load_dword v37, off, s[0:3], 0 offset:380
	buffer_load_dword v36, off, s[0:3], 0 offset:376
	;; [unrolled: 1-line block ×13, first 2 shown]
	ds_read2_b64 v[2:5], v1 offset0:81 offset1:82
	ds_read2_b64 v[6:9], v1 offset0:83 offset1:84
	;; [unrolled: 1-line block ×8, first 2 shown]
	v_cmp_lt_u32_e32 vcc, 27, v0
	s_waitcnt vmcnt(44) lgkmcnt(7)
	v_mul_f32_e32 v44, v2, v50
	s_waitcnt vmcnt(43)
	v_mul_f32_e32 v51, v4, v54
	s_waitcnt vmcnt(42) lgkmcnt(6)
	v_mul_f32_e32 v52, v6, v56
	s_waitcnt vmcnt(41)
	v_mul_f32_e32 v53, v8, v58
	s_waitcnt vmcnt(40) lgkmcnt(5)
	v_mul_f32_e32 v55, v10, v59
	s_waitcnt vmcnt(39)
	v_mul_f32_e32 v57, v12, v60
	s_waitcnt vmcnt(38) lgkmcnt(4)
	v_mul_f32_e32 v85, v14, v61
	s_waitcnt vmcnt(37)
	v_mul_f32_e32 v86, v16, v62
	s_waitcnt vmcnt(36) lgkmcnt(3)
	v_mul_f32_e32 v87, v18, v63
	s_waitcnt vmcnt(35)
	v_mul_f32_e32 v88, v20, v64
	s_waitcnt vmcnt(34) lgkmcnt(2)
	v_mul_f32_e32 v89, v22, v65
	s_waitcnt vmcnt(33)
	v_mul_f32_e32 v90, v24, v66
	s_waitcnt vmcnt(32) lgkmcnt(1)
	v_mul_f32_e32 v91, v26, v67
	s_waitcnt vmcnt(31)
	v_fmac_f32_e32 v44, v3, v68
	s_waitcnt vmcnt(30)
	v_fmac_f32_e32 v51, v5, v69
	v_add_f32_e32 v44, 0, v44
	s_waitcnt vmcnt(29)
	v_fmac_f32_e32 v52, v7, v70
	v_add_f32_e32 v44, v44, v51
	;; [unrolled: 3-line block ×12, first 2 shown]
	v_add_f32_e32 v51, v44, v91
	buffer_load_dword v53, off, s[0:3], 0 offset:396
	buffer_load_dword v52, off, s[0:3], 0 offset:392
	;; [unrolled: 1-line block ×3, first 2 shown]
	v_mul_f32_e32 v3, v3, v50
	v_fma_f32 v2, v2, v68, -v3
	v_mul_f32_e32 v3, v5, v54
	v_add_f32_e32 v2, 0, v2
	v_fma_f32 v3, v4, v69, -v3
	v_add_f32_e32 v2, v2, v3
	v_mul_f32_e32 v3, v7, v56
	v_fma_f32 v3, v6, v70, -v3
	v_add_f32_e32 v2, v2, v3
	v_mul_f32_e32 v3, v9, v58
	v_fma_f32 v3, v8, v71, -v3
	v_add_f32_e32 v2, v2, v3
	v_mul_f32_e32 v3, v11, v59
	v_fma_f32 v3, v10, v72, -v3
	v_add_f32_e32 v2, v2, v3
	v_mul_f32_e32 v3, v13, v60
	v_fma_f32 v3, v12, v73, -v3
	v_add_f32_e32 v2, v2, v3
	v_mul_f32_e32 v3, v15, v61
	v_fma_f32 v3, v14, v74, -v3
	v_add_f32_e32 v2, v2, v3
	v_mul_f32_e32 v3, v17, v62
	v_fma_f32 v3, v16, v75, -v3
	v_add_f32_e32 v2, v2, v3
	v_mul_f32_e32 v3, v19, v63
	v_fma_f32 v3, v18, v76, -v3
	v_add_f32_e32 v2, v2, v3
	v_mul_f32_e32 v3, v21, v64
	v_fma_f32 v3, v20, v77, -v3
	v_add_f32_e32 v2, v2, v3
	v_mul_f32_e32 v3, v23, v65
	v_fma_f32 v3, v22, v78, -v3
	v_add_f32_e32 v2, v2, v3
	v_mul_f32_e32 v3, v25, v66
	v_fma_f32 v3, v24, v79, -v3
	v_add_f32_e32 v2, v2, v3
	v_mul_f32_e32 v3, v27, v67
	v_fma_f32 v3, v26, v80, -v3
	v_add_f32_e32 v50, v2, v3
	s_waitcnt vmcnt(21)
	v_mul_f32_e32 v2, v29, v81
	s_waitcnt vmcnt(9)
	v_mov_b32_e32 v18, v43
	v_mul_f32_e32 v55, v28, v81
	v_fma_f32 v54, v28, v82, -v2
	s_waitcnt lgkmcnt(0)
	v_mul_f32_e32 v2, v31, v83
	v_pk_mul_f32 v[18:19], v[32:33], v[18:19] op_sel_hi:[1,0]
	v_fmac_f32_e32 v55, v29, v82
	v_mul_f32_e32 v57, v30, v83
	v_fma_f32 v56, v30, v84, -v2
	ds_read2_b64 v[2:5], v1 offset0:97 offset1:98
	ds_read2_b64 v[6:9], v1 offset0:99 offset1:100
	;; [unrolled: 1-line block ×3, first 2 shown]
	ds_read_b64 v[14:15], v1 offset:824
	s_waitcnt vmcnt(8)
	v_pk_fma_f32 v[20:21], v[32:33], v[42:43], v[18:19] op_sel:[0,0,1] op_sel_hi:[1,1,0] neg_lo:[0,0,1] neg_hi:[0,0,1]
	v_pk_fma_f32 v[18:19], v[32:33], v[42:43], v[18:19] op_sel:[0,0,1] op_sel_hi:[1,0,0]
	v_fmac_f32_e32 v57, v31, v84
	v_pk_add_f32 v[16:17], v[50:51], v[54:55]
	v_mov_b32_e32 v18, v41
	v_pk_add_f32 v[16:17], v[16:17], v[56:57]
	v_mov_b32_e32 v21, v19
	s_waitcnt lgkmcnt(3)
	v_pk_mul_f32 v[18:19], v[2:3], v[18:19] op_sel_hi:[1,0]
	v_pk_add_f32 v[16:17], v[16:17], v[20:21]
	v_pk_fma_f32 v[20:21], v[2:3], v[40:41], v[18:19] op_sel:[0,0,1] op_sel_hi:[1,1,0] neg_lo:[0,0,1] neg_hi:[0,0,1]
	v_pk_fma_f32 v[2:3], v[2:3], v[40:41], v[18:19] op_sel:[0,0,1] op_sel_hi:[1,0,0]
	v_mov_b32_e32 v21, v3
	v_pk_add_f32 v[2:3], v[16:17], v[20:21]
	v_mov_b32_e32 v16, v39
	v_pk_mul_f32 v[16:17], v[4:5], v[16:17] op_sel_hi:[1,0]
	v_pk_fma_f32 v[18:19], v[4:5], v[38:39], v[16:17] op_sel:[0,0,1] op_sel_hi:[1,1,0] neg_lo:[0,0,1] neg_hi:[0,0,1]
	v_pk_fma_f32 v[4:5], v[4:5], v[38:39], v[16:17] op_sel:[0,0,1] op_sel_hi:[1,0,0]
	v_mov_b32_e32 v4, v37
	v_mov_b32_e32 v19, v5
	s_waitcnt lgkmcnt(2)
	v_pk_mul_f32 v[4:5], v[6:7], v[4:5] op_sel_hi:[1,0]
	v_pk_fma_f32 v[16:17], v[6:7], v[36:37], v[4:5] op_sel:[0,0,1] op_sel_hi:[1,1,0] neg_lo:[0,0,1] neg_hi:[0,0,1]
	v_pk_fma_f32 v[4:5], v[6:7], v[36:37], v[4:5] op_sel:[0,0,1] op_sel_hi:[1,0,0]
	s_waitcnt vmcnt(7)
	v_mov_b32_e32 v4, v45
	v_mov_b32_e32 v17, v5
	v_pk_mul_f32 v[4:5], v[8:9], v[4:5] op_sel_hi:[1,0]
	v_pk_add_f32 v[2:3], v[2:3], v[18:19]
	v_pk_add_f32 v[2:3], v[2:3], v[16:17]
	s_waitcnt vmcnt(0)
	v_pk_fma_f32 v[6:7], v[8:9], v[44:45], v[4:5] op_sel:[0,0,1] op_sel_hi:[1,1,0] neg_lo:[0,0,1] neg_hi:[0,0,1]
	v_pk_fma_f32 v[4:5], v[8:9], v[44:45], v[4:5] op_sel:[0,0,1] op_sel_hi:[1,0,0]
	v_mov_b32_e32 v4, v53
	v_mov_b32_e32 v7, v5
	s_waitcnt lgkmcnt(1)
	v_pk_mul_f32 v[4:5], v[10:11], v[4:5] op_sel_hi:[1,0]
	v_pk_add_f32 v[2:3], v[2:3], v[6:7]
	v_pk_fma_f32 v[6:7], v[10:11], v[52:53], v[4:5] op_sel:[0,0,1] op_sel_hi:[1,1,0] neg_lo:[0,0,1] neg_hi:[0,0,1]
	v_pk_fma_f32 v[4:5], v[10:11], v[52:53], v[4:5] op_sel:[0,0,1] op_sel_hi:[1,0,0]
	v_mov_b32_e32 v4, v49
	v_mov_b32_e32 v7, v5
	v_pk_mul_f32 v[4:5], v[12:13], v[4:5] op_sel_hi:[1,0]
	v_pk_add_f32 v[2:3], v[2:3], v[6:7]
	v_pk_fma_f32 v[6:7], v[12:13], v[48:49], v[4:5] op_sel:[0,0,1] op_sel_hi:[1,1,0] neg_lo:[0,0,1] neg_hi:[0,0,1]
	v_pk_fma_f32 v[4:5], v[12:13], v[48:49], v[4:5] op_sel:[0,0,1] op_sel_hi:[1,0,0]
	v_mov_b32_e32 v4, v47
	v_mov_b32_e32 v7, v5
	s_waitcnt lgkmcnt(0)
	v_pk_mul_f32 v[4:5], v[14:15], v[4:5] op_sel_hi:[1,0]
	v_pk_add_f32 v[2:3], v[2:3], v[6:7]
	v_pk_fma_f32 v[6:7], v[14:15], v[46:47], v[4:5] op_sel:[0,0,1] op_sel_hi:[1,1,0] neg_lo:[0,0,1] neg_hi:[0,0,1]
	v_pk_fma_f32 v[4:5], v[14:15], v[46:47], v[4:5] op_sel:[0,0,1] op_sel_hi:[1,0,0]
	v_mov_b32_e32 v7, v5
	v_pk_add_f32 v[2:3], v[2:3], v[6:7]
	v_pk_add_f32 v[2:3], v[34:35], v[2:3] neg_lo:[0,1] neg_hi:[0,1]
	buffer_store_dword v3, off, s[0:3], 0 offset:228
	buffer_store_dword v2, off, s[0:3], 0 offset:224
	s_and_saveexec_b64 s[4:5], vcc
	s_cbranch_execz .LBB51_271
; %bb.270:
	buffer_load_dword v2, off, s[0:3], 0 offset:216
	buffer_load_dword v3, off, s[0:3], 0 offset:220
	s_waitcnt vmcnt(0)
	ds_write_b64 v129, v[2:3]
	buffer_store_dword v1, off, s[0:3], 0 offset:216
	buffer_store_dword v1, off, s[0:3], 0 offset:220
.LBB51_271:
	s_or_b64 exec, exec, s[4:5]
	s_waitcnt lgkmcnt(0)
	; wave barrier
	s_waitcnt lgkmcnt(0)
	buffer_load_dword v50, off, s[0:3], 0 offset:228
	buffer_load_dword v52, off, s[0:3], 0 offset:236
	;; [unrolled: 1-line block ×34, first 2 shown]
	ds_read_b128 v[2:5], v1 offset:640
	ds_read_b128 v[6:9], v1 offset:656
	;; [unrolled: 1-line block ×8, first 2 shown]
	buffer_load_dword v37, off, s[0:3], 0 offset:372
	buffer_load_dword v36, off, s[0:3], 0 offset:368
	;; [unrolled: 1-line block ×9, first 2 shown]
	v_cmp_lt_u32_e32 vcc, 26, v0
	s_waitcnt vmcnt(42) lgkmcnt(7)
	v_mul_f32_e32 v42, v2, v50
	s_waitcnt vmcnt(41)
	v_mul_f32_e32 v46, v4, v52
	s_waitcnt vmcnt(40) lgkmcnt(6)
	v_mul_f32_e32 v47, v6, v54
	s_waitcnt vmcnt(39)
	v_mul_f32_e32 v48, v8, v58
	;; [unrolled: 4-line block ×7, first 2 shown]
	s_waitcnt vmcnt(28)
	v_fmac_f32_e32 v42, v3, v69
	s_waitcnt vmcnt(27)
	v_fmac_f32_e32 v46, v5, v70
	v_add_f32_e32 v42, 0, v42
	s_waitcnt vmcnt(26)
	v_fmac_f32_e32 v47, v7, v71
	v_add_f32_e32 v42, v42, v46
	s_waitcnt vmcnt(25)
	v_fmac_f32_e32 v48, v9, v72
	v_add_f32_e32 v42, v42, v47
	s_waitcnt vmcnt(24)
	v_fmac_f32_e32 v49, v11, v73
	v_add_f32_e32 v42, v42, v48
	s_waitcnt vmcnt(23)
	v_fmac_f32_e32 v51, v13, v74
	v_add_f32_e32 v42, v42, v49
	s_waitcnt vmcnt(22)
	v_fmac_f32_e32 v53, v15, v75
	v_add_f32_e32 v42, v42, v51
	s_waitcnt vmcnt(21)
	v_fmac_f32_e32 v55, v17, v76
	v_add_f32_e32 v42, v42, v53
	s_waitcnt vmcnt(20)
	v_fmac_f32_e32 v56, v19, v77
	v_add_f32_e32 v42, v42, v55
	s_waitcnt vmcnt(19)
	v_fmac_f32_e32 v57, v21, v78
	v_add_f32_e32 v42, v42, v56
	s_waitcnt vmcnt(18)
	v_fmac_f32_e32 v87, v23, v79
	v_add_f32_e32 v42, v42, v57
	s_waitcnt vmcnt(17)
	v_fmac_f32_e32 v88, v25, v80
	v_add_f32_e32 v42, v42, v87
	s_waitcnt vmcnt(16)
	v_fmac_f32_e32 v89, v27, v81
	v_add_f32_e32 v42, v42, v88
	v_add_f32_e32 v51, v42, v89
	buffer_load_dword v47, off, s[0:3], 0 offset:396
	buffer_load_dword v46, off, s[0:3], 0 offset:392
	buffer_load_dword v49, off, s[0:3], 0 offset:388
	buffer_load_dword v48, off, s[0:3], 0 offset:384
	buffer_load_dword v42, off, s[0:3], 0 offset:376
	buffer_load_dword v57, off, s[0:3], 0 offset:412
	buffer_load_dword v56, off, s[0:3], 0 offset:408
	v_mul_f32_e32 v3, v3, v50
	v_fma_f32 v2, v2, v69, -v3
	v_mul_f32_e32 v3, v5, v52
	v_add_f32_e32 v2, 0, v2
	v_fma_f32 v3, v4, v70, -v3
	v_add_f32_e32 v2, v2, v3
	v_mul_f32_e32 v3, v7, v54
	v_fma_f32 v3, v6, v71, -v3
	v_add_f32_e32 v2, v2, v3
	v_mul_f32_e32 v3, v9, v58
	v_fma_f32 v3, v8, v72, -v3
	v_add_f32_e32 v2, v2, v3
	v_mul_f32_e32 v3, v11, v59
	v_fma_f32 v3, v10, v73, -v3
	v_add_f32_e32 v2, v2, v3
	v_mul_f32_e32 v3, v13, v60
	v_fma_f32 v3, v12, v74, -v3
	v_add_f32_e32 v2, v2, v3
	v_mul_f32_e32 v3, v15, v61
	v_fma_f32 v3, v14, v75, -v3
	v_add_f32_e32 v2, v2, v3
	v_mul_f32_e32 v3, v17, v62
	v_fma_f32 v3, v16, v76, -v3
	v_add_f32_e32 v2, v2, v3
	v_mul_f32_e32 v3, v19, v63
	v_fma_f32 v3, v18, v77, -v3
	v_add_f32_e32 v2, v2, v3
	v_mul_f32_e32 v3, v21, v64
	v_fma_f32 v3, v20, v78, -v3
	v_add_f32_e32 v2, v2, v3
	v_mul_f32_e32 v3, v23, v65
	v_fma_f32 v3, v22, v79, -v3
	v_add_f32_e32 v2, v2, v3
	v_mul_f32_e32 v3, v25, v66
	v_fma_f32 v3, v24, v80, -v3
	v_add_f32_e32 v2, v2, v3
	v_mul_f32_e32 v3, v27, v67
	v_fma_f32 v3, v26, v81, -v3
	v_add_f32_e32 v2, v2, v3
	v_mul_f32_e32 v3, v29, v68
	s_waitcnt vmcnt(22)
	v_fma_f32 v3, v28, v82, -v3
	v_add_f32_e32 v50, v2, v3
	s_waitcnt vmcnt(21) lgkmcnt(0)
	v_mul_f32_e32 v2, v31, v83
	s_waitcnt vmcnt(20)
	v_fma_f32 v52, v30, v84, -v2
	s_waitcnt vmcnt(19)
	v_mul_f32_e32 v2, v33, v85
	s_waitcnt vmcnt(18)
	v_fma_f32 v54, v32, v86, -v2
	ds_read_b128 v[2:5], v1 offset:768
	ds_read_b128 v[6:9], v1 offset:784
	;; [unrolled: 1-line block ×4, first 2 shown]
	v_fmac_f32_e32 v90, v29, v82
	v_mul_f32_e32 v53, v30, v83
	s_waitcnt vmcnt(11)
	v_mov_b32_e32 v20, v41
	v_add_f32_e32 v51, v51, v90
	v_fmac_f32_e32 v53, v31, v84
	v_mul_f32_e32 v55, v32, v85
	s_waitcnt lgkmcnt(3)
	v_pk_mul_f32 v[20:21], v[2:3], v[20:21] op_sel_hi:[1,0]
	v_fmac_f32_e32 v55, v33, v86
	v_pk_add_f32 v[18:19], v[50:51], v[52:53]
	s_waitcnt vmcnt(10)
	v_pk_fma_f32 v[22:23], v[2:3], v[40:41], v[20:21] op_sel:[0,0,1] op_sel_hi:[1,1,0] neg_lo:[0,0,1] neg_hi:[0,0,1]
	v_pk_fma_f32 v[2:3], v[2:3], v[40:41], v[20:21] op_sel:[0,0,1] op_sel_hi:[1,0,0]
	v_pk_add_f32 v[18:19], v[18:19], v[54:55]
	v_mov_b32_e32 v23, v3
	v_pk_add_f32 v[2:3], v[18:19], v[22:23]
	v_mov_b32_e32 v18, v39
	v_pk_mul_f32 v[18:19], v[4:5], v[18:19] op_sel_hi:[1,0]
	v_pk_fma_f32 v[20:21], v[4:5], v[38:39], v[18:19] op_sel:[0,0,1] op_sel_hi:[1,1,0] neg_lo:[0,0,1] neg_hi:[0,0,1]
	v_pk_fma_f32 v[4:5], v[4:5], v[38:39], v[18:19] op_sel:[0,0,1] op_sel_hi:[1,0,0]
	v_mov_b32_e32 v4, v37
	v_mov_b32_e32 v21, v5
	s_waitcnt lgkmcnt(2)
	v_pk_mul_f32 v[4:5], v[6:7], v[4:5] op_sel_hi:[1,0]
	v_pk_fma_f32 v[18:19], v[6:7], v[36:37], v[4:5] op_sel:[0,0,1] op_sel_hi:[1,1,0] neg_lo:[0,0,1] neg_hi:[0,0,1]
	v_pk_fma_f32 v[4:5], v[6:7], v[36:37], v[4:5] op_sel:[0,0,1] op_sel_hi:[1,0,0]
	s_waitcnt vmcnt(9)
	v_mov_b32_e32 v4, v43
	v_mov_b32_e32 v19, v5
	v_pk_mul_f32 v[4:5], v[8:9], v[4:5] op_sel_hi:[1,0]
	v_pk_add_f32 v[2:3], v[2:3], v[20:21]
	v_pk_add_f32 v[2:3], v[2:3], v[18:19]
	s_waitcnt vmcnt(2)
	v_pk_fma_f32 v[6:7], v[8:9], v[42:43], v[4:5] op_sel:[0,0,1] op_sel_hi:[1,1,0] neg_lo:[0,0,1] neg_hi:[0,0,1]
	v_pk_fma_f32 v[4:5], v[8:9], v[42:43], v[4:5] op_sel:[0,0,1] op_sel_hi:[1,0,0]
	v_mov_b32_e32 v4, v49
	v_mov_b32_e32 v7, v5
	s_waitcnt lgkmcnt(1)
	v_pk_mul_f32 v[4:5], v[10:11], v[4:5] op_sel_hi:[1,0]
	v_pk_add_f32 v[2:3], v[2:3], v[6:7]
	v_pk_fma_f32 v[6:7], v[10:11], v[48:49], v[4:5] op_sel:[0,0,1] op_sel_hi:[1,1,0] neg_lo:[0,0,1] neg_hi:[0,0,1]
	v_pk_fma_f32 v[4:5], v[10:11], v[48:49], v[4:5] op_sel:[0,0,1] op_sel_hi:[1,0,0]
	v_mov_b32_e32 v4, v47
	v_mov_b32_e32 v7, v5
	v_pk_mul_f32 v[4:5], v[12:13], v[4:5] op_sel_hi:[1,0]
	v_pk_add_f32 v[2:3], v[2:3], v[6:7]
	v_pk_fma_f32 v[6:7], v[12:13], v[46:47], v[4:5] op_sel:[0,0,1] op_sel_hi:[1,1,0] neg_lo:[0,0,1] neg_hi:[0,0,1]
	v_pk_fma_f32 v[4:5], v[12:13], v[46:47], v[4:5] op_sel:[0,0,1] op_sel_hi:[1,0,0]
	v_mov_b32_e32 v4, v45
	v_mov_b32_e32 v7, v5
	s_waitcnt lgkmcnt(0)
	v_pk_mul_f32 v[4:5], v[14:15], v[4:5] op_sel_hi:[1,0]
	v_pk_add_f32 v[2:3], v[2:3], v[6:7]
	v_pk_fma_f32 v[6:7], v[14:15], v[44:45], v[4:5] op_sel:[0,0,1] op_sel_hi:[1,1,0] neg_lo:[0,0,1] neg_hi:[0,0,1]
	v_pk_fma_f32 v[4:5], v[14:15], v[44:45], v[4:5] op_sel:[0,0,1] op_sel_hi:[1,0,0]
	s_waitcnt vmcnt(1)
	v_mov_b32_e32 v4, v57
	v_mov_b32_e32 v7, v5
	v_pk_mul_f32 v[4:5], v[16:17], v[4:5] op_sel_hi:[1,0]
	v_pk_add_f32 v[2:3], v[2:3], v[6:7]
	s_waitcnt vmcnt(0)
	v_pk_fma_f32 v[6:7], v[16:17], v[56:57], v[4:5] op_sel:[0,0,1] op_sel_hi:[1,1,0] neg_lo:[0,0,1] neg_hi:[0,0,1]
	v_pk_fma_f32 v[4:5], v[16:17], v[56:57], v[4:5] op_sel:[0,0,1] op_sel_hi:[1,0,0]
	v_mov_b32_e32 v7, v5
	v_pk_add_f32 v[2:3], v[2:3], v[6:7]
	v_pk_add_f32 v[2:3], v[34:35], v[2:3] neg_lo:[0,1] neg_hi:[0,1]
	buffer_store_dword v3, off, s[0:3], 0 offset:220
	buffer_store_dword v2, off, s[0:3], 0 offset:216
	s_and_saveexec_b64 s[4:5], vcc
	s_cbranch_execz .LBB51_273
; %bb.272:
	buffer_load_dword v2, off, s[0:3], 0 offset:208
	buffer_load_dword v3, off, s[0:3], 0 offset:212
	v_mov_b32_e32 v1, 0
	buffer_store_dword v1, off, s[0:3], 0 offset:208
	buffer_store_dword v1, off, s[0:3], 0 offset:212
	s_waitcnt vmcnt(2)
	ds_write_b64 v129, v[2:3]
.LBB51_273:
	s_or_b64 exec, exec, s[4:5]
	s_waitcnt lgkmcnt(0)
	; wave barrier
	s_waitcnt lgkmcnt(0)
	buffer_load_dword v56, off, s[0:3], 0 offset:220
	buffer_load_dword v58, off, s[0:3], 0 offset:228
	;; [unrolled: 1-line block ×36, first 2 shown]
	v_mov_b32_e32 v1, 0
	buffer_load_dword v45, off, s[0:3], 0 offset:364
	buffer_load_dword v44, off, s[0:3], 0 offset:360
	;; [unrolled: 1-line block ×5, first 2 shown]
	ds_read2_b64 v[4:7], v1 offset0:79 offset1:80
	ds_read2_b64 v[8:11], v1 offset0:81 offset1:82
	;; [unrolled: 1-line block ×8, first 2 shown]
	v_cmp_lt_u32_e32 vcc, 25, v0
	s_waitcnt vmcnt(40) lgkmcnt(7)
	v_mul_f32_e32 v36, v4, v56
	s_waitcnt vmcnt(39)
	v_mul_f32_e32 v37, v6, v58
	s_waitcnt vmcnt(38) lgkmcnt(6)
	v_mul_f32_e32 v38, v8, v60
	s_waitcnt vmcnt(37)
	v_mul_f32_e32 v39, v10, v66
	;; [unrolled: 4-line block ×7, first 2 shown]
	s_waitcnt vmcnt(26) lgkmcnt(0)
	v_mul_f32_e32 v57, v32, v77
	s_waitcnt vmcnt(25)
	v_fmac_f32_e32 v36, v5, v78
	s_waitcnt vmcnt(24)
	v_fmac_f32_e32 v37, v7, v79
	v_add_f32_e32 v36, 0, v36
	s_waitcnt vmcnt(23)
	v_fmac_f32_e32 v38, v9, v80
	v_add_f32_e32 v36, v36, v37
	;; [unrolled: 3-line block ×13, first 2 shown]
	v_add_f32_e32 v40, v36, v54
	buffer_load_dword v51, off, s[0:3], 0 offset:396
	buffer_load_dword v50, off, s[0:3], 0 offset:392
	;; [unrolled: 1-line block ×7, first 2 shown]
	s_waitcnt vmcnt(18)
	v_fmac_f32_e32 v57, v33, v92
	ds_read2_b64 v[36:39], v1 offset0:95 offset1:96
	v_add_f32_e32 v57, v40, v57
	ds_read2_b64 v[40:43], v1 offset0:97 offset1:98
	buffer_load_dword v63, off, s[0:3], 0 offset:412
	buffer_load_dword v62, off, s[0:3], 0 offset:408
	;; [unrolled: 1-line block ×4, first 2 shown]
	v_mul_f32_e32 v5, v5, v56
	v_fma_f32 v4, v4, v78, -v5
	v_mul_f32_e32 v5, v7, v58
	v_add_f32_e32 v4, 0, v4
	v_fma_f32 v5, v6, v79, -v5
	v_add_f32_e32 v4, v4, v5
	v_mul_f32_e32 v5, v9, v60
	v_fma_f32 v5, v8, v80, -v5
	v_add_f32_e32 v4, v4, v5
	v_mul_f32_e32 v5, v11, v66
	;; [unrolled: 3-line block ×13, first 2 shown]
	v_fma_f32 v5, v32, v92, -v5
	s_waitcnt vmcnt(13)
	v_mov_b32_e32 v16, v47
	v_mul_f32_e32 v59, v34, v93
	v_add_f32_e32 v56, v4, v5
	v_mul_f32_e32 v4, v35, v93
	s_waitcnt lgkmcnt(1)
	v_pk_mul_f32 v[16:17], v[38:39], v[16:17] op_sel_hi:[1,0]
	v_fmac_f32_e32 v59, v35, v94
	v_mul_f32_e32 v61, v36, v95
	v_fma_f32 v58, v34, v94, -v4
	v_mul_f32_e32 v4, v37, v95
	s_waitcnt vmcnt(12)
	v_pk_fma_f32 v[18:19], v[38:39], v[46:47], v[16:17] op_sel:[0,0,1] op_sel_hi:[1,1,0] neg_lo:[0,0,1] neg_hi:[0,0,1]
	v_pk_fma_f32 v[16:17], v[38:39], v[46:47], v[16:17] op_sel:[0,0,1] op_sel_hi:[1,0,0]
	v_fmac_f32_e32 v61, v37, v96
	v_fma_f32 v60, v36, v96, -v4
	v_pk_add_f32 v[14:15], v[56:57], v[58:59]
	v_mov_b32_e32 v16, v45
	v_pk_add_f32 v[14:15], v[14:15], v[60:61]
	v_mov_b32_e32 v19, v17
	s_waitcnt lgkmcnt(0)
	v_pk_mul_f32 v[16:17], v[40:41], v[16:17] op_sel_hi:[1,0]
	v_pk_add_f32 v[14:15], v[14:15], v[18:19]
	v_pk_fma_f32 v[18:19], v[40:41], v[44:45], v[16:17] op_sel:[0,0,1] op_sel_hi:[1,1,0] neg_lo:[0,0,1] neg_hi:[0,0,1]
	v_pk_fma_f32 v[16:17], v[40:41], v[44:45], v[16:17] op_sel:[0,0,1] op_sel_hi:[1,0,0]
	s_waitcnt vmcnt(11)
	v_mov_b32_e32 v16, v49
	ds_read2_b64 v[4:7], v1 offset0:99 offset1:100
	ds_read2_b64 v[8:11], v1 offset0:101 offset1:102
	ds_read_b64 v[12:13], v1 offset:824
	v_mov_b32_e32 v19, v17
	v_pk_mul_f32 v[16:17], v[42:43], v[16:17] op_sel_hi:[1,0]
	v_pk_add_f32 v[14:15], v[14:15], v[18:19]
	s_waitcnt vmcnt(4)
	v_pk_fma_f32 v[18:19], v[42:43], v[48:49], v[16:17] op_sel:[0,0,1] op_sel_hi:[1,1,0] neg_lo:[0,0,1] neg_hi:[0,0,1]
	v_pk_fma_f32 v[16:17], v[42:43], v[48:49], v[16:17] op_sel:[0,0,1] op_sel_hi:[1,0,0]
	v_mov_b32_e32 v16, v55
	v_mov_b32_e32 v19, v17
	s_waitcnt lgkmcnt(2)
	v_pk_mul_f32 v[16:17], v[4:5], v[16:17] op_sel_hi:[1,0]
	v_pk_add_f32 v[14:15], v[14:15], v[18:19]
	v_pk_fma_f32 v[18:19], v[4:5], v[54:55], v[16:17] op_sel:[0,0,1] op_sel_hi:[1,1,0] neg_lo:[0,0,1] neg_hi:[0,0,1]
	v_pk_fma_f32 v[4:5], v[4:5], v[54:55], v[16:17] op_sel:[0,0,1] op_sel_hi:[1,0,0]
	v_mov_b32_e32 v19, v5
	v_pk_add_f32 v[4:5], v[14:15], v[18:19]
	v_mov_b32_e32 v14, v53
	v_pk_mul_f32 v[14:15], v[6:7], v[14:15] op_sel_hi:[1,0]
	v_pk_fma_f32 v[16:17], v[6:7], v[52:53], v[14:15] op_sel:[0,0,1] op_sel_hi:[1,1,0] neg_lo:[0,0,1] neg_hi:[0,0,1]
	v_pk_fma_f32 v[6:7], v[6:7], v[52:53], v[14:15] op_sel:[0,0,1] op_sel_hi:[1,0,0]
	v_mov_b32_e32 v6, v51
	v_mov_b32_e32 v17, v7
	s_waitcnt lgkmcnt(1)
	v_pk_mul_f32 v[6:7], v[8:9], v[6:7] op_sel_hi:[1,0]
	v_pk_fma_f32 v[14:15], v[8:9], v[50:51], v[6:7] op_sel:[0,0,1] op_sel_hi:[1,1,0] neg_lo:[0,0,1] neg_hi:[0,0,1]
	v_pk_fma_f32 v[6:7], v[8:9], v[50:51], v[6:7] op_sel:[0,0,1] op_sel_hi:[1,0,0]
	s_waitcnt vmcnt(1)
	v_mov_b32_e32 v6, v65
	v_mov_b32_e32 v15, v7
	v_pk_mul_f32 v[6:7], v[10:11], v[6:7] op_sel_hi:[1,0]
	s_waitcnt vmcnt(0)
	v_pk_fma_f32 v[8:9], v[10:11], v[64:65], v[6:7] op_sel:[0,0,1] op_sel_hi:[1,1,0] neg_lo:[0,0,1] neg_hi:[0,0,1]
	v_pk_fma_f32 v[6:7], v[10:11], v[64:65], v[6:7] op_sel:[0,0,1] op_sel_hi:[1,0,0]
	v_pk_add_f32 v[4:5], v[4:5], v[16:17]
	v_mov_b32_e32 v6, v63
	v_pk_add_f32 v[4:5], v[4:5], v[14:15]
	v_mov_b32_e32 v9, v7
	s_waitcnt lgkmcnt(0)
	v_pk_mul_f32 v[6:7], v[12:13], v[6:7] op_sel_hi:[1,0]
	v_pk_add_f32 v[4:5], v[4:5], v[8:9]
	v_pk_fma_f32 v[8:9], v[12:13], v[62:63], v[6:7] op_sel:[0,0,1] op_sel_hi:[1,1,0] neg_lo:[0,0,1] neg_hi:[0,0,1]
	v_pk_fma_f32 v[6:7], v[12:13], v[62:63], v[6:7] op_sel:[0,0,1] op_sel_hi:[1,0,0]
	v_mov_b32_e32 v9, v7
	v_pk_add_f32 v[4:5], v[4:5], v[8:9]
	v_pk_add_f32 v[2:3], v[2:3], v[4:5] neg_lo:[0,1] neg_hi:[0,1]
	buffer_store_dword v3, off, s[0:3], 0 offset:212
	buffer_store_dword v2, off, s[0:3], 0 offset:208
	s_and_saveexec_b64 s[4:5], vcc
	s_cbranch_execz .LBB51_275
; %bb.274:
	buffer_load_dword v2, off, s[0:3], 0 offset:200
	buffer_load_dword v3, off, s[0:3], 0 offset:204
	s_waitcnt vmcnt(0)
	ds_write_b64 v129, v[2:3]
	buffer_store_dword v1, off, s[0:3], 0 offset:200
	buffer_store_dword v1, off, s[0:3], 0 offset:204
.LBB51_275:
	s_or_b64 exec, exec, s[4:5]
	s_waitcnt lgkmcnt(0)
	; wave barrier
	s_waitcnt lgkmcnt(0)
	buffer_load_dword v54, off, s[0:3], 0 offset:212
	buffer_load_dword v56, off, s[0:3], 0 offset:220
	;; [unrolled: 1-line block ×38, first 2 shown]
	ds_read_b128 v[2:5], v1 offset:624
	ds_read_b128 v[6:9], v1 offset:640
	;; [unrolled: 1-line block ×8, first 2 shown]
	buffer_load_dword v45, off, s[0:3], 0 offset:356
	buffer_load_dword v44, off, s[0:3], 0 offset:352
	;; [unrolled: 1-line block ×4, first 2 shown]
	v_cmp_lt_u32_e32 vcc, 24, v0
	s_waitcnt vmcnt(41) lgkmcnt(7)
	v_mul_f32_e32 v34, v2, v54
	s_waitcnt vmcnt(40)
	v_mul_f32_e32 v35, v4, v56
	s_waitcnt vmcnt(39) lgkmcnt(6)
	v_mul_f32_e32 v36, v6, v58
	s_waitcnt vmcnt(38)
	v_mul_f32_e32 v37, v8, v66
	;; [unrolled: 4-line block ×7, first 2 shown]
	s_waitcnt vmcnt(27) lgkmcnt(0)
	v_mul_f32_e32 v55, v30, v77
	s_waitcnt vmcnt(26)
	v_fmac_f32_e32 v34, v3, v78
	s_waitcnt vmcnt(25)
	v_fmac_f32_e32 v35, v5, v79
	v_add_f32_e32 v34, 0, v34
	s_waitcnt vmcnt(24)
	v_fmac_f32_e32 v36, v7, v80
	v_add_f32_e32 v34, v34, v35
	;; [unrolled: 3-line block ×13, first 2 shown]
	v_add_f32_e32 v34, v34, v53
	buffer_load_dword v49, off, s[0:3], 0 offset:380
	buffer_load_dword v48, off, s[0:3], 0 offset:376
	buffer_load_dword v51, off, s[0:3], 0 offset:372
	buffer_load_dword v50, off, s[0:3], 0 offset:368
	buffer_load_dword v53, off, s[0:3], 0 offset:364
	buffer_load_dword v52, off, s[0:3], 0 offset:360
	s_waitcnt vmcnt(18)
	v_fmac_f32_e32 v55, v31, v92
	s_waitcnt vmcnt(17)
	v_mul_f32_e32 v39, v32, v93
	v_add_f32_e32 v38, v34, v55
	s_waitcnt vmcnt(16)
	v_fmac_f32_e32 v39, v33, v94
	ds_read_b128 v[34:37], v1 offset:752
	v_add_f32_e32 v55, v38, v39
	ds_read_b128 v[38:41], v1 offset:768
	buffer_load_dword v61, off, s[0:3], 0 offset:412
	buffer_load_dword v60, off, s[0:3], 0 offset:408
	;; [unrolled: 1-line block ×6, first 2 shown]
	v_mul_f32_e32 v3, v3, v54
	v_fma_f32 v2, v2, v78, -v3
	v_mul_f32_e32 v3, v5, v56
	v_add_f32_e32 v2, 0, v2
	v_fma_f32 v3, v4, v79, -v3
	v_add_f32_e32 v2, v2, v3
	v_mul_f32_e32 v3, v7, v58
	v_fma_f32 v3, v6, v80, -v3
	v_add_f32_e32 v2, v2, v3
	v_mul_f32_e32 v3, v9, v66
	;; [unrolled: 3-line block ×14, first 2 shown]
	v_fma_f32 v3, v32, v94, -v3
	s_waitcnt vmcnt(15)
	v_mov_b32_e32 v16, v45
	s_waitcnt lgkmcnt(1)
	v_mul_f32_e32 v57, v34, v95
	v_add_f32_e32 v54, v2, v3
	v_mul_f32_e32 v2, v35, v95
	s_waitcnt lgkmcnt(0)
	v_pk_mul_f32 v[16:17], v[38:39], v[16:17] op_sel_hi:[1,0]
	v_fmac_f32_e32 v57, v35, v96
	v_mul_f32_e32 v59, v36, v97
	v_fma_f32 v56, v34, v96, -v2
	v_mul_f32_e32 v2, v37, v97
	s_waitcnt vmcnt(14)
	v_pk_fma_f32 v[18:19], v[38:39], v[44:45], v[16:17] op_sel:[0,0,1] op_sel_hi:[1,1,0] neg_lo:[0,0,1] neg_hi:[0,0,1]
	v_pk_fma_f32 v[16:17], v[38:39], v[44:45], v[16:17] op_sel:[0,0,1] op_sel_hi:[1,0,0]
	v_fmac_f32_e32 v59, v37, v98
	v_fma_f32 v58, v36, v98, -v2
	v_pk_add_f32 v[14:15], v[54:55], v[56:57]
	ds_read_b128 v[2:5], v1 offset:784
	ds_read_b128 v[6:9], v1 offset:800
	;; [unrolled: 1-line block ×3, first 2 shown]
	v_pk_add_f32 v[14:15], v[14:15], v[58:59]
	v_mov_b32_e32 v19, v17
	v_pk_add_f32 v[14:15], v[14:15], v[18:19]
	s_waitcnt vmcnt(7)
	v_mov_b32_e32 v16, v53
	v_pk_mul_f32 v[16:17], v[40:41], v[16:17] op_sel_hi:[1,0]
	s_waitcnt vmcnt(6)
	v_pk_fma_f32 v[18:19], v[40:41], v[52:53], v[16:17] op_sel:[0,0,1] op_sel_hi:[1,1,0] neg_lo:[0,0,1] neg_hi:[0,0,1]
	v_pk_fma_f32 v[16:17], v[40:41], v[52:53], v[16:17] op_sel:[0,0,1] op_sel_hi:[1,0,0]
	v_mov_b32_e32 v16, v51
	v_mov_b32_e32 v19, v17
	s_waitcnt lgkmcnt(2)
	v_pk_mul_f32 v[16:17], v[2:3], v[16:17] op_sel_hi:[1,0]
	v_pk_add_f32 v[14:15], v[14:15], v[18:19]
	v_pk_fma_f32 v[18:19], v[2:3], v[50:51], v[16:17] op_sel:[0,0,1] op_sel_hi:[1,1,0] neg_lo:[0,0,1] neg_hi:[0,0,1]
	v_pk_fma_f32 v[2:3], v[2:3], v[50:51], v[16:17] op_sel:[0,0,1] op_sel_hi:[1,0,0]
	v_mov_b32_e32 v19, v3
	v_pk_add_f32 v[2:3], v[14:15], v[18:19]
	v_mov_b32_e32 v14, v49
	v_pk_mul_f32 v[14:15], v[4:5], v[14:15] op_sel_hi:[1,0]
	v_pk_fma_f32 v[16:17], v[4:5], v[48:49], v[14:15] op_sel:[0,0,1] op_sel_hi:[1,1,0] neg_lo:[0,0,1] neg_hi:[0,0,1]
	v_pk_fma_f32 v[4:5], v[4:5], v[48:49], v[14:15] op_sel:[0,0,1] op_sel_hi:[1,0,0]
	v_mov_b32_e32 v4, v47
	v_mov_b32_e32 v17, v5
	s_waitcnt lgkmcnt(1)
	v_pk_mul_f32 v[4:5], v[6:7], v[4:5] op_sel_hi:[1,0]
	v_pk_fma_f32 v[14:15], v[6:7], v[46:47], v[4:5] op_sel:[0,0,1] op_sel_hi:[1,1,0] neg_lo:[0,0,1] neg_hi:[0,0,1]
	v_pk_fma_f32 v[4:5], v[6:7], v[46:47], v[4:5] op_sel:[0,0,1] op_sel_hi:[1,0,0]
	s_waitcnt vmcnt(1)
	v_mov_b32_e32 v4, v65
	v_mov_b32_e32 v15, v5
	v_pk_mul_f32 v[4:5], v[8:9], v[4:5] op_sel_hi:[1,0]
	s_waitcnt vmcnt(0)
	v_pk_fma_f32 v[6:7], v[8:9], v[64:65], v[4:5] op_sel:[0,0,1] op_sel_hi:[1,1,0] neg_lo:[0,0,1] neg_hi:[0,0,1]
	v_pk_fma_f32 v[4:5], v[8:9], v[64:65], v[4:5] op_sel:[0,0,1] op_sel_hi:[1,0,0]
	v_pk_add_f32 v[2:3], v[2:3], v[16:17]
	v_mov_b32_e32 v4, v63
	v_pk_add_f32 v[2:3], v[2:3], v[14:15]
	v_mov_b32_e32 v7, v5
	s_waitcnt lgkmcnt(0)
	v_pk_mul_f32 v[4:5], v[10:11], v[4:5] op_sel_hi:[1,0]
	v_pk_add_f32 v[2:3], v[2:3], v[6:7]
	v_pk_fma_f32 v[6:7], v[10:11], v[62:63], v[4:5] op_sel:[0,0,1] op_sel_hi:[1,1,0] neg_lo:[0,0,1] neg_hi:[0,0,1]
	v_pk_fma_f32 v[4:5], v[10:11], v[62:63], v[4:5] op_sel:[0,0,1] op_sel_hi:[1,0,0]
	v_mov_b32_e32 v4, v61
	v_mov_b32_e32 v7, v5
	v_pk_mul_f32 v[4:5], v[12:13], v[4:5] op_sel_hi:[1,0]
	v_pk_add_f32 v[2:3], v[2:3], v[6:7]
	v_pk_fma_f32 v[6:7], v[12:13], v[60:61], v[4:5] op_sel:[0,0,1] op_sel_hi:[1,1,0] neg_lo:[0,0,1] neg_hi:[0,0,1]
	v_pk_fma_f32 v[4:5], v[12:13], v[60:61], v[4:5] op_sel:[0,0,1] op_sel_hi:[1,0,0]
	v_mov_b32_e32 v7, v5
	v_pk_add_f32 v[2:3], v[2:3], v[6:7]
	v_pk_add_f32 v[2:3], v[42:43], v[2:3] neg_lo:[0,1] neg_hi:[0,1]
	buffer_store_dword v3, off, s[0:3], 0 offset:204
	buffer_store_dword v2, off, s[0:3], 0 offset:200
	s_and_saveexec_b64 s[4:5], vcc
	s_cbranch_execz .LBB51_277
; %bb.276:
	buffer_load_dword v2, off, s[0:3], 0 offset:192
	buffer_load_dword v3, off, s[0:3], 0 offset:196
	v_mov_b32_e32 v1, 0
	buffer_store_dword v1, off, s[0:3], 0 offset:192
	buffer_store_dword v1, off, s[0:3], 0 offset:196
	s_waitcnt vmcnt(2)
	ds_write_b64 v129, v[2:3]
.LBB51_277:
	s_or_b64 exec, exec, s[4:5]
	s_waitcnt lgkmcnt(0)
	; wave barrier
	s_waitcnt lgkmcnt(0)
	buffer_load_dword v52, off, s[0:3], 0 offset:204
	buffer_load_dword v54, off, s[0:3], 0 offset:212
	;; [unrolled: 1-line block ×40, first 2 shown]
	v_mov_b32_e32 v1, 0
	ds_read2_b64 v[4:7], v1 offset0:77 offset1:78
	ds_read2_b64 v[8:11], v1 offset0:79 offset1:80
	;; [unrolled: 1-line block ×8, first 2 shown]
	v_cmp_lt_u32_e32 vcc, 23, v0
	s_waitcnt vmcnt(39) lgkmcnt(7)
	v_mul_f32_e32 v36, v4, v52
	s_waitcnt vmcnt(38)
	v_mul_f32_e32 v37, v6, v54
	s_waitcnt vmcnt(37) lgkmcnt(6)
	v_mul_f32_e32 v38, v8, v56
	s_waitcnt vmcnt(36)
	v_mul_f32_e32 v39, v10, v66
	;; [unrolled: 4-line block ×8, first 2 shown]
	s_waitcnt vmcnt(23)
	v_fmac_f32_e32 v36, v5, v79
	s_waitcnt vmcnt(22)
	v_fmac_f32_e32 v37, v7, v80
	v_add_f32_e32 v36, 0, v36
	s_waitcnt vmcnt(21)
	v_fmac_f32_e32 v38, v9, v81
	v_add_f32_e32 v36, v36, v37
	;; [unrolled: 3-line block ×14, first 2 shown]
	v_add_f32_e32 v36, v36, v50
	s_waitcnt vmcnt(8)
	v_fmac_f32_e32 v51, v35, v94
	v_add_f32_e32 v53, v36, v51
	ds_read2_b64 v[36:39], v1 offset0:93 offset1:94
	buffer_load_dword v45, off, s[0:3], 0 offset:356
	buffer_load_dword v47, off, s[0:3], 0 offset:380
	;; [unrolled: 1-line block ×8, first 2 shown]
	ds_read2_b64 v[40:43], v1 offset0:95 offset1:96
	buffer_load_dword v59, off, s[0:3], 0 offset:412
	buffer_load_dword v58, off, s[0:3], 0 offset:408
	;; [unrolled: 1-line block ×8, first 2 shown]
	v_mul_f32_e32 v5, v5, v52
	v_fma_f32 v4, v4, v79, -v5
	v_mul_f32_e32 v5, v7, v54
	v_add_f32_e32 v4, 0, v4
	v_fma_f32 v5, v6, v80, -v5
	v_add_f32_e32 v4, v4, v5
	v_mul_f32_e32 v5, v9, v56
	v_fma_f32 v5, v8, v81, -v5
	v_add_f32_e32 v4, v4, v5
	v_mul_f32_e32 v5, v11, v66
	;; [unrolled: 3-line block ×14, first 2 shown]
	v_fma_f32 v5, v34, v94, -v5
	v_add_f32_e32 v4, v4, v5
	s_waitcnt vmcnt(23) lgkmcnt(1)
	v_mul_f32_e32 v5, v37, v95
	v_mul_f32_e32 v55, v36, v95
	s_waitcnt vmcnt(22)
	v_fma_f32 v5, v36, v96, -v5
	v_fmac_f32_e32 v55, v37, v96
	v_add_f32_e32 v52, v4, v5
	s_waitcnt vmcnt(21)
	v_mul_f32_e32 v4, v39, v97
	v_add_f32_e32 v53, v53, v55
	v_mul_f32_e32 v55, v38, v97
	s_waitcnt vmcnt(20)
	v_fma_f32 v54, v38, v98, -v4
	s_waitcnt vmcnt(19) lgkmcnt(0)
	v_mul_f32_e32 v4, v41, v99
	v_fmac_f32_e32 v55, v39, v98
	v_mul_f32_e32 v57, v40, v99
	s_waitcnt vmcnt(18)
	v_fma_f32 v56, v40, v100, -v4
	ds_read2_b64 v[4:7], v1 offset0:97 offset1:98
	ds_read2_b64 v[8:11], v1 offset0:99 offset1:100
	;; [unrolled: 1-line block ×3, first 2 shown]
	ds_read_b64 v[16:17], v1 offset:824
	v_fmac_f32_e32 v57, v41, v100
	v_pk_add_f32 v[18:19], v[52:53], v[54:55]
	v_pk_add_f32 v[18:19], v[18:19], v[56:57]
	s_waitcnt vmcnt(15)
	v_mov_b32_e32 v20, v45
	v_pk_mul_f32 v[20:21], v[42:43], v[20:21] op_sel_hi:[1,0]
	s_waitcnt vmcnt(8)
	v_pk_fma_f32 v[22:23], v[42:43], v[44:45], v[20:21] op_sel:[0,0,1] op_sel_hi:[1,1,0] neg_lo:[0,0,1] neg_hi:[0,0,1]
	v_pk_fma_f32 v[20:21], v[42:43], v[44:45], v[20:21] op_sel:[0,0,1] op_sel_hi:[1,0,0]
	v_mov_b32_e32 v20, v51
	v_mov_b32_e32 v23, v21
	s_waitcnt lgkmcnt(3)
	v_pk_mul_f32 v[20:21], v[4:5], v[20:21] op_sel_hi:[1,0]
	v_pk_add_f32 v[18:19], v[18:19], v[22:23]
	v_pk_fma_f32 v[22:23], v[4:5], v[50:51], v[20:21] op_sel:[0,0,1] op_sel_hi:[1,1,0] neg_lo:[0,0,1] neg_hi:[0,0,1]
	v_pk_fma_f32 v[4:5], v[4:5], v[50:51], v[20:21] op_sel:[0,0,1] op_sel_hi:[1,0,0]
	v_mov_b32_e32 v23, v5
	v_pk_add_f32 v[4:5], v[18:19], v[22:23]
	v_mov_b32_e32 v18, v49
	v_pk_mul_f32 v[18:19], v[6:7], v[18:19] op_sel_hi:[1,0]
	v_pk_fma_f32 v[20:21], v[6:7], v[48:49], v[18:19] op_sel:[0,0,1] op_sel_hi:[1,1,0] neg_lo:[0,0,1] neg_hi:[0,0,1]
	v_pk_fma_f32 v[6:7], v[6:7], v[48:49], v[18:19] op_sel:[0,0,1] op_sel_hi:[1,0,0]
	v_mov_b32_e32 v6, v47
	v_mov_b32_e32 v21, v7
	s_waitcnt lgkmcnt(2)
	v_pk_mul_f32 v[6:7], v[8:9], v[6:7] op_sel_hi:[1,0]
	v_pk_fma_f32 v[18:19], v[8:9], v[46:47], v[6:7] op_sel:[0,0,1] op_sel_hi:[1,1,0] neg_lo:[0,0,1] neg_hi:[0,0,1]
	v_pk_fma_f32 v[6:7], v[8:9], v[46:47], v[6:7] op_sel:[0,0,1] op_sel_hi:[1,0,0]
	s_waitcnt vmcnt(1)
	v_mov_b32_e32 v6, v65
	v_mov_b32_e32 v19, v7
	v_pk_mul_f32 v[6:7], v[10:11], v[6:7] op_sel_hi:[1,0]
	s_waitcnt vmcnt(0)
	v_pk_fma_f32 v[8:9], v[10:11], v[64:65], v[6:7] op_sel:[0,0,1] op_sel_hi:[1,1,0] neg_lo:[0,0,1] neg_hi:[0,0,1]
	v_pk_fma_f32 v[6:7], v[10:11], v[64:65], v[6:7] op_sel:[0,0,1] op_sel_hi:[1,0,0]
	v_pk_add_f32 v[4:5], v[4:5], v[20:21]
	v_mov_b32_e32 v6, v63
	v_pk_add_f32 v[4:5], v[4:5], v[18:19]
	v_mov_b32_e32 v9, v7
	s_waitcnt lgkmcnt(1)
	v_pk_mul_f32 v[6:7], v[12:13], v[6:7] op_sel_hi:[1,0]
	v_pk_add_f32 v[4:5], v[4:5], v[8:9]
	v_pk_fma_f32 v[8:9], v[12:13], v[62:63], v[6:7] op_sel:[0,0,1] op_sel_hi:[1,1,0] neg_lo:[0,0,1] neg_hi:[0,0,1]
	v_pk_fma_f32 v[6:7], v[12:13], v[62:63], v[6:7] op_sel:[0,0,1] op_sel_hi:[1,0,0]
	v_mov_b32_e32 v6, v61
	v_mov_b32_e32 v9, v7
	v_pk_mul_f32 v[6:7], v[14:15], v[6:7] op_sel_hi:[1,0]
	v_pk_add_f32 v[4:5], v[4:5], v[8:9]
	v_pk_fma_f32 v[8:9], v[14:15], v[60:61], v[6:7] op_sel:[0,0,1] op_sel_hi:[1,1,0] neg_lo:[0,0,1] neg_hi:[0,0,1]
	v_pk_fma_f32 v[6:7], v[14:15], v[60:61], v[6:7] op_sel:[0,0,1] op_sel_hi:[1,0,0]
	v_mov_b32_e32 v6, v59
	v_mov_b32_e32 v9, v7
	s_waitcnt lgkmcnt(0)
	v_pk_mul_f32 v[6:7], v[16:17], v[6:7] op_sel_hi:[1,0]
	v_pk_add_f32 v[4:5], v[4:5], v[8:9]
	v_pk_fma_f32 v[8:9], v[16:17], v[58:59], v[6:7] op_sel:[0,0,1] op_sel_hi:[1,1,0] neg_lo:[0,0,1] neg_hi:[0,0,1]
	v_pk_fma_f32 v[6:7], v[16:17], v[58:59], v[6:7] op_sel:[0,0,1] op_sel_hi:[1,0,0]
	v_mov_b32_e32 v9, v7
	v_pk_add_f32 v[4:5], v[4:5], v[8:9]
	v_pk_add_f32 v[2:3], v[2:3], v[4:5] neg_lo:[0,1] neg_hi:[0,1]
	buffer_store_dword v3, off, s[0:3], 0 offset:196
	buffer_store_dword v2, off, s[0:3], 0 offset:192
	s_and_saveexec_b64 s[4:5], vcc
	s_cbranch_execz .LBB51_279
; %bb.278:
	buffer_load_dword v2, off, s[0:3], 0 offset:184
	buffer_load_dword v3, off, s[0:3], 0 offset:188
	s_waitcnt vmcnt(0)
	ds_write_b64 v129, v[2:3]
	buffer_store_dword v1, off, s[0:3], 0 offset:184
	buffer_store_dword v1, off, s[0:3], 0 offset:188
.LBB51_279:
	s_or_b64 exec, exec, s[4:5]
	s_waitcnt lgkmcnt(0)
	; wave barrier
	s_waitcnt lgkmcnt(0)
	buffer_load_dword v44, off, s[0:3], 0 offset:196
	buffer_load_dword v46, off, s[0:3], 0 offset:204
	;; [unrolled: 1-line block ×42, first 2 shown]
	ds_read_b128 v[4:7], v1 offset:608
	ds_read_b128 v[8:11], v1 offset:624
	;; [unrolled: 1-line block ×8, first 2 shown]
	v_cmp_lt_u32_e32 vcc, 22, v0
	s_waitcnt vmcnt(41) lgkmcnt(7)
	v_mul_f32_e32 v36, v4, v44
	s_waitcnt vmcnt(40)
	v_mul_f32_e32 v37, v6, v46
	s_waitcnt vmcnt(39) lgkmcnt(6)
	v_mul_f32_e32 v38, v8, v54
	s_waitcnt vmcnt(38)
	v_mul_f32_e32 v39, v10, v66
	;; [unrolled: 4-line block ×7, first 2 shown]
	s_waitcnt vmcnt(27) lgkmcnt(0)
	v_mul_f32_e32 v52, v32, v77
	s_waitcnt vmcnt(26)
	v_fmac_f32_e32 v36, v5, v78
	s_waitcnt vmcnt(25)
	v_fmac_f32_e32 v37, v7, v79
	v_add_f32_e32 v36, 0, v36
	s_waitcnt vmcnt(24)
	v_fmac_f32_e32 v38, v9, v80
	v_add_f32_e32 v36, v36, v37
	s_waitcnt vmcnt(23)
	v_fmac_f32_e32 v39, v11, v81
	v_add_f32_e32 v36, v36, v38
	s_waitcnt vmcnt(22)
	v_fmac_f32_e32 v40, v13, v82
	v_add_f32_e32 v36, v36, v39
	s_waitcnt vmcnt(21)
	v_fmac_f32_e32 v41, v15, v83
	v_add_f32_e32 v36, v36, v40
	s_waitcnt vmcnt(20)
	v_fmac_f32_e32 v42, v17, v84
	v_add_f32_e32 v36, v36, v41
	s_waitcnt vmcnt(19)
	v_fmac_f32_e32 v43, v19, v85
	v_add_f32_e32 v36, v36, v42
	s_waitcnt vmcnt(18)
	v_fmac_f32_e32 v45, v21, v86
	v_add_f32_e32 v36, v36, v43
	s_waitcnt vmcnt(17)
	v_fmac_f32_e32 v47, v23, v87
	v_add_f32_e32 v36, v36, v45
	s_waitcnt vmcnt(16)
	v_fmac_f32_e32 v48, v25, v88
	v_add_f32_e32 v36, v36, v47
	s_waitcnt vmcnt(15)
	v_fmac_f32_e32 v49, v27, v89
	v_add_f32_e32 v36, v36, v48
	s_waitcnt vmcnt(14)
	v_fmac_f32_e32 v50, v29, v90
	v_add_f32_e32 v36, v36, v49
	s_waitcnt vmcnt(13)
	v_fmac_f32_e32 v51, v31, v91
	v_add_f32_e32 v36, v36, v50
	s_waitcnt vmcnt(12)
	v_fmac_f32_e32 v52, v33, v92
	v_add_f32_e32 v36, v36, v51
	s_waitcnt vmcnt(11)
	v_mul_f32_e32 v41, v34, v93
	v_add_f32_e32 v40, v36, v52
	s_waitcnt vmcnt(10)
	v_fmac_f32_e32 v41, v35, v94
	ds_read_b128 v[36:39], v1 offset:736
	v_add_f32_e32 v45, v40, v41
	ds_read_b128 v[40:43], v1 offset:752
	buffer_load_dword v49, off, s[0:3], 0 offset:356
	buffer_load_dword v51, off, s[0:3], 0 offset:372
	;; [unrolled: 1-line block ×16, first 2 shown]
	v_mul_f32_e32 v5, v5, v44
	v_fma_f32 v4, v4, v78, -v5
	v_mul_f32_e32 v5, v7, v46
	v_add_f32_e32 v4, 0, v4
	v_fma_f32 v5, v6, v79, -v5
	v_add_f32_e32 v4, v4, v5
	v_mul_f32_e32 v5, v9, v54
	v_fma_f32 v5, v8, v80, -v5
	v_add_f32_e32 v4, v4, v5
	v_mul_f32_e32 v5, v11, v66
	;; [unrolled: 3-line block ×14, first 2 shown]
	v_fma_f32 v5, v34, v94, -v5
	v_add_f32_e32 v4, v4, v5
	s_waitcnt vmcnt(25) lgkmcnt(1)
	v_mul_f32_e32 v5, v37, v95
	s_waitcnt vmcnt(24)
	v_fma_f32 v5, v36, v96, -v5
	v_add_f32_e32 v4, v4, v5
	s_waitcnt vmcnt(23)
	v_mul_f32_e32 v5, v39, v97
	v_mul_f32_e32 v47, v36, v95
	s_waitcnt vmcnt(22)
	v_fma_f32 v5, v38, v98, -v5
	v_fmac_f32_e32 v47, v37, v96
	v_add_f32_e32 v44, v4, v5
	s_waitcnt vmcnt(21) lgkmcnt(0)
	v_mul_f32_e32 v4, v41, v99
	v_add_f32_e32 v45, v45, v47
	v_mul_f32_e32 v47, v38, v97
	s_waitcnt vmcnt(20)
	v_fma_f32 v46, v40, v100, -v4
	s_waitcnt vmcnt(19)
	v_mul_f32_e32 v4, v43, v101
	v_fmac_f32_e32 v47, v39, v98
	s_waitcnt vmcnt(18)
	v_fma_f32 v54, v42, v102, -v4
	ds_read_b128 v[4:7], v1 offset:768
	ds_read_b128 v[8:11], v1 offset:784
	ds_read_b128 v[12:15], v1 offset:800
	ds_read_b128 v[16:19], v1 offset:816
	v_add_f32_e32 v45, v45, v47
	v_mul_f32_e32 v47, v40, v99
	v_fmac_f32_e32 v47, v41, v100
	v_mul_f32_e32 v55, v42, v101
	v_fmac_f32_e32 v55, v43, v102
	v_pk_add_f32 v[20:21], v[44:45], v[46:47]
	v_pk_add_f32 v[20:21], v[20:21], v[54:55]
	s_waitcnt vmcnt(15)
	v_mov_b32_e32 v22, v49
	s_waitcnt lgkmcnt(3)
	v_pk_mul_f32 v[22:23], v[4:5], v[22:23] op_sel_hi:[1,0]
	s_waitcnt vmcnt(10)
	v_pk_fma_f32 v[24:25], v[4:5], v[48:49], v[22:23] op_sel:[0,0,1] op_sel_hi:[1,1,0] neg_lo:[0,0,1] neg_hi:[0,0,1]
	v_pk_fma_f32 v[4:5], v[4:5], v[48:49], v[22:23] op_sel:[0,0,1] op_sel_hi:[1,0,0]
	v_mov_b32_e32 v25, v5
	v_pk_add_f32 v[4:5], v[20:21], v[24:25]
	v_mov_b32_e32 v20, v53
	v_pk_mul_f32 v[20:21], v[6:7], v[20:21] op_sel_hi:[1,0]
	v_pk_fma_f32 v[22:23], v[6:7], v[52:53], v[20:21] op_sel:[0,0,1] op_sel_hi:[1,1,0] neg_lo:[0,0,1] neg_hi:[0,0,1]
	v_pk_fma_f32 v[6:7], v[6:7], v[52:53], v[20:21] op_sel:[0,0,1] op_sel_hi:[1,0,0]
	v_mov_b32_e32 v6, v51
	v_mov_b32_e32 v23, v7
	s_waitcnt lgkmcnt(2)
	v_pk_mul_f32 v[6:7], v[8:9], v[6:7] op_sel_hi:[1,0]
	v_pk_fma_f32 v[20:21], v[8:9], v[50:51], v[6:7] op_sel:[0,0,1] op_sel_hi:[1,1,0] neg_lo:[0,0,1] neg_hi:[0,0,1]
	v_pk_fma_f32 v[6:7], v[8:9], v[50:51], v[6:7] op_sel:[0,0,1] op_sel_hi:[1,0,0]
	s_waitcnt vmcnt(3)
	v_mov_b32_e32 v6, v63
	v_mov_b32_e32 v21, v7
	v_pk_mul_f32 v[6:7], v[10:11], v[6:7] op_sel_hi:[1,0]
	s_waitcnt vmcnt(2)
	v_pk_fma_f32 v[8:9], v[10:11], v[62:63], v[6:7] op_sel:[0,0,1] op_sel_hi:[1,1,0] neg_lo:[0,0,1] neg_hi:[0,0,1]
	v_pk_fma_f32 v[6:7], v[10:11], v[62:63], v[6:7] op_sel:[0,0,1] op_sel_hi:[1,0,0]
	v_pk_add_f32 v[4:5], v[4:5], v[22:23]
	v_mov_b32_e32 v6, v61
	v_pk_add_f32 v[4:5], v[4:5], v[20:21]
	v_mov_b32_e32 v9, v7
	s_waitcnt lgkmcnt(1)
	v_pk_mul_f32 v[6:7], v[12:13], v[6:7] op_sel_hi:[1,0]
	v_pk_add_f32 v[4:5], v[4:5], v[8:9]
	v_pk_fma_f32 v[8:9], v[12:13], v[60:61], v[6:7] op_sel:[0,0,1] op_sel_hi:[1,1,0] neg_lo:[0,0,1] neg_hi:[0,0,1]
	v_pk_fma_f32 v[6:7], v[12:13], v[60:61], v[6:7] op_sel:[0,0,1] op_sel_hi:[1,0,0]
	v_mov_b32_e32 v6, v59
	v_mov_b32_e32 v9, v7
	v_pk_mul_f32 v[6:7], v[14:15], v[6:7] op_sel_hi:[1,0]
	v_pk_add_f32 v[4:5], v[4:5], v[8:9]
	v_pk_fma_f32 v[8:9], v[14:15], v[58:59], v[6:7] op_sel:[0,0,1] op_sel_hi:[1,1,0] neg_lo:[0,0,1] neg_hi:[0,0,1]
	v_pk_fma_f32 v[6:7], v[14:15], v[58:59], v[6:7] op_sel:[0,0,1] op_sel_hi:[1,0,0]
	v_mov_b32_e32 v6, v57
	v_mov_b32_e32 v9, v7
	s_waitcnt lgkmcnt(0)
	v_pk_mul_f32 v[6:7], v[16:17], v[6:7] op_sel_hi:[1,0]
	v_pk_add_f32 v[4:5], v[4:5], v[8:9]
	v_pk_fma_f32 v[8:9], v[16:17], v[56:57], v[6:7] op_sel:[0,0,1] op_sel_hi:[1,1,0] neg_lo:[0,0,1] neg_hi:[0,0,1]
	v_pk_fma_f32 v[6:7], v[16:17], v[56:57], v[6:7] op_sel:[0,0,1] op_sel_hi:[1,0,0]
	s_waitcnt vmcnt(1)
	v_mov_b32_e32 v6, v65
	v_mov_b32_e32 v9, v7
	v_pk_mul_f32 v[6:7], v[18:19], v[6:7] op_sel_hi:[1,0]
	v_pk_add_f32 v[4:5], v[4:5], v[8:9]
	s_waitcnt vmcnt(0)
	v_pk_fma_f32 v[8:9], v[18:19], v[64:65], v[6:7] op_sel:[0,0,1] op_sel_hi:[1,1,0] neg_lo:[0,0,1] neg_hi:[0,0,1]
	v_pk_fma_f32 v[6:7], v[18:19], v[64:65], v[6:7] op_sel:[0,0,1] op_sel_hi:[1,0,0]
	v_mov_b32_e32 v9, v7
	v_pk_add_f32 v[4:5], v[4:5], v[8:9]
	v_pk_add_f32 v[2:3], v[2:3], v[4:5] neg_lo:[0,1] neg_hi:[0,1]
	buffer_store_dword v3, off, s[0:3], 0 offset:188
	buffer_store_dword v2, off, s[0:3], 0 offset:184
	s_and_saveexec_b64 s[4:5], vcc
	s_cbranch_execz .LBB51_281
; %bb.280:
	buffer_load_dword v2, off, s[0:3], 0 offset:176
	buffer_load_dword v3, off, s[0:3], 0 offset:180
	v_mov_b32_e32 v1, 0
	buffer_store_dword v1, off, s[0:3], 0 offset:176
	buffer_store_dword v1, off, s[0:3], 0 offset:180
	s_waitcnt vmcnt(2)
	ds_write_b64 v129, v[2:3]
.LBB51_281:
	s_or_b64 exec, exec, s[4:5]
	s_waitcnt lgkmcnt(0)
	; wave barrier
	s_waitcnt lgkmcnt(0)
	buffer_load_dword v52, off, s[0:3], 0 offset:188
	buffer_load_dword v58, off, s[0:3], 0 offset:196
	;; [unrolled: 1-line block ×44, first 2 shown]
	v_mov_b32_e32 v1, 0
	ds_read2_b64 v[4:7], v1 offset0:75 offset1:76
	ds_read2_b64 v[8:11], v1 offset0:77 offset1:78
	;; [unrolled: 1-line block ×8, first 2 shown]
	v_cmp_lt_u32_e32 vcc, 21, v0
	s_waitcnt vmcnt(43) lgkmcnt(7)
	v_mul_f32_e32 v36, v4, v52
	s_waitcnt vmcnt(42)
	v_mul_f32_e32 v37, v6, v58
	s_waitcnt vmcnt(41) lgkmcnt(6)
	v_mul_f32_e32 v38, v8, v60
	s_waitcnt vmcnt(40)
	v_mul_f32_e32 v39, v10, v74
	;; [unrolled: 4-line block ×7, first 2 shown]
	s_waitcnt vmcnt(29)
	v_fmac_f32_e32 v36, v5, v85
	s_waitcnt vmcnt(28)
	v_fmac_f32_e32 v37, v7, v86
	v_add_f32_e32 v36, 0, v36
	s_waitcnt vmcnt(27)
	v_fmac_f32_e32 v38, v9, v87
	v_add_f32_e32 v36, v36, v37
	;; [unrolled: 3-line block ×12, first 2 shown]
	v_add_f32_e32 v36, v36, v48
	s_waitcnt vmcnt(16)
	v_fmac_f32_e32 v49, v31, v98
	s_waitcnt vmcnt(15) lgkmcnt(0)
	v_mul_f32_e32 v37, v32, v99
	v_add_f32_e32 v36, v36, v49
	s_waitcnt vmcnt(14)
	v_fmac_f32_e32 v37, v33, v100
	v_add_f32_e32 v40, v36, v37
	ds_read2_b64 v[36:39], v1 offset0:91 offset1:92
	s_waitcnt vmcnt(13)
	v_mul_f32_e32 v41, v34, v101
	s_waitcnt vmcnt(12)
	v_fmac_f32_e32 v41, v35, v102
	v_add_f32_e32 v44, v40, v41
	ds_read2_b64 v[40:43], v1 offset0:93 offset1:94
	s_waitcnt vmcnt(11) lgkmcnt(1)
	v_mul_f32_e32 v45, v36, v103
	s_waitcnt vmcnt(10)
	v_fmac_f32_e32 v45, v37, v104
	v_add_f32_e32 v44, v44, v45
	s_waitcnt vmcnt(9)
	v_mul_f32_e32 v45, v38, v105
	s_waitcnt vmcnt(8)
	v_fmac_f32_e32 v45, v39, v106
	v_add_f32_e32 v44, v44, v45
	s_waitcnt vmcnt(7) lgkmcnt(0)
	v_mul_f32_e32 v45, v40, v107
	s_waitcnt vmcnt(6)
	v_fmac_f32_e32 v45, v41, v108
	v_add_f32_e32 v53, v44, v45
	ds_read2_b64 v[44:47], v1 offset0:95 offset1:96
	buffer_load_dword v55, off, s[0:3], 0 offset:364
	buffer_load_dword v54, off, s[0:3], 0 offset:360
	;; [unrolled: 1-line block ×4, first 2 shown]
	ds_read2_b64 v[48:51], v1 offset0:97 offset1:98
	buffer_load_dword v63, off, s[0:3], 0 offset:396
	buffer_load_dword v62, off, s[0:3], 0 offset:392
	;; [unrolled: 1-line block ×12, first 2 shown]
	v_mul_f32_e32 v5, v5, v52
	v_fma_f32 v4, v4, v85, -v5
	v_mul_f32_e32 v5, v7, v58
	v_add_f32_e32 v4, 0, v4
	v_fma_f32 v5, v6, v86, -v5
	v_add_f32_e32 v4, v4, v5
	v_mul_f32_e32 v5, v9, v60
	v_fma_f32 v5, v8, v87, -v5
	v_add_f32_e32 v4, v4, v5
	v_mul_f32_e32 v5, v11, v74
	;; [unrolled: 3-line block ×17, first 2 shown]
	v_fma_f32 v5, v40, v108, -v5
	s_waitcnt vmcnt(21)
	v_mul_f32_e32 v59, v42, v109
	v_add_f32_e32 v52, v4, v5
	v_mul_f32_e32 v4, v43, v109
	s_waitcnt vmcnt(20)
	v_fmac_f32_e32 v59, v43, v190
	s_waitcnt vmcnt(19) lgkmcnt(1)
	v_mul_f32_e32 v61, v44, v191
	v_fma_f32 v58, v42, v190, -v4
	v_mul_f32_e32 v4, v45, v191
	s_waitcnt vmcnt(18)
	v_fmac_f32_e32 v61, v45, v192
	v_fma_f32 v60, v44, v192, -v4
	v_pk_add_f32 v[14:15], v[52:53], v[58:59]
	v_pk_add_f32 v[14:15], v[14:15], v[60:61]
	ds_read2_b64 v[4:7], v1 offset0:99 offset1:100
	ds_read2_b64 v[8:11], v1 offset0:101 offset1:102
	ds_read_b64 v[12:13], v1 offset:824
	s_waitcnt vmcnt(13)
	v_mov_b32_e32 v16, v57
	v_pk_mul_f32 v[16:17], v[46:47], v[16:17] op_sel_hi:[1,0]
	s_waitcnt vmcnt(12)
	v_pk_fma_f32 v[18:19], v[46:47], v[56:57], v[16:17] op_sel:[0,0,1] op_sel_hi:[1,1,0] neg_lo:[0,0,1] neg_hi:[0,0,1]
	v_pk_fma_f32 v[16:17], v[46:47], v[56:57], v[16:17] op_sel:[0,0,1] op_sel_hi:[1,0,0]
	v_mov_b32_e32 v16, v55
	v_mov_b32_e32 v19, v17
	s_waitcnt lgkmcnt(3)
	v_pk_mul_f32 v[16:17], v[48:49], v[16:17] op_sel_hi:[1,0]
	v_pk_add_f32 v[14:15], v[14:15], v[18:19]
	v_pk_fma_f32 v[18:19], v[48:49], v[54:55], v[16:17] op_sel:[0,0,1] op_sel_hi:[1,1,0] neg_lo:[0,0,1] neg_hi:[0,0,1]
	v_pk_fma_f32 v[16:17], v[48:49], v[54:55], v[16:17] op_sel:[0,0,1] op_sel_hi:[1,0,0]
	s_waitcnt vmcnt(5)
	v_mov_b32_e32 v16, v69
	v_mov_b32_e32 v19, v17
	v_pk_mul_f32 v[16:17], v[50:51], v[16:17] op_sel_hi:[1,0]
	v_pk_add_f32 v[14:15], v[14:15], v[18:19]
	s_waitcnt vmcnt(4)
	v_pk_fma_f32 v[18:19], v[50:51], v[68:69], v[16:17] op_sel:[0,0,1] op_sel_hi:[1,1,0] neg_lo:[0,0,1] neg_hi:[0,0,1]
	v_pk_fma_f32 v[16:17], v[50:51], v[68:69], v[16:17] op_sel:[0,0,1] op_sel_hi:[1,0,0]
	v_mov_b32_e32 v16, v67
	v_mov_b32_e32 v19, v17
	s_waitcnt lgkmcnt(2)
	v_pk_mul_f32 v[16:17], v[4:5], v[16:17] op_sel_hi:[1,0]
	v_pk_add_f32 v[14:15], v[14:15], v[18:19]
	v_pk_fma_f32 v[18:19], v[4:5], v[66:67], v[16:17] op_sel:[0,0,1] op_sel_hi:[1,1,0] neg_lo:[0,0,1] neg_hi:[0,0,1]
	v_pk_fma_f32 v[4:5], v[4:5], v[66:67], v[16:17] op_sel:[0,0,1] op_sel_hi:[1,0,0]
	v_mov_b32_e32 v19, v5
	v_pk_add_f32 v[4:5], v[14:15], v[18:19]
	v_mov_b32_e32 v14, v65
	v_pk_mul_f32 v[14:15], v[6:7], v[14:15] op_sel_hi:[1,0]
	v_pk_fma_f32 v[16:17], v[6:7], v[64:65], v[14:15] op_sel:[0,0,1] op_sel_hi:[1,1,0] neg_lo:[0,0,1] neg_hi:[0,0,1]
	v_pk_fma_f32 v[6:7], v[6:7], v[64:65], v[14:15] op_sel:[0,0,1] op_sel_hi:[1,0,0]
	v_mov_b32_e32 v6, v63
	v_mov_b32_e32 v17, v7
	s_waitcnt lgkmcnt(1)
	v_pk_mul_f32 v[6:7], v[8:9], v[6:7] op_sel_hi:[1,0]
	v_pk_fma_f32 v[14:15], v[8:9], v[62:63], v[6:7] op_sel:[0,0,1] op_sel_hi:[1,1,0] neg_lo:[0,0,1] neg_hi:[0,0,1]
	v_pk_fma_f32 v[6:7], v[8:9], v[62:63], v[6:7] op_sel:[0,0,1] op_sel_hi:[1,0,0]
	s_waitcnt vmcnt(1)
	v_mov_b32_e32 v6, v73
	v_mov_b32_e32 v15, v7
	v_pk_mul_f32 v[6:7], v[10:11], v[6:7] op_sel_hi:[1,0]
	s_waitcnt vmcnt(0)
	v_pk_fma_f32 v[8:9], v[10:11], v[72:73], v[6:7] op_sel:[0,0,1] op_sel_hi:[1,1,0] neg_lo:[0,0,1] neg_hi:[0,0,1]
	v_pk_fma_f32 v[6:7], v[10:11], v[72:73], v[6:7] op_sel:[0,0,1] op_sel_hi:[1,0,0]
	v_pk_add_f32 v[4:5], v[4:5], v[16:17]
	v_mov_b32_e32 v6, v71
	v_pk_add_f32 v[4:5], v[4:5], v[14:15]
	v_mov_b32_e32 v9, v7
	s_waitcnt lgkmcnt(0)
	v_pk_mul_f32 v[6:7], v[12:13], v[6:7] op_sel_hi:[1,0]
	v_pk_add_f32 v[4:5], v[4:5], v[8:9]
	v_pk_fma_f32 v[8:9], v[12:13], v[70:71], v[6:7] op_sel:[0,0,1] op_sel_hi:[1,1,0] neg_lo:[0,0,1] neg_hi:[0,0,1]
	v_pk_fma_f32 v[6:7], v[12:13], v[70:71], v[6:7] op_sel:[0,0,1] op_sel_hi:[1,0,0]
	v_mov_b32_e32 v9, v7
	v_pk_add_f32 v[4:5], v[4:5], v[8:9]
	v_pk_add_f32 v[2:3], v[2:3], v[4:5] neg_lo:[0,1] neg_hi:[0,1]
	buffer_store_dword v3, off, s[0:3], 0 offset:180
	buffer_store_dword v2, off, s[0:3], 0 offset:176
	s_and_saveexec_b64 s[4:5], vcc
	s_cbranch_execz .LBB51_283
; %bb.282:
	buffer_load_dword v2, off, s[0:3], 0 offset:168
	buffer_load_dword v3, off, s[0:3], 0 offset:172
	s_waitcnt vmcnt(0)
	ds_write_b64 v129, v[2:3]
	buffer_store_dword v1, off, s[0:3], 0 offset:168
	buffer_store_dword v1, off, s[0:3], 0 offset:172
.LBB51_283:
	s_or_b64 exec, exec, s[4:5]
	s_waitcnt lgkmcnt(0)
	; wave barrier
	s_waitcnt lgkmcnt(0)
	buffer_load_dword v54, off, s[0:3], 0 offset:180
	buffer_load_dword v56, off, s[0:3], 0 offset:188
	;; [unrolled: 1-line block ×46, first 2 shown]
	ds_read_b128 v[4:7], v1 offset:592
	ds_read_b128 v[8:11], v1 offset:608
	;; [unrolled: 1-line block ×8, first 2 shown]
	v_cmp_lt_u32_e32 vcc, 20, v0
	s_waitcnt vmcnt(45) lgkmcnt(7)
	v_mul_f32_e32 v36, v4, v54
	s_waitcnt vmcnt(44)
	v_mul_f32_e32 v37, v6, v56
	s_waitcnt vmcnt(43) lgkmcnt(6)
	v_mul_f32_e32 v38, v8, v58
	s_waitcnt vmcnt(42)
	v_mul_f32_e32 v39, v10, v74
	;; [unrolled: 4-line block ×6, first 2 shown]
	s_waitcnt vmcnt(33) lgkmcnt(1)
	v_mul_f32_e32 v48, v28, v83
	s_waitcnt vmcnt(32)
	v_fmac_f32_e32 v36, v5, v84
	s_waitcnt vmcnt(31)
	v_fmac_f32_e32 v37, v7, v85
	v_add_f32_e32 v36, 0, v36
	s_waitcnt vmcnt(30)
	v_fmac_f32_e32 v38, v9, v86
	v_add_f32_e32 v36, v36, v37
	s_waitcnt vmcnt(29)
	v_fmac_f32_e32 v39, v11, v87
	v_add_f32_e32 v36, v36, v38
	s_waitcnt vmcnt(28)
	v_fmac_f32_e32 v40, v13, v88
	v_add_f32_e32 v36, v36, v39
	s_waitcnt vmcnt(27)
	v_fmac_f32_e32 v41, v15, v89
	v_add_f32_e32 v36, v36, v40
	s_waitcnt vmcnt(26)
	v_fmac_f32_e32 v42, v17, v90
	v_add_f32_e32 v36, v36, v41
	s_waitcnt vmcnt(25)
	v_fmac_f32_e32 v43, v19, v91
	v_add_f32_e32 v36, v36, v42
	s_waitcnt vmcnt(24)
	v_fmac_f32_e32 v44, v21, v92
	v_add_f32_e32 v36, v36, v43
	s_waitcnt vmcnt(23)
	v_fmac_f32_e32 v45, v23, v93
	v_add_f32_e32 v36, v36, v44
	s_waitcnt vmcnt(22)
	v_fmac_f32_e32 v46, v25, v94
	v_add_f32_e32 v36, v36, v45
	s_waitcnt vmcnt(21)
	v_fmac_f32_e32 v47, v27, v95
	v_add_f32_e32 v36, v36, v46
	s_waitcnt vmcnt(20)
	v_fmac_f32_e32 v48, v29, v96
	v_add_f32_e32 v36, v36, v47
	s_waitcnt vmcnt(19)
	v_mul_f32_e32 v37, v30, v97
	v_add_f32_e32 v36, v36, v48
	s_waitcnt vmcnt(18)
	v_fmac_f32_e32 v37, v31, v98
	v_add_f32_e32 v36, v36, v37
	s_waitcnt vmcnt(17) lgkmcnt(0)
	v_mul_f32_e32 v37, v32, v99
	s_waitcnt vmcnt(16)
	v_fmac_f32_e32 v37, v33, v100
	v_add_f32_e32 v40, v36, v37
	ds_read_b128 v[36:39], v1 offset:720
	s_waitcnt vmcnt(15)
	v_mul_f32_e32 v41, v34, v101
	s_waitcnt vmcnt(14)
	v_fmac_f32_e32 v41, v35, v102
	v_add_f32_e32 v44, v40, v41
	ds_read_b128 v[40:43], v1 offset:736
	buffer_load_dword v53, off, s[0:3], 0 offset:356
	buffer_load_dword v52, off, s[0:3], 0 offset:352
	s_waitcnt vmcnt(15) lgkmcnt(1)
	v_mul_f32_e32 v45, v36, v103
	s_waitcnt vmcnt(14)
	v_fmac_f32_e32 v45, v37, v104
	v_add_f32_e32 v44, v44, v45
	s_waitcnt vmcnt(13)
	v_mul_f32_e32 v45, v38, v105
	s_waitcnt vmcnt(12)
	v_fmac_f32_e32 v45, v39, v106
	v_add_f32_e32 v44, v44, v45
	s_waitcnt vmcnt(11) lgkmcnt(0)
	v_mul_f32_e32 v45, v40, v107
	s_waitcnt vmcnt(10)
	v_fmac_f32_e32 v45, v41, v108
	s_waitcnt vmcnt(9)
	v_mul_f32_e32 v49, v42, v109
	v_add_f32_e32 v48, v44, v45
	s_waitcnt vmcnt(8)
	v_fmac_f32_e32 v49, v43, v190
	ds_read_b128 v[44:47], v1 offset:752
	v_add_f32_e32 v55, v48, v49
	ds_read_b128 v[48:51], v1 offset:768
	buffer_load_dword v61, off, s[0:3], 0 offset:388
	buffer_load_dword v60, off, s[0:3], 0 offset:384
	;; [unrolled: 1-line block ×14, first 2 shown]
	v_mul_f32_e32 v5, v5, v54
	v_fma_f32 v4, v4, v84, -v5
	v_mul_f32_e32 v5, v7, v56
	v_add_f32_e32 v4, 0, v4
	v_fma_f32 v5, v6, v85, -v5
	v_add_f32_e32 v4, v4, v5
	v_mul_f32_e32 v5, v9, v58
	v_fma_f32 v5, v8, v86, -v5
	v_add_f32_e32 v4, v4, v5
	v_mul_f32_e32 v5, v11, v74
	;; [unrolled: 3-line block ×18, first 2 shown]
	v_fma_f32 v5, v42, v190, -v5
	s_waitcnt vmcnt(21) lgkmcnt(1)
	v_mul_f32_e32 v57, v44, v191
	v_add_f32_e32 v54, v4, v5
	v_mul_f32_e32 v4, v45, v191
	s_waitcnt vmcnt(20)
	v_fmac_f32_e32 v57, v45, v192
	s_waitcnt vmcnt(15)
	v_mov_b32_e32 v18, v53
	s_waitcnt lgkmcnt(0)
	v_pk_mul_f32 v[18:19], v[48:49], v[18:19] op_sel_hi:[1,0]
	v_mul_f32_e32 v59, v46, v193
	v_fma_f32 v56, v44, v192, -v4
	v_mul_f32_e32 v4, v47, v193
	s_waitcnt vmcnt(14)
	v_pk_fma_f32 v[20:21], v[48:49], v[52:53], v[18:19] op_sel:[0,0,1] op_sel_hi:[1,1,0] neg_lo:[0,0,1] neg_hi:[0,0,1]
	v_pk_fma_f32 v[18:19], v[48:49], v[52:53], v[18:19] op_sel:[0,0,1] op_sel_hi:[1,0,0]
	v_fmac_f32_e32 v59, v47, v194
	v_fma_f32 v58, v46, v194, -v4
	v_pk_add_f32 v[16:17], v[54:55], v[56:57]
	s_waitcnt vmcnt(7)
	v_mov_b32_e32 v18, v67
	ds_read_b128 v[4:7], v1 offset:784
	ds_read_b128 v[8:11], v1 offset:800
	;; [unrolled: 1-line block ×3, first 2 shown]
	v_pk_add_f32 v[16:17], v[16:17], v[58:59]
	v_mov_b32_e32 v21, v19
	v_pk_mul_f32 v[18:19], v[50:51], v[18:19] op_sel_hi:[1,0]
	v_pk_add_f32 v[16:17], v[16:17], v[20:21]
	s_waitcnt vmcnt(6)
	v_pk_fma_f32 v[20:21], v[50:51], v[66:67], v[18:19] op_sel:[0,0,1] op_sel_hi:[1,1,0] neg_lo:[0,0,1] neg_hi:[0,0,1]
	v_pk_fma_f32 v[18:19], v[50:51], v[66:67], v[18:19] op_sel:[0,0,1] op_sel_hi:[1,0,0]
	v_mov_b32_e32 v18, v65
	v_mov_b32_e32 v21, v19
	s_waitcnt lgkmcnt(2)
	v_pk_mul_f32 v[18:19], v[4:5], v[18:19] op_sel_hi:[1,0]
	v_pk_add_f32 v[16:17], v[16:17], v[20:21]
	v_pk_fma_f32 v[20:21], v[4:5], v[64:65], v[18:19] op_sel:[0,0,1] op_sel_hi:[1,1,0] neg_lo:[0,0,1] neg_hi:[0,0,1]
	v_pk_fma_f32 v[4:5], v[4:5], v[64:65], v[18:19] op_sel:[0,0,1] op_sel_hi:[1,0,0]
	v_mov_b32_e32 v21, v5
	v_pk_add_f32 v[4:5], v[16:17], v[20:21]
	v_mov_b32_e32 v16, v63
	v_pk_mul_f32 v[16:17], v[6:7], v[16:17] op_sel_hi:[1,0]
	v_pk_fma_f32 v[18:19], v[6:7], v[62:63], v[16:17] op_sel:[0,0,1] op_sel_hi:[1,1,0] neg_lo:[0,0,1] neg_hi:[0,0,1]
	v_pk_fma_f32 v[6:7], v[6:7], v[62:63], v[16:17] op_sel:[0,0,1] op_sel_hi:[1,0,0]
	v_mov_b32_e32 v6, v61
	v_mov_b32_e32 v19, v7
	s_waitcnt lgkmcnt(1)
	v_pk_mul_f32 v[6:7], v[8:9], v[6:7] op_sel_hi:[1,0]
	v_pk_fma_f32 v[16:17], v[8:9], v[60:61], v[6:7] op_sel:[0,0,1] op_sel_hi:[1,1,0] neg_lo:[0,0,1] neg_hi:[0,0,1]
	v_pk_fma_f32 v[6:7], v[8:9], v[60:61], v[6:7] op_sel:[0,0,1] op_sel_hi:[1,0,0]
	s_waitcnt vmcnt(1)
	v_mov_b32_e32 v6, v73
	v_mov_b32_e32 v17, v7
	v_pk_mul_f32 v[6:7], v[10:11], v[6:7] op_sel_hi:[1,0]
	s_waitcnt vmcnt(0)
	v_pk_fma_f32 v[8:9], v[10:11], v[72:73], v[6:7] op_sel:[0,0,1] op_sel_hi:[1,1,0] neg_lo:[0,0,1] neg_hi:[0,0,1]
	v_pk_fma_f32 v[6:7], v[10:11], v[72:73], v[6:7] op_sel:[0,0,1] op_sel_hi:[1,0,0]
	v_pk_add_f32 v[4:5], v[4:5], v[18:19]
	v_mov_b32_e32 v6, v71
	v_pk_add_f32 v[4:5], v[4:5], v[16:17]
	v_mov_b32_e32 v9, v7
	s_waitcnt lgkmcnt(0)
	v_pk_mul_f32 v[6:7], v[12:13], v[6:7] op_sel_hi:[1,0]
	v_pk_add_f32 v[4:5], v[4:5], v[8:9]
	v_pk_fma_f32 v[8:9], v[12:13], v[70:71], v[6:7] op_sel:[0,0,1] op_sel_hi:[1,1,0] neg_lo:[0,0,1] neg_hi:[0,0,1]
	v_pk_fma_f32 v[6:7], v[12:13], v[70:71], v[6:7] op_sel:[0,0,1] op_sel_hi:[1,0,0]
	v_mov_b32_e32 v6, v69
	v_mov_b32_e32 v9, v7
	v_pk_mul_f32 v[6:7], v[14:15], v[6:7] op_sel_hi:[1,0]
	v_pk_add_f32 v[4:5], v[4:5], v[8:9]
	v_pk_fma_f32 v[8:9], v[14:15], v[68:69], v[6:7] op_sel:[0,0,1] op_sel_hi:[1,1,0] neg_lo:[0,0,1] neg_hi:[0,0,1]
	v_pk_fma_f32 v[6:7], v[14:15], v[68:69], v[6:7] op_sel:[0,0,1] op_sel_hi:[1,0,0]
	v_mov_b32_e32 v9, v7
	v_pk_add_f32 v[4:5], v[4:5], v[8:9]
	v_pk_add_f32 v[2:3], v[2:3], v[4:5] neg_lo:[0,1] neg_hi:[0,1]
	buffer_store_dword v3, off, s[0:3], 0 offset:172
	buffer_store_dword v2, off, s[0:3], 0 offset:168
	s_and_saveexec_b64 s[4:5], vcc
	s_cbranch_execz .LBB51_285
; %bb.284:
	buffer_load_dword v2, off, s[0:3], 0 offset:160
	buffer_load_dword v3, off, s[0:3], 0 offset:164
	v_mov_b32_e32 v1, 0
	buffer_store_dword v1, off, s[0:3], 0 offset:160
	buffer_store_dword v1, off, s[0:3], 0 offset:164
	s_waitcnt vmcnt(2)
	ds_write_b64 v129, v[2:3]
.LBB51_285:
	s_or_b64 exec, exec, s[4:5]
	s_waitcnt lgkmcnt(0)
	; wave barrier
	s_waitcnt lgkmcnt(0)
	buffer_load_dword v52, off, s[0:3], 0 offset:172
	buffer_load_dword v54, off, s[0:3], 0 offset:180
	;; [unrolled: 1-line block ×48, first 2 shown]
	v_mov_b32_e32 v1, 0
	ds_read2_b64 v[4:7], v1 offset0:73 offset1:74
	ds_read2_b64 v[8:11], v1 offset0:75 offset1:76
	;; [unrolled: 1-line block ×6, first 2 shown]
	v_cmp_lt_u32_e32 vcc, 19, v0
	s_waitcnt vmcnt(47) lgkmcnt(5)
	v_mul_f32_e32 v28, v4, v52
	s_waitcnt vmcnt(46)
	v_mul_f32_e32 v29, v6, v54
	s_waitcnt vmcnt(45) lgkmcnt(4)
	v_mul_f32_e32 v30, v8, v56
	s_waitcnt vmcnt(44)
	v_mul_f32_e32 v31, v10, v74
	;; [unrolled: 4-line block ×6, first 2 shown]
	s_waitcnt vmcnt(35)
	v_fmac_f32_e32 v28, v5, v83
	s_waitcnt vmcnt(34)
	v_fmac_f32_e32 v29, v7, v84
	v_add_f32_e32 v28, 0, v28
	s_waitcnt vmcnt(33)
	v_fmac_f32_e32 v30, v9, v85
	v_add_f32_e32 v28, v28, v29
	;; [unrolled: 3-line block ×8, first 2 shown]
	v_add_f32_e32 v32, v28, v36
	ds_read2_b64 v[28:31], v1 offset0:85 offset1:86
	s_waitcnt vmcnt(26)
	v_fmac_f32_e32 v37, v23, v92
	s_waitcnt vmcnt(25)
	v_fmac_f32_e32 v38, v25, v93
	v_add_f32_e32 v32, v32, v37
	s_waitcnt vmcnt(24)
	v_fmac_f32_e32 v39, v27, v94
	v_add_f32_e32 v32, v32, v38
	v_add_f32_e32 v36, v32, v39
	ds_read2_b64 v[32:35], v1 offset0:87 offset1:88
	s_waitcnt vmcnt(23) lgkmcnt(1)
	v_mul_f32_e32 v37, v28, v95
	s_waitcnt vmcnt(22)
	v_fmac_f32_e32 v37, v29, v96
	v_add_f32_e32 v36, v36, v37
	s_waitcnt vmcnt(21)
	v_mul_f32_e32 v37, v30, v97
	s_waitcnt vmcnt(20)
	v_fmac_f32_e32 v37, v31, v98
	v_add_f32_e32 v36, v36, v37
	s_waitcnt vmcnt(19) lgkmcnt(0)
	v_mul_f32_e32 v37, v32, v99
	s_waitcnt vmcnt(18)
	v_fmac_f32_e32 v37, v33, v100
	v_add_f32_e32 v40, v36, v37
	ds_read2_b64 v[36:39], v1 offset0:89 offset1:90
	s_waitcnt vmcnt(17)
	v_mul_f32_e32 v41, v34, v101
	s_waitcnt vmcnt(16)
	v_fmac_f32_e32 v41, v35, v102
	v_add_f32_e32 v44, v40, v41
	ds_read2_b64 v[40:43], v1 offset0:91 offset1:92
	s_waitcnt vmcnt(15) lgkmcnt(1)
	v_mul_f32_e32 v45, v36, v103
	s_waitcnt vmcnt(14)
	v_fmac_f32_e32 v45, v37, v104
	v_add_f32_e32 v44, v44, v45
	s_waitcnt vmcnt(13)
	v_mul_f32_e32 v45, v38, v105
	s_waitcnt vmcnt(12)
	v_fmac_f32_e32 v45, v39, v106
	v_add_f32_e32 v44, v44, v45
	s_waitcnt vmcnt(11) lgkmcnt(0)
	v_mul_f32_e32 v45, v40, v107
	s_waitcnt vmcnt(10)
	v_fmac_f32_e32 v45, v41, v108
	s_waitcnt vmcnt(9)
	v_mul_f32_e32 v49, v42, v109
	v_add_f32_e32 v48, v44, v45
	s_waitcnt vmcnt(8)
	v_fmac_f32_e32 v49, v43, v190
	ds_read2_b64 v[44:47], v1 offset0:93 offset1:94
	v_add_f32_e32 v53, v48, v49
	ds_read2_b64 v[48:51], v1 offset0:95 offset1:96
	buffer_load_dword v59, off, s[0:3], 0 offset:380
	buffer_load_dword v58, off, s[0:3], 0 offset:376
	;; [unrolled: 1-line block ×16, first 2 shown]
	v_mul_f32_e32 v5, v5, v52
	v_fma_f32 v4, v4, v83, -v5
	v_mul_f32_e32 v5, v7, v54
	v_add_f32_e32 v4, 0, v4
	v_fma_f32 v5, v6, v84, -v5
	v_add_f32_e32 v4, v4, v5
	v_mul_f32_e32 v5, v9, v56
	v_fma_f32 v5, v8, v85, -v5
	v_add_f32_e32 v4, v4, v5
	v_mul_f32_e32 v5, v11, v74
	v_fma_f32 v5, v10, v86, -v5
	v_add_f32_e32 v4, v4, v5
	v_mul_f32_e32 v5, v13, v75
	v_fma_f32 v5, v12, v87, -v5
	v_add_f32_e32 v4, v4, v5
	v_mul_f32_e32 v5, v15, v76
	v_fma_f32 v5, v14, v88, -v5
	v_add_f32_e32 v4, v4, v5
	v_mul_f32_e32 v5, v17, v77
	v_fma_f32 v5, v16, v89, -v5
	v_add_f32_e32 v4, v4, v5
	v_mul_f32_e32 v5, v19, v78
	v_fma_f32 v5, v18, v90, -v5
	v_add_f32_e32 v4, v4, v5
	v_mul_f32_e32 v5, v21, v79
	v_fma_f32 v5, v20, v91, -v5
	v_add_f32_e32 v4, v4, v5
	v_mul_f32_e32 v5, v23, v80
	v_fma_f32 v5, v22, v92, -v5
	v_add_f32_e32 v4, v4, v5
	v_mul_f32_e32 v5, v25, v81
	v_fma_f32 v5, v24, v93, -v5
	v_add_f32_e32 v4, v4, v5
	v_mul_f32_e32 v5, v27, v82
	v_fma_f32 v5, v26, v94, -v5
	v_add_f32_e32 v4, v4, v5
	v_mul_f32_e32 v5, v29, v95
	v_fma_f32 v5, v28, v96, -v5
	v_add_f32_e32 v4, v4, v5
	v_mul_f32_e32 v5, v31, v97
	v_fma_f32 v5, v30, v98, -v5
	v_add_f32_e32 v4, v4, v5
	v_mul_f32_e32 v5, v33, v99
	v_fma_f32 v5, v32, v100, -v5
	v_add_f32_e32 v4, v4, v5
	v_mul_f32_e32 v5, v35, v101
	v_fma_f32 v5, v34, v102, -v5
	v_add_f32_e32 v4, v4, v5
	v_mul_f32_e32 v5, v37, v103
	v_fma_f32 v5, v36, v104, -v5
	v_add_f32_e32 v4, v4, v5
	v_mul_f32_e32 v5, v39, v105
	v_fma_f32 v5, v38, v106, -v5
	v_add_f32_e32 v4, v4, v5
	v_mul_f32_e32 v5, v41, v107
	v_fma_f32 v5, v40, v108, -v5
	v_add_f32_e32 v4, v4, v5
	v_mul_f32_e32 v5, v43, v109
	v_fma_f32 v5, v42, v190, -v5
	v_add_f32_e32 v4, v4, v5
	s_waitcnt vmcnt(22) lgkmcnt(1)
	v_mul_f32_e32 v5, v45, v192
	v_mul_f32_e32 v55, v44, v192
	v_fma_f32 v5, v44, v191, -v5
	v_fmac_f32_e32 v55, v45, v191
	v_add_f32_e32 v52, v4, v5
	s_waitcnt vmcnt(19)
	v_mul_f32_e32 v4, v47, v193
	v_add_f32_e32 v53, v53, v55
	v_mul_f32_e32 v55, v46, v193
	s_waitcnt vmcnt(18)
	v_fma_f32 v54, v46, v194, -v4
	s_waitcnt vmcnt(17) lgkmcnt(0)
	v_mul_f32_e32 v4, v49, v195
	s_waitcnt vmcnt(9)
	v_mov_b32_e32 v20, v65
	v_pk_mul_f32 v[20:21], v[50:51], v[20:21] op_sel_hi:[1,0]
	v_fmac_f32_e32 v55, v47, v194
	v_mul_f32_e32 v57, v48, v195
	v_fma_f32 v56, v48, v196, -v4
	ds_read2_b64 v[4:7], v1 offset0:97 offset1:98
	ds_read2_b64 v[8:11], v1 offset0:99 offset1:100
	;; [unrolled: 1-line block ×3, first 2 shown]
	ds_read_b64 v[16:17], v1 offset:824
	s_waitcnt vmcnt(8)
	v_pk_fma_f32 v[22:23], v[50:51], v[64:65], v[20:21] op_sel:[0,0,1] op_sel_hi:[1,1,0] neg_lo:[0,0,1] neg_hi:[0,0,1]
	v_pk_fma_f32 v[20:21], v[50:51], v[64:65], v[20:21] op_sel:[0,0,1] op_sel_hi:[1,0,0]
	v_fmac_f32_e32 v57, v49, v196
	v_pk_add_f32 v[18:19], v[52:53], v[54:55]
	v_mov_b32_e32 v20, v63
	v_pk_add_f32 v[18:19], v[18:19], v[56:57]
	v_mov_b32_e32 v23, v21
	s_waitcnt lgkmcnt(3)
	v_pk_mul_f32 v[20:21], v[4:5], v[20:21] op_sel_hi:[1,0]
	v_pk_add_f32 v[18:19], v[18:19], v[22:23]
	v_pk_fma_f32 v[22:23], v[4:5], v[62:63], v[20:21] op_sel:[0,0,1] op_sel_hi:[1,1,0] neg_lo:[0,0,1] neg_hi:[0,0,1]
	v_pk_fma_f32 v[4:5], v[4:5], v[62:63], v[20:21] op_sel:[0,0,1] op_sel_hi:[1,0,0]
	v_mov_b32_e32 v23, v5
	v_pk_add_f32 v[4:5], v[18:19], v[22:23]
	v_mov_b32_e32 v18, v61
	v_pk_mul_f32 v[18:19], v[6:7], v[18:19] op_sel_hi:[1,0]
	v_pk_fma_f32 v[20:21], v[6:7], v[60:61], v[18:19] op_sel:[0,0,1] op_sel_hi:[1,1,0] neg_lo:[0,0,1] neg_hi:[0,0,1]
	v_pk_fma_f32 v[6:7], v[6:7], v[60:61], v[18:19] op_sel:[0,0,1] op_sel_hi:[1,0,0]
	v_mov_b32_e32 v6, v59
	v_mov_b32_e32 v21, v7
	s_waitcnt lgkmcnt(2)
	v_pk_mul_f32 v[6:7], v[8:9], v[6:7] op_sel_hi:[1,0]
	v_pk_fma_f32 v[18:19], v[8:9], v[58:59], v[6:7] op_sel:[0,0,1] op_sel_hi:[1,1,0] neg_lo:[0,0,1] neg_hi:[0,0,1]
	v_pk_fma_f32 v[6:7], v[8:9], v[58:59], v[6:7] op_sel:[0,0,1] op_sel_hi:[1,0,0]
	s_waitcnt vmcnt(1)
	v_mov_b32_e32 v6, v73
	v_mov_b32_e32 v19, v7
	v_pk_mul_f32 v[6:7], v[10:11], v[6:7] op_sel_hi:[1,0]
	s_waitcnt vmcnt(0)
	v_pk_fma_f32 v[8:9], v[10:11], v[72:73], v[6:7] op_sel:[0,0,1] op_sel_hi:[1,1,0] neg_lo:[0,0,1] neg_hi:[0,0,1]
	v_pk_fma_f32 v[6:7], v[10:11], v[72:73], v[6:7] op_sel:[0,0,1] op_sel_hi:[1,0,0]
	v_pk_add_f32 v[4:5], v[4:5], v[20:21]
	v_mov_b32_e32 v6, v71
	v_pk_add_f32 v[4:5], v[4:5], v[18:19]
	v_mov_b32_e32 v9, v7
	s_waitcnt lgkmcnt(1)
	v_pk_mul_f32 v[6:7], v[12:13], v[6:7] op_sel_hi:[1,0]
	v_pk_add_f32 v[4:5], v[4:5], v[8:9]
	v_pk_fma_f32 v[8:9], v[12:13], v[70:71], v[6:7] op_sel:[0,0,1] op_sel_hi:[1,1,0] neg_lo:[0,0,1] neg_hi:[0,0,1]
	v_pk_fma_f32 v[6:7], v[12:13], v[70:71], v[6:7] op_sel:[0,0,1] op_sel_hi:[1,0,0]
	v_mov_b32_e32 v6, v69
	v_mov_b32_e32 v9, v7
	v_pk_mul_f32 v[6:7], v[14:15], v[6:7] op_sel_hi:[1,0]
	v_pk_add_f32 v[4:5], v[4:5], v[8:9]
	v_pk_fma_f32 v[8:9], v[14:15], v[68:69], v[6:7] op_sel:[0,0,1] op_sel_hi:[1,1,0] neg_lo:[0,0,1] neg_hi:[0,0,1]
	v_pk_fma_f32 v[6:7], v[14:15], v[68:69], v[6:7] op_sel:[0,0,1] op_sel_hi:[1,0,0]
	v_mov_b32_e32 v6, v67
	v_mov_b32_e32 v9, v7
	s_waitcnt lgkmcnt(0)
	v_pk_mul_f32 v[6:7], v[16:17], v[6:7] op_sel_hi:[1,0]
	v_pk_add_f32 v[4:5], v[4:5], v[8:9]
	v_pk_fma_f32 v[8:9], v[16:17], v[66:67], v[6:7] op_sel:[0,0,1] op_sel_hi:[1,1,0] neg_lo:[0,0,1] neg_hi:[0,0,1]
	v_pk_fma_f32 v[6:7], v[16:17], v[66:67], v[6:7] op_sel:[0,0,1] op_sel_hi:[1,0,0]
	v_mov_b32_e32 v9, v7
	v_pk_add_f32 v[4:5], v[4:5], v[8:9]
	v_pk_add_f32 v[2:3], v[2:3], v[4:5] neg_lo:[0,1] neg_hi:[0,1]
	buffer_store_dword v3, off, s[0:3], 0 offset:164
	buffer_store_dword v2, off, s[0:3], 0 offset:160
	s_and_saveexec_b64 s[4:5], vcc
	s_cbranch_execz .LBB51_287
; %bb.286:
	buffer_load_dword v2, off, s[0:3], 0 offset:152
	buffer_load_dword v3, off, s[0:3], 0 offset:156
	s_waitcnt vmcnt(0)
	ds_write_b64 v129, v[2:3]
	buffer_store_dword v1, off, s[0:3], 0 offset:152
	buffer_store_dword v1, off, s[0:3], 0 offset:156
.LBB51_287:
	s_or_b64 exec, exec, s[4:5]
	s_waitcnt lgkmcnt(0)
	; wave barrier
	s_waitcnt lgkmcnt(0)
	buffer_load_dword v52, off, s[0:3], 0 offset:164
	buffer_load_dword v54, off, s[0:3], 0 offset:172
	;; [unrolled: 1-line block ×48, first 2 shown]
	ds_read_b128 v[4:7], v1 offset:576
	ds_read_b128 v[8:11], v1 offset:592
	;; [unrolled: 1-line block ×6, first 2 shown]
	buffer_load_dword v197, off, s[0:3], 0 offset:344
	buffer_load_dword v198, off, s[0:3], 0 offset:348
	v_cmp_lt_u32_e32 vcc, 18, v0
	s_waitcnt vmcnt(49) lgkmcnt(5)
	v_mul_f32_e32 v28, v4, v52
	s_waitcnt vmcnt(48)
	v_mul_f32_e32 v29, v6, v54
	s_waitcnt vmcnt(47) lgkmcnt(4)
	v_mul_f32_e32 v30, v8, v62
	s_waitcnt vmcnt(46)
	v_mul_f32_e32 v31, v10, v74
	;; [unrolled: 4-line block ×6, first 2 shown]
	s_waitcnt vmcnt(37)
	v_fmac_f32_e32 v28, v5, v83
	s_waitcnt vmcnt(36)
	v_fmac_f32_e32 v29, v7, v84
	v_add_f32_e32 v28, 0, v28
	s_waitcnt vmcnt(35)
	v_fmac_f32_e32 v30, v9, v85
	v_add_f32_e32 v28, v28, v29
	s_waitcnt vmcnt(34)
	v_fmac_f32_e32 v31, v11, v86
	v_add_f32_e32 v28, v28, v30
	s_waitcnt vmcnt(33)
	v_fmac_f32_e32 v32, v13, v87
	v_add_f32_e32 v28, v28, v31
	s_waitcnt vmcnt(32)
	v_fmac_f32_e32 v33, v15, v88
	v_add_f32_e32 v28, v28, v32
	s_waitcnt vmcnt(31)
	v_fmac_f32_e32 v34, v17, v89
	v_add_f32_e32 v28, v28, v33
	s_waitcnt vmcnt(30)
	v_fmac_f32_e32 v35, v19, v90
	v_add_f32_e32 v28, v28, v34
	s_waitcnt vmcnt(29)
	v_fmac_f32_e32 v36, v21, v91
	v_add_f32_e32 v28, v28, v35
	s_waitcnt vmcnt(28)
	v_fmac_f32_e32 v37, v23, v92
	v_add_f32_e32 v28, v28, v36
	v_add_f32_e32 v32, v28, v37
	ds_read_b128 v[28:31], v1 offset:672
	s_waitcnt vmcnt(27)
	v_fmac_f32_e32 v38, v25, v93
	v_add_f32_e32 v32, v32, v38
	s_waitcnt vmcnt(26)
	v_fmac_f32_e32 v39, v27, v94
	v_add_f32_e32 v36, v32, v39
	ds_read_b128 v[32:35], v1 offset:688
	s_waitcnt vmcnt(25) lgkmcnt(1)
	v_mul_f32_e32 v37, v28, v95
	s_waitcnt vmcnt(24)
	v_fmac_f32_e32 v37, v29, v96
	v_add_f32_e32 v36, v36, v37
	s_waitcnt vmcnt(23)
	v_mul_f32_e32 v37, v30, v97
	s_waitcnt vmcnt(22)
	v_fmac_f32_e32 v37, v31, v98
	v_add_f32_e32 v36, v36, v37
	s_waitcnt vmcnt(21) lgkmcnt(0)
	v_mul_f32_e32 v37, v32, v99
	s_waitcnt vmcnt(20)
	v_fmac_f32_e32 v37, v33, v100
	v_add_f32_e32 v40, v36, v37
	ds_read_b128 v[36:39], v1 offset:704
	s_waitcnt vmcnt(19)
	v_mul_f32_e32 v41, v34, v101
	s_waitcnt vmcnt(18)
	v_fmac_f32_e32 v41, v35, v102
	v_add_f32_e32 v44, v40, v41
	ds_read_b128 v[40:43], v1 offset:720
	s_waitcnt vmcnt(17) lgkmcnt(1)
	v_mul_f32_e32 v45, v36, v103
	s_waitcnt vmcnt(16)
	v_fmac_f32_e32 v45, v37, v104
	v_add_f32_e32 v44, v44, v45
	s_waitcnt vmcnt(15)
	v_mul_f32_e32 v45, v38, v105
	s_waitcnt vmcnt(14)
	v_fmac_f32_e32 v45, v39, v106
	v_add_f32_e32 v44, v44, v45
	s_waitcnt vmcnt(13) lgkmcnt(0)
	v_mul_f32_e32 v45, v40, v107
	s_waitcnt vmcnt(12)
	v_fmac_f32_e32 v45, v41, v108
	s_waitcnt vmcnt(11)
	v_mul_f32_e32 v49, v42, v109
	v_add_f32_e32 v48, v44, v45
	s_waitcnt vmcnt(10)
	v_fmac_f32_e32 v49, v43, v190
	ds_read_b128 v[44:47], v1 offset:736
	v_add_f32_e32 v53, v48, v49
	ds_read_b128 v[48:51], v1 offset:752
	buffer_load_dword v57, off, s[0:3], 0 offset:372
	buffer_load_dword v56, off, s[0:3], 0 offset:368
	;; [unrolled: 1-line block ×16, first 2 shown]
	v_mul_f32_e32 v5, v5, v52
	v_fma_f32 v4, v4, v83, -v5
	v_mul_f32_e32 v5, v7, v54
	v_add_f32_e32 v4, 0, v4
	v_fma_f32 v5, v6, v84, -v5
	v_add_f32_e32 v4, v4, v5
	v_mul_f32_e32 v5, v9, v62
	v_fma_f32 v5, v8, v85, -v5
	v_add_f32_e32 v4, v4, v5
	v_mul_f32_e32 v5, v11, v74
	;; [unrolled: 3-line block ×18, first 2 shown]
	v_fma_f32 v5, v42, v190, -v5
	v_add_f32_e32 v4, v4, v5
	s_waitcnt vmcnt(23) lgkmcnt(1)
	v_mul_f32_e32 v5, v45, v191
	s_waitcnt vmcnt(22)
	v_fma_f32 v5, v44, v192, -v5
	v_add_f32_e32 v4, v4, v5
	s_waitcnt vmcnt(20)
	v_mul_f32_e32 v5, v47, v194
	v_mul_f32_e32 v55, v44, v191
	v_fma_f32 v5, v46, v193, -v5
	v_fmac_f32_e32 v55, v45, v192
	v_add_f32_e32 v52, v4, v5
	s_waitcnt vmcnt(18) lgkmcnt(0)
	v_mul_f32_e32 v4, v49, v196
	v_add_f32_e32 v53, v53, v55
	v_mul_f32_e32 v55, v46, v194
	v_fma_f32 v54, v48, v195, -v4
	s_waitcnt vmcnt(16)
	v_mul_f32_e32 v4, v51, v198
	v_fmac_f32_e32 v55, v47, v193
	v_fma_f32 v62, v50, v197, -v4
	ds_read_b128 v[4:7], v1 offset:768
	ds_read_b128 v[8:11], v1 offset:784
	;; [unrolled: 1-line block ×4, first 2 shown]
	v_add_f32_e32 v53, v53, v55
	v_mul_f32_e32 v55, v48, v196
	s_waitcnt vmcnt(11)
	v_mov_b32_e32 v22, v61
	v_fmac_f32_e32 v55, v49, v195
	v_mul_f32_e32 v63, v50, v198
	s_waitcnt lgkmcnt(3)
	v_pk_mul_f32 v[22:23], v[4:5], v[22:23] op_sel_hi:[1,0]
	v_fmac_f32_e32 v63, v51, v197
	v_pk_add_f32 v[20:21], v[52:53], v[54:55]
	s_waitcnt vmcnt(10)
	v_pk_fma_f32 v[24:25], v[4:5], v[60:61], v[22:23] op_sel:[0,0,1] op_sel_hi:[1,1,0] neg_lo:[0,0,1] neg_hi:[0,0,1]
	v_pk_fma_f32 v[4:5], v[4:5], v[60:61], v[22:23] op_sel:[0,0,1] op_sel_hi:[1,0,0]
	v_pk_add_f32 v[20:21], v[20:21], v[62:63]
	v_mov_b32_e32 v25, v5
	v_pk_add_f32 v[4:5], v[20:21], v[24:25]
	v_mov_b32_e32 v20, v59
	v_pk_mul_f32 v[20:21], v[6:7], v[20:21] op_sel_hi:[1,0]
	v_pk_fma_f32 v[22:23], v[6:7], v[58:59], v[20:21] op_sel:[0,0,1] op_sel_hi:[1,1,0] neg_lo:[0,0,1] neg_hi:[0,0,1]
	v_pk_fma_f32 v[6:7], v[6:7], v[58:59], v[20:21] op_sel:[0,0,1] op_sel_hi:[1,0,0]
	v_mov_b32_e32 v6, v57
	v_mov_b32_e32 v23, v7
	s_waitcnt lgkmcnt(2)
	v_pk_mul_f32 v[6:7], v[8:9], v[6:7] op_sel_hi:[1,0]
	v_pk_fma_f32 v[20:21], v[8:9], v[56:57], v[6:7] op_sel:[0,0,1] op_sel_hi:[1,1,0] neg_lo:[0,0,1] neg_hi:[0,0,1]
	v_pk_fma_f32 v[6:7], v[8:9], v[56:57], v[6:7] op_sel:[0,0,1] op_sel_hi:[1,0,0]
	s_waitcnt vmcnt(3)
	v_mov_b32_e32 v6, v71
	v_mov_b32_e32 v21, v7
	v_pk_mul_f32 v[6:7], v[10:11], v[6:7] op_sel_hi:[1,0]
	s_waitcnt vmcnt(2)
	v_pk_fma_f32 v[8:9], v[10:11], v[70:71], v[6:7] op_sel:[0,0,1] op_sel_hi:[1,1,0] neg_lo:[0,0,1] neg_hi:[0,0,1]
	v_pk_fma_f32 v[6:7], v[10:11], v[70:71], v[6:7] op_sel:[0,0,1] op_sel_hi:[1,0,0]
	v_pk_add_f32 v[4:5], v[4:5], v[22:23]
	v_mov_b32_e32 v6, v69
	v_pk_add_f32 v[4:5], v[4:5], v[20:21]
	v_mov_b32_e32 v9, v7
	s_waitcnt lgkmcnt(1)
	v_pk_mul_f32 v[6:7], v[12:13], v[6:7] op_sel_hi:[1,0]
	v_pk_add_f32 v[4:5], v[4:5], v[8:9]
	v_pk_fma_f32 v[8:9], v[12:13], v[68:69], v[6:7] op_sel:[0,0,1] op_sel_hi:[1,1,0] neg_lo:[0,0,1] neg_hi:[0,0,1]
	v_pk_fma_f32 v[6:7], v[12:13], v[68:69], v[6:7] op_sel:[0,0,1] op_sel_hi:[1,0,0]
	v_mov_b32_e32 v6, v67
	v_mov_b32_e32 v9, v7
	v_pk_mul_f32 v[6:7], v[14:15], v[6:7] op_sel_hi:[1,0]
	v_pk_add_f32 v[4:5], v[4:5], v[8:9]
	v_pk_fma_f32 v[8:9], v[14:15], v[66:67], v[6:7] op_sel:[0,0,1] op_sel_hi:[1,1,0] neg_lo:[0,0,1] neg_hi:[0,0,1]
	v_pk_fma_f32 v[6:7], v[14:15], v[66:67], v[6:7] op_sel:[0,0,1] op_sel_hi:[1,0,0]
	v_mov_b32_e32 v6, v65
	v_mov_b32_e32 v9, v7
	s_waitcnt lgkmcnt(0)
	v_pk_mul_f32 v[6:7], v[16:17], v[6:7] op_sel_hi:[1,0]
	v_pk_add_f32 v[4:5], v[4:5], v[8:9]
	v_pk_fma_f32 v[8:9], v[16:17], v[64:65], v[6:7] op_sel:[0,0,1] op_sel_hi:[1,1,0] neg_lo:[0,0,1] neg_hi:[0,0,1]
	v_pk_fma_f32 v[6:7], v[16:17], v[64:65], v[6:7] op_sel:[0,0,1] op_sel_hi:[1,0,0]
	s_waitcnt vmcnt(1)
	v_mov_b32_e32 v6, v73
	v_mov_b32_e32 v9, v7
	v_pk_mul_f32 v[6:7], v[18:19], v[6:7] op_sel_hi:[1,0]
	v_pk_add_f32 v[4:5], v[4:5], v[8:9]
	s_waitcnt vmcnt(0)
	v_pk_fma_f32 v[8:9], v[18:19], v[72:73], v[6:7] op_sel:[0,0,1] op_sel_hi:[1,1,0] neg_lo:[0,0,1] neg_hi:[0,0,1]
	v_pk_fma_f32 v[6:7], v[18:19], v[72:73], v[6:7] op_sel:[0,0,1] op_sel_hi:[1,0,0]
	v_mov_b32_e32 v9, v7
	v_pk_add_f32 v[4:5], v[4:5], v[8:9]
	v_pk_add_f32 v[2:3], v[2:3], v[4:5] neg_lo:[0,1] neg_hi:[0,1]
	buffer_store_dword v3, off, s[0:3], 0 offset:156
	buffer_store_dword v2, off, s[0:3], 0 offset:152
	s_and_saveexec_b64 s[4:5], vcc
	s_cbranch_execz .LBB51_289
; %bb.288:
	buffer_load_dword v2, off, s[0:3], 0 offset:144
	buffer_load_dword v3, off, s[0:3], 0 offset:148
	v_mov_b32_e32 v1, 0
	buffer_store_dword v1, off, s[0:3], 0 offset:144
	buffer_store_dword v1, off, s[0:3], 0 offset:148
	s_waitcnt vmcnt(2)
	ds_write_b64 v129, v[2:3]
.LBB51_289:
	s_or_b64 exec, exec, s[4:5]
	s_waitcnt lgkmcnt(0)
	; wave barrier
	s_waitcnt lgkmcnt(0)
	buffer_load_dword v60, off, s[0:3], 0 offset:156
	buffer_load_dword v66, off, s[0:3], 0 offset:164
	;; [unrolled: 1-line block ×52, first 2 shown]
	v_mov_b32_e32 v1, 0
	ds_read2_b64 v[4:7], v1 offset0:71 offset1:72
	ds_read2_b64 v[8:11], v1 offset0:73 offset1:74
	;; [unrolled: 1-line block ×6, first 2 shown]
	v_cmp_lt_u32_e32 vcc, 17, v0
	s_waitcnt vmcnt(51) lgkmcnt(5)
	v_mul_f32_e32 v28, v4, v60
	s_waitcnt vmcnt(50)
	v_mul_f32_e32 v29, v6, v66
	s_waitcnt vmcnt(49) lgkmcnt(4)
	v_mul_f32_e32 v30, v8, v68
	s_waitcnt vmcnt(48)
	v_mul_f32_e32 v31, v10, v82
	s_waitcnt vmcnt(47) lgkmcnt(3)
	v_mul_f32_e32 v32, v12, v83
	s_waitcnt vmcnt(46)
	v_mul_f32_e32 v33, v14, v84
	s_waitcnt vmcnt(45) lgkmcnt(2)
	v_mul_f32_e32 v34, v16, v85
	s_waitcnt vmcnt(44)
	v_mul_f32_e32 v35, v18, v86
	s_waitcnt vmcnt(43) lgkmcnt(1)
	v_mul_f32_e32 v36, v20, v87
	s_waitcnt vmcnt(42)
	v_mul_f32_e32 v37, v22, v88
	s_waitcnt vmcnt(41) lgkmcnt(0)
	v_mul_f32_e32 v38, v24, v89
	s_waitcnt vmcnt(40)
	v_fmac_f32_e32 v28, v5, v90
	s_waitcnt vmcnt(39)
	v_fmac_f32_e32 v29, v7, v91
	v_add_f32_e32 v28, 0, v28
	s_waitcnt vmcnt(38)
	v_fmac_f32_e32 v30, v9, v92
	v_add_f32_e32 v28, v28, v29
	;; [unrolled: 3-line block ×9, first 2 shown]
	v_add_f32_e32 v28, v28, v37
	s_waitcnt vmcnt(30)
	v_fmac_f32_e32 v38, v25, v100
	v_add_f32_e32 v32, v28, v38
	ds_read2_b64 v[28:31], v1 offset0:83 offset1:84
	s_waitcnt vmcnt(29)
	v_mul_f32_e32 v33, v26, v101
	s_waitcnt vmcnt(28)
	v_fmac_f32_e32 v33, v27, v102
	v_add_f32_e32 v36, v32, v33
	ds_read2_b64 v[32:35], v1 offset0:85 offset1:86
	s_waitcnt vmcnt(27) lgkmcnt(1)
	v_mul_f32_e32 v37, v28, v103
	s_waitcnt vmcnt(26)
	v_fmac_f32_e32 v37, v29, v104
	v_add_f32_e32 v36, v36, v37
	s_waitcnt vmcnt(25)
	v_mul_f32_e32 v37, v30, v105
	s_waitcnt vmcnt(24)
	v_fmac_f32_e32 v37, v31, v106
	v_add_f32_e32 v36, v36, v37
	s_waitcnt vmcnt(23) lgkmcnt(0)
	v_mul_f32_e32 v37, v32, v107
	s_waitcnt vmcnt(22)
	v_fmac_f32_e32 v37, v33, v108
	v_add_f32_e32 v40, v36, v37
	ds_read2_b64 v[36:39], v1 offset0:87 offset1:88
	s_waitcnt vmcnt(21)
	v_mul_f32_e32 v41, v34, v109
	s_waitcnt vmcnt(20)
	v_fmac_f32_e32 v41, v35, v190
	v_add_f32_e32 v44, v40, v41
	ds_read2_b64 v[40:43], v1 offset0:89 offset1:90
	s_waitcnt vmcnt(19) lgkmcnt(1)
	v_mul_f32_e32 v45, v36, v191
	s_waitcnt vmcnt(18)
	v_fmac_f32_e32 v45, v37, v192
	v_add_f32_e32 v44, v44, v45
	s_waitcnt vmcnt(17)
	v_mul_f32_e32 v45, v38, v193
	s_waitcnt vmcnt(16)
	v_fmac_f32_e32 v45, v39, v194
	v_add_f32_e32 v44, v44, v45
	s_waitcnt vmcnt(14) lgkmcnt(0)
	v_mul_f32_e32 v45, v40, v196
	v_fmac_f32_e32 v45, v41, v195
	v_add_f32_e32 v48, v44, v45
	ds_read2_b64 v[44:47], v1 offset0:91 offset1:92
	s_waitcnt vmcnt(10)
	v_mul_f32_e32 v49, v42, v198
	v_fmac_f32_e32 v49, v43, v197
	v_add_f32_e32 v52, v48, v49
	ds_read2_b64 v[48:51], v1 offset0:93 offset1:94
	s_waitcnt vmcnt(8) lgkmcnt(1)
	v_mul_f32_e32 v53, v44, v200
	v_fmac_f32_e32 v53, v45, v199
	v_add_f32_e32 v52, v52, v53
	s_waitcnt vmcnt(6)
	v_mul_f32_e32 v53, v46, v202
	v_fmac_f32_e32 v53, v47, v201
	v_add_f32_e32 v52, v52, v53
	s_waitcnt vmcnt(4) lgkmcnt(0)
	v_mul_f32_e32 v53, v48, v204
	v_fmac_f32_e32 v53, v49, v203
	v_add_f32_e32 v61, v52, v53
	ds_read2_b64 v[52:55], v1 offset0:95 offset1:96
	buffer_load_dword v63, off, s[0:3], 0 offset:364
	buffer_load_dword v62, off, s[0:3], 0 offset:360
	;; [unrolled: 1-line block ×4, first 2 shown]
	ds_read2_b64 v[56:59], v1 offset0:97 offset1:98
	buffer_load_dword v71, off, s[0:3], 0 offset:396
	buffer_load_dword v70, off, s[0:3], 0 offset:392
	;; [unrolled: 1-line block ×12, first 2 shown]
	v_mul_f32_e32 v5, v5, v60
	v_fma_f32 v4, v4, v90, -v5
	v_mul_f32_e32 v5, v7, v66
	v_add_f32_e32 v4, 0, v4
	v_fma_f32 v5, v6, v91, -v5
	v_add_f32_e32 v4, v4, v5
	v_mul_f32_e32 v5, v9, v68
	v_fma_f32 v5, v8, v92, -v5
	v_add_f32_e32 v4, v4, v5
	v_mul_f32_e32 v5, v11, v82
	;; [unrolled: 3-line block ×21, first 2 shown]
	v_fma_f32 v5, v48, v203, -v5
	s_waitcnt vmcnt(18)
	v_mul_f32_e32 v67, v50, v206
	v_add_f32_e32 v60, v4, v5
	v_mul_f32_e32 v4, v51, v206
	v_fmac_f32_e32 v67, v51, v205
	s_waitcnt vmcnt(16) lgkmcnt(1)
	v_mul_f32_e32 v69, v52, v208
	v_fma_f32 v66, v50, v205, -v4
	v_mul_f32_e32 v4, v53, v208
	v_fmac_f32_e32 v69, v53, v207
	s_waitcnt vmcnt(13)
	v_mov_b32_e32 v16, v65
	v_pk_mul_f32 v[16:17], v[54:55], v[16:17] op_sel_hi:[1,0]
	s_waitcnt vmcnt(12)
	v_pk_fma_f32 v[18:19], v[54:55], v[64:65], v[16:17] op_sel:[0,0,1] op_sel_hi:[1,1,0] neg_lo:[0,0,1] neg_hi:[0,0,1]
	v_pk_fma_f32 v[16:17], v[54:55], v[64:65], v[16:17] op_sel:[0,0,1] op_sel_hi:[1,0,0]
	v_fma_f32 v68, v52, v207, -v4
	v_pk_add_f32 v[14:15], v[60:61], v[66:67]
	v_mov_b32_e32 v16, v63
	v_pk_add_f32 v[14:15], v[14:15], v[68:69]
	v_mov_b32_e32 v19, v17
	s_waitcnt lgkmcnt(0)
	v_pk_mul_f32 v[16:17], v[56:57], v[16:17] op_sel_hi:[1,0]
	v_pk_add_f32 v[14:15], v[14:15], v[18:19]
	v_pk_fma_f32 v[18:19], v[56:57], v[62:63], v[16:17] op_sel:[0,0,1] op_sel_hi:[1,1,0] neg_lo:[0,0,1] neg_hi:[0,0,1]
	v_pk_fma_f32 v[16:17], v[56:57], v[62:63], v[16:17] op_sel:[0,0,1] op_sel_hi:[1,0,0]
	s_waitcnt vmcnt(5)
	v_mov_b32_e32 v16, v77
	ds_read2_b64 v[4:7], v1 offset0:99 offset1:100
	ds_read2_b64 v[8:11], v1 offset0:101 offset1:102
	ds_read_b64 v[12:13], v1 offset:824
	v_mov_b32_e32 v19, v17
	v_pk_mul_f32 v[16:17], v[58:59], v[16:17] op_sel_hi:[1,0]
	v_pk_add_f32 v[14:15], v[14:15], v[18:19]
	s_waitcnt vmcnt(4)
	v_pk_fma_f32 v[18:19], v[58:59], v[76:77], v[16:17] op_sel:[0,0,1] op_sel_hi:[1,1,0] neg_lo:[0,0,1] neg_hi:[0,0,1]
	v_pk_fma_f32 v[16:17], v[58:59], v[76:77], v[16:17] op_sel:[0,0,1] op_sel_hi:[1,0,0]
	v_mov_b32_e32 v16, v75
	v_mov_b32_e32 v19, v17
	s_waitcnt lgkmcnt(2)
	v_pk_mul_f32 v[16:17], v[4:5], v[16:17] op_sel_hi:[1,0]
	v_pk_add_f32 v[14:15], v[14:15], v[18:19]
	v_pk_fma_f32 v[18:19], v[4:5], v[74:75], v[16:17] op_sel:[0,0,1] op_sel_hi:[1,1,0] neg_lo:[0,0,1] neg_hi:[0,0,1]
	v_pk_fma_f32 v[4:5], v[4:5], v[74:75], v[16:17] op_sel:[0,0,1] op_sel_hi:[1,0,0]
	v_mov_b32_e32 v19, v5
	v_pk_add_f32 v[4:5], v[14:15], v[18:19]
	v_mov_b32_e32 v14, v73
	v_pk_mul_f32 v[14:15], v[6:7], v[14:15] op_sel_hi:[1,0]
	v_pk_fma_f32 v[16:17], v[6:7], v[72:73], v[14:15] op_sel:[0,0,1] op_sel_hi:[1,1,0] neg_lo:[0,0,1] neg_hi:[0,0,1]
	v_pk_fma_f32 v[6:7], v[6:7], v[72:73], v[14:15] op_sel:[0,0,1] op_sel_hi:[1,0,0]
	v_mov_b32_e32 v6, v71
	v_mov_b32_e32 v17, v7
	s_waitcnt lgkmcnt(1)
	v_pk_mul_f32 v[6:7], v[8:9], v[6:7] op_sel_hi:[1,0]
	v_pk_fma_f32 v[14:15], v[8:9], v[70:71], v[6:7] op_sel:[0,0,1] op_sel_hi:[1,1,0] neg_lo:[0,0,1] neg_hi:[0,0,1]
	v_pk_fma_f32 v[6:7], v[8:9], v[70:71], v[6:7] op_sel:[0,0,1] op_sel_hi:[1,0,0]
	s_waitcnt vmcnt(1)
	v_mov_b32_e32 v6, v81
	v_mov_b32_e32 v15, v7
	v_pk_mul_f32 v[6:7], v[10:11], v[6:7] op_sel_hi:[1,0]
	s_waitcnt vmcnt(0)
	v_pk_fma_f32 v[8:9], v[10:11], v[80:81], v[6:7] op_sel:[0,0,1] op_sel_hi:[1,1,0] neg_lo:[0,0,1] neg_hi:[0,0,1]
	v_pk_fma_f32 v[6:7], v[10:11], v[80:81], v[6:7] op_sel:[0,0,1] op_sel_hi:[1,0,0]
	v_pk_add_f32 v[4:5], v[4:5], v[16:17]
	v_mov_b32_e32 v6, v79
	v_pk_add_f32 v[4:5], v[4:5], v[14:15]
	v_mov_b32_e32 v9, v7
	s_waitcnt lgkmcnt(0)
	v_pk_mul_f32 v[6:7], v[12:13], v[6:7] op_sel_hi:[1,0]
	v_pk_add_f32 v[4:5], v[4:5], v[8:9]
	v_pk_fma_f32 v[8:9], v[12:13], v[78:79], v[6:7] op_sel:[0,0,1] op_sel_hi:[1,1,0] neg_lo:[0,0,1] neg_hi:[0,0,1]
	v_pk_fma_f32 v[6:7], v[12:13], v[78:79], v[6:7] op_sel:[0,0,1] op_sel_hi:[1,0,0]
	v_mov_b32_e32 v9, v7
	v_pk_add_f32 v[4:5], v[4:5], v[8:9]
	v_pk_add_f32 v[2:3], v[2:3], v[4:5] neg_lo:[0,1] neg_hi:[0,1]
	buffer_store_dword v3, off, s[0:3], 0 offset:148
	buffer_store_dword v2, off, s[0:3], 0 offset:144
	s_and_saveexec_b64 s[4:5], vcc
	s_cbranch_execz .LBB51_291
; %bb.290:
	buffer_load_dword v2, off, s[0:3], 0 offset:136
	buffer_load_dword v3, off, s[0:3], 0 offset:140
	s_waitcnt vmcnt(0)
	ds_write_b64 v129, v[2:3]
	buffer_store_dword v1, off, s[0:3], 0 offset:136
	buffer_store_dword v1, off, s[0:3], 0 offset:140
.LBB51_291:
	s_or_b64 exec, exec, s[4:5]
	s_waitcnt lgkmcnt(0)
	; wave barrier
	s_waitcnt lgkmcnt(0)
	buffer_load_dword v62, off, s[0:3], 0 offset:148
	buffer_load_dword v64, off, s[0:3], 0 offset:156
	;; [unrolled: 1-line block ×42, first 2 shown]
	ds_read_b128 v[4:7], v1 offset:560
	ds_read_b128 v[8:11], v1 offset:576
	buffer_load_dword v199, off, s[0:3], 0 offset:304
	buffer_load_dword v200, off, s[0:3], 0 offset:308
	ds_read_b128 v[12:15], v1 offset:592
	ds_read_b128 v[16:19], v1 offset:608
	buffer_load_dword v201, off, s[0:3], 0 offset:312
	buffer_load_dword v202, off, s[0:3], 0 offset:316
	;; [unrolled: 1-line block ×4, first 2 shown]
	ds_read_b128 v[20:23], v1 offset:624
	ds_read_b128 v[24:27], v1 offset:640
	buffer_load_dword v205, off, s[0:3], 0 offset:328
	buffer_load_dword v206, off, s[0:3], 0 offset:332
	;; [unrolled: 1-line block ×6, first 2 shown]
	v_cmp_lt_u32_e32 vcc, 16, v0
	s_waitcnt vmcnt(53) lgkmcnt(5)
	v_mul_f32_e32 v28, v4, v62
	s_waitcnt vmcnt(52)
	v_mul_f32_e32 v29, v6, v64
	s_waitcnt vmcnt(51) lgkmcnt(4)
	v_mul_f32_e32 v30, v8, v66
	s_waitcnt vmcnt(50)
	v_mul_f32_e32 v31, v10, v82
	;; [unrolled: 4-line block ×5, first 2 shown]
	s_waitcnt vmcnt(43)
	v_fmac_f32_e32 v28, v5, v89
	s_waitcnt vmcnt(42)
	v_fmac_f32_e32 v29, v7, v90
	v_add_f32_e32 v28, 0, v28
	s_waitcnt vmcnt(41)
	v_fmac_f32_e32 v30, v9, v91
	v_add_f32_e32 v28, v28, v29
	;; [unrolled: 3-line block ×9, first 2 shown]
	s_waitcnt vmcnt(33) lgkmcnt(0)
	v_mul_f32_e32 v29, v24, v99
	v_add_f32_e32 v28, v28, v37
	s_waitcnt vmcnt(32)
	v_fmac_f32_e32 v29, v25, v100
	v_add_f32_e32 v32, v28, v29
	ds_read_b128 v[28:31], v1 offset:656
	s_waitcnt vmcnt(31)
	v_mul_f32_e32 v33, v26, v101
	s_waitcnt vmcnt(30)
	v_fmac_f32_e32 v33, v27, v102
	v_add_f32_e32 v36, v32, v33
	ds_read_b128 v[32:35], v1 offset:672
	s_waitcnt vmcnt(29) lgkmcnt(1)
	v_mul_f32_e32 v37, v28, v103
	s_waitcnt vmcnt(28)
	v_fmac_f32_e32 v37, v29, v104
	v_add_f32_e32 v36, v36, v37
	s_waitcnt vmcnt(27)
	v_mul_f32_e32 v37, v30, v105
	s_waitcnt vmcnt(26)
	v_fmac_f32_e32 v37, v31, v106
	v_add_f32_e32 v36, v36, v37
	s_waitcnt vmcnt(25) lgkmcnt(0)
	v_mul_f32_e32 v37, v32, v107
	s_waitcnt vmcnt(24)
	v_fmac_f32_e32 v37, v33, v108
	v_add_f32_e32 v40, v36, v37
	ds_read_b128 v[36:39], v1 offset:688
	s_waitcnt vmcnt(23)
	v_mul_f32_e32 v41, v34, v109
	s_waitcnt vmcnt(22)
	v_fmac_f32_e32 v41, v35, v190
	v_add_f32_e32 v44, v40, v41
	ds_read_b128 v[40:43], v1 offset:704
	s_waitcnt vmcnt(21) lgkmcnt(1)
	v_mul_f32_e32 v45, v36, v191
	s_waitcnt vmcnt(20)
	v_fmac_f32_e32 v45, v37, v192
	v_add_f32_e32 v44, v44, v45
	s_waitcnt vmcnt(18)
	v_mul_f32_e32 v45, v38, v194
	v_fmac_f32_e32 v45, v39, v193
	v_add_f32_e32 v44, v44, v45
	s_waitcnt vmcnt(15) lgkmcnt(0)
	v_mul_f32_e32 v45, v40, v195
	s_waitcnt vmcnt(14)
	v_fmac_f32_e32 v45, v41, v196
	v_add_f32_e32 v48, v44, v45
	ds_read_b128 v[44:47], v1 offset:720
	s_waitcnt vmcnt(12)
	v_mul_f32_e32 v49, v42, v198
	v_fmac_f32_e32 v49, v43, v197
	v_add_f32_e32 v52, v48, v49
	ds_read_b128 v[48:51], v1 offset:736
	buffer_load_dword v61, off, s[0:3], 0 offset:356
	buffer_load_dword v60, off, s[0:3], 0 offset:352
	s_waitcnt vmcnt(12) lgkmcnt(1)
	v_mul_f32_e32 v53, v44, v200
	v_fmac_f32_e32 v53, v45, v199
	v_add_f32_e32 v52, v52, v53
	s_waitcnt vmcnt(10)
	v_mul_f32_e32 v53, v46, v202
	v_fmac_f32_e32 v53, v47, v201
	v_add_f32_e32 v52, v52, v53
	s_waitcnt vmcnt(8) lgkmcnt(0)
	v_mul_f32_e32 v53, v48, v204
	v_fmac_f32_e32 v53, v49, v203
	s_waitcnt vmcnt(6)
	v_mul_f32_e32 v57, v50, v206
	v_add_f32_e32 v56, v52, v53
	v_fmac_f32_e32 v57, v51, v205
	ds_read_b128 v[52:55], v1 offset:752
	v_add_f32_e32 v63, v56, v57
	ds_read_b128 v[56:59], v1 offset:768
	buffer_load_dword v69, off, s[0:3], 0 offset:388
	buffer_load_dword v68, off, s[0:3], 0 offset:384
	buffer_load_dword v71, off, s[0:3], 0 offset:380
	buffer_load_dword v70, off, s[0:3], 0 offset:376
	buffer_load_dword v73, off, s[0:3], 0 offset:372
	buffer_load_dword v72, off, s[0:3], 0 offset:368
	buffer_load_dword v75, off, s[0:3], 0 offset:364
	buffer_load_dword v74, off, s[0:3], 0 offset:360
	buffer_load_dword v77, off, s[0:3], 0 offset:412
	buffer_load_dword v76, off, s[0:3], 0 offset:408
	buffer_load_dword v79, off, s[0:3], 0 offset:404
	buffer_load_dword v78, off, s[0:3], 0 offset:400
	buffer_load_dword v81, off, s[0:3], 0 offset:396
	buffer_load_dword v80, off, s[0:3], 0 offset:392
	v_mul_f32_e32 v5, v5, v62
	v_fma_f32 v4, v4, v89, -v5
	v_mul_f32_e32 v5, v7, v64
	v_add_f32_e32 v4, 0, v4
	v_fma_f32 v5, v6, v90, -v5
	v_add_f32_e32 v4, v4, v5
	v_mul_f32_e32 v5, v9, v66
	v_fma_f32 v5, v8, v91, -v5
	v_add_f32_e32 v4, v4, v5
	v_mul_f32_e32 v5, v11, v82
	;; [unrolled: 3-line block ×22, first 2 shown]
	v_fma_f32 v5, v50, v205, -v5
	s_waitcnt vmcnt(15)
	v_mov_b32_e32 v18, v61
	s_waitcnt lgkmcnt(1)
	v_mul_f32_e32 v65, v52, v208
	v_add_f32_e32 v62, v4, v5
	v_mul_f32_e32 v4, v53, v208
	s_waitcnt lgkmcnt(0)
	v_pk_mul_f32 v[18:19], v[56:57], v[18:19] op_sel_hi:[1,0]
	v_fmac_f32_e32 v65, v53, v207
	v_mul_f32_e32 v67, v54, v210
	v_fma_f32 v64, v52, v207, -v4
	v_mul_f32_e32 v4, v55, v210
	s_waitcnt vmcnt(14)
	v_pk_fma_f32 v[20:21], v[56:57], v[60:61], v[18:19] op_sel:[0,0,1] op_sel_hi:[1,1,0] neg_lo:[0,0,1] neg_hi:[0,0,1]
	v_pk_fma_f32 v[18:19], v[56:57], v[60:61], v[18:19] op_sel:[0,0,1] op_sel_hi:[1,0,0]
	v_fmac_f32_e32 v67, v55, v209
	v_fma_f32 v66, v54, v209, -v4
	v_pk_add_f32 v[16:17], v[62:63], v[64:65]
	s_waitcnt vmcnt(7)
	v_mov_b32_e32 v18, v75
	ds_read_b128 v[4:7], v1 offset:784
	ds_read_b128 v[8:11], v1 offset:800
	;; [unrolled: 1-line block ×3, first 2 shown]
	v_pk_add_f32 v[16:17], v[16:17], v[66:67]
	v_mov_b32_e32 v21, v19
	v_pk_mul_f32 v[18:19], v[58:59], v[18:19] op_sel_hi:[1,0]
	v_pk_add_f32 v[16:17], v[16:17], v[20:21]
	s_waitcnt vmcnt(6)
	v_pk_fma_f32 v[20:21], v[58:59], v[74:75], v[18:19] op_sel:[0,0,1] op_sel_hi:[1,1,0] neg_lo:[0,0,1] neg_hi:[0,0,1]
	v_pk_fma_f32 v[18:19], v[58:59], v[74:75], v[18:19] op_sel:[0,0,1] op_sel_hi:[1,0,0]
	v_mov_b32_e32 v18, v73
	v_mov_b32_e32 v21, v19
	s_waitcnt lgkmcnt(2)
	v_pk_mul_f32 v[18:19], v[4:5], v[18:19] op_sel_hi:[1,0]
	v_pk_add_f32 v[16:17], v[16:17], v[20:21]
	v_pk_fma_f32 v[20:21], v[4:5], v[72:73], v[18:19] op_sel:[0,0,1] op_sel_hi:[1,1,0] neg_lo:[0,0,1] neg_hi:[0,0,1]
	v_pk_fma_f32 v[4:5], v[4:5], v[72:73], v[18:19] op_sel:[0,0,1] op_sel_hi:[1,0,0]
	v_mov_b32_e32 v21, v5
	v_pk_add_f32 v[4:5], v[16:17], v[20:21]
	v_mov_b32_e32 v16, v71
	v_pk_mul_f32 v[16:17], v[6:7], v[16:17] op_sel_hi:[1,0]
	v_pk_fma_f32 v[18:19], v[6:7], v[70:71], v[16:17] op_sel:[0,0,1] op_sel_hi:[1,1,0] neg_lo:[0,0,1] neg_hi:[0,0,1]
	v_pk_fma_f32 v[6:7], v[6:7], v[70:71], v[16:17] op_sel:[0,0,1] op_sel_hi:[1,0,0]
	v_mov_b32_e32 v6, v69
	v_mov_b32_e32 v19, v7
	s_waitcnt lgkmcnt(1)
	v_pk_mul_f32 v[6:7], v[8:9], v[6:7] op_sel_hi:[1,0]
	v_pk_fma_f32 v[16:17], v[8:9], v[68:69], v[6:7] op_sel:[0,0,1] op_sel_hi:[1,1,0] neg_lo:[0,0,1] neg_hi:[0,0,1]
	v_pk_fma_f32 v[6:7], v[8:9], v[68:69], v[6:7] op_sel:[0,0,1] op_sel_hi:[1,0,0]
	s_waitcnt vmcnt(1)
	v_mov_b32_e32 v6, v81
	v_mov_b32_e32 v17, v7
	v_pk_mul_f32 v[6:7], v[10:11], v[6:7] op_sel_hi:[1,0]
	s_waitcnt vmcnt(0)
	v_pk_fma_f32 v[8:9], v[10:11], v[80:81], v[6:7] op_sel:[0,0,1] op_sel_hi:[1,1,0] neg_lo:[0,0,1] neg_hi:[0,0,1]
	v_pk_fma_f32 v[6:7], v[10:11], v[80:81], v[6:7] op_sel:[0,0,1] op_sel_hi:[1,0,0]
	v_pk_add_f32 v[4:5], v[4:5], v[18:19]
	v_mov_b32_e32 v6, v79
	v_pk_add_f32 v[4:5], v[4:5], v[16:17]
	v_mov_b32_e32 v9, v7
	s_waitcnt lgkmcnt(0)
	v_pk_mul_f32 v[6:7], v[12:13], v[6:7] op_sel_hi:[1,0]
	v_pk_add_f32 v[4:5], v[4:5], v[8:9]
	v_pk_fma_f32 v[8:9], v[12:13], v[78:79], v[6:7] op_sel:[0,0,1] op_sel_hi:[1,1,0] neg_lo:[0,0,1] neg_hi:[0,0,1]
	v_pk_fma_f32 v[6:7], v[12:13], v[78:79], v[6:7] op_sel:[0,0,1] op_sel_hi:[1,0,0]
	v_mov_b32_e32 v6, v77
	v_mov_b32_e32 v9, v7
	v_pk_mul_f32 v[6:7], v[14:15], v[6:7] op_sel_hi:[1,0]
	v_pk_add_f32 v[4:5], v[4:5], v[8:9]
	v_pk_fma_f32 v[8:9], v[14:15], v[76:77], v[6:7] op_sel:[0,0,1] op_sel_hi:[1,1,0] neg_lo:[0,0,1] neg_hi:[0,0,1]
	v_pk_fma_f32 v[6:7], v[14:15], v[76:77], v[6:7] op_sel:[0,0,1] op_sel_hi:[1,0,0]
	v_mov_b32_e32 v9, v7
	v_pk_add_f32 v[4:5], v[4:5], v[8:9]
	v_pk_add_f32 v[2:3], v[2:3], v[4:5] neg_lo:[0,1] neg_hi:[0,1]
	buffer_store_dword v3, off, s[0:3], 0 offset:140
	buffer_store_dword v2, off, s[0:3], 0 offset:136
	s_and_saveexec_b64 s[4:5], vcc
	s_cbranch_execz .LBB51_293
; %bb.292:
	buffer_load_dword v2, off, s[0:3], 0 offset:128
	buffer_load_dword v3, off, s[0:3], 0 offset:132
	v_mov_b32_e32 v1, 0
	buffer_store_dword v1, off, s[0:3], 0 offset:128
	buffer_store_dword v1, off, s[0:3], 0 offset:132
	s_waitcnt vmcnt(2)
	ds_write_b64 v129, v[2:3]
.LBB51_293:
	s_or_b64 exec, exec, s[4:5]
	s_waitcnt lgkmcnt(0)
	; wave barrier
	s_waitcnt lgkmcnt(0)
	buffer_load_dword v60, off, s[0:3], 0 offset:140
	buffer_load_dword v62, off, s[0:3], 0 offset:148
	;; [unrolled: 1-line block ×56, first 2 shown]
	v_mov_b32_e32 v1, 0
	ds_read2_b64 v[4:7], v1 offset0:69 offset1:70
	ds_read2_b64 v[8:11], v1 offset0:71 offset1:72
	;; [unrolled: 1-line block ×6, first 2 shown]
	v_cmp_lt_u32_e32 vcc, 15, v0
	s_waitcnt vmcnt(55) lgkmcnt(5)
	v_mul_f32_e32 v28, v4, v60
	s_waitcnt vmcnt(54)
	v_mul_f32_e32 v29, v6, v62
	s_waitcnt vmcnt(53) lgkmcnt(4)
	v_mul_f32_e32 v30, v8, v64
	s_waitcnt vmcnt(52)
	v_mul_f32_e32 v31, v10, v82
	;; [unrolled: 4-line block ×4, first 2 shown]
	s_waitcnt vmcnt(47) lgkmcnt(1)
	v_mul_f32_e32 v36, v20, v87
	s_waitcnt vmcnt(46)
	v_fmac_f32_e32 v28, v5, v88
	s_waitcnt vmcnt(45)
	v_fmac_f32_e32 v29, v7, v89
	v_add_f32_e32 v28, 0, v28
	s_waitcnt vmcnt(44)
	v_fmac_f32_e32 v30, v9, v90
	v_add_f32_e32 v28, v28, v29
	;; [unrolled: 3-line block ×7, first 2 shown]
	v_add_f32_e32 v28, v28, v35
	s_waitcnt vmcnt(38)
	v_fmac_f32_e32 v36, v21, v96
	s_waitcnt vmcnt(37)
	v_mul_f32_e32 v29, v22, v97
	v_add_f32_e32 v28, v28, v36
	s_waitcnt vmcnt(36)
	v_fmac_f32_e32 v29, v23, v98
	v_add_f32_e32 v28, v28, v29
	s_waitcnt vmcnt(35) lgkmcnt(0)
	v_mul_f32_e32 v29, v24, v99
	s_waitcnt vmcnt(34)
	v_fmac_f32_e32 v29, v25, v100
	v_add_f32_e32 v32, v28, v29
	ds_read2_b64 v[28:31], v1 offset0:81 offset1:82
	s_waitcnt vmcnt(33)
	v_mul_f32_e32 v33, v26, v101
	s_waitcnt vmcnt(32)
	v_fmac_f32_e32 v33, v27, v102
	v_add_f32_e32 v36, v32, v33
	ds_read2_b64 v[32:35], v1 offset0:83 offset1:84
	s_waitcnt vmcnt(31) lgkmcnt(1)
	v_mul_f32_e32 v37, v28, v103
	s_waitcnt vmcnt(30)
	v_fmac_f32_e32 v37, v29, v104
	v_add_f32_e32 v36, v36, v37
	s_waitcnt vmcnt(29)
	v_mul_f32_e32 v37, v30, v105
	s_waitcnt vmcnt(28)
	v_fmac_f32_e32 v37, v31, v106
	v_add_f32_e32 v36, v36, v37
	s_waitcnt vmcnt(27) lgkmcnt(0)
	v_mul_f32_e32 v37, v32, v107
	s_waitcnt vmcnt(26)
	v_fmac_f32_e32 v37, v33, v108
	v_add_f32_e32 v40, v36, v37
	ds_read2_b64 v[36:39], v1 offset0:85 offset1:86
	s_waitcnt vmcnt(24)
	v_mul_f32_e32 v41, v34, v190
	v_fmac_f32_e32 v41, v35, v109
	v_add_f32_e32 v44, v40, v41
	ds_read2_b64 v[40:43], v1 offset0:87 offset1:88
	s_waitcnt vmcnt(20) lgkmcnt(1)
	v_mul_f32_e32 v45, v36, v192
	v_fmac_f32_e32 v45, v37, v191
	v_add_f32_e32 v44, v44, v45
	s_waitcnt vmcnt(18)
	v_mul_f32_e32 v45, v38, v194
	v_fmac_f32_e32 v45, v39, v193
	v_add_f32_e32 v44, v44, v45
	s_waitcnt vmcnt(16) lgkmcnt(0)
	v_mul_f32_e32 v45, v40, v196
	v_fmac_f32_e32 v45, v41, v195
	v_add_f32_e32 v48, v44, v45
	ds_read2_b64 v[44:47], v1 offset0:89 offset1:90
	s_waitcnt vmcnt(14)
	v_mul_f32_e32 v49, v42, v198
	v_fmac_f32_e32 v49, v43, v197
	v_add_f32_e32 v52, v48, v49
	ds_read2_b64 v[48:51], v1 offset0:91 offset1:92
	s_waitcnt vmcnt(12) lgkmcnt(1)
	v_mul_f32_e32 v53, v44, v200
	v_fmac_f32_e32 v53, v45, v199
	v_add_f32_e32 v52, v52, v53
	s_waitcnt vmcnt(10)
	v_mul_f32_e32 v53, v46, v202
	v_fmac_f32_e32 v53, v47, v201
	v_add_f32_e32 v52, v52, v53
	s_waitcnt vmcnt(8) lgkmcnt(0)
	v_mul_f32_e32 v53, v48, v204
	v_fmac_f32_e32 v53, v49, v203
	s_waitcnt vmcnt(6)
	v_mul_f32_e32 v57, v50, v206
	v_add_f32_e32 v56, v52, v53
	v_fmac_f32_e32 v57, v51, v205
	ds_read2_b64 v[52:55], v1 offset0:93 offset1:94
	v_add_f32_e32 v61, v56, v57
	ds_read2_b64 v[56:59], v1 offset0:95 offset1:96
	buffer_load_dword v67, off, s[0:3], 0 offset:380
	buffer_load_dword v66, off, s[0:3], 0 offset:376
	buffer_load_dword v69, off, s[0:3], 0 offset:372
	buffer_load_dword v68, off, s[0:3], 0 offset:368
	buffer_load_dword v71, off, s[0:3], 0 offset:364
	buffer_load_dword v70, off, s[0:3], 0 offset:360
	buffer_load_dword v73, off, s[0:3], 0 offset:356
	buffer_load_dword v72, off, s[0:3], 0 offset:352
	buffer_load_dword v75, off, s[0:3], 0 offset:412
	buffer_load_dword v74, off, s[0:3], 0 offset:408
	buffer_load_dword v77, off, s[0:3], 0 offset:404
	buffer_load_dword v76, off, s[0:3], 0 offset:400
	buffer_load_dword v79, off, s[0:3], 0 offset:396
	buffer_load_dword v78, off, s[0:3], 0 offset:392
	buffer_load_dword v81, off, s[0:3], 0 offset:388
	buffer_load_dword v80, off, s[0:3], 0 offset:384
	v_mul_f32_e32 v5, v5, v60
	v_fma_f32 v4, v4, v88, -v5
	v_mul_f32_e32 v5, v7, v62
	v_add_f32_e32 v4, 0, v4
	v_fma_f32 v5, v6, v89, -v5
	v_add_f32_e32 v4, v4, v5
	v_mul_f32_e32 v5, v9, v64
	v_fma_f32 v5, v8, v90, -v5
	v_add_f32_e32 v4, v4, v5
	v_mul_f32_e32 v5, v11, v82
	;; [unrolled: 3-line block ×22, first 2 shown]
	v_fma_f32 v5, v50, v205, -v5
	v_add_f32_e32 v4, v4, v5
	s_waitcnt vmcnt(20) lgkmcnt(1)
	v_mul_f32_e32 v5, v53, v208
	v_mul_f32_e32 v63, v52, v208
	v_fma_f32 v5, v52, v207, -v5
	v_fmac_f32_e32 v63, v53, v207
	v_add_f32_e32 v60, v4, v5
	s_waitcnt vmcnt(18)
	v_mul_f32_e32 v4, v55, v210
	s_waitcnt vmcnt(9)
	v_mov_b32_e32 v20, v73
	v_add_f32_e32 v61, v61, v63
	v_mul_f32_e32 v63, v54, v210
	v_fma_f32 v62, v54, v209, -v4
	s_waitcnt lgkmcnt(0)
	v_mul_f32_e32 v4, v57, v212
	v_pk_mul_f32 v[20:21], v[58:59], v[20:21] op_sel_hi:[1,0]
	v_fmac_f32_e32 v63, v55, v209
	v_mul_f32_e32 v65, v56, v212
	v_fma_f32 v64, v56, v211, -v4
	ds_read2_b64 v[4:7], v1 offset0:97 offset1:98
	ds_read2_b64 v[8:11], v1 offset0:99 offset1:100
	;; [unrolled: 1-line block ×3, first 2 shown]
	ds_read_b64 v[16:17], v1 offset:824
	s_waitcnt vmcnt(8)
	v_pk_fma_f32 v[22:23], v[58:59], v[72:73], v[20:21] op_sel:[0,0,1] op_sel_hi:[1,1,0] neg_lo:[0,0,1] neg_hi:[0,0,1]
	v_pk_fma_f32 v[20:21], v[58:59], v[72:73], v[20:21] op_sel:[0,0,1] op_sel_hi:[1,0,0]
	v_fmac_f32_e32 v65, v57, v211
	v_pk_add_f32 v[18:19], v[60:61], v[62:63]
	v_mov_b32_e32 v20, v71
	v_pk_add_f32 v[18:19], v[18:19], v[64:65]
	v_mov_b32_e32 v23, v21
	s_waitcnt lgkmcnt(3)
	v_pk_mul_f32 v[20:21], v[4:5], v[20:21] op_sel_hi:[1,0]
	v_pk_add_f32 v[18:19], v[18:19], v[22:23]
	v_pk_fma_f32 v[22:23], v[4:5], v[70:71], v[20:21] op_sel:[0,0,1] op_sel_hi:[1,1,0] neg_lo:[0,0,1] neg_hi:[0,0,1]
	v_pk_fma_f32 v[4:5], v[4:5], v[70:71], v[20:21] op_sel:[0,0,1] op_sel_hi:[1,0,0]
	v_mov_b32_e32 v23, v5
	v_pk_add_f32 v[4:5], v[18:19], v[22:23]
	v_mov_b32_e32 v18, v69
	v_pk_mul_f32 v[18:19], v[6:7], v[18:19] op_sel_hi:[1,0]
	v_pk_fma_f32 v[20:21], v[6:7], v[68:69], v[18:19] op_sel:[0,0,1] op_sel_hi:[1,1,0] neg_lo:[0,0,1] neg_hi:[0,0,1]
	v_pk_fma_f32 v[6:7], v[6:7], v[68:69], v[18:19] op_sel:[0,0,1] op_sel_hi:[1,0,0]
	v_mov_b32_e32 v6, v67
	v_mov_b32_e32 v21, v7
	s_waitcnt lgkmcnt(2)
	v_pk_mul_f32 v[6:7], v[8:9], v[6:7] op_sel_hi:[1,0]
	v_pk_fma_f32 v[18:19], v[8:9], v[66:67], v[6:7] op_sel:[0,0,1] op_sel_hi:[1,1,0] neg_lo:[0,0,1] neg_hi:[0,0,1]
	v_pk_fma_f32 v[6:7], v[8:9], v[66:67], v[6:7] op_sel:[0,0,1] op_sel_hi:[1,0,0]
	s_waitcnt vmcnt(1)
	v_mov_b32_e32 v6, v81
	v_mov_b32_e32 v19, v7
	v_pk_mul_f32 v[6:7], v[10:11], v[6:7] op_sel_hi:[1,0]
	s_waitcnt vmcnt(0)
	v_pk_fma_f32 v[8:9], v[10:11], v[80:81], v[6:7] op_sel:[0,0,1] op_sel_hi:[1,1,0] neg_lo:[0,0,1] neg_hi:[0,0,1]
	v_pk_fma_f32 v[6:7], v[10:11], v[80:81], v[6:7] op_sel:[0,0,1] op_sel_hi:[1,0,0]
	v_pk_add_f32 v[4:5], v[4:5], v[20:21]
	v_mov_b32_e32 v6, v79
	v_pk_add_f32 v[4:5], v[4:5], v[18:19]
	v_mov_b32_e32 v9, v7
	s_waitcnt lgkmcnt(1)
	v_pk_mul_f32 v[6:7], v[12:13], v[6:7] op_sel_hi:[1,0]
	v_pk_add_f32 v[4:5], v[4:5], v[8:9]
	v_pk_fma_f32 v[8:9], v[12:13], v[78:79], v[6:7] op_sel:[0,0,1] op_sel_hi:[1,1,0] neg_lo:[0,0,1] neg_hi:[0,0,1]
	v_pk_fma_f32 v[6:7], v[12:13], v[78:79], v[6:7] op_sel:[0,0,1] op_sel_hi:[1,0,0]
	v_mov_b32_e32 v6, v77
	v_mov_b32_e32 v9, v7
	v_pk_mul_f32 v[6:7], v[14:15], v[6:7] op_sel_hi:[1,0]
	v_pk_add_f32 v[4:5], v[4:5], v[8:9]
	v_pk_fma_f32 v[8:9], v[14:15], v[76:77], v[6:7] op_sel:[0,0,1] op_sel_hi:[1,1,0] neg_lo:[0,0,1] neg_hi:[0,0,1]
	v_pk_fma_f32 v[6:7], v[14:15], v[76:77], v[6:7] op_sel:[0,0,1] op_sel_hi:[1,0,0]
	v_mov_b32_e32 v6, v75
	v_mov_b32_e32 v9, v7
	s_waitcnt lgkmcnt(0)
	v_pk_mul_f32 v[6:7], v[16:17], v[6:7] op_sel_hi:[1,0]
	v_pk_add_f32 v[4:5], v[4:5], v[8:9]
	v_pk_fma_f32 v[8:9], v[16:17], v[74:75], v[6:7] op_sel:[0,0,1] op_sel_hi:[1,1,0] neg_lo:[0,0,1] neg_hi:[0,0,1]
	v_pk_fma_f32 v[6:7], v[16:17], v[74:75], v[6:7] op_sel:[0,0,1] op_sel_hi:[1,0,0]
	v_mov_b32_e32 v9, v7
	v_pk_add_f32 v[4:5], v[4:5], v[8:9]
	v_pk_add_f32 v[2:3], v[2:3], v[4:5] neg_lo:[0,1] neg_hi:[0,1]
	buffer_store_dword v3, off, s[0:3], 0 offset:132
	buffer_store_dword v2, off, s[0:3], 0 offset:128
	s_and_saveexec_b64 s[4:5], vcc
	s_cbranch_execz .LBB51_295
; %bb.294:
	buffer_load_dword v2, off, s[0:3], 0 offset:120
	buffer_load_dword v3, off, s[0:3], 0 offset:124
	s_waitcnt vmcnt(0)
	ds_write_b64 v129, v[2:3]
	buffer_store_dword v1, off, s[0:3], 0 offset:120
	buffer_store_dword v1, off, s[0:3], 0 offset:124
.LBB51_295:
	s_or_b64 exec, exec, s[4:5]
	s_waitcnt lgkmcnt(0)
	; wave barrier
	s_waitcnt lgkmcnt(0)
	buffer_load_dword v60, off, s[0:3], 0 offset:132
	buffer_load_dword v62, off, s[0:3], 0 offset:140
	;; [unrolled: 1-line block ×36, first 2 shown]
	ds_read_b128 v[4:7], v1 offset:544
	ds_read_b128 v[8:11], v1 offset:560
	buffer_load_dword v193, off, s[0:3], 0 offset:264
	buffer_load_dword v194, off, s[0:3], 0 offset:268
	;; [unrolled: 1-line block ×4, first 2 shown]
	ds_read_b128 v[12:15], v1 offset:576
	ds_read_b128 v[16:19], v1 offset:592
	buffer_load_dword v197, off, s[0:3], 0 offset:280
	buffer_load_dword v198, off, s[0:3], 0 offset:284
	ds_read_b128 v[20:23], v1 offset:608
	ds_read_b128 v[24:27], v1 offset:624
	buffer_load_dword v199, off, s[0:3], 0 offset:288
	buffer_load_dword v200, off, s[0:3], 0 offset:292
	;; [unrolled: 1-line block ×16, first 2 shown]
	v_cmp_lt_u32_e32 vcc, 14, v0
	s_waitcnt vmcnt(57) lgkmcnt(5)
	v_mul_f32_e32 v28, v4, v60
	s_waitcnt vmcnt(56)
	v_mul_f32_e32 v29, v6, v62
	s_waitcnt vmcnt(55) lgkmcnt(4)
	v_mul_f32_e32 v30, v8, v70
	s_waitcnt vmcnt(54)
	v_mul_f32_e32 v31, v10, v82
	;; [unrolled: 4-line block ×4, first 2 shown]
	s_waitcnt vmcnt(49)
	v_fmac_f32_e32 v28, v5, v87
	s_waitcnt vmcnt(48)
	v_fmac_f32_e32 v29, v7, v88
	v_add_f32_e32 v28, 0, v28
	s_waitcnt vmcnt(47)
	v_fmac_f32_e32 v30, v9, v89
	v_add_f32_e32 v28, v28, v29
	;; [unrolled: 3-line block ×7, first 2 shown]
	s_waitcnt vmcnt(41) lgkmcnt(1)
	v_mul_f32_e32 v29, v20, v95
	v_add_f32_e32 v28, v28, v35
	s_waitcnt vmcnt(40)
	v_fmac_f32_e32 v29, v21, v96
	v_add_f32_e32 v28, v28, v29
	s_waitcnt vmcnt(39)
	v_mul_f32_e32 v29, v22, v97
	s_waitcnt vmcnt(38)
	v_fmac_f32_e32 v29, v23, v98
	v_add_f32_e32 v28, v28, v29
	s_waitcnt vmcnt(37) lgkmcnt(0)
	v_mul_f32_e32 v29, v24, v99
	s_waitcnt vmcnt(36)
	v_fmac_f32_e32 v29, v25, v100
	v_add_f32_e32 v32, v28, v29
	ds_read_b128 v[28:31], v1 offset:640
	s_waitcnt vmcnt(35)
	v_mul_f32_e32 v33, v26, v101
	s_waitcnt vmcnt(34)
	v_fmac_f32_e32 v33, v27, v102
	v_add_f32_e32 v36, v32, v33
	ds_read_b128 v[32:35], v1 offset:656
	s_waitcnt vmcnt(33) lgkmcnt(1)
	v_mul_f32_e32 v37, v28, v103
	s_waitcnt vmcnt(32)
	v_fmac_f32_e32 v37, v29, v104
	v_add_f32_e32 v36, v36, v37
	s_waitcnt vmcnt(31)
	v_mul_f32_e32 v37, v30, v105
	s_waitcnt vmcnt(30)
	v_fmac_f32_e32 v37, v31, v106
	v_add_f32_e32 v36, v36, v37
	s_waitcnt vmcnt(29) lgkmcnt(0)
	v_mul_f32_e32 v37, v32, v107
	s_waitcnt vmcnt(28)
	v_fmac_f32_e32 v37, v33, v108
	v_add_f32_e32 v40, v36, v37
	ds_read_b128 v[36:39], v1 offset:672
	s_waitcnt vmcnt(25)
	v_mul_f32_e32 v41, v34, v109
	s_waitcnt vmcnt(24)
	v_fmac_f32_e32 v41, v35, v190
	v_add_f32_e32 v44, v40, v41
	ds_read_b128 v[40:43], v1 offset:688
	s_waitcnt vmcnt(22) lgkmcnt(1)
	v_mul_f32_e32 v45, v36, v192
	v_fmac_f32_e32 v45, v37, v191
	v_add_f32_e32 v44, v44, v45
	s_waitcnt vmcnt(20)
	v_mul_f32_e32 v45, v38, v194
	v_fmac_f32_e32 v45, v39, v193
	v_add_f32_e32 v44, v44, v45
	s_waitcnt vmcnt(18) lgkmcnt(0)
	v_mul_f32_e32 v45, v40, v196
	v_fmac_f32_e32 v45, v41, v195
	v_add_f32_e32 v48, v44, v45
	ds_read_b128 v[44:47], v1 offset:704
	s_waitcnt vmcnt(16)
	v_mul_f32_e32 v49, v42, v198
	v_fmac_f32_e32 v49, v43, v197
	v_add_f32_e32 v52, v48, v49
	ds_read_b128 v[48:51], v1 offset:720
	s_waitcnt vmcnt(14) lgkmcnt(1)
	v_mul_f32_e32 v53, v44, v200
	v_fmac_f32_e32 v53, v45, v199
	v_add_f32_e32 v52, v52, v53
	s_waitcnt vmcnt(12)
	v_mul_f32_e32 v53, v46, v202
	v_fmac_f32_e32 v53, v47, v201
	v_add_f32_e32 v52, v52, v53
	s_waitcnt vmcnt(10) lgkmcnt(0)
	v_mul_f32_e32 v53, v48, v204
	v_fmac_f32_e32 v53, v49, v203
	s_waitcnt vmcnt(8)
	v_mul_f32_e32 v57, v50, v206
	v_add_f32_e32 v56, v52, v53
	v_fmac_f32_e32 v57, v51, v205
	ds_read_b128 v[52:55], v1 offset:736
	v_add_f32_e32 v61, v56, v57
	ds_read_b128 v[56:59], v1 offset:752
	buffer_load_dword v65, off, s[0:3], 0 offset:372
	buffer_load_dword v64, off, s[0:3], 0 offset:368
	;; [unrolled: 1-line block ×16, first 2 shown]
	v_mul_f32_e32 v5, v5, v60
	v_fma_f32 v4, v4, v87, -v5
	v_mul_f32_e32 v5, v7, v62
	v_add_f32_e32 v4, 0, v4
	v_fma_f32 v5, v6, v88, -v5
	v_add_f32_e32 v4, v4, v5
	v_mul_f32_e32 v5, v9, v70
	v_fma_f32 v5, v8, v89, -v5
	v_add_f32_e32 v4, v4, v5
	v_mul_f32_e32 v5, v11, v82
	;; [unrolled: 3-line block ×22, first 2 shown]
	v_fma_f32 v5, v50, v205, -v5
	v_add_f32_e32 v4, v4, v5
	s_waitcnt vmcnt(22) lgkmcnt(1)
	v_mul_f32_e32 v5, v53, v208
	v_fma_f32 v5, v52, v207, -v5
	v_add_f32_e32 v4, v4, v5
	s_waitcnt vmcnt(20)
	v_mul_f32_e32 v5, v55, v210
	v_mul_f32_e32 v63, v52, v208
	v_fma_f32 v5, v54, v209, -v5
	v_fmac_f32_e32 v63, v53, v207
	v_add_f32_e32 v60, v4, v5
	s_waitcnt vmcnt(18) lgkmcnt(0)
	v_mul_f32_e32 v4, v57, v212
	v_add_f32_e32 v61, v61, v63
	v_mul_f32_e32 v63, v54, v210
	v_fma_f32 v62, v56, v211, -v4
	s_waitcnt vmcnt(16)
	v_mul_f32_e32 v4, v59, v214
	v_fmac_f32_e32 v63, v55, v209
	v_fma_f32 v70, v58, v213, -v4
	ds_read_b128 v[4:7], v1 offset:768
	ds_read_b128 v[8:11], v1 offset:784
	;; [unrolled: 1-line block ×4, first 2 shown]
	v_add_f32_e32 v61, v61, v63
	v_mul_f32_e32 v63, v56, v212
	s_waitcnt vmcnt(11)
	v_mov_b32_e32 v22, v69
	v_fmac_f32_e32 v63, v57, v211
	v_mul_f32_e32 v71, v58, v214
	s_waitcnt lgkmcnt(3)
	v_pk_mul_f32 v[22:23], v[4:5], v[22:23] op_sel_hi:[1,0]
	v_fmac_f32_e32 v71, v59, v213
	v_pk_add_f32 v[20:21], v[60:61], v[62:63]
	s_waitcnt vmcnt(10)
	v_pk_fma_f32 v[24:25], v[4:5], v[68:69], v[22:23] op_sel:[0,0,1] op_sel_hi:[1,1,0] neg_lo:[0,0,1] neg_hi:[0,0,1]
	v_pk_fma_f32 v[4:5], v[4:5], v[68:69], v[22:23] op_sel:[0,0,1] op_sel_hi:[1,0,0]
	v_pk_add_f32 v[20:21], v[20:21], v[70:71]
	v_mov_b32_e32 v25, v5
	v_pk_add_f32 v[4:5], v[20:21], v[24:25]
	v_mov_b32_e32 v20, v67
	v_pk_mul_f32 v[20:21], v[6:7], v[20:21] op_sel_hi:[1,0]
	v_pk_fma_f32 v[22:23], v[6:7], v[66:67], v[20:21] op_sel:[0,0,1] op_sel_hi:[1,1,0] neg_lo:[0,0,1] neg_hi:[0,0,1]
	v_pk_fma_f32 v[6:7], v[6:7], v[66:67], v[20:21] op_sel:[0,0,1] op_sel_hi:[1,0,0]
	v_mov_b32_e32 v6, v65
	v_mov_b32_e32 v23, v7
	s_waitcnt lgkmcnt(2)
	v_pk_mul_f32 v[6:7], v[8:9], v[6:7] op_sel_hi:[1,0]
	v_pk_fma_f32 v[20:21], v[8:9], v[64:65], v[6:7] op_sel:[0,0,1] op_sel_hi:[1,1,0] neg_lo:[0,0,1] neg_hi:[0,0,1]
	v_pk_fma_f32 v[6:7], v[8:9], v[64:65], v[6:7] op_sel:[0,0,1] op_sel_hi:[1,0,0]
	s_waitcnt vmcnt(3)
	v_mov_b32_e32 v6, v79
	v_mov_b32_e32 v21, v7
	v_pk_mul_f32 v[6:7], v[10:11], v[6:7] op_sel_hi:[1,0]
	s_waitcnt vmcnt(2)
	v_pk_fma_f32 v[8:9], v[10:11], v[78:79], v[6:7] op_sel:[0,0,1] op_sel_hi:[1,1,0] neg_lo:[0,0,1] neg_hi:[0,0,1]
	v_pk_fma_f32 v[6:7], v[10:11], v[78:79], v[6:7] op_sel:[0,0,1] op_sel_hi:[1,0,0]
	v_pk_add_f32 v[4:5], v[4:5], v[22:23]
	v_mov_b32_e32 v6, v77
	v_pk_add_f32 v[4:5], v[4:5], v[20:21]
	v_mov_b32_e32 v9, v7
	s_waitcnt lgkmcnt(1)
	v_pk_mul_f32 v[6:7], v[12:13], v[6:7] op_sel_hi:[1,0]
	v_pk_add_f32 v[4:5], v[4:5], v[8:9]
	v_pk_fma_f32 v[8:9], v[12:13], v[76:77], v[6:7] op_sel:[0,0,1] op_sel_hi:[1,1,0] neg_lo:[0,0,1] neg_hi:[0,0,1]
	v_pk_fma_f32 v[6:7], v[12:13], v[76:77], v[6:7] op_sel:[0,0,1] op_sel_hi:[1,0,0]
	v_mov_b32_e32 v6, v75
	v_mov_b32_e32 v9, v7
	v_pk_mul_f32 v[6:7], v[14:15], v[6:7] op_sel_hi:[1,0]
	v_pk_add_f32 v[4:5], v[4:5], v[8:9]
	v_pk_fma_f32 v[8:9], v[14:15], v[74:75], v[6:7] op_sel:[0,0,1] op_sel_hi:[1,1,0] neg_lo:[0,0,1] neg_hi:[0,0,1]
	v_pk_fma_f32 v[6:7], v[14:15], v[74:75], v[6:7] op_sel:[0,0,1] op_sel_hi:[1,0,0]
	v_mov_b32_e32 v6, v73
	v_mov_b32_e32 v9, v7
	s_waitcnt lgkmcnt(0)
	v_pk_mul_f32 v[6:7], v[16:17], v[6:7] op_sel_hi:[1,0]
	v_pk_add_f32 v[4:5], v[4:5], v[8:9]
	v_pk_fma_f32 v[8:9], v[16:17], v[72:73], v[6:7] op_sel:[0,0,1] op_sel_hi:[1,1,0] neg_lo:[0,0,1] neg_hi:[0,0,1]
	v_pk_fma_f32 v[6:7], v[16:17], v[72:73], v[6:7] op_sel:[0,0,1] op_sel_hi:[1,0,0]
	s_waitcnt vmcnt(1)
	v_mov_b32_e32 v6, v81
	v_mov_b32_e32 v9, v7
	v_pk_mul_f32 v[6:7], v[18:19], v[6:7] op_sel_hi:[1,0]
	v_pk_add_f32 v[4:5], v[4:5], v[8:9]
	s_waitcnt vmcnt(0)
	v_pk_fma_f32 v[8:9], v[18:19], v[80:81], v[6:7] op_sel:[0,0,1] op_sel_hi:[1,1,0] neg_lo:[0,0,1] neg_hi:[0,0,1]
	v_pk_fma_f32 v[6:7], v[18:19], v[80:81], v[6:7] op_sel:[0,0,1] op_sel_hi:[1,0,0]
	v_mov_b32_e32 v9, v7
	v_pk_add_f32 v[4:5], v[4:5], v[8:9]
	v_pk_add_f32 v[2:3], v[2:3], v[4:5] neg_lo:[0,1] neg_hi:[0,1]
	buffer_store_dword v3, off, s[0:3], 0 offset:124
	buffer_store_dword v2, off, s[0:3], 0 offset:120
	s_and_saveexec_b64 s[4:5], vcc
	s_cbranch_execz .LBB51_297
; %bb.296:
	buffer_load_dword v2, off, s[0:3], 0 offset:112
	buffer_load_dword v3, off, s[0:3], 0 offset:116
	v_mov_b32_e32 v1, 0
	buffer_store_dword v1, off, s[0:3], 0 offset:112
	buffer_store_dword v1, off, s[0:3], 0 offset:116
	s_waitcnt vmcnt(2)
	ds_write_b64 v129, v[2:3]
.LBB51_297:
	s_or_b64 exec, exec, s[4:5]
	s_waitcnt lgkmcnt(0)
	; wave barrier
	s_waitcnt lgkmcnt(0)
	buffer_load_dword v1, off, s[0:3], 0 offset:124
	buffer_load_dword v17, off, s[0:3], 0 offset:132
	;; [unrolled: 1-line block ×56, first 2 shown]
	v_mov_b32_e32 v16, 0
	ds_read2_b64 v[2:5], v16 offset0:67 offset1:68
	buffer_load_dword v221, off, s[0:3], 0 offset:336
	buffer_load_dword v222, off, s[0:3], 0 offset:340
	;; [unrolled: 1-line block ×4, first 2 shown]
	ds_read2_b64 v[8:11], v16 offset0:69 offset1:70
	ds_read2_b64 v[12:15], v16 offset0:71 offset1:72
	;; [unrolled: 1-line block ×3, first 2 shown]
	v_cmp_lt_u32_e32 vcc, 13, v0
	s_waitcnt vmcnt(59) lgkmcnt(3)
	v_mul_f32_e32 v22, v2, v1
	s_waitcnt vmcnt(58)
	v_mul_f32_e32 v23, v4, v17
	s_waitcnt vmcnt(57) lgkmcnt(2)
	v_mul_f32_e32 v24, v8, v70
	s_waitcnt vmcnt(56)
	v_mul_f32_e32 v25, v10, v76
	s_waitcnt vmcnt(55) lgkmcnt(1)
	v_mul_f32_e32 v26, v12, v78
	s_waitcnt vmcnt(54)
	v_mul_f32_e32 v27, v14, v92
	s_waitcnt vmcnt(53) lgkmcnt(0)
	v_mul_f32_e32 v28, v18, v93
	s_waitcnt vmcnt(52)
	v_fmac_f32_e32 v22, v3, v94
	s_waitcnt vmcnt(51)
	v_fmac_f32_e32 v23, v5, v95
	v_add_f32_e32 v22, 0, v22
	s_waitcnt vmcnt(50)
	v_fmac_f32_e32 v24, v9, v96
	v_add_f32_e32 v22, v22, v23
	;; [unrolled: 3-line block ×6, first 2 shown]
	v_add_f32_e32 v26, v22, v28
	ds_read2_b64 v[22:25], v16 offset0:75 offset1:76
	s_waitcnt vmcnt(45)
	v_mul_f32_e32 v27, v20, v101
	s_waitcnt vmcnt(44)
	v_fmac_f32_e32 v27, v21, v102
	v_add_f32_e32 v30, v26, v27
	ds_read2_b64 v[26:29], v16 offset0:77 offset1:78
	s_waitcnt vmcnt(43) lgkmcnt(1)
	v_mul_f32_e32 v31, v22, v103
	s_waitcnt vmcnt(42)
	v_fmac_f32_e32 v31, v23, v104
	v_add_f32_e32 v30, v30, v31
	s_waitcnt vmcnt(41)
	v_mul_f32_e32 v31, v24, v105
	s_waitcnt vmcnt(40)
	v_fmac_f32_e32 v31, v25, v106
	v_add_f32_e32 v30, v30, v31
	s_waitcnt vmcnt(39) lgkmcnt(0)
	v_mul_f32_e32 v31, v26, v107
	s_waitcnt vmcnt(38)
	v_fmac_f32_e32 v31, v27, v108
	v_add_f32_e32 v34, v30, v31
	ds_read2_b64 v[30:33], v16 offset0:79 offset1:80
	s_waitcnt vmcnt(37)
	v_mul_f32_e32 v35, v28, v109
	s_waitcnt vmcnt(36)
	v_fmac_f32_e32 v35, v29, v190
	v_add_f32_e32 v38, v34, v35
	ds_read2_b64 v[34:37], v16 offset0:81 offset1:82
	s_waitcnt vmcnt(34) lgkmcnt(1)
	v_mul_f32_e32 v39, v30, v192
	v_fmac_f32_e32 v39, v31, v191
	v_add_f32_e32 v38, v38, v39
	s_waitcnt vmcnt(31)
	v_mul_f32_e32 v39, v32, v193
	s_waitcnt vmcnt(30)
	v_fmac_f32_e32 v39, v33, v194
	v_add_f32_e32 v38, v38, v39
	s_waitcnt vmcnt(28) lgkmcnt(0)
	v_mul_f32_e32 v39, v34, v196
	v_fmac_f32_e32 v39, v35, v195
	v_add_f32_e32 v42, v38, v39
	ds_read2_b64 v[38:41], v16 offset0:83 offset1:84
	s_waitcnt vmcnt(26)
	v_mul_f32_e32 v43, v36, v198
	v_fmac_f32_e32 v43, v37, v197
	v_add_f32_e32 v46, v42, v43
	ds_read2_b64 v[42:45], v16 offset0:85 offset1:86
	s_waitcnt vmcnt(24) lgkmcnt(1)
	v_mul_f32_e32 v47, v38, v200
	v_fmac_f32_e32 v47, v39, v199
	v_add_f32_e32 v46, v46, v47
	s_waitcnt vmcnt(22)
	v_mul_f32_e32 v47, v40, v202
	v_fmac_f32_e32 v47, v41, v201
	v_add_f32_e32 v46, v46, v47
	s_waitcnt vmcnt(20) lgkmcnt(0)
	v_mul_f32_e32 v47, v42, v204
	v_fmac_f32_e32 v47, v43, v203
	v_add_f32_e32 v50, v46, v47
	ds_read2_b64 v[46:49], v16 offset0:87 offset1:88
	s_waitcnt vmcnt(18)
	v_mul_f32_e32 v51, v44, v206
	v_fmac_f32_e32 v51, v45, v205
	v_add_f32_e32 v54, v50, v51
	ds_read2_b64 v[50:53], v16 offset0:89 offset1:90
	s_waitcnt vmcnt(16) lgkmcnt(1)
	v_mul_f32_e32 v55, v46, v208
	v_fmac_f32_e32 v55, v47, v207
	v_add_f32_e32 v54, v54, v55
	s_waitcnt vmcnt(14)
	v_mul_f32_e32 v55, v48, v210
	;; [unrolled: 18-line block ×3, first 2 shown]
	v_fmac_f32_e32 v63, v57, v217
	v_add_f32_e32 v62, v62, v63
	s_waitcnt vmcnt(4) lgkmcnt(0)
	v_mul_f32_e32 v63, v58, v220
	v_fmac_f32_e32 v63, v59, v219
	v_add_f32_e32 v71, v62, v63
	ds_read2_b64 v[62:65], v16 offset0:95 offset1:96
	buffer_load_dword v73, off, s[0:3], 0 offset:364
	buffer_load_dword v72, off, s[0:3], 0 offset:360
	;; [unrolled: 1-line block ×4, first 2 shown]
	ds_read2_b64 v[66:69], v16 offset0:97 offset1:98
	buffer_load_dword v81, off, s[0:3], 0 offset:396
	buffer_load_dword v80, off, s[0:3], 0 offset:392
	;; [unrolled: 1-line block ×12, first 2 shown]
	v_mul_f32_e32 v1, v3, v1
	v_fma_f32 v1, v2, v94, -v1
	v_mul_f32_e32 v2, v5, v17
	v_add_f32_e32 v1, 0, v1
	v_fma_f32 v2, v4, v95, -v2
	v_add_f32_e32 v1, v1, v2
	v_mul_f32_e32 v2, v9, v70
	v_fma_f32 v2, v8, v96, -v2
	v_add_f32_e32 v1, v1, v2
	v_mul_f32_e32 v2, v11, v76
	;; [unrolled: 3-line block ×25, first 2 shown]
	v_fma_f32 v2, v58, v219, -v2
	s_waitcnt vmcnt(13)
	v_mov_b32_e32 v18, v75
	v_mul_f32_e32 v77, v60, v222
	v_add_f32_e32 v70, v1, v2
	v_mul_f32_e32 v1, v61, v222
	s_waitcnt lgkmcnt(1)
	v_pk_mul_f32 v[18:19], v[64:65], v[18:19] op_sel_hi:[1,0]
	v_fmac_f32_e32 v77, v61, v221
	v_mul_f32_e32 v79, v62, v224
	v_fma_f32 v76, v60, v221, -v1
	v_mul_f32_e32 v1, v63, v224
	s_waitcnt vmcnt(12)
	v_pk_fma_f32 v[20:21], v[64:65], v[74:75], v[18:19] op_sel:[0,0,1] op_sel_hi:[1,1,0] neg_lo:[0,0,1] neg_hi:[0,0,1]
	v_pk_fma_f32 v[18:19], v[64:65], v[74:75], v[18:19] op_sel:[0,0,1] op_sel_hi:[1,0,0]
	v_fmac_f32_e32 v79, v63, v223
	v_fma_f32 v78, v62, v223, -v1
	v_pk_add_f32 v[14:15], v[70:71], v[76:77]
	v_mov_b32_e32 v18, v73
	v_pk_add_f32 v[14:15], v[14:15], v[78:79]
	v_mov_b32_e32 v21, v19
	s_waitcnt lgkmcnt(0)
	v_pk_mul_f32 v[18:19], v[66:67], v[18:19] op_sel_hi:[1,0]
	v_pk_add_f32 v[14:15], v[14:15], v[20:21]
	v_pk_fma_f32 v[20:21], v[66:67], v[72:73], v[18:19] op_sel:[0,0,1] op_sel_hi:[1,1,0] neg_lo:[0,0,1] neg_hi:[0,0,1]
	v_pk_fma_f32 v[18:19], v[66:67], v[72:73], v[18:19] op_sel:[0,0,1] op_sel_hi:[1,0,0]
	s_waitcnt vmcnt(5)
	v_mov_b32_e32 v18, v87
	ds_read2_b64 v[2:5], v16 offset0:99 offset1:100
	ds_read2_b64 v[8:11], v16 offset0:101 offset1:102
	ds_read_b64 v[12:13], v16 offset:824
	v_mov_b32_e32 v21, v19
	v_pk_mul_f32 v[18:19], v[68:69], v[18:19] op_sel_hi:[1,0]
	v_pk_add_f32 v[14:15], v[14:15], v[20:21]
	s_waitcnt vmcnt(4)
	v_pk_fma_f32 v[20:21], v[68:69], v[86:87], v[18:19] op_sel:[0,0,1] op_sel_hi:[1,1,0] neg_lo:[0,0,1] neg_hi:[0,0,1]
	v_pk_fma_f32 v[18:19], v[68:69], v[86:87], v[18:19] op_sel:[0,0,1] op_sel_hi:[1,0,0]
	v_mov_b32_e32 v18, v85
	v_mov_b32_e32 v21, v19
	s_waitcnt lgkmcnt(2)
	v_pk_mul_f32 v[18:19], v[2:3], v[18:19] op_sel_hi:[1,0]
	v_pk_add_f32 v[14:15], v[14:15], v[20:21]
	v_pk_fma_f32 v[20:21], v[2:3], v[84:85], v[18:19] op_sel:[0,0,1] op_sel_hi:[1,1,0] neg_lo:[0,0,1] neg_hi:[0,0,1]
	v_pk_fma_f32 v[2:3], v[2:3], v[84:85], v[18:19] op_sel:[0,0,1] op_sel_hi:[1,0,0]
	v_mov_b32_e32 v21, v3
	v_pk_add_f32 v[2:3], v[14:15], v[20:21]
	v_mov_b32_e32 v14, v83
	v_pk_mul_f32 v[14:15], v[4:5], v[14:15] op_sel_hi:[1,0]
	v_pk_fma_f32 v[18:19], v[4:5], v[82:83], v[14:15] op_sel:[0,0,1] op_sel_hi:[1,1,0] neg_lo:[0,0,1] neg_hi:[0,0,1]
	v_pk_fma_f32 v[4:5], v[4:5], v[82:83], v[14:15] op_sel:[0,0,1] op_sel_hi:[1,0,0]
	v_mov_b32_e32 v4, v81
	v_mov_b32_e32 v19, v5
	s_waitcnt lgkmcnt(1)
	v_pk_mul_f32 v[4:5], v[8:9], v[4:5] op_sel_hi:[1,0]
	v_pk_fma_f32 v[14:15], v[8:9], v[80:81], v[4:5] op_sel:[0,0,1] op_sel_hi:[1,1,0] neg_lo:[0,0,1] neg_hi:[0,0,1]
	v_pk_fma_f32 v[4:5], v[8:9], v[80:81], v[4:5] op_sel:[0,0,1] op_sel_hi:[1,0,0]
	s_waitcnt vmcnt(1)
	v_mov_b32_e32 v4, v91
	v_mov_b32_e32 v15, v5
	v_pk_mul_f32 v[4:5], v[10:11], v[4:5] op_sel_hi:[1,0]
	s_waitcnt vmcnt(0)
	v_pk_fma_f32 v[8:9], v[10:11], v[90:91], v[4:5] op_sel:[0,0,1] op_sel_hi:[1,1,0] neg_lo:[0,0,1] neg_hi:[0,0,1]
	v_pk_fma_f32 v[4:5], v[10:11], v[90:91], v[4:5] op_sel:[0,0,1] op_sel_hi:[1,0,0]
	v_pk_add_f32 v[2:3], v[2:3], v[18:19]
	v_mov_b32_e32 v4, v89
	v_pk_add_f32 v[2:3], v[2:3], v[14:15]
	v_mov_b32_e32 v9, v5
	s_waitcnt lgkmcnt(0)
	v_pk_mul_f32 v[4:5], v[12:13], v[4:5] op_sel_hi:[1,0]
	v_pk_add_f32 v[2:3], v[2:3], v[8:9]
	v_pk_fma_f32 v[8:9], v[12:13], v[88:89], v[4:5] op_sel:[0,0,1] op_sel_hi:[1,1,0] neg_lo:[0,0,1] neg_hi:[0,0,1]
	v_pk_fma_f32 v[4:5], v[12:13], v[88:89], v[4:5] op_sel:[0,0,1] op_sel_hi:[1,0,0]
	v_mov_b32_e32 v9, v5
	v_pk_add_f32 v[2:3], v[2:3], v[8:9]
	v_pk_add_f32 v[2:3], v[6:7], v[2:3] neg_lo:[0,1] neg_hi:[0,1]
	buffer_store_dword v3, off, s[0:3], 0 offset:116
	buffer_store_dword v2, off, s[0:3], 0 offset:112
	s_and_saveexec_b64 s[4:5], vcc
	s_cbranch_execz .LBB51_299
; %bb.298:
	buffer_load_dword v2, off, s[0:3], 0 offset:104
	buffer_load_dword v3, off, s[0:3], 0 offset:108
	s_waitcnt vmcnt(0)
	ds_write_b64 v129, v[2:3]
	buffer_store_dword v16, off, s[0:3], 0 offset:104
	buffer_store_dword v16, off, s[0:3], 0 offset:108
.LBB51_299:
	s_or_b64 exec, exec, s[4:5]
	s_waitcnt lgkmcnt(0)
	; wave barrier
	s_waitcnt lgkmcnt(0)
	buffer_load_dword v1, off, s[0:3], 0 offset:116
	buffer_load_dword v17, off, s[0:3], 0 offset:124
	;; [unrolled: 1-line block ×32, first 2 shown]
	ds_read_b128 v[18:21], v16 offset:528
	ds_read_b128 v[6:9], v16 offset:544
	buffer_load_dword v197, off, s[0:3], 0 offset:232
	buffer_load_dword v198, off, s[0:3], 0 offset:236
	ds_read_b128 v[10:13], v16 offset:560
	ds_read_b128 v[2:5], v16 offset:576
	buffer_load_dword v199, off, s[0:3], 0 offset:240
	buffer_load_dword v200, off, s[0:3], 0 offset:244
	;; [unrolled: 1-line block ×28, first 2 shown]
	v_cmp_lt_u32_e32 vcc, 12, v0
	s_waitcnt vmcnt(61) lgkmcnt(3)
	v_mul_f32_e32 v22, v18, v1
	s_waitcnt vmcnt(60)
	v_mul_f32_e32 v23, v20, v17
	s_waitcnt vmcnt(59) lgkmcnt(2)
	v_mul_f32_e32 v24, v6, v72
	s_waitcnt vmcnt(58)
	v_mul_f32_e32 v25, v8, v74
	;; [unrolled: 4-line block ×3, first 2 shown]
	s_waitcnt vmcnt(55) lgkmcnt(0)
	v_mul_f32_e32 v28, v2, v93
	s_waitcnt vmcnt(54)
	v_fmac_f32_e32 v22, v19, v94
	s_waitcnt vmcnt(53)
	v_fmac_f32_e32 v23, v21, v95
	v_add_f32_e32 v22, 0, v22
	s_waitcnt vmcnt(52)
	v_fmac_f32_e32 v24, v7, v96
	v_add_f32_e32 v22, v22, v23
	;; [unrolled: 3-line block ×6, first 2 shown]
	v_add_f32_e32 v26, v22, v28
	ds_read_b128 v[22:25], v16 offset:592
	s_waitcnt vmcnt(47)
	v_mul_f32_e32 v27, v4, v101
	s_waitcnt vmcnt(46)
	v_fmac_f32_e32 v27, v5, v102
	v_add_f32_e32 v30, v26, v27
	ds_read_b128 v[26:29], v16 offset:608
	s_waitcnt vmcnt(45) lgkmcnt(1)
	v_mul_f32_e32 v31, v22, v103
	s_waitcnt vmcnt(44)
	v_fmac_f32_e32 v31, v23, v104
	v_add_f32_e32 v30, v30, v31
	s_waitcnt vmcnt(43)
	v_mul_f32_e32 v31, v24, v105
	s_waitcnt vmcnt(42)
	v_fmac_f32_e32 v31, v25, v106
	v_add_f32_e32 v30, v30, v31
	s_waitcnt vmcnt(41) lgkmcnt(0)
	v_mul_f32_e32 v31, v26, v107
	s_waitcnt vmcnt(40)
	v_fmac_f32_e32 v31, v27, v108
	v_add_f32_e32 v34, v30, v31
	ds_read_b128 v[30:33], v16 offset:624
	s_waitcnt vmcnt(39)
	v_mul_f32_e32 v35, v28, v109
	s_waitcnt vmcnt(38)
	v_fmac_f32_e32 v35, v29, v190
	v_add_f32_e32 v38, v34, v35
	ds_read_b128 v[34:37], v16 offset:640
	s_waitcnt vmcnt(35) lgkmcnt(1)
	v_mul_f32_e32 v39, v30, v191
	s_waitcnt vmcnt(34)
	v_fmac_f32_e32 v39, v31, v192
	v_add_f32_e32 v38, v38, v39
	s_waitcnt vmcnt(32)
	v_mul_f32_e32 v39, v32, v194
	v_fmac_f32_e32 v39, v33, v193
	v_add_f32_e32 v38, v38, v39
	s_waitcnt vmcnt(30) lgkmcnt(0)
	v_mul_f32_e32 v39, v34, v196
	v_fmac_f32_e32 v39, v35, v195
	v_add_f32_e32 v42, v38, v39
	ds_read_b128 v[38:41], v16 offset:656
	s_waitcnt vmcnt(28)
	v_mul_f32_e32 v43, v36, v198
	v_fmac_f32_e32 v43, v37, v197
	v_add_f32_e32 v46, v42, v43
	ds_read_b128 v[42:45], v16 offset:672
	s_waitcnt vmcnt(26) lgkmcnt(1)
	v_mul_f32_e32 v47, v38, v200
	v_fmac_f32_e32 v47, v39, v199
	v_add_f32_e32 v46, v46, v47
	s_waitcnt vmcnt(24)
	v_mul_f32_e32 v47, v40, v202
	v_fmac_f32_e32 v47, v41, v201
	v_add_f32_e32 v46, v46, v47
	s_waitcnt vmcnt(22) lgkmcnt(0)
	v_mul_f32_e32 v47, v42, v204
	v_fmac_f32_e32 v47, v43, v203
	v_add_f32_e32 v50, v46, v47
	ds_read_b128 v[46:49], v16 offset:688
	s_waitcnt vmcnt(20)
	v_mul_f32_e32 v51, v44, v206
	v_fmac_f32_e32 v51, v45, v205
	v_add_f32_e32 v54, v50, v51
	ds_read_b128 v[50:53], v16 offset:704
	s_waitcnt vmcnt(18) lgkmcnt(1)
	v_mul_f32_e32 v55, v46, v208
	v_fmac_f32_e32 v55, v47, v207
	v_add_f32_e32 v54, v54, v55
	s_waitcnt vmcnt(16)
	v_mul_f32_e32 v55, v48, v210
	v_fmac_f32_e32 v55, v49, v209
	v_add_f32_e32 v54, v54, v55
	s_waitcnt vmcnt(14) lgkmcnt(0)
	v_mul_f32_e32 v55, v50, v212
	v_fmac_f32_e32 v55, v51, v211
	v_add_f32_e32 v58, v54, v55
	ds_read_b128 v[54:57], v16 offset:720
	s_waitcnt vmcnt(12)
	v_mul_f32_e32 v59, v52, v214
	v_fmac_f32_e32 v59, v53, v213
	v_add_f32_e32 v62, v58, v59
	ds_read_b128 v[58:61], v16 offset:736
	buffer_load_dword v71, off, s[0:3], 0 offset:356
	buffer_load_dword v70, off, s[0:3], 0 offset:352
	s_waitcnt vmcnt(12) lgkmcnt(1)
	v_mul_f32_e32 v63, v54, v216
	v_fmac_f32_e32 v63, v55, v215
	v_add_f32_e32 v62, v62, v63
	s_waitcnt vmcnt(10)
	v_mul_f32_e32 v63, v56, v218
	v_fmac_f32_e32 v63, v57, v217
	v_add_f32_e32 v62, v62, v63
	s_waitcnt vmcnt(8) lgkmcnt(0)
	v_mul_f32_e32 v63, v58, v220
	v_fmac_f32_e32 v63, v59, v219
	s_waitcnt vmcnt(6)
	v_mul_f32_e32 v67, v60, v222
	v_add_f32_e32 v66, v62, v63
	v_fmac_f32_e32 v67, v61, v221
	ds_read_b128 v[62:65], v16 offset:752
	v_add_f32_e32 v73, v66, v67
	ds_read_b128 v[66:69], v16 offset:768
	buffer_load_dword v79, off, s[0:3], 0 offset:388
	buffer_load_dword v78, off, s[0:3], 0 offset:384
	;; [unrolled: 1-line block ×14, first 2 shown]
	v_mul_f32_e32 v1, v19, v1
	v_fma_f32 v1, v18, v94, -v1
	v_mul_f32_e32 v17, v21, v17
	v_add_f32_e32 v1, 0, v1
	v_fma_f32 v17, v20, v95, -v17
	v_mul_f32_e32 v7, v7, v72
	v_add_f32_e32 v1, v1, v17
	v_fma_f32 v6, v6, v96, -v7
	v_add_f32_e32 v1, v1, v6
	v_mul_f32_e32 v6, v9, v74
	v_fma_f32 v6, v8, v97, -v6
	v_add_f32_e32 v1, v1, v6
	v_mul_f32_e32 v6, v11, v76
	;; [unrolled: 3-line block ×3, first 2 shown]
	v_fma_f32 v6, v12, v99, -v6
	v_mul_f32_e32 v3, v3, v93
	v_add_f32_e32 v1, v1, v6
	v_fma_f32 v2, v2, v100, -v3
	v_add_f32_e32 v1, v1, v2
	v_mul_f32_e32 v2, v5, v101
	v_fma_f32 v2, v4, v102, -v2
	v_add_f32_e32 v1, v1, v2
	v_mul_f32_e32 v2, v23, v103
	;; [unrolled: 3-line block ×21, first 2 shown]
	v_fma_f32 v2, v60, v221, -v2
	s_waitcnt vmcnt(15)
	v_mov_b32_e32 v18, v71
	s_waitcnt lgkmcnt(1)
	v_mul_f32_e32 v75, v62, v224
	v_add_f32_e32 v72, v1, v2
	v_mul_f32_e32 v1, v63, v224
	s_waitcnt lgkmcnt(0)
	v_pk_mul_f32 v[18:19], v[66:67], v[18:19] op_sel_hi:[1,0]
	v_fmac_f32_e32 v75, v63, v223
	v_mul_f32_e32 v77, v64, v226
	v_fma_f32 v74, v62, v223, -v1
	v_mul_f32_e32 v1, v65, v226
	s_waitcnt vmcnt(14)
	v_pk_fma_f32 v[20:21], v[66:67], v[70:71], v[18:19] op_sel:[0,0,1] op_sel_hi:[1,1,0] neg_lo:[0,0,1] neg_hi:[0,0,1]
	v_pk_fma_f32 v[18:19], v[66:67], v[70:71], v[18:19] op_sel:[0,0,1] op_sel_hi:[1,0,0]
	v_fmac_f32_e32 v77, v65, v225
	v_fma_f32 v76, v64, v225, -v1
	ds_read_b128 v[2:5], v16 offset:784
	ds_read_b128 v[6:9], v16 offset:800
	ds_read_b128 v[10:13], v16 offset:816
	v_pk_add_f32 v[16:17], v[72:73], v[74:75]
	s_waitcnt vmcnt(7)
	v_mov_b32_e32 v18, v85
	v_pk_add_f32 v[16:17], v[16:17], v[76:77]
	v_mov_b32_e32 v21, v19
	v_pk_mul_f32 v[18:19], v[68:69], v[18:19] op_sel_hi:[1,0]
	v_pk_add_f32 v[16:17], v[16:17], v[20:21]
	s_waitcnt vmcnt(6)
	v_pk_fma_f32 v[20:21], v[68:69], v[84:85], v[18:19] op_sel:[0,0,1] op_sel_hi:[1,1,0] neg_lo:[0,0,1] neg_hi:[0,0,1]
	v_pk_fma_f32 v[18:19], v[68:69], v[84:85], v[18:19] op_sel:[0,0,1] op_sel_hi:[1,0,0]
	v_mov_b32_e32 v18, v83
	v_mov_b32_e32 v21, v19
	s_waitcnt lgkmcnt(2)
	v_pk_mul_f32 v[18:19], v[2:3], v[18:19] op_sel_hi:[1,0]
	v_pk_add_f32 v[16:17], v[16:17], v[20:21]
	v_pk_fma_f32 v[20:21], v[2:3], v[82:83], v[18:19] op_sel:[0,0,1] op_sel_hi:[1,1,0] neg_lo:[0,0,1] neg_hi:[0,0,1]
	v_pk_fma_f32 v[2:3], v[2:3], v[82:83], v[18:19] op_sel:[0,0,1] op_sel_hi:[1,0,0]
	v_mov_b32_e32 v21, v3
	v_pk_add_f32 v[2:3], v[16:17], v[20:21]
	v_mov_b32_e32 v16, v81
	v_pk_mul_f32 v[16:17], v[4:5], v[16:17] op_sel_hi:[1,0]
	v_pk_fma_f32 v[18:19], v[4:5], v[80:81], v[16:17] op_sel:[0,0,1] op_sel_hi:[1,1,0] neg_lo:[0,0,1] neg_hi:[0,0,1]
	v_pk_fma_f32 v[4:5], v[4:5], v[80:81], v[16:17] op_sel:[0,0,1] op_sel_hi:[1,0,0]
	v_mov_b32_e32 v4, v79
	v_mov_b32_e32 v19, v5
	s_waitcnt lgkmcnt(1)
	v_pk_mul_f32 v[4:5], v[6:7], v[4:5] op_sel_hi:[1,0]
	v_pk_fma_f32 v[16:17], v[6:7], v[78:79], v[4:5] op_sel:[0,0,1] op_sel_hi:[1,1,0] neg_lo:[0,0,1] neg_hi:[0,0,1]
	v_pk_fma_f32 v[4:5], v[6:7], v[78:79], v[4:5] op_sel:[0,0,1] op_sel_hi:[1,0,0]
	s_waitcnt vmcnt(1)
	v_mov_b32_e32 v4, v91
	v_mov_b32_e32 v17, v5
	v_pk_mul_f32 v[4:5], v[8:9], v[4:5] op_sel_hi:[1,0]
	s_waitcnt vmcnt(0)
	v_pk_fma_f32 v[6:7], v[8:9], v[90:91], v[4:5] op_sel:[0,0,1] op_sel_hi:[1,1,0] neg_lo:[0,0,1] neg_hi:[0,0,1]
	v_pk_fma_f32 v[4:5], v[8:9], v[90:91], v[4:5] op_sel:[0,0,1] op_sel_hi:[1,0,0]
	v_pk_add_f32 v[2:3], v[2:3], v[18:19]
	v_mov_b32_e32 v4, v89
	v_pk_add_f32 v[2:3], v[2:3], v[16:17]
	v_mov_b32_e32 v7, v5
	s_waitcnt lgkmcnt(0)
	v_pk_mul_f32 v[4:5], v[10:11], v[4:5] op_sel_hi:[1,0]
	v_pk_add_f32 v[2:3], v[2:3], v[6:7]
	v_pk_fma_f32 v[6:7], v[10:11], v[88:89], v[4:5] op_sel:[0,0,1] op_sel_hi:[1,1,0] neg_lo:[0,0,1] neg_hi:[0,0,1]
	v_pk_fma_f32 v[4:5], v[10:11], v[88:89], v[4:5] op_sel:[0,0,1] op_sel_hi:[1,0,0]
	v_mov_b32_e32 v4, v87
	v_mov_b32_e32 v7, v5
	v_pk_mul_f32 v[4:5], v[12:13], v[4:5] op_sel_hi:[1,0]
	v_pk_add_f32 v[2:3], v[2:3], v[6:7]
	v_pk_fma_f32 v[6:7], v[12:13], v[86:87], v[4:5] op_sel:[0,0,1] op_sel_hi:[1,1,0] neg_lo:[0,0,1] neg_hi:[0,0,1]
	v_pk_fma_f32 v[4:5], v[12:13], v[86:87], v[4:5] op_sel:[0,0,1] op_sel_hi:[1,0,0]
	v_mov_b32_e32 v7, v5
	v_pk_add_f32 v[2:3], v[2:3], v[6:7]
	v_pk_add_f32 v[2:3], v[14:15], v[2:3] neg_lo:[0,1] neg_hi:[0,1]
	buffer_store_dword v3, off, s[0:3], 0 offset:108
	buffer_store_dword v2, off, s[0:3], 0 offset:104
	s_and_saveexec_b64 s[4:5], vcc
	s_cbranch_execz .LBB51_301
; %bb.300:
	buffer_load_dword v2, off, s[0:3], 0 offset:96
	buffer_load_dword v3, off, s[0:3], 0 offset:100
	v_mov_b32_e32 v1, 0
	buffer_store_dword v1, off, s[0:3], 0 offset:96
	buffer_store_dword v1, off, s[0:3], 0 offset:100
	s_waitcnt vmcnt(2)
	ds_write_b64 v129, v[2:3]
.LBB51_301:
	s_or_b64 exec, exec, s[4:5]
	s_waitcnt lgkmcnt(0)
	; wave barrier
	s_waitcnt lgkmcnt(0)
	buffer_load_dword v1, off, s[0:3], 0 offset:108
	buffer_load_dword v21, off, s[0:3], 0 offset:116
	buffer_load_dword v70, off, s[0:3], 0 offset:124
	buffer_load_dword v72, off, s[0:3], 0 offset:132
	buffer_load_dword v74, off, s[0:3], 0 offset:140
	buffer_load_dword v92, off, s[0:3], 0 offset:148
	buffer_load_dword v93, off, s[0:3], 0 offset:156
	buffer_load_dword v94, off, s[0:3], 0 offset:104
	buffer_load_dword v95, off, s[0:3], 0 offset:112
	buffer_load_dword v96, off, s[0:3], 0 offset:120
	buffer_load_dword v97, off, s[0:3], 0 offset:128
	buffer_load_dword v98, off, s[0:3], 0 offset:136
	buffer_load_dword v99, off, s[0:3], 0 offset:144
	buffer_load_dword v100, off, s[0:3], 0 offset:152
	buffer_load_dword v101, off, s[0:3], 0 offset:164
	buffer_load_dword v102, off, s[0:3], 0 offset:160
	buffer_load_dword v103, off, s[0:3], 0 offset:172
	buffer_load_dword v104, off, s[0:3], 0 offset:168
	buffer_load_dword v105, off, s[0:3], 0 offset:180
	buffer_load_dword v106, off, s[0:3], 0 offset:176
	buffer_load_dword v107, off, s[0:3], 0 offset:184
	buffer_load_dword v108, off, s[0:3], 0 offset:188
	buffer_load_dword v2, off, s[0:3], 0 offset:96
	buffer_load_dword v3, off, s[0:3], 0 offset:100
	buffer_load_dword v109, off, s[0:3], 0 offset:192
	buffer_load_dword v190, off, s[0:3], 0 offset:196
	buffer_load_dword v191, off, s[0:3], 0 offset:200
	buffer_load_dword v192, off, s[0:3], 0 offset:204
	buffer_load_dword v193, off, s[0:3], 0 offset:208
	buffer_load_dword v194, off, s[0:3], 0 offset:212
	buffer_load_dword v195, off, s[0:3], 0 offset:216
	buffer_load_dword v196, off, s[0:3], 0 offset:220
	buffer_load_dword v197, off, s[0:3], 0 offset:224
	buffer_load_dword v198, off, s[0:3], 0 offset:228
	buffer_load_dword v199, off, s[0:3], 0 offset:232
	buffer_load_dword v200, off, s[0:3], 0 offset:236
	buffer_load_dword v201, off, s[0:3], 0 offset:240
	buffer_load_dword v202, off, s[0:3], 0 offset:244
	buffer_load_dword v203, off, s[0:3], 0 offset:248
	buffer_load_dword v204, off, s[0:3], 0 offset:252
	buffer_load_dword v205, off, s[0:3], 0 offset:256
	buffer_load_dword v206, off, s[0:3], 0 offset:260
	buffer_load_dword v207, off, s[0:3], 0 offset:264
	buffer_load_dword v208, off, s[0:3], 0 offset:268
	buffer_load_dword v209, off, s[0:3], 0 offset:272
	buffer_load_dword v210, off, s[0:3], 0 offset:276
	buffer_load_dword v211, off, s[0:3], 0 offset:280
	buffer_load_dword v212, off, s[0:3], 0 offset:284
	v_mov_b32_e32 v20, 0
	ds_read2_b64 v[4:7], v20 offset0:65 offset1:66
	buffer_load_dword v213, off, s[0:3], 0 offset:288
	buffer_load_dword v214, off, s[0:3], 0 offset:292
	;; [unrolled: 1-line block ×8, first 2 shown]
	ds_read2_b64 v[8:11], v20 offset0:67 offset1:68
	ds_read2_b64 v[12:15], v20 offset0:69 offset1:70
	;; [unrolled: 1-line block ×3, first 2 shown]
	buffer_load_dword v221, off, s[0:3], 0 offset:320
	buffer_load_dword v222, off, s[0:3], 0 offset:324
	;; [unrolled: 1-line block ×8, first 2 shown]
	v_cmp_lt_u32_e32 vcc, 11, v0
	s_waitcnt vmcnt(62) lgkmcnt(3)
	v_mul_f32_e32 v22, v4, v1
	v_mul_f32_e32 v23, v6, v21
	s_waitcnt vmcnt(61) lgkmcnt(2)
	v_mul_f32_e32 v24, v8, v70
	s_waitcnt vmcnt(60)
	v_mul_f32_e32 v25, v10, v72
	s_waitcnt vmcnt(59) lgkmcnt(1)
	v_mul_f32_e32 v26, v12, v74
	s_waitcnt vmcnt(58)
	;; [unrolled: 4-line block ×3, first 2 shown]
	v_fmac_f32_e32 v22, v5, v94
	s_waitcnt vmcnt(55)
	v_fmac_f32_e32 v23, v7, v95
	v_add_f32_e32 v22, 0, v22
	s_waitcnt vmcnt(54)
	v_fmac_f32_e32 v24, v9, v96
	v_add_f32_e32 v22, v22, v23
	;; [unrolled: 3-line block ×6, first 2 shown]
	v_add_f32_e32 v26, v22, v28
	ds_read2_b64 v[22:25], v20 offset0:73 offset1:74
	s_waitcnt vmcnt(49)
	v_mul_f32_e32 v27, v18, v101
	s_waitcnt vmcnt(48)
	v_fmac_f32_e32 v27, v19, v102
	v_add_f32_e32 v30, v26, v27
	ds_read2_b64 v[26:29], v20 offset0:75 offset1:76
	s_waitcnt vmcnt(47) lgkmcnt(1)
	v_mul_f32_e32 v31, v22, v103
	s_waitcnt vmcnt(46)
	v_fmac_f32_e32 v31, v23, v104
	v_add_f32_e32 v30, v30, v31
	s_waitcnt vmcnt(45)
	v_mul_f32_e32 v31, v24, v105
	s_waitcnt vmcnt(44)
	v_fmac_f32_e32 v31, v25, v106
	v_add_f32_e32 v30, v30, v31
	s_waitcnt vmcnt(42) lgkmcnt(0)
	v_mul_f32_e32 v31, v26, v108
	v_fmac_f32_e32 v31, v27, v107
	v_add_f32_e32 v34, v30, v31
	ds_read2_b64 v[30:33], v20 offset0:77 offset1:78
	s_waitcnt vmcnt(38)
	v_mul_f32_e32 v35, v28, v190
	v_fmac_f32_e32 v35, v29, v109
	v_add_f32_e32 v38, v34, v35
	ds_read2_b64 v[34:37], v20 offset0:79 offset1:80
	s_waitcnt vmcnt(36) lgkmcnt(1)
	v_mul_f32_e32 v39, v30, v192
	v_fmac_f32_e32 v39, v31, v191
	v_add_f32_e32 v38, v38, v39
	s_waitcnt vmcnt(34)
	v_mul_f32_e32 v39, v32, v194
	v_fmac_f32_e32 v39, v33, v193
	v_add_f32_e32 v38, v38, v39
	s_waitcnt vmcnt(32) lgkmcnt(0)
	v_mul_f32_e32 v39, v34, v196
	v_fmac_f32_e32 v39, v35, v195
	v_add_f32_e32 v42, v38, v39
	ds_read2_b64 v[38:41], v20 offset0:81 offset1:82
	s_waitcnt vmcnt(30)
	v_mul_f32_e32 v43, v36, v198
	v_fmac_f32_e32 v43, v37, v197
	v_add_f32_e32 v46, v42, v43
	ds_read2_b64 v[42:45], v20 offset0:83 offset1:84
	s_waitcnt vmcnt(28) lgkmcnt(1)
	v_mul_f32_e32 v47, v38, v200
	v_fmac_f32_e32 v47, v39, v199
	v_add_f32_e32 v46, v46, v47
	s_waitcnt vmcnt(26)
	v_mul_f32_e32 v47, v40, v202
	;; [unrolled: 18-line block ×4, first 2 shown]
	v_fmac_f32_e32 v63, v57, v217
	v_add_f32_e32 v62, v62, v63
	s_waitcnt vmcnt(8) lgkmcnt(0)
	v_mul_f32_e32 v63, v58, v220
	v_fmac_f32_e32 v63, v59, v219
	s_waitcnt vmcnt(6)
	v_mul_f32_e32 v67, v60, v222
	v_add_f32_e32 v66, v62, v63
	v_fmac_f32_e32 v67, v61, v221
	ds_read2_b64 v[62:65], v20 offset0:93 offset1:94
	v_add_f32_e32 v71, v66, v67
	ds_read2_b64 v[66:69], v20 offset0:95 offset1:96
	buffer_load_dword v77, off, s[0:3], 0 offset:380
	buffer_load_dword v76, off, s[0:3], 0 offset:376
	;; [unrolled: 1-line block ×16, first 2 shown]
	v_mul_f32_e32 v1, v5, v1
	v_fma_f32 v1, v4, v94, -v1
	v_mul_f32_e32 v4, v7, v21
	v_add_f32_e32 v1, 0, v1
	v_fma_f32 v4, v6, v95, -v4
	v_add_f32_e32 v1, v1, v4
	v_mul_f32_e32 v4, v9, v70
	v_fma_f32 v4, v8, v96, -v4
	v_add_f32_e32 v1, v1, v4
	v_mul_f32_e32 v4, v11, v72
	v_fma_f32 v4, v10, v97, -v4
	v_add_f32_e32 v1, v1, v4
	v_mul_f32_e32 v4, v13, v74
	v_fma_f32 v4, v12, v98, -v4
	v_add_f32_e32 v1, v1, v4
	v_mul_f32_e32 v4, v15, v92
	v_fma_f32 v4, v14, v99, -v4
	v_add_f32_e32 v1, v1, v4
	v_mul_f32_e32 v4, v17, v93
	v_fma_f32 v4, v16, v100, -v4
	v_add_f32_e32 v1, v1, v4
	v_mul_f32_e32 v4, v19, v101
	v_fma_f32 v4, v18, v102, -v4
	v_add_f32_e32 v1, v1, v4
	v_mul_f32_e32 v4, v23, v103
	v_fma_f32 v4, v22, v104, -v4
	v_add_f32_e32 v1, v1, v4
	v_mul_f32_e32 v4, v25, v105
	v_fma_f32 v4, v24, v106, -v4
	v_add_f32_e32 v1, v1, v4
	v_mul_f32_e32 v4, v27, v108
	v_fma_f32 v4, v26, v107, -v4
	v_add_f32_e32 v1, v1, v4
	v_mul_f32_e32 v4, v29, v190
	v_fma_f32 v4, v28, v109, -v4
	v_add_f32_e32 v1, v1, v4
	v_mul_f32_e32 v4, v31, v192
	v_fma_f32 v4, v30, v191, -v4
	v_add_f32_e32 v1, v1, v4
	v_mul_f32_e32 v4, v33, v194
	v_fma_f32 v4, v32, v193, -v4
	v_add_f32_e32 v1, v1, v4
	v_mul_f32_e32 v4, v35, v196
	v_fma_f32 v4, v34, v195, -v4
	v_add_f32_e32 v1, v1, v4
	v_mul_f32_e32 v4, v37, v198
	v_fma_f32 v4, v36, v197, -v4
	v_add_f32_e32 v1, v1, v4
	v_mul_f32_e32 v4, v39, v200
	v_fma_f32 v4, v38, v199, -v4
	v_add_f32_e32 v1, v1, v4
	v_mul_f32_e32 v4, v41, v202
	v_fma_f32 v4, v40, v201, -v4
	v_add_f32_e32 v1, v1, v4
	v_mul_f32_e32 v4, v43, v204
	v_fma_f32 v4, v42, v203, -v4
	v_add_f32_e32 v1, v1, v4
	v_mul_f32_e32 v4, v45, v206
	v_fma_f32 v4, v44, v205, -v4
	v_add_f32_e32 v1, v1, v4
	v_mul_f32_e32 v4, v47, v208
	v_fma_f32 v4, v46, v207, -v4
	v_add_f32_e32 v1, v1, v4
	v_mul_f32_e32 v4, v49, v210
	v_fma_f32 v4, v48, v209, -v4
	v_add_f32_e32 v1, v1, v4
	v_mul_f32_e32 v4, v51, v212
	v_fma_f32 v4, v50, v211, -v4
	v_add_f32_e32 v1, v1, v4
	v_mul_f32_e32 v4, v53, v214
	v_fma_f32 v4, v52, v213, -v4
	v_add_f32_e32 v1, v1, v4
	v_mul_f32_e32 v4, v55, v216
	v_fma_f32 v4, v54, v215, -v4
	v_add_f32_e32 v1, v1, v4
	v_mul_f32_e32 v4, v57, v218
	v_fma_f32 v4, v56, v217, -v4
	v_add_f32_e32 v1, v1, v4
	v_mul_f32_e32 v4, v59, v220
	v_fma_f32 v4, v58, v219, -v4
	v_add_f32_e32 v1, v1, v4
	v_mul_f32_e32 v4, v61, v222
	v_fma_f32 v4, v60, v221, -v4
	s_waitcnt vmcnt(20) lgkmcnt(1)
	v_mul_f32_e32 v73, v62, v224
	v_add_f32_e32 v1, v1, v4
	v_mul_f32_e32 v4, v63, v224
	v_fmac_f32_e32 v73, v63, v223
	v_fma_f32 v4, v62, v223, -v4
	s_waitcnt vmcnt(9)
	v_mov_b32_e32 v22, v83
	v_add_f32_e32 v71, v71, v73
	v_mul_f32_e32 v73, v64, v226
	v_add_f32_e32 v70, v1, v4
	v_mul_f32_e32 v1, v65, v226
	s_waitcnt lgkmcnt(0)
	v_pk_mul_f32 v[22:23], v[68:69], v[22:23] op_sel_hi:[1,0]
	v_fmac_f32_e32 v73, v65, v225
	v_mul_f32_e32 v75, v66, v228
	v_fma_f32 v72, v64, v225, -v1
	v_mul_f32_e32 v1, v67, v228
	ds_read2_b64 v[4:7], v20 offset0:97 offset1:98
	ds_read2_b64 v[8:11], v20 offset0:99 offset1:100
	;; [unrolled: 1-line block ×3, first 2 shown]
	ds_read_b64 v[16:17], v20 offset:824
	s_waitcnt vmcnt(8)
	v_pk_fma_f32 v[24:25], v[68:69], v[82:83], v[22:23] op_sel:[0,0,1] op_sel_hi:[1,1,0] neg_lo:[0,0,1] neg_hi:[0,0,1]
	v_pk_fma_f32 v[22:23], v[68:69], v[82:83], v[22:23] op_sel:[0,0,1] op_sel_hi:[1,0,0]
	v_fmac_f32_e32 v75, v67, v227
	v_fma_f32 v74, v66, v227, -v1
	v_pk_add_f32 v[18:19], v[70:71], v[72:73]
	v_mov_b32_e32 v22, v81
	v_pk_add_f32 v[18:19], v[18:19], v[74:75]
	v_mov_b32_e32 v25, v23
	s_waitcnt lgkmcnt(3)
	v_pk_mul_f32 v[22:23], v[4:5], v[22:23] op_sel_hi:[1,0]
	v_pk_add_f32 v[18:19], v[18:19], v[24:25]
	v_pk_fma_f32 v[24:25], v[4:5], v[80:81], v[22:23] op_sel:[0,0,1] op_sel_hi:[1,1,0] neg_lo:[0,0,1] neg_hi:[0,0,1]
	v_pk_fma_f32 v[4:5], v[4:5], v[80:81], v[22:23] op_sel:[0,0,1] op_sel_hi:[1,0,0]
	v_mov_b32_e32 v25, v5
	v_pk_add_f32 v[4:5], v[18:19], v[24:25]
	v_mov_b32_e32 v18, v79
	v_pk_mul_f32 v[18:19], v[6:7], v[18:19] op_sel_hi:[1,0]
	v_pk_fma_f32 v[22:23], v[6:7], v[78:79], v[18:19] op_sel:[0,0,1] op_sel_hi:[1,1,0] neg_lo:[0,0,1] neg_hi:[0,0,1]
	v_pk_fma_f32 v[6:7], v[6:7], v[78:79], v[18:19] op_sel:[0,0,1] op_sel_hi:[1,0,0]
	v_mov_b32_e32 v6, v77
	v_mov_b32_e32 v23, v7
	s_waitcnt lgkmcnt(2)
	v_pk_mul_f32 v[6:7], v[8:9], v[6:7] op_sel_hi:[1,0]
	v_pk_fma_f32 v[18:19], v[8:9], v[76:77], v[6:7] op_sel:[0,0,1] op_sel_hi:[1,1,0] neg_lo:[0,0,1] neg_hi:[0,0,1]
	v_pk_fma_f32 v[6:7], v[8:9], v[76:77], v[6:7] op_sel:[0,0,1] op_sel_hi:[1,0,0]
	s_waitcnt vmcnt(1)
	v_mov_b32_e32 v6, v91
	v_mov_b32_e32 v19, v7
	v_pk_mul_f32 v[6:7], v[10:11], v[6:7] op_sel_hi:[1,0]
	s_waitcnt vmcnt(0)
	v_pk_fma_f32 v[8:9], v[10:11], v[90:91], v[6:7] op_sel:[0,0,1] op_sel_hi:[1,1,0] neg_lo:[0,0,1] neg_hi:[0,0,1]
	v_pk_fma_f32 v[6:7], v[10:11], v[90:91], v[6:7] op_sel:[0,0,1] op_sel_hi:[1,0,0]
	v_pk_add_f32 v[4:5], v[4:5], v[22:23]
	v_mov_b32_e32 v6, v89
	v_pk_add_f32 v[4:5], v[4:5], v[18:19]
	v_mov_b32_e32 v9, v7
	s_waitcnt lgkmcnt(1)
	v_pk_mul_f32 v[6:7], v[12:13], v[6:7] op_sel_hi:[1,0]
	v_pk_add_f32 v[4:5], v[4:5], v[8:9]
	v_pk_fma_f32 v[8:9], v[12:13], v[88:89], v[6:7] op_sel:[0,0,1] op_sel_hi:[1,1,0] neg_lo:[0,0,1] neg_hi:[0,0,1]
	v_pk_fma_f32 v[6:7], v[12:13], v[88:89], v[6:7] op_sel:[0,0,1] op_sel_hi:[1,0,0]
	v_mov_b32_e32 v6, v87
	v_mov_b32_e32 v9, v7
	v_pk_mul_f32 v[6:7], v[14:15], v[6:7] op_sel_hi:[1,0]
	v_pk_add_f32 v[4:5], v[4:5], v[8:9]
	v_pk_fma_f32 v[8:9], v[14:15], v[86:87], v[6:7] op_sel:[0,0,1] op_sel_hi:[1,1,0] neg_lo:[0,0,1] neg_hi:[0,0,1]
	v_pk_fma_f32 v[6:7], v[14:15], v[86:87], v[6:7] op_sel:[0,0,1] op_sel_hi:[1,0,0]
	v_mov_b32_e32 v6, v85
	v_mov_b32_e32 v9, v7
	s_waitcnt lgkmcnt(0)
	v_pk_mul_f32 v[6:7], v[16:17], v[6:7] op_sel_hi:[1,0]
	v_pk_add_f32 v[4:5], v[4:5], v[8:9]
	v_pk_fma_f32 v[8:9], v[16:17], v[84:85], v[6:7] op_sel:[0,0,1] op_sel_hi:[1,1,0] neg_lo:[0,0,1] neg_hi:[0,0,1]
	v_pk_fma_f32 v[6:7], v[16:17], v[84:85], v[6:7] op_sel:[0,0,1] op_sel_hi:[1,0,0]
	v_mov_b32_e32 v9, v7
	v_pk_add_f32 v[4:5], v[4:5], v[8:9]
	v_pk_add_f32 v[2:3], v[2:3], v[4:5] neg_lo:[0,1] neg_hi:[0,1]
	buffer_store_dword v3, off, s[0:3], 0 offset:100
	buffer_store_dword v2, off, s[0:3], 0 offset:96
	s_and_saveexec_b64 s[4:5], vcc
	s_cbranch_execz .LBB51_303
; %bb.302:
	buffer_load_dword v2, off, s[0:3], 0 offset:88
	buffer_load_dword v3, off, s[0:3], 0 offset:92
	s_waitcnt vmcnt(0)
	ds_write_b64 v129, v[2:3]
	buffer_store_dword v20, off, s[0:3], 0 offset:88
	buffer_store_dword v20, off, s[0:3], 0 offset:92
.LBB51_303:
	s_or_b64 exec, exec, s[4:5]
	s_waitcnt lgkmcnt(0)
	; wave barrier
	s_waitcnt lgkmcnt(0)
	buffer_load_dword v1, off, s[0:3], 0 offset:100
	buffer_load_dword v21, off, s[0:3], 0 offset:108
	;; [unrolled: 1-line block ×26, first 2 shown]
	ds_read_b128 v[14:17], v20 offset:512
	ds_read_b128 v[6:9], v20 offset:528
	buffer_load_dword v191, off, s[0:3], 0 offset:192
	buffer_load_dword v192, off, s[0:3], 0 offset:196
	ds_read_b128 v[10:13], v20 offset:544
	ds_read_b128 v[2:5], v20 offset:560
	buffer_load_dword v193, off, s[0:3], 0 offset:200
	buffer_load_dword v194, off, s[0:3], 0 offset:204
	;; [unrolled: 1-line block ×32, first 2 shown]
	v_cmp_lt_u32_e32 vcc, 10, v0
	s_waitcnt vmcnt(59) lgkmcnt(3)
	v_mul_f32_e32 v22, v14, v1
	s_waitcnt vmcnt(58)
	v_mul_f32_e32 v23, v16, v21
	s_waitcnt vmcnt(57) lgkmcnt(2)
	v_mul_f32_e32 v25, v8, v70
	s_waitcnt vmcnt(56) lgkmcnt(1)
	v_mul_f32_e32 v26, v10, v72
	s_waitcnt vmcnt(55)
	v_mul_f32_e32 v27, v12, v80
	s_waitcnt vmcnt(54)
	v_mul_f32_e32 v24, v6, v92
	s_waitcnt vmcnt(53) lgkmcnt(0)
	v_mul_f32_e32 v28, v2, v93
	s_waitcnt vmcnt(52)
	v_mul_f32_e32 v29, v4, v94
	s_waitcnt vmcnt(51)
	v_fmac_f32_e32 v24, v7, v95
	s_waitcnt vmcnt(50)
	v_fmac_f32_e32 v23, v17, v96
	;; [unrolled: 2-line block ×3, first 2 shown]
	v_add_f32_e32 v22, 0, v22
	v_add_f32_e32 v22, v22, v23
	;; [unrolled: 1-line block ×3, first 2 shown]
	s_waitcnt vmcnt(45)
	v_fmac_f32_e32 v25, v9, v101
	v_fmac_f32_e32 v26, v11, v100
	v_add_f32_e32 v22, v22, v25
	v_fmac_f32_e32 v27, v13, v99
	v_add_f32_e32 v22, v22, v26
	;; [unrolled: 2-line block ×3, first 2 shown]
	v_add_f32_e32 v26, v22, v28
	ds_read_b128 v[22:25], v20 offset:576
	s_waitcnt vmcnt(41)
	v_fmac_f32_e32 v29, v5, v105
	buffer_load_dword v225, off, s[0:3], 0 offset:328
	buffer_load_dword v226, off, s[0:3], 0 offset:332
	v_add_f32_e32 v30, v26, v29
	buffer_load_dword v227, off, s[0:3], 0 offset:336
	buffer_load_dword v228, off, s[0:3], 0 offset:340
	ds_read_b128 v[26:29], v20 offset:592
	s_waitcnt vmcnt(44) lgkmcnt(1)
	v_mul_f32_e32 v31, v22, v106
	v_fmac_f32_e32 v31, v23, v104
	v_add_f32_e32 v30, v30, v31
	s_waitcnt vmcnt(43)
	v_mul_f32_e32 v31, v24, v107
	v_fmac_f32_e32 v31, v25, v103
	v_add_f32_e32 v30, v30, v31
	s_waitcnt vmcnt(42) lgkmcnt(0)
	v_mul_f32_e32 v31, v26, v108
	v_fmac_f32_e32 v31, v27, v102
	buffer_load_dword v229, off, s[0:3], 0 offset:344
	buffer_load_dword v230, off, s[0:3], 0 offset:348
	v_add_f32_e32 v34, v30, v31
	ds_read_b128 v[30:33], v20 offset:608
	s_waitcnt vmcnt(40)
	v_mul_f32_e32 v35, v28, v190
	v_fmac_f32_e32 v35, v29, v109
	v_add_f32_e32 v38, v34, v35
	ds_read_b128 v[34:37], v20 offset:624
	s_waitcnt vmcnt(38) lgkmcnt(1)
	v_mul_f32_e32 v39, v30, v192
	v_fmac_f32_e32 v39, v31, v191
	v_add_f32_e32 v38, v38, v39
	s_waitcnt vmcnt(36)
	v_mul_f32_e32 v39, v32, v194
	v_fmac_f32_e32 v39, v33, v193
	v_add_f32_e32 v38, v38, v39
	s_waitcnt vmcnt(34) lgkmcnt(0)
	v_mul_f32_e32 v39, v34, v196
	v_fmac_f32_e32 v39, v35, v195
	v_add_f32_e32 v42, v38, v39
	ds_read_b128 v[38:41], v20 offset:640
	s_waitcnt vmcnt(32)
	v_mul_f32_e32 v43, v36, v198
	v_fmac_f32_e32 v43, v37, v197
	v_add_f32_e32 v46, v42, v43
	ds_read_b128 v[42:45], v20 offset:656
	s_waitcnt vmcnt(30) lgkmcnt(1)
	v_mul_f32_e32 v47, v38, v200
	v_fmac_f32_e32 v47, v39, v199
	v_add_f32_e32 v46, v46, v47
	s_waitcnt vmcnt(28)
	v_mul_f32_e32 v47, v40, v202
	v_fmac_f32_e32 v47, v41, v201
	v_add_f32_e32 v46, v46, v47
	s_waitcnt vmcnt(26) lgkmcnt(0)
	v_mul_f32_e32 v47, v42, v204
	v_fmac_f32_e32 v47, v43, v203
	;; [unrolled: 18-line block ×4, first 2 shown]
	s_waitcnt vmcnt(8)
	v_mul_f32_e32 v67, v60, v222
	v_add_f32_e32 v66, v62, v63
	v_fmac_f32_e32 v67, v61, v221
	ds_read_b128 v[62:65], v20 offset:736
	v_add_f32_e32 v71, v66, v67
	ds_read_b128 v[66:69], v20 offset:752
	buffer_load_dword v75, off, s[0:3], 0 offset:372
	buffer_load_dword v74, off, s[0:3], 0 offset:368
	;; [unrolled: 1-line block ×16, first 2 shown]
	v_mul_f32_e32 v1, v15, v1
	v_fma_f32 v1, v14, v97, -v1
	v_mul_f32_e32 v14, v17, v21
	v_add_f32_e32 v1, 0, v1
	v_fma_f32 v14, v16, v96, -v14
	v_mul_f32_e32 v7, v7, v92
	v_add_f32_e32 v1, v1, v14
	v_fma_f32 v6, v6, v95, -v7
	v_add_f32_e32 v1, v1, v6
	v_mul_f32_e32 v6, v9, v70
	v_fma_f32 v6, v8, v101, -v6
	v_add_f32_e32 v1, v1, v6
	v_mul_f32_e32 v6, v11, v72
	;; [unrolled: 3-line block ×3, first 2 shown]
	v_fma_f32 v6, v12, v99, -v6
	v_mul_f32_e32 v3, v3, v93
	v_add_f32_e32 v1, v1, v6
	v_fma_f32 v2, v2, v98, -v3
	v_add_f32_e32 v1, v1, v2
	v_mul_f32_e32 v2, v5, v94
	v_fma_f32 v2, v4, v105, -v2
	v_add_f32_e32 v1, v1, v2
	v_mul_f32_e32 v2, v23, v106
	;; [unrolled: 3-line block ×21, first 2 shown]
	v_fma_f32 v2, v60, v221, -v2
	v_add_f32_e32 v1, v1, v2
	s_waitcnt vmcnt(22) lgkmcnt(1)
	v_mul_f32_e32 v2, v63, v224
	v_mul_f32_e32 v73, v62, v224
	v_fma_f32 v2, v62, v223, -v2
	v_fmac_f32_e32 v73, v63, v223
	v_add_f32_e32 v1, v1, v2
	s_waitcnt vmcnt(20)
	v_mul_f32_e32 v2, v65, v226
	v_add_f32_e32 v71, v71, v73
	v_mul_f32_e32 v73, v64, v226
	v_fma_f32 v2, v64, v225, -v2
	v_fmac_f32_e32 v73, v65, v225
	v_add_f32_e32 v70, v1, v2
	ds_read_b128 v[2:5], v20 offset:768
	ds_read_b128 v[6:9], v20 offset:784
	ds_read_b128 v[10:13], v20 offset:800
	ds_read_b128 v[14:17], v20 offset:816
	v_add_f32_e32 v71, v71, v73
	s_waitcnt vmcnt(18) lgkmcnt(4)
	v_mul_f32_e32 v73, v66, v228
	v_mul_f32_e32 v1, v67, v228
	s_waitcnt vmcnt(11)
	v_mov_b32_e32 v22, v79
	v_fmac_f32_e32 v73, v67, v227
	v_mul_f32_e32 v81, v68, v230
	v_fma_f32 v72, v66, v227, -v1
	v_mul_f32_e32 v1, v69, v230
	s_waitcnt lgkmcnt(3)
	v_pk_mul_f32 v[22:23], v[2:3], v[22:23] op_sel_hi:[1,0]
	v_fmac_f32_e32 v81, v69, v229
	v_fma_f32 v80, v68, v229, -v1
	v_pk_add_f32 v[20:21], v[70:71], v[72:73]
	s_waitcnt vmcnt(10)
	v_pk_fma_f32 v[24:25], v[2:3], v[78:79], v[22:23] op_sel:[0,0,1] op_sel_hi:[1,1,0] neg_lo:[0,0,1] neg_hi:[0,0,1]
	v_pk_fma_f32 v[2:3], v[2:3], v[78:79], v[22:23] op_sel:[0,0,1] op_sel_hi:[1,0,0]
	v_pk_add_f32 v[20:21], v[20:21], v[80:81]
	v_mov_b32_e32 v25, v3
	v_pk_add_f32 v[2:3], v[20:21], v[24:25]
	v_mov_b32_e32 v20, v77
	v_pk_mul_f32 v[20:21], v[4:5], v[20:21] op_sel_hi:[1,0]
	v_pk_fma_f32 v[22:23], v[4:5], v[76:77], v[20:21] op_sel:[0,0,1] op_sel_hi:[1,1,0] neg_lo:[0,0,1] neg_hi:[0,0,1]
	v_pk_fma_f32 v[4:5], v[4:5], v[76:77], v[20:21] op_sel:[0,0,1] op_sel_hi:[1,0,0]
	v_mov_b32_e32 v4, v75
	v_mov_b32_e32 v23, v5
	s_waitcnt lgkmcnt(2)
	v_pk_mul_f32 v[4:5], v[6:7], v[4:5] op_sel_hi:[1,0]
	v_pk_fma_f32 v[20:21], v[6:7], v[74:75], v[4:5] op_sel:[0,0,1] op_sel_hi:[1,1,0] neg_lo:[0,0,1] neg_hi:[0,0,1]
	v_pk_fma_f32 v[4:5], v[6:7], v[74:75], v[4:5] op_sel:[0,0,1] op_sel_hi:[1,0,0]
	s_waitcnt vmcnt(3)
	v_mov_b32_e32 v4, v89
	v_mov_b32_e32 v21, v5
	v_pk_mul_f32 v[4:5], v[8:9], v[4:5] op_sel_hi:[1,0]
	s_waitcnt vmcnt(2)
	v_pk_fma_f32 v[6:7], v[8:9], v[88:89], v[4:5] op_sel:[0,0,1] op_sel_hi:[1,1,0] neg_lo:[0,0,1] neg_hi:[0,0,1]
	v_pk_fma_f32 v[4:5], v[8:9], v[88:89], v[4:5] op_sel:[0,0,1] op_sel_hi:[1,0,0]
	v_pk_add_f32 v[2:3], v[2:3], v[22:23]
	v_mov_b32_e32 v4, v87
	v_pk_add_f32 v[2:3], v[2:3], v[20:21]
	v_mov_b32_e32 v7, v5
	s_waitcnt lgkmcnt(1)
	v_pk_mul_f32 v[4:5], v[10:11], v[4:5] op_sel_hi:[1,0]
	v_pk_add_f32 v[2:3], v[2:3], v[6:7]
	v_pk_fma_f32 v[6:7], v[10:11], v[86:87], v[4:5] op_sel:[0,0,1] op_sel_hi:[1,1,0] neg_lo:[0,0,1] neg_hi:[0,0,1]
	v_pk_fma_f32 v[4:5], v[10:11], v[86:87], v[4:5] op_sel:[0,0,1] op_sel_hi:[1,0,0]
	v_mov_b32_e32 v4, v85
	v_mov_b32_e32 v7, v5
	v_pk_mul_f32 v[4:5], v[12:13], v[4:5] op_sel_hi:[1,0]
	v_pk_add_f32 v[2:3], v[2:3], v[6:7]
	v_pk_fma_f32 v[6:7], v[12:13], v[84:85], v[4:5] op_sel:[0,0,1] op_sel_hi:[1,1,0] neg_lo:[0,0,1] neg_hi:[0,0,1]
	v_pk_fma_f32 v[4:5], v[12:13], v[84:85], v[4:5] op_sel:[0,0,1] op_sel_hi:[1,0,0]
	v_mov_b32_e32 v4, v83
	v_mov_b32_e32 v7, v5
	s_waitcnt lgkmcnt(0)
	v_pk_mul_f32 v[4:5], v[14:15], v[4:5] op_sel_hi:[1,0]
	v_pk_add_f32 v[2:3], v[2:3], v[6:7]
	v_pk_fma_f32 v[6:7], v[14:15], v[82:83], v[4:5] op_sel:[0,0,1] op_sel_hi:[1,1,0] neg_lo:[0,0,1] neg_hi:[0,0,1]
	v_pk_fma_f32 v[4:5], v[14:15], v[82:83], v[4:5] op_sel:[0,0,1] op_sel_hi:[1,0,0]
	s_waitcnt vmcnt(1)
	v_mov_b32_e32 v4, v91
	v_mov_b32_e32 v7, v5
	v_pk_mul_f32 v[4:5], v[16:17], v[4:5] op_sel_hi:[1,0]
	v_pk_add_f32 v[2:3], v[2:3], v[6:7]
	s_waitcnt vmcnt(0)
	v_pk_fma_f32 v[6:7], v[16:17], v[90:91], v[4:5] op_sel:[0,0,1] op_sel_hi:[1,1,0] neg_lo:[0,0,1] neg_hi:[0,0,1]
	v_pk_fma_f32 v[4:5], v[16:17], v[90:91], v[4:5] op_sel:[0,0,1] op_sel_hi:[1,0,0]
	v_mov_b32_e32 v7, v5
	v_pk_add_f32 v[2:3], v[2:3], v[6:7]
	v_pk_add_f32 v[2:3], v[18:19], v[2:3] neg_lo:[0,1] neg_hi:[0,1]
	buffer_store_dword v3, off, s[0:3], 0 offset:92
	buffer_store_dword v2, off, s[0:3], 0 offset:88
	s_and_saveexec_b64 s[4:5], vcc
	s_cbranch_execz .LBB51_305
; %bb.304:
	buffer_load_dword v2, off, s[0:3], 0 offset:80
	buffer_load_dword v3, off, s[0:3], 0 offset:84
	v_mov_b32_e32 v1, 0
	buffer_store_dword v1, off, s[0:3], 0 offset:80
	buffer_store_dword v1, off, s[0:3], 0 offset:84
	s_waitcnt vmcnt(2)
	ds_write_b64 v129, v[2:3]
.LBB51_305:
	s_or_b64 exec, exec, s[4:5]
	v_mov_b32_e32 v198, 0
	s_waitcnt lgkmcnt(0)
	; wave barrier
	s_waitcnt lgkmcnt(0)
	ds_read2_b64 v[2:5], v198 offset0:63 offset1:64
	buffer_load_dword v70, off, s[0:3], 0 offset:80
	buffer_load_dword v71, off, s[0:3], 0 offset:84
	;; [unrolled: 1-line block ×16, first 2 shown]
	v_cmp_lt_u32_e32 vcc, 9, v0
	s_waitcnt vmcnt(12) lgkmcnt(0)
	v_mul_f32_e32 v1, v2, v199
	v_fmac_f32_e32 v1, v3, v72
	s_waitcnt vmcnt(10)
	v_mul_f32_e32 v6, v4, v201
	v_add_f32_e32 v1, 0, v1
	v_fmac_f32_e32 v6, v5, v74
	v_add_f32_e32 v1, v1, v6
	ds_read2_b64 v[6:9], v198 offset0:65 offset1:66
	v_mul_f32_e32 v3, v3, v199
	v_fma_f32 v2, v2, v72, -v3
	v_mul_f32_e32 v3, v5, v201
	v_add_f32_e32 v2, 0, v2
	s_waitcnt vmcnt(8) lgkmcnt(0)
	v_mul_f32_e32 v10, v6, v203
	v_fmac_f32_e32 v10, v7, v78
	v_add_f32_e32 v1, v1, v10
	s_waitcnt vmcnt(6)
	v_mul_f32_e32 v10, v8, v205
	v_fmac_f32_e32 v10, v9, v200
	v_add_f32_e32 v1, v1, v10
	ds_read2_b64 v[10:13], v198 offset0:67 offset1:68
	v_fma_f32 v3, v4, v74, -v3
	v_add_f32_e32 v2, v2, v3
	v_mul_f32_e32 v3, v7, v203
	v_fma_f32 v3, v6, v78, -v3
	s_waitcnt vmcnt(4) lgkmcnt(0)
	v_mul_f32_e32 v14, v10, v207
	v_fmac_f32_e32 v14, v11, v202
	v_add_f32_e32 v1, v1, v14
	s_waitcnt vmcnt(2)
	v_mul_f32_e32 v14, v12, v208
	v_fmac_f32_e32 v14, v13, v204
	v_add_f32_e32 v1, v1, v14
	ds_read2_b64 v[14:17], v198 offset0:69 offset1:70
	buffer_load_dword v210, off, s[0:3], 0 offset:144
	buffer_load_dword v211, off, s[0:3], 0 offset:148
	v_add_f32_e32 v2, v2, v3
	v_mul_f32_e32 v3, v9, v205
	v_fma_f32 v3, v8, v200, -v3
	s_waitcnt vmcnt(2) lgkmcnt(0)
	v_mul_f32_e32 v18, v14, v209
	v_fmac_f32_e32 v18, v15, v206
	v_add_f32_e32 v1, v1, v18
	v_add_f32_e32 v2, v2, v3
	v_mul_f32_e32 v3, v11, v207
	v_fma_f32 v3, v10, v202, -v3
	v_add_f32_e32 v2, v2, v3
	v_mul_f32_e32 v3, v13, v208
	v_fma_f32 v3, v12, v204, -v3
	;; [unrolled: 3-line block ×3, first 2 shown]
	v_add_f32_e32 v2, v2, v3
	s_waitcnt vmcnt(0)
	v_mul_f32_e32 v18, v16, v211
	v_fmac_f32_e32 v18, v17, v210
	v_add_f32_e32 v22, v1, v18
	ds_read2_b64 v[18:21], v198 offset0:71 offset1:72
	buffer_load_dword v212, off, s[0:3], 0 offset:152
	buffer_load_dword v1, off, s[0:3], 0 offset:156
	buffer_load_dword v86, off, s[0:3], 0 offset:160
	buffer_load_dword v87, off, s[0:3], 0 offset:164
	ds_read2_b64 v[26:29], v198 offset0:73 offset1:74
	buffer_load_dword v213, off, s[0:3], 0 offset:168
	buffer_load_dword v214, off, s[0:3], 0 offset:172
	buffer_load_dword v215, off, s[0:3], 0 offset:176
	buffer_load_dword v88, off, s[0:3], 0 offset:180
	;; [unrolled: 5-line block ×12, first 2 shown]
	v_mul_f32_e32 v3, v17, v211
	v_fma_f32 v3, v16, v210, -v3
	v_add_f32_e32 v2, v2, v3
	s_waitcnt vmcnt(46) lgkmcnt(11)
	v_mul_f32_e32 v23, v18, v1
	v_fmac_f32_e32 v23, v19, v212
	v_add_f32_e32 v22, v22, v23
	s_waitcnt vmcnt(44)
	v_mul_f32_e32 v23, v20, v87
	v_fmac_f32_e32 v23, v21, v86
	v_add_f32_e32 v22, v22, v23
	s_waitcnt vmcnt(42) lgkmcnt(10)
	v_mul_f32_e32 v23, v26, v214
	v_fmac_f32_e32 v23, v27, v213
	v_add_f32_e32 v22, v22, v23
	s_waitcnt vmcnt(40)
	v_mul_f32_e32 v23, v28, v88
	v_fmac_f32_e32 v23, v29, v215
	;; [unrolled: 8-line block ×11, first 2 shown]
	v_add_f32_e32 v22, v22, v23
	s_waitcnt vmcnt(2) lgkmcnt(0)
	v_mul_f32_e32 v23, v66, v232
	v_fmac_f32_e32 v23, v67, v231
	v_add_f32_e32 v73, v22, v23
	ds_read2_b64 v[22:25], v198 offset0:95 offset1:96
	buffer_load_dword v235, off, s[0:3], 0 offset:344
	buffer_load_dword v236, off, s[0:3], 0 offset:348
	;; [unrolled: 1-line block ×18, first 2 shown]
	v_mul_f32_e32 v1, v19, v1
	v_fma_f32 v1, v18, v212, -v1
	v_add_f32_e32 v1, v2, v1
	v_mul_f32_e32 v2, v21, v87
	v_fma_f32 v2, v20, v86, -v2
	v_add_f32_e32 v1, v1, v2
	;; [unrolled: 3-line block ×22, first 2 shown]
	v_mul_f32_e32 v2, v67, v232
	v_fma_f32 v2, v66, v231, -v2
	s_waitcnt vmcnt(15)
	v_mov_b32_e32 v18, v77
	v_mul_f32_e32 v75, v68, v234
	v_add_f32_e32 v72, v1, v2
	v_mul_f32_e32 v1, v69, v234
	s_waitcnt lgkmcnt(0)
	v_pk_mul_f32 v[18:19], v[24:25], v[18:19] op_sel_hi:[1,0]
	v_fmac_f32_e32 v75, v69, v233
	v_fma_f32 v74, v68, v233, -v1
	ds_read2_b64 v[2:5], v198 offset0:97 offset1:98
	ds_read2_b64 v[6:9], v198 offset0:99 offset1:100
	;; [unrolled: 1-line block ×3, first 2 shown]
	ds_read_b64 v[14:15], v198 offset:824
	s_waitcnt vmcnt(14)
	v_pk_fma_f32 v[20:21], v[24:25], v[76:77], v[18:19] op_sel:[0,0,1] op_sel_hi:[1,1,0] neg_lo:[0,0,1] neg_hi:[0,0,1]
	v_pk_fma_f32 v[18:19], v[24:25], v[76:77], v[18:19] op_sel:[0,0,1] op_sel_hi:[1,0,0]
	v_mul_f32_e32 v79, v22, v236
	v_mul_f32_e32 v1, v23, v236
	v_fmac_f32_e32 v79, v23, v235
	v_fma_f32 v78, v22, v235, -v1
	v_pk_add_f32 v[16:17], v[72:73], v[74:75]
	s_waitcnt vmcnt(13)
	v_mov_b32_e32 v18, v197
	v_pk_add_f32 v[16:17], v[16:17], v[78:79]
	v_mov_b32_e32 v21, v19
	s_waitcnt lgkmcnt(3)
	v_pk_mul_f32 v[18:19], v[2:3], v[18:19] op_sel_hi:[1,0]
	v_pk_add_f32 v[16:17], v[16:17], v[20:21]
	s_waitcnt vmcnt(12)
	v_pk_fma_f32 v[20:21], v[2:3], v[196:197], v[18:19] op_sel:[0,0,1] op_sel_hi:[1,1,0] neg_lo:[0,0,1] neg_hi:[0,0,1]
	v_pk_fma_f32 v[2:3], v[2:3], v[196:197], v[18:19] op_sel:[0,0,1] op_sel_hi:[1,0,0]
	v_mov_b32_e32 v21, v3
	v_pk_add_f32 v[2:3], v[16:17], v[20:21]
	s_waitcnt vmcnt(11)
	v_mov_b32_e32 v16, v195
	v_pk_mul_f32 v[16:17], v[4:5], v[16:17] op_sel_hi:[1,0]
	s_waitcnt vmcnt(10)
	v_pk_fma_f32 v[18:19], v[4:5], v[194:195], v[16:17] op_sel:[0,0,1] op_sel_hi:[1,1,0] neg_lo:[0,0,1] neg_hi:[0,0,1]
	v_pk_fma_f32 v[4:5], v[4:5], v[194:195], v[16:17] op_sel:[0,0,1] op_sel_hi:[1,0,0]
	s_waitcnt vmcnt(9)
	v_mov_b32_e32 v4, v193
	v_mov_b32_e32 v19, v5
	s_waitcnt lgkmcnt(2)
	v_pk_mul_f32 v[4:5], v[6:7], v[4:5] op_sel_hi:[1,0]
	s_waitcnt vmcnt(8)
	v_pk_fma_f32 v[16:17], v[6:7], v[192:193], v[4:5] op_sel:[0,0,1] op_sel_hi:[1,1,0] neg_lo:[0,0,1] neg_hi:[0,0,1]
	v_pk_fma_f32 v[4:5], v[6:7], v[192:193], v[4:5] op_sel:[0,0,1] op_sel_hi:[1,0,0]
	s_waitcnt vmcnt(7)
	v_mov_b32_e32 v4, v191
	v_mov_b32_e32 v17, v5
	v_pk_mul_f32 v[4:5], v[8:9], v[4:5] op_sel_hi:[1,0]
	s_waitcnt vmcnt(6)
	v_pk_fma_f32 v[6:7], v[8:9], v[190:191], v[4:5] op_sel:[0,0,1] op_sel_hi:[1,1,0] neg_lo:[0,0,1] neg_hi:[0,0,1]
	v_pk_fma_f32 v[4:5], v[8:9], v[190:191], v[4:5] op_sel:[0,0,1] op_sel_hi:[1,0,0]
	v_pk_add_f32 v[2:3], v[2:3], v[18:19]
	s_waitcnt vmcnt(5)
	v_mov_b32_e32 v4, v85
	v_pk_add_f32 v[2:3], v[2:3], v[16:17]
	v_mov_b32_e32 v7, v5
	s_waitcnt lgkmcnt(1)
	v_pk_mul_f32 v[4:5], v[10:11], v[4:5] op_sel_hi:[1,0]
	v_pk_add_f32 v[2:3], v[2:3], v[6:7]
	s_waitcnt vmcnt(4)
	v_pk_fma_f32 v[6:7], v[10:11], v[84:85], v[4:5] op_sel:[0,0,1] op_sel_hi:[1,1,0] neg_lo:[0,0,1] neg_hi:[0,0,1]
	v_pk_fma_f32 v[4:5], v[10:11], v[84:85], v[4:5] op_sel:[0,0,1] op_sel_hi:[1,0,0]
	s_waitcnt vmcnt(3)
	v_mov_b32_e32 v4, v83
	v_mov_b32_e32 v7, v5
	v_pk_mul_f32 v[4:5], v[12:13], v[4:5] op_sel_hi:[1,0]
	v_pk_add_f32 v[2:3], v[2:3], v[6:7]
	s_waitcnt vmcnt(2)
	v_pk_fma_f32 v[6:7], v[12:13], v[82:83], v[4:5] op_sel:[0,0,1] op_sel_hi:[1,1,0] neg_lo:[0,0,1] neg_hi:[0,0,1]
	v_pk_fma_f32 v[4:5], v[12:13], v[82:83], v[4:5] op_sel:[0,0,1] op_sel_hi:[1,0,0]
	s_waitcnt vmcnt(1)
	v_mov_b32_e32 v4, v81
	v_mov_b32_e32 v7, v5
	s_waitcnt lgkmcnt(0)
	v_pk_mul_f32 v[4:5], v[14:15], v[4:5] op_sel_hi:[1,0]
	v_pk_add_f32 v[2:3], v[2:3], v[6:7]
	s_waitcnt vmcnt(0)
	v_pk_fma_f32 v[6:7], v[14:15], v[80:81], v[4:5] op_sel:[0,0,1] op_sel_hi:[1,1,0] neg_lo:[0,0,1] neg_hi:[0,0,1]
	v_pk_fma_f32 v[4:5], v[14:15], v[80:81], v[4:5] op_sel:[0,0,1] op_sel_hi:[1,0,0]
	v_mov_b32_e32 v7, v5
	v_pk_add_f32 v[2:3], v[2:3], v[6:7]
	v_pk_add_f32 v[2:3], v[70:71], v[2:3] neg_lo:[0,1] neg_hi:[0,1]
	buffer_store_dword v3, off, s[0:3], 0 offset:84
	buffer_store_dword v2, off, s[0:3], 0 offset:80
	s_and_saveexec_b64 s[4:5], vcc
	s_cbranch_execz .LBB51_307
; %bb.306:
	buffer_load_dword v2, off, s[0:3], 0 offset:72
	buffer_load_dword v3, off, s[0:3], 0 offset:76
	s_waitcnt vmcnt(0)
	ds_write_b64 v129, v[2:3]
	buffer_store_dword v198, off, s[0:3], 0 offset:72
	buffer_store_dword v198, off, s[0:3], 0 offset:76
.LBB51_307:
	s_or_b64 exec, exec, s[4:5]
	s_waitcnt lgkmcnt(0)
	; wave barrier
	s_waitcnt lgkmcnt(0)
	buffer_load_dword v1, off, s[0:3], 0 offset:84
	buffer_load_dword v78, off, s[0:3], 0 offset:92
	;; [unrolled: 1-line block ×24, first 2 shown]
	ds_read_b128 v[22:25], v198 offset:496
	ds_read_b128 v[18:21], v198 offset:512
	;; [unrolled: 1-line block ×4, first 2 shown]
	buffer_load_dword v196, off, s[0:3], 0 offset:168
	buffer_load_dword v197, off, s[0:3], 0 offset:172
	ds_read_b128 v[10:13], v198 offset:560
	ds_read_b128 v[2:5], v198 offset:576
	buffer_load_dword v199, off, s[0:3], 0 offset:176
	buffer_load_dword v200, off, s[0:3], 0 offset:180
	;; [unrolled: 1-line block ×44, first 2 shown]
	v_cmp_lt_u32_e32 vcc, 8, v0
	s_waitcnt vmcnt(62) lgkmcnt(5)
	v_mul_f32_e32 v28, v22, v1
	v_mul_f32_e32 v29, v24, v78
	s_waitcnt lgkmcnt(4)
	v_mul_f32_e32 v31, v20, v80
	s_waitcnt lgkmcnt(3)
	v_mul_f32_e32 v32, v14, v82
	v_mul_f32_e32 v33, v16, v98
	;; [unrolled: 1-line block ×3, first 2 shown]
	s_waitcnt lgkmcnt(2)
	v_mul_f32_e32 v34, v6, v100
	v_mul_f32_e32 v35, v8, v101
	s_waitcnt vmcnt(61)
	v_fmac_f32_e32 v30, v19, v102
	s_waitcnt vmcnt(60)
	v_fmac_f32_e32 v29, v25, v103
	;; [unrolled: 2-line block ×3, first 2 shown]
	v_add_f32_e32 v28, 0, v28
	v_add_f32_e32 v28, v28, v29
	;; [unrolled: 1-line block ×3, first 2 shown]
	s_waitcnt vmcnt(55)
	v_fmac_f32_e32 v31, v21, v108
	v_fmac_f32_e32 v32, v15, v107
	v_add_f32_e32 v28, v28, v31
	v_fmac_f32_e32 v33, v17, v106
	v_add_f32_e32 v28, v28, v32
	;; [unrolled: 2-line block ×3, first 2 shown]
	s_waitcnt vmcnt(51)
	v_fmac_f32_e32 v35, v9, v192
	v_add_f32_e32 v28, v28, v34
	s_waitcnt vmcnt(50) lgkmcnt(1)
	v_mul_f32_e32 v29, v10, v193
	v_add_f32_e32 v28, v28, v35
	v_fmac_f32_e32 v29, v11, v191
	v_add_f32_e32 v28, v28, v29
	s_waitcnt vmcnt(49)
	v_mul_f32_e32 v29, v12, v194
	v_fmac_f32_e32 v29, v13, v190
	v_add_f32_e32 v28, v28, v29
	s_waitcnt vmcnt(48) lgkmcnt(0)
	v_mul_f32_e32 v29, v2, v195
	v_fmac_f32_e32 v29, v3, v109
	v_add_f32_e32 v32, v28, v29
	ds_read_b128 v[28:31], v198 offset:592
	s_waitcnt vmcnt(44)
	v_mul_f32_e32 v33, v4, v197
	v_fmac_f32_e32 v33, v5, v196
	v_add_f32_e32 v36, v32, v33
	ds_read_b128 v[32:35], v198 offset:608
	s_waitcnt vmcnt(42) lgkmcnt(1)
	v_mul_f32_e32 v37, v28, v200
	v_fmac_f32_e32 v37, v29, v199
	v_add_f32_e32 v36, v36, v37
	s_waitcnt vmcnt(40)
	v_mul_f32_e32 v37, v30, v202
	v_fmac_f32_e32 v37, v31, v201
	v_add_f32_e32 v36, v36, v37
	s_waitcnt vmcnt(38) lgkmcnt(0)
	v_mul_f32_e32 v37, v32, v204
	v_fmac_f32_e32 v37, v33, v203
	v_add_f32_e32 v40, v36, v37
	ds_read_b128 v[36:39], v198 offset:624
	s_waitcnt vmcnt(36)
	v_mul_f32_e32 v41, v34, v206
	v_fmac_f32_e32 v41, v35, v205
	v_add_f32_e32 v44, v40, v41
	ds_read_b128 v[40:43], v198 offset:640
	s_waitcnt vmcnt(34) lgkmcnt(1)
	v_mul_f32_e32 v45, v36, v208
	;; [unrolled: 18-line block ×4, first 2 shown]
	v_fmac_f32_e32 v61, v53, v223
	v_add_f32_e32 v60, v60, v61
	s_waitcnt vmcnt(16)
	v_mul_f32_e32 v61, v54, v226
	v_fmac_f32_e32 v61, v55, v225
	v_add_f32_e32 v60, v60, v61
	s_waitcnt vmcnt(14) lgkmcnt(0)
	v_mul_f32_e32 v61, v56, v228
	v_fmac_f32_e32 v61, v57, v227
	v_add_f32_e32 v64, v60, v61
	ds_read_b128 v[60:63], v198 offset:720
	s_waitcnt vmcnt(12)
	v_mul_f32_e32 v65, v58, v230
	v_fmac_f32_e32 v65, v59, v229
	v_add_f32_e32 v68, v64, v65
	ds_read_b128 v[64:67], v198 offset:736
	buffer_load_dword v77, off, s[0:3], 0 offset:356
	buffer_load_dword v76, off, s[0:3], 0 offset:352
	s_waitcnt vmcnt(12) lgkmcnt(1)
	v_mul_f32_e32 v69, v60, v232
	v_fmac_f32_e32 v69, v61, v231
	v_add_f32_e32 v68, v68, v69
	s_waitcnt vmcnt(10)
	v_mul_f32_e32 v69, v62, v234
	v_fmac_f32_e32 v69, v63, v233
	v_add_f32_e32 v68, v68, v69
	s_waitcnt vmcnt(8) lgkmcnt(0)
	v_mul_f32_e32 v69, v64, v236
	v_fmac_f32_e32 v69, v65, v235
	s_waitcnt vmcnt(6)
	v_mul_f32_e32 v73, v66, v238
	v_add_f32_e32 v72, v68, v69
	v_fmac_f32_e32 v73, v67, v237
	ds_read_b128 v[68:71], v198 offset:752
	v_add_f32_e32 v79, v72, v73
	ds_read_b128 v[72:75], v198 offset:768
	buffer_load_dword v85, off, s[0:3], 0 offset:388
	buffer_load_dword v84, off, s[0:3], 0 offset:384
	;; [unrolled: 1-line block ×14, first 2 shown]
	v_mul_f32_e32 v1, v23, v1
	v_fma_f32 v1, v22, v104, -v1
	v_mul_f32_e32 v22, v25, v78
	v_add_f32_e32 v1, 0, v1
	v_fma_f32 v22, v24, v103, -v22
	v_mul_f32_e32 v19, v19, v99
	v_add_f32_e32 v1, v1, v22
	v_fma_f32 v18, v18, v102, -v19
	v_add_f32_e32 v1, v1, v18
	v_mul_f32_e32 v18, v21, v80
	v_fma_f32 v18, v20, v108, -v18
	v_mul_f32_e32 v15, v15, v82
	v_add_f32_e32 v1, v1, v18
	v_fma_f32 v14, v14, v107, -v15
	v_add_f32_e32 v1, v1, v14
	v_mul_f32_e32 v14, v17, v98
	;; [unrolled: 6-line block ×3, first 2 shown]
	v_fma_f32 v6, v8, v192, -v6
	v_add_f32_e32 v1, v1, v6
	v_mul_f32_e32 v6, v11, v193
	v_fma_f32 v6, v10, v191, -v6
	v_add_f32_e32 v1, v1, v6
	v_mul_f32_e32 v6, v13, v194
	v_fma_f32 v6, v12, v190, -v6
	v_mul_f32_e32 v3, v3, v195
	v_add_f32_e32 v1, v1, v6
	v_fma_f32 v2, v2, v109, -v3
	v_add_f32_e32 v1, v1, v2
	v_mul_f32_e32 v2, v5, v197
	v_fma_f32 v2, v4, v196, -v2
	v_add_f32_e32 v1, v1, v2
	v_mul_f32_e32 v2, v29, v200
	;; [unrolled: 3-line block ×21, first 2 shown]
	v_fma_f32 v2, v66, v237, -v2
	s_waitcnt vmcnt(15)
	v_mov_b32_e32 v16, v77
	s_waitcnt lgkmcnt(1)
	v_mul_f32_e32 v81, v68, v240
	v_add_f32_e32 v78, v1, v2
	v_mul_f32_e32 v1, v69, v240
	s_waitcnt lgkmcnt(0)
	v_pk_mul_f32 v[16:17], v[72:73], v[16:17] op_sel_hi:[1,0]
	v_fmac_f32_e32 v81, v69, v239
	v_mul_f32_e32 v83, v70, v242
	v_fma_f32 v80, v68, v239, -v1
	v_mul_f32_e32 v1, v71, v242
	s_waitcnt vmcnt(14)
	v_pk_fma_f32 v[18:19], v[72:73], v[76:77], v[16:17] op_sel:[0,0,1] op_sel_hi:[1,1,0] neg_lo:[0,0,1] neg_hi:[0,0,1]
	v_pk_fma_f32 v[16:17], v[72:73], v[76:77], v[16:17] op_sel:[0,0,1] op_sel_hi:[1,0,0]
	v_fmac_f32_e32 v83, v71, v241
	v_fma_f32 v82, v70, v241, -v1
	v_pk_add_f32 v[14:15], v[78:79], v[80:81]
	s_waitcnt vmcnt(7)
	v_mov_b32_e32 v16, v91
	ds_read_b128 v[2:5], v198 offset:784
	ds_read_b128 v[6:9], v198 offset:800
	;; [unrolled: 1-line block ×3, first 2 shown]
	v_pk_add_f32 v[14:15], v[14:15], v[82:83]
	v_mov_b32_e32 v19, v17
	v_pk_mul_f32 v[16:17], v[74:75], v[16:17] op_sel_hi:[1,0]
	v_pk_add_f32 v[14:15], v[14:15], v[18:19]
	s_waitcnt vmcnt(6)
	v_pk_fma_f32 v[18:19], v[74:75], v[90:91], v[16:17] op_sel:[0,0,1] op_sel_hi:[1,1,0] neg_lo:[0,0,1] neg_hi:[0,0,1]
	v_pk_fma_f32 v[16:17], v[74:75], v[90:91], v[16:17] op_sel:[0,0,1] op_sel_hi:[1,0,0]
	v_mov_b32_e32 v16, v89
	v_mov_b32_e32 v19, v17
	s_waitcnt lgkmcnt(2)
	v_pk_mul_f32 v[16:17], v[2:3], v[16:17] op_sel_hi:[1,0]
	v_pk_add_f32 v[14:15], v[14:15], v[18:19]
	v_pk_fma_f32 v[18:19], v[2:3], v[88:89], v[16:17] op_sel:[0,0,1] op_sel_hi:[1,1,0] neg_lo:[0,0,1] neg_hi:[0,0,1]
	v_pk_fma_f32 v[2:3], v[2:3], v[88:89], v[16:17] op_sel:[0,0,1] op_sel_hi:[1,0,0]
	v_mov_b32_e32 v19, v3
	v_pk_add_f32 v[2:3], v[14:15], v[18:19]
	v_mov_b32_e32 v14, v87
	v_pk_mul_f32 v[14:15], v[4:5], v[14:15] op_sel_hi:[1,0]
	v_pk_fma_f32 v[16:17], v[4:5], v[86:87], v[14:15] op_sel:[0,0,1] op_sel_hi:[1,1,0] neg_lo:[0,0,1] neg_hi:[0,0,1]
	v_pk_fma_f32 v[4:5], v[4:5], v[86:87], v[14:15] op_sel:[0,0,1] op_sel_hi:[1,0,0]
	v_mov_b32_e32 v4, v85
	v_mov_b32_e32 v17, v5
	s_waitcnt lgkmcnt(1)
	v_pk_mul_f32 v[4:5], v[6:7], v[4:5] op_sel_hi:[1,0]
	v_pk_fma_f32 v[14:15], v[6:7], v[84:85], v[4:5] op_sel:[0,0,1] op_sel_hi:[1,1,0] neg_lo:[0,0,1] neg_hi:[0,0,1]
	v_pk_fma_f32 v[4:5], v[6:7], v[84:85], v[4:5] op_sel:[0,0,1] op_sel_hi:[1,0,0]
	s_waitcnt vmcnt(1)
	v_mov_b32_e32 v4, v97
	v_mov_b32_e32 v15, v5
	v_pk_mul_f32 v[4:5], v[8:9], v[4:5] op_sel_hi:[1,0]
	s_waitcnt vmcnt(0)
	v_pk_fma_f32 v[6:7], v[8:9], v[96:97], v[4:5] op_sel:[0,0,1] op_sel_hi:[1,1,0] neg_lo:[0,0,1] neg_hi:[0,0,1]
	v_pk_fma_f32 v[4:5], v[8:9], v[96:97], v[4:5] op_sel:[0,0,1] op_sel_hi:[1,0,0]
	v_pk_add_f32 v[2:3], v[2:3], v[16:17]
	v_mov_b32_e32 v4, v95
	v_pk_add_f32 v[2:3], v[2:3], v[14:15]
	v_mov_b32_e32 v7, v5
	s_waitcnt lgkmcnt(0)
	v_pk_mul_f32 v[4:5], v[10:11], v[4:5] op_sel_hi:[1,0]
	v_pk_add_f32 v[2:3], v[2:3], v[6:7]
	v_pk_fma_f32 v[6:7], v[10:11], v[94:95], v[4:5] op_sel:[0,0,1] op_sel_hi:[1,1,0] neg_lo:[0,0,1] neg_hi:[0,0,1]
	v_pk_fma_f32 v[4:5], v[10:11], v[94:95], v[4:5] op_sel:[0,0,1] op_sel_hi:[1,0,0]
	v_mov_b32_e32 v4, v93
	v_mov_b32_e32 v7, v5
	v_pk_mul_f32 v[4:5], v[12:13], v[4:5] op_sel_hi:[1,0]
	v_pk_add_f32 v[2:3], v[2:3], v[6:7]
	v_pk_fma_f32 v[6:7], v[12:13], v[92:93], v[4:5] op_sel:[0,0,1] op_sel_hi:[1,1,0] neg_lo:[0,0,1] neg_hi:[0,0,1]
	v_pk_fma_f32 v[4:5], v[12:13], v[92:93], v[4:5] op_sel:[0,0,1] op_sel_hi:[1,0,0]
	v_mov_b32_e32 v7, v5
	v_pk_add_f32 v[2:3], v[2:3], v[6:7]
	v_pk_add_f32 v[2:3], v[26:27], v[2:3] neg_lo:[0,1] neg_hi:[0,1]
	buffer_store_dword v3, off, s[0:3], 0 offset:76
	buffer_store_dword v2, off, s[0:3], 0 offset:72
	s_and_saveexec_b64 s[4:5], vcc
	s_cbranch_execz .LBB51_309
; %bb.308:
	buffer_load_dword v2, off, s[0:3], 0 offset:64
	buffer_load_dword v3, off, s[0:3], 0 offset:68
	v_mov_b32_e32 v1, 0
	buffer_store_dword v1, off, s[0:3], 0 offset:64
	buffer_store_dword v1, off, s[0:3], 0 offset:68
	s_waitcnt vmcnt(2)
	ds_write_b64 v129, v[2:3]
.LBB51_309:
	s_or_b64 exec, exec, s[4:5]
	s_waitcnt lgkmcnt(0)
	; wave barrier
	s_waitcnt lgkmcnt(0)
	buffer_load_dword v1, off, s[0:3], 0 offset:76
	buffer_load_dword v29, off, s[0:3], 0 offset:84
	;; [unrolled: 1-line block ×56, first 2 shown]
	v_mov_b32_e32 v28, 0
	ds_read2_b64 v[4:7], v28 offset0:61 offset1:62
	ds_read2_b64 v[8:11], v28 offset0:63 offset1:64
	;; [unrolled: 1-line block ×6, first 2 shown]
	buffer_load_dword v229, off, s[0:3], 0 offset:288
	buffer_load_dword v230, off, s[0:3], 0 offset:292
	;; [unrolled: 1-line block ×16, first 2 shown]
	v_cmp_lt_u32_e32 vcc, 7, v0
	s_waitcnt vmcnt(62) lgkmcnt(5)
	v_mul_f32_e32 v30, v4, v1
	v_mul_f32_e32 v31, v6, v29
	s_waitcnt lgkmcnt(4)
	v_mul_f32_e32 v33, v10, v78
	s_waitcnt lgkmcnt(3)
	v_mul_f32_e32 v34, v12, v80
	v_mul_f32_e32 v35, v14, v82
	v_mul_f32_e32 v32, v8, v100
	s_waitcnt lgkmcnt(2)
	v_mul_f32_e32 v36, v16, v101
	v_mul_f32_e32 v37, v18, v102
	s_waitcnt lgkmcnt(1)
	v_mul_f32_e32 v38, v20, v103
	v_fmac_f32_e32 v32, v9, v104
	s_waitcnt vmcnt(61)
	v_fmac_f32_e32 v31, v7, v105
	s_waitcnt vmcnt(60)
	v_fmac_f32_e32 v30, v5, v106
	v_add_f32_e32 v30, 0, v30
	v_add_f32_e32 v30, v30, v31
	;; [unrolled: 1-line block ×3, first 2 shown]
	s_waitcnt vmcnt(56)
	v_fmac_f32_e32 v33, v11, v190
	v_fmac_f32_e32 v34, v13, v109
	v_add_f32_e32 v30, v30, v33
	v_fmac_f32_e32 v35, v15, v108
	v_add_f32_e32 v30, v30, v34
	;; [unrolled: 2-line block ×3, first 2 shown]
	s_waitcnt vmcnt(52)
	v_fmac_f32_e32 v37, v19, v194
	v_add_f32_e32 v30, v30, v36
	v_add_f32_e32 v30, v30, v37
	v_fmac_f32_e32 v38, v21, v193
	s_waitcnt vmcnt(51)
	v_mul_f32_e32 v31, v22, v195
	v_add_f32_e32 v30, v30, v38
	v_fmac_f32_e32 v31, v23, v192
	v_add_f32_e32 v30, v30, v31
	s_waitcnt vmcnt(50) lgkmcnt(0)
	v_mul_f32_e32 v31, v24, v196
	v_fmac_f32_e32 v31, v25, v191
	v_add_f32_e32 v34, v30, v31
	ds_read2_b64 v[30:33], v28 offset0:73 offset1:74
	s_waitcnt vmcnt(46)
	v_mul_f32_e32 v35, v26, v198
	v_fmac_f32_e32 v35, v27, v197
	v_add_f32_e32 v38, v34, v35
	ds_read2_b64 v[34:37], v28 offset0:75 offset1:76
	s_waitcnt vmcnt(44) lgkmcnt(1)
	v_mul_f32_e32 v39, v30, v200
	v_fmac_f32_e32 v39, v31, v199
	v_add_f32_e32 v38, v38, v39
	s_waitcnt vmcnt(42)
	v_mul_f32_e32 v39, v32, v202
	v_fmac_f32_e32 v39, v33, v201
	v_add_f32_e32 v38, v38, v39
	s_waitcnt vmcnt(40) lgkmcnt(0)
	v_mul_f32_e32 v39, v34, v204
	v_fmac_f32_e32 v39, v35, v203
	v_add_f32_e32 v42, v38, v39
	ds_read2_b64 v[38:41], v28 offset0:77 offset1:78
	s_waitcnt vmcnt(38)
	v_mul_f32_e32 v43, v36, v206
	v_fmac_f32_e32 v43, v37, v205
	v_add_f32_e32 v46, v42, v43
	ds_read2_b64 v[42:45], v28 offset0:79 offset1:80
	s_waitcnt vmcnt(36) lgkmcnt(1)
	v_mul_f32_e32 v47, v38, v208
	v_fmac_f32_e32 v47, v39, v207
	v_add_f32_e32 v46, v46, v47
	s_waitcnt vmcnt(34)
	v_mul_f32_e32 v47, v40, v210
	;; [unrolled: 18-line block ×5, first 2 shown]
	v_fmac_f32_e32 v71, v65, v233
	v_add_f32_e32 v70, v70, v71
	s_waitcnt vmcnt(8) lgkmcnt(0)
	v_mul_f32_e32 v71, v66, v236
	v_fmac_f32_e32 v71, v67, v235
	s_waitcnt vmcnt(6)
	v_mul_f32_e32 v75, v68, v238
	v_add_f32_e32 v74, v70, v71
	v_fmac_f32_e32 v75, v69, v237
	ds_read2_b64 v[70:73], v28 offset0:93 offset1:94
	v_add_f32_e32 v79, v74, v75
	ds_read2_b64 v[74:77], v28 offset0:95 offset1:96
	buffer_load_dword v85, off, s[0:3], 0 offset:380
	buffer_load_dword v84, off, s[0:3], 0 offset:376
	;; [unrolled: 1-line block ×16, first 2 shown]
	v_mul_f32_e32 v1, v5, v1
	v_fma_f32 v1, v4, v106, -v1
	v_mul_f32_e32 v4, v7, v29
	v_add_f32_e32 v1, 0, v1
	v_fma_f32 v4, v6, v105, -v4
	v_add_f32_e32 v1, v1, v4
	v_mul_f32_e32 v4, v9, v100
	v_fma_f32 v4, v8, v104, -v4
	v_add_f32_e32 v1, v1, v4
	v_mul_f32_e32 v4, v11, v78
	;; [unrolled: 3-line block ×30, first 2 shown]
	v_fma_f32 v4, v68, v237, -v4
	s_waitcnt vmcnt(20) lgkmcnt(1)
	v_mul_f32_e32 v81, v70, v240
	v_add_f32_e32 v1, v1, v4
	v_mul_f32_e32 v4, v71, v240
	v_fmac_f32_e32 v81, v71, v239
	v_fma_f32 v4, v70, v239, -v4
	s_waitcnt vmcnt(9)
	v_mov_b32_e32 v20, v91
	v_add_f32_e32 v79, v79, v81
	v_mul_f32_e32 v81, v72, v242
	v_add_f32_e32 v78, v1, v4
	v_mul_f32_e32 v1, v73, v242
	s_waitcnt lgkmcnt(0)
	v_pk_mul_f32 v[20:21], v[76:77], v[20:21] op_sel_hi:[1,0]
	v_fmac_f32_e32 v81, v73, v241
	v_mul_f32_e32 v83, v74, v244
	v_fma_f32 v80, v72, v241, -v1
	v_mul_f32_e32 v1, v75, v244
	ds_read2_b64 v[4:7], v28 offset0:97 offset1:98
	ds_read2_b64 v[8:11], v28 offset0:99 offset1:100
	;; [unrolled: 1-line block ×3, first 2 shown]
	ds_read_b64 v[16:17], v28 offset:824
	s_waitcnt vmcnt(8)
	v_pk_fma_f32 v[22:23], v[76:77], v[90:91], v[20:21] op_sel:[0,0,1] op_sel_hi:[1,1,0] neg_lo:[0,0,1] neg_hi:[0,0,1]
	v_pk_fma_f32 v[20:21], v[76:77], v[90:91], v[20:21] op_sel:[0,0,1] op_sel_hi:[1,0,0]
	v_fmac_f32_e32 v83, v75, v243
	v_fma_f32 v82, v74, v243, -v1
	v_pk_add_f32 v[18:19], v[78:79], v[80:81]
	v_mov_b32_e32 v20, v89
	v_pk_add_f32 v[18:19], v[18:19], v[82:83]
	v_mov_b32_e32 v23, v21
	s_waitcnt lgkmcnt(3)
	v_pk_mul_f32 v[20:21], v[4:5], v[20:21] op_sel_hi:[1,0]
	v_pk_add_f32 v[18:19], v[18:19], v[22:23]
	v_pk_fma_f32 v[22:23], v[4:5], v[88:89], v[20:21] op_sel:[0,0,1] op_sel_hi:[1,1,0] neg_lo:[0,0,1] neg_hi:[0,0,1]
	v_pk_fma_f32 v[4:5], v[4:5], v[88:89], v[20:21] op_sel:[0,0,1] op_sel_hi:[1,0,0]
	v_mov_b32_e32 v23, v5
	v_pk_add_f32 v[4:5], v[18:19], v[22:23]
	v_mov_b32_e32 v18, v87
	v_pk_mul_f32 v[18:19], v[6:7], v[18:19] op_sel_hi:[1,0]
	v_pk_fma_f32 v[20:21], v[6:7], v[86:87], v[18:19] op_sel:[0,0,1] op_sel_hi:[1,1,0] neg_lo:[0,0,1] neg_hi:[0,0,1]
	v_pk_fma_f32 v[6:7], v[6:7], v[86:87], v[18:19] op_sel:[0,0,1] op_sel_hi:[1,0,0]
	v_mov_b32_e32 v6, v85
	v_mov_b32_e32 v21, v7
	s_waitcnt lgkmcnt(2)
	v_pk_mul_f32 v[6:7], v[8:9], v[6:7] op_sel_hi:[1,0]
	v_pk_fma_f32 v[18:19], v[8:9], v[84:85], v[6:7] op_sel:[0,0,1] op_sel_hi:[1,1,0] neg_lo:[0,0,1] neg_hi:[0,0,1]
	v_pk_fma_f32 v[6:7], v[8:9], v[84:85], v[6:7] op_sel:[0,0,1] op_sel_hi:[1,0,0]
	s_waitcnt vmcnt(1)
	v_mov_b32_e32 v6, v99
	v_mov_b32_e32 v19, v7
	v_pk_mul_f32 v[6:7], v[10:11], v[6:7] op_sel_hi:[1,0]
	s_waitcnt vmcnt(0)
	v_pk_fma_f32 v[8:9], v[10:11], v[98:99], v[6:7] op_sel:[0,0,1] op_sel_hi:[1,1,0] neg_lo:[0,0,1] neg_hi:[0,0,1]
	v_pk_fma_f32 v[6:7], v[10:11], v[98:99], v[6:7] op_sel:[0,0,1] op_sel_hi:[1,0,0]
	v_pk_add_f32 v[4:5], v[4:5], v[20:21]
	v_mov_b32_e32 v6, v97
	v_pk_add_f32 v[4:5], v[4:5], v[18:19]
	v_mov_b32_e32 v9, v7
	s_waitcnt lgkmcnt(1)
	v_pk_mul_f32 v[6:7], v[12:13], v[6:7] op_sel_hi:[1,0]
	v_pk_add_f32 v[4:5], v[4:5], v[8:9]
	v_pk_fma_f32 v[8:9], v[12:13], v[96:97], v[6:7] op_sel:[0,0,1] op_sel_hi:[1,1,0] neg_lo:[0,0,1] neg_hi:[0,0,1]
	v_pk_fma_f32 v[6:7], v[12:13], v[96:97], v[6:7] op_sel:[0,0,1] op_sel_hi:[1,0,0]
	v_mov_b32_e32 v6, v95
	v_mov_b32_e32 v9, v7
	v_pk_mul_f32 v[6:7], v[14:15], v[6:7] op_sel_hi:[1,0]
	v_pk_add_f32 v[4:5], v[4:5], v[8:9]
	v_pk_fma_f32 v[8:9], v[14:15], v[94:95], v[6:7] op_sel:[0,0,1] op_sel_hi:[1,1,0] neg_lo:[0,0,1] neg_hi:[0,0,1]
	v_pk_fma_f32 v[6:7], v[14:15], v[94:95], v[6:7] op_sel:[0,0,1] op_sel_hi:[1,0,0]
	v_mov_b32_e32 v6, v93
	v_mov_b32_e32 v9, v7
	s_waitcnt lgkmcnt(0)
	v_pk_mul_f32 v[6:7], v[16:17], v[6:7] op_sel_hi:[1,0]
	v_pk_add_f32 v[4:5], v[4:5], v[8:9]
	v_pk_fma_f32 v[8:9], v[16:17], v[92:93], v[6:7] op_sel:[0,0,1] op_sel_hi:[1,1,0] neg_lo:[0,0,1] neg_hi:[0,0,1]
	v_pk_fma_f32 v[6:7], v[16:17], v[92:93], v[6:7] op_sel:[0,0,1] op_sel_hi:[1,0,0]
	v_mov_b32_e32 v9, v7
	v_pk_add_f32 v[4:5], v[4:5], v[8:9]
	v_pk_add_f32 v[2:3], v[2:3], v[4:5] neg_lo:[0,1] neg_hi:[0,1]
	buffer_store_dword v3, off, s[0:3], 0 offset:68
	buffer_store_dword v2, off, s[0:3], 0 offset:64
	s_and_saveexec_b64 s[4:5], vcc
	s_cbranch_execz .LBB51_311
; %bb.310:
	buffer_load_dword v2, off, s[0:3], 0 offset:56
	buffer_load_dword v3, off, s[0:3], 0 offset:60
	s_waitcnt vmcnt(0)
	ds_write_b64 v129, v[2:3]
	buffer_store_dword v28, off, s[0:3], 0 offset:56
	buffer_store_dword v28, off, s[0:3], 0 offset:60
.LBB51_311:
	s_or_b64 exec, exec, s[4:5]
	s_waitcnt lgkmcnt(0)
	; wave barrier
	s_waitcnt lgkmcnt(0)
	buffer_load_dword v1, off, s[0:3], 0 offset:68
	buffer_load_dword v29, off, s[0:3], 0 offset:76
	;; [unrolled: 1-line block ×26, first 2 shown]
	ds_read_b128 v[22:25], v28 offset:480
	ds_read_b128 v[18:21], v28 offset:496
	;; [unrolled: 1-line block ×6, first 2 shown]
	buffer_load_dword v199, off, s[0:3], 0 offset:160
	buffer_load_dword v200, off, s[0:3], 0 offset:164
	;; [unrolled: 1-line block ×42, first 2 shown]
	v_cmp_lt_u32_e32 vcc, 6, v0
	s_waitcnt vmcnt(62) lgkmcnt(5)
	v_mul_f32_e32 v30, v22, v1
	v_mul_f32_e32 v31, v24, v29
	s_waitcnt lgkmcnt(4)
	v_mul_f32_e32 v33, v20, v78
	s_waitcnt lgkmcnt(3)
	v_mul_f32_e32 v34, v14, v80
	v_mul_f32_e32 v35, v16, v88
	;; [unrolled: 1-line block ×3, first 2 shown]
	s_waitcnt vmcnt(61) lgkmcnt(2)
	v_mul_f32_e32 v36, v10, v101
	s_waitcnt vmcnt(60)
	v_mul_f32_e32 v37, v12, v102
	s_waitcnt vmcnt(59) lgkmcnt(1)
	v_mul_f32_e32 v38, v6, v103
	s_waitcnt vmcnt(58)
	v_fmac_f32_e32 v32, v19, v104
	s_waitcnt vmcnt(57)
	v_fmac_f32_e32 v31, v25, v105
	;; [unrolled: 2-line block ×3, first 2 shown]
	v_add_f32_e32 v30, 0, v30
	v_add_f32_e32 v30, v30, v31
	;; [unrolled: 1-line block ×3, first 2 shown]
	s_waitcnt vmcnt(52)
	v_fmac_f32_e32 v33, v21, v190
	v_fmac_f32_e32 v34, v15, v109
	v_add_f32_e32 v30, v30, v33
	v_fmac_f32_e32 v35, v17, v108
	v_add_f32_e32 v30, v30, v34
	;; [unrolled: 2-line block ×3, first 2 shown]
	s_waitcnt vmcnt(48)
	v_fmac_f32_e32 v37, v13, v194
	v_add_f32_e32 v30, v30, v36
	v_fmac_f32_e32 v38, v7, v193
	v_add_f32_e32 v30, v30, v37
	s_waitcnt vmcnt(47)
	v_mul_f32_e32 v31, v8, v195
	v_add_f32_e32 v30, v30, v38
	v_fmac_f32_e32 v31, v9, v192
	v_add_f32_e32 v30, v30, v31
	s_waitcnt vmcnt(46) lgkmcnt(0)
	v_mul_f32_e32 v31, v2, v196
	v_fmac_f32_e32 v31, v3, v191
	v_add_f32_e32 v34, v30, v31
	ds_read_b128 v[30:33], v28 offset:576
	s_waitcnt vmcnt(42)
	v_mul_f32_e32 v35, v4, v198
	v_fmac_f32_e32 v35, v5, v197
	buffer_load_dword v241, off, s[0:3], 0 offset:328
	buffer_load_dword v242, off, s[0:3], 0 offset:332
	v_add_f32_e32 v38, v34, v35
	buffer_load_dword v243, off, s[0:3], 0 offset:336
	buffer_load_dword v244, off, s[0:3], 0 offset:340
	ds_read_b128 v[34:37], v28 offset:592
	s_waitcnt vmcnt(44) lgkmcnt(1)
	v_mul_f32_e32 v39, v30, v200
	v_fmac_f32_e32 v39, v31, v199
	v_add_f32_e32 v38, v38, v39
	s_waitcnt vmcnt(42)
	v_mul_f32_e32 v39, v32, v202
	v_fmac_f32_e32 v39, v33, v201
	v_add_f32_e32 v38, v38, v39
	s_waitcnt vmcnt(40) lgkmcnt(0)
	v_mul_f32_e32 v39, v34, v204
	v_fmac_f32_e32 v39, v35, v203
	buffer_load_dword v245, off, s[0:3], 0 offset:344
	buffer_load_dword v246, off, s[0:3], 0 offset:348
	v_add_f32_e32 v42, v38, v39
	ds_read_b128 v[38:41], v28 offset:608
	s_waitcnt vmcnt(40)
	v_mul_f32_e32 v43, v36, v206
	v_fmac_f32_e32 v43, v37, v205
	v_add_f32_e32 v46, v42, v43
	ds_read_b128 v[42:45], v28 offset:624
	s_waitcnt vmcnt(38) lgkmcnt(1)
	v_mul_f32_e32 v47, v38, v208
	v_fmac_f32_e32 v47, v39, v207
	v_add_f32_e32 v46, v46, v47
	s_waitcnt vmcnt(36)
	v_mul_f32_e32 v47, v40, v210
	v_fmac_f32_e32 v47, v41, v209
	v_add_f32_e32 v46, v46, v47
	s_waitcnt vmcnt(34) lgkmcnt(0)
	v_mul_f32_e32 v47, v42, v212
	v_fmac_f32_e32 v47, v43, v211
	v_add_f32_e32 v50, v46, v47
	ds_read_b128 v[46:49], v28 offset:640
	s_waitcnt vmcnt(32)
	v_mul_f32_e32 v51, v44, v214
	v_fmac_f32_e32 v51, v45, v213
	v_add_f32_e32 v54, v50, v51
	ds_read_b128 v[50:53], v28 offset:656
	s_waitcnt vmcnt(30) lgkmcnt(1)
	v_mul_f32_e32 v55, v46, v216
	v_fmac_f32_e32 v55, v47, v215
	v_add_f32_e32 v54, v54, v55
	s_waitcnt vmcnt(28)
	v_mul_f32_e32 v55, v48, v218
	v_fmac_f32_e32 v55, v49, v217
	v_add_f32_e32 v54, v54, v55
	s_waitcnt vmcnt(26) lgkmcnt(0)
	v_mul_f32_e32 v55, v50, v220
	v_fmac_f32_e32 v55, v51, v219
	;; [unrolled: 18-line block ×4, first 2 shown]
	s_waitcnt vmcnt(8)
	v_mul_f32_e32 v75, v68, v238
	v_add_f32_e32 v74, v70, v71
	v_fmac_f32_e32 v75, v69, v237
	ds_read_b128 v[70:73], v28 offset:736
	v_add_f32_e32 v79, v74, v75
	ds_read_b128 v[74:77], v28 offset:752
	buffer_load_dword v83, off, s[0:3], 0 offset:372
	buffer_load_dword v82, off, s[0:3], 0 offset:368
	buffer_load_dword v85, off, s[0:3], 0 offset:364
	buffer_load_dword v84, off, s[0:3], 0 offset:360
	buffer_load_dword v87, off, s[0:3], 0 offset:356
	buffer_load_dword v86, off, s[0:3], 0 offset:352
	buffer_load_dword v91, off, s[0:3], 0 offset:404
	buffer_load_dword v90, off, s[0:3], 0 offset:400
	buffer_load_dword v93, off, s[0:3], 0 offset:396
	buffer_load_dword v92, off, s[0:3], 0 offset:392
	buffer_load_dword v95, off, s[0:3], 0 offset:388
	buffer_load_dword v94, off, s[0:3], 0 offset:384
	buffer_load_dword v97, off, s[0:3], 0 offset:380
	buffer_load_dword v96, off, s[0:3], 0 offset:376
	buffer_load_dword v99, off, s[0:3], 0 offset:412
	buffer_load_dword v98, off, s[0:3], 0 offset:408
	v_mul_f32_e32 v1, v23, v1
	v_fma_f32 v1, v22, v106, -v1
	v_mul_f32_e32 v22, v25, v29
	v_add_f32_e32 v1, 0, v1
	v_fma_f32 v22, v24, v105, -v22
	v_mul_f32_e32 v19, v19, v100
	v_add_f32_e32 v1, v1, v22
	v_fma_f32 v18, v18, v104, -v19
	v_add_f32_e32 v1, v1, v18
	v_mul_f32_e32 v18, v21, v78
	v_fma_f32 v18, v20, v190, -v18
	v_mul_f32_e32 v15, v15, v80
	v_add_f32_e32 v1, v1, v18
	v_fma_f32 v14, v14, v109, -v15
	v_add_f32_e32 v1, v1, v14
	v_mul_f32_e32 v14, v17, v88
	;; [unrolled: 6-line block ×5, first 2 shown]
	v_fma_f32 v2, v4, v197, -v2
	v_add_f32_e32 v1, v1, v2
	v_mul_f32_e32 v2, v31, v200
	v_fma_f32 v2, v30, v199, -v2
	v_add_f32_e32 v1, v1, v2
	v_mul_f32_e32 v2, v33, v202
	;; [unrolled: 3-line block ×20, first 2 shown]
	v_fma_f32 v2, v68, v237, -v2
	v_add_f32_e32 v1, v1, v2
	s_waitcnt vmcnt(22) lgkmcnt(1)
	v_mul_f32_e32 v2, v71, v240
	v_mul_f32_e32 v81, v70, v240
	v_fma_f32 v2, v70, v239, -v2
	v_fmac_f32_e32 v81, v71, v239
	v_add_f32_e32 v1, v1, v2
	s_waitcnt vmcnt(20)
	v_mul_f32_e32 v2, v73, v242
	v_add_f32_e32 v79, v79, v81
	v_mul_f32_e32 v81, v72, v242
	v_fma_f32 v2, v72, v241, -v2
	v_fmac_f32_e32 v81, v73, v241
	v_add_f32_e32 v78, v1, v2
	ds_read_b128 v[2:5], v28 offset:768
	ds_read_b128 v[6:9], v28 offset:784
	;; [unrolled: 1-line block ×4, first 2 shown]
	v_add_f32_e32 v79, v79, v81
	s_waitcnt vmcnt(18) lgkmcnt(4)
	v_mul_f32_e32 v81, v74, v244
	v_mul_f32_e32 v1, v75, v244
	s_waitcnt vmcnt(11)
	v_mov_b32_e32 v20, v87
	v_fmac_f32_e32 v81, v75, v243
	v_mul_f32_e32 v89, v76, v246
	v_fma_f32 v80, v74, v243, -v1
	v_mul_f32_e32 v1, v77, v246
	s_waitcnt lgkmcnt(3)
	v_pk_mul_f32 v[20:21], v[2:3], v[20:21] op_sel_hi:[1,0]
	v_fmac_f32_e32 v89, v77, v245
	v_fma_f32 v88, v76, v245, -v1
	v_pk_add_f32 v[18:19], v[78:79], v[80:81]
	s_waitcnt vmcnt(10)
	v_pk_fma_f32 v[22:23], v[2:3], v[86:87], v[20:21] op_sel:[0,0,1] op_sel_hi:[1,1,0] neg_lo:[0,0,1] neg_hi:[0,0,1]
	v_pk_fma_f32 v[2:3], v[2:3], v[86:87], v[20:21] op_sel:[0,0,1] op_sel_hi:[1,0,0]
	v_pk_add_f32 v[18:19], v[18:19], v[88:89]
	v_mov_b32_e32 v23, v3
	v_pk_add_f32 v[2:3], v[18:19], v[22:23]
	v_mov_b32_e32 v18, v85
	v_pk_mul_f32 v[18:19], v[4:5], v[18:19] op_sel_hi:[1,0]
	v_pk_fma_f32 v[20:21], v[4:5], v[84:85], v[18:19] op_sel:[0,0,1] op_sel_hi:[1,1,0] neg_lo:[0,0,1] neg_hi:[0,0,1]
	v_pk_fma_f32 v[4:5], v[4:5], v[84:85], v[18:19] op_sel:[0,0,1] op_sel_hi:[1,0,0]
	v_mov_b32_e32 v4, v83
	v_mov_b32_e32 v21, v5
	s_waitcnt lgkmcnt(2)
	v_pk_mul_f32 v[4:5], v[6:7], v[4:5] op_sel_hi:[1,0]
	v_pk_fma_f32 v[18:19], v[6:7], v[82:83], v[4:5] op_sel:[0,0,1] op_sel_hi:[1,1,0] neg_lo:[0,0,1] neg_hi:[0,0,1]
	v_pk_fma_f32 v[4:5], v[6:7], v[82:83], v[4:5] op_sel:[0,0,1] op_sel_hi:[1,0,0]
	s_waitcnt vmcnt(3)
	v_mov_b32_e32 v4, v97
	v_mov_b32_e32 v19, v5
	v_pk_mul_f32 v[4:5], v[8:9], v[4:5] op_sel_hi:[1,0]
	s_waitcnt vmcnt(2)
	v_pk_fma_f32 v[6:7], v[8:9], v[96:97], v[4:5] op_sel:[0,0,1] op_sel_hi:[1,1,0] neg_lo:[0,0,1] neg_hi:[0,0,1]
	v_pk_fma_f32 v[4:5], v[8:9], v[96:97], v[4:5] op_sel:[0,0,1] op_sel_hi:[1,0,0]
	v_pk_add_f32 v[2:3], v[2:3], v[20:21]
	v_mov_b32_e32 v4, v95
	v_pk_add_f32 v[2:3], v[2:3], v[18:19]
	v_mov_b32_e32 v7, v5
	s_waitcnt lgkmcnt(1)
	v_pk_mul_f32 v[4:5], v[10:11], v[4:5] op_sel_hi:[1,0]
	v_pk_add_f32 v[2:3], v[2:3], v[6:7]
	v_pk_fma_f32 v[6:7], v[10:11], v[94:95], v[4:5] op_sel:[0,0,1] op_sel_hi:[1,1,0] neg_lo:[0,0,1] neg_hi:[0,0,1]
	v_pk_fma_f32 v[4:5], v[10:11], v[94:95], v[4:5] op_sel:[0,0,1] op_sel_hi:[1,0,0]
	v_mov_b32_e32 v4, v93
	v_mov_b32_e32 v7, v5
	v_pk_mul_f32 v[4:5], v[12:13], v[4:5] op_sel_hi:[1,0]
	v_pk_add_f32 v[2:3], v[2:3], v[6:7]
	v_pk_fma_f32 v[6:7], v[12:13], v[92:93], v[4:5] op_sel:[0,0,1] op_sel_hi:[1,1,0] neg_lo:[0,0,1] neg_hi:[0,0,1]
	v_pk_fma_f32 v[4:5], v[12:13], v[92:93], v[4:5] op_sel:[0,0,1] op_sel_hi:[1,0,0]
	v_mov_b32_e32 v4, v91
	v_mov_b32_e32 v7, v5
	s_waitcnt lgkmcnt(0)
	v_pk_mul_f32 v[4:5], v[14:15], v[4:5] op_sel_hi:[1,0]
	v_pk_add_f32 v[2:3], v[2:3], v[6:7]
	v_pk_fma_f32 v[6:7], v[14:15], v[90:91], v[4:5] op_sel:[0,0,1] op_sel_hi:[1,1,0] neg_lo:[0,0,1] neg_hi:[0,0,1]
	v_pk_fma_f32 v[4:5], v[14:15], v[90:91], v[4:5] op_sel:[0,0,1] op_sel_hi:[1,0,0]
	s_waitcnt vmcnt(1)
	v_mov_b32_e32 v4, v99
	v_mov_b32_e32 v7, v5
	v_pk_mul_f32 v[4:5], v[16:17], v[4:5] op_sel_hi:[1,0]
	v_pk_add_f32 v[2:3], v[2:3], v[6:7]
	s_waitcnt vmcnt(0)
	v_pk_fma_f32 v[6:7], v[16:17], v[98:99], v[4:5] op_sel:[0,0,1] op_sel_hi:[1,1,0] neg_lo:[0,0,1] neg_hi:[0,0,1]
	v_pk_fma_f32 v[4:5], v[16:17], v[98:99], v[4:5] op_sel:[0,0,1] op_sel_hi:[1,0,0]
	v_mov_b32_e32 v7, v5
	v_pk_add_f32 v[2:3], v[2:3], v[6:7]
	v_pk_add_f32 v[2:3], v[26:27], v[2:3] neg_lo:[0,1] neg_hi:[0,1]
	buffer_store_dword v3, off, s[0:3], 0 offset:60
	buffer_store_dword v2, off, s[0:3], 0 offset:56
	s_and_saveexec_b64 s[4:5], vcc
	s_cbranch_execz .LBB51_313
; %bb.312:
	buffer_load_dword v2, off, s[0:3], 0 offset:48
	buffer_load_dword v3, off, s[0:3], 0 offset:52
	v_mov_b32_e32 v1, 0
	buffer_store_dword v1, off, s[0:3], 0 offset:48
	buffer_store_dword v1, off, s[0:3], 0 offset:52
	s_waitcnt vmcnt(2)
	ds_write_b64 v129, v[2:3]
.LBB51_313:
	s_or_b64 exec, exec, s[4:5]
	v_mov_b32_e32 v206, 0
	s_waitcnt lgkmcnt(0)
	; wave barrier
	s_waitcnt lgkmcnt(0)
	ds_read2_b64 v[2:5], v206 offset0:59 offset1:60
	buffer_load_dword v78, off, s[0:3], 0 offset:48
	buffer_load_dword v79, off, s[0:3], 0 offset:52
	;; [unrolled: 1-line block ×16, first 2 shown]
	v_cmp_lt_u32_e32 vcc, 5, v0
	s_waitcnt vmcnt(12) lgkmcnt(0)
	v_mul_f32_e32 v1, v2, v207
	v_fmac_f32_e32 v1, v3, v80
	s_waitcnt vmcnt(10)
	v_mul_f32_e32 v6, v4, v209
	v_add_f32_e32 v1, 0, v1
	v_fmac_f32_e32 v6, v5, v82
	v_add_f32_e32 v1, v1, v6
	ds_read2_b64 v[6:9], v206 offset0:61 offset1:62
	v_mul_f32_e32 v3, v3, v207
	v_fma_f32 v2, v2, v80, -v3
	v_mul_f32_e32 v3, v5, v209
	v_add_f32_e32 v2, 0, v2
	s_waitcnt vmcnt(8) lgkmcnt(0)
	v_mul_f32_e32 v10, v6, v211
	v_fmac_f32_e32 v10, v7, v190
	v_add_f32_e32 v1, v1, v10
	s_waitcnt vmcnt(6)
	v_mul_f32_e32 v10, v8, v213
	v_fmac_f32_e32 v10, v9, v208
	v_add_f32_e32 v1, v1, v10
	ds_read2_b64 v[10:13], v206 offset0:63 offset1:64
	v_fma_f32 v3, v4, v82, -v3
	v_add_f32_e32 v2, v2, v3
	v_mul_f32_e32 v3, v7, v211
	v_fma_f32 v3, v6, v190, -v3
	s_waitcnt vmcnt(4) lgkmcnt(0)
	v_mul_f32_e32 v14, v10, v215
	v_fmac_f32_e32 v14, v11, v210
	v_add_f32_e32 v1, v1, v14
	s_waitcnt vmcnt(2)
	v_mul_f32_e32 v14, v12, v216
	v_fmac_f32_e32 v14, v13, v212
	v_add_f32_e32 v1, v1, v14
	ds_read2_b64 v[14:17], v206 offset0:65 offset1:66
	buffer_load_dword v218, off, s[0:3], 0 offset:112
	buffer_load_dword v219, off, s[0:3], 0 offset:116
	v_add_f32_e32 v2, v2, v3
	v_mul_f32_e32 v3, v9, v213
	v_fma_f32 v3, v8, v208, -v3
	s_waitcnt vmcnt(2) lgkmcnt(0)
	v_mul_f32_e32 v18, v14, v217
	v_fmac_f32_e32 v18, v15, v214
	v_add_f32_e32 v1, v1, v18
	v_add_f32_e32 v2, v2, v3
	v_mul_f32_e32 v3, v11, v215
	v_fma_f32 v3, v10, v210, -v3
	v_add_f32_e32 v2, v2, v3
	v_mul_f32_e32 v3, v13, v216
	v_fma_f32 v3, v12, v212, -v3
	;; [unrolled: 3-line block ×3, first 2 shown]
	v_add_f32_e32 v2, v2, v3
	s_waitcnt vmcnt(0)
	v_mul_f32_e32 v18, v16, v219
	v_fmac_f32_e32 v18, v17, v218
	v_add_f32_e32 v1, v1, v18
	ds_read2_b64 v[18:21], v206 offset0:67 offset1:68
	buffer_load_dword v220, off, s[0:3], 0 offset:120
	buffer_load_dword v221, off, s[0:3], 0 offset:124
	buffer_load_dword v222, off, s[0:3], 0 offset:128
	buffer_load_dword v223, off, s[0:3], 0 offset:132
	v_mul_f32_e32 v3, v17, v219
	v_fma_f32 v3, v16, v218, -v3
	v_add_f32_e32 v2, v2, v3
	s_waitcnt vmcnt(2) lgkmcnt(0)
	v_mul_f32_e32 v22, v18, v221
	v_fmac_f32_e32 v22, v19, v220
	v_add_f32_e32 v1, v1, v22
	s_waitcnt vmcnt(0)
	v_mul_f32_e32 v22, v20, v223
	v_fmac_f32_e32 v22, v21, v222
	v_add_f32_e32 v1, v1, v22
	ds_read2_b64 v[22:25], v206 offset0:69 offset1:70
	buffer_load_dword v224, off, s[0:3], 0 offset:136
	buffer_load_dword v225, off, s[0:3], 0 offset:140
	;; [unrolled: 1-line block ×4, first 2 shown]
	ds_read2_b64 v[30:33], v206 offset0:71 offset1:72
	buffer_load_dword v228, off, s[0:3], 0 offset:152
	buffer_load_dword v229, off, s[0:3], 0 offset:156
	;; [unrolled: 1-line block ×4, first 2 shown]
	ds_read2_b64 v[34:37], v206 offset0:73 offset1:74
	v_mul_f32_e32 v3, v19, v221
	v_fma_f32 v3, v18, v220, -v3
	v_add_f32_e32 v2, v2, v3
	v_mul_f32_e32 v3, v21, v223
	v_fma_f32 v3, v20, v222, -v3
	v_add_f32_e32 v2, v2, v3
	s_waitcnt vmcnt(6) lgkmcnt(2)
	v_mul_f32_e32 v26, v22, v225
	v_fmac_f32_e32 v26, v23, v224
	v_add_f32_e32 v1, v1, v26
	s_waitcnt vmcnt(4)
	v_mul_f32_e32 v26, v24, v227
	v_fmac_f32_e32 v26, v25, v226
	v_add_f32_e32 v1, v1, v26
	s_waitcnt vmcnt(2) lgkmcnt(1)
	v_mul_f32_e32 v26, v30, v229
	v_fmac_f32_e32 v26, v31, v228
	v_add_f32_e32 v1, v1, v26
	s_waitcnt vmcnt(0)
	v_mul_f32_e32 v26, v32, v231
	v_fmac_f32_e32 v26, v33, v230
	v_add_f32_e32 v26, v1, v26
	buffer_load_dword v1, off, s[0:3], 0 offset:168
	buffer_load_dword v86, off, s[0:3], 0 offset:172
	buffer_load_dword v87, off, s[0:3], 0 offset:176
	buffer_load_dword v232, off, s[0:3], 0 offset:180
	ds_read2_b64 v[38:41], v206 offset0:75 offset1:76
	buffer_load_dword v233, off, s[0:3], 0 offset:184
	buffer_load_dword v234, off, s[0:3], 0 offset:188
	buffer_load_dword v235, off, s[0:3], 0 offset:192
	buffer_load_dword v236, off, s[0:3], 0 offset:196
	ds_read2_b64 v[42:45], v206 offset0:77 offset1:78
	;; [unrolled: 5-line block ×10, first 2 shown]
	buffer_load_dword v247, off, s[0:3], 0 offset:328
	buffer_load_dword v248, off, s[0:3], 0 offset:332
	;; [unrolled: 1-line block ×4, first 2 shown]
	v_mul_f32_e32 v3, v23, v225
	v_fma_f32 v3, v22, v224, -v3
	v_add_f32_e32 v2, v2, v3
	v_mul_f32_e32 v3, v25, v227
	v_fma_f32 v3, v24, v226, -v3
	v_add_f32_e32 v2, v2, v3
	;; [unrolled: 3-line block ×4, first 2 shown]
	s_waitcnt vmcnt(42) lgkmcnt(10)
	v_mul_f32_e32 v27, v34, v86
	v_fmac_f32_e32 v27, v35, v1
	v_add_f32_e32 v26, v26, v27
	s_waitcnt vmcnt(40)
	v_mul_f32_e32 v27, v36, v232
	v_fmac_f32_e32 v27, v37, v87
	v_add_f32_e32 v26, v26, v27
	s_waitcnt vmcnt(38) lgkmcnt(9)
	v_mul_f32_e32 v27, v38, v234
	v_fmac_f32_e32 v27, v39, v233
	v_add_f32_e32 v26, v26, v27
	s_waitcnt vmcnt(36)
	v_mul_f32_e32 v27, v40, v236
	v_fmac_f32_e32 v27, v41, v235
	v_add_f32_e32 v26, v26, v27
	;; [unrolled: 8-line block ×10, first 2 shown]
	s_waitcnt vmcnt(2) lgkmcnt(0)
	v_mul_f32_e32 v27, v74, v248
	v_fmac_f32_e32 v27, v75, v247
	v_add_f32_e32 v81, v26, v27
	ds_read2_b64 v[26:29], v206 offset0:95 offset1:96
	buffer_load_dword v251, off, s[0:3], 0 offset:344
	buffer_load_dword v252, off, s[0:3], 0 offset:348
	;; [unrolled: 1-line block ×18, first 2 shown]
	v_mul_f32_e32 v3, v35, v86
	v_fma_f32 v1, v34, v1, -v3
	v_add_f32_e32 v1, v2, v1
	v_mul_f32_e32 v2, v37, v232
	v_fma_f32 v2, v36, v87, -v2
	v_add_f32_e32 v1, v1, v2
	;; [unrolled: 3-line block ×20, first 2 shown]
	v_mul_f32_e32 v2, v75, v248
	v_fma_f32 v2, v74, v247, -v2
	s_waitcnt vmcnt(18)
	v_mul_f32_e32 v83, v76, v250
	v_add_f32_e32 v80, v1, v2
	s_waitcnt vmcnt(15)
	v_mov_b32_e32 v18, v85
	v_mul_f32_e32 v1, v77, v250
	s_waitcnt lgkmcnt(0)
	v_pk_mul_f32 v[18:19], v[28:29], v[18:19] op_sel_hi:[1,0]
	v_fmac_f32_e32 v83, v77, v249
	v_fma_f32 v82, v76, v249, -v1
	ds_read2_b64 v[2:5], v206 offset0:97 offset1:98
	ds_read2_b64 v[6:9], v206 offset0:99 offset1:100
	;; [unrolled: 1-line block ×3, first 2 shown]
	ds_read_b64 v[14:15], v206 offset:824
	s_waitcnt vmcnt(14)
	v_pk_fma_f32 v[20:21], v[28:29], v[84:85], v[18:19] op_sel:[0,0,1] op_sel_hi:[1,1,0] neg_lo:[0,0,1] neg_hi:[0,0,1]
	v_pk_fma_f32 v[18:19], v[28:29], v[84:85], v[18:19] op_sel:[0,0,1] op_sel_hi:[1,0,0]
	v_pk_add_f32 v[16:17], v[80:81], v[82:83]
	s_waitcnt vmcnt(13)
	v_mov_b32_e32 v18, v205
	v_mov_b32_e32 v21, v19
	s_waitcnt lgkmcnt(3)
	v_pk_mul_f32 v[18:19], v[2:3], v[18:19] op_sel_hi:[1,0]
	v_mul_f32_e32 v191, v26, v252
	v_mul_f32_e32 v1, v27, v252
	v_fmac_f32_e32 v191, v27, v251
	v_fma_f32 v190, v26, v251, -v1
	v_pk_add_f32 v[16:17], v[16:17], v[190:191]
	v_pk_add_f32 v[16:17], v[16:17], v[20:21]
	s_waitcnt vmcnt(12)
	v_pk_fma_f32 v[20:21], v[2:3], v[204:205], v[18:19] op_sel:[0,0,1] op_sel_hi:[1,1,0] neg_lo:[0,0,1] neg_hi:[0,0,1]
	v_pk_fma_f32 v[2:3], v[2:3], v[204:205], v[18:19] op_sel:[0,0,1] op_sel_hi:[1,0,0]
	v_mov_b32_e32 v21, v3
	v_pk_add_f32 v[2:3], v[16:17], v[20:21]
	s_waitcnt vmcnt(11)
	v_mov_b32_e32 v16, v203
	v_pk_mul_f32 v[16:17], v[4:5], v[16:17] op_sel_hi:[1,0]
	s_waitcnt vmcnt(10)
	v_pk_fma_f32 v[18:19], v[4:5], v[202:203], v[16:17] op_sel:[0,0,1] op_sel_hi:[1,1,0] neg_lo:[0,0,1] neg_hi:[0,0,1]
	v_pk_fma_f32 v[4:5], v[4:5], v[202:203], v[16:17] op_sel:[0,0,1] op_sel_hi:[1,0,0]
	s_waitcnt vmcnt(9)
	v_mov_b32_e32 v4, v201
	v_mov_b32_e32 v19, v5
	s_waitcnt lgkmcnt(2)
	v_pk_mul_f32 v[4:5], v[6:7], v[4:5] op_sel_hi:[1,0]
	s_waitcnt vmcnt(8)
	v_pk_fma_f32 v[16:17], v[6:7], v[200:201], v[4:5] op_sel:[0,0,1] op_sel_hi:[1,1,0] neg_lo:[0,0,1] neg_hi:[0,0,1]
	v_pk_fma_f32 v[4:5], v[6:7], v[200:201], v[4:5] op_sel:[0,0,1] op_sel_hi:[1,0,0]
	s_waitcnt vmcnt(7)
	v_mov_b32_e32 v4, v199
	v_mov_b32_e32 v17, v5
	v_pk_mul_f32 v[4:5], v[8:9], v[4:5] op_sel_hi:[1,0]
	s_waitcnt vmcnt(6)
	v_pk_fma_f32 v[6:7], v[8:9], v[198:199], v[4:5] op_sel:[0,0,1] op_sel_hi:[1,1,0] neg_lo:[0,0,1] neg_hi:[0,0,1]
	v_pk_fma_f32 v[4:5], v[8:9], v[198:199], v[4:5] op_sel:[0,0,1] op_sel_hi:[1,0,0]
	v_pk_add_f32 v[2:3], v[2:3], v[18:19]
	s_waitcnt vmcnt(5)
	v_mov_b32_e32 v4, v197
	v_pk_add_f32 v[2:3], v[2:3], v[16:17]
	v_mov_b32_e32 v7, v5
	s_waitcnt lgkmcnt(1)
	v_pk_mul_f32 v[4:5], v[10:11], v[4:5] op_sel_hi:[1,0]
	v_pk_add_f32 v[2:3], v[2:3], v[6:7]
	s_waitcnt vmcnt(4)
	v_pk_fma_f32 v[6:7], v[10:11], v[196:197], v[4:5] op_sel:[0,0,1] op_sel_hi:[1,1,0] neg_lo:[0,0,1] neg_hi:[0,0,1]
	v_pk_fma_f32 v[4:5], v[10:11], v[196:197], v[4:5] op_sel:[0,0,1] op_sel_hi:[1,0,0]
	s_waitcnt vmcnt(3)
	v_mov_b32_e32 v4, v195
	v_mov_b32_e32 v7, v5
	v_pk_mul_f32 v[4:5], v[12:13], v[4:5] op_sel_hi:[1,0]
	v_pk_add_f32 v[2:3], v[2:3], v[6:7]
	s_waitcnt vmcnt(2)
	v_pk_fma_f32 v[6:7], v[12:13], v[194:195], v[4:5] op_sel:[0,0,1] op_sel_hi:[1,1,0] neg_lo:[0,0,1] neg_hi:[0,0,1]
	v_pk_fma_f32 v[4:5], v[12:13], v[194:195], v[4:5] op_sel:[0,0,1] op_sel_hi:[1,0,0]
	s_waitcnt vmcnt(1)
	v_mov_b32_e32 v4, v193
	v_mov_b32_e32 v7, v5
	s_waitcnt lgkmcnt(0)
	v_pk_mul_f32 v[4:5], v[14:15], v[4:5] op_sel_hi:[1,0]
	v_pk_add_f32 v[2:3], v[2:3], v[6:7]
	s_waitcnt vmcnt(0)
	v_pk_fma_f32 v[6:7], v[14:15], v[192:193], v[4:5] op_sel:[0,0,1] op_sel_hi:[1,1,0] neg_lo:[0,0,1] neg_hi:[0,0,1]
	v_pk_fma_f32 v[4:5], v[14:15], v[192:193], v[4:5] op_sel:[0,0,1] op_sel_hi:[1,0,0]
	v_mov_b32_e32 v7, v5
	v_pk_add_f32 v[2:3], v[2:3], v[6:7]
	v_pk_add_f32 v[2:3], v[78:79], v[2:3] neg_lo:[0,1] neg_hi:[0,1]
	buffer_store_dword v3, off, s[0:3], 0 offset:52
	buffer_store_dword v2, off, s[0:3], 0 offset:48
	s_and_saveexec_b64 s[4:5], vcc
	s_cbranch_execz .LBB51_315
; %bb.314:
	buffer_load_dword v2, off, s[0:3], 0 offset:40
	buffer_load_dword v3, off, s[0:3], 0 offset:44
	s_waitcnt vmcnt(0)
	ds_write_b64 v129, v[2:3]
	buffer_store_dword v206, off, s[0:3], 0 offset:40
	buffer_store_dword v206, off, s[0:3], 0 offset:44
.LBB51_315:
	s_or_b64 exec, exec, s[4:5]
	s_waitcnt lgkmcnt(0)
	; wave barrier
	s_waitcnt lgkmcnt(0)
	buffer_load_dword v1, off, s[0:3], 0 offset:52
	buffer_load_dword v86, off, s[0:3], 0 offset:60
	;; [unrolled: 1-line block ×32, first 2 shown]
	ds_read_b128 v[22:25], v206 offset:464
	ds_read_b128 v[18:21], v206 offset:480
	;; [unrolled: 1-line block ×6, first 2 shown]
	buffer_load_dword v213, off, s[0:3], 0 offset:168
	buffer_load_dword v214, off, s[0:3], 0 offset:172
	buffer_load_dword v215, off, s[0:3], 0 offset:176
	buffer_load_dword v216, off, s[0:3], 0 offset:180
	buffer_load_dword v217, off, s[0:3], 0 offset:184
	buffer_load_dword v218, off, s[0:3], 0 offset:188
	buffer_load_dword v219, off, s[0:3], 0 offset:192
	buffer_load_dword v220, off, s[0:3], 0 offset:196
	buffer_load_dword v221, off, s[0:3], 0 offset:200
	buffer_load_dword v222, off, s[0:3], 0 offset:204
	buffer_load_dword v223, off, s[0:3], 0 offset:208
	buffer_load_dword v224, off, s[0:3], 0 offset:212
	buffer_load_dword v225, off, s[0:3], 0 offset:216
	buffer_load_dword v226, off, s[0:3], 0 offset:220
	buffer_load_dword v227, off, s[0:3], 0 offset:224
	buffer_load_dword v228, off, s[0:3], 0 offset:228
	buffer_load_dword v229, off, s[0:3], 0 offset:232
	buffer_load_dword v230, off, s[0:3], 0 offset:236
	buffer_load_dword v231, off, s[0:3], 0 offset:240
	buffer_load_dword v232, off, s[0:3], 0 offset:244
	buffer_load_dword v233, off, s[0:3], 0 offset:248
	buffer_load_dword v234, off, s[0:3], 0 offset:252
	buffer_load_dword v235, off, s[0:3], 0 offset:256
	buffer_load_dword v236, off, s[0:3], 0 offset:260
	buffer_load_dword v237, off, s[0:3], 0 offset:264
	buffer_load_dword v238, off, s[0:3], 0 offset:268
	buffer_load_dword v239, off, s[0:3], 0 offset:272
	buffer_load_dword v240, off, s[0:3], 0 offset:276
	buffer_load_dword v241, off, s[0:3], 0 offset:280
	buffer_load_dword v242, off, s[0:3], 0 offset:284
	buffer_load_dword v243, off, s[0:3], 0 offset:288
	buffer_load_dword v244, off, s[0:3], 0 offset:292
	v_cmp_lt_u32_e32 vcc, 4, v0
	s_waitcnt vmcnt(62) lgkmcnt(5)
	v_mul_f32_e32 v28, v22, v1
	v_mul_f32_e32 v29, v24, v86
	s_waitcnt vmcnt(61) lgkmcnt(4)
	v_mul_f32_e32 v31, v20, v88
	s_waitcnt vmcnt(60) lgkmcnt(3)
	v_mul_f32_e32 v32, v14, v90
	s_waitcnt vmcnt(59)
	v_mul_f32_e32 v33, v16, v106
	s_waitcnt vmcnt(58)
	v_mul_f32_e32 v30, v18, v107
	s_waitcnt vmcnt(57) lgkmcnt(2)
	v_mul_f32_e32 v34, v10, v108
	s_waitcnt vmcnt(56)
	v_mul_f32_e32 v35, v12, v109
	s_waitcnt vmcnt(55) lgkmcnt(1)
	v_mul_f32_e32 v36, v6, v190
	s_waitcnt vmcnt(54)
	v_mul_f32_e32 v37, v8, v191
	s_waitcnt vmcnt(53)
	v_fmac_f32_e32 v30, v19, v192
	s_waitcnt vmcnt(52)
	v_fmac_f32_e32 v29, v25, v193
	s_waitcnt vmcnt(51)
	v_fmac_f32_e32 v28, v23, v194
	v_add_f32_e32 v28, 0, v28
	v_add_f32_e32 v28, v28, v29
	;; [unrolled: 1-line block ×3, first 2 shown]
	s_waitcnt vmcnt(47)
	v_fmac_f32_e32 v31, v21, v198
	v_fmac_f32_e32 v32, v15, v197
	v_add_f32_e32 v28, v28, v31
	v_fmac_f32_e32 v33, v17, v196
	v_add_f32_e32 v28, v28, v32
	;; [unrolled: 2-line block ×3, first 2 shown]
	s_waitcnt vmcnt(43)
	v_fmac_f32_e32 v35, v13, v202
	v_add_f32_e32 v28, v28, v34
	v_fmac_f32_e32 v36, v7, v201
	v_add_f32_e32 v28, v28, v35
	;; [unrolled: 2-line block ×3, first 2 shown]
	s_waitcnt vmcnt(42) lgkmcnt(0)
	v_mul_f32_e32 v29, v2, v203
	v_add_f32_e32 v28, v28, v37
	v_fmac_f32_e32 v29, v3, v199
	v_add_f32_e32 v32, v28, v29
	ds_read_b128 v[28:31], v206 offset:560
	buffer_load_dword v245, off, s[0:3], 0 offset:296
	buffer_load_dword v246, off, s[0:3], 0 offset:300
	s_waitcnt vmcnt(43)
	v_mul_f32_e32 v33, v4, v204
	s_waitcnt vmcnt(36)
	v_fmac_f32_e32 v33, v5, v212
	v_add_f32_e32 v36, v32, v33
	ds_read_b128 v[32:35], v206 offset:576
	buffer_load_dword v247, off, s[0:3], 0 offset:304
	buffer_load_dword v248, off, s[0:3], 0 offset:308
	;; [unrolled: 1-line block ×8, first 2 shown]
	s_waitcnt lgkmcnt(1)
	v_mul_f32_e32 v37, v28, v207
	v_fmac_f32_e32 v37, v29, v205
	v_add_f32_e32 v36, v36, v37
	v_mul_f32_e32 v37, v30, v209
	v_fmac_f32_e32 v37, v31, v208
	v_add_f32_e32 v36, v36, v37
	s_waitcnt lgkmcnt(0)
	v_mul_f32_e32 v37, v32, v211
	v_fmac_f32_e32 v37, v33, v210
	v_add_f32_e32 v40, v36, v37
	buffer_load_dword v255, off, s[0:3], 0 offset:336
	buffer_load_dword v110, off, s[0:3], 0 offset:340
	;; [unrolled: 1-line block ×4, first 2 shown]
	ds_read_b128 v[36:39], v206 offset:592
	s_waitcnt vmcnt(44)
	v_mul_f32_e32 v41, v34, v214
	v_fmac_f32_e32 v41, v35, v213
	v_add_f32_e32 v44, v40, v41
	ds_read_b128 v[40:43], v206 offset:608
	s_waitcnt vmcnt(42) lgkmcnt(1)
	v_mul_f32_e32 v45, v36, v216
	v_fmac_f32_e32 v45, v37, v215
	v_add_f32_e32 v44, v44, v45
	s_waitcnt vmcnt(40)
	v_mul_f32_e32 v45, v38, v218
	v_fmac_f32_e32 v45, v39, v217
	v_add_f32_e32 v44, v44, v45
	s_waitcnt vmcnt(38) lgkmcnt(0)
	v_mul_f32_e32 v45, v40, v220
	v_fmac_f32_e32 v45, v41, v219
	v_add_f32_e32 v48, v44, v45
	ds_read_b128 v[44:47], v206 offset:624
	s_waitcnt vmcnt(36)
	v_mul_f32_e32 v49, v42, v222
	v_fmac_f32_e32 v49, v43, v221
	v_add_f32_e32 v52, v48, v49
	ds_read_b128 v[48:51], v206 offset:640
	s_waitcnt vmcnt(34) lgkmcnt(1)
	v_mul_f32_e32 v53, v44, v224
	v_fmac_f32_e32 v53, v45, v223
	v_add_f32_e32 v52, v52, v53
	s_waitcnt vmcnt(32)
	v_mul_f32_e32 v53, v46, v226
	v_fmac_f32_e32 v53, v47, v225
	v_add_f32_e32 v52, v52, v53
	s_waitcnt vmcnt(30) lgkmcnt(0)
	v_mul_f32_e32 v53, v48, v228
	v_fmac_f32_e32 v53, v49, v227
	v_add_f32_e32 v56, v52, v53
	;; [unrolled: 18-line block ×4, first 2 shown]
	ds_read_b128 v[68:71], v206 offset:720
	v_mul_f32_e32 v1, v23, v1
	v_fma_f32 v1, v22, v194, -v1
	v_mul_f32_e32 v22, v25, v86
	v_add_f32_e32 v1, 0, v1
	s_waitcnt vmcnt(12)
	v_mul_f32_e32 v73, v66, v246
	v_fmac_f32_e32 v73, v67, v245
	v_add_f32_e32 v76, v72, v73
	ds_read_b128 v[72:75], v206 offset:736
	buffer_load_dword v85, off, s[0:3], 0 offset:356
	buffer_load_dword v84, off, s[0:3], 0 offset:352
	s_waitcnt vmcnt(12) lgkmcnt(1)
	v_mul_f32_e32 v77, v68, v248
	v_fmac_f32_e32 v77, v69, v247
	v_add_f32_e32 v76, v76, v77
	s_waitcnt vmcnt(10)
	v_mul_f32_e32 v77, v70, v250
	v_fmac_f32_e32 v77, v71, v249
	v_add_f32_e32 v76, v76, v77
	s_waitcnt vmcnt(8) lgkmcnt(0)
	v_mul_f32_e32 v77, v72, v252
	v_fmac_f32_e32 v77, v73, v251
	s_waitcnt vmcnt(6)
	v_mul_f32_e32 v81, v74, v254
	v_add_f32_e32 v80, v76, v77
	v_fmac_f32_e32 v81, v75, v253
	ds_read_b128 v[76:79], v206 offset:752
	v_add_f32_e32 v87, v80, v81
	ds_read_b128 v[80:83], v206 offset:768
	buffer_load_dword v93, off, s[0:3], 0 offset:388
	buffer_load_dword v92, off, s[0:3], 0 offset:384
	;; [unrolled: 1-line block ×14, first 2 shown]
	v_fma_f32 v22, v24, v193, -v22
	v_mul_f32_e32 v19, v19, v107
	v_add_f32_e32 v1, v1, v22
	v_fma_f32 v18, v18, v192, -v19
	v_add_f32_e32 v1, v1, v18
	v_mul_f32_e32 v18, v21, v88
	v_fma_f32 v18, v20, v198, -v18
	v_mul_f32_e32 v15, v15, v90
	v_add_f32_e32 v1, v1, v18
	v_fma_f32 v14, v14, v197, -v15
	v_add_f32_e32 v1, v1, v14
	v_mul_f32_e32 v14, v17, v106
	;; [unrolled: 6-line block ×5, first 2 shown]
	v_fma_f32 v2, v4, v212, -v2
	v_add_f32_e32 v1, v1, v2
	v_mul_f32_e32 v2, v29, v207
	v_fma_f32 v2, v28, v205, -v2
	v_add_f32_e32 v1, v1, v2
	v_mul_f32_e32 v2, v31, v209
	;; [unrolled: 3-line block ×24, first 2 shown]
	v_fma_f32 v2, v74, v253, -v2
	s_waitcnt vmcnt(15)
	v_mov_b32_e32 v16, v85
	s_waitcnt lgkmcnt(1)
	v_mul_f32_e32 v89, v76, v110
	v_add_f32_e32 v86, v1, v2
	v_mul_f32_e32 v1, v77, v110
	s_waitcnt lgkmcnt(0)
	v_pk_mul_f32 v[16:17], v[80:81], v[16:17] op_sel_hi:[1,0]
	v_fmac_f32_e32 v89, v77, v255
	v_mul_f32_e32 v91, v78, v112
	v_fma_f32 v88, v76, v255, -v1
	v_mul_f32_e32 v1, v79, v112
	s_waitcnt vmcnt(14)
	v_pk_fma_f32 v[18:19], v[80:81], v[84:85], v[16:17] op_sel:[0,0,1] op_sel_hi:[1,1,0] neg_lo:[0,0,1] neg_hi:[0,0,1]
	v_pk_fma_f32 v[16:17], v[80:81], v[84:85], v[16:17] op_sel:[0,0,1] op_sel_hi:[1,0,0]
	v_fmac_f32_e32 v91, v79, v111
	v_fma_f32 v90, v78, v111, -v1
	v_pk_add_f32 v[14:15], v[86:87], v[88:89]
	s_waitcnt vmcnt(7)
	v_mov_b32_e32 v16, v99
	ds_read_b128 v[2:5], v206 offset:784
	ds_read_b128 v[6:9], v206 offset:800
	;; [unrolled: 1-line block ×3, first 2 shown]
	v_pk_add_f32 v[14:15], v[14:15], v[90:91]
	v_mov_b32_e32 v19, v17
	v_pk_mul_f32 v[16:17], v[82:83], v[16:17] op_sel_hi:[1,0]
	v_pk_add_f32 v[14:15], v[14:15], v[18:19]
	s_waitcnt vmcnt(6)
	v_pk_fma_f32 v[18:19], v[82:83], v[98:99], v[16:17] op_sel:[0,0,1] op_sel_hi:[1,1,0] neg_lo:[0,0,1] neg_hi:[0,0,1]
	v_pk_fma_f32 v[16:17], v[82:83], v[98:99], v[16:17] op_sel:[0,0,1] op_sel_hi:[1,0,0]
	v_mov_b32_e32 v16, v97
	v_mov_b32_e32 v19, v17
	s_waitcnt lgkmcnt(2)
	v_pk_mul_f32 v[16:17], v[2:3], v[16:17] op_sel_hi:[1,0]
	v_pk_add_f32 v[14:15], v[14:15], v[18:19]
	v_pk_fma_f32 v[18:19], v[2:3], v[96:97], v[16:17] op_sel:[0,0,1] op_sel_hi:[1,1,0] neg_lo:[0,0,1] neg_hi:[0,0,1]
	v_pk_fma_f32 v[2:3], v[2:3], v[96:97], v[16:17] op_sel:[0,0,1] op_sel_hi:[1,0,0]
	v_mov_b32_e32 v19, v3
	v_pk_add_f32 v[2:3], v[14:15], v[18:19]
	v_mov_b32_e32 v14, v95
	v_pk_mul_f32 v[14:15], v[4:5], v[14:15] op_sel_hi:[1,0]
	v_pk_fma_f32 v[16:17], v[4:5], v[94:95], v[14:15] op_sel:[0,0,1] op_sel_hi:[1,1,0] neg_lo:[0,0,1] neg_hi:[0,0,1]
	v_pk_fma_f32 v[4:5], v[4:5], v[94:95], v[14:15] op_sel:[0,0,1] op_sel_hi:[1,0,0]
	v_mov_b32_e32 v4, v93
	v_mov_b32_e32 v17, v5
	s_waitcnt lgkmcnt(1)
	v_pk_mul_f32 v[4:5], v[6:7], v[4:5] op_sel_hi:[1,0]
	v_pk_fma_f32 v[14:15], v[6:7], v[92:93], v[4:5] op_sel:[0,0,1] op_sel_hi:[1,1,0] neg_lo:[0,0,1] neg_hi:[0,0,1]
	v_pk_fma_f32 v[4:5], v[6:7], v[92:93], v[4:5] op_sel:[0,0,1] op_sel_hi:[1,0,0]
	s_waitcnt vmcnt(1)
	v_mov_b32_e32 v4, v105
	v_mov_b32_e32 v15, v5
	v_pk_mul_f32 v[4:5], v[8:9], v[4:5] op_sel_hi:[1,0]
	s_waitcnt vmcnt(0)
	v_pk_fma_f32 v[6:7], v[8:9], v[104:105], v[4:5] op_sel:[0,0,1] op_sel_hi:[1,1,0] neg_lo:[0,0,1] neg_hi:[0,0,1]
	v_pk_fma_f32 v[4:5], v[8:9], v[104:105], v[4:5] op_sel:[0,0,1] op_sel_hi:[1,0,0]
	v_pk_add_f32 v[2:3], v[2:3], v[16:17]
	v_mov_b32_e32 v4, v103
	v_pk_add_f32 v[2:3], v[2:3], v[14:15]
	v_mov_b32_e32 v7, v5
	s_waitcnt lgkmcnt(0)
	v_pk_mul_f32 v[4:5], v[10:11], v[4:5] op_sel_hi:[1,0]
	v_pk_add_f32 v[2:3], v[2:3], v[6:7]
	v_pk_fma_f32 v[6:7], v[10:11], v[102:103], v[4:5] op_sel:[0,0,1] op_sel_hi:[1,1,0] neg_lo:[0,0,1] neg_hi:[0,0,1]
	v_pk_fma_f32 v[4:5], v[10:11], v[102:103], v[4:5] op_sel:[0,0,1] op_sel_hi:[1,0,0]
	v_mov_b32_e32 v4, v101
	v_mov_b32_e32 v7, v5
	v_pk_mul_f32 v[4:5], v[12:13], v[4:5] op_sel_hi:[1,0]
	v_pk_add_f32 v[2:3], v[2:3], v[6:7]
	v_pk_fma_f32 v[6:7], v[12:13], v[100:101], v[4:5] op_sel:[0,0,1] op_sel_hi:[1,1,0] neg_lo:[0,0,1] neg_hi:[0,0,1]
	v_pk_fma_f32 v[4:5], v[12:13], v[100:101], v[4:5] op_sel:[0,0,1] op_sel_hi:[1,0,0]
	v_mov_b32_e32 v7, v5
	v_pk_add_f32 v[2:3], v[2:3], v[6:7]
	v_pk_add_f32 v[2:3], v[26:27], v[2:3] neg_lo:[0,1] neg_hi:[0,1]
	buffer_store_dword v3, off, s[0:3], 0 offset:44
	buffer_store_dword v2, off, s[0:3], 0 offset:40
	s_and_saveexec_b64 s[4:5], vcc
	s_cbranch_execz .LBB51_317
; %bb.316:
	buffer_load_dword v2, off, s[0:3], 0 offset:32
	buffer_load_dword v3, off, s[0:3], 0 offset:36
	v_mov_b32_e32 v1, 0
	buffer_store_dword v1, off, s[0:3], 0 offset:32
	buffer_store_dword v1, off, s[0:3], 0 offset:36
	s_waitcnt vmcnt(2)
	ds_write_b64 v129, v[2:3]
.LBB51_317:
	s_or_b64 exec, exec, s[4:5]
	s_waitcnt lgkmcnt(0)
	; wave barrier
	s_waitcnt lgkmcnt(0)
	buffer_load_dword v32, off, s[0:3], 0 offset:44
	buffer_load_dword v31, off, s[0:3], 0 offset:52
	;; [unrolled: 1-line block ×48, first 2 shown]
	v_mov_b32_e32 v36, 0
	ds_read2_b64 v[22:25], v36 offset0:57 offset1:58
	ds_read2_b64 v[18:21], v36 offset0:59 offset1:60
	;; [unrolled: 1-line block ×6, first 2 shown]
	buffer_load_dword v225, off, s[0:3], 0 offset:224
	buffer_load_dword v226, off, s[0:3], 0 offset:228
	;; [unrolled: 1-line block ×12, first 2 shown]
	v_cmp_lt_u32_e32 vcc, 3, v0
	s_waitcnt vmcnt(59) lgkmcnt(5)
	v_mul_f32_e32 v35, v22, v32
	s_waitcnt vmcnt(58)
	v_mul_f32_e32 v38, v24, v31
	s_waitcnt vmcnt(57) lgkmcnt(4)
	v_mul_f32_e32 v40, v20, v30
	s_waitcnt vmcnt(56) lgkmcnt(3)
	v_mul_f32_e32 v41, v14, v29
	s_waitcnt vmcnt(55)
	v_mul_f32_e32 v42, v16, v1
	s_waitcnt vmcnt(54)
	v_mul_f32_e32 v39, v18, v33
	s_waitcnt vmcnt(53) lgkmcnt(2)
	v_mul_f32_e32 v43, v10, v28
	s_waitcnt vmcnt(52)
	v_mul_f32_e32 v44, v12, v34
	s_waitcnt vmcnt(51) lgkmcnt(1)
	v_mul_f32_e32 v45, v6, v37
	s_waitcnt vmcnt(50)
	v_mul_f32_e32 v46, v8, v94
	s_waitcnt vmcnt(49)
	v_fmac_f32_e32 v39, v19, v96
	s_waitcnt vmcnt(48)
	v_fmac_f32_e32 v38, v25, v110
	;; [unrolled: 2-line block ×3, first 2 shown]
	v_add_f32_e32 v35, 0, v35
	v_add_f32_e32 v35, v35, v38
	v_add_f32_e32 v35, v35, v39
	s_waitcnt vmcnt(43)
	v_fmac_f32_e32 v40, v21, v195
	v_fmac_f32_e32 v41, v15, v194
	v_add_f32_e32 v35, v35, v40
	v_fmac_f32_e32 v42, v17, v113
	v_add_f32_e32 v35, v35, v41
	;; [unrolled: 2-line block ×3, first 2 shown]
	s_waitcnt vmcnt(39)
	v_fmac_f32_e32 v44, v13, v199
	v_add_f32_e32 v35, v35, v43
	v_fmac_f32_e32 v45, v7, v198
	v_add_f32_e32 v35, v35, v44
	;; [unrolled: 2-line block ×3, first 2 shown]
	s_waitcnt vmcnt(38) lgkmcnt(0)
	v_mul_f32_e32 v38, v2, v200
	v_add_f32_e32 v35, v35, v46
	v_fmac_f32_e32 v38, v3, v196
	v_add_f32_e32 v35, v35, v38
	ds_read2_b64 v[38:41], v36 offset0:69 offset1:70
	buffer_load_dword v237, off, s[0:3], 0 offset:272
	buffer_load_dword v238, off, s[0:3], 0 offset:276
	;; [unrolled: 1-line block ×4, first 2 shown]
	s_waitcnt vmcnt(35)
	v_mul_f32_e32 v42, v4, v207
	s_waitcnt vmcnt(34)
	v_fmac_f32_e32 v42, v5, v208
	v_add_f32_e32 v35, v35, v42
	ds_read2_b64 v[42:45], v36 offset0:71 offset1:72
	buffer_load_dword v241, off, s[0:3], 0 offset:288
	buffer_load_dword v242, off, s[0:3], 0 offset:292
	;; [unrolled: 1-line block ×10, first 2 shown]
	s_waitcnt lgkmcnt(1)
	v_mul_f32_e32 v46, v38, v202
	v_fmac_f32_e32 v46, v39, v201
	v_add_f32_e32 v35, v35, v46
	v_mul_f32_e32 v46, v40, v204
	v_fmac_f32_e32 v46, v41, v203
	v_add_f32_e32 v35, v35, v46
	s_waitcnt lgkmcnt(0)
	v_mul_f32_e32 v46, v42, v206
	v_fmac_f32_e32 v46, v43, v205
	v_add_f32_e32 v35, v35, v46
	buffer_load_dword v251, off, s[0:3], 0 offset:328
	buffer_load_dword v252, off, s[0:3], 0 offset:332
	;; [unrolled: 1-line block ×6, first 2 shown]
	ds_read2_b64 v[46:49], v36 offset0:73 offset1:74
	s_waitcnt vmcnt(46)
	v_mul_f32_e32 v50, v44, v210
	v_fmac_f32_e32 v50, v45, v209
	v_add_f32_e32 v35, v35, v50
	ds_read2_b64 v[50:53], v36 offset0:75 offset1:76
	s_waitcnt vmcnt(44) lgkmcnt(1)
	v_mul_f32_e32 v54, v46, v212
	v_fmac_f32_e32 v54, v47, v211
	v_add_f32_e32 v35, v35, v54
	s_waitcnt vmcnt(42)
	v_mul_f32_e32 v54, v48, v214
	v_fmac_f32_e32 v54, v49, v213
	v_add_f32_e32 v35, v35, v54
	s_waitcnt vmcnt(40) lgkmcnt(0)
	v_mul_f32_e32 v54, v50, v216
	v_fmac_f32_e32 v54, v51, v215
	v_add_f32_e32 v35, v35, v54
	ds_read2_b64 v[54:57], v36 offset0:77 offset1:78
	s_waitcnt vmcnt(38)
	v_mul_f32_e32 v58, v52, v218
	v_fmac_f32_e32 v58, v53, v217
	v_add_f32_e32 v35, v35, v58
	ds_read2_b64 v[58:61], v36 offset0:79 offset1:80
	s_waitcnt vmcnt(36) lgkmcnt(1)
	v_mul_f32_e32 v62, v54, v220
	v_fmac_f32_e32 v62, v55, v219
	v_add_f32_e32 v35, v35, v62
	s_waitcnt vmcnt(34)
	v_mul_f32_e32 v62, v56, v222
	v_fmac_f32_e32 v62, v57, v221
	v_add_f32_e32 v35, v35, v62
	s_waitcnt vmcnt(32) lgkmcnt(0)
	v_mul_f32_e32 v62, v58, v224
	v_fmac_f32_e32 v62, v59, v223
	v_add_f32_e32 v35, v35, v62
	ds_read2_b64 v[62:65], v36 offset0:81 offset1:82
	s_waitcnt vmcnt(30)
	v_mul_f32_e32 v66, v60, v226
	v_fmac_f32_e32 v66, v61, v225
	v_add_f32_e32 v35, v35, v66
	ds_read2_b64 v[66:69], v36 offset0:83 offset1:84
	s_waitcnt vmcnt(28) lgkmcnt(1)
	v_mul_f32_e32 v70, v62, v228
	v_fmac_f32_e32 v70, v63, v227
	v_add_f32_e32 v35, v35, v70
	s_waitcnt vmcnt(26)
	v_mul_f32_e32 v70, v64, v230
	v_fmac_f32_e32 v70, v65, v229
	v_add_f32_e32 v35, v35, v70
	s_waitcnt vmcnt(24) lgkmcnt(0)
	v_mul_f32_e32 v70, v66, v232
	v_fmac_f32_e32 v70, v67, v231
	v_add_f32_e32 v35, v35, v70
	ds_read2_b64 v[70:73], v36 offset0:85 offset1:86
	s_waitcnt vmcnt(22)
	v_mul_f32_e32 v74, v68, v234
	v_fmac_f32_e32 v74, v69, v233
	v_add_f32_e32 v35, v35, v74
	ds_read2_b64 v[74:77], v36 offset0:87 offset1:88
	s_waitcnt vmcnt(20) lgkmcnt(1)
	v_mul_f32_e32 v78, v70, v236
	v_fmac_f32_e32 v78, v71, v235
	v_add_f32_e32 v35, v35, v78
	v_mul_f32_e32 v23, v23, v32
	v_fma_f32 v22, v22, v111, -v23
	v_mul_f32_e32 v23, v25, v31
	v_add_f32_e32 v22, 0, v22
	v_fma_f32 v23, v24, v110, -v23
	v_mul_f32_e32 v19, v19, v33
	v_add_f32_e32 v22, v22, v23
	v_fma_f32 v18, v18, v96, -v19
	v_mul_f32_e32 v19, v21, v30
	s_waitcnt vmcnt(18)
	v_mul_f32_e32 v78, v72, v238
	v_fmac_f32_e32 v78, v73, v237
	v_add_f32_e32 v35, v35, v78
	s_waitcnt vmcnt(16) lgkmcnt(0)
	v_mul_f32_e32 v78, v74, v240
	v_fmac_f32_e32 v78, v75, v239
	v_add_f32_e32 v35, v35, v78
	ds_read2_b64 v[78:81], v36 offset0:89 offset1:90
	s_waitcnt vmcnt(14)
	v_mul_f32_e32 v82, v76, v242
	v_fmac_f32_e32 v82, v77, v241
	v_add_f32_e32 v35, v35, v82
	ds_read2_b64 v[82:85], v36 offset0:91 offset1:92
	s_waitcnt vmcnt(12) lgkmcnt(1)
	v_mul_f32_e32 v86, v78, v244
	v_fmac_f32_e32 v86, v79, v243
	v_add_f32_e32 v35, v35, v86
	s_waitcnt vmcnt(10)
	v_mul_f32_e32 v86, v80, v246
	v_fmac_f32_e32 v86, v81, v245
	v_add_f32_e32 v35, v35, v86
	s_waitcnt vmcnt(8) lgkmcnt(0)
	v_mul_f32_e32 v86, v82, v248
	v_fmac_f32_e32 v86, v83, v247
	s_waitcnt vmcnt(6)
	v_mul_f32_e32 v90, v84, v250
	v_add_f32_e32 v35, v35, v86
	v_fmac_f32_e32 v90, v85, v249
	ds_read2_b64 v[86:89], v36 offset0:93 offset1:94
	v_add_f32_e32 v35, v35, v90
	ds_read2_b64 v[90:93], v36 offset0:95 offset1:96
	buffer_load_dword v99, off, s[0:3], 0 offset:380
	buffer_load_dword v98, off, s[0:3], 0 offset:376
	;; [unrolled: 1-line block ×16, first 2 shown]
	v_add_f32_e32 v18, v22, v18
	v_fma_f32 v19, v20, v195, -v19
	v_mul_f32_e32 v15, v15, v29
	v_add_f32_e32 v18, v18, v19
	v_fma_f32 v14, v14, v194, -v15
	v_mul_f32_e32 v1, v17, v1
	;; [unrolled: 3-line block ×3, first 2 shown]
	v_add_f32_e32 v1, v14, v1
	v_fma_f32 v10, v10, v112, -v11
	v_add_f32_e32 v1, v1, v10
	v_mul_f32_e32 v10, v13, v34
	v_fma_f32 v10, v12, v199, -v10
	v_mul_f32_e32 v7, v7, v37
	v_add_f32_e32 v1, v1, v10
	v_fma_f32 v6, v6, v198, -v7
	v_add_f32_e32 v1, v1, v6
	v_mul_f32_e32 v6, v9, v94
	v_fma_f32 v6, v8, v197, -v6
	v_mul_f32_e32 v3, v3, v200
	v_add_f32_e32 v1, v1, v6
	v_fma_f32 v2, v2, v196, -v3
	v_add_f32_e32 v1, v1, v2
	v_mul_f32_e32 v2, v5, v207
	v_fma_f32 v2, v4, v208, -v2
	v_add_f32_e32 v1, v1, v2
	v_mul_f32_e32 v2, v39, v202
	;; [unrolled: 3-line block ×25, first 2 shown]
	v_fma_f32 v2, v84, v249, -v2
	s_waitcnt vmcnt(20) lgkmcnt(1)
	v_mul_f32_e32 v95, v86, v252
	v_add_f32_e32 v1, v1, v2
	v_mul_f32_e32 v2, v87, v252
	v_fmac_f32_e32 v95, v87, v251
	v_fma_f32 v2, v86, v251, -v2
	s_waitcnt vmcnt(9)
	v_mov_b32_e32 v18, v105
	v_add_f32_e32 v35, v35, v95
	v_mul_f32_e32 v95, v88, v254
	v_add_f32_e32 v34, v1, v2
	v_mul_f32_e32 v1, v89, v254
	s_waitcnt lgkmcnt(0)
	v_pk_mul_f32 v[18:19], v[92:93], v[18:19] op_sel_hi:[1,0]
	v_fmac_f32_e32 v95, v89, v253
	v_mul_f32_e32 v97, v90, v114
	v_fma_f32 v94, v88, v253, -v1
	v_mul_f32_e32 v1, v91, v114
	ds_read2_b64 v[2:5], v36 offset0:97 offset1:98
	ds_read2_b64 v[6:9], v36 offset0:99 offset1:100
	;; [unrolled: 1-line block ×3, first 2 shown]
	ds_read_b64 v[14:15], v36 offset:824
	s_waitcnt vmcnt(8)
	v_pk_fma_f32 v[20:21], v[92:93], v[104:105], v[18:19] op_sel:[0,0,1] op_sel_hi:[1,1,0] neg_lo:[0,0,1] neg_hi:[0,0,1]
	v_pk_fma_f32 v[18:19], v[92:93], v[104:105], v[18:19] op_sel:[0,0,1] op_sel_hi:[1,0,0]
	v_fmac_f32_e32 v97, v91, v255
	v_fma_f32 v96, v90, v255, -v1
	v_pk_add_f32 v[16:17], v[34:35], v[94:95]
	v_mov_b32_e32 v18, v103
	v_pk_add_f32 v[16:17], v[16:17], v[96:97]
	v_mov_b32_e32 v21, v19
	s_waitcnt lgkmcnt(3)
	v_pk_mul_f32 v[18:19], v[2:3], v[18:19] op_sel_hi:[1,0]
	v_pk_add_f32 v[16:17], v[16:17], v[20:21]
	v_pk_fma_f32 v[20:21], v[2:3], v[102:103], v[18:19] op_sel:[0,0,1] op_sel_hi:[1,1,0] neg_lo:[0,0,1] neg_hi:[0,0,1]
	v_pk_fma_f32 v[2:3], v[2:3], v[102:103], v[18:19] op_sel:[0,0,1] op_sel_hi:[1,0,0]
	v_mov_b32_e32 v21, v3
	v_pk_add_f32 v[2:3], v[16:17], v[20:21]
	v_mov_b32_e32 v16, v101
	v_pk_mul_f32 v[16:17], v[4:5], v[16:17] op_sel_hi:[1,0]
	v_pk_fma_f32 v[18:19], v[4:5], v[100:101], v[16:17] op_sel:[0,0,1] op_sel_hi:[1,1,0] neg_lo:[0,0,1] neg_hi:[0,0,1]
	v_pk_fma_f32 v[4:5], v[4:5], v[100:101], v[16:17] op_sel:[0,0,1] op_sel_hi:[1,0,0]
	v_mov_b32_e32 v4, v99
	v_mov_b32_e32 v19, v5
	s_waitcnt lgkmcnt(2)
	v_pk_mul_f32 v[4:5], v[6:7], v[4:5] op_sel_hi:[1,0]
	v_pk_fma_f32 v[16:17], v[6:7], v[98:99], v[4:5] op_sel:[0,0,1] op_sel_hi:[1,1,0] neg_lo:[0,0,1] neg_hi:[0,0,1]
	v_pk_fma_f32 v[4:5], v[6:7], v[98:99], v[4:5] op_sel:[0,0,1] op_sel_hi:[1,0,0]
	s_waitcnt vmcnt(1)
	v_mov_b32_e32 v4, v193
	v_mov_b32_e32 v17, v5
	v_pk_mul_f32 v[4:5], v[8:9], v[4:5] op_sel_hi:[1,0]
	s_waitcnt vmcnt(0)
	v_pk_fma_f32 v[6:7], v[8:9], v[192:193], v[4:5] op_sel:[0,0,1] op_sel_hi:[1,1,0] neg_lo:[0,0,1] neg_hi:[0,0,1]
	v_pk_fma_f32 v[4:5], v[8:9], v[192:193], v[4:5] op_sel:[0,0,1] op_sel_hi:[1,0,0]
	v_pk_add_f32 v[2:3], v[2:3], v[18:19]
	v_mov_b32_e32 v4, v191
	v_pk_add_f32 v[2:3], v[2:3], v[16:17]
	v_mov_b32_e32 v7, v5
	s_waitcnt lgkmcnt(1)
	v_pk_mul_f32 v[4:5], v[10:11], v[4:5] op_sel_hi:[1,0]
	v_pk_add_f32 v[2:3], v[2:3], v[6:7]
	v_pk_fma_f32 v[6:7], v[10:11], v[190:191], v[4:5] op_sel:[0,0,1] op_sel_hi:[1,1,0] neg_lo:[0,0,1] neg_hi:[0,0,1]
	v_pk_fma_f32 v[4:5], v[10:11], v[190:191], v[4:5] op_sel:[0,0,1] op_sel_hi:[1,0,0]
	v_mov_b32_e32 v4, v109
	v_mov_b32_e32 v7, v5
	v_pk_mul_f32 v[4:5], v[12:13], v[4:5] op_sel_hi:[1,0]
	v_pk_add_f32 v[2:3], v[2:3], v[6:7]
	v_pk_fma_f32 v[6:7], v[12:13], v[108:109], v[4:5] op_sel:[0,0,1] op_sel_hi:[1,1,0] neg_lo:[0,0,1] neg_hi:[0,0,1]
	v_pk_fma_f32 v[4:5], v[12:13], v[108:109], v[4:5] op_sel:[0,0,1] op_sel_hi:[1,0,0]
	v_mov_b32_e32 v4, v107
	v_mov_b32_e32 v7, v5
	s_waitcnt lgkmcnt(0)
	v_pk_mul_f32 v[4:5], v[14:15], v[4:5] op_sel_hi:[1,0]
	v_pk_add_f32 v[2:3], v[2:3], v[6:7]
	v_pk_fma_f32 v[6:7], v[14:15], v[106:107], v[4:5] op_sel:[0,0,1] op_sel_hi:[1,1,0] neg_lo:[0,0,1] neg_hi:[0,0,1]
	v_pk_fma_f32 v[4:5], v[14:15], v[106:107], v[4:5] op_sel:[0,0,1] op_sel_hi:[1,0,0]
	v_mov_b32_e32 v7, v5
	v_pk_add_f32 v[2:3], v[2:3], v[6:7]
	v_pk_add_f32 v[2:3], v[26:27], v[2:3] neg_lo:[0,1] neg_hi:[0,1]
	buffer_store_dword v3, off, s[0:3], 0 offset:36
	buffer_store_dword v2, off, s[0:3], 0 offset:32
	s_and_saveexec_b64 s[4:5], vcc
	s_cbranch_execz .LBB51_319
; %bb.318:
	buffer_load_dword v2, off, s[0:3], 0 offset:24
	buffer_load_dword v3, off, s[0:3], 0 offset:28
	s_waitcnt vmcnt(0)
	ds_write_b64 v129, v[2:3]
	buffer_store_dword v36, off, s[0:3], 0 offset:24
	buffer_store_dword v36, off, s[0:3], 0 offset:28
.LBB51_319:
	s_or_b64 exec, exec, s[4:5]
	s_waitcnt lgkmcnt(0)
	; wave barrier
	s_waitcnt lgkmcnt(0)
	buffer_load_dword v41, off, s[0:3], 0 offset:36
	buffer_load_dword v40, off, s[0:3], 0 offset:44
	;; [unrolled: 1-line block ×32, first 2 shown]
	ds_read_b128 v[22:25], v36 offset:448
	ds_read_b128 v[18:21], v36 offset:464
	;; [unrolled: 1-line block ×6, first 2 shown]
	buffer_load_dword v207, off, s[0:3], 0 offset:152
	buffer_load_dword v208, off, s[0:3], 0 offset:156
	;; [unrolled: 1-line block ×26, first 2 shown]
	v_cmp_lt_u32_e32 vcc, 2, v0
	s_waitcnt vmcnt(57) lgkmcnt(5)
	v_mul_f32_e32 v26, v22, v41
	s_waitcnt vmcnt(56)
	v_mul_f32_e32 v27, v24, v40
	s_waitcnt vmcnt(55) lgkmcnt(4)
	v_mul_f32_e32 v29, v20, v39
	s_waitcnt vmcnt(54) lgkmcnt(3)
	v_mul_f32_e32 v30, v14, v38
	s_waitcnt vmcnt(53)
	v_mul_f32_e32 v31, v16, v1
	s_waitcnt vmcnt(52)
	v_mul_f32_e32 v28, v18, v42
	s_waitcnt vmcnt(51) lgkmcnt(2)
	v_mul_f32_e32 v32, v10, v37
	s_waitcnt vmcnt(50)
	v_mul_f32_e32 v33, v12, v43
	s_waitcnt vmcnt(49) lgkmcnt(1)
	;; [unrolled: 4-line block ×3, first 2 shown]
	v_mul_f32_e32 v46, v2, v102
	s_waitcnt vmcnt(46)
	v_fmac_f32_e32 v28, v19, v110
	s_waitcnt vmcnt(45)
	v_fmac_f32_e32 v27, v25, v111
	s_waitcnt vmcnt(44)
	v_fmac_f32_e32 v26, v23, v112
	v_add_f32_e32 v26, 0, v26
	v_add_f32_e32 v26, v26, v27
	;; [unrolled: 1-line block ×3, first 2 shown]
	s_waitcnt vmcnt(40)
	v_fmac_f32_e32 v29, v21, v194
	v_fmac_f32_e32 v30, v15, v115
	v_add_f32_e32 v26, v26, v29
	v_fmac_f32_e32 v31, v17, v114
	v_add_f32_e32 v26, v26, v30
	;; [unrolled: 2-line block ×3, first 2 shown]
	s_waitcnt vmcnt(36)
	v_fmac_f32_e32 v33, v13, v198
	v_add_f32_e32 v26, v26, v32
	v_fmac_f32_e32 v44, v7, v197
	v_add_f32_e32 v26, v26, v33
	;; [unrolled: 2-line block ×4, first 2 shown]
	s_waitcnt vmcnt(30)
	v_mul_f32_e32 v27, v4, v204
	v_add_f32_e32 v26, v26, v46
	s_waitcnt vmcnt(29)
	v_fmac_f32_e32 v27, v5, v205
	v_add_f32_e32 v44, v26, v27
	ds_read_b128 v[26:29], v36 offset:544
	buffer_load_dword v233, off, s[0:3], 0 offset:256
	buffer_load_dword v234, off, s[0:3], 0 offset:260
	ds_read_b128 v[30:33], v36 offset:560
	buffer_load_dword v235, off, s[0:3], 0 offset:264
	buffer_load_dword v236, off, s[0:3], 0 offset:268
	;; [unrolled: 1-line block ×14, first 2 shown]
	s_waitcnt vmcnt(44) lgkmcnt(1)
	v_mul_f32_e32 v45, v26, v206
	v_fmac_f32_e32 v45, v27, v203
	v_add_f32_e32 v44, v44, v45
	v_mul_f32_e32 v45, v28, v200
	v_fmac_f32_e32 v45, v29, v199
	v_add_f32_e32 v44, v44, v45
	s_waitcnt lgkmcnt(0)
	v_mul_f32_e32 v45, v30, v202
	v_fmac_f32_e32 v45, v31, v201
	v_add_f32_e32 v48, v44, v45
	buffer_load_dword v249, off, s[0:3], 0 offset:320
	buffer_load_dword v250, off, s[0:3], 0 offset:324
	ds_read_b128 v[44:47], v36 offset:576
	s_waitcnt vmcnt(42)
	v_mul_f32_e32 v49, v32, v208
	v_fmac_f32_e32 v49, v33, v207
	buffer_load_dword v251, off, s[0:3], 0 offset:328
	buffer_load_dword v252, off, s[0:3], 0 offset:332
	v_add_f32_e32 v52, v48, v49
	buffer_load_dword v253, off, s[0:3], 0 offset:336
	buffer_load_dword v254, off, s[0:3], 0 offset:340
	ds_read_b128 v[48:51], v36 offset:592
	s_waitcnt vmcnt(44) lgkmcnt(1)
	v_mul_f32_e32 v53, v44, v210
	v_fmac_f32_e32 v53, v45, v209
	v_add_f32_e32 v52, v52, v53
	s_waitcnt vmcnt(42)
	v_mul_f32_e32 v53, v46, v212
	v_fmac_f32_e32 v53, v47, v211
	v_add_f32_e32 v52, v52, v53
	s_waitcnt vmcnt(40) lgkmcnt(0)
	v_mul_f32_e32 v53, v48, v214
	v_fmac_f32_e32 v53, v49, v213
	buffer_load_dword v255, off, s[0:3], 0 offset:344
	buffer_load_dword v116, off, s[0:3], 0 offset:348
	v_add_f32_e32 v56, v52, v53
	ds_read_b128 v[52:55], v36 offset:608
	s_waitcnt vmcnt(40)
	v_mul_f32_e32 v57, v50, v216
	v_fmac_f32_e32 v57, v51, v215
	v_add_f32_e32 v60, v56, v57
	ds_read_b128 v[56:59], v36 offset:624
	s_waitcnt vmcnt(38) lgkmcnt(1)
	v_mul_f32_e32 v61, v52, v218
	v_fmac_f32_e32 v61, v53, v217
	v_add_f32_e32 v60, v60, v61
	s_waitcnt vmcnt(36)
	v_mul_f32_e32 v61, v54, v220
	v_fmac_f32_e32 v61, v55, v219
	v_add_f32_e32 v60, v60, v61
	s_waitcnt vmcnt(34) lgkmcnt(0)
	v_mul_f32_e32 v61, v56, v222
	v_fmac_f32_e32 v61, v57, v221
	v_add_f32_e32 v64, v60, v61
	ds_read_b128 v[60:63], v36 offset:640
	s_waitcnt vmcnt(32)
	v_mul_f32_e32 v65, v58, v224
	v_fmac_f32_e32 v65, v59, v223
	v_add_f32_e32 v68, v64, v65
	ds_read_b128 v[64:67], v36 offset:656
	s_waitcnt vmcnt(30) lgkmcnt(1)
	v_mul_f32_e32 v69, v60, v226
	v_fmac_f32_e32 v69, v61, v225
	v_add_f32_e32 v68, v68, v69
	s_waitcnt vmcnt(28)
	v_mul_f32_e32 v69, v62, v228
	v_fmac_f32_e32 v69, v63, v227
	v_add_f32_e32 v68, v68, v69
	s_waitcnt vmcnt(26) lgkmcnt(0)
	v_mul_f32_e32 v69, v64, v230
	v_fmac_f32_e32 v69, v65, v229
	v_add_f32_e32 v72, v68, v69
	ds_read_b128 v[68:71], v36 offset:672
	s_waitcnt vmcnt(24)
	v_mul_f32_e32 v73, v66, v232
	v_fmac_f32_e32 v73, v67, v231
	v_add_f32_e32 v76, v72, v73
	ds_read_b128 v[72:75], v36 offset:688
	v_mul_f32_e32 v23, v23, v41
	v_fma_f32 v22, v22, v112, -v23
	v_mul_f32_e32 v23, v25, v40
	v_add_f32_e32 v22, 0, v22
	v_fma_f32 v23, v24, v111, -v23
	v_mul_f32_e32 v19, v19, v42
	v_add_f32_e32 v22, v22, v23
	;; [unrolled: 3-line block ×3, first 2 shown]
	v_fma_f32 v19, v20, v194, -v19
	s_waitcnt vmcnt(22) lgkmcnt(1)
	v_mul_f32_e32 v77, v68, v234
	v_fmac_f32_e32 v77, v69, v233
	v_add_f32_e32 v76, v76, v77
	s_waitcnt vmcnt(20)
	v_mul_f32_e32 v77, v70, v236
	v_fmac_f32_e32 v77, v71, v235
	v_add_f32_e32 v76, v76, v77
	s_waitcnt vmcnt(18) lgkmcnt(0)
	v_mul_f32_e32 v77, v72, v238
	v_fmac_f32_e32 v77, v73, v237
	v_add_f32_e32 v80, v76, v77
	ds_read_b128 v[76:79], v36 offset:704
	s_waitcnt vmcnt(16)
	v_mul_f32_e32 v81, v74, v240
	v_fmac_f32_e32 v81, v75, v239
	v_add_f32_e32 v84, v80, v81
	ds_read_b128 v[80:83], v36 offset:720
	s_waitcnt vmcnt(14) lgkmcnt(1)
	v_mul_f32_e32 v85, v76, v242
	v_fmac_f32_e32 v85, v77, v241
	v_add_f32_e32 v84, v84, v85
	s_waitcnt vmcnt(12)
	v_mul_f32_e32 v85, v78, v244
	v_fmac_f32_e32 v85, v79, v243
	v_add_f32_e32 v84, v84, v85
	s_waitcnt vmcnt(10) lgkmcnt(0)
	v_mul_f32_e32 v85, v80, v246
	v_fmac_f32_e32 v85, v81, v245
	s_waitcnt vmcnt(8)
	v_mul_f32_e32 v89, v82, v248
	v_add_f32_e32 v88, v84, v85
	v_fmac_f32_e32 v89, v83, v247
	ds_read_b128 v[84:87], v36 offset:736
	v_add_f32_e32 v93, v88, v89
	ds_read_b128 v[88:91], v36 offset:752
	buffer_load_dword v97, off, s[0:3], 0 offset:372
	buffer_load_dword v96, off, s[0:3], 0 offset:368
	;; [unrolled: 1-line block ×16, first 2 shown]
	v_mul_f32_e32 v15, v15, v38
	v_add_f32_e32 v18, v18, v19
	v_fma_f32 v14, v14, v115, -v15
	v_mul_f32_e32 v1, v17, v1
	v_add_f32_e32 v14, v18, v14
	v_fma_f32 v1, v16, v114, -v1
	;; [unrolled: 3-line block ×3, first 2 shown]
	v_add_f32_e32 v1, v1, v10
	v_mul_f32_e32 v10, v13, v43
	v_fma_f32 v10, v12, v198, -v10
	v_mul_f32_e32 v7, v7, v92
	v_add_f32_e32 v1, v1, v10
	v_fma_f32 v6, v6, v197, -v7
	v_add_f32_e32 v1, v1, v6
	v_mul_f32_e32 v6, v9, v94
	v_fma_f32 v6, v8, v196, -v6
	v_mul_f32_e32 v3, v3, v102
	v_add_f32_e32 v1, v1, v6
	v_fma_f32 v2, v2, v195, -v3
	v_add_f32_e32 v1, v1, v2
	v_mul_f32_e32 v2, v5, v204
	v_fma_f32 v2, v4, v205, -v2
	v_add_f32_e32 v1, v1, v2
	v_mul_f32_e32 v2, v27, v206
	;; [unrolled: 3-line block ×25, first 2 shown]
	v_fma_f32 v2, v82, v247, -v2
	v_add_f32_e32 v1, v1, v2
	s_waitcnt vmcnt(22) lgkmcnt(1)
	v_mul_f32_e32 v2, v85, v250
	v_mul_f32_e32 v95, v84, v250
	v_fma_f32 v2, v84, v249, -v2
	v_fmac_f32_e32 v95, v85, v249
	v_add_f32_e32 v1, v1, v2
	s_waitcnt vmcnt(20)
	v_mul_f32_e32 v2, v87, v252
	v_add_f32_e32 v93, v93, v95
	v_mul_f32_e32 v95, v86, v252
	v_fma_f32 v2, v86, v251, -v2
	v_fmac_f32_e32 v95, v87, v251
	v_add_f32_e32 v92, v1, v2
	ds_read_b128 v[2:5], v36 offset:768
	ds_read_b128 v[6:9], v36 offset:784
	;; [unrolled: 1-line block ×4, first 2 shown]
	v_add_f32_e32 v93, v93, v95
	s_waitcnt vmcnt(18) lgkmcnt(4)
	v_mul_f32_e32 v95, v88, v254
	v_mul_f32_e32 v1, v89, v254
	s_waitcnt vmcnt(11)
	v_mov_b32_e32 v20, v101
	v_fmac_f32_e32 v95, v89, v253
	v_mul_f32_e32 v103, v90, v116
	v_fma_f32 v94, v88, v253, -v1
	v_mul_f32_e32 v1, v91, v116
	s_waitcnt lgkmcnt(3)
	v_pk_mul_f32 v[20:21], v[2:3], v[20:21] op_sel_hi:[1,0]
	v_fmac_f32_e32 v103, v91, v255
	v_fma_f32 v102, v90, v255, -v1
	v_pk_add_f32 v[18:19], v[92:93], v[94:95]
	s_waitcnt vmcnt(10)
	v_pk_fma_f32 v[22:23], v[2:3], v[100:101], v[20:21] op_sel:[0,0,1] op_sel_hi:[1,1,0] neg_lo:[0,0,1] neg_hi:[0,0,1]
	v_pk_fma_f32 v[2:3], v[2:3], v[100:101], v[20:21] op_sel:[0,0,1] op_sel_hi:[1,0,0]
	v_pk_add_f32 v[18:19], v[18:19], v[102:103]
	v_mov_b32_e32 v23, v3
	v_pk_add_f32 v[2:3], v[18:19], v[22:23]
	v_mov_b32_e32 v18, v99
	v_pk_mul_f32 v[18:19], v[4:5], v[18:19] op_sel_hi:[1,0]
	v_pk_fma_f32 v[20:21], v[4:5], v[98:99], v[18:19] op_sel:[0,0,1] op_sel_hi:[1,1,0] neg_lo:[0,0,1] neg_hi:[0,0,1]
	v_pk_fma_f32 v[4:5], v[4:5], v[98:99], v[18:19] op_sel:[0,0,1] op_sel_hi:[1,0,0]
	v_mov_b32_e32 v4, v97
	v_mov_b32_e32 v21, v5
	s_waitcnt lgkmcnt(2)
	v_pk_mul_f32 v[4:5], v[6:7], v[4:5] op_sel_hi:[1,0]
	v_pk_fma_f32 v[18:19], v[6:7], v[96:97], v[4:5] op_sel:[0,0,1] op_sel_hi:[1,1,0] neg_lo:[0,0,1] neg_hi:[0,0,1]
	v_pk_fma_f32 v[4:5], v[6:7], v[96:97], v[4:5] op_sel:[0,0,1] op_sel_hi:[1,0,0]
	s_waitcnt vmcnt(3)
	v_mov_b32_e32 v4, v191
	v_mov_b32_e32 v19, v5
	v_pk_mul_f32 v[4:5], v[8:9], v[4:5] op_sel_hi:[1,0]
	s_waitcnt vmcnt(2)
	v_pk_fma_f32 v[6:7], v[8:9], v[190:191], v[4:5] op_sel:[0,0,1] op_sel_hi:[1,1,0] neg_lo:[0,0,1] neg_hi:[0,0,1]
	v_pk_fma_f32 v[4:5], v[8:9], v[190:191], v[4:5] op_sel:[0,0,1] op_sel_hi:[1,0,0]
	v_pk_add_f32 v[2:3], v[2:3], v[20:21]
	v_mov_b32_e32 v4, v109
	v_pk_add_f32 v[2:3], v[2:3], v[18:19]
	v_mov_b32_e32 v7, v5
	s_waitcnt lgkmcnt(1)
	v_pk_mul_f32 v[4:5], v[10:11], v[4:5] op_sel_hi:[1,0]
	v_pk_add_f32 v[2:3], v[2:3], v[6:7]
	v_pk_fma_f32 v[6:7], v[10:11], v[108:109], v[4:5] op_sel:[0,0,1] op_sel_hi:[1,1,0] neg_lo:[0,0,1] neg_hi:[0,0,1]
	v_pk_fma_f32 v[4:5], v[10:11], v[108:109], v[4:5] op_sel:[0,0,1] op_sel_hi:[1,0,0]
	v_mov_b32_e32 v4, v107
	v_mov_b32_e32 v7, v5
	v_pk_mul_f32 v[4:5], v[12:13], v[4:5] op_sel_hi:[1,0]
	v_pk_add_f32 v[2:3], v[2:3], v[6:7]
	v_pk_fma_f32 v[6:7], v[12:13], v[106:107], v[4:5] op_sel:[0,0,1] op_sel_hi:[1,1,0] neg_lo:[0,0,1] neg_hi:[0,0,1]
	v_pk_fma_f32 v[4:5], v[12:13], v[106:107], v[4:5] op_sel:[0,0,1] op_sel_hi:[1,0,0]
	v_mov_b32_e32 v4, v105
	v_mov_b32_e32 v7, v5
	s_waitcnt lgkmcnt(0)
	v_pk_mul_f32 v[4:5], v[14:15], v[4:5] op_sel_hi:[1,0]
	v_pk_add_f32 v[2:3], v[2:3], v[6:7]
	v_pk_fma_f32 v[6:7], v[14:15], v[104:105], v[4:5] op_sel:[0,0,1] op_sel_hi:[1,1,0] neg_lo:[0,0,1] neg_hi:[0,0,1]
	v_pk_fma_f32 v[4:5], v[14:15], v[104:105], v[4:5] op_sel:[0,0,1] op_sel_hi:[1,0,0]
	s_waitcnt vmcnt(1)
	v_mov_b32_e32 v4, v193
	v_mov_b32_e32 v7, v5
	v_pk_mul_f32 v[4:5], v[16:17], v[4:5] op_sel_hi:[1,0]
	v_pk_add_f32 v[2:3], v[2:3], v[6:7]
	s_waitcnt vmcnt(0)
	v_pk_fma_f32 v[6:7], v[16:17], v[192:193], v[4:5] op_sel:[0,0,1] op_sel_hi:[1,1,0] neg_lo:[0,0,1] neg_hi:[0,0,1]
	v_pk_fma_f32 v[4:5], v[16:17], v[192:193], v[4:5] op_sel:[0,0,1] op_sel_hi:[1,0,0]
	v_mov_b32_e32 v7, v5
	v_pk_add_f32 v[2:3], v[2:3], v[6:7]
	v_pk_add_f32 v[2:3], v[34:35], v[2:3] neg_lo:[0,1] neg_hi:[0,1]
	buffer_store_dword v3, off, s[0:3], 0 offset:28
	buffer_store_dword v2, off, s[0:3], 0 offset:24
	s_and_saveexec_b64 s[4:5], vcc
	s_cbranch_execz .LBB51_321
; %bb.320:
	buffer_load_dword v2, off, s[0:3], 0 offset:16
	buffer_load_dword v3, off, s[0:3], 0 offset:20
	v_mov_b32_e32 v1, 0
	buffer_store_dword v1, off, s[0:3], 0 offset:16
	buffer_store_dword v1, off, s[0:3], 0 offset:20
	s_waitcnt vmcnt(2)
	ds_write_b64 v129, v[2:3]
.LBB51_321:
	s_or_b64 exec, exec, s[4:5]
	v_mov_b32_e32 v214, 0
	s_waitcnt lgkmcnt(0)
	; wave barrier
	s_waitcnt lgkmcnt(0)
	ds_read2_b64 v[2:5], v214 offset0:55 offset1:56
	buffer_load_dword v190, off, s[0:3], 0 offset:16
	buffer_load_dword v191, off, s[0:3], 0 offset:20
	;; [unrolled: 1-line block ×16, first 2 shown]
	v_cmp_lt_u32_e32 vcc, 1, v0
	s_waitcnt vmcnt(12) lgkmcnt(0)
	v_mul_f32_e32 v1, v2, v215
	v_fmac_f32_e32 v1, v3, v192
	s_waitcnt vmcnt(10)
	v_mul_f32_e32 v6, v4, v217
	v_add_f32_e32 v1, 0, v1
	v_fmac_f32_e32 v6, v5, v194
	v_add_f32_e32 v1, v1, v6
	ds_read2_b64 v[6:9], v214 offset0:57 offset1:58
	v_mul_f32_e32 v3, v3, v215
	v_fma_f32 v2, v2, v192, -v3
	v_mul_f32_e32 v3, v5, v217
	v_add_f32_e32 v2, 0, v2
	s_waitcnt vmcnt(8) lgkmcnt(0)
	v_mul_f32_e32 v10, v6, v219
	v_fmac_f32_e32 v10, v7, v198
	v_add_f32_e32 v1, v1, v10
	s_waitcnt vmcnt(6)
	v_mul_f32_e32 v10, v8, v221
	v_fmac_f32_e32 v10, v9, v216
	v_add_f32_e32 v1, v1, v10
	ds_read2_b64 v[10:13], v214 offset0:59 offset1:60
	v_fma_f32 v3, v4, v194, -v3
	v_add_f32_e32 v2, v2, v3
	v_mul_f32_e32 v3, v7, v219
	v_fma_f32 v3, v6, v198, -v3
	s_waitcnt vmcnt(4) lgkmcnt(0)
	v_mul_f32_e32 v14, v10, v223
	v_fmac_f32_e32 v14, v11, v218
	v_add_f32_e32 v1, v1, v14
	s_waitcnt vmcnt(2)
	v_mul_f32_e32 v14, v12, v224
	v_fmac_f32_e32 v14, v13, v220
	v_add_f32_e32 v1, v1, v14
	ds_read2_b64 v[14:17], v214 offset0:61 offset1:62
	buffer_load_dword v226, off, s[0:3], 0 offset:80
	buffer_load_dword v227, off, s[0:3], 0 offset:84
	v_add_f32_e32 v2, v2, v3
	v_mul_f32_e32 v3, v9, v221
	v_fma_f32 v3, v8, v216, -v3
	s_waitcnt vmcnt(2) lgkmcnt(0)
	v_mul_f32_e32 v18, v14, v225
	v_fmac_f32_e32 v18, v15, v222
	v_add_f32_e32 v1, v1, v18
	v_add_f32_e32 v2, v2, v3
	v_mul_f32_e32 v3, v11, v223
	v_fma_f32 v3, v10, v218, -v3
	v_add_f32_e32 v2, v2, v3
	v_mul_f32_e32 v3, v13, v224
	v_fma_f32 v3, v12, v220, -v3
	;; [unrolled: 3-line block ×3, first 2 shown]
	v_add_f32_e32 v2, v2, v3
	s_waitcnt vmcnt(0)
	v_mul_f32_e32 v18, v16, v227
	v_fmac_f32_e32 v18, v17, v226
	v_add_f32_e32 v1, v1, v18
	ds_read2_b64 v[18:21], v214 offset0:63 offset1:64
	buffer_load_dword v228, off, s[0:3], 0 offset:88
	buffer_load_dword v229, off, s[0:3], 0 offset:92
	;; [unrolled: 1-line block ×4, first 2 shown]
	v_mul_f32_e32 v3, v17, v227
	v_fma_f32 v3, v16, v226, -v3
	v_add_f32_e32 v2, v2, v3
	s_waitcnt vmcnt(2) lgkmcnt(0)
	v_mul_f32_e32 v22, v18, v229
	v_fmac_f32_e32 v22, v19, v228
	v_add_f32_e32 v1, v1, v22
	s_waitcnt vmcnt(0)
	v_mul_f32_e32 v22, v20, v231
	v_fmac_f32_e32 v22, v21, v230
	v_add_f32_e32 v1, v1, v22
	ds_read2_b64 v[22:25], v214 offset0:65 offset1:66
	buffer_load_dword v232, off, s[0:3], 0 offset:104
	buffer_load_dword v233, off, s[0:3], 0 offset:108
	;; [unrolled: 1-line block ×4, first 2 shown]
	v_mul_f32_e32 v3, v19, v229
	v_fma_f32 v3, v18, v228, -v3
	v_add_f32_e32 v2, v2, v3
	v_mul_f32_e32 v3, v21, v231
	v_fma_f32 v3, v20, v230, -v3
	v_add_f32_e32 v2, v2, v3
	s_waitcnt vmcnt(2) lgkmcnt(0)
	v_mul_f32_e32 v26, v22, v233
	v_fmac_f32_e32 v26, v23, v232
	v_add_f32_e32 v1, v1, v26
	s_waitcnt vmcnt(0)
	v_mul_f32_e32 v26, v24, v235
	v_fmac_f32_e32 v26, v25, v234
	v_add_f32_e32 v1, v1, v26
	ds_read2_b64 v[26:29], v214 offset0:67 offset1:68
	buffer_load_dword v236, off, s[0:3], 0 offset:120
	buffer_load_dword v237, off, s[0:3], 0 offset:124
	;; [unrolled: 1-line block ×4, first 2 shown]
	v_mul_f32_e32 v3, v23, v233
	v_fma_f32 v3, v22, v232, -v3
	v_add_f32_e32 v2, v2, v3
	v_mul_f32_e32 v3, v25, v235
	v_fma_f32 v3, v24, v234, -v3
	v_add_f32_e32 v2, v2, v3
	s_waitcnt vmcnt(2) lgkmcnt(0)
	v_mul_f32_e32 v30, v26, v237
	v_fmac_f32_e32 v30, v27, v236
	v_add_f32_e32 v1, v1, v30
	s_waitcnt vmcnt(0)
	v_mul_f32_e32 v30, v28, v239
	v_fmac_f32_e32 v30, v29, v238
	v_add_f32_e32 v1, v1, v30
	ds_read2_b64 v[30:33], v214 offset0:69 offset1:70
	buffer_load_dword v240, off, s[0:3], 0 offset:136
	buffer_load_dword v241, off, s[0:3], 0 offset:140
	buffer_load_dword v242, off, s[0:3], 0 offset:144
	buffer_load_dword v243, off, s[0:3], 0 offset:148
	ds_read2_b64 v[38:41], v214 offset0:71 offset1:72
	buffer_load_dword v244, off, s[0:3], 0 offset:152
	buffer_load_dword v245, off, s[0:3], 0 offset:156
	buffer_load_dword v246, off, s[0:3], 0 offset:160
	buffer_load_dword v247, off, s[0:3], 0 offset:164
	;; [unrolled: 5-line block ×4, first 2 shown]
	ds_read2_b64 v[50:53], v214 offset0:77 offset1:78
	v_mul_f32_e32 v3, v27, v237
	v_fma_f32 v3, v26, v236, -v3
	v_add_f32_e32 v2, v2, v3
	v_mul_f32_e32 v3, v29, v239
	v_fma_f32 v3, v28, v238, -v3
	v_add_f32_e32 v2, v2, v3
	s_waitcnt vmcnt(14) lgkmcnt(4)
	v_mul_f32_e32 v34, v30, v241
	v_fmac_f32_e32 v34, v31, v240
	v_add_f32_e32 v1, v1, v34
	s_waitcnt vmcnt(12)
	v_mul_f32_e32 v34, v32, v243
	v_fmac_f32_e32 v34, v33, v242
	v_add_f32_e32 v1, v1, v34
	s_waitcnt vmcnt(10) lgkmcnt(3)
	v_mul_f32_e32 v34, v38, v245
	v_fmac_f32_e32 v34, v39, v244
	v_add_f32_e32 v1, v1, v34
	s_waitcnt vmcnt(8)
	v_mul_f32_e32 v34, v40, v247
	v_fmac_f32_e32 v34, v41, v246
	;; [unrolled: 8-line block ×4, first 2 shown]
	v_add_f32_e32 v34, v1, v34
	buffer_load_dword v1, off, s[0:3], 0 offset:200
	buffer_load_dword v86, off, s[0:3], 0 offset:204
	buffer_load_dword v87, off, s[0:3], 0 offset:208
	buffer_load_dword v88, off, s[0:3], 0 offset:212
	ds_read2_b64 v[54:57], v214 offset0:79 offset1:80
	buffer_load_dword v89, off, s[0:3], 0 offset:216
	buffer_load_dword v90, off, s[0:3], 0 offset:220
	buffer_load_dword v91, off, s[0:3], 0 offset:224
	buffer_load_dword v92, off, s[0:3], 0 offset:228
	ds_read2_b64 v[58:61], v214 offset0:81 offset1:82
	buffer_load_dword v93, off, s[0:3], 0 offset:232
	buffer_load_dword v94, off, s[0:3], 0 offset:236
	buffer_load_dword v95, off, s[0:3], 0 offset:240
	buffer_load_dword v96, off, s[0:3], 0 offset:244
	ds_read2_b64 v[62:65], v214 offset0:83 offset1:84
	buffer_load_dword v97, off, s[0:3], 0 offset:248
	buffer_load_dword v98, off, s[0:3], 0 offset:252
	buffer_load_dword v99, off, s[0:3], 0 offset:256
	buffer_load_dword v100, off, s[0:3], 0 offset:260
	ds_read2_b64 v[66:69], v214 offset0:85 offset1:86
	buffer_load_dword v101, off, s[0:3], 0 offset:264
	buffer_load_dword v102, off, s[0:3], 0 offset:268
	buffer_load_dword v103, off, s[0:3], 0 offset:272
	buffer_load_dword v104, off, s[0:3], 0 offset:276
	ds_read2_b64 v[70:73], v214 offset0:87 offset1:88
	buffer_load_dword v105, off, s[0:3], 0 offset:280
	buffer_load_dword v106, off, s[0:3], 0 offset:284
	buffer_load_dword v107, off, s[0:3], 0 offset:288
	buffer_load_dword v108, off, s[0:3], 0 offset:292
	ds_read2_b64 v[74:77], v214 offset0:89 offset1:90
	buffer_load_dword v109, off, s[0:3], 0 offset:296
	buffer_load_dword v110, off, s[0:3], 0 offset:300
	buffer_load_dword v111, off, s[0:3], 0 offset:304
	buffer_load_dword v112, off, s[0:3], 0 offset:308
	ds_read2_b64 v[78:81], v214 offset0:91 offset1:92
	buffer_load_dword v113, off, s[0:3], 0 offset:312
	buffer_load_dword v114, off, s[0:3], 0 offset:316
	buffer_load_dword v115, off, s[0:3], 0 offset:320
	buffer_load_dword v116, off, s[0:3], 0 offset:324
	ds_read2_b64 v[82:85], v214 offset0:93 offset1:94
	buffer_load_dword v117, off, s[0:3], 0 offset:328
	buffer_load_dword v118, off, s[0:3], 0 offset:332
	;; [unrolled: 1-line block ×4, first 2 shown]
	v_mul_f32_e32 v3, v31, v241
	v_fma_f32 v3, v30, v240, -v3
	v_add_f32_e32 v2, v2, v3
	v_mul_f32_e32 v3, v33, v243
	v_fma_f32 v3, v32, v242, -v3
	v_add_f32_e32 v2, v2, v3
	;; [unrolled: 3-line block ×8, first 2 shown]
	s_waitcnt vmcnt(34) lgkmcnt(8)
	v_mul_f32_e32 v35, v50, v86
	v_fmac_f32_e32 v35, v51, v1
	v_add_f32_e32 v34, v34, v35
	s_waitcnt vmcnt(32)
	v_mul_f32_e32 v35, v52, v88
	v_fmac_f32_e32 v35, v53, v87
	v_add_f32_e32 v34, v34, v35
	s_waitcnt vmcnt(30) lgkmcnt(7)
	v_mul_f32_e32 v35, v54, v90
	v_fmac_f32_e32 v35, v55, v89
	v_add_f32_e32 v34, v34, v35
	s_waitcnt vmcnt(28)
	v_mul_f32_e32 v35, v56, v92
	v_fmac_f32_e32 v35, v57, v91
	v_add_f32_e32 v34, v34, v35
	;; [unrolled: 8-line block ×8, first 2 shown]
	s_waitcnt vmcnt(2) lgkmcnt(0)
	v_mul_f32_e32 v35, v82, v118
	v_fmac_f32_e32 v35, v83, v117
	v_add_f32_e32 v193, v34, v35
	ds_read2_b64 v[34:37], v214 offset0:95 offset1:96
	buffer_load_dword v121, off, s[0:3], 0 offset:344
	buffer_load_dword v122, off, s[0:3], 0 offset:348
	;; [unrolled: 1-line block ×18, first 2 shown]
	v_mul_f32_e32 v3, v51, v86
	v_fma_f32 v1, v50, v1, -v3
	v_add_f32_e32 v1, v2, v1
	v_mul_f32_e32 v2, v53, v88
	v_fma_f32 v2, v52, v87, -v2
	v_add_f32_e32 v1, v1, v2
	;; [unrolled: 3-line block ×16, first 2 shown]
	v_mul_f32_e32 v2, v83, v118
	v_fma_f32 v2, v82, v117, -v2
	s_waitcnt vmcnt(18)
	v_mul_f32_e32 v195, v84, v120
	v_add_f32_e32 v192, v1, v2
	v_mul_f32_e32 v1, v85, v120
	v_fmac_f32_e32 v195, v85, v119
	v_fma_f32 v194, v84, v119, -v1
	ds_read2_b64 v[2:5], v214 offset0:97 offset1:98
	ds_read2_b64 v[6:9], v214 offset0:99 offset1:100
	;; [unrolled: 1-line block ×3, first 2 shown]
	ds_read_b64 v[14:15], v214 offset:824
	v_pk_add_f32 v[16:17], v[192:193], v[194:195]
	s_waitcnt vmcnt(15)
	v_mov_b32_e32 v18, v197
	s_waitcnt lgkmcnt(4)
	v_pk_mul_f32 v[18:19], v[36:37], v[18:19] op_sel_hi:[1,0]
	s_waitcnt vmcnt(14)
	v_pk_fma_f32 v[20:21], v[36:37], v[196:197], v[18:19] op_sel:[0,0,1] op_sel_hi:[1,1,0] neg_lo:[0,0,1] neg_hi:[0,0,1]
	v_pk_fma_f32 v[18:19], v[36:37], v[196:197], v[18:19] op_sel:[0,0,1] op_sel_hi:[1,0,0]
	s_waitcnt vmcnt(13)
	v_mov_b32_e32 v18, v213
	v_mov_b32_e32 v21, v19
	s_waitcnt lgkmcnt(3)
	v_pk_mul_f32 v[18:19], v[2:3], v[18:19] op_sel_hi:[1,0]
	v_mul_f32_e32 v199, v34, v122
	v_mul_f32_e32 v1, v35, v122
	v_fmac_f32_e32 v199, v35, v121
	v_fma_f32 v198, v34, v121, -v1
	v_pk_add_f32 v[16:17], v[16:17], v[198:199]
	v_pk_add_f32 v[16:17], v[16:17], v[20:21]
	s_waitcnt vmcnt(12)
	v_pk_fma_f32 v[20:21], v[2:3], v[212:213], v[18:19] op_sel:[0,0,1] op_sel_hi:[1,1,0] neg_lo:[0,0,1] neg_hi:[0,0,1]
	v_pk_fma_f32 v[2:3], v[2:3], v[212:213], v[18:19] op_sel:[0,0,1] op_sel_hi:[1,0,0]
	v_mov_b32_e32 v21, v3
	v_pk_add_f32 v[2:3], v[16:17], v[20:21]
	s_waitcnt vmcnt(11)
	v_mov_b32_e32 v16, v211
	v_pk_mul_f32 v[16:17], v[4:5], v[16:17] op_sel_hi:[1,0]
	s_waitcnt vmcnt(10)
	v_pk_fma_f32 v[18:19], v[4:5], v[210:211], v[16:17] op_sel:[0,0,1] op_sel_hi:[1,1,0] neg_lo:[0,0,1] neg_hi:[0,0,1]
	v_pk_fma_f32 v[4:5], v[4:5], v[210:211], v[16:17] op_sel:[0,0,1] op_sel_hi:[1,0,0]
	s_waitcnt vmcnt(9)
	v_mov_b32_e32 v4, v209
	v_mov_b32_e32 v19, v5
	s_waitcnt lgkmcnt(2)
	v_pk_mul_f32 v[4:5], v[6:7], v[4:5] op_sel_hi:[1,0]
	s_waitcnt vmcnt(8)
	v_pk_fma_f32 v[16:17], v[6:7], v[208:209], v[4:5] op_sel:[0,0,1] op_sel_hi:[1,1,0] neg_lo:[0,0,1] neg_hi:[0,0,1]
	v_pk_fma_f32 v[4:5], v[6:7], v[208:209], v[4:5] op_sel:[0,0,1] op_sel_hi:[1,0,0]
	s_waitcnt vmcnt(7)
	v_mov_b32_e32 v4, v207
	v_mov_b32_e32 v17, v5
	v_pk_mul_f32 v[4:5], v[8:9], v[4:5] op_sel_hi:[1,0]
	s_waitcnt vmcnt(6)
	v_pk_fma_f32 v[6:7], v[8:9], v[206:207], v[4:5] op_sel:[0,0,1] op_sel_hi:[1,1,0] neg_lo:[0,0,1] neg_hi:[0,0,1]
	v_pk_fma_f32 v[4:5], v[8:9], v[206:207], v[4:5] op_sel:[0,0,1] op_sel_hi:[1,0,0]
	v_pk_add_f32 v[2:3], v[2:3], v[18:19]
	s_waitcnt vmcnt(5)
	v_mov_b32_e32 v4, v205
	v_pk_add_f32 v[2:3], v[2:3], v[16:17]
	v_mov_b32_e32 v7, v5
	s_waitcnt lgkmcnt(1)
	v_pk_mul_f32 v[4:5], v[10:11], v[4:5] op_sel_hi:[1,0]
	v_pk_add_f32 v[2:3], v[2:3], v[6:7]
	s_waitcnt vmcnt(4)
	v_pk_fma_f32 v[6:7], v[10:11], v[204:205], v[4:5] op_sel:[0,0,1] op_sel_hi:[1,1,0] neg_lo:[0,0,1] neg_hi:[0,0,1]
	v_pk_fma_f32 v[4:5], v[10:11], v[204:205], v[4:5] op_sel:[0,0,1] op_sel_hi:[1,0,0]
	s_waitcnt vmcnt(3)
	v_mov_b32_e32 v4, v203
	v_mov_b32_e32 v7, v5
	v_pk_mul_f32 v[4:5], v[12:13], v[4:5] op_sel_hi:[1,0]
	v_pk_add_f32 v[2:3], v[2:3], v[6:7]
	s_waitcnt vmcnt(2)
	v_pk_fma_f32 v[6:7], v[12:13], v[202:203], v[4:5] op_sel:[0,0,1] op_sel_hi:[1,1,0] neg_lo:[0,0,1] neg_hi:[0,0,1]
	v_pk_fma_f32 v[4:5], v[12:13], v[202:203], v[4:5] op_sel:[0,0,1] op_sel_hi:[1,0,0]
	s_waitcnt vmcnt(1)
	v_mov_b32_e32 v4, v201
	v_mov_b32_e32 v7, v5
	s_waitcnt lgkmcnt(0)
	v_pk_mul_f32 v[4:5], v[14:15], v[4:5] op_sel_hi:[1,0]
	v_pk_add_f32 v[2:3], v[2:3], v[6:7]
	s_waitcnt vmcnt(0)
	v_pk_fma_f32 v[6:7], v[14:15], v[200:201], v[4:5] op_sel:[0,0,1] op_sel_hi:[1,1,0] neg_lo:[0,0,1] neg_hi:[0,0,1]
	v_pk_fma_f32 v[4:5], v[14:15], v[200:201], v[4:5] op_sel:[0,0,1] op_sel_hi:[1,0,0]
	v_mov_b32_e32 v7, v5
	v_pk_add_f32 v[2:3], v[2:3], v[6:7]
	v_pk_add_f32 v[2:3], v[190:191], v[2:3] neg_lo:[0,1] neg_hi:[0,1]
	buffer_store_dword v3, off, s[0:3], 0 offset:20
	buffer_store_dword v2, off, s[0:3], 0 offset:16
	s_and_saveexec_b64 s[4:5], vcc
	s_cbranch_execz .LBB51_323
; %bb.322:
	buffer_load_dword v2, off, s[0:3], 0 offset:8
	buffer_load_dword v3, off, s[0:3], 0 offset:12
	s_waitcnt vmcnt(0)
	ds_write_b64 v129, v[2:3]
	buffer_store_dword v214, off, s[0:3], 0 offset:8
	buffer_store_dword v214, off, s[0:3], 0 offset:12
.LBB51_323:
	s_or_b64 exec, exec, s[4:5]
	s_waitcnt lgkmcnt(0)
	; wave barrier
	s_waitcnt lgkmcnt(0)
	buffer_load_dword v40, off, s[0:3], 0 offset:20
	buffer_load_dword v39, off, s[0:3], 0 offset:28
	;; [unrolled: 1-line block ×32, first 2 shown]
	ds_read_b128 v[22:25], v214 offset:432
	ds_read_b128 v[18:21], v214 offset:448
	;; [unrolled: 1-line block ×6, first 2 shown]
	buffer_load_dword v206, off, s[0:3], 0 offset:136
	buffer_load_dword v207, off, s[0:3], 0 offset:140
	;; [unrolled: 1-line block ×20, first 2 shown]
	v_cmp_ne_u32_e32 vcc, 0, v0
	s_waitcnt vmcnt(51) lgkmcnt(5)
	v_mul_f32_e32 v26, v22, v40
	s_waitcnt vmcnt(50)
	v_mul_f32_e32 v27, v24, v39
	s_waitcnt vmcnt(49) lgkmcnt(4)
	v_mul_f32_e32 v29, v20, v38
	s_waitcnt vmcnt(48) lgkmcnt(3)
	v_mul_f32_e32 v30, v14, v37
	s_waitcnt vmcnt(47)
	v_mul_f32_e32 v31, v16, v36
	s_waitcnt vmcnt(46) lgkmcnt(2)
	v_mul_f32_e32 v32, v10, v1
	s_waitcnt vmcnt(45)
	v_mul_f32_e32 v28, v18, v41
	s_waitcnt vmcnt(44)
	v_mul_f32_e32 v33, v12, v42
	s_waitcnt vmcnt(43) lgkmcnt(1)
	v_mul_f32_e32 v47, v6, v43
	s_waitcnt vmcnt(42)
	v_mul_f32_e32 v48, v8, v44
	s_waitcnt vmcnt(41) lgkmcnt(0)
	v_mul_f32_e32 v49, v2, v45
	s_waitcnt vmcnt(40)
	v_mul_f32_e32 v50, v4, v46
	s_waitcnt vmcnt(39)
	v_fmac_f32_e32 v28, v19, v106
	s_waitcnt vmcnt(38)
	v_fmac_f32_e32 v27, v25, v108
	;; [unrolled: 2-line block ×3, first 2 shown]
	v_add_f32_e32 v26, 0, v26
	v_add_f32_e32 v26, v26, v27
	;; [unrolled: 1-line block ×3, first 2 shown]
	s_waitcnt vmcnt(33)
	v_fmac_f32_e32 v29, v21, v114
	v_fmac_f32_e32 v30, v15, v113
	v_add_f32_e32 v26, v26, v29
	v_fmac_f32_e32 v31, v17, v112
	v_add_f32_e32 v26, v26, v30
	;; [unrolled: 2-line block ×3, first 2 shown]
	s_waitcnt vmcnt(29)
	v_fmac_f32_e32 v33, v13, v118
	v_add_f32_e32 v26, v26, v32
	v_fmac_f32_e32 v47, v7, v117
	v_add_f32_e32 v26, v26, v33
	;; [unrolled: 2-line block ×4, first 2 shown]
	v_add_f32_e32 v30, v26, v49
	ds_read_b128 v[26:29], v214 offset:528
	buffer_load_dword v227, off, s[0:3], 0 offset:216
	buffer_load_dword v228, off, s[0:3], 0 offset:220
	buffer_load_dword v229, off, s[0:3], 0 offset:224
	buffer_load_dword v230, off, s[0:3], 0 offset:228
	s_waitcnt vmcnt(28)
	v_fmac_f32_e32 v50, v5, v123
	v_add_f32_e32 v47, v30, v50
	ds_read_b128 v[30:33], v214 offset:544
	buffer_load_dword v231, off, s[0:3], 0 offset:232
	buffer_load_dword v232, off, s[0:3], 0 offset:236
	;; [unrolled: 1-line block ×12, first 2 shown]
	s_waitcnt vmcnt(39) lgkmcnt(1)
	v_mul_f32_e32 v48, v26, v204
	v_fmac_f32_e32 v48, v27, v122
	buffer_load_dword v243, off, s[0:3], 0 offset:280
	buffer_load_dword v244, off, s[0:3], 0 offset:284
	v_add_f32_e32 v47, v47, v48
	s_waitcnt vmcnt(40)
	v_mul_f32_e32 v48, v28, v205
	v_fmac_f32_e32 v48, v29, v121
	buffer_load_dword v245, off, s[0:3], 0 offset:288
	buffer_load_dword v246, off, s[0:3], 0 offset:292
	v_add_f32_e32 v47, v47, v48
	s_waitcnt lgkmcnt(0)
	v_mul_f32_e32 v48, v30, v120
	v_fmac_f32_e32 v48, v31, v119
	v_add_f32_e32 v47, v47, v48
	ds_read_b128 v[48:51], v214 offset:560
	buffer_load_dword v247, off, s[0:3], 0 offset:296
	buffer_load_dword v248, off, s[0:3], 0 offset:300
	s_waitcnt vmcnt(40)
	v_mul_f32_e32 v52, v32, v207
	v_fmac_f32_e32 v52, v33, v206
	v_add_f32_e32 v47, v47, v52
	ds_read_b128 v[52:55], v214 offset:576
	buffer_load_dword v249, off, s[0:3], 0 offset:304
	buffer_load_dword v250, off, s[0:3], 0 offset:308
	;; [unrolled: 1-line block ×8, first 2 shown]
	s_waitcnt vmcnt(46) lgkmcnt(1)
	v_mul_f32_e32 v56, v48, v209
	v_fmac_f32_e32 v56, v49, v208
	v_add_f32_e32 v47, v47, v56
	s_waitcnt vmcnt(44)
	v_mul_f32_e32 v56, v50, v211
	v_fmac_f32_e32 v56, v51, v210
	v_add_f32_e32 v47, v47, v56
	s_waitcnt vmcnt(42) lgkmcnt(0)
	v_mul_f32_e32 v56, v52, v213
	v_fmac_f32_e32 v56, v53, v212
	v_add_f32_e32 v47, v47, v56
	buffer_load_dword v125, off, s[0:3], 0 offset:336
	buffer_load_dword v126, off, s[0:3], 0 offset:340
	;; [unrolled: 1-line block ×4, first 2 shown]
	ds_read_b128 v[56:59], v214 offset:592
	s_waitcnt vmcnt(44)
	v_mul_f32_e32 v60, v54, v216
	v_fmac_f32_e32 v60, v55, v215
	v_add_f32_e32 v47, v47, v60
	ds_read_b128 v[60:63], v214 offset:608
	s_waitcnt vmcnt(42) lgkmcnt(1)
	v_mul_f32_e32 v64, v56, v218
	v_fmac_f32_e32 v64, v57, v217
	v_add_f32_e32 v47, v47, v64
	s_waitcnt vmcnt(40)
	v_mul_f32_e32 v64, v58, v220
	v_fmac_f32_e32 v64, v59, v219
	v_add_f32_e32 v47, v47, v64
	s_waitcnt vmcnt(38) lgkmcnt(0)
	v_mul_f32_e32 v64, v60, v222
	v_fmac_f32_e32 v64, v61, v221
	v_add_f32_e32 v47, v47, v64
	ds_read_b128 v[64:67], v214 offset:624
	s_waitcnt vmcnt(36)
	v_mul_f32_e32 v68, v62, v224
	v_fmac_f32_e32 v68, v63, v223
	v_add_f32_e32 v47, v47, v68
	ds_read_b128 v[68:71], v214 offset:640
	s_waitcnt vmcnt(34) lgkmcnt(1)
	v_mul_f32_e32 v72, v64, v226
	v_fmac_f32_e32 v72, v65, v225
	v_add_f32_e32 v47, v47, v72
	v_mul_f32_e32 v23, v23, v40
	v_fma_f32 v22, v22, v110, -v23
	v_mul_f32_e32 v23, v25, v39
	v_add_f32_e32 v22, 0, v22
	v_fma_f32 v23, v24, v108, -v23
	v_mul_f32_e32 v19, v19, v41
	v_add_f32_e32 v22, v22, v23
	;; [unrolled: 3-line block ×5, first 2 shown]
	s_waitcnt vmcnt(32)
	v_mul_f32_e32 v72, v66, v228
	v_fmac_f32_e32 v72, v67, v227
	v_add_f32_e32 v47, v47, v72
	s_waitcnt vmcnt(30) lgkmcnt(0)
	v_mul_f32_e32 v72, v68, v230
	v_fmac_f32_e32 v72, v69, v229
	v_add_f32_e32 v47, v47, v72
	ds_read_b128 v[72:75], v214 offset:656
	s_waitcnt vmcnt(28)
	v_mul_f32_e32 v76, v70, v232
	v_fmac_f32_e32 v76, v71, v231
	v_add_f32_e32 v47, v47, v76
	ds_read_b128 v[76:79], v214 offset:672
	s_waitcnt vmcnt(26) lgkmcnt(1)
	v_mul_f32_e32 v80, v72, v234
	v_fmac_f32_e32 v80, v73, v233
	v_add_f32_e32 v47, v47, v80
	s_waitcnt vmcnt(24)
	v_mul_f32_e32 v80, v74, v236
	v_fmac_f32_e32 v80, v75, v235
	v_add_f32_e32 v47, v47, v80
	s_waitcnt vmcnt(22) lgkmcnt(0)
	v_mul_f32_e32 v80, v76, v238
	v_fmac_f32_e32 v80, v77, v237
	v_add_f32_e32 v47, v47, v80
	ds_read_b128 v[80:83], v214 offset:688
	s_waitcnt vmcnt(20)
	v_mul_f32_e32 v84, v78, v240
	v_fmac_f32_e32 v84, v79, v239
	v_add_f32_e32 v47, v47, v84
	ds_read_b128 v[84:87], v214 offset:704
	s_waitcnt vmcnt(18) lgkmcnt(1)
	v_mul_f32_e32 v88, v80, v242
	v_fmac_f32_e32 v88, v81, v241
	v_add_f32_e32 v47, v47, v88
	s_waitcnt vmcnt(16)
	v_mul_f32_e32 v88, v82, v244
	v_fmac_f32_e32 v88, v83, v243
	v_add_f32_e32 v47, v47, v88
	s_waitcnt vmcnt(14) lgkmcnt(0)
	v_mul_f32_e32 v88, v84, v246
	v_fmac_f32_e32 v88, v85, v245
	v_add_f32_e32 v47, v47, v88
	ds_read_b128 v[88:91], v214 offset:720
	s_waitcnt vmcnt(12)
	v_mul_f32_e32 v92, v86, v248
	v_fmac_f32_e32 v92, v87, v247
	v_add_f32_e32 v47, v47, v92
	ds_read_b128 v[92:95], v214 offset:736
	buffer_load_dword v105, off, s[0:3], 0 offset:356
	buffer_load_dword v104, off, s[0:3], 0 offset:352
	s_waitcnt vmcnt(12) lgkmcnt(1)
	v_mul_f32_e32 v96, v88, v250
	v_fmac_f32_e32 v96, v89, v249
	v_add_f32_e32 v47, v47, v96
	s_waitcnt vmcnt(10)
	v_mul_f32_e32 v96, v90, v252
	v_fmac_f32_e32 v96, v91, v251
	v_add_f32_e32 v47, v47, v96
	s_waitcnt vmcnt(8) lgkmcnt(0)
	v_mul_f32_e32 v96, v92, v254
	v_fmac_f32_e32 v96, v93, v253
	s_waitcnt vmcnt(6)
	v_mul_f32_e32 v100, v94, v124
	v_add_f32_e32 v47, v47, v96
	v_fmac_f32_e32 v100, v95, v255
	ds_read_b128 v[96:99], v214 offset:752
	v_add_f32_e32 v47, v47, v100
	ds_read_b128 v[100:103], v214 offset:768
	buffer_load_dword v191, off, s[0:3], 0 offset:388
	buffer_load_dword v190, off, s[0:3], 0 offset:384
	;; [unrolled: 1-line block ×14, first 2 shown]
	v_fma_f32 v15, v16, v112, -v15
	v_mul_f32_e32 v1, v11, v1
	v_add_f32_e32 v14, v14, v15
	v_fma_f32 v1, v10, v111, -v1
	v_mul_f32_e32 v10, v13, v42
	v_add_f32_e32 v1, v14, v1
	;; [unrolled: 3-line block ×3, first 2 shown]
	v_fma_f32 v6, v6, v117, -v7
	v_add_f32_e32 v1, v1, v6
	v_mul_f32_e32 v6, v9, v44
	v_fma_f32 v6, v8, v116, -v6
	v_mul_f32_e32 v3, v3, v45
	v_add_f32_e32 v1, v1, v6
	v_fma_f32 v2, v2, v115, -v3
	v_add_f32_e32 v1, v1, v2
	v_mul_f32_e32 v2, v5, v46
	v_fma_f32 v2, v4, v123, -v2
	v_add_f32_e32 v1, v1, v2
	v_mul_f32_e32 v2, v27, v204
	;; [unrolled: 3-line block ×29, first 2 shown]
	v_fma_f32 v2, v94, v255, -v2
	s_waitcnt vmcnt(15)
	v_mov_b32_e32 v16, v105
	s_waitcnt lgkmcnt(1)
	v_mul_f32_e32 v107, v96, v126
	v_add_f32_e32 v46, v1, v2
	v_mul_f32_e32 v1, v97, v126
	s_waitcnt lgkmcnt(0)
	v_pk_mul_f32 v[16:17], v[100:101], v[16:17] op_sel_hi:[1,0]
	v_fmac_f32_e32 v107, v97, v125
	v_mul_f32_e32 v109, v98, v128
	v_fma_f32 v106, v96, v125, -v1
	v_mul_f32_e32 v1, v99, v128
	s_waitcnt vmcnt(14)
	v_pk_fma_f32 v[18:19], v[100:101], v[104:105], v[16:17] op_sel:[0,0,1] op_sel_hi:[1,1,0] neg_lo:[0,0,1] neg_hi:[0,0,1]
	v_pk_fma_f32 v[16:17], v[100:101], v[104:105], v[16:17] op_sel:[0,0,1] op_sel_hi:[1,0,0]
	v_fmac_f32_e32 v109, v99, v127
	v_fma_f32 v108, v98, v127, -v1
	v_pk_add_f32 v[14:15], v[46:47], v[106:107]
	s_waitcnt vmcnt(7)
	v_mov_b32_e32 v16, v197
	ds_read_b128 v[2:5], v214 offset:784
	ds_read_b128 v[6:9], v214 offset:800
	;; [unrolled: 1-line block ×3, first 2 shown]
	v_pk_add_f32 v[14:15], v[14:15], v[108:109]
	v_mov_b32_e32 v19, v17
	v_pk_mul_f32 v[16:17], v[102:103], v[16:17] op_sel_hi:[1,0]
	v_pk_add_f32 v[14:15], v[14:15], v[18:19]
	s_waitcnt vmcnt(6)
	v_pk_fma_f32 v[18:19], v[102:103], v[196:197], v[16:17] op_sel:[0,0,1] op_sel_hi:[1,1,0] neg_lo:[0,0,1] neg_hi:[0,0,1]
	v_pk_fma_f32 v[16:17], v[102:103], v[196:197], v[16:17] op_sel:[0,0,1] op_sel_hi:[1,0,0]
	v_mov_b32_e32 v16, v195
	v_mov_b32_e32 v19, v17
	s_waitcnt lgkmcnt(2)
	v_pk_mul_f32 v[16:17], v[2:3], v[16:17] op_sel_hi:[1,0]
	v_pk_add_f32 v[14:15], v[14:15], v[18:19]
	v_pk_fma_f32 v[18:19], v[2:3], v[194:195], v[16:17] op_sel:[0,0,1] op_sel_hi:[1,1,0] neg_lo:[0,0,1] neg_hi:[0,0,1]
	v_pk_fma_f32 v[2:3], v[2:3], v[194:195], v[16:17] op_sel:[0,0,1] op_sel_hi:[1,0,0]
	v_mov_b32_e32 v19, v3
	v_pk_add_f32 v[2:3], v[14:15], v[18:19]
	v_mov_b32_e32 v14, v193
	v_pk_mul_f32 v[14:15], v[4:5], v[14:15] op_sel_hi:[1,0]
	v_pk_fma_f32 v[16:17], v[4:5], v[192:193], v[14:15] op_sel:[0,0,1] op_sel_hi:[1,1,0] neg_lo:[0,0,1] neg_hi:[0,0,1]
	v_pk_fma_f32 v[4:5], v[4:5], v[192:193], v[14:15] op_sel:[0,0,1] op_sel_hi:[1,0,0]
	v_mov_b32_e32 v4, v191
	v_mov_b32_e32 v17, v5
	s_waitcnt lgkmcnt(1)
	v_pk_mul_f32 v[4:5], v[6:7], v[4:5] op_sel_hi:[1,0]
	v_pk_fma_f32 v[14:15], v[6:7], v[190:191], v[4:5] op_sel:[0,0,1] op_sel_hi:[1,1,0] neg_lo:[0,0,1] neg_hi:[0,0,1]
	v_pk_fma_f32 v[4:5], v[6:7], v[190:191], v[4:5] op_sel:[0,0,1] op_sel_hi:[1,0,0]
	s_waitcnt vmcnt(1)
	v_mov_b32_e32 v4, v203
	v_mov_b32_e32 v15, v5
	v_pk_mul_f32 v[4:5], v[8:9], v[4:5] op_sel_hi:[1,0]
	s_waitcnt vmcnt(0)
	v_pk_fma_f32 v[6:7], v[8:9], v[202:203], v[4:5] op_sel:[0,0,1] op_sel_hi:[1,1,0] neg_lo:[0,0,1] neg_hi:[0,0,1]
	v_pk_fma_f32 v[4:5], v[8:9], v[202:203], v[4:5] op_sel:[0,0,1] op_sel_hi:[1,0,0]
	v_pk_add_f32 v[2:3], v[2:3], v[16:17]
	v_mov_b32_e32 v4, v201
	v_pk_add_f32 v[2:3], v[2:3], v[14:15]
	v_mov_b32_e32 v7, v5
	s_waitcnt lgkmcnt(0)
	v_pk_mul_f32 v[4:5], v[10:11], v[4:5] op_sel_hi:[1,0]
	v_pk_add_f32 v[2:3], v[2:3], v[6:7]
	v_pk_fma_f32 v[6:7], v[10:11], v[200:201], v[4:5] op_sel:[0,0,1] op_sel_hi:[1,1,0] neg_lo:[0,0,1] neg_hi:[0,0,1]
	v_pk_fma_f32 v[4:5], v[10:11], v[200:201], v[4:5] op_sel:[0,0,1] op_sel_hi:[1,0,0]
	v_mov_b32_e32 v4, v199
	v_mov_b32_e32 v7, v5
	v_pk_mul_f32 v[4:5], v[12:13], v[4:5] op_sel_hi:[1,0]
	v_pk_add_f32 v[2:3], v[2:3], v[6:7]
	v_pk_fma_f32 v[6:7], v[12:13], v[198:199], v[4:5] op_sel:[0,0,1] op_sel_hi:[1,1,0] neg_lo:[0,0,1] neg_hi:[0,0,1]
	v_pk_fma_f32 v[4:5], v[12:13], v[198:199], v[4:5] op_sel:[0,0,1] op_sel_hi:[1,0,0]
	v_mov_b32_e32 v7, v5
	v_pk_add_f32 v[2:3], v[2:3], v[6:7]
	v_pk_add_f32 v[2:3], v[34:35], v[2:3] neg_lo:[0,1] neg_hi:[0,1]
	buffer_store_dword v3, off, s[0:3], 0 offset:12
	buffer_store_dword v2, off, s[0:3], 0 offset:8
	s_and_saveexec_b64 s[4:5], vcc
	s_cbranch_execz .LBB51_325
; %bb.324:
	buffer_load_dword v0, off, s[0:3], 0
	buffer_load_dword v1, off, s[0:3], 0 offset:4
	v_mov_b32_e32 v2, 0
	buffer_store_dword v2, off, s[0:3], 0
	buffer_store_dword v2, off, s[0:3], 0 offset:4
	s_waitcnt vmcnt(2)
	ds_write_b64 v129, v[0:1]
.LBB51_325:
	s_or_b64 exec, exec, s[4:5]
	s_waitcnt lgkmcnt(0)
	; wave barrier
	s_waitcnt lgkmcnt(0)
	buffer_load_dword v44, off, s[0:3], 0 offset:12
	buffer_load_dword v43, off, s[0:3], 0 offset:20
	;; [unrolled: 1-line block ×30, first 2 shown]
	buffer_load_dword v36, off, s[0:3], 0
	buffer_load_dword v37, off, s[0:3], 0 offset:4
	buffer_load_dword v117, off, s[0:3], 0 offset:128
	;; [unrolled: 1-line block ×17, first 2 shown]
	v_mov_b32_e32 v38, 0
	ds_read2_b64 v[20:23], v38 offset0:53 offset1:54
	ds_read2_b64 v[16:19], v38 offset0:55 offset1:56
	;; [unrolled: 1-line block ×6, first 2 shown]
	buffer_load_dword v216, off, s[0:3], 0 offset:192
	buffer_load_dword v217, off, s[0:3], 0 offset:196
	s_and_b64 vcc, exec, s[20:21]
	s_waitcnt vmcnt(49) lgkmcnt(5)
	v_mul_f32_e32 v24, v20, v44
	s_waitcnt vmcnt(48)
	v_mul_f32_e32 v25, v22, v43
	s_waitcnt vmcnt(47) lgkmcnt(4)
	v_mul_f32_e32 v27, v18, v42
	s_waitcnt vmcnt(46) lgkmcnt(3)
	v_mul_f32_e32 v28, v12, v41
	s_waitcnt vmcnt(45)
	v_mul_f32_e32 v29, v14, v40
	s_waitcnt vmcnt(44) lgkmcnt(2)
	v_mul_f32_e32 v30, v8, v39
	s_waitcnt vmcnt(43)
	v_mul_f32_e32 v26, v16, v45
	s_waitcnt vmcnt(42)
	v_mul_f32_e32 v31, v10, v46
	s_waitcnt vmcnt(41) lgkmcnt(1)
	v_mul_f32_e32 v32, v4, v47
	s_waitcnt vmcnt(40)
	v_mul_f32_e32 v33, v6, v48
	s_waitcnt vmcnt(39) lgkmcnt(0)
	v_mul_f32_e32 v34, v0, v49
	s_waitcnt vmcnt(38)
	v_mul_f32_e32 v35, v2, v50
	s_waitcnt vmcnt(37)
	v_fmac_f32_e32 v26, v17, v56
	s_waitcnt vmcnt(36)
	v_fmac_f32_e32 v25, v23, v59
	s_waitcnt vmcnt(35)
	v_fmac_f32_e32 v24, v21, v110
	v_add_f32_e32 v24, 0, v24
	v_add_f32_e32 v24, v24, v25
	;; [unrolled: 1-line block ×3, first 2 shown]
	s_waitcnt vmcnt(31)
	v_fmac_f32_e32 v27, v19, v61
	v_fmac_f32_e32 v28, v13, v58
	v_add_f32_e32 v24, v24, v27
	v_fmac_f32_e32 v29, v15, v55
	v_add_f32_e32 v24, v24, v28
	;; [unrolled: 2-line block ×3, first 2 shown]
	s_waitcnt vmcnt(27)
	v_fmac_f32_e32 v31, v11, v57
	v_add_f32_e32 v24, v24, v30
	v_fmac_f32_e32 v32, v5, v54
	v_add_f32_e32 v24, v24, v31
	;; [unrolled: 2-line block ×4, first 2 shown]
	s_waitcnt vmcnt(22)
	v_fmac_f32_e32 v35, v3, v114
	v_add_f32_e32 v24, v24, v34
	v_add_f32_e32 v32, v24, v35
	ds_read2_b64 v[24:27], v38 offset0:65 offset1:66
	buffer_load_dword v218, off, s[0:3], 0 offset:200
	buffer_load_dword v219, off, s[0:3], 0 offset:204
	ds_read2_b64 v[28:31], v38 offset0:67 offset1:68
	buffer_load_dword v220, off, s[0:3], 0 offset:208
	buffer_load_dword v221, off, s[0:3], 0 offset:212
	;; [unrolled: 1-line block ×12, first 2 shown]
	s_waitcnt vmcnt(35) lgkmcnt(1)
	v_mul_f32_e32 v33, v24, v115
	v_fmac_f32_e32 v33, v25, v113
	buffer_load_dword v232, off, s[0:3], 0 offset:256
	buffer_load_dword v233, off, s[0:3], 0 offset:260
	v_add_f32_e32 v32, v32, v33
	s_waitcnt vmcnt(36)
	v_mul_f32_e32 v33, v26, v116
	v_fmac_f32_e32 v33, v27, v112
	v_add_f32_e32 v32, v32, v33
	s_waitcnt lgkmcnt(0)
	v_mul_f32_e32 v33, v28, v111
	buffer_load_dword v234, off, s[0:3], 0 offset:264
	buffer_load_dword v235, off, s[0:3], 0 offset:268
	v_fmac_f32_e32 v33, v29, v60
	v_add_f32_e32 v62, v32, v33
	ds_read2_b64 v[32:35], v38 offset0:69 offset1:70
	buffer_load_dword v236, off, s[0:3], 0 offset:272
	buffer_load_dword v237, off, s[0:3], 0 offset:276
	;; [unrolled: 1-line block ×4, first 2 shown]
	s_waitcnt vmcnt(38)
	v_mul_f32_e32 v63, v30, v118
	v_fmac_f32_e32 v63, v31, v117
	v_add_f32_e32 v66, v62, v63
	ds_read2_b64 v[62:65], v38 offset0:71 offset1:72
	buffer_load_dword v240, off, s[0:3], 0 offset:288
	buffer_load_dword v241, off, s[0:3], 0 offset:292
	;; [unrolled: 1-line block ×10, first 2 shown]
	s_waitcnt vmcnt(46) lgkmcnt(1)
	v_mul_f32_e32 v67, v32, v120
	v_fmac_f32_e32 v67, v33, v119
	v_add_f32_e32 v66, v66, v67
	s_waitcnt vmcnt(44)
	v_mul_f32_e32 v67, v34, v122
	v_fmac_f32_e32 v67, v35, v121
	v_add_f32_e32 v66, v66, v67
	s_waitcnt vmcnt(42) lgkmcnt(0)
	v_mul_f32_e32 v67, v62, v124
	v_fmac_f32_e32 v67, v63, v123
	v_add_f32_e32 v70, v66, v67
	buffer_load_dword v250, off, s[0:3], 0 offset:328
	buffer_load_dword v251, off, s[0:3], 0 offset:332
	;; [unrolled: 1-line block ×6, first 2 shown]
	ds_read2_b64 v[66:69], v38 offset0:73 offset1:74
	s_waitcnt vmcnt(46)
	v_mul_f32_e32 v71, v64, v126
	v_fmac_f32_e32 v71, v65, v125
	v_add_f32_e32 v74, v70, v71
	ds_read2_b64 v[70:73], v38 offset0:75 offset1:76
	s_waitcnt vmcnt(44) lgkmcnt(1)
	v_mul_f32_e32 v75, v66, v128
	v_fmac_f32_e32 v75, v67, v127
	v_add_f32_e32 v74, v74, v75
	s_waitcnt vmcnt(42)
	v_mul_f32_e32 v75, v68, v194
	v_fmac_f32_e32 v75, v69, v129
	v_add_f32_e32 v74, v74, v75
	s_waitcnt vmcnt(40) lgkmcnt(0)
	v_mul_f32_e32 v75, v70, v198
	v_fmac_f32_e32 v75, v71, v196
	v_add_f32_e32 v78, v74, v75
	ds_read2_b64 v[74:77], v38 offset0:77 offset1:78
	s_waitcnt vmcnt(38)
	v_mul_f32_e32 v79, v72, v217
	v_fmac_f32_e32 v79, v73, v216
	v_add_f32_e32 v82, v78, v79
	ds_read2_b64 v[78:81], v38 offset0:79 offset1:80
	v_mul_f32_e32 v21, v21, v44
	v_fma_f32 v20, v20, v110, -v21
	v_mul_f32_e32 v21, v23, v43
	v_add_f32_e32 v20, 0, v20
	v_fma_f32 v21, v22, v59, -v21
	v_mul_f32_e32 v17, v17, v45
	v_add_f32_e32 v20, v20, v21
	;; [unrolled: 3-line block ×6, first 2 shown]
	v_fma_f32 v8, v8, v53, -v9
	s_waitcnt vmcnt(36) lgkmcnt(1)
	v_mul_f32_e32 v83, v74, v219
	v_fmac_f32_e32 v83, v75, v218
	v_add_f32_e32 v82, v82, v83
	s_waitcnt vmcnt(34)
	v_mul_f32_e32 v83, v76, v221
	v_fmac_f32_e32 v83, v77, v220
	v_add_f32_e32 v82, v82, v83
	s_waitcnt vmcnt(32) lgkmcnt(0)
	v_mul_f32_e32 v83, v78, v223
	v_fmac_f32_e32 v83, v79, v222
	v_add_f32_e32 v86, v82, v83
	ds_read2_b64 v[82:85], v38 offset0:81 offset1:82
	s_waitcnt vmcnt(30)
	v_mul_f32_e32 v87, v80, v225
	v_fmac_f32_e32 v87, v81, v224
	v_add_f32_e32 v90, v86, v87
	ds_read2_b64 v[86:89], v38 offset0:83 offset1:84
	s_waitcnt vmcnt(28) lgkmcnt(1)
	v_mul_f32_e32 v91, v82, v227
	v_fmac_f32_e32 v91, v83, v226
	v_add_f32_e32 v90, v90, v91
	s_waitcnt vmcnt(26)
	v_mul_f32_e32 v91, v84, v229
	v_fmac_f32_e32 v91, v85, v228
	v_add_f32_e32 v90, v90, v91
	s_waitcnt vmcnt(24) lgkmcnt(0)
	v_mul_f32_e32 v91, v86, v231
	v_fmac_f32_e32 v91, v87, v230
	v_add_f32_e32 v94, v90, v91
	ds_read2_b64 v[90:93], v38 offset0:85 offset1:86
	s_waitcnt vmcnt(22)
	v_mul_f32_e32 v95, v88, v233
	v_fmac_f32_e32 v95, v89, v232
	v_add_f32_e32 v98, v94, v95
	ds_read2_b64 v[94:97], v38 offset0:87 offset1:88
	;; [unrolled: 18-line block ×3, first 2 shown]
	s_waitcnt vmcnt(12) lgkmcnt(1)
	v_mul_f32_e32 v107, v98, v243
	v_fmac_f32_e32 v107, v99, v242
	v_add_f32_e32 v106, v106, v107
	s_waitcnt vmcnt(10)
	v_mul_f32_e32 v107, v100, v245
	v_fmac_f32_e32 v107, v101, v244
	v_add_f32_e32 v106, v106, v107
	s_waitcnt vmcnt(8) lgkmcnt(0)
	v_mul_f32_e32 v107, v102, v247
	v_fmac_f32_e32 v107, v103, v246
	s_waitcnt vmcnt(6)
	v_mul_f32_e32 v191, v104, v249
	v_add_f32_e32 v190, v106, v107
	v_fmac_f32_e32 v191, v105, v248
	ds_read2_b64 v[106:109], v38 offset0:93 offset1:94
	v_add_f32_e32 v195, v190, v191
	ds_read2_b64 v[190:193], v38 offset0:95 offset1:96
	buffer_load_dword v201, off, s[0:3], 0 offset:380
	buffer_load_dword v200, off, s[0:3], 0 offset:376
	;; [unrolled: 1-line block ×16, first 2 shown]
	v_mul_f32_e32 v9, v11, v46
	v_add_f32_e32 v8, v12, v8
	v_fma_f32 v9, v10, v57, -v9
	v_mul_f32_e32 v5, v5, v47
	v_add_f32_e32 v8, v8, v9
	v_fma_f32 v4, v4, v54, -v5
	;; [unrolled: 3-line block ×5, first 2 shown]
	v_add_f32_e32 v0, v0, v1
	v_mul_f32_e32 v1, v25, v115
	v_fma_f32 v1, v24, v113, -v1
	v_add_f32_e32 v0, v0, v1
	v_mul_f32_e32 v1, v27, v116
	v_fma_f32 v1, v26, v112, -v1
	;; [unrolled: 3-line block ×28, first 2 shown]
	v_add_f32_e32 v0, v0, v1
	s_waitcnt vmcnt(20) lgkmcnt(1)
	v_mul_f32_e32 v1, v107, v251
	v_mul_f32_e32 v197, v106, v251
	v_fma_f32 v1, v106, v250, -v1
	v_fmac_f32_e32 v197, v107, v250
	v_add_f32_e32 v194, v0, v1
	s_waitcnt vmcnt(18)
	v_mul_f32_e32 v0, v109, v253
	s_waitcnt vmcnt(9)
	v_mov_b32_e32 v16, v207
	v_add_f32_e32 v195, v195, v197
	v_mul_f32_e32 v197, v108, v253
	v_fma_f32 v196, v108, v252, -v0
	s_waitcnt lgkmcnt(0)
	v_mul_f32_e32 v0, v191, v255
	v_pk_mul_f32 v[16:17], v[192:193], v[16:17] op_sel_hi:[1,0]
	v_fmac_f32_e32 v197, v109, v252
	v_mul_f32_e32 v199, v190, v255
	v_fma_f32 v198, v190, v254, -v0
	ds_read2_b64 v[0:3], v38 offset0:97 offset1:98
	ds_read2_b64 v[4:7], v38 offset0:99 offset1:100
	;; [unrolled: 1-line block ×3, first 2 shown]
	ds_read_b64 v[12:13], v38 offset:824
	s_waitcnt vmcnt(8)
	v_pk_fma_f32 v[18:19], v[192:193], v[206:207], v[16:17] op_sel:[0,0,1] op_sel_hi:[1,1,0] neg_lo:[0,0,1] neg_hi:[0,0,1]
	v_pk_fma_f32 v[16:17], v[192:193], v[206:207], v[16:17] op_sel:[0,0,1] op_sel_hi:[1,0,0]
	v_fmac_f32_e32 v199, v191, v254
	v_pk_add_f32 v[14:15], v[194:195], v[196:197]
	v_mov_b32_e32 v16, v205
	v_pk_add_f32 v[14:15], v[14:15], v[198:199]
	v_mov_b32_e32 v19, v17
	s_waitcnt lgkmcnt(3)
	v_pk_mul_f32 v[16:17], v[0:1], v[16:17] op_sel_hi:[1,0]
	v_pk_add_f32 v[14:15], v[14:15], v[18:19]
	v_pk_fma_f32 v[18:19], v[0:1], v[204:205], v[16:17] op_sel:[0,0,1] op_sel_hi:[1,1,0] neg_lo:[0,0,1] neg_hi:[0,0,1]
	v_pk_fma_f32 v[0:1], v[0:1], v[204:205], v[16:17] op_sel:[0,0,1] op_sel_hi:[1,0,0]
	v_mov_b32_e32 v19, v1
	v_pk_add_f32 v[0:1], v[14:15], v[18:19]
	v_mov_b32_e32 v14, v203
	v_pk_mul_f32 v[14:15], v[2:3], v[14:15] op_sel_hi:[1,0]
	v_pk_fma_f32 v[16:17], v[2:3], v[202:203], v[14:15] op_sel:[0,0,1] op_sel_hi:[1,1,0] neg_lo:[0,0,1] neg_hi:[0,0,1]
	v_pk_fma_f32 v[2:3], v[2:3], v[202:203], v[14:15] op_sel:[0,0,1] op_sel_hi:[1,0,0]
	v_mov_b32_e32 v2, v201
	v_mov_b32_e32 v17, v3
	s_waitcnt lgkmcnt(2)
	v_pk_mul_f32 v[2:3], v[4:5], v[2:3] op_sel_hi:[1,0]
	v_pk_fma_f32 v[14:15], v[4:5], v[200:201], v[2:3] op_sel:[0,0,1] op_sel_hi:[1,1,0] neg_lo:[0,0,1] neg_hi:[0,0,1]
	v_pk_fma_f32 v[2:3], v[4:5], v[200:201], v[2:3] op_sel:[0,0,1] op_sel_hi:[1,0,0]
	s_waitcnt vmcnt(1)
	v_mov_b32_e32 v2, v215
	v_mov_b32_e32 v15, v3
	v_pk_mul_f32 v[2:3], v[6:7], v[2:3] op_sel_hi:[1,0]
	s_waitcnt vmcnt(0)
	v_pk_fma_f32 v[4:5], v[6:7], v[214:215], v[2:3] op_sel:[0,0,1] op_sel_hi:[1,1,0] neg_lo:[0,0,1] neg_hi:[0,0,1]
	v_pk_fma_f32 v[2:3], v[6:7], v[214:215], v[2:3] op_sel:[0,0,1] op_sel_hi:[1,0,0]
	v_pk_add_f32 v[0:1], v[0:1], v[16:17]
	v_mov_b32_e32 v2, v213
	v_pk_add_f32 v[0:1], v[0:1], v[14:15]
	v_mov_b32_e32 v5, v3
	s_waitcnt lgkmcnt(1)
	v_pk_mul_f32 v[2:3], v[8:9], v[2:3] op_sel_hi:[1,0]
	v_pk_add_f32 v[0:1], v[0:1], v[4:5]
	v_pk_fma_f32 v[4:5], v[8:9], v[212:213], v[2:3] op_sel:[0,0,1] op_sel_hi:[1,1,0] neg_lo:[0,0,1] neg_hi:[0,0,1]
	v_pk_fma_f32 v[2:3], v[8:9], v[212:213], v[2:3] op_sel:[0,0,1] op_sel_hi:[1,0,0]
	v_mov_b32_e32 v2, v211
	v_mov_b32_e32 v5, v3
	v_pk_mul_f32 v[2:3], v[10:11], v[2:3] op_sel_hi:[1,0]
	v_pk_add_f32 v[0:1], v[0:1], v[4:5]
	v_pk_fma_f32 v[4:5], v[10:11], v[210:211], v[2:3] op_sel:[0,0,1] op_sel_hi:[1,1,0] neg_lo:[0,0,1] neg_hi:[0,0,1]
	v_pk_fma_f32 v[2:3], v[10:11], v[210:211], v[2:3] op_sel:[0,0,1] op_sel_hi:[1,0,0]
	v_mov_b32_e32 v2, v209
	v_mov_b32_e32 v5, v3
	s_waitcnt lgkmcnt(0)
	v_pk_mul_f32 v[2:3], v[12:13], v[2:3] op_sel_hi:[1,0]
	v_pk_add_f32 v[0:1], v[0:1], v[4:5]
	v_pk_fma_f32 v[4:5], v[12:13], v[208:209], v[2:3] op_sel:[0,0,1] op_sel_hi:[1,1,0] neg_lo:[0,0,1] neg_hi:[0,0,1]
	v_pk_fma_f32 v[2:3], v[12:13], v[208:209], v[2:3] op_sel:[0,0,1] op_sel_hi:[1,0,0]
	v_mov_b32_e32 v5, v3
	v_pk_add_f32 v[0:1], v[0:1], v[4:5]
	v_pk_add_f32 v[0:1], v[36:37], v[0:1] neg_lo:[0,1] neg_hi:[0,1]
	buffer_store_dword v1, off, s[0:3], 0 offset:4
	buffer_store_dword v0, off, s[0:3], 0
	s_cbranch_vccz .LBB51_429
; %bb.326:
	v_pk_mov_b32 v[0:1], s[10:11], s[10:11] op_sel:[0,1]
	flat_load_dword v0, v[0:1] offset:200
	s_waitcnt vmcnt(0) lgkmcnt(0)
	v_add_u32_e32 v0, -1, v0
	v_cmp_ne_u32_e32 vcc, 50, v0
	s_and_saveexec_b64 s[4:5], vcc
	s_cbranch_execz .LBB51_328
; %bb.327:
	v_mov_b32_e32 v1, 0
	v_lshl_add_u32 v0, v0, 3, v1
	buffer_load_dword v1, v0, s[0:3], 0 offen
	buffer_load_dword v2, v0, s[0:3], 0 offen offset:4
	buffer_load_dword v3, off, s[0:3], 0 offset:404
	buffer_load_dword v4, off, s[0:3], 0 offset:400
	s_waitcnt vmcnt(3)
	buffer_store_dword v1, off, s[0:3], 0 offset:400
	s_waitcnt vmcnt(3)
	buffer_store_dword v2, off, s[0:3], 0 offset:404
	s_waitcnt vmcnt(3)
	buffer_store_dword v3, v0, s[0:3], 0 offen offset:4
	s_waitcnt vmcnt(3)
	buffer_store_dword v4, v0, s[0:3], 0 offen
.LBB51_328:
	s_or_b64 exec, exec, s[4:5]
	v_pk_mov_b32 v[0:1], s[10:11], s[10:11] op_sel:[0,1]
	flat_load_dword v0, v[0:1] offset:196
	s_waitcnt vmcnt(0) lgkmcnt(0)
	v_add_u32_e32 v0, -1, v0
	v_cmp_ne_u32_e32 vcc, 49, v0
	s_and_saveexec_b64 s[4:5], vcc
	s_cbranch_execz .LBB51_330
; %bb.329:
	v_mov_b32_e32 v1, 0
	v_lshl_add_u32 v0, v0, 3, v1
	buffer_load_dword v1, v0, s[0:3], 0 offen
	buffer_load_dword v2, v0, s[0:3], 0 offen offset:4
	buffer_load_dword v3, off, s[0:3], 0 offset:392
	buffer_load_dword v4, off, s[0:3], 0 offset:396
	s_waitcnt vmcnt(3)
	buffer_store_dword v1, off, s[0:3], 0 offset:392
	s_waitcnt vmcnt(3)
	buffer_store_dword v2, off, s[0:3], 0 offset:396
	s_waitcnt vmcnt(3)
	buffer_store_dword v3, v0, s[0:3], 0 offen
	s_waitcnt vmcnt(3)
	buffer_store_dword v4, v0, s[0:3], 0 offen offset:4
.LBB51_330:
	s_or_b64 exec, exec, s[4:5]
	v_pk_mov_b32 v[0:1], s[10:11], s[10:11] op_sel:[0,1]
	flat_load_dword v0, v[0:1] offset:192
	s_waitcnt vmcnt(0) lgkmcnt(0)
	v_add_u32_e32 v0, -1, v0
	v_cmp_ne_u32_e32 vcc, 48, v0
	s_and_saveexec_b64 s[4:5], vcc
	s_cbranch_execz .LBB51_332
; %bb.331:
	v_mov_b32_e32 v1, 0
	v_lshl_add_u32 v0, v0, 3, v1
	buffer_load_dword v1, v0, s[0:3], 0 offen
	buffer_load_dword v2, v0, s[0:3], 0 offen offset:4
	buffer_load_dword v3, off, s[0:3], 0 offset:388
	buffer_load_dword v4, off, s[0:3], 0 offset:384
	s_waitcnt vmcnt(3)
	buffer_store_dword v1, off, s[0:3], 0 offset:384
	s_waitcnt vmcnt(3)
	buffer_store_dword v2, off, s[0:3], 0 offset:388
	s_waitcnt vmcnt(3)
	buffer_store_dword v3, v0, s[0:3], 0 offen offset:4
	s_waitcnt vmcnt(3)
	buffer_store_dword v4, v0, s[0:3], 0 offen
.LBB51_332:
	s_or_b64 exec, exec, s[4:5]
	v_pk_mov_b32 v[0:1], s[10:11], s[10:11] op_sel:[0,1]
	flat_load_dword v0, v[0:1] offset:188
	s_waitcnt vmcnt(0) lgkmcnt(0)
	v_add_u32_e32 v0, -1, v0
	v_cmp_ne_u32_e32 vcc, 47, v0
	s_and_saveexec_b64 s[4:5], vcc
	s_cbranch_execz .LBB51_334
; %bb.333:
	v_mov_b32_e32 v1, 0
	v_lshl_add_u32 v0, v0, 3, v1
	buffer_load_dword v1, v0, s[0:3], 0 offen
	buffer_load_dword v2, v0, s[0:3], 0 offen offset:4
	buffer_load_dword v3, off, s[0:3], 0 offset:376
	buffer_load_dword v4, off, s[0:3], 0 offset:380
	s_waitcnt vmcnt(3)
	buffer_store_dword v1, off, s[0:3], 0 offset:376
	s_waitcnt vmcnt(3)
	buffer_store_dword v2, off, s[0:3], 0 offset:380
	s_waitcnt vmcnt(3)
	buffer_store_dword v3, v0, s[0:3], 0 offen
	s_waitcnt vmcnt(3)
	buffer_store_dword v4, v0, s[0:3], 0 offen offset:4
.LBB51_334:
	s_or_b64 exec, exec, s[4:5]
	;; [unrolled: 48-line block ×25, first 2 shown]
	v_pk_mov_b32 v[0:1], s[10:11], s[10:11] op_sel:[0,1]
	flat_load_dword v2, v[0:1]
	s_nop 0
	buffer_load_dword v0, off, s[0:3], 0
	buffer_load_dword v1, off, s[0:3], 0 offset:4
	s_waitcnt vmcnt(0) lgkmcnt(0)
	v_add_u32_e32 v2, -1, v2
	v_cmp_ne_u32_e32 vcc, 0, v2
	s_and_saveexec_b64 s[4:5], vcc
	s_cbranch_execz .LBB51_428
; %bb.427:
	v_mov_b32_e32 v3, 0
	v_lshl_add_u32 v2, v2, 3, v3
	buffer_load_dword v3, v2, s[0:3], 0 offen offset:4
	buffer_load_dword v4, v2, s[0:3], 0 offen
	s_waitcnt vmcnt(1)
	buffer_store_dword v3, off, s[0:3], 0 offset:4
	s_waitcnt vmcnt(1)
	buffer_store_dword v4, off, s[0:3], 0
	buffer_store_dword v1, v2, s[0:3], 0 offen offset:4
	buffer_store_dword v0, v2, s[0:3], 0 offen
	buffer_load_dword v0, off, s[0:3], 0
	s_nop 0
	buffer_load_dword v1, off, s[0:3], 0 offset:4
.LBB51_428:
	s_or_b64 exec, exec, s[4:5]
.LBB51_429:
	buffer_load_dword v2, off, s[0:3], 0 offset:8
	buffer_load_dword v3, off, s[0:3], 0 offset:12
	buffer_load_dword v4, off, s[0:3], 0 offset:16
	buffer_load_dword v5, off, s[0:3], 0 offset:20
	buffer_load_dword v6, off, s[0:3], 0 offset:24
	buffer_load_dword v7, off, s[0:3], 0 offset:28
	buffer_load_dword v8, off, s[0:3], 0 offset:32
	buffer_load_dword v9, off, s[0:3], 0 offset:36
	buffer_load_dword v10, off, s[0:3], 0 offset:40
	buffer_load_dword v11, off, s[0:3], 0 offset:44
	buffer_load_dword v12, off, s[0:3], 0 offset:48
	buffer_load_dword v13, off, s[0:3], 0 offset:52
	buffer_load_dword v14, off, s[0:3], 0 offset:56
	buffer_load_dword v15, off, s[0:3], 0 offset:60
	buffer_load_dword v16, off, s[0:3], 0 offset:64
	buffer_load_dword v17, off, s[0:3], 0 offset:68
	buffer_load_dword v18, off, s[0:3], 0 offset:72
	buffer_load_dword v19, off, s[0:3], 0 offset:76
	buffer_load_dword v20, off, s[0:3], 0 offset:80
	buffer_load_dword v21, off, s[0:3], 0 offset:84
	buffer_load_dword v22, off, s[0:3], 0 offset:88
	buffer_load_dword v23, off, s[0:3], 0 offset:92
	buffer_load_dword v24, off, s[0:3], 0 offset:96
	buffer_load_dword v25, off, s[0:3], 0 offset:100
	buffer_load_dword v26, off, s[0:3], 0 offset:104
	buffer_load_dword v27, off, s[0:3], 0 offset:108
	buffer_load_dword v28, off, s[0:3], 0 offset:112
	buffer_load_dword v29, off, s[0:3], 0 offset:116
	buffer_load_dword v30, off, s[0:3], 0 offset:120
	buffer_load_dword v31, off, s[0:3], 0 offset:124
	buffer_load_dword v32, off, s[0:3], 0 offset:128
	buffer_load_dword v33, off, s[0:3], 0 offset:132
	buffer_load_dword v34, off, s[0:3], 0 offset:136
	buffer_load_dword v35, off, s[0:3], 0 offset:140
	buffer_load_dword v36, off, s[0:3], 0 offset:144
	buffer_load_dword v37, off, s[0:3], 0 offset:148
	buffer_load_dword v38, off, s[0:3], 0 offset:152
	buffer_load_dword v39, off, s[0:3], 0 offset:156
	buffer_load_dword v40, off, s[0:3], 0 offset:160
	buffer_load_dword v41, off, s[0:3], 0 offset:164
	buffer_load_dword v42, off, s[0:3], 0 offset:168
	buffer_load_dword v43, off, s[0:3], 0 offset:172
	buffer_load_dword v44, off, s[0:3], 0 offset:176
	buffer_load_dword v45, off, s[0:3], 0 offset:180
	buffer_load_dword v46, off, s[0:3], 0 offset:184
	buffer_load_dword v47, off, s[0:3], 0 offset:188
	buffer_load_dword v48, off, s[0:3], 0 offset:192
	buffer_load_dword v49, off, s[0:3], 0 offset:196
	buffer_load_dword v50, off, s[0:3], 0 offset:200
	buffer_load_dword v51, off, s[0:3], 0 offset:204
	buffer_load_dword v52, off, s[0:3], 0 offset:208
	buffer_load_dword v53, off, s[0:3], 0 offset:212
	buffer_load_dword v54, off, s[0:3], 0 offset:216
	buffer_load_dword v55, off, s[0:3], 0 offset:220
	buffer_load_dword v56, off, s[0:3], 0 offset:224
	buffer_load_dword v57, off, s[0:3], 0 offset:228
	buffer_load_dword v58, off, s[0:3], 0 offset:232
	buffer_load_dword v59, off, s[0:3], 0 offset:236
	buffer_load_dword v60, off, s[0:3], 0 offset:240
	buffer_load_dword v61, off, s[0:3], 0 offset:244
	buffer_load_dword v62, off, s[0:3], 0 offset:248
	buffer_load_dword v63, off, s[0:3], 0 offset:252
	buffer_load_dword v64, off, s[0:3], 0 offset:256
	buffer_load_dword v65, off, s[0:3], 0 offset:260
	buffer_load_dword v66, off, s[0:3], 0 offset:264
	buffer_load_dword v67, off, s[0:3], 0 offset:268
	buffer_load_dword v68, off, s[0:3], 0 offset:272
	buffer_load_dword v69, off, s[0:3], 0 offset:276
	buffer_load_dword v70, off, s[0:3], 0 offset:280
	buffer_load_dword v71, off, s[0:3], 0 offset:284
	buffer_load_dword v72, off, s[0:3], 0 offset:288
	buffer_load_dword v73, off, s[0:3], 0 offset:292
	buffer_load_dword v74, off, s[0:3], 0 offset:296
	buffer_load_dword v75, off, s[0:3], 0 offset:300
	buffer_load_dword v76, off, s[0:3], 0 offset:304
	buffer_load_dword v77, off, s[0:3], 0 offset:308
	buffer_load_dword v78, off, s[0:3], 0 offset:312
	buffer_load_dword v79, off, s[0:3], 0 offset:316
	buffer_load_dword v80, off, s[0:3], 0 offset:320
	buffer_load_dword v81, off, s[0:3], 0 offset:324
	buffer_load_dword v82, off, s[0:3], 0 offset:328
	buffer_load_dword v83, off, s[0:3], 0 offset:332
	buffer_load_dword v84, off, s[0:3], 0 offset:336
	buffer_load_dword v85, off, s[0:3], 0 offset:340
	buffer_load_dword v86, off, s[0:3], 0 offset:344
	buffer_load_dword v87, off, s[0:3], 0 offset:348
	buffer_load_dword v88, off, s[0:3], 0 offset:352
	buffer_load_dword v89, off, s[0:3], 0 offset:356
	buffer_load_dword v90, off, s[0:3], 0 offset:360
	buffer_load_dword v91, off, s[0:3], 0 offset:364
	buffer_load_dword v92, off, s[0:3], 0 offset:368
	buffer_load_dword v93, off, s[0:3], 0 offset:372
	buffer_load_dword v94, off, s[0:3], 0 offset:376
	buffer_load_dword v95, off, s[0:3], 0 offset:380
	buffer_load_dword v96, off, s[0:3], 0 offset:384
	buffer_load_dword v97, off, s[0:3], 0 offset:388
	buffer_load_dword v98, off, s[0:3], 0 offset:392
	buffer_load_dword v99, off, s[0:3], 0 offset:396
	buffer_load_dword v100, off, s[0:3], 0 offset:400
	buffer_load_dword v101, off, s[0:3], 0 offset:404
	buffer_load_dword v102, off, s[0:3], 0 offset:408
	buffer_load_dword v103, off, s[0:3], 0 offset:412
	s_waitcnt vmcnt(62)
	global_store_dwordx2 v[180:181], v[0:1], off
	global_store_dwordx2 v[182:183], v[2:3], off
	v_accvgpr_read_b32 v0, a0
	v_accvgpr_read_b32 v1, a1
	global_store_dwordx2 v[0:1], v[4:5], off
	v_accvgpr_read_b32 v0, a2
	v_accvgpr_read_b32 v1, a3
	;; [unrolled: 3-line block ×20, first 2 shown]
	s_waitcnt vmcnt(62)
	global_store_dwordx2 v[0:1], v[42:43], off
	v_accvgpr_read_b32 v0, a40
	v_accvgpr_read_b32 v1, a41
	global_store_dwordx2 v[0:1], v[44:45], off
	v_accvgpr_read_b32 v0, a42
	v_accvgpr_read_b32 v1, a43
	global_store_dwordx2 v[0:1], v[46:47], off
	global_store_dwordx2 v[130:131], v[48:49], off
	;; [unrolled: 1-line block ×8, first 2 shown]
	s_waitcnt vmcnt(62)
	global_store_dwordx2 v[144:145], v[62:63], off
	global_store_dwordx2 v[146:147], v[64:65], off
	;; [unrolled: 1-line block ×5, first 2 shown]
	s_waitcnt vmcnt(62)
	global_store_dwordx2 v[154:155], v[72:73], off
	global_store_dwordx2 v[156:157], v[74:75], off
	;; [unrolled: 1-line block ×3, first 2 shown]
	s_waitcnt vmcnt(62)
	global_store_dwordx2 v[160:161], v[78:79], off
	s_waitcnt vmcnt(62)
	global_store_dwordx2 v[162:163], v[80:81], off
	;; [unrolled: 2-line block ×13, first 2 shown]
	s_endpgm
	.section	.rodata,"a",@progbits
	.p2align	6, 0x0
	.amdhsa_kernel _ZN9rocsolver6v33100L18getri_kernel_smallILi52E19rocblas_complex_numIfEPS3_EEvT1_iilPiilS6_bb
		.amdhsa_group_segment_fixed_size 836
		.amdhsa_private_segment_fixed_size 432
		.amdhsa_kernarg_size 60
		.amdhsa_user_sgpr_count 8
		.amdhsa_user_sgpr_private_segment_buffer 1
		.amdhsa_user_sgpr_dispatch_ptr 0
		.amdhsa_user_sgpr_queue_ptr 0
		.amdhsa_user_sgpr_kernarg_segment_ptr 1
		.amdhsa_user_sgpr_dispatch_id 0
		.amdhsa_user_sgpr_flat_scratch_init 1
		.amdhsa_user_sgpr_kernarg_preload_length 0
		.amdhsa_user_sgpr_kernarg_preload_offset 0
		.amdhsa_user_sgpr_private_segment_size 0
		.amdhsa_uses_dynamic_stack 0
		.amdhsa_system_sgpr_private_segment_wavefront_offset 1
		.amdhsa_system_sgpr_workgroup_id_x 1
		.amdhsa_system_sgpr_workgroup_id_y 0
		.amdhsa_system_sgpr_workgroup_id_z 0
		.amdhsa_system_sgpr_workgroup_info 0
		.amdhsa_system_vgpr_workitem_id 0
		.amdhsa_next_free_vgpr 300
		.amdhsa_next_free_sgpr 23
		.amdhsa_accum_offset 256
		.amdhsa_reserve_vcc 1
		.amdhsa_reserve_flat_scratch 1
		.amdhsa_float_round_mode_32 0
		.amdhsa_float_round_mode_16_64 0
		.amdhsa_float_denorm_mode_32 3
		.amdhsa_float_denorm_mode_16_64 3
		.amdhsa_dx10_clamp 1
		.amdhsa_ieee_mode 1
		.amdhsa_fp16_overflow 0
		.amdhsa_tg_split 0
		.amdhsa_exception_fp_ieee_invalid_op 0
		.amdhsa_exception_fp_denorm_src 0
		.amdhsa_exception_fp_ieee_div_zero 0
		.amdhsa_exception_fp_ieee_overflow 0
		.amdhsa_exception_fp_ieee_underflow 0
		.amdhsa_exception_fp_ieee_inexact 0
		.amdhsa_exception_int_div_zero 0
	.end_amdhsa_kernel
	.section	.text._ZN9rocsolver6v33100L18getri_kernel_smallILi52E19rocblas_complex_numIfEPS3_EEvT1_iilPiilS6_bb,"axG",@progbits,_ZN9rocsolver6v33100L18getri_kernel_smallILi52E19rocblas_complex_numIfEPS3_EEvT1_iilPiilS6_bb,comdat
.Lfunc_end51:
	.size	_ZN9rocsolver6v33100L18getri_kernel_smallILi52E19rocblas_complex_numIfEPS3_EEvT1_iilPiilS6_bb, .Lfunc_end51-_ZN9rocsolver6v33100L18getri_kernel_smallILi52E19rocblas_complex_numIfEPS3_EEvT1_iilPiilS6_bb
                                        ; -- End function
	.section	.AMDGPU.csdata,"",@progbits
; Kernel info:
; codeLenInByte = 105552
; NumSgprs: 29
; NumVgprs: 256
; NumAgprs: 44
; TotalNumVgprs: 300
; ScratchSize: 432
; MemoryBound: 0
; FloatMode: 240
; IeeeMode: 1
; LDSByteSize: 836 bytes/workgroup (compile time only)
; SGPRBlocks: 3
; VGPRBlocks: 37
; NumSGPRsForWavesPerEU: 29
; NumVGPRsForWavesPerEU: 300
; AccumOffset: 256
; Occupancy: 1
; WaveLimiterHint : 1
; COMPUTE_PGM_RSRC2:SCRATCH_EN: 1
; COMPUTE_PGM_RSRC2:USER_SGPR: 8
; COMPUTE_PGM_RSRC2:TRAP_HANDLER: 0
; COMPUTE_PGM_RSRC2:TGID_X_EN: 1
; COMPUTE_PGM_RSRC2:TGID_Y_EN: 0
; COMPUTE_PGM_RSRC2:TGID_Z_EN: 0
; COMPUTE_PGM_RSRC2:TIDIG_COMP_CNT: 0
; COMPUTE_PGM_RSRC3_GFX90A:ACCUM_OFFSET: 63
; COMPUTE_PGM_RSRC3_GFX90A:TG_SPLIT: 0
	.section	.text._ZN9rocsolver6v33100L18getri_kernel_smallILi53E19rocblas_complex_numIfEPS3_EEvT1_iilPiilS6_bb,"axG",@progbits,_ZN9rocsolver6v33100L18getri_kernel_smallILi53E19rocblas_complex_numIfEPS3_EEvT1_iilPiilS6_bb,comdat
	.globl	_ZN9rocsolver6v33100L18getri_kernel_smallILi53E19rocblas_complex_numIfEPS3_EEvT1_iilPiilS6_bb ; -- Begin function _ZN9rocsolver6v33100L18getri_kernel_smallILi53E19rocblas_complex_numIfEPS3_EEvT1_iilPiilS6_bb
	.p2align	8
	.type	_ZN9rocsolver6v33100L18getri_kernel_smallILi53E19rocblas_complex_numIfEPS3_EEvT1_iilPiilS6_bb,@function
_ZN9rocsolver6v33100L18getri_kernel_smallILi53E19rocblas_complex_numIfEPS3_EEvT1_iilPiilS6_bb: ; @_ZN9rocsolver6v33100L18getri_kernel_smallILi53E19rocblas_complex_numIfEPS3_EEvT1_iilPiilS6_bb
; %bb.0:
	s_add_u32 flat_scratch_lo, s6, s9
	s_addc_u32 flat_scratch_hi, s7, 0
	s_add_u32 s0, s0, s9
	s_addc_u32 s1, s1, 0
	v_cmp_gt_u32_e32 vcc, 53, v0
	s_and_saveexec_b64 s[6:7], vcc
	s_cbranch_execz .LBB52_226
; %bb.1:
	s_load_dword s22, s[4:5], 0x38
	s_load_dwordx4 s[16:19], s[4:5], 0x10
	s_load_dwordx4 s[12:15], s[4:5], 0x28
                                        ; implicit-def: $sgpr10_sgpr11
	s_waitcnt lgkmcnt(0)
	s_bitcmp1_b32 s22, 8
	s_cselect_b64 s[20:21], -1, 0
	s_ashr_i32 s9, s8, 31
	s_bfe_u32 s6, s22, 0x10008
	s_cmp_eq_u32 s6, 0
	s_cbranch_scc1 .LBB52_3
; %bb.2:
	s_load_dword s6, s[4:5], 0x20
	s_mul_i32 s7, s8, s13
	s_mul_hi_u32 s10, s8, s12
	s_mul_i32 s11, s9, s12
	s_add_i32 s10, s10, s7
	s_add_i32 s11, s10, s11
	s_mul_i32 s10, s8, s12
	s_waitcnt lgkmcnt(0)
	s_ashr_i32 s7, s6, 31
	s_lshl_b64 s[10:11], s[10:11], 2
	s_add_u32 s10, s18, s10
	s_addc_u32 s11, s19, s11
	s_lshl_b64 s[6:7], s[6:7], 2
	s_add_u32 s10, s10, s6
	s_addc_u32 s11, s11, s7
.LBB52_3:
	s_load_dwordx4 s[4:7], s[4:5], 0x0
	s_mul_i32 s12, s8, s17
	s_mul_hi_u32 s13, s8, s16
	s_add_i32 s17, s13, s12
	v_lshlrev_b32_e32 v6, 3, v0
	s_waitcnt lgkmcnt(0)
	s_ashr_i32 s13, s6, 31
	s_mov_b32 s12, s6
	s_mul_i32 s6, s9, s16
	s_add_i32 s17, s17, s6
	s_mul_i32 s16, s8, s16
	s_lshl_b64 s[16:17], s[16:17], 3
	s_add_u32 s6, s4, s16
	s_addc_u32 s16, s5, s17
	s_lshl_b64 s[4:5], s[12:13], 3
	s_add_u32 s4, s6, s4
	s_addc_u32 s5, s16, s5
	s_add_i32 s6, s7, s7
	v_add_u32_e32 v2, s6, v0
	v_ashrrev_i32_e32 v3, 31, v2
	v_lshlrev_b64 v[4:5], 3, v[2:3]
	v_add_u32_e32 v2, s7, v2
	v_mov_b32_e32 v1, s5
	v_add_co_u32_e32 v12, vcc, s4, v4
	v_ashrrev_i32_e32 v3, 31, v2
	v_addc_co_u32_e32 v13, vcc, v1, v5, vcc
	v_lshlrev_b64 v[4:5], 3, v[2:3]
	v_add_u32_e32 v2, s7, v2
	v_add_co_u32_e32 v14, vcc, s4, v4
	v_ashrrev_i32_e32 v3, 31, v2
	v_addc_co_u32_e32 v15, vcc, v1, v5, vcc
	v_lshlrev_b64 v[4:5], 3, v[2:3]
	v_add_u32_e32 v2, s7, v2
	;; [unrolled: 5-line block ×42, first 2 shown]
	v_add_co_u32_e32 v170, vcc, s4, v4
	v_ashrrev_i32_e32 v3, 31, v2
	v_addc_co_u32_e32 v171, vcc, v1, v5, vcc
	v_lshlrev_b64 v[4:5], 3, v[2:3]
	v_add_co_u32_e32 v172, vcc, s4, v4
	v_add_u32_e32 v2, s7, v2
	v_addc_co_u32_e32 v173, vcc, v1, v5, vcc
	v_ashrrev_i32_e32 v3, 31, v2
	v_lshlrev_b64 v[4:5], 3, v[2:3]
	global_load_dwordx2 v[8:9], v6, s[4:5]
	v_mov_b32_e32 v3, s5
	v_add_co_u32_e32 v180, vcc, s4, v6
	s_ashr_i32 s13, s7, 31
	s_mov_b32 s12, s7
	v_addc_co_u32_e32 v181, vcc, 0, v3, vcc
	s_lshl_b64 s[12:13], s[12:13], 3
	v_mov_b32_e32 v3, s13
	v_add_co_u32_e32 v184, vcc, s12, v180
	v_addc_co_u32_e32 v185, vcc, v181, v3, vcc
	global_load_dwordx2 v[10:11], v[184:185], off
	v_add_co_u32_e32 v174, vcc, s4, v4
	v_addc_co_u32_e32 v175, vcc, v1, v5, vcc
	global_load_dwordx2 v[4:5], v[12:13], off
	v_accvgpr_write_b32 a2, v14
	v_add_u32_e32 v2, s7, v2
	v_accvgpr_write_b32 a3, v15
	global_load_dwordx2 v[14:15], v[14:15], off
	v_ashrrev_i32_e32 v3, 31, v2
	v_accvgpr_write_b32 a0, v12
	v_accvgpr_write_b32 a8, v20
	;; [unrolled: 1-line block ×4, first 2 shown]
	global_load_dwordx2 v[20:21], v[20:21], off
	v_lshlrev_b64 v[12:13], 3, v[2:3]
	v_add_co_u32_e32 v176, vcc, s4, v12
	v_addc_co_u32_e32 v177, vcc, v1, v13, vcc
	global_load_dwordx2 v[12:13], v[16:17], off
	v_accvgpr_write_b32 a4, v16
	v_accvgpr_write_b32 a12, v24
	;; [unrolled: 1-line block ×5, first 2 shown]
	global_load_dwordx2 v[24:25], v[24:25], off
	v_accvgpr_write_b32 a27, v39
	global_load_dwordx2 v[38:39], v[38:39], off
	v_add_u32_e32 v2, s7, v2
	global_load_dwordx2 v[16:17], v[18:19], off
	v_ashrrev_i32_e32 v3, 31, v2
	v_accvgpr_write_b32 a6, v18
	v_accvgpr_write_b32 a14, v26
	;; [unrolled: 1-line block ×5, first 2 shown]
	global_load_dwordx2 v[26:27], v[26:27], off
	v_accvgpr_write_b32 a29, v41
	global_load_dwordx2 v[40:41], v[40:41], off
	v_lshlrev_b64 v[18:19], 3, v[2:3]
	v_add_co_u32_e32 v178, vcc, s4, v18
	v_addc_co_u32_e32 v179, vcc, v1, v19, vcc
	global_load_dwordx2 v[18:19], v[22:23], off
	v_add_u32_e32 v2, s7, v2
	v_accvgpr_write_b32 a10, v22
	v_ashrrev_i32_e32 v3, 31, v2
	v_accvgpr_write_b32 a18, v30
	v_accvgpr_write_b32 a32, v44
	;; [unrolled: 1-line block ×4, first 2 shown]
	global_load_dwordx2 v[30:31], v[30:31], off
	v_accvgpr_write_b32 a33, v45
	global_load_dwordx2 v[44:45], v[44:45], off
	v_lshlrev_b64 v[22:23], 3, v[2:3]
	v_add_co_u32_e32 v182, vcc, s4, v22
	v_addc_co_u32_e32 v183, vcc, v1, v23, vcc
	global_load_dwordx2 v[22:23], v[28:29], off
	v_add_u32_e32 v2, s7, v2
	v_ashrrev_i32_e32 v3, 31, v2
	v_accvgpr_write_b32 a16, v28
	v_accvgpr_write_b32 a30, v42
	;; [unrolled: 1-line block ×4, first 2 shown]
	global_load_dwordx2 v[42:43], v[42:43], off
	v_lshlrev_b64 v[28:29], 3, v[2:3]
	v_add_u32_e32 v2, s7, v2
	v_add_co_u32_e32 v186, vcc, s4, v28
	v_accvgpr_write_b32 a20, v32
	v_ashrrev_i32_e32 v3, 31, v2
	v_accvgpr_write_b32 a22, v34
	v_accvgpr_write_b32 a24, v36
	v_addc_co_u32_e32 v187, vcc, v1, v29, vcc
	v_accvgpr_write_b32 a21, v33
	global_load_dwordx2 v[28:29], v[32:33], off
	v_accvgpr_write_b32 a23, v35
	global_load_dwordx2 v[32:33], v[34:35], off
	;; [unrolled: 2-line block ×3, first 2 shown]
	v_lshlrev_b64 v[36:37], 3, v[2:3]
	v_add_co_u32_e32 v188, vcc, s4, v36
	v_accvgpr_write_b32 a34, v46
	v_accvgpr_write_b32 a36, v48
	;; [unrolled: 1-line block ×7, first 2 shown]
	v_addc_co_u32_e32 v189, vcc, v1, v37, vcc
	v_accvgpr_write_b32 a35, v47
	global_load_dwordx2 v[36:37], v[46:47], off
	v_accvgpr_write_b32 a37, v49
	global_load_dwordx2 v[46:47], v[48:49], off
	;; [unrolled: 2-line block ×7, first 2 shown]
	s_nop 0
	global_load_dwordx2 v[58:59], v[134:135], off
	v_add_u32_e32 v2, s7, v2
	v_ashrrev_i32_e32 v3, 31, v2
	v_lshlrev_b64 v[2:3], 3, v[2:3]
	v_add_co_u32_e32 v190, vcc, s4, v2
	v_addc_co_u32_e32 v191, vcc, v1, v3, vcc
	global_load_dwordx2 v[2:3], v[136:137], off
	global_load_dwordx2 v[60:61], v[138:139], off
	global_load_dwordx2 v[62:63], v[142:143], off
	global_load_dwordx2 v[64:65], v[146:147], off
	global_load_dwordx2 v[66:67], v[150:151], off
	global_load_dwordx2 v[68:69], v[154:155], off
	global_load_dwordx2 v[70:71], v[158:159], off
	global_load_dwordx2 v[72:73], v[162:163], off
	global_load_dwordx2 v[74:75], v[166:167], off
	global_load_dwordx2 v[76:77], v[170:171], off
	global_load_dwordx2 v[78:79], v[174:175], off
	global_load_dwordx2 v[80:81], v[178:179], off
	global_load_dwordx2 v[82:83], v[186:187], off
	global_load_dwordx2 v[84:85], v[190:191], off
	s_bitcmp0_b32 s22, 0
	s_waitcnt vmcnt(40)
	buffer_store_dword v9, off, s[0:3], 0 offset:4
	buffer_store_dword v8, off, s[0:3], 0
	global_load_dwordx2 v[8:9], v[140:141], off
	s_mov_b64 s[6:7], -1
	s_waitcnt vmcnt(42)
	buffer_store_dword v11, off, s[0:3], 0 offset:12
	buffer_store_dword v10, off, s[0:3], 0 offset:8
	global_load_dwordx2 v[10:11], v[144:145], off
	s_waitcnt vmcnt(44)
	buffer_store_dword v5, off, s[0:3], 0 offset:20
	buffer_store_dword v4, off, s[0:3], 0 offset:16
	global_load_dwordx2 v[4:5], v[148:149], off
	s_waitcnt vmcnt(46)
	buffer_store_dword v15, off, s[0:3], 0 offset:28
	buffer_store_dword v14, off, s[0:3], 0 offset:24
	global_load_dwordx2 v[14:15], v[152:153], off
	s_waitcnt vmcnt(47)
	buffer_store_dword v13, off, s[0:3], 0 offset:36
	buffer_store_dword v12, off, s[0:3], 0 offset:32
	global_load_dwordx2 v[12:13], v[156:157], off
	s_waitcnt vmcnt(47)
	buffer_store_dword v17, off, s[0:3], 0 offset:44
	buffer_store_dword v16, off, s[0:3], 0 offset:40
	global_load_dwordx2 v[16:17], v[160:161], off
	s_nop 0
	buffer_store_dword v21, off, s[0:3], 0 offset:52
	buffer_store_dword v20, off, s[0:3], 0 offset:48
	global_load_dwordx2 v[20:21], v[164:165], off
	s_waitcnt vmcnt(50)
	buffer_store_dword v19, off, s[0:3], 0 offset:60
	buffer_store_dword v18, off, s[0:3], 0 offset:56
	global_load_dwordx2 v[18:19], v[168:169], off
	s_nop 0
	buffer_store_dword v25, off, s[0:3], 0 offset:68
	buffer_store_dword v24, off, s[0:3], 0 offset:64
	global_load_dwordx2 v[24:25], v[172:173], off
	s_nop 0
	buffer_store_dword v26, off, s[0:3], 0 offset:72
	buffer_store_dword v27, off, s[0:3], 0 offset:76
	global_load_dwordx2 v[26:27], v[176:177], off
	s_waitcnt vmcnt(56)
	buffer_store_dword v22, off, s[0:3], 0 offset:80
	buffer_store_dword v23, off, s[0:3], 0 offset:84
	global_load_dwordx2 v[22:23], v[182:183], off
	s_nop 0
	buffer_store_dword v30, off, s[0:3], 0 offset:88
	buffer_store_dword v31, off, s[0:3], 0 offset:92
	global_load_dwordx2 v[30:31], v[188:189], off
	s_waitcnt vmcnt(60)
	buffer_store_dword v28, off, s[0:3], 0 offset:96
	buffer_store_dword v29, off, s[0:3], 0 offset:100
	s_waitcnt vmcnt(61)
	buffer_store_dword v32, off, s[0:3], 0 offset:104
	buffer_store_dword v33, off, s[0:3], 0 offset:108
	;; [unrolled: 3-line block ×3, first 2 shown]
	buffer_store_dword v38, off, s[0:3], 0 offset:120
	buffer_store_dword v39, off, s[0:3], 0 offset:124
	buffer_store_dword v40, off, s[0:3], 0 offset:128
	buffer_store_dword v41, off, s[0:3], 0 offset:132
	buffer_store_dword v42, off, s[0:3], 0 offset:136
	buffer_store_dword v43, off, s[0:3], 0 offset:140
	buffer_store_dword v44, off, s[0:3], 0 offset:144
	buffer_store_dword v45, off, s[0:3], 0 offset:148
	s_waitcnt vmcnt(62)
	buffer_store_dword v37, off, s[0:3], 0 offset:156
	buffer_store_dword v36, off, s[0:3], 0 offset:152
	buffer_store_dword v47, off, s[0:3], 0 offset:164
	buffer_store_dword v46, off, s[0:3], 0 offset:160
	buffer_store_dword v48, off, s[0:3], 0 offset:168
	buffer_store_dword v49, off, s[0:3], 0 offset:172
	buffer_store_dword v50, off, s[0:3], 0 offset:176
	buffer_store_dword v51, off, s[0:3], 0 offset:180
	buffer_store_dword v52, off, s[0:3], 0 offset:184
	buffer_store_dword v53, off, s[0:3], 0 offset:188
	buffer_store_dword v54, off, s[0:3], 0 offset:192
	buffer_store_dword v55, off, s[0:3], 0 offset:196
	buffer_store_dword v57, off, s[0:3], 0 offset:204
	buffer_store_dword v56, off, s[0:3], 0 offset:200
	buffer_store_dword v59, off, s[0:3], 0 offset:212
	buffer_store_dword v58, off, s[0:3], 0 offset:208
	buffer_store_dword v2, off, s[0:3], 0 offset:216
	buffer_store_dword v3, off, s[0:3], 0 offset:220
	buffer_store_dword v60, off, s[0:3], 0 offset:224
	buffer_store_dword v61, off, s[0:3], 0 offset:228
	s_waitcnt vmcnt(62)
	buffer_store_dword v8, off, s[0:3], 0 offset:232
	buffer_store_dword v9, off, s[0:3], 0 offset:236
	buffer_store_dword v62, off, s[0:3], 0 offset:240
	buffer_store_dword v63, off, s[0:3], 0 offset:244
	buffer_store_dword v11, off, s[0:3], 0 offset:252
	buffer_store_dword v10, off, s[0:3], 0 offset:248
	buffer_store_dword v65, off, s[0:3], 0 offset:260
	buffer_store_dword v64, off, s[0:3], 0 offset:256
	s_waitcnt vmcnt(62)
	buffer_store_dword v4, off, s[0:3], 0 offset:264
	buffer_store_dword v5, off, s[0:3], 0 offset:268
	;; [unrolled: 1-line block ×12, first 2 shown]
	s_waitcnt vmcnt(62)
	buffer_store_dword v16, off, s[0:3], 0 offset:312
	buffer_store_dword v17, off, s[0:3], 0 offset:316
	;; [unrolled: 1-line block ×16, first 2 shown]
	s_waitcnt vmcnt(62)
	buffer_store_dword v26, off, s[0:3], 0 offset:376
	buffer_store_dword v27, off, s[0:3], 0 offset:380
	;; [unrolled: 1-line block ×12, first 2 shown]
	s_cbranch_scc1 .LBB52_224
; %bb.4:
	v_cmp_eq_u32_e64 s[4:5], 0, v0
	s_and_saveexec_b64 s[6:7], s[4:5]
	s_cbranch_execz .LBB52_6
; %bb.5:
	v_mov_b32_e32 v1, 0
	ds_write_b32 v1, v1 offset:424
.LBB52_6:
	s_or_b64 exec, exec, s[6:7]
	v_mov_b32_e32 v1, 0
	v_lshl_add_u32 v7, v0, 3, v1
	s_waitcnt lgkmcnt(0)
	; wave barrier
	s_waitcnt lgkmcnt(0)
	buffer_load_dword v1, v7, s[0:3], 0 offen
	buffer_load_dword v2, v7, s[0:3], 0 offen offset:4
	s_waitcnt vmcnt(1)
	v_cmp_eq_f32_e32 vcc, 0, v1
	s_waitcnt vmcnt(0)
	v_cmp_eq_f32_e64 s[6:7], 0, v2
	s_and_b64 s[6:7], vcc, s[6:7]
	s_and_saveexec_b64 s[12:13], s[6:7]
	s_cbranch_execz .LBB52_10
; %bb.7:
	v_mov_b32_e32 v1, 0
	ds_read_b32 v3, v1 offset:424
	v_add_u32_e32 v2, 1, v0
	s_waitcnt lgkmcnt(0)
	v_readfirstlane_b32 s6, v3
	s_cmp_eq_u32 s6, 0
	s_cselect_b64 s[16:17], -1, 0
	v_cmp_gt_i32_e32 vcc, s6, v2
	s_or_b64 s[16:17], s[16:17], vcc
	s_and_b64 exec, exec, s[16:17]
	s_cbranch_execz .LBB52_10
; %bb.8:
	s_mov_b64 s[16:17], 0
	v_mov_b32_e32 v3, s6
.LBB52_9:                               ; =>This Inner Loop Header: Depth=1
	ds_cmpst_rtn_b32 v3, v1, v3, v2 offset:424
	s_waitcnt lgkmcnt(0)
	v_cmp_ne_u32_e32 vcc, 0, v3
	v_cmp_le_i32_e64 s[6:7], v3, v2
	s_and_b64 s[6:7], vcc, s[6:7]
	s_and_b64 s[6:7], exec, s[6:7]
	s_or_b64 s[16:17], s[6:7], s[16:17]
	s_andn2_b64 exec, exec, s[16:17]
	s_cbranch_execnz .LBB52_9
.LBB52_10:
	s_or_b64 exec, exec, s[12:13]
	v_mov_b32_e32 v2, 0
	s_waitcnt lgkmcnt(0)
	; wave barrier
	ds_read_b32 v1, v2 offset:424
	s_and_saveexec_b64 s[6:7], s[4:5]
	s_cbranch_execz .LBB52_12
; %bb.11:
	s_lshl_b64 s[12:13], s[8:9], 2
	s_add_u32 s12, s14, s12
	s_addc_u32 s13, s15, s13
	s_waitcnt lgkmcnt(0)
	global_store_dword v2, v1, s[12:13]
.LBB52_12:
	s_or_b64 exec, exec, s[6:7]
	s_waitcnt lgkmcnt(0)
	v_cmp_ne_u32_e32 vcc, 0, v1
	s_mov_b64 s[6:7], 0
	s_cbranch_vccnz .LBB52_224
; %bb.13:
	buffer_load_dword v8, v7, s[0:3], 0 offen offset:4
	buffer_load_dword v3, v7, s[0:3], 0 offen
	s_waitcnt vmcnt(1)
	v_cmp_gt_f32_e32 vcc, 0, v8
	v_cndmask_b32_e64 v1, v8, -v8, vcc
	s_waitcnt vmcnt(0)
	v_cmp_gt_f32_e32 vcc, 0, v3
	v_cndmask_b32_e64 v2, v3, -v3, vcc
	v_cmp_ngt_f32_e32 vcc, v2, v1
                                        ; implicit-def: $vgpr1
                                        ; implicit-def: $vgpr2
	s_and_saveexec_b64 s[6:7], vcc
	s_xor_b64 s[6:7], exec, s[6:7]
                                        ; implicit-def: $vgpr4_vgpr5
	s_cbranch_execz .LBB52_15
; %bb.14:
	v_div_scale_f32 v1, s[12:13], v8, v8, v3
	v_rcp_f32_e32 v2, v1
	v_div_scale_f32 v4, vcc, v3, v8, v3
	v_fma_f32 v5, -v1, v2, 1.0
	v_fmac_f32_e32 v2, v5, v2
	v_mul_f32_e32 v5, v4, v2
	v_fma_f32 v9, -v1, v5, v4
	v_fmac_f32_e32 v5, v9, v2
	v_fma_f32 v1, -v1, v5, v4
	v_div_fmas_f32 v1, v1, v2, v5
	v_div_fixup_f32 v2, v1, v8, v3
	v_fmac_f32_e32 v8, v3, v2
	v_div_scale_f32 v1, s[12:13], v8, v8, -1.0
	v_rcp_f32_e32 v3, v1
	v_fma_f32 v4, -v1, v3, 1.0
	v_fmac_f32_e32 v3, v4, v3
	v_div_scale_f32 v4, vcc, -1.0, v8, -1.0
	v_mul_f32_e32 v5, v4, v3
	v_fma_f32 v9, -v1, v5, v4
	v_fmac_f32_e32 v5, v9, v3
	v_fma_f32 v1, -v1, v5, v4
	v_div_fmas_f32 v1, v1, v3, v5
	v_div_fixup_f32 v1, v1, v8, -1.0
	v_mul_f32_e32 v2, v2, v1
	v_xor_b32_e32 v4, 0x80000000, v2
                                        ; implicit-def: $vgpr3
                                        ; implicit-def: $vgpr8
.LBB52_15:
	s_andn2_saveexec_b64 s[6:7], s[6:7]
	s_cbranch_execz .LBB52_17
; %bb.16:
	v_div_scale_f32 v1, s[12:13], v3, v3, v8
	v_rcp_f32_e32 v2, v1
	v_div_scale_f32 v4, vcc, v8, v3, v8
	v_fma_f32 v5, -v1, v2, 1.0
	v_fmac_f32_e32 v2, v5, v2
	v_mul_f32_e32 v5, v4, v2
	v_fma_f32 v9, -v1, v5, v4
	v_fmac_f32_e32 v5, v9, v2
	v_fma_f32 v1, -v1, v5, v4
	v_div_fmas_f32 v1, v1, v2, v5
	v_div_fixup_f32 v1, v1, v3, v8
	v_fmac_f32_e32 v3, v8, v1
	v_div_scale_f32 v2, s[12:13], v3, v3, 1.0
	v_rcp_f32_e32 v4, v2
	v_fma_f32 v5, -v2, v4, 1.0
	v_fmac_f32_e32 v4, v5, v4
	v_div_scale_f32 v5, vcc, 1.0, v3, 1.0
	v_mul_f32_e32 v8, v5, v4
	v_fma_f32 v9, -v2, v8, v5
	v_fmac_f32_e32 v8, v9, v4
	v_fma_f32 v2, -v2, v8, v5
	v_div_fmas_f32 v2, v2, v4, v8
	v_div_fixup_f32 v4, v2, v3, 1.0
	v_xor_b32_e32 v2, 0x80000000, v4
	v_mul_f32_e64 v1, v1, -v4
.LBB52_17:
	s_or_b64 exec, exec, s[6:7]
	buffer_store_dword v1, v7, s[0:3], 0 offen offset:4
	buffer_store_dword v4, v7, s[0:3], 0 offen
	buffer_load_dword v5, off, s[0:3], 0 offset:12
	s_nop 0
	buffer_load_dword v4, off, s[0:3], 0 offset:8
	v_xor_b32_e32 v3, 0x80000000, v1
	v_add_u32_e32 v1, 0x1b0, v6
	s_waitcnt vmcnt(0)
	ds_write2_b64 v6, v[2:3], v[4:5] offset1:54
	s_waitcnt lgkmcnt(0)
	; wave barrier
	s_waitcnt lgkmcnt(0)
	s_and_saveexec_b64 s[6:7], s[4:5]
	s_cbranch_execz .LBB52_19
; %bb.18:
	buffer_load_dword v8, v7, s[0:3], 0 offen offset:4
	buffer_load_dword v9, v7, s[0:3], 0 offen
	ds_read_b64 v[2:3], v1
	v_mov_b32_e32 v4, 0
	ds_read_b64 v[4:5], v4 offset:8
	s_waitcnt vmcnt(1) lgkmcnt(1)
	v_mul_f32_e32 v10, v3, v8
	v_mul_f32_e32 v8, v2, v8
	s_waitcnt vmcnt(0)
	v_fmac_f32_e32 v8, v3, v9
	v_fma_f32 v2, v2, v9, -v10
	v_add_f32_e32 v3, 0, v8
	v_add_f32_e32 v2, 0, v2
	s_waitcnt lgkmcnt(0)
	v_mul_f32_e32 v8, v3, v5
	v_mul_f32_e32 v5, v2, v5
	v_fma_f32 v2, v2, v4, -v8
	v_fmac_f32_e32 v5, v3, v4
	buffer_store_dword v2, off, s[0:3], 0 offset:8
	buffer_store_dword v5, off, s[0:3], 0 offset:12
.LBB52_19:
	s_or_b64 exec, exec, s[6:7]
	s_waitcnt lgkmcnt(0)
	; wave barrier
	buffer_load_dword v2, off, s[0:3], 0 offset:16
	buffer_load_dword v3, off, s[0:3], 0 offset:20
	v_cmp_gt_u32_e32 vcc, 2, v0
	s_waitcnt vmcnt(0)
	ds_write_b64 v1, v[2:3]
	s_waitcnt lgkmcnt(0)
	; wave barrier
	s_waitcnt lgkmcnt(0)
	s_and_saveexec_b64 s[6:7], vcc
	s_cbranch_execz .LBB52_23
; %bb.20:
	buffer_load_dword v4, v7, s[0:3], 0 offen offset:4
	buffer_load_dword v5, v7, s[0:3], 0 offen
	ds_read_b64 v[2:3], v1
	s_waitcnt vmcnt(1) lgkmcnt(0)
	v_mul_f32_e32 v7, v3, v4
	v_mul_f32_e32 v4, v2, v4
	s_waitcnt vmcnt(0)
	v_fma_f32 v2, v2, v5, -v7
	v_fmac_f32_e32 v4, v3, v5
	v_add_f32_e32 v3, 0, v2
	v_add_f32_e32 v2, 0, v4
	s_and_saveexec_b64 s[12:13], s[4:5]
	s_cbranch_execz .LBB52_22
; %bb.21:
	buffer_load_dword v7, off, s[0:3], 0 offset:12
	buffer_load_dword v8, off, s[0:3], 0 offset:8
	v_mov_b32_e32 v4, 0
	ds_read_b64 v[4:5], v4 offset:440
	s_waitcnt vmcnt(1) lgkmcnt(0)
	v_mul_f32_e32 v9, v4, v7
	v_mul_f32_e32 v7, v5, v7
	s_waitcnt vmcnt(0)
	v_fmac_f32_e32 v9, v5, v8
	v_fma_f32 v4, v4, v8, -v7
	v_add_f32_e32 v2, v2, v9
	v_add_f32_e32 v3, v3, v4
.LBB52_22:
	s_or_b64 exec, exec, s[12:13]
	v_mov_b32_e32 v4, 0
	ds_read_b64 v[4:5], v4 offset:16
	s_waitcnt lgkmcnt(0)
	v_mul_f32_e32 v7, v2, v5
	v_mul_f32_e32 v5, v3, v5
	v_fma_f32 v3, v3, v4, -v7
	v_fmac_f32_e32 v5, v2, v4
	buffer_store_dword v3, off, s[0:3], 0 offset:16
	buffer_store_dword v5, off, s[0:3], 0 offset:20
.LBB52_23:
	s_or_b64 exec, exec, s[6:7]
	s_waitcnt lgkmcnt(0)
	; wave barrier
	buffer_load_dword v2, off, s[0:3], 0 offset:24
	buffer_load_dword v3, off, s[0:3], 0 offset:28
	v_cmp_gt_u32_e32 vcc, 3, v0
	s_waitcnt vmcnt(0)
	ds_write_b64 v1, v[2:3]
	v_add_u32_e32 v2, -1, v0
	s_waitcnt lgkmcnt(0)
	; wave barrier
	s_waitcnt lgkmcnt(0)
	s_and_saveexec_b64 s[4:5], vcc
	s_cbranch_execz .LBB52_27
; %bb.24:
	v_add_u32_e32 v4, -1, v0
	v_add_u32_e32 v5, 0x1b0, v6
	v_add_u32_e32 v7, 0, v6
	s_mov_b64 s[6:7], 0
	v_mov_b32_e32 v3, 0
	v_mov_b32_e32 v8, 0
.LBB52_25:                              ; =>This Inner Loop Header: Depth=1
	buffer_load_dword v9, v7, s[0:3], 0 offen offset:4
	buffer_load_dword v12, v7, s[0:3], 0 offen
	ds_read_b64 v[10:11], v5
	v_add_u32_e32 v4, 1, v4
	v_cmp_lt_u32_e32 vcc, 1, v4
	v_add_u32_e32 v5, 8, v5
	v_add_u32_e32 v7, 8, v7
	s_or_b64 s[6:7], vcc, s[6:7]
	s_waitcnt vmcnt(1) lgkmcnt(0)
	v_mul_f32_e32 v13, v11, v9
	v_mul_f32_e32 v9, v10, v9
	s_waitcnt vmcnt(0)
	v_fma_f32 v10, v10, v12, -v13
	v_fmac_f32_e32 v9, v11, v12
	v_add_f32_e32 v8, v8, v10
	v_add_f32_e32 v3, v3, v9
	s_andn2_b64 exec, exec, s[6:7]
	s_cbranch_execnz .LBB52_25
; %bb.26:
	s_or_b64 exec, exec, s[6:7]
	v_mov_b32_e32 v4, 0
	ds_read_b64 v[4:5], v4 offset:24
	s_waitcnt lgkmcnt(0)
	v_mul_f32_e32 v7, v3, v5
	v_mul_f32_e32 v5, v8, v5
	v_fma_f32 v7, v8, v4, -v7
	v_fmac_f32_e32 v5, v3, v4
	buffer_store_dword v7, off, s[0:3], 0 offset:24
	buffer_store_dword v5, off, s[0:3], 0 offset:28
.LBB52_27:
	s_or_b64 exec, exec, s[4:5]
	s_waitcnt lgkmcnt(0)
	; wave barrier
	buffer_load_dword v4, off, s[0:3], 0 offset:32
	buffer_load_dword v5, off, s[0:3], 0 offset:36
	v_cmp_gt_u32_e32 vcc, 4, v0
	s_waitcnt vmcnt(0)
	ds_write_b64 v1, v[4:5]
	s_waitcnt lgkmcnt(0)
	; wave barrier
	s_waitcnt lgkmcnt(0)
	s_and_saveexec_b64 s[4:5], vcc
	s_cbranch_execz .LBB52_31
; %bb.28:
	v_add_u32_e32 v4, -1, v0
	v_add_u32_e32 v5, 0x1b0, v6
	v_add_u32_e32 v7, 0, v6
	s_mov_b64 s[6:7], 0
	v_mov_b32_e32 v3, 0
	v_mov_b32_e32 v8, 0
.LBB52_29:                              ; =>This Inner Loop Header: Depth=1
	buffer_load_dword v9, v7, s[0:3], 0 offen offset:4
	buffer_load_dword v12, v7, s[0:3], 0 offen
	ds_read_b64 v[10:11], v5
	v_add_u32_e32 v4, 1, v4
	v_cmp_lt_u32_e32 vcc, 2, v4
	v_add_u32_e32 v5, 8, v5
	v_add_u32_e32 v7, 8, v7
	s_or_b64 s[6:7], vcc, s[6:7]
	s_waitcnt vmcnt(1) lgkmcnt(0)
	v_mul_f32_e32 v13, v11, v9
	v_mul_f32_e32 v9, v10, v9
	s_waitcnt vmcnt(0)
	v_fma_f32 v10, v10, v12, -v13
	v_fmac_f32_e32 v9, v11, v12
	v_add_f32_e32 v8, v8, v10
	v_add_f32_e32 v3, v3, v9
	s_andn2_b64 exec, exec, s[6:7]
	s_cbranch_execnz .LBB52_29
; %bb.30:
	s_or_b64 exec, exec, s[6:7]
	v_mov_b32_e32 v4, 0
	ds_read_b64 v[4:5], v4 offset:32
	s_waitcnt lgkmcnt(0)
	v_mul_f32_e32 v7, v3, v5
	v_mul_f32_e32 v5, v8, v5
	v_fma_f32 v7, v8, v4, -v7
	v_fmac_f32_e32 v5, v3, v4
	buffer_store_dword v7, off, s[0:3], 0 offset:32
	buffer_store_dword v5, off, s[0:3], 0 offset:36
.LBB52_31:
	s_or_b64 exec, exec, s[4:5]
	s_waitcnt lgkmcnt(0)
	; wave barrier
	buffer_load_dword v4, off, s[0:3], 0 offset:40
	buffer_load_dword v5, off, s[0:3], 0 offset:44
	v_cmp_gt_u32_e32 vcc, 5, v0
	s_waitcnt vmcnt(0)
	ds_write_b64 v1, v[4:5]
	;; [unrolled: 51-line block ×19, first 2 shown]
	s_waitcnt lgkmcnt(0)
	; wave barrier
	s_waitcnt lgkmcnt(0)
	s_and_saveexec_b64 s[4:5], vcc
	s_cbranch_execz .LBB52_103
; %bb.100:
	v_add_u32_e32 v4, -1, v0
	v_add_u32_e32 v5, 0x1b0, v6
	v_add_u32_e32 v7, 0, v6
	s_mov_b64 s[6:7], 0
	v_mov_b32_e32 v3, 0
	v_mov_b32_e32 v8, 0
.LBB52_101:                             ; =>This Inner Loop Header: Depth=1
	buffer_load_dword v9, v7, s[0:3], 0 offen offset:4
	buffer_load_dword v12, v7, s[0:3], 0 offen
	ds_read_b64 v[10:11], v5
	v_add_u32_e32 v4, 1, v4
	v_cmp_lt_u32_e32 vcc, 20, v4
	v_add_u32_e32 v5, 8, v5
	v_add_u32_e32 v7, 8, v7
	s_or_b64 s[6:7], vcc, s[6:7]
	s_waitcnt vmcnt(1) lgkmcnt(0)
	v_mul_f32_e32 v13, v11, v9
	v_mul_f32_e32 v9, v10, v9
	s_waitcnt vmcnt(0)
	v_fma_f32 v10, v10, v12, -v13
	v_fmac_f32_e32 v9, v11, v12
	v_add_f32_e32 v8, v8, v10
	v_add_f32_e32 v3, v3, v9
	s_andn2_b64 exec, exec, s[6:7]
	s_cbranch_execnz .LBB52_101
; %bb.102:
	s_or_b64 exec, exec, s[6:7]
	v_mov_b32_e32 v4, 0
	ds_read_b64 v[4:5], v4 offset:176
	s_waitcnt lgkmcnt(0)
	v_mul_f32_e32 v7, v3, v5
	v_mul_f32_e32 v5, v8, v5
	v_fma_f32 v7, v8, v4, -v7
	v_fmac_f32_e32 v5, v3, v4
	buffer_store_dword v7, off, s[0:3], 0 offset:176
	buffer_store_dword v5, off, s[0:3], 0 offset:180
.LBB52_103:
	s_or_b64 exec, exec, s[4:5]
	s_waitcnt lgkmcnt(0)
	; wave barrier
	buffer_load_dword v4, off, s[0:3], 0 offset:184
	buffer_load_dword v5, off, s[0:3], 0 offset:188
	v_cmp_gt_u32_e32 vcc, 23, v0
	s_waitcnt vmcnt(0)
	ds_write_b64 v1, v[4:5]
	s_waitcnt lgkmcnt(0)
	; wave barrier
	s_waitcnt lgkmcnt(0)
	s_and_saveexec_b64 s[4:5], vcc
	s_cbranch_execz .LBB52_107
; %bb.104:
	v_add_u32_e32 v4, -1, v0
	v_add_u32_e32 v5, 0x1b0, v6
	v_add_u32_e32 v7, 0, v6
	s_mov_b64 s[6:7], 0
	v_mov_b32_e32 v3, 0
	v_mov_b32_e32 v8, 0
.LBB52_105:                             ; =>This Inner Loop Header: Depth=1
	buffer_load_dword v9, v7, s[0:3], 0 offen offset:4
	buffer_load_dword v12, v7, s[0:3], 0 offen
	ds_read_b64 v[10:11], v5
	v_add_u32_e32 v4, 1, v4
	v_cmp_lt_u32_e32 vcc, 21, v4
	v_add_u32_e32 v5, 8, v5
	v_add_u32_e32 v7, 8, v7
	s_or_b64 s[6:7], vcc, s[6:7]
	s_waitcnt vmcnt(1) lgkmcnt(0)
	v_mul_f32_e32 v13, v11, v9
	v_mul_f32_e32 v9, v10, v9
	s_waitcnt vmcnt(0)
	v_fma_f32 v10, v10, v12, -v13
	v_fmac_f32_e32 v9, v11, v12
	v_add_f32_e32 v8, v8, v10
	v_add_f32_e32 v3, v3, v9
	s_andn2_b64 exec, exec, s[6:7]
	s_cbranch_execnz .LBB52_105
; %bb.106:
	s_or_b64 exec, exec, s[6:7]
	v_mov_b32_e32 v4, 0
	ds_read_b64 v[4:5], v4 offset:184
	s_waitcnt lgkmcnt(0)
	v_mul_f32_e32 v7, v3, v5
	v_mul_f32_e32 v5, v8, v5
	v_fma_f32 v7, v8, v4, -v7
	v_fmac_f32_e32 v5, v3, v4
	buffer_store_dword v7, off, s[0:3], 0 offset:184
	buffer_store_dword v5, off, s[0:3], 0 offset:188
.LBB52_107:
	s_or_b64 exec, exec, s[4:5]
	s_waitcnt lgkmcnt(0)
	; wave barrier
	buffer_load_dword v4, off, s[0:3], 0 offset:192
	buffer_load_dword v5, off, s[0:3], 0 offset:196
	v_cmp_gt_u32_e32 vcc, 24, v0
	s_waitcnt vmcnt(0)
	ds_write_b64 v1, v[4:5]
	;; [unrolled: 51-line block ×29, first 2 shown]
	s_waitcnt lgkmcnt(0)
	; wave barrier
	s_waitcnt lgkmcnt(0)
	s_and_saveexec_b64 s[4:5], vcc
	s_cbranch_execz .LBB52_219
; %bb.216:
	v_add_u32_e32 v4, -1, v0
	v_add_u32_e32 v5, 0x1b0, v6
	v_add_u32_e32 v7, 0, v6
	s_mov_b64 s[6:7], 0
	v_mov_b32_e32 v3, 0
	v_mov_b32_e32 v8, 0
.LBB52_217:                             ; =>This Inner Loop Header: Depth=1
	buffer_load_dword v9, v7, s[0:3], 0 offen offset:4
	buffer_load_dword v12, v7, s[0:3], 0 offen
	ds_read_b64 v[10:11], v5
	v_add_u32_e32 v4, 1, v4
	v_cmp_lt_u32_e32 vcc, 49, v4
	v_add_u32_e32 v5, 8, v5
	v_add_u32_e32 v7, 8, v7
	s_or_b64 s[6:7], vcc, s[6:7]
	s_waitcnt vmcnt(1) lgkmcnt(0)
	v_mul_f32_e32 v13, v11, v9
	v_mul_f32_e32 v9, v10, v9
	s_waitcnt vmcnt(0)
	v_fma_f32 v10, v10, v12, -v13
	v_fmac_f32_e32 v9, v11, v12
	v_add_f32_e32 v8, v8, v10
	v_add_f32_e32 v3, v3, v9
	s_andn2_b64 exec, exec, s[6:7]
	s_cbranch_execnz .LBB52_217
; %bb.218:
	s_or_b64 exec, exec, s[6:7]
	v_mov_b32_e32 v4, 0
	ds_read_b64 v[4:5], v4 offset:408
	s_waitcnt lgkmcnt(0)
	v_mul_f32_e32 v7, v3, v5
	v_mul_f32_e32 v5, v8, v5
	v_fma_f32 v7, v8, v4, -v7
	v_fmac_f32_e32 v5, v3, v4
	buffer_store_dword v7, off, s[0:3], 0 offset:408
	buffer_store_dword v5, off, s[0:3], 0 offset:412
.LBB52_219:
	s_or_b64 exec, exec, s[4:5]
	s_waitcnt lgkmcnt(0)
	; wave barrier
	buffer_load_dword v4, off, s[0:3], 0 offset:416
	buffer_load_dword v5, off, s[0:3], 0 offset:420
	v_cmp_ne_u32_e32 vcc, 52, v0
	s_waitcnt vmcnt(0)
	ds_write_b64 v1, v[4:5]
	s_waitcnt lgkmcnt(0)
	; wave barrier
	s_waitcnt lgkmcnt(0)
	s_and_saveexec_b64 s[4:5], vcc
	s_cbranch_execz .LBB52_223
; %bb.220:
	v_add_u32_e32 v3, 0x1b0, v6
	v_add_u32_e32 v4, 0, v6
	s_mov_b64 s[6:7], 0
	v_mov_b32_e32 v1, 0
	v_mov_b32_e32 v5, 0
.LBB52_221:                             ; =>This Inner Loop Header: Depth=1
	buffer_load_dword v8, v4, s[0:3], 0 offen offset:4
	buffer_load_dword v9, v4, s[0:3], 0 offen
	ds_read_b64 v[6:7], v3
	v_add_u32_e32 v2, 1, v2
	v_cmp_lt_u32_e32 vcc, 50, v2
	v_add_u32_e32 v3, 8, v3
	v_add_u32_e32 v4, 8, v4
	s_or_b64 s[6:7], vcc, s[6:7]
	s_waitcnt vmcnt(1) lgkmcnt(0)
	v_mul_f32_e32 v10, v7, v8
	v_mul_f32_e32 v8, v6, v8
	s_waitcnt vmcnt(0)
	v_fma_f32 v6, v6, v9, -v10
	v_fmac_f32_e32 v8, v7, v9
	v_add_f32_e32 v5, v5, v6
	v_add_f32_e32 v1, v1, v8
	s_andn2_b64 exec, exec, s[6:7]
	s_cbranch_execnz .LBB52_221
; %bb.222:
	s_or_b64 exec, exec, s[6:7]
	v_mov_b32_e32 v2, 0
	ds_read_b64 v[2:3], v2 offset:416
	s_waitcnt lgkmcnt(0)
	v_mul_f32_e32 v4, v1, v3
	v_mul_f32_e32 v3, v5, v3
	v_fma_f32 v4, v5, v2, -v4
	v_fmac_f32_e32 v3, v1, v2
	buffer_store_dword v4, off, s[0:3], 0 offset:416
	buffer_store_dword v3, off, s[0:3], 0 offset:420
.LBB52_223:
	s_or_b64 exec, exec, s[4:5]
	s_mov_b64 s[6:7], -1
	s_waitcnt lgkmcnt(0)
	; wave barrier
.LBB52_224:
	s_and_b64 vcc, exec, s[6:7]
	s_cbranch_vccz .LBB52_226
; %bb.225:
	s_lshl_b64 s[4:5], s[8:9], 2
	s_add_u32 s4, s14, s4
	s_addc_u32 s5, s15, s5
	v_mov_b32_e32 v1, 0
	global_load_dword v1, v1, s[4:5]
	s_waitcnt vmcnt(0)
	v_cmp_ne_u32_e32 vcc, 0, v1
	s_cbranch_vccz .LBB52_227
.LBB52_226:
	s_endpgm
.LBB52_227:
	v_mov_b32_e32 v1, 0x1b0
	v_lshl_add_u32 v1, v0, 3, v1
	v_accvgpr_write_b32 a48, v1
	v_cmp_eq_u32_e32 vcc, 52, v0
	s_and_saveexec_b64 s[4:5], vcc
	s_cbranch_execz .LBB52_229
; %bb.228:
	buffer_load_dword v2, off, s[0:3], 0 offset:408
	buffer_load_dword v3, off, s[0:3], 0 offset:412
	v_mov_b32_e32 v1, 0
	v_accvgpr_read_b32 v4, a48
	buffer_store_dword v1, off, s[0:3], 0 offset:408
	buffer_store_dword v1, off, s[0:3], 0 offset:412
	s_waitcnt vmcnt(2)
	ds_write_b64 v4, v[2:3]
.LBB52_229:
	s_or_b64 exec, exec, s[4:5]
	s_waitcnt lgkmcnt(0)
	; wave barrier
	s_waitcnt lgkmcnt(0)
	buffer_load_dword v3, off, s[0:3], 0 offset:420
	buffer_load_dword v2, off, s[0:3], 0 offset:416
	;; [unrolled: 1-line block ×4, first 2 shown]
	v_mov_b32_e32 v1, 0
	ds_read_b64 v[6:7], v1 offset:848
	v_cmp_lt_u32_e32 vcc, 50, v0
	s_waitcnt vmcnt(3)
	v_mov_b32_e32 v8, v3
	s_waitcnt lgkmcnt(0)
	v_pk_mul_f32 v[8:9], v[6:7], v[8:9] op_sel_hi:[1,0]
	s_waitcnt vmcnt(2)
	v_pk_fma_f32 v[10:11], v[6:7], v[2:3], v[8:9] op_sel:[0,0,1] op_sel_hi:[1,1,0] neg_lo:[0,0,1] neg_hi:[0,0,1]
	v_pk_fma_f32 v[2:3], v[6:7], v[2:3], v[8:9] op_sel:[0,0,1] op_sel_hi:[1,0,0]
	v_mov_b32_e32 v11, v3
	v_pk_add_f32 v[2:3], v[10:11], 0 op_sel_hi:[1,0]
	s_waitcnt vmcnt(0)
	v_pk_add_f32 v[2:3], v[4:5], v[2:3] neg_lo:[0,1] neg_hi:[0,1]
	buffer_store_dword v2, off, s[0:3], 0 offset:408
	buffer_store_dword v3, off, s[0:3], 0 offset:412
	s_and_saveexec_b64 s[4:5], vcc
	s_cbranch_execz .LBB52_231
; %bb.230:
	buffer_load_dword v2, off, s[0:3], 0 offset:400
	buffer_load_dword v3, off, s[0:3], 0 offset:404
	v_accvgpr_read_b32 v4, a48
	buffer_store_dword v1, off, s[0:3], 0 offset:400
	buffer_store_dword v1, off, s[0:3], 0 offset:404
	s_waitcnt vmcnt(2)
	ds_write_b64 v4, v[2:3]
.LBB52_231:
	s_or_b64 exec, exec, s[4:5]
	s_waitcnt lgkmcnt(0)
	; wave barrier
	s_waitcnt lgkmcnt(0)
	buffer_load_dword v7, off, s[0:3], 0 offset:412
	buffer_load_dword v9, off, s[0:3], 0 offset:420
	;; [unrolled: 1-line block ×6, first 2 shown]
	ds_read2_b64 v[2:5], v1 offset0:105 offset1:106
	v_cmp_lt_u32_e32 vcc, 49, v0
	s_waitcnt vmcnt(5)
	v_mov_b32_e32 v12, v7
	s_waitcnt vmcnt(4)
	v_mov_b32_e32 v14, v9
	s_waitcnt lgkmcnt(0)
	v_pk_mul_f32 v[12:13], v[2:3], v[12:13] op_sel_hi:[1,0]
	v_pk_mul_f32 v[14:15], v[4:5], v[14:15] op_sel_hi:[1,0]
	s_waitcnt vmcnt(3)
	v_pk_fma_f32 v[16:17], v[2:3], v[6:7], v[12:13] op_sel:[0,0,1] op_sel_hi:[1,1,0] neg_lo:[0,0,1] neg_hi:[0,0,1]
	v_pk_fma_f32 v[2:3], v[2:3], v[6:7], v[12:13] op_sel:[0,0,1] op_sel_hi:[1,0,0]
	s_waitcnt vmcnt(2)
	v_pk_fma_f32 v[6:7], v[4:5], v[8:9], v[14:15] op_sel:[0,0,1] op_sel_hi:[1,1,0] neg_lo:[0,0,1] neg_hi:[0,0,1]
	v_pk_fma_f32 v[4:5], v[4:5], v[8:9], v[14:15] op_sel:[0,0,1] op_sel_hi:[1,0,0]
	v_mov_b32_e32 v17, v3
	v_mov_b32_e32 v7, v5
	v_pk_add_f32 v[2:3], v[16:17], 0 op_sel_hi:[1,0]
	v_pk_add_f32 v[2:3], v[2:3], v[6:7]
	s_waitcnt vmcnt(0)
	v_pk_add_f32 v[2:3], v[10:11], v[2:3] neg_lo:[0,1] neg_hi:[0,1]
	buffer_store_dword v2, off, s[0:3], 0 offset:400
	buffer_store_dword v3, off, s[0:3], 0 offset:404
	s_and_saveexec_b64 s[4:5], vcc
	s_cbranch_execz .LBB52_233
; %bb.232:
	buffer_load_dword v2, off, s[0:3], 0 offset:392
	buffer_load_dword v3, off, s[0:3], 0 offset:396
	v_mov_b32_e32 v1, 0
	v_accvgpr_read_b32 v4, a48
	buffer_store_dword v1, off, s[0:3], 0 offset:392
	buffer_store_dword v1, off, s[0:3], 0 offset:396
	s_waitcnt vmcnt(2)
	ds_write_b64 v4, v[2:3]
.LBB52_233:
	s_or_b64 exec, exec, s[4:5]
	s_waitcnt lgkmcnt(0)
	; wave barrier
	s_waitcnt lgkmcnt(0)
	buffer_load_dword v6, off, s[0:3], 0 offset:392
	buffer_load_dword v7, off, s[0:3], 0 offset:396
	;; [unrolled: 1-line block ×8, first 2 shown]
	v_mov_b32_e32 v1, 0
	ds_read_b128 v[2:5], v1 offset:832
	ds_read_b64 v[14:15], v1 offset:848
	v_cmp_lt_u32_e32 vcc, 48, v0
	s_waitcnt vmcnt(4)
	v_mov_b32_e32 v16, v9
	s_waitcnt lgkmcnt(1)
	v_pk_mul_f32 v[16:17], v[2:3], v[16:17] op_sel_hi:[1,0]
	v_pk_fma_f32 v[18:19], v[2:3], v[8:9], v[16:17] op_sel:[0,0,1] op_sel_hi:[1,1,0] neg_lo:[0,0,1] neg_hi:[0,0,1]
	v_pk_fma_f32 v[2:3], v[2:3], v[8:9], v[16:17] op_sel:[0,0,1] op_sel_hi:[1,0,0]
	s_waitcnt vmcnt(2)
	v_mov_b32_e32 v8, v11
	v_pk_mul_f32 v[8:9], v[4:5], v[8:9] op_sel_hi:[1,0]
	v_pk_fma_f32 v[16:17], v[4:5], v[10:11], v[8:9] op_sel:[0,0,1] op_sel_hi:[1,1,0] neg_lo:[0,0,1] neg_hi:[0,0,1]
	v_pk_fma_f32 v[4:5], v[4:5], v[10:11], v[8:9] op_sel:[0,0,1] op_sel_hi:[1,0,0]
	s_waitcnt vmcnt(0)
	v_mov_b32_e32 v4, v13
	v_mov_b32_e32 v19, v3
	;; [unrolled: 1-line block ×3, first 2 shown]
	s_waitcnt lgkmcnt(0)
	v_pk_mul_f32 v[4:5], v[14:15], v[4:5] op_sel_hi:[1,0]
	v_pk_add_f32 v[2:3], v[18:19], 0 op_sel_hi:[1,0]
	v_pk_fma_f32 v[8:9], v[14:15], v[12:13], v[4:5] op_sel:[0,0,1] op_sel_hi:[1,1,0] neg_lo:[0,0,1] neg_hi:[0,0,1]
	v_pk_fma_f32 v[4:5], v[14:15], v[12:13], v[4:5] op_sel:[0,0,1] op_sel_hi:[1,0,0]
	v_pk_add_f32 v[2:3], v[2:3], v[16:17]
	v_mov_b32_e32 v9, v5
	v_pk_add_f32 v[2:3], v[2:3], v[8:9]
	v_pk_add_f32 v[2:3], v[6:7], v[2:3] neg_lo:[0,1] neg_hi:[0,1]
	buffer_store_dword v2, off, s[0:3], 0 offset:392
	buffer_store_dword v3, off, s[0:3], 0 offset:396
	s_and_saveexec_b64 s[4:5], vcc
	s_cbranch_execz .LBB52_235
; %bb.234:
	buffer_load_dword v2, off, s[0:3], 0 offset:384
	buffer_load_dword v3, off, s[0:3], 0 offset:388
	v_accvgpr_read_b32 v4, a48
	buffer_store_dword v1, off, s[0:3], 0 offset:384
	buffer_store_dword v1, off, s[0:3], 0 offset:388
	s_waitcnt vmcnt(2)
	ds_write_b64 v4, v[2:3]
.LBB52_235:
	s_or_b64 exec, exec, s[4:5]
	s_waitcnt lgkmcnt(0)
	; wave barrier
	s_waitcnt lgkmcnt(0)
	buffer_load_dword v11, off, s[0:3], 0 offset:396
	buffer_load_dword v13, off, s[0:3], 0 offset:404
	buffer_load_dword v15, off, s[0:3], 0 offset:412
	buffer_load_dword v17, off, s[0:3], 0 offset:420
	buffer_load_dword v10, off, s[0:3], 0 offset:392
	buffer_load_dword v12, off, s[0:3], 0 offset:400
	buffer_load_dword v14, off, s[0:3], 0 offset:408
	buffer_load_dword v16, off, s[0:3], 0 offset:416
	buffer_load_dword v18, off, s[0:3], 0 offset:384
	buffer_load_dword v19, off, s[0:3], 0 offset:388
	ds_read2_b64 v[2:5], v1 offset0:103 offset1:104
	ds_read2_b64 v[6:9], v1 offset0:105 offset1:106
	v_cmp_lt_u32_e32 vcc, 47, v0
	s_waitcnt vmcnt(9)
	v_mov_b32_e32 v20, v11
	s_waitcnt vmcnt(8)
	v_mov_b32_e32 v22, v13
	s_waitcnt lgkmcnt(1)
	v_pk_mul_f32 v[20:21], v[2:3], v[20:21] op_sel_hi:[1,0]
	s_waitcnt vmcnt(7)
	v_mov_b32_e32 v24, v15
	v_pk_mul_f32 v[22:23], v[4:5], v[22:23] op_sel_hi:[1,0]
	s_waitcnt vmcnt(5)
	v_pk_fma_f32 v[28:29], v[2:3], v[10:11], v[20:21] op_sel:[0,0,1] op_sel_hi:[1,1,0] neg_lo:[0,0,1] neg_hi:[0,0,1]
	v_pk_fma_f32 v[2:3], v[2:3], v[10:11], v[20:21] op_sel:[0,0,1] op_sel_hi:[1,0,0]
	v_mov_b32_e32 v26, v17
	s_waitcnt lgkmcnt(0)
	v_pk_mul_f32 v[24:25], v[6:7], v[24:25] op_sel_hi:[1,0]
	s_waitcnt vmcnt(4)
	v_pk_fma_f32 v[10:11], v[4:5], v[12:13], v[22:23] op_sel:[0,0,1] op_sel_hi:[1,1,0] neg_lo:[0,0,1] neg_hi:[0,0,1]
	v_pk_fma_f32 v[4:5], v[4:5], v[12:13], v[22:23] op_sel:[0,0,1] op_sel_hi:[1,0,0]
	v_mov_b32_e32 v29, v3
	v_pk_mul_f32 v[26:27], v[8:9], v[26:27] op_sel_hi:[1,0]
	s_waitcnt vmcnt(3)
	v_pk_fma_f32 v[12:13], v[6:7], v[14:15], v[24:25] op_sel:[0,0,1] op_sel_hi:[1,1,0] neg_lo:[0,0,1] neg_hi:[0,0,1]
	v_pk_fma_f32 v[6:7], v[6:7], v[14:15], v[24:25] op_sel:[0,0,1] op_sel_hi:[1,0,0]
	v_mov_b32_e32 v11, v5
	v_pk_add_f32 v[2:3], v[28:29], 0 op_sel_hi:[1,0]
	s_waitcnt vmcnt(2)
	v_pk_fma_f32 v[14:15], v[8:9], v[16:17], v[26:27] op_sel:[0,0,1] op_sel_hi:[1,1,0] neg_lo:[0,0,1] neg_hi:[0,0,1]
	v_pk_fma_f32 v[8:9], v[8:9], v[16:17], v[26:27] op_sel:[0,0,1] op_sel_hi:[1,0,0]
	v_mov_b32_e32 v13, v7
	v_pk_add_f32 v[2:3], v[2:3], v[10:11]
	v_mov_b32_e32 v15, v9
	v_pk_add_f32 v[2:3], v[2:3], v[12:13]
	v_pk_add_f32 v[2:3], v[2:3], v[14:15]
	s_waitcnt vmcnt(0)
	v_pk_add_f32 v[2:3], v[18:19], v[2:3] neg_lo:[0,1] neg_hi:[0,1]
	buffer_store_dword v2, off, s[0:3], 0 offset:384
	buffer_store_dword v3, off, s[0:3], 0 offset:388
	s_and_saveexec_b64 s[4:5], vcc
	s_cbranch_execz .LBB52_237
; %bb.236:
	buffer_load_dword v2, off, s[0:3], 0 offset:376
	buffer_load_dword v3, off, s[0:3], 0 offset:380
	v_mov_b32_e32 v1, 0
	v_accvgpr_read_b32 v4, a48
	buffer_store_dword v1, off, s[0:3], 0 offset:376
	buffer_store_dword v1, off, s[0:3], 0 offset:380
	s_waitcnt vmcnt(2)
	ds_write_b64 v4, v[2:3]
.LBB52_237:
	s_or_b64 exec, exec, s[4:5]
	s_waitcnt lgkmcnt(0)
	; wave barrier
	s_waitcnt lgkmcnt(0)
	buffer_load_dword v11, off, s[0:3], 0 offset:388
	buffer_load_dword v13, off, s[0:3], 0 offset:396
	;; [unrolled: 1-line block ×12, first 2 shown]
	v_mov_b32_e32 v1, 0
	ds_read_b128 v[2:5], v1 offset:816
	ds_read_b128 v[6:9], v1 offset:832
	ds_read_b64 v[22:23], v1 offset:848
	v_cmp_lt_u32_e32 vcc, 46, v0
	s_waitcnt vmcnt(11)
	v_mov_b32_e32 v24, v11
	s_waitcnt vmcnt(10)
	v_mov_b32_e32 v26, v13
	s_waitcnt lgkmcnt(2)
	v_pk_mul_f32 v[24:25], v[2:3], v[24:25] op_sel_hi:[1,0]
	s_waitcnt vmcnt(9)
	v_mov_b32_e32 v28, v15
	v_pk_mul_f32 v[26:27], v[4:5], v[26:27] op_sel_hi:[1,0]
	s_waitcnt vmcnt(6)
	v_pk_fma_f32 v[34:35], v[2:3], v[10:11], v[24:25] op_sel:[0,0,1] op_sel_hi:[1,1,0] neg_lo:[0,0,1] neg_hi:[0,0,1]
	v_pk_fma_f32 v[2:3], v[2:3], v[10:11], v[24:25] op_sel:[0,0,1] op_sel_hi:[1,0,0]
	v_mov_b32_e32 v30, v17
	s_waitcnt lgkmcnt(1)
	v_pk_mul_f32 v[28:29], v[6:7], v[28:29] op_sel_hi:[1,0]
	s_waitcnt vmcnt(5)
	v_pk_fma_f32 v[10:11], v[4:5], v[12:13], v[26:27] op_sel:[0,0,1] op_sel_hi:[1,1,0] neg_lo:[0,0,1] neg_hi:[0,0,1]
	v_pk_fma_f32 v[4:5], v[4:5], v[12:13], v[26:27] op_sel:[0,0,1] op_sel_hi:[1,0,0]
	v_mov_b32_e32 v35, v3
	v_mov_b32_e32 v32, v19
	v_pk_mul_f32 v[30:31], v[8:9], v[30:31] op_sel_hi:[1,0]
	s_waitcnt vmcnt(4)
	v_pk_fma_f32 v[12:13], v[6:7], v[14:15], v[28:29] op_sel:[0,0,1] op_sel_hi:[1,1,0] neg_lo:[0,0,1] neg_hi:[0,0,1]
	v_pk_fma_f32 v[6:7], v[6:7], v[14:15], v[28:29] op_sel:[0,0,1] op_sel_hi:[1,0,0]
	v_mov_b32_e32 v11, v5
	v_pk_add_f32 v[2:3], v[34:35], 0 op_sel_hi:[1,0]
	s_waitcnt lgkmcnt(0)
	v_pk_mul_f32 v[32:33], v[22:23], v[32:33] op_sel_hi:[1,0]
	s_waitcnt vmcnt(3)
	v_pk_fma_f32 v[14:15], v[8:9], v[16:17], v[30:31] op_sel:[0,0,1] op_sel_hi:[1,1,0] neg_lo:[0,0,1] neg_hi:[0,0,1]
	v_pk_fma_f32 v[8:9], v[8:9], v[16:17], v[30:31] op_sel:[0,0,1] op_sel_hi:[1,0,0]
	v_mov_b32_e32 v13, v7
	v_pk_add_f32 v[2:3], v[2:3], v[10:11]
	s_waitcnt vmcnt(2)
	v_pk_fma_f32 v[16:17], v[22:23], v[18:19], v[32:33] op_sel:[0,0,1] op_sel_hi:[1,1,0] neg_lo:[0,0,1] neg_hi:[0,0,1]
	v_pk_fma_f32 v[18:19], v[22:23], v[18:19], v[32:33] op_sel:[0,0,1] op_sel_hi:[1,0,0]
	v_mov_b32_e32 v15, v9
	v_pk_add_f32 v[2:3], v[2:3], v[12:13]
	v_mov_b32_e32 v17, v19
	v_pk_add_f32 v[2:3], v[2:3], v[14:15]
	v_pk_add_f32 v[2:3], v[2:3], v[16:17]
	s_waitcnt vmcnt(0)
	v_pk_add_f32 v[2:3], v[20:21], v[2:3] neg_lo:[0,1] neg_hi:[0,1]
	buffer_store_dword v2, off, s[0:3], 0 offset:376
	buffer_store_dword v3, off, s[0:3], 0 offset:380
	s_and_saveexec_b64 s[4:5], vcc
	s_cbranch_execz .LBB52_239
; %bb.238:
	buffer_load_dword v2, off, s[0:3], 0 offset:368
	buffer_load_dword v3, off, s[0:3], 0 offset:372
	v_accvgpr_read_b32 v4, a48
	buffer_store_dword v1, off, s[0:3], 0 offset:368
	buffer_store_dword v1, off, s[0:3], 0 offset:372
	s_waitcnt vmcnt(2)
	ds_write_b64 v4, v[2:3]
.LBB52_239:
	s_or_b64 exec, exec, s[4:5]
	s_waitcnt lgkmcnt(0)
	; wave barrier
	s_waitcnt lgkmcnt(0)
	buffer_load_dword v15, off, s[0:3], 0 offset:380
	buffer_load_dword v17, off, s[0:3], 0 offset:388
	;; [unrolled: 1-line block ×14, first 2 shown]
	ds_read2_b64 v[2:5], v1 offset0:101 offset1:102
	ds_read2_b64 v[6:9], v1 offset0:103 offset1:104
	;; [unrolled: 1-line block ×3, first 2 shown]
	v_cmp_lt_u32_e32 vcc, 45, v0
	s_waitcnt vmcnt(13)
	v_mov_b32_e32 v28, v15
	s_waitcnt vmcnt(12)
	v_mov_b32_e32 v30, v17
	s_waitcnt lgkmcnt(2)
	v_pk_mul_f32 v[28:29], v[2:3], v[28:29] op_sel_hi:[1,0]
	s_waitcnt vmcnt(11)
	v_mov_b32_e32 v32, v19
	v_pk_mul_f32 v[30:31], v[4:5], v[30:31] op_sel_hi:[1,0]
	s_waitcnt vmcnt(10)
	v_mov_b32_e32 v34, v21
	s_waitcnt vmcnt(7)
	v_pk_fma_f32 v[40:41], v[2:3], v[14:15], v[28:29] op_sel:[0,0,1] op_sel_hi:[1,1,0] neg_lo:[0,0,1] neg_hi:[0,0,1]
	v_pk_fma_f32 v[2:3], v[2:3], v[14:15], v[28:29] op_sel:[0,0,1] op_sel_hi:[1,0,0]
	s_waitcnt lgkmcnt(1)
	v_pk_mul_f32 v[32:33], v[6:7], v[32:33] op_sel_hi:[1,0]
	s_waitcnt vmcnt(6)
	v_pk_fma_f32 v[14:15], v[4:5], v[16:17], v[30:31] op_sel:[0,0,1] op_sel_hi:[1,1,0] neg_lo:[0,0,1] neg_hi:[0,0,1]
	v_pk_fma_f32 v[4:5], v[4:5], v[16:17], v[30:31] op_sel:[0,0,1] op_sel_hi:[1,0,0]
	v_mov_b32_e32 v41, v3
	v_mov_b32_e32 v36, v23
	v_pk_mul_f32 v[34:35], v[8:9], v[34:35] op_sel_hi:[1,0]
	s_waitcnt vmcnt(5)
	v_pk_fma_f32 v[16:17], v[6:7], v[18:19], v[32:33] op_sel:[0,0,1] op_sel_hi:[1,1,0] neg_lo:[0,0,1] neg_hi:[0,0,1]
	v_pk_fma_f32 v[6:7], v[6:7], v[18:19], v[32:33] op_sel:[0,0,1] op_sel_hi:[1,0,0]
	v_mov_b32_e32 v15, v5
	v_pk_add_f32 v[2:3], v[40:41], 0 op_sel_hi:[1,0]
	v_mov_b32_e32 v38, v25
	s_waitcnt lgkmcnt(0)
	v_pk_mul_f32 v[36:37], v[10:11], v[36:37] op_sel_hi:[1,0]
	s_waitcnt vmcnt(4)
	v_pk_fma_f32 v[18:19], v[8:9], v[20:21], v[34:35] op_sel:[0,0,1] op_sel_hi:[1,1,0] neg_lo:[0,0,1] neg_hi:[0,0,1]
	v_pk_fma_f32 v[8:9], v[8:9], v[20:21], v[34:35] op_sel:[0,0,1] op_sel_hi:[1,0,0]
	v_mov_b32_e32 v17, v7
	v_pk_add_f32 v[2:3], v[2:3], v[14:15]
	v_pk_mul_f32 v[38:39], v[12:13], v[38:39] op_sel_hi:[1,0]
	s_waitcnt vmcnt(3)
	v_pk_fma_f32 v[20:21], v[10:11], v[22:23], v[36:37] op_sel:[0,0,1] op_sel_hi:[1,1,0] neg_lo:[0,0,1] neg_hi:[0,0,1]
	v_pk_fma_f32 v[10:11], v[10:11], v[22:23], v[36:37] op_sel:[0,0,1] op_sel_hi:[1,0,0]
	v_mov_b32_e32 v19, v9
	v_pk_add_f32 v[2:3], v[2:3], v[16:17]
	s_waitcnt vmcnt(2)
	v_pk_fma_f32 v[22:23], v[12:13], v[24:25], v[38:39] op_sel:[0,0,1] op_sel_hi:[1,1,0] neg_lo:[0,0,1] neg_hi:[0,0,1]
	v_pk_fma_f32 v[12:13], v[12:13], v[24:25], v[38:39] op_sel:[0,0,1] op_sel_hi:[1,0,0]
	v_mov_b32_e32 v21, v11
	v_pk_add_f32 v[2:3], v[2:3], v[18:19]
	v_mov_b32_e32 v23, v13
	v_pk_add_f32 v[2:3], v[2:3], v[20:21]
	v_pk_add_f32 v[2:3], v[2:3], v[22:23]
	s_waitcnt vmcnt(0)
	v_pk_add_f32 v[2:3], v[26:27], v[2:3] neg_lo:[0,1] neg_hi:[0,1]
	buffer_store_dword v2, off, s[0:3], 0 offset:368
	buffer_store_dword v3, off, s[0:3], 0 offset:372
	s_and_saveexec_b64 s[4:5], vcc
	s_cbranch_execz .LBB52_241
; %bb.240:
	buffer_load_dword v2, off, s[0:3], 0 offset:360
	buffer_load_dword v3, off, s[0:3], 0 offset:364
	v_mov_b32_e32 v1, 0
	v_accvgpr_read_b32 v4, a48
	buffer_store_dword v1, off, s[0:3], 0 offset:360
	buffer_store_dword v1, off, s[0:3], 0 offset:364
	s_waitcnt vmcnt(2)
	ds_write_b64 v4, v[2:3]
.LBB52_241:
	s_or_b64 exec, exec, s[4:5]
	s_waitcnt lgkmcnt(0)
	; wave barrier
	s_waitcnt lgkmcnt(0)
	buffer_load_dword v15, off, s[0:3], 0 offset:372
	buffer_load_dword v17, off, s[0:3], 0 offset:380
	buffer_load_dword v19, off, s[0:3], 0 offset:388
	buffer_load_dword v21, off, s[0:3], 0 offset:396
	buffer_load_dword v23, off, s[0:3], 0 offset:404
	buffer_load_dword v25, off, s[0:3], 0 offset:412
	buffer_load_dword v27, off, s[0:3], 0 offset:420
	buffer_load_dword v14, off, s[0:3], 0 offset:368
	buffer_load_dword v16, off, s[0:3], 0 offset:376
	buffer_load_dword v18, off, s[0:3], 0 offset:384
	buffer_load_dword v20, off, s[0:3], 0 offset:392
	buffer_load_dword v22, off, s[0:3], 0 offset:400
	buffer_load_dword v24, off, s[0:3], 0 offset:408
	buffer_load_dword v26, off, s[0:3], 0 offset:416
	buffer_load_dword v28, off, s[0:3], 0 offset:360
	buffer_load_dword v29, off, s[0:3], 0 offset:364
	v_mov_b32_e32 v1, 0
	ds_read_b128 v[2:5], v1 offset:800
	ds_read_b128 v[6:9], v1 offset:816
	;; [unrolled: 1-line block ×3, first 2 shown]
	ds_read_b64 v[30:31], v1 offset:848
	v_cmp_lt_u32_e32 vcc, 44, v0
	s_waitcnt vmcnt(15)
	v_mov_b32_e32 v32, v15
	s_waitcnt vmcnt(14)
	v_mov_b32_e32 v34, v17
	s_waitcnt lgkmcnt(3)
	v_pk_mul_f32 v[32:33], v[2:3], v[32:33] op_sel_hi:[1,0]
	s_waitcnt vmcnt(13)
	v_mov_b32_e32 v36, v19
	v_pk_mul_f32 v[34:35], v[4:5], v[34:35] op_sel_hi:[1,0]
	s_waitcnt vmcnt(12)
	v_mov_b32_e32 v38, v21
	s_waitcnt lgkmcnt(2)
	v_pk_mul_f32 v[36:37], v[6:7], v[36:37] op_sel_hi:[1,0]
	s_waitcnt vmcnt(8)
	v_pk_fma_f32 v[46:47], v[2:3], v[14:15], v[32:33] op_sel:[0,0,1] op_sel_hi:[1,1,0] neg_lo:[0,0,1] neg_hi:[0,0,1]
	v_pk_fma_f32 v[2:3], v[2:3], v[14:15], v[32:33] op_sel:[0,0,1] op_sel_hi:[1,0,0]
	s_waitcnt vmcnt(7)
	v_pk_fma_f32 v[14:15], v[4:5], v[16:17], v[34:35] op_sel:[0,0,1] op_sel_hi:[1,1,0] neg_lo:[0,0,1] neg_hi:[0,0,1]
	v_pk_fma_f32 v[4:5], v[4:5], v[16:17], v[34:35] op_sel:[0,0,1] op_sel_hi:[1,0,0]
	v_mov_b32_e32 v47, v3
	v_mov_b32_e32 v40, v23
	v_pk_mul_f32 v[38:39], v[8:9], v[38:39] op_sel_hi:[1,0]
	s_waitcnt vmcnt(6)
	v_pk_fma_f32 v[16:17], v[6:7], v[18:19], v[36:37] op_sel:[0,0,1] op_sel_hi:[1,1,0] neg_lo:[0,0,1] neg_hi:[0,0,1]
	v_pk_fma_f32 v[6:7], v[6:7], v[18:19], v[36:37] op_sel:[0,0,1] op_sel_hi:[1,0,0]
	v_mov_b32_e32 v15, v5
	v_pk_add_f32 v[2:3], v[46:47], 0 op_sel_hi:[1,0]
	v_mov_b32_e32 v42, v25
	s_waitcnt lgkmcnt(1)
	v_pk_mul_f32 v[40:41], v[10:11], v[40:41] op_sel_hi:[1,0]
	s_waitcnt vmcnt(5)
	v_pk_fma_f32 v[18:19], v[8:9], v[20:21], v[38:39] op_sel:[0,0,1] op_sel_hi:[1,1,0] neg_lo:[0,0,1] neg_hi:[0,0,1]
	v_pk_fma_f32 v[8:9], v[8:9], v[20:21], v[38:39] op_sel:[0,0,1] op_sel_hi:[1,0,0]
	v_mov_b32_e32 v17, v7
	v_pk_add_f32 v[2:3], v[2:3], v[14:15]
	v_mov_b32_e32 v44, v27
	v_pk_mul_f32 v[42:43], v[12:13], v[42:43] op_sel_hi:[1,0]
	s_waitcnt vmcnt(4)
	v_pk_fma_f32 v[20:21], v[10:11], v[22:23], v[40:41] op_sel:[0,0,1] op_sel_hi:[1,1,0] neg_lo:[0,0,1] neg_hi:[0,0,1]
	v_pk_fma_f32 v[10:11], v[10:11], v[22:23], v[40:41] op_sel:[0,0,1] op_sel_hi:[1,0,0]
	v_mov_b32_e32 v19, v9
	v_pk_add_f32 v[2:3], v[2:3], v[16:17]
	s_waitcnt lgkmcnt(0)
	v_pk_mul_f32 v[44:45], v[30:31], v[44:45] op_sel_hi:[1,0]
	s_waitcnt vmcnt(3)
	v_pk_fma_f32 v[22:23], v[12:13], v[24:25], v[42:43] op_sel:[0,0,1] op_sel_hi:[1,1,0] neg_lo:[0,0,1] neg_hi:[0,0,1]
	v_pk_fma_f32 v[12:13], v[12:13], v[24:25], v[42:43] op_sel:[0,0,1] op_sel_hi:[1,0,0]
	v_mov_b32_e32 v21, v11
	v_pk_add_f32 v[2:3], v[2:3], v[18:19]
	s_waitcnt vmcnt(2)
	v_pk_fma_f32 v[24:25], v[30:31], v[26:27], v[44:45] op_sel:[0,0,1] op_sel_hi:[1,1,0] neg_lo:[0,0,1] neg_hi:[0,0,1]
	v_pk_fma_f32 v[26:27], v[30:31], v[26:27], v[44:45] op_sel:[0,0,1] op_sel_hi:[1,0,0]
	v_mov_b32_e32 v23, v13
	v_pk_add_f32 v[2:3], v[2:3], v[20:21]
	v_mov_b32_e32 v25, v27
	v_pk_add_f32 v[2:3], v[2:3], v[22:23]
	v_pk_add_f32 v[2:3], v[2:3], v[24:25]
	s_waitcnt vmcnt(0)
	v_pk_add_f32 v[2:3], v[28:29], v[2:3] neg_lo:[0,1] neg_hi:[0,1]
	buffer_store_dword v2, off, s[0:3], 0 offset:360
	buffer_store_dword v3, off, s[0:3], 0 offset:364
	s_and_saveexec_b64 s[4:5], vcc
	s_cbranch_execz .LBB52_243
; %bb.242:
	buffer_load_dword v2, off, s[0:3], 0 offset:352
	buffer_load_dword v3, off, s[0:3], 0 offset:356
	v_accvgpr_read_b32 v4, a48
	buffer_store_dword v1, off, s[0:3], 0 offset:352
	buffer_store_dword v1, off, s[0:3], 0 offset:356
	s_waitcnt vmcnt(2)
	ds_write_b64 v4, v[2:3]
.LBB52_243:
	s_or_b64 exec, exec, s[4:5]
	s_waitcnt lgkmcnt(0)
	; wave barrier
	s_waitcnt lgkmcnt(0)
	buffer_load_dword v19, off, s[0:3], 0 offset:364
	buffer_load_dword v21, off, s[0:3], 0 offset:372
	;; [unrolled: 1-line block ×18, first 2 shown]
	ds_read2_b64 v[2:5], v1 offset0:99 offset1:100
	ds_read2_b64 v[6:9], v1 offset0:101 offset1:102
	;; [unrolled: 1-line block ×4, first 2 shown]
	v_cmp_lt_u32_e32 vcc, 43, v0
	s_waitcnt vmcnt(17)
	v_mov_b32_e32 v36, v19
	s_waitcnt vmcnt(16)
	v_mov_b32_e32 v38, v21
	s_waitcnt lgkmcnt(3)
	v_pk_mul_f32 v[36:37], v[2:3], v[36:37] op_sel_hi:[1,0]
	s_waitcnt vmcnt(15)
	v_mov_b32_e32 v40, v23
	v_pk_mul_f32 v[38:39], v[4:5], v[38:39] op_sel_hi:[1,0]
	s_waitcnt vmcnt(14)
	v_mov_b32_e32 v42, v25
	s_waitcnt lgkmcnt(2)
	v_pk_mul_f32 v[40:41], v[6:7], v[40:41] op_sel_hi:[1,0]
	s_waitcnt vmcnt(13)
	v_mov_b32_e32 v44, v27
	s_waitcnt vmcnt(9)
	v_pk_fma_f32 v[52:53], v[2:3], v[18:19], v[36:37] op_sel:[0,0,1] op_sel_hi:[1,1,0] neg_lo:[0,0,1] neg_hi:[0,0,1]
	v_pk_fma_f32 v[2:3], v[2:3], v[18:19], v[36:37] op_sel:[0,0,1] op_sel_hi:[1,0,0]
	s_waitcnt vmcnt(8)
	v_pk_fma_f32 v[18:19], v[4:5], v[20:21], v[38:39] op_sel:[0,0,1] op_sel_hi:[1,1,0] neg_lo:[0,0,1] neg_hi:[0,0,1]
	v_pk_fma_f32 v[4:5], v[4:5], v[20:21], v[38:39] op_sel:[0,0,1] op_sel_hi:[1,0,0]
	v_mov_b32_e32 v53, v3
	v_pk_mul_f32 v[42:43], v[8:9], v[42:43] op_sel_hi:[1,0]
	s_waitcnt vmcnt(7)
	v_pk_fma_f32 v[20:21], v[6:7], v[22:23], v[40:41] op_sel:[0,0,1] op_sel_hi:[1,1,0] neg_lo:[0,0,1] neg_hi:[0,0,1]
	v_pk_fma_f32 v[6:7], v[6:7], v[22:23], v[40:41] op_sel:[0,0,1] op_sel_hi:[1,0,0]
	v_mov_b32_e32 v19, v5
	v_pk_add_f32 v[2:3], v[52:53], 0 op_sel_hi:[1,0]
	v_mov_b32_e32 v46, v29
	s_waitcnt lgkmcnt(1)
	v_pk_mul_f32 v[44:45], v[10:11], v[44:45] op_sel_hi:[1,0]
	s_waitcnt vmcnt(6)
	v_pk_fma_f32 v[22:23], v[8:9], v[24:25], v[42:43] op_sel:[0,0,1] op_sel_hi:[1,1,0] neg_lo:[0,0,1] neg_hi:[0,0,1]
	v_pk_fma_f32 v[8:9], v[8:9], v[24:25], v[42:43] op_sel:[0,0,1] op_sel_hi:[1,0,0]
	v_mov_b32_e32 v21, v7
	v_pk_add_f32 v[2:3], v[2:3], v[18:19]
	v_mov_b32_e32 v48, v31
	v_pk_mul_f32 v[46:47], v[12:13], v[46:47] op_sel_hi:[1,0]
	s_waitcnt vmcnt(5)
	v_pk_fma_f32 v[24:25], v[10:11], v[26:27], v[44:45] op_sel:[0,0,1] op_sel_hi:[1,1,0] neg_lo:[0,0,1] neg_hi:[0,0,1]
	v_pk_fma_f32 v[10:11], v[10:11], v[26:27], v[44:45] op_sel:[0,0,1] op_sel_hi:[1,0,0]
	v_mov_b32_e32 v23, v9
	v_pk_add_f32 v[2:3], v[2:3], v[20:21]
	v_mov_b32_e32 v50, v33
	s_waitcnt lgkmcnt(0)
	v_pk_mul_f32 v[48:49], v[14:15], v[48:49] op_sel_hi:[1,0]
	s_waitcnt vmcnt(4)
	v_pk_fma_f32 v[26:27], v[12:13], v[28:29], v[46:47] op_sel:[0,0,1] op_sel_hi:[1,1,0] neg_lo:[0,0,1] neg_hi:[0,0,1]
	v_pk_fma_f32 v[12:13], v[12:13], v[28:29], v[46:47] op_sel:[0,0,1] op_sel_hi:[1,0,0]
	v_mov_b32_e32 v25, v11
	v_pk_add_f32 v[2:3], v[2:3], v[22:23]
	v_pk_mul_f32 v[50:51], v[16:17], v[50:51] op_sel_hi:[1,0]
	s_waitcnt vmcnt(3)
	v_pk_fma_f32 v[28:29], v[14:15], v[30:31], v[48:49] op_sel:[0,0,1] op_sel_hi:[1,1,0] neg_lo:[0,0,1] neg_hi:[0,0,1]
	v_pk_fma_f32 v[14:15], v[14:15], v[30:31], v[48:49] op_sel:[0,0,1] op_sel_hi:[1,0,0]
	v_mov_b32_e32 v27, v13
	v_pk_add_f32 v[2:3], v[2:3], v[24:25]
	s_waitcnt vmcnt(2)
	v_pk_fma_f32 v[30:31], v[16:17], v[32:33], v[50:51] op_sel:[0,0,1] op_sel_hi:[1,1,0] neg_lo:[0,0,1] neg_hi:[0,0,1]
	v_pk_fma_f32 v[16:17], v[16:17], v[32:33], v[50:51] op_sel:[0,0,1] op_sel_hi:[1,0,0]
	v_mov_b32_e32 v29, v15
	v_pk_add_f32 v[2:3], v[2:3], v[26:27]
	v_mov_b32_e32 v31, v17
	v_pk_add_f32 v[2:3], v[2:3], v[28:29]
	v_pk_add_f32 v[2:3], v[2:3], v[30:31]
	s_waitcnt vmcnt(0)
	v_pk_add_f32 v[2:3], v[34:35], v[2:3] neg_lo:[0,1] neg_hi:[0,1]
	buffer_store_dword v2, off, s[0:3], 0 offset:352
	buffer_store_dword v3, off, s[0:3], 0 offset:356
	s_and_saveexec_b64 s[4:5], vcc
	s_cbranch_execz .LBB52_245
; %bb.244:
	buffer_load_dword v2, off, s[0:3], 0 offset:344
	buffer_load_dword v3, off, s[0:3], 0 offset:348
	v_mov_b32_e32 v1, 0
	v_accvgpr_read_b32 v4, a48
	buffer_store_dword v1, off, s[0:3], 0 offset:344
	buffer_store_dword v1, off, s[0:3], 0 offset:348
	s_waitcnt vmcnt(2)
	ds_write_b64 v4, v[2:3]
.LBB52_245:
	s_or_b64 exec, exec, s[4:5]
	s_waitcnt lgkmcnt(0)
	; wave barrier
	s_waitcnt lgkmcnt(0)
	buffer_load_dword v38, off, s[0:3], 0 offset:356
	buffer_load_dword v19, off, s[0:3], 0 offset:364
	;; [unrolled: 1-line block ×20, first 2 shown]
	v_mov_b32_e32 v1, 0
	ds_read_b128 v[2:5], v1 offset:784
	ds_read_b128 v[6:9], v1 offset:800
	;; [unrolled: 1-line block ×4, first 2 shown]
	ds_read_b64 v[36:37], v1 offset:848
	v_cmp_lt_u32_e32 vcc, 42, v0
	s_waitcnt vmcnt(19) lgkmcnt(4)
	v_mul_f32_e32 v39, v2, v38
	v_mul_f32_e32 v38, v3, v38
	s_waitcnt vmcnt(18)
	v_mov_b32_e32 v40, v19
	s_waitcnt vmcnt(17)
	v_mov_b32_e32 v42, v21
	;; [unrolled: 2-line block ×8, first 2 shown]
	s_waitcnt vmcnt(10)
	v_fmac_f32_e32 v39, v3, v41
	v_fma_f32 v38, v2, v41, -v38
	v_pk_mul_f32 v[2:3], v[4:5], v[40:41] op_sel_hi:[1,0]
	s_waitcnt lgkmcnt(3)
	v_pk_mul_f32 v[40:41], v[6:7], v[42:43] op_sel_hi:[1,0]
	v_pk_mul_f32 v[42:43], v[8:9], v[44:45] op_sel_hi:[1,0]
	s_waitcnt lgkmcnt(2)
	v_pk_mul_f32 v[44:45], v[10:11], v[46:47] op_sel_hi:[1,0]
	;; [unrolled: 3-line block ×4, first 2 shown]
	s_waitcnt vmcnt(9)
	v_pk_fma_f32 v[54:55], v[4:5], v[18:19], v[2:3] op_sel:[0,0,1] op_sel_hi:[1,1,0] neg_lo:[0,0,1] neg_hi:[0,0,1]
	v_pk_fma_f32 v[2:3], v[4:5], v[18:19], v[2:3] op_sel:[0,0,1] op_sel_hi:[1,0,0]
	v_pk_add_f32 v[38:39], v[38:39], 0 op_sel_hi:[1,0]
	s_waitcnt vmcnt(8)
	v_pk_fma_f32 v[4:5], v[6:7], v[20:21], v[40:41] op_sel:[0,0,1] op_sel_hi:[1,1,0] neg_lo:[0,0,1] neg_hi:[0,0,1]
	v_pk_fma_f32 v[6:7], v[6:7], v[20:21], v[40:41] op_sel:[0,0,1] op_sel_hi:[1,0,0]
	v_mov_b32_e32 v55, v3
	s_waitcnt vmcnt(7)
	v_pk_fma_f32 v[18:19], v[8:9], v[22:23], v[42:43] op_sel:[0,0,1] op_sel_hi:[1,1,0] neg_lo:[0,0,1] neg_hi:[0,0,1]
	v_pk_fma_f32 v[8:9], v[8:9], v[22:23], v[42:43] op_sel:[0,0,1] op_sel_hi:[1,0,0]
	v_mov_b32_e32 v5, v7
	v_pk_add_f32 v[2:3], v[38:39], v[54:55]
	s_waitcnt vmcnt(6)
	v_pk_fma_f32 v[20:21], v[10:11], v[24:25], v[44:45] op_sel:[0,0,1] op_sel_hi:[1,1,0] neg_lo:[0,0,1] neg_hi:[0,0,1]
	v_pk_fma_f32 v[10:11], v[10:11], v[24:25], v[44:45] op_sel:[0,0,1] op_sel_hi:[1,0,0]
	v_mov_b32_e32 v19, v9
	v_pk_add_f32 v[2:3], v[2:3], v[4:5]
	;; [unrolled: 5-line block ×5, first 2 shown]
	v_pk_fma_f32 v[28:29], v[36:37], v[32:33], v[52:53] op_sel:[0,0,1] op_sel_hi:[1,1,0] neg_lo:[0,0,1] neg_hi:[0,0,1]
	v_pk_fma_f32 v[30:31], v[36:37], v[32:33], v[52:53] op_sel:[0,0,1] op_sel_hi:[1,0,0]
	v_mov_b32_e32 v27, v17
	v_pk_add_f32 v[2:3], v[2:3], v[24:25]
	v_mov_b32_e32 v29, v31
	v_pk_add_f32 v[2:3], v[2:3], v[26:27]
	v_pk_add_f32 v[2:3], v[2:3], v[28:29]
	s_waitcnt vmcnt(0)
	v_pk_add_f32 v[2:3], v[34:35], v[2:3] neg_lo:[0,1] neg_hi:[0,1]
	buffer_store_dword v2, off, s[0:3], 0 offset:344
	buffer_store_dword v3, off, s[0:3], 0 offset:348
	s_and_saveexec_b64 s[4:5], vcc
	s_cbranch_execz .LBB52_247
; %bb.246:
	buffer_load_dword v2, off, s[0:3], 0 offset:336
	buffer_load_dword v3, off, s[0:3], 0 offset:340
	v_accvgpr_read_b32 v4, a48
	buffer_store_dword v1, off, s[0:3], 0 offset:336
	buffer_store_dword v1, off, s[0:3], 0 offset:340
	s_waitcnt vmcnt(2)
	ds_write_b64 v4, v[2:3]
.LBB52_247:
	s_or_b64 exec, exec, s[4:5]
	s_waitcnt lgkmcnt(0)
	; wave barrier
	s_waitcnt lgkmcnt(0)
	buffer_load_dword v40, off, s[0:3], 0 offset:348
	buffer_load_dword v42, off, s[0:3], 0 offset:356
	buffer_load_dword v23, off, s[0:3], 0 offset:364
	buffer_load_dword v25, off, s[0:3], 0 offset:372
	buffer_load_dword v27, off, s[0:3], 0 offset:380
	buffer_load_dword v29, off, s[0:3], 0 offset:388
	buffer_load_dword v31, off, s[0:3], 0 offset:396
	buffer_load_dword v33, off, s[0:3], 0 offset:404
	buffer_load_dword v35, off, s[0:3], 0 offset:412
	buffer_load_dword v37, off, s[0:3], 0 offset:420
	buffer_load_dword v45, off, s[0:3], 0 offset:344
	buffer_load_dword v47, off, s[0:3], 0 offset:352
	buffer_load_dword v22, off, s[0:3], 0 offset:360
	buffer_load_dword v24, off, s[0:3], 0 offset:368
	buffer_load_dword v26, off, s[0:3], 0 offset:376
	buffer_load_dword v28, off, s[0:3], 0 offset:384
	buffer_load_dword v30, off, s[0:3], 0 offset:392
	buffer_load_dword v36, off, s[0:3], 0 offset:416
	buffer_load_dword v34, off, s[0:3], 0 offset:408
	buffer_load_dword v32, off, s[0:3], 0 offset:400
	buffer_load_dword v38, off, s[0:3], 0 offset:336
	buffer_load_dword v39, off, s[0:3], 0 offset:340
	ds_read2_b64 v[2:5], v1 offset0:97 offset1:98
	ds_read2_b64 v[6:9], v1 offset0:99 offset1:100
	;; [unrolled: 1-line block ×5, first 2 shown]
	v_cmp_lt_u32_e32 vcc, 41, v0
	s_waitcnt vmcnt(21) lgkmcnt(4)
	v_mul_f32_e32 v41, v2, v40
	v_mul_f32_e32 v1, v3, v40
	s_waitcnt vmcnt(19)
	v_mov_b32_e32 v44, v23
	v_mul_f32_e32 v43, v4, v42
	v_mul_f32_e32 v42, v5, v42
	s_waitcnt vmcnt(18)
	v_mov_b32_e32 v46, v25
	s_waitcnt vmcnt(17)
	v_mov_b32_e32 v48, v27
	;; [unrolled: 2-line block ×6, first 2 shown]
	s_waitcnt vmcnt(11)
	v_fmac_f32_e32 v41, v3, v45
	v_fma_f32 v40, v2, v45, -v1
	s_waitcnt lgkmcnt(3)
	v_pk_mul_f32 v[2:3], v[6:7], v[44:45] op_sel_hi:[1,0]
	s_waitcnt vmcnt(10)
	v_fmac_f32_e32 v43, v5, v47
	v_fma_f32 v42, v4, v47, -v42
	v_pk_mul_f32 v[4:5], v[8:9], v[46:47] op_sel_hi:[1,0]
	s_waitcnt lgkmcnt(2)
	v_pk_mul_f32 v[44:45], v[10:11], v[48:49] op_sel_hi:[1,0]
	v_pk_mul_f32 v[46:47], v[12:13], v[50:51] op_sel_hi:[1,0]
	s_waitcnt lgkmcnt(1)
	v_pk_mul_f32 v[48:49], v[14:15], v[52:53] op_sel_hi:[1,0]
	;; [unrolled: 3-line block ×3, first 2 shown]
	v_pk_add_f32 v[40:41], v[40:41], 0 op_sel_hi:[1,0]
	s_waitcnt vmcnt(9)
	v_pk_fma_f32 v[56:57], v[6:7], v[22:23], v[2:3] op_sel:[0,0,1] op_sel_hi:[1,1,0] neg_lo:[0,0,1] neg_hi:[0,0,1]
	v_pk_fma_f32 v[2:3], v[6:7], v[22:23], v[2:3] op_sel:[0,0,1] op_sel_hi:[1,0,0]
	s_waitcnt vmcnt(8)
	v_pk_fma_f32 v[6:7], v[8:9], v[24:25], v[4:5] op_sel:[0,0,1] op_sel_hi:[1,1,0] neg_lo:[0,0,1] neg_hi:[0,0,1]
	v_pk_fma_f32 v[4:5], v[8:9], v[24:25], v[4:5] op_sel:[0,0,1] op_sel_hi:[1,0,0]
	;; [unrolled: 3-line block ×4, first 2 shown]
	v_pk_add_f32 v[32:33], v[40:41], v[42:43]
	v_mov_b32_e32 v57, v3
	v_mov_b32_e32 v7, v5
	v_pk_add_f32 v[2:3], v[32:33], v[56:57]
	v_pk_fma_f32 v[22:23], v[12:13], v[28:29], v[46:47] op_sel:[0,0,1] op_sel_hi:[1,1,0] neg_lo:[0,0,1] neg_hi:[0,0,1]
	v_pk_fma_f32 v[12:13], v[12:13], v[28:29], v[46:47] op_sel:[0,0,1] op_sel_hi:[1,0,0]
	v_mov_b32_e32 v9, v11
	v_pk_add_f32 v[2:3], v[2:3], v[6:7]
	v_pk_fma_f32 v[24:25], v[14:15], v[30:31], v[48:49] op_sel:[0,0,1] op_sel_hi:[1,1,0] neg_lo:[0,0,1] neg_hi:[0,0,1]
	v_pk_fma_f32 v[14:15], v[14:15], v[30:31], v[48:49] op_sel:[0,0,1] op_sel_hi:[1,0,0]
	v_mov_b32_e32 v23, v13
	v_pk_add_f32 v[2:3], v[2:3], v[8:9]
	v_mov_b32_e32 v58, v37
	v_mov_b32_e32 v25, v15
	v_pk_add_f32 v[2:3], v[2:3], v[22:23]
	v_pk_mul_f32 v[54:55], v[20:21], v[58:59] op_sel_hi:[1,0]
	v_pk_fma_f32 v[28:29], v[18:19], v[34:35], v[52:53] op_sel:[0,0,1] op_sel_hi:[1,1,0] neg_lo:[0,0,1] neg_hi:[0,0,1]
	v_pk_fma_f32 v[18:19], v[18:19], v[34:35], v[52:53] op_sel:[0,0,1] op_sel_hi:[1,0,0]
	v_mov_b32_e32 v27, v17
	v_pk_add_f32 v[2:3], v[2:3], v[24:25]
	v_pk_fma_f32 v[30:31], v[20:21], v[36:37], v[54:55] op_sel:[0,0,1] op_sel_hi:[1,1,0] neg_lo:[0,0,1] neg_hi:[0,0,1]
	v_pk_fma_f32 v[20:21], v[20:21], v[36:37], v[54:55] op_sel:[0,0,1] op_sel_hi:[1,0,0]
	v_mov_b32_e32 v29, v19
	v_pk_add_f32 v[2:3], v[2:3], v[26:27]
	v_mov_b32_e32 v31, v21
	v_pk_add_f32 v[2:3], v[2:3], v[28:29]
	v_pk_add_f32 v[2:3], v[2:3], v[30:31]
	s_waitcnt vmcnt(0)
	v_pk_add_f32 v[2:3], v[38:39], v[2:3] neg_lo:[0,1] neg_hi:[0,1]
	buffer_store_dword v2, off, s[0:3], 0 offset:336
	buffer_store_dword v3, off, s[0:3], 0 offset:340
	s_and_saveexec_b64 s[4:5], vcc
	s_cbranch_execz .LBB52_249
; %bb.248:
	buffer_load_dword v2, off, s[0:3], 0 offset:328
	buffer_load_dword v3, off, s[0:3], 0 offset:332
	v_mov_b32_e32 v1, 0
	v_accvgpr_read_b32 v4, a48
	buffer_store_dword v1, off, s[0:3], 0 offset:328
	buffer_store_dword v1, off, s[0:3], 0 offset:332
	s_waitcnt vmcnt(2)
	ds_write_b64 v4, v[2:3]
.LBB52_249:
	s_or_b64 exec, exec, s[4:5]
	s_waitcnt lgkmcnt(0)
	; wave barrier
	s_waitcnt lgkmcnt(0)
	buffer_load_dword v42, off, s[0:3], 0 offset:340
	buffer_load_dword v44, off, s[0:3], 0 offset:348
	;; [unrolled: 1-line block ×24, first 2 shown]
	v_mov_b32_e32 v1, 0
	ds_read_b128 v[2:5], v1 offset:768
	ds_read_b128 v[6:9], v1 offset:784
	;; [unrolled: 1-line block ×5, first 2 shown]
	ds_read_b64 v[40:41], v1 offset:848
	v_cmp_lt_u32_e32 vcc, 40, v0
	s_waitcnt vmcnt(23) lgkmcnt(5)
	v_mul_f32_e32 v55, v2, v42
	v_mul_f32_e32 v42, v3, v42
	s_waitcnt vmcnt(22)
	v_mul_f32_e32 v43, v4, v44
	s_waitcnt vmcnt(21) lgkmcnt(4)
	v_mul_f32_e32 v45, v6, v46
	v_mul_f32_e32 v44, v5, v44
	v_mul_f32_e32 v53, v7, v46
	s_waitcnt vmcnt(20)
	v_mov_b32_e32 v46, v23
	s_waitcnt vmcnt(19)
	v_mov_b32_e32 v48, v25
	;; [unrolled: 2-line block ×5, first 2 shown]
	s_waitcnt vmcnt(12)
	v_fmac_f32_e32 v55, v3, v47
	v_fma_f32 v57, v2, v47, -v42
	v_mov_b32_e32 v56, v33
	s_waitcnt vmcnt(11)
	v_fmac_f32_e32 v43, v5, v49
	s_waitcnt vmcnt(10)
	v_fmac_f32_e32 v45, v7, v51
	v_fma_f32 v42, v4, v49, -v44
	v_fma_f32 v44, v6, v51, -v53
	v_pk_mul_f32 v[2:3], v[8:9], v[46:47] op_sel_hi:[1,0]
	s_waitcnt lgkmcnt(3)
	v_pk_mul_f32 v[4:5], v[10:11], v[48:49] op_sel_hi:[1,0]
	v_pk_mul_f32 v[6:7], v[12:13], v[50:51] op_sel_hi:[1,0]
	s_waitcnt lgkmcnt(2)
	v_pk_mul_f32 v[46:47], v[14:15], v[52:53] op_sel_hi:[1,0]
	v_pk_mul_f32 v[48:49], v[16:17], v[54:55] op_sel_hi:[1,0]
	v_add_f32_e32 v55, 0, v55
	v_add_f32_e32 v54, 0, v57
	s_waitcnt lgkmcnt(1)
	v_pk_mul_f32 v[50:51], v[18:19], v[56:57] op_sel_hi:[1,0]
	s_waitcnt vmcnt(9)
	v_pk_fma_f32 v[56:57], v[8:9], v[22:23], v[2:3] op_sel:[0,0,1] op_sel_hi:[1,1,0] neg_lo:[0,0,1] neg_hi:[0,0,1]
	v_pk_fma_f32 v[2:3], v[8:9], v[22:23], v[2:3] op_sel:[0,0,1] op_sel_hi:[1,0,0]
	s_waitcnt vmcnt(8)
	v_pk_fma_f32 v[8:9], v[10:11], v[24:25], v[4:5] op_sel:[0,0,1] op_sel_hi:[1,1,0] neg_lo:[0,0,1] neg_hi:[0,0,1]
	v_pk_fma_f32 v[4:5], v[10:11], v[24:25], v[4:5] op_sel:[0,0,1] op_sel_hi:[1,0,0]
	;; [unrolled: 3-line block ×4, first 2 shown]
	v_pk_add_f32 v[28:29], v[54:55], v[42:43]
	v_mov_b32_e32 v57, v3
	v_pk_add_f32 v[2:3], v[28:29], v[44:45]
	v_mov_b32_e32 v9, v5
	;; [unrolled: 2-line block ×4, first 2 shown]
	s_waitcnt vmcnt(2)
	v_pk_fma_f32 v[22:23], v[16:17], v[30:31], v[48:49] op_sel:[0,0,1] op_sel_hi:[1,1,0] neg_lo:[0,0,1] neg_hi:[0,0,1]
	v_pk_fma_f32 v[16:17], v[16:17], v[30:31], v[48:49] op_sel:[0,0,1] op_sel_hi:[1,0,0]
	v_mov_b32_e32 v13, v15
	v_pk_add_f32 v[2:3], v[2:3], v[10:11]
	v_mov_b32_e32 v60, v37
	v_pk_mul_f32 v[52:53], v[20:21], v[58:59] op_sel_hi:[1,0]
	v_pk_fma_f32 v[24:25], v[18:19], v[32:33], v[50:51] op_sel:[0,0,1] op_sel_hi:[1,1,0] neg_lo:[0,0,1] neg_hi:[0,0,1]
	v_pk_fma_f32 v[18:19], v[18:19], v[32:33], v[50:51] op_sel:[0,0,1] op_sel_hi:[1,0,0]
	v_mov_b32_e32 v23, v17
	v_pk_add_f32 v[2:3], v[2:3], v[12:13]
	v_pk_fma_f32 v[26:27], v[20:21], v[34:35], v[52:53] op_sel:[0,0,1] op_sel_hi:[1,1,0] neg_lo:[0,0,1] neg_hi:[0,0,1]
	v_pk_fma_f32 v[20:21], v[20:21], v[34:35], v[52:53] op_sel:[0,0,1] op_sel_hi:[1,0,0]
	v_mov_b32_e32 v25, v19
	v_pk_add_f32 v[2:3], v[2:3], v[22:23]
	s_waitcnt lgkmcnt(0)
	v_pk_mul_f32 v[4:5], v[40:41], v[60:61] op_sel_hi:[1,0]
	v_mov_b32_e32 v27, v21
	v_pk_add_f32 v[2:3], v[2:3], v[24:25]
	v_pk_fma_f32 v[6:7], v[40:41], v[36:37], v[4:5] op_sel:[0,0,1] op_sel_hi:[1,1,0] neg_lo:[0,0,1] neg_hi:[0,0,1]
	v_pk_fma_f32 v[4:5], v[40:41], v[36:37], v[4:5] op_sel:[0,0,1] op_sel_hi:[1,0,0]
	v_pk_add_f32 v[2:3], v[2:3], v[26:27]
	v_mov_b32_e32 v7, v5
	v_pk_add_f32 v[2:3], v[2:3], v[6:7]
	s_waitcnt vmcnt(0)
	v_pk_add_f32 v[2:3], v[38:39], v[2:3] neg_lo:[0,1] neg_hi:[0,1]
	buffer_store_dword v3, off, s[0:3], 0 offset:332
	buffer_store_dword v2, off, s[0:3], 0 offset:328
	s_and_saveexec_b64 s[4:5], vcc
	s_cbranch_execz .LBB52_251
; %bb.250:
	buffer_load_dword v2, off, s[0:3], 0 offset:320
	buffer_load_dword v3, off, s[0:3], 0 offset:324
	v_accvgpr_read_b32 v4, a48
	buffer_store_dword v1, off, s[0:3], 0 offset:320
	buffer_store_dword v1, off, s[0:3], 0 offset:324
	s_waitcnt vmcnt(2)
	ds_write_b64 v4, v[2:3]
.LBB52_251:
	s_or_b64 exec, exec, s[4:5]
	s_waitcnt lgkmcnt(0)
	; wave barrier
	s_waitcnt lgkmcnt(0)
	buffer_load_dword v44, off, s[0:3], 0 offset:332
	buffer_load_dword v46, off, s[0:3], 0 offset:340
	;; [unrolled: 1-line block ×26, first 2 shown]
	ds_read2_b64 v[2:5], v1 offset0:95 offset1:96
	ds_read2_b64 v[6:9], v1 offset0:97 offset1:98
	;; [unrolled: 1-line block ×6, first 2 shown]
	v_cmp_lt_u32_e32 vcc, 39, v0
	s_waitcnt vmcnt(25) lgkmcnt(5)
	v_mul_f32_e32 v1, v2, v44
	v_mul_f32_e32 v44, v3, v44
	s_waitcnt vmcnt(24)
	v_mul_f32_e32 v59, v4, v46
	s_waitcnt vmcnt(23) lgkmcnt(4)
	v_mul_f32_e32 v45, v6, v48
	s_waitcnt vmcnt(22)
	v_mul_f32_e32 v47, v8, v49
	v_mul_f32_e32 v46, v5, v46
	;; [unrolled: 1-line block ×4, first 2 shown]
	s_waitcnt vmcnt(21)
	v_mov_b32_e32 v48, v27
	s_waitcnt vmcnt(20)
	v_mov_b32_e32 v50, v29
	;; [unrolled: 2-line block ×3, first 2 shown]
	s_waitcnt vmcnt(15)
	v_fmac_f32_e32 v1, v3, v51
	v_fma_f32 v61, v2, v51, -v44
	v_mov_b32_e32 v52, v31
	s_waitcnt vmcnt(14)
	v_fmac_f32_e32 v59, v5, v53
	s_waitcnt vmcnt(12)
	v_fmac_f32_e32 v47, v9, v57
	v_fma_f32 v62, v4, v53, -v46
	v_fma_f32 v46, v8, v57, -v49
	s_waitcnt lgkmcnt(3)
	v_pk_mul_f32 v[2:3], v[10:11], v[48:49] op_sel_hi:[1,0]
	v_pk_mul_f32 v[4:5], v[12:13], v[50:51] op_sel_hi:[1,0]
	s_waitcnt lgkmcnt(2)
	v_pk_mul_f32 v[8:9], v[16:17], v[54:55] op_sel_hi:[1,0]
	v_add_f32_e32 v1, 0, v1
	v_add_f32_e32 v54, 0, v61
	v_fmac_f32_e32 v45, v7, v55
	v_fma_f32 v44, v6, v55, -v60
	v_pk_mul_f32 v[6:7], v[14:15], v[52:53] op_sel_hi:[1,0]
	s_waitcnt vmcnt(11)
	v_pk_fma_f32 v[52:53], v[10:11], v[26:27], v[2:3] op_sel:[0,0,1] op_sel_hi:[1,1,0] neg_lo:[0,0,1] neg_hi:[0,0,1]
	v_pk_fma_f32 v[2:3], v[10:11], v[26:27], v[2:3] op_sel:[0,0,1] op_sel_hi:[1,0,0]
	s_waitcnt vmcnt(10)
	v_pk_fma_f32 v[10:11], v[12:13], v[28:29], v[4:5] op_sel:[0,0,1] op_sel_hi:[1,1,0] neg_lo:[0,0,1] neg_hi:[0,0,1]
	v_pk_fma_f32 v[4:5], v[12:13], v[28:29], v[4:5] op_sel:[0,0,1] op_sel_hi:[1,0,0]
	v_add_f32_e32 v29, v1, v59
	v_add_f32_e32 v28, v54, v62
	v_mov_b32_e32 v53, v3
	v_pk_add_f32 v[2:3], v[28:29], v[44:45]
	v_pk_add_f32 v[2:3], v[2:3], v[46:47]
	v_mov_b32_e32 v56, v35
	s_waitcnt vmcnt(9)
	v_pk_fma_f32 v[12:13], v[14:15], v[30:31], v[6:7] op_sel:[0,0,1] op_sel_hi:[1,1,0] neg_lo:[0,0,1] neg_hi:[0,0,1]
	v_pk_fma_f32 v[6:7], v[14:15], v[30:31], v[6:7] op_sel:[0,0,1] op_sel_hi:[1,0,0]
	v_mov_b32_e32 v11, v5
	v_pk_add_f32 v[2:3], v[2:3], v[52:53]
	v_mov_b32_e32 v58, v37
	s_waitcnt lgkmcnt(1)
	v_pk_mul_f32 v[48:49], v[18:19], v[56:57] op_sel_hi:[1,0]
	s_waitcnt vmcnt(5)
	v_pk_fma_f32 v[14:15], v[16:17], v[32:33], v[8:9] op_sel:[0,0,1] op_sel_hi:[1,1,0] neg_lo:[0,0,1] neg_hi:[0,0,1]
	v_pk_fma_f32 v[8:9], v[16:17], v[32:33], v[8:9] op_sel:[0,0,1] op_sel_hi:[1,0,0]
	v_mov_b32_e32 v13, v7
	v_pk_add_f32 v[2:3], v[2:3], v[10:11]
	s_waitcnt vmcnt(4)
	v_mov_b32_e32 v4, v39
	v_pk_mul_f32 v[50:51], v[20:21], v[58:59] op_sel_hi:[1,0]
	v_pk_fma_f32 v[16:17], v[18:19], v[34:35], v[48:49] op_sel:[0,0,1] op_sel_hi:[1,1,0] neg_lo:[0,0,1] neg_hi:[0,0,1]
	v_pk_fma_f32 v[18:19], v[18:19], v[34:35], v[48:49] op_sel:[0,0,1] op_sel_hi:[1,0,0]
	v_mov_b32_e32 v15, v9
	v_pk_add_f32 v[2:3], v[2:3], v[12:13]
	s_waitcnt lgkmcnt(0)
	v_pk_mul_f32 v[4:5], v[22:23], v[4:5] op_sel_hi:[1,0]
	v_pk_fma_f32 v[26:27], v[20:21], v[36:37], v[50:51] op_sel:[0,0,1] op_sel_hi:[1,1,0] neg_lo:[0,0,1] neg_hi:[0,0,1]
	v_pk_fma_f32 v[20:21], v[20:21], v[36:37], v[50:51] op_sel:[0,0,1] op_sel_hi:[1,0,0]
	v_mov_b32_e32 v17, v19
	v_pk_add_f32 v[2:3], v[2:3], v[14:15]
	v_pk_fma_f32 v[6:7], v[22:23], v[38:39], v[4:5] op_sel:[0,0,1] op_sel_hi:[1,1,0] neg_lo:[0,0,1] neg_hi:[0,0,1]
	v_pk_fma_f32 v[4:5], v[22:23], v[38:39], v[4:5] op_sel:[0,0,1] op_sel_hi:[1,0,0]
	v_mov_b32_e32 v27, v21
	v_pk_add_f32 v[2:3], v[2:3], v[16:17]
	s_waitcnt vmcnt(3)
	v_mov_b32_e32 v4, v41
	v_pk_add_f32 v[2:3], v[2:3], v[26:27]
	v_mov_b32_e32 v7, v5
	v_pk_mul_f32 v[4:5], v[24:25], v[4:5] op_sel_hi:[1,0]
	v_pk_add_f32 v[2:3], v[2:3], v[6:7]
	s_waitcnt vmcnt(2)
	v_pk_fma_f32 v[6:7], v[24:25], v[40:41], v[4:5] op_sel:[0,0,1] op_sel_hi:[1,1,0] neg_lo:[0,0,1] neg_hi:[0,0,1]
	v_pk_fma_f32 v[4:5], v[24:25], v[40:41], v[4:5] op_sel:[0,0,1] op_sel_hi:[1,0,0]
	v_mov_b32_e32 v7, v5
	v_pk_add_f32 v[2:3], v[2:3], v[6:7]
	s_waitcnt vmcnt(0)
	v_pk_add_f32 v[2:3], v[42:43], v[2:3] neg_lo:[0,1] neg_hi:[0,1]
	buffer_store_dword v3, off, s[0:3], 0 offset:324
	buffer_store_dword v2, off, s[0:3], 0 offset:320
	s_and_saveexec_b64 s[4:5], vcc
	s_cbranch_execz .LBB52_253
; %bb.252:
	buffer_load_dword v2, off, s[0:3], 0 offset:312
	buffer_load_dword v3, off, s[0:3], 0 offset:316
	v_mov_b32_e32 v1, 0
	v_accvgpr_read_b32 v4, a48
	buffer_store_dword v1, off, s[0:3], 0 offset:312
	buffer_store_dword v1, off, s[0:3], 0 offset:316
	s_waitcnt vmcnt(2)
	ds_write_b64 v4, v[2:3]
.LBB52_253:
	s_or_b64 exec, exec, s[4:5]
	v_mov_b32_e32 v1, 0
	s_waitcnt lgkmcnt(0)
	; wave barrier
	s_waitcnt lgkmcnt(0)
	ds_read_b128 v[4:7], v1 offset:752
	ds_read_b128 v[8:11], v1 offset:768
	ds_read_b128 v[12:15], v1 offset:784
	ds_read_b128 v[16:19], v1 offset:800
	buffer_load_dword v2, off, s[0:3], 0 offset:312
	buffer_load_dword v3, off, s[0:3], 0 offset:316
	;; [unrolled: 1-line block ×28, first 2 shown]
	v_cmp_lt_u32_e32 vcc, 38, v0
	s_waitcnt vmcnt(24) lgkmcnt(3)
	v_mul_f32_e32 v25, v4, v26
	v_fmac_f32_e32 v25, v5, v24
	v_mul_f32_e32 v5, v5, v26
	s_waitcnt vmcnt(22)
	v_mul_f32_e32 v27, v6, v42
	v_fma_f32 v4, v4, v24, -v5
	v_mul_f32_e32 v5, v7, v42
	v_add_f32_e32 v25, 0, v25
	v_fmac_f32_e32 v27, v7, v28
	v_add_f32_e32 v4, 0, v4
	v_fma_f32 v5, v6, v28, -v5
	v_add_f32_e32 v25, v25, v27
	s_waitcnt vmcnt(20) lgkmcnt(2)
	v_mul_f32_e32 v27, v8, v44
	v_add_f32_e32 v4, v4, v5
	v_mul_f32_e32 v5, v9, v44
	v_fmac_f32_e32 v27, v9, v43
	v_fma_f32 v5, v8, v43, -v5
	v_add_f32_e32 v25, v25, v27
	s_waitcnt vmcnt(18)
	v_mul_f32_e32 v27, v10, v46
	v_add_f32_e32 v24, v4, v5
	v_mul_f32_e32 v4, v11, v46
	v_fmac_f32_e32 v27, v11, v45
	v_fma_f32 v26, v10, v45, -v4
	s_waitcnt vmcnt(16) lgkmcnt(1)
	v_mul_f32_e32 v29, v12, v48
	v_mul_f32_e32 v4, v13, v48
	v_pk_add_f32 v[24:25], v[24:25], v[26:27]
	s_waitcnt vmcnt(14)
	v_mov_b32_e32 v26, v21
	v_fmac_f32_e32 v29, v13, v47
	v_fma_f32 v28, v12, v47, -v4
	v_pk_mul_f32 v[26:27], v[14:15], v[26:27] op_sel_hi:[1,0]
	v_pk_add_f32 v[24:25], v[24:25], v[28:29]
	v_pk_fma_f32 v[28:29], v[14:15], v[20:21], v[26:27] op_sel:[0,0,1] op_sel_hi:[1,1,0] neg_lo:[0,0,1] neg_hi:[0,0,1]
	v_pk_fma_f32 v[14:15], v[14:15], v[20:21], v[26:27] op_sel:[0,0,1] op_sel_hi:[1,0,0]
	s_waitcnt vmcnt(12)
	v_mov_b32_e32 v20, v23
	v_mov_b32_e32 v29, v15
	s_waitcnt lgkmcnt(0)
	v_pk_mul_f32 v[20:21], v[16:17], v[20:21] op_sel_hi:[1,0]
	v_pk_add_f32 v[14:15], v[24:25], v[28:29]
	v_pk_fma_f32 v[24:25], v[16:17], v[22:23], v[20:21] op_sel:[0,0,1] op_sel_hi:[1,1,0] neg_lo:[0,0,1] neg_hi:[0,0,1]
	v_pk_fma_f32 v[16:17], v[16:17], v[22:23], v[20:21] op_sel:[0,0,1] op_sel_hi:[1,0,0]
	s_waitcnt vmcnt(11)
	v_mov_b32_e32 v16, v31
	ds_read_b128 v[4:7], v1 offset:816
	ds_read_b128 v[8:11], v1 offset:832
	ds_read_b64 v[12:13], v1 offset:848
	v_mov_b32_e32 v25, v17
	v_pk_mul_f32 v[16:17], v[18:19], v[16:17] op_sel_hi:[1,0]
	s_waitcnt vmcnt(10)
	v_pk_fma_f32 v[20:21], v[18:19], v[30:31], v[16:17] op_sel:[0,0,1] op_sel_hi:[1,1,0] neg_lo:[0,0,1] neg_hi:[0,0,1]
	v_pk_fma_f32 v[16:17], v[18:19], v[30:31], v[16:17] op_sel:[0,0,1] op_sel_hi:[1,0,0]
	s_waitcnt vmcnt(9)
	v_mov_b32_e32 v16, v33
	v_mov_b32_e32 v21, v17
	s_waitcnt lgkmcnt(2)
	v_pk_mul_f32 v[16:17], v[4:5], v[16:17] op_sel_hi:[1,0]
	v_pk_add_f32 v[14:15], v[14:15], v[24:25]
	s_waitcnt vmcnt(8)
	v_pk_fma_f32 v[18:19], v[4:5], v[32:33], v[16:17] op_sel:[0,0,1] op_sel_hi:[1,1,0] neg_lo:[0,0,1] neg_hi:[0,0,1]
	v_pk_fma_f32 v[4:5], v[4:5], v[32:33], v[16:17] op_sel:[0,0,1] op_sel_hi:[1,0,0]
	v_pk_add_f32 v[14:15], v[14:15], v[20:21]
	v_mov_b32_e32 v19, v5
	v_pk_add_f32 v[4:5], v[14:15], v[18:19]
	s_waitcnt vmcnt(7)
	v_mov_b32_e32 v14, v35
	v_pk_mul_f32 v[14:15], v[6:7], v[14:15] op_sel_hi:[1,0]
	s_waitcnt vmcnt(6)
	v_pk_fma_f32 v[16:17], v[6:7], v[34:35], v[14:15] op_sel:[0,0,1] op_sel_hi:[1,1,0] neg_lo:[0,0,1] neg_hi:[0,0,1]
	v_pk_fma_f32 v[6:7], v[6:7], v[34:35], v[14:15] op_sel:[0,0,1] op_sel_hi:[1,0,0]
	s_waitcnt vmcnt(5)
	v_mov_b32_e32 v6, v37
	v_mov_b32_e32 v17, v7
	s_waitcnt lgkmcnt(1)
	v_pk_mul_f32 v[6:7], v[8:9], v[6:7] op_sel_hi:[1,0]
	s_waitcnt vmcnt(4)
	v_pk_fma_f32 v[14:15], v[8:9], v[36:37], v[6:7] op_sel:[0,0,1] op_sel_hi:[1,1,0] neg_lo:[0,0,1] neg_hi:[0,0,1]
	v_pk_fma_f32 v[6:7], v[8:9], v[36:37], v[6:7] op_sel:[0,0,1] op_sel_hi:[1,0,0]
	s_waitcnt vmcnt(3)
	v_mov_b32_e32 v6, v39
	v_mov_b32_e32 v15, v7
	v_pk_mul_f32 v[6:7], v[10:11], v[6:7] op_sel_hi:[1,0]
	s_waitcnt vmcnt(2)
	v_pk_fma_f32 v[8:9], v[10:11], v[38:39], v[6:7] op_sel:[0,0,1] op_sel_hi:[1,1,0] neg_lo:[0,0,1] neg_hi:[0,0,1]
	v_pk_fma_f32 v[6:7], v[10:11], v[38:39], v[6:7] op_sel:[0,0,1] op_sel_hi:[1,0,0]
	v_pk_add_f32 v[4:5], v[4:5], v[16:17]
	s_waitcnt vmcnt(1)
	v_mov_b32_e32 v6, v41
	v_pk_add_f32 v[4:5], v[4:5], v[14:15]
	v_mov_b32_e32 v9, v7
	s_waitcnt lgkmcnt(0)
	v_pk_mul_f32 v[6:7], v[12:13], v[6:7] op_sel_hi:[1,0]
	v_pk_add_f32 v[4:5], v[4:5], v[8:9]
	s_waitcnt vmcnt(0)
	v_pk_fma_f32 v[8:9], v[12:13], v[40:41], v[6:7] op_sel:[0,0,1] op_sel_hi:[1,1,0] neg_lo:[0,0,1] neg_hi:[0,0,1]
	v_pk_fma_f32 v[6:7], v[12:13], v[40:41], v[6:7] op_sel:[0,0,1] op_sel_hi:[1,0,0]
	v_mov_b32_e32 v9, v7
	v_pk_add_f32 v[4:5], v[4:5], v[8:9]
	v_pk_add_f32 v[2:3], v[2:3], v[4:5] neg_lo:[0,1] neg_hi:[0,1]
	buffer_store_dword v3, off, s[0:3], 0 offset:316
	buffer_store_dword v2, off, s[0:3], 0 offset:312
	s_and_saveexec_b64 s[4:5], vcc
	s_cbranch_execz .LBB52_255
; %bb.254:
	buffer_load_dword v2, off, s[0:3], 0 offset:304
	buffer_load_dword v3, off, s[0:3], 0 offset:308
	v_accvgpr_read_b32 v4, a48
	buffer_store_dword v1, off, s[0:3], 0 offset:304
	buffer_store_dword v1, off, s[0:3], 0 offset:308
	s_waitcnt vmcnt(2)
	ds_write_b64 v4, v[2:3]
.LBB52_255:
	s_or_b64 exec, exec, s[4:5]
	s_waitcnt lgkmcnt(0)
	; wave barrier
	s_waitcnt lgkmcnt(0)
	ds_read2_b64 v[4:7], v1 offset0:93 offset1:94
	buffer_load_dword v2, off, s[0:3], 0 offset:304
	buffer_load_dword v3, off, s[0:3], 0 offset:308
	;; [unrolled: 1-line block ×16, first 2 shown]
	v_cmp_lt_u32_e32 vcc, 37, v0
	ds_read2_b64 v[16:19], v1 offset0:99 offset1:100
	s_waitcnt vmcnt(12) lgkmcnt(1)
	v_mul_f32_e32 v8, v4, v24
	v_fmac_f32_e32 v8, v5, v22
	s_waitcnt vmcnt(10)
	v_mul_f32_e32 v9, v6, v42
	v_add_f32_e32 v8, 0, v8
	v_fmac_f32_e32 v9, v7, v26
	v_add_f32_e32 v12, v8, v9
	ds_read2_b64 v[8:11], v1 offset0:95 offset1:96
	v_mul_f32_e32 v5, v5, v24
	v_fma_f32 v4, v4, v22, -v5
	v_mul_f32_e32 v5, v7, v42
	v_add_f32_e32 v4, 0, v4
	s_waitcnt vmcnt(8) lgkmcnt(0)
	v_mul_f32_e32 v13, v8, v44
	v_fmac_f32_e32 v13, v9, v43
	v_add_f32_e32 v12, v12, v13
	s_waitcnt vmcnt(6)
	v_mul_f32_e32 v13, v10, v46
	v_fmac_f32_e32 v13, v11, v45
	v_add_f32_e32 v23, v12, v13
	ds_read2_b64 v[12:15], v1 offset0:97 offset1:98
	buffer_load_dword v29, off, s[0:3], 0 offset:372
	buffer_load_dword v28, off, s[0:3], 0 offset:368
	;; [unrolled: 1-line block ×14, first 2 shown]
	v_fma_f32 v5, v6, v26, -v5
	v_add_f32_e32 v4, v4, v5
	v_mul_f32_e32 v5, v9, v44
	v_fma_f32 v5, v8, v43, -v5
	v_add_f32_e32 v4, v4, v5
	v_mul_f32_e32 v5, v11, v46
	v_fma_f32 v5, v10, v45, -v5
	s_waitcnt vmcnt(18) lgkmcnt(0)
	v_mul_f32_e32 v25, v12, v48
	v_add_f32_e32 v22, v4, v5
	v_mul_f32_e32 v4, v13, v48
	v_fmac_f32_e32 v25, v13, v47
	v_fma_f32 v24, v12, v47, -v4
	s_waitcnt vmcnt(16)
	v_mul_f32_e32 v27, v14, v50
	v_mul_f32_e32 v4, v15, v50
	v_pk_add_f32 v[22:23], v[22:23], v[24:25]
	s_waitcnt vmcnt(14)
	v_mov_b32_e32 v24, v21
	v_fmac_f32_e32 v27, v15, v49
	v_fma_f32 v26, v14, v49, -v4
	v_pk_mul_f32 v[24:25], v[16:17], v[24:25] op_sel_hi:[1,0]
	v_pk_add_f32 v[22:23], v[22:23], v[26:27]
	v_pk_fma_f32 v[26:27], v[16:17], v[20:21], v[24:25] op_sel:[0,0,1] op_sel_hi:[1,1,0] neg_lo:[0,0,1] neg_hi:[0,0,1]
	v_pk_fma_f32 v[16:17], v[16:17], v[20:21], v[24:25] op_sel:[0,0,1] op_sel_hi:[1,0,0]
	ds_read2_b64 v[4:7], v1 offset0:101 offset1:102
	ds_read2_b64 v[8:11], v1 offset0:103 offset1:104
	;; [unrolled: 1-line block ×3, first 2 shown]
	v_mov_b32_e32 v27, v17
	v_pk_add_f32 v[16:17], v[22:23], v[26:27]
	s_waitcnt vmcnt(13)
	v_mov_b32_e32 v20, v29
	v_pk_mul_f32 v[20:21], v[18:19], v[20:21] op_sel_hi:[1,0]
	s_waitcnt vmcnt(12)
	v_pk_fma_f32 v[22:23], v[18:19], v[28:29], v[20:21] op_sel:[0,0,1] op_sel_hi:[1,1,0] neg_lo:[0,0,1] neg_hi:[0,0,1]
	v_pk_fma_f32 v[18:19], v[18:19], v[28:29], v[20:21] op_sel:[0,0,1] op_sel_hi:[1,0,0]
	s_waitcnt vmcnt(11)
	v_mov_b32_e32 v18, v31
	v_mov_b32_e32 v23, v19
	s_waitcnt lgkmcnt(2)
	v_pk_mul_f32 v[18:19], v[4:5], v[18:19] op_sel_hi:[1,0]
	s_waitcnt vmcnt(10)
	v_pk_fma_f32 v[20:21], v[4:5], v[30:31], v[18:19] op_sel:[0,0,1] op_sel_hi:[1,1,0] neg_lo:[0,0,1] neg_hi:[0,0,1]
	v_pk_fma_f32 v[4:5], v[4:5], v[30:31], v[18:19] op_sel:[0,0,1] op_sel_hi:[1,0,0]
	v_pk_add_f32 v[16:17], v[16:17], v[22:23]
	v_mov_b32_e32 v21, v5
	v_pk_add_f32 v[4:5], v[16:17], v[20:21]
	s_waitcnt vmcnt(9)
	v_mov_b32_e32 v16, v33
	v_pk_mul_f32 v[16:17], v[6:7], v[16:17] op_sel_hi:[1,0]
	s_waitcnt vmcnt(8)
	v_pk_fma_f32 v[18:19], v[6:7], v[32:33], v[16:17] op_sel:[0,0,1] op_sel_hi:[1,1,0] neg_lo:[0,0,1] neg_hi:[0,0,1]
	v_pk_fma_f32 v[6:7], v[6:7], v[32:33], v[16:17] op_sel:[0,0,1] op_sel_hi:[1,0,0]
	s_waitcnt vmcnt(7)
	v_mov_b32_e32 v6, v35
	v_mov_b32_e32 v19, v7
	s_waitcnt lgkmcnt(1)
	v_pk_mul_f32 v[6:7], v[8:9], v[6:7] op_sel_hi:[1,0]
	s_waitcnt vmcnt(6)
	v_pk_fma_f32 v[16:17], v[8:9], v[34:35], v[6:7] op_sel:[0,0,1] op_sel_hi:[1,1,0] neg_lo:[0,0,1] neg_hi:[0,0,1]
	v_pk_fma_f32 v[6:7], v[8:9], v[34:35], v[6:7] op_sel:[0,0,1] op_sel_hi:[1,0,0]
	s_waitcnt vmcnt(5)
	v_mov_b32_e32 v6, v37
	v_mov_b32_e32 v17, v7
	v_pk_mul_f32 v[6:7], v[10:11], v[6:7] op_sel_hi:[1,0]
	s_waitcnt vmcnt(4)
	v_pk_fma_f32 v[8:9], v[10:11], v[36:37], v[6:7] op_sel:[0,0,1] op_sel_hi:[1,1,0] neg_lo:[0,0,1] neg_hi:[0,0,1]
	v_pk_fma_f32 v[6:7], v[10:11], v[36:37], v[6:7] op_sel:[0,0,1] op_sel_hi:[1,0,0]
	v_pk_add_f32 v[4:5], v[4:5], v[18:19]
	s_waitcnt vmcnt(3)
	v_mov_b32_e32 v6, v39
	v_pk_add_f32 v[4:5], v[4:5], v[16:17]
	v_mov_b32_e32 v9, v7
	s_waitcnt lgkmcnt(0)
	v_pk_mul_f32 v[6:7], v[12:13], v[6:7] op_sel_hi:[1,0]
	v_pk_add_f32 v[4:5], v[4:5], v[8:9]
	s_waitcnt vmcnt(2)
	v_pk_fma_f32 v[8:9], v[12:13], v[38:39], v[6:7] op_sel:[0,0,1] op_sel_hi:[1,1,0] neg_lo:[0,0,1] neg_hi:[0,0,1]
	v_pk_fma_f32 v[6:7], v[12:13], v[38:39], v[6:7] op_sel:[0,0,1] op_sel_hi:[1,0,0]
	s_waitcnt vmcnt(1)
	v_mov_b32_e32 v6, v41
	v_mov_b32_e32 v9, v7
	v_pk_mul_f32 v[6:7], v[14:15], v[6:7] op_sel_hi:[1,0]
	v_pk_add_f32 v[4:5], v[4:5], v[8:9]
	s_waitcnt vmcnt(0)
	v_pk_fma_f32 v[8:9], v[14:15], v[40:41], v[6:7] op_sel:[0,0,1] op_sel_hi:[1,1,0] neg_lo:[0,0,1] neg_hi:[0,0,1]
	v_pk_fma_f32 v[6:7], v[14:15], v[40:41], v[6:7] op_sel:[0,0,1] op_sel_hi:[1,0,0]
	v_mov_b32_e32 v9, v7
	v_pk_add_f32 v[4:5], v[4:5], v[8:9]
	v_pk_add_f32 v[2:3], v[2:3], v[4:5] neg_lo:[0,1] neg_hi:[0,1]
	buffer_store_dword v3, off, s[0:3], 0 offset:308
	buffer_store_dword v2, off, s[0:3], 0 offset:304
	s_and_saveexec_b64 s[4:5], vcc
	s_cbranch_execz .LBB52_257
; %bb.256:
	buffer_load_dword v2, off, s[0:3], 0 offset:296
	buffer_load_dword v3, off, s[0:3], 0 offset:300
	v_mov_b32_e32 v1, 0
	v_accvgpr_read_b32 v4, a48
	buffer_store_dword v1, off, s[0:3], 0 offset:296
	buffer_store_dword v1, off, s[0:3], 0 offset:300
	s_waitcnt vmcnt(2)
	ds_write_b64 v4, v[2:3]
.LBB52_257:
	s_or_b64 exec, exec, s[4:5]
	v_mov_b32_e32 v1, 0
	s_waitcnt lgkmcnt(0)
	; wave barrier
	s_waitcnt lgkmcnt(0)
	ds_read_b128 v[4:7], v1 offset:736
	ds_read_b128 v[8:11], v1 offset:752
	;; [unrolled: 1-line block ×4, first 2 shown]
	buffer_load_dword v2, off, s[0:3], 0 offset:296
	buffer_load_dword v3, off, s[0:3], 0 offset:300
	;; [unrolled: 1-line block ×32, first 2 shown]
	v_cmp_lt_u32_e32 vcc, 36, v0
	s_waitcnt vmcnt(28) lgkmcnt(3)
	v_mul_f32_e32 v21, v4, v22
	v_fmac_f32_e32 v21, v5, v20
	v_mul_f32_e32 v5, v5, v22
	s_waitcnt vmcnt(26)
	v_mul_f32_e32 v23, v6, v42
	v_fma_f32 v4, v4, v20, -v5
	v_mul_f32_e32 v5, v7, v42
	v_add_f32_e32 v21, 0, v21
	v_fmac_f32_e32 v23, v7, v24
	v_add_f32_e32 v4, 0, v4
	v_fma_f32 v5, v6, v24, -v5
	v_add_f32_e32 v21, v21, v23
	s_waitcnt vmcnt(24) lgkmcnt(2)
	v_mul_f32_e32 v23, v8, v44
	v_add_f32_e32 v4, v4, v5
	v_mul_f32_e32 v5, v9, v44
	v_fmac_f32_e32 v23, v9, v43
	v_fma_f32 v5, v8, v43, -v5
	v_add_f32_e32 v21, v21, v23
	s_waitcnt vmcnt(22)
	v_mul_f32_e32 v23, v10, v46
	v_add_f32_e32 v4, v4, v5
	v_mul_f32_e32 v5, v11, v46
	v_fmac_f32_e32 v23, v11, v45
	v_fma_f32 v5, v10, v45, -v5
	v_add_f32_e32 v21, v21, v23
	s_waitcnt vmcnt(20) lgkmcnt(1)
	v_mul_f32_e32 v23, v12, v48
	v_add_f32_e32 v4, v4, v5
	v_mul_f32_e32 v5, v13, v48
	v_fmac_f32_e32 v23, v13, v47
	v_fma_f32 v5, v12, v47, -v5
	v_add_f32_e32 v21, v21, v23
	s_waitcnt vmcnt(18)
	v_mul_f32_e32 v23, v14, v50
	v_add_f32_e32 v20, v4, v5
	v_mul_f32_e32 v4, v15, v50
	v_fmac_f32_e32 v23, v15, v49
	v_fma_f32 v22, v14, v49, -v4
	s_waitcnt vmcnt(16) lgkmcnt(0)
	v_mul_f32_e32 v25, v16, v52
	v_mul_f32_e32 v4, v17, v52
	v_pk_add_f32 v[20:21], v[20:21], v[22:23]
	s_waitcnt vmcnt(15)
	v_mov_b32_e32 v22, v27
	v_fmac_f32_e32 v25, v17, v51
	v_fma_f32 v24, v16, v51, -v4
	v_pk_mul_f32 v[22:23], v[18:19], v[22:23] op_sel_hi:[1,0]
	v_pk_add_f32 v[20:21], v[20:21], v[24:25]
	s_waitcnt vmcnt(14)
	v_pk_fma_f32 v[24:25], v[18:19], v[26:27], v[22:23] op_sel:[0,0,1] op_sel_hi:[1,1,0] neg_lo:[0,0,1] neg_hi:[0,0,1]
	v_pk_fma_f32 v[18:19], v[18:19], v[26:27], v[22:23] op_sel:[0,0,1] op_sel_hi:[1,0,0]
	ds_read_b128 v[4:7], v1 offset:800
	ds_read_b128 v[8:11], v1 offset:816
	;; [unrolled: 1-line block ×3, first 2 shown]
	ds_read_b64 v[16:17], v1 offset:848
	v_mov_b32_e32 v25, v19
	v_pk_add_f32 v[18:19], v[20:21], v[24:25]
	s_waitcnt vmcnt(13)
	v_mov_b32_e32 v20, v29
	s_waitcnt lgkmcnt(3)
	v_pk_mul_f32 v[20:21], v[4:5], v[20:21] op_sel_hi:[1,0]
	s_waitcnt vmcnt(12)
	v_pk_fma_f32 v[22:23], v[4:5], v[28:29], v[20:21] op_sel:[0,0,1] op_sel_hi:[1,1,0] neg_lo:[0,0,1] neg_hi:[0,0,1]
	v_pk_fma_f32 v[4:5], v[4:5], v[28:29], v[20:21] op_sel:[0,0,1] op_sel_hi:[1,0,0]
	v_mov_b32_e32 v23, v5
	v_pk_add_f32 v[4:5], v[18:19], v[22:23]
	s_waitcnt vmcnt(11)
	v_mov_b32_e32 v18, v31
	v_pk_mul_f32 v[18:19], v[6:7], v[18:19] op_sel_hi:[1,0]
	s_waitcnt vmcnt(10)
	v_pk_fma_f32 v[20:21], v[6:7], v[30:31], v[18:19] op_sel:[0,0,1] op_sel_hi:[1,1,0] neg_lo:[0,0,1] neg_hi:[0,0,1]
	v_pk_fma_f32 v[6:7], v[6:7], v[30:31], v[18:19] op_sel:[0,0,1] op_sel_hi:[1,0,0]
	s_waitcnt vmcnt(9)
	v_mov_b32_e32 v6, v33
	v_mov_b32_e32 v21, v7
	s_waitcnt lgkmcnt(2)
	v_pk_mul_f32 v[6:7], v[8:9], v[6:7] op_sel_hi:[1,0]
	s_waitcnt vmcnt(8)
	v_pk_fma_f32 v[18:19], v[8:9], v[32:33], v[6:7] op_sel:[0,0,1] op_sel_hi:[1,1,0] neg_lo:[0,0,1] neg_hi:[0,0,1]
	v_pk_fma_f32 v[6:7], v[8:9], v[32:33], v[6:7] op_sel:[0,0,1] op_sel_hi:[1,0,0]
	s_waitcnt vmcnt(7)
	v_mov_b32_e32 v6, v35
	v_mov_b32_e32 v19, v7
	v_pk_mul_f32 v[6:7], v[10:11], v[6:7] op_sel_hi:[1,0]
	s_waitcnt vmcnt(6)
	v_pk_fma_f32 v[8:9], v[10:11], v[34:35], v[6:7] op_sel:[0,0,1] op_sel_hi:[1,1,0] neg_lo:[0,0,1] neg_hi:[0,0,1]
	v_pk_fma_f32 v[6:7], v[10:11], v[34:35], v[6:7] op_sel:[0,0,1] op_sel_hi:[1,0,0]
	v_pk_add_f32 v[4:5], v[4:5], v[20:21]
	s_waitcnt vmcnt(5)
	v_mov_b32_e32 v6, v37
	v_pk_add_f32 v[4:5], v[4:5], v[18:19]
	v_mov_b32_e32 v9, v7
	s_waitcnt lgkmcnt(1)
	v_pk_mul_f32 v[6:7], v[12:13], v[6:7] op_sel_hi:[1,0]
	v_pk_add_f32 v[4:5], v[4:5], v[8:9]
	s_waitcnt vmcnt(4)
	v_pk_fma_f32 v[8:9], v[12:13], v[36:37], v[6:7] op_sel:[0,0,1] op_sel_hi:[1,1,0] neg_lo:[0,0,1] neg_hi:[0,0,1]
	v_pk_fma_f32 v[6:7], v[12:13], v[36:37], v[6:7] op_sel:[0,0,1] op_sel_hi:[1,0,0]
	s_waitcnt vmcnt(3)
	v_mov_b32_e32 v6, v39
	v_mov_b32_e32 v9, v7
	v_pk_mul_f32 v[6:7], v[14:15], v[6:7] op_sel_hi:[1,0]
	v_pk_add_f32 v[4:5], v[4:5], v[8:9]
	s_waitcnt vmcnt(2)
	v_pk_fma_f32 v[8:9], v[14:15], v[38:39], v[6:7] op_sel:[0,0,1] op_sel_hi:[1,1,0] neg_lo:[0,0,1] neg_hi:[0,0,1]
	v_pk_fma_f32 v[6:7], v[14:15], v[38:39], v[6:7] op_sel:[0,0,1] op_sel_hi:[1,0,0]
	s_waitcnt vmcnt(1)
	v_mov_b32_e32 v6, v41
	v_mov_b32_e32 v9, v7
	s_waitcnt lgkmcnt(0)
	v_pk_mul_f32 v[6:7], v[16:17], v[6:7] op_sel_hi:[1,0]
	v_pk_add_f32 v[4:5], v[4:5], v[8:9]
	s_waitcnt vmcnt(0)
	v_pk_fma_f32 v[8:9], v[16:17], v[40:41], v[6:7] op_sel:[0,0,1] op_sel_hi:[1,1,0] neg_lo:[0,0,1] neg_hi:[0,0,1]
	v_pk_fma_f32 v[6:7], v[16:17], v[40:41], v[6:7] op_sel:[0,0,1] op_sel_hi:[1,0,0]
	v_mov_b32_e32 v9, v7
	v_pk_add_f32 v[4:5], v[4:5], v[8:9]
	v_pk_add_f32 v[2:3], v[2:3], v[4:5] neg_lo:[0,1] neg_hi:[0,1]
	buffer_store_dword v3, off, s[0:3], 0 offset:300
	buffer_store_dword v2, off, s[0:3], 0 offset:296
	s_and_saveexec_b64 s[4:5], vcc
	s_cbranch_execz .LBB52_259
; %bb.258:
	buffer_load_dword v2, off, s[0:3], 0 offset:288
	buffer_load_dword v3, off, s[0:3], 0 offset:292
	v_accvgpr_read_b32 v4, a48
	buffer_store_dword v1, off, s[0:3], 0 offset:288
	buffer_store_dword v1, off, s[0:3], 0 offset:292
	s_waitcnt vmcnt(2)
	ds_write_b64 v4, v[2:3]
.LBB52_259:
	s_or_b64 exec, exec, s[4:5]
	s_waitcnt lgkmcnt(0)
	; wave barrier
	s_waitcnt lgkmcnt(0)
	ds_read2_b64 v[4:7], v1 offset0:91 offset1:92
	buffer_load_dword v2, off, s[0:3], 0 offset:288
	buffer_load_dword v3, off, s[0:3], 0 offset:292
	;; [unrolled: 1-line block ×16, first 2 shown]
	v_cmp_lt_u32_e32 vcc, 35, v0
	s_waitcnt vmcnt(12) lgkmcnt(0)
	v_mul_f32_e32 v8, v4, v26
	v_fmac_f32_e32 v8, v5, v24
	s_waitcnt vmcnt(10)
	v_mul_f32_e32 v9, v6, v46
	v_add_f32_e32 v8, 0, v8
	v_fmac_f32_e32 v9, v7, v28
	v_add_f32_e32 v12, v8, v9
	ds_read2_b64 v[8:11], v1 offset0:93 offset1:94
	v_mul_f32_e32 v5, v5, v26
	v_fma_f32 v4, v4, v24, -v5
	v_mul_f32_e32 v5, v7, v46
	v_add_f32_e32 v4, 0, v4
	s_waitcnt vmcnt(8) lgkmcnt(0)
	v_mul_f32_e32 v13, v8, v48
	v_fmac_f32_e32 v13, v9, v47
	v_add_f32_e32 v12, v12, v13
	s_waitcnt vmcnt(6)
	v_mul_f32_e32 v13, v10, v50
	v_fmac_f32_e32 v13, v11, v49
	v_add_f32_e32 v16, v12, v13
	ds_read2_b64 v[12:15], v1 offset0:95 offset1:96
	v_fma_f32 v5, v6, v28, -v5
	v_add_f32_e32 v4, v4, v5
	v_mul_f32_e32 v5, v9, v48
	v_fma_f32 v5, v8, v47, -v5
	s_waitcnt vmcnt(4) lgkmcnt(0)
	v_mul_f32_e32 v17, v12, v52
	v_fmac_f32_e32 v17, v13, v51
	v_add_f32_e32 v16, v16, v17
	s_waitcnt vmcnt(2)
	v_mul_f32_e32 v17, v14, v54
	v_fmac_f32_e32 v17, v15, v53
	v_add_f32_e32 v25, v16, v17
	ds_read2_b64 v[16:19], v1 offset0:97 offset1:98
	buffer_load_dword v57, off, s[0:3], 0 offset:352
	buffer_load_dword v58, off, s[0:3], 0 offset:356
	;; [unrolled: 1-line block ×4, first 2 shown]
	ds_read2_b64 v[20:23], v1 offset0:99 offset1:100
	buffer_load_dword v33, off, s[0:3], 0 offset:372
	buffer_load_dword v32, off, s[0:3], 0 offset:368
	;; [unrolled: 1-line block ×14, first 2 shown]
	v_add_f32_e32 v4, v4, v5
	v_mul_f32_e32 v5, v11, v50
	v_fma_f32 v5, v10, v49, -v5
	v_add_f32_e32 v4, v4, v5
	v_mul_f32_e32 v5, v13, v52
	v_fma_f32 v5, v12, v51, -v5
	;; [unrolled: 3-line block ×3, first 2 shown]
	v_add_f32_e32 v24, v4, v5
	s_waitcnt vmcnt(18) lgkmcnt(1)
	v_mul_f32_e32 v4, v17, v56
	v_fma_f32 v26, v16, v55, -v4
	v_mul_f32_e32 v27, v16, v56
	v_fmac_f32_e32 v27, v17, v55
	v_pk_add_f32 v[16:17], v[24:25], v[26:27]
	s_waitcnt vmcnt(16)
	v_mul_f32_e32 v4, v19, v58
	v_mul_f32_e32 v29, v18, v58
	v_fma_f32 v28, v18, v57, -v4
	s_waitcnt vmcnt(15)
	v_mov_b32_e32 v18, v31
	v_fmac_f32_e32 v29, v19, v57
	s_waitcnt lgkmcnt(0)
	v_pk_mul_f32 v[18:19], v[20:21], v[18:19] op_sel_hi:[1,0]
	s_waitcnt vmcnt(14)
	v_pk_fma_f32 v[24:25], v[20:21], v[30:31], v[18:19] op_sel:[0,0,1] op_sel_hi:[1,1,0] neg_lo:[0,0,1] neg_hi:[0,0,1]
	v_pk_fma_f32 v[18:19], v[20:21], v[30:31], v[18:19] op_sel:[0,0,1] op_sel_hi:[1,0,0]
	s_waitcnt vmcnt(13)
	v_mov_b32_e32 v18, v33
	ds_read2_b64 v[4:7], v1 offset0:101 offset1:102
	ds_read2_b64 v[8:11], v1 offset0:103 offset1:104
	;; [unrolled: 1-line block ×3, first 2 shown]
	v_mov_b32_e32 v25, v19
	v_pk_mul_f32 v[18:19], v[22:23], v[18:19] op_sel_hi:[1,0]
	s_waitcnt vmcnt(12)
	v_pk_fma_f32 v[20:21], v[22:23], v[32:33], v[18:19] op_sel:[0,0,1] op_sel_hi:[1,1,0] neg_lo:[0,0,1] neg_hi:[0,0,1]
	v_pk_fma_f32 v[18:19], v[22:23], v[32:33], v[18:19] op_sel:[0,0,1] op_sel_hi:[1,0,0]
	v_pk_add_f32 v[16:17], v[16:17], v[28:29]
	s_waitcnt vmcnt(11)
	v_mov_b32_e32 v18, v35
	v_pk_add_f32 v[16:17], v[16:17], v[24:25]
	v_mov_b32_e32 v21, v19
	s_waitcnt lgkmcnt(2)
	v_pk_mul_f32 v[18:19], v[4:5], v[18:19] op_sel_hi:[1,0]
	v_pk_add_f32 v[16:17], v[16:17], v[20:21]
	s_waitcnt vmcnt(10)
	v_pk_fma_f32 v[20:21], v[4:5], v[34:35], v[18:19] op_sel:[0,0,1] op_sel_hi:[1,1,0] neg_lo:[0,0,1] neg_hi:[0,0,1]
	v_pk_fma_f32 v[4:5], v[4:5], v[34:35], v[18:19] op_sel:[0,0,1] op_sel_hi:[1,0,0]
	v_mov_b32_e32 v21, v5
	v_pk_add_f32 v[4:5], v[16:17], v[20:21]
	s_waitcnt vmcnt(9)
	v_mov_b32_e32 v16, v37
	v_pk_mul_f32 v[16:17], v[6:7], v[16:17] op_sel_hi:[1,0]
	s_waitcnt vmcnt(8)
	v_pk_fma_f32 v[18:19], v[6:7], v[36:37], v[16:17] op_sel:[0,0,1] op_sel_hi:[1,1,0] neg_lo:[0,0,1] neg_hi:[0,0,1]
	v_pk_fma_f32 v[6:7], v[6:7], v[36:37], v[16:17] op_sel:[0,0,1] op_sel_hi:[1,0,0]
	s_waitcnt vmcnt(7)
	v_mov_b32_e32 v6, v39
	v_mov_b32_e32 v19, v7
	s_waitcnt lgkmcnt(1)
	v_pk_mul_f32 v[6:7], v[8:9], v[6:7] op_sel_hi:[1,0]
	s_waitcnt vmcnt(6)
	v_pk_fma_f32 v[16:17], v[8:9], v[38:39], v[6:7] op_sel:[0,0,1] op_sel_hi:[1,1,0] neg_lo:[0,0,1] neg_hi:[0,0,1]
	v_pk_fma_f32 v[6:7], v[8:9], v[38:39], v[6:7] op_sel:[0,0,1] op_sel_hi:[1,0,0]
	s_waitcnt vmcnt(5)
	v_mov_b32_e32 v6, v41
	v_mov_b32_e32 v17, v7
	v_pk_mul_f32 v[6:7], v[10:11], v[6:7] op_sel_hi:[1,0]
	s_waitcnt vmcnt(4)
	v_pk_fma_f32 v[8:9], v[10:11], v[40:41], v[6:7] op_sel:[0,0,1] op_sel_hi:[1,1,0] neg_lo:[0,0,1] neg_hi:[0,0,1]
	v_pk_fma_f32 v[6:7], v[10:11], v[40:41], v[6:7] op_sel:[0,0,1] op_sel_hi:[1,0,0]
	v_pk_add_f32 v[4:5], v[4:5], v[18:19]
	s_waitcnt vmcnt(3)
	v_mov_b32_e32 v6, v43
	v_pk_add_f32 v[4:5], v[4:5], v[16:17]
	v_mov_b32_e32 v9, v7
	s_waitcnt lgkmcnt(0)
	v_pk_mul_f32 v[6:7], v[12:13], v[6:7] op_sel_hi:[1,0]
	v_pk_add_f32 v[4:5], v[4:5], v[8:9]
	s_waitcnt vmcnt(2)
	v_pk_fma_f32 v[8:9], v[12:13], v[42:43], v[6:7] op_sel:[0,0,1] op_sel_hi:[1,1,0] neg_lo:[0,0,1] neg_hi:[0,0,1]
	v_pk_fma_f32 v[6:7], v[12:13], v[42:43], v[6:7] op_sel:[0,0,1] op_sel_hi:[1,0,0]
	s_waitcnt vmcnt(1)
	v_mov_b32_e32 v6, v45
	v_mov_b32_e32 v9, v7
	v_pk_mul_f32 v[6:7], v[14:15], v[6:7] op_sel_hi:[1,0]
	v_pk_add_f32 v[4:5], v[4:5], v[8:9]
	s_waitcnt vmcnt(0)
	v_pk_fma_f32 v[8:9], v[14:15], v[44:45], v[6:7] op_sel:[0,0,1] op_sel_hi:[1,1,0] neg_lo:[0,0,1] neg_hi:[0,0,1]
	v_pk_fma_f32 v[6:7], v[14:15], v[44:45], v[6:7] op_sel:[0,0,1] op_sel_hi:[1,0,0]
	v_mov_b32_e32 v9, v7
	v_pk_add_f32 v[4:5], v[4:5], v[8:9]
	v_pk_add_f32 v[2:3], v[2:3], v[4:5] neg_lo:[0,1] neg_hi:[0,1]
	buffer_store_dword v3, off, s[0:3], 0 offset:292
	buffer_store_dword v2, off, s[0:3], 0 offset:288
	s_and_saveexec_b64 s[4:5], vcc
	s_cbranch_execz .LBB52_261
; %bb.260:
	buffer_load_dword v2, off, s[0:3], 0 offset:280
	buffer_load_dword v3, off, s[0:3], 0 offset:284
	v_mov_b32_e32 v1, 0
	v_accvgpr_read_b32 v4, a48
	buffer_store_dword v1, off, s[0:3], 0 offset:280
	buffer_store_dword v1, off, s[0:3], 0 offset:284
	s_waitcnt vmcnt(2)
	ds_write_b64 v4, v[2:3]
.LBB52_261:
	s_or_b64 exec, exec, s[4:5]
	s_waitcnt lgkmcnt(0)
	; wave barrier
	s_waitcnt lgkmcnt(0)
	buffer_load_dword v44, off, s[0:3], 0 offset:292
	buffer_load_dword v46, off, s[0:3], 0 offset:300
	;; [unrolled: 1-line block ×36, first 2 shown]
	v_mov_b32_e32 v1, 0
	ds_read_b128 v[2:5], v1 offset:720
	ds_read_b128 v[6:9], v1 offset:736
	;; [unrolled: 1-line block ×6, first 2 shown]
	v_cmp_lt_u32_e32 vcc, 34, v0
	s_waitcnt vmcnt(35) lgkmcnt(5)
	v_mul_f32_e32 v64, v2, v44
	s_waitcnt vmcnt(34)
	v_mul_f32_e32 v65, v4, v46
	v_mul_f32_e32 v44, v3, v44
	s_waitcnt vmcnt(32) lgkmcnt(4)
	v_mul_f32_e32 v67, v8, v49
	v_mul_f32_e32 v49, v9, v49
	;; [unrolled: 1-line block ×5, first 2 shown]
	s_waitcnt vmcnt(31) lgkmcnt(3)
	v_mul_f32_e32 v68, v10, v50
	s_waitcnt vmcnt(26)
	v_fmac_f32_e32 v64, v3, v55
	s_waitcnt vmcnt(25)
	v_fmac_f32_e32 v65, v5, v56
	v_fma_f32 v2, v2, v55, -v44
	s_waitcnt vmcnt(23)
	v_fma_f32 v5, v8, v58, -v49
	v_add_f32_e32 v8, 0, v64
	v_fmac_f32_e32 v66, v7, v57
	v_fma_f32 v3, v4, v56, -v46
	v_add_f32_e32 v2, 0, v2
	v_add_f32_e32 v8, v8, v65
	v_fmac_f32_e32 v67, v9, v58
	v_fma_f32 v4, v6, v57, -v48
	v_add_f32_e32 v2, v2, v3
	v_add_f32_e32 v3, v8, v66
	v_mul_f32_e32 v69, v12, v51
	v_mul_f32_e32 v50, v11, v50
	s_waitcnt vmcnt(22)
	v_fmac_f32_e32 v68, v11, v59
	v_add_f32_e32 v2, v2, v4
	v_add_f32_e32 v3, v3, v67
	s_waitcnt lgkmcnt(2)
	v_mul_f32_e32 v70, v14, v52
	v_mul_f32_e32 v51, v13, v51
	s_waitcnt vmcnt(21)
	v_fmac_f32_e32 v69, v13, v60
	v_fma_f32 v6, v10, v59, -v50
	v_add_f32_e32 v2, v2, v5
	v_add_f32_e32 v3, v3, v68
	v_mul_f32_e32 v52, v15, v52
	s_waitcnt vmcnt(20)
	v_fmac_f32_e32 v70, v15, v61
	v_fma_f32 v7, v12, v60, -v51
	v_add_f32_e32 v2, v2, v6
	v_add_f32_e32 v3, v3, v69
	;; [unrolled: 1-line block ×4, first 2 shown]
	v_fma_f32 v3, v14, v61, -v52
	s_waitcnt vmcnt(17)
	v_mov_b32_e32 v14, v27
	v_mul_f32_e32 v45, v16, v53
	v_add_f32_e32 v10, v2, v3
	v_mul_f32_e32 v2, v17, v53
	s_waitcnt lgkmcnt(1)
	v_pk_mul_f32 v[14:15], v[20:21], v[14:15] op_sel_hi:[1,0]
	v_mul_f32_e32 v47, v18, v54
	v_fmac_f32_e32 v45, v17, v62
	v_fma_f32 v44, v16, v62, -v2
	v_mul_f32_e32 v2, v19, v54
	s_waitcnt vmcnt(15)
	v_pk_fma_f32 v[16:17], v[20:21], v[26:27], v[14:15] op_sel:[0,0,1] op_sel_hi:[1,1,0] neg_lo:[0,0,1] neg_hi:[0,0,1]
	v_pk_fma_f32 v[14:15], v[20:21], v[26:27], v[14:15] op_sel:[0,0,1] op_sel_hi:[1,0,0]
	v_fmac_f32_e32 v47, v19, v63
	v_fma_f32 v46, v18, v63, -v2
	v_pk_add_f32 v[10:11], v[10:11], v[44:45]
	s_waitcnt vmcnt(12)
	v_mov_b32_e32 v14, v29
	v_pk_add_f32 v[10:11], v[10:11], v[46:47]
	v_mov_b32_e32 v17, v15
	s_waitcnt lgkmcnt(0)
	v_pk_mul_f32 v[14:15], v[22:23], v[14:15] op_sel_hi:[1,0]
	v_pk_add_f32 v[10:11], v[10:11], v[16:17]
	v_pk_fma_f32 v[16:17], v[22:23], v[28:29], v[14:15] op_sel:[0,0,1] op_sel_hi:[1,1,0] neg_lo:[0,0,1] neg_hi:[0,0,1]
	v_pk_fma_f32 v[14:15], v[22:23], v[28:29], v[14:15] op_sel:[0,0,1] op_sel_hi:[1,0,0]
	s_waitcnt vmcnt(11)
	v_mov_b32_e32 v14, v33
	ds_read_b128 v[2:5], v1 offset:816
	ds_read_b128 v[6:9], v1 offset:832
	ds_read_b64 v[12:13], v1 offset:848
	v_mov_b32_e32 v17, v15
	v_pk_mul_f32 v[14:15], v[24:25], v[14:15] op_sel_hi:[1,0]
	v_pk_add_f32 v[10:11], v[10:11], v[16:17]
	s_waitcnt vmcnt(4)
	v_pk_fma_f32 v[16:17], v[24:25], v[32:33], v[14:15] op_sel:[0,0,1] op_sel_hi:[1,1,0] neg_lo:[0,0,1] neg_hi:[0,0,1]
	v_pk_fma_f32 v[14:15], v[24:25], v[32:33], v[14:15] op_sel:[0,0,1] op_sel_hi:[1,0,0]
	v_mov_b32_e32 v14, v39
	v_mov_b32_e32 v17, v15
	s_waitcnt lgkmcnt(2)
	v_pk_mul_f32 v[14:15], v[2:3], v[14:15] op_sel_hi:[1,0]
	v_pk_add_f32 v[10:11], v[10:11], v[16:17]
	v_pk_fma_f32 v[16:17], v[2:3], v[38:39], v[14:15] op_sel:[0,0,1] op_sel_hi:[1,1,0] neg_lo:[0,0,1] neg_hi:[0,0,1]
	v_pk_fma_f32 v[2:3], v[2:3], v[38:39], v[14:15] op_sel:[0,0,1] op_sel_hi:[1,0,0]
	v_mov_b32_e32 v17, v3
	v_pk_add_f32 v[2:3], v[10:11], v[16:17]
	v_mov_b32_e32 v10, v37
	v_pk_mul_f32 v[10:11], v[4:5], v[10:11] op_sel_hi:[1,0]
	v_pk_fma_f32 v[14:15], v[4:5], v[36:37], v[10:11] op_sel:[0,0,1] op_sel_hi:[1,1,0] neg_lo:[0,0,1] neg_hi:[0,0,1]
	v_pk_fma_f32 v[4:5], v[4:5], v[36:37], v[10:11] op_sel:[0,0,1] op_sel_hi:[1,0,0]
	v_mov_b32_e32 v4, v35
	v_mov_b32_e32 v15, v5
	s_waitcnt lgkmcnt(1)
	v_pk_mul_f32 v[4:5], v[6:7], v[4:5] op_sel_hi:[1,0]
	v_pk_fma_f32 v[10:11], v[6:7], v[34:35], v[4:5] op_sel:[0,0,1] op_sel_hi:[1,1,0] neg_lo:[0,0,1] neg_hi:[0,0,1]
	v_pk_fma_f32 v[4:5], v[6:7], v[34:35], v[4:5] op_sel:[0,0,1] op_sel_hi:[1,0,0]
	s_waitcnt vmcnt(1)
	v_mov_b32_e32 v4, v43
	v_mov_b32_e32 v11, v5
	v_pk_mul_f32 v[4:5], v[8:9], v[4:5] op_sel_hi:[1,0]
	s_waitcnt vmcnt(0)
	v_pk_fma_f32 v[6:7], v[8:9], v[42:43], v[4:5] op_sel:[0,0,1] op_sel_hi:[1,1,0] neg_lo:[0,0,1] neg_hi:[0,0,1]
	v_pk_fma_f32 v[4:5], v[8:9], v[42:43], v[4:5] op_sel:[0,0,1] op_sel_hi:[1,0,0]
	v_pk_add_f32 v[2:3], v[2:3], v[14:15]
	v_mov_b32_e32 v4, v41
	v_pk_add_f32 v[2:3], v[2:3], v[10:11]
	v_mov_b32_e32 v7, v5
	s_waitcnt lgkmcnt(0)
	v_pk_mul_f32 v[4:5], v[12:13], v[4:5] op_sel_hi:[1,0]
	v_pk_add_f32 v[2:3], v[2:3], v[6:7]
	v_pk_fma_f32 v[6:7], v[12:13], v[40:41], v[4:5] op_sel:[0,0,1] op_sel_hi:[1,1,0] neg_lo:[0,0,1] neg_hi:[0,0,1]
	v_pk_fma_f32 v[4:5], v[12:13], v[40:41], v[4:5] op_sel:[0,0,1] op_sel_hi:[1,0,0]
	v_mov_b32_e32 v7, v5
	v_pk_add_f32 v[2:3], v[2:3], v[6:7]
	v_pk_add_f32 v[2:3], v[30:31], v[2:3] neg_lo:[0,1] neg_hi:[0,1]
	buffer_store_dword v3, off, s[0:3], 0 offset:284
	buffer_store_dword v2, off, s[0:3], 0 offset:280
	s_and_saveexec_b64 s[4:5], vcc
	s_cbranch_execz .LBB52_263
; %bb.262:
	buffer_load_dword v2, off, s[0:3], 0 offset:272
	buffer_load_dword v3, off, s[0:3], 0 offset:276
	v_accvgpr_read_b32 v4, a48
	buffer_store_dword v1, off, s[0:3], 0 offset:272
	buffer_store_dword v1, off, s[0:3], 0 offset:276
	s_waitcnt vmcnt(2)
	ds_write_b64 v4, v[2:3]
.LBB52_263:
	s_or_b64 exec, exec, s[4:5]
	s_waitcnt lgkmcnt(0)
	; wave barrier
	s_waitcnt lgkmcnt(0)
	buffer_load_dword v44, off, s[0:3], 0 offset:284
	buffer_load_dword v46, off, s[0:3], 0 offset:292
	buffer_load_dword v48, off, s[0:3], 0 offset:300
	buffer_load_dword v49, off, s[0:3], 0 offset:308
	buffer_load_dword v50, off, s[0:3], 0 offset:316
	buffer_load_dword v51, off, s[0:3], 0 offset:324
	buffer_load_dword v52, off, s[0:3], 0 offset:332
	buffer_load_dword v53, off, s[0:3], 0 offset:340
	buffer_load_dword v54, off, s[0:3], 0 offset:348
	buffer_load_dword v55, off, s[0:3], 0 offset:356
	buffer_load_dword v56, off, s[0:3], 0 offset:280
	buffer_load_dword v57, off, s[0:3], 0 offset:288
	buffer_load_dword v58, off, s[0:3], 0 offset:296
	buffer_load_dword v59, off, s[0:3], 0 offset:304
	buffer_load_dword v60, off, s[0:3], 0 offset:312
	buffer_load_dword v61, off, s[0:3], 0 offset:320
	buffer_load_dword v62, off, s[0:3], 0 offset:328
	buffer_load_dword v63, off, s[0:3], 0 offset:336
	buffer_load_dword v64, off, s[0:3], 0 offset:344
	buffer_load_dword v65, off, s[0:3], 0 offset:352
	buffer_load_dword v26, off, s[0:3], 0 offset:272
	buffer_load_dword v27, off, s[0:3], 0 offset:276
	ds_read2_b64 v[2:5], v1 offset0:89 offset1:90
	ds_read2_b64 v[6:9], v1 offset0:91 offset1:92
	buffer_load_dword v29, off, s[0:3], 0 offset:364
	buffer_load_dword v28, off, s[0:3], 0 offset:360
	;; [unrolled: 1-line block ×10, first 2 shown]
	ds_read2_b64 v[10:13], v1 offset0:93 offset1:94
	ds_read2_b64 v[14:17], v1 offset0:95 offset1:96
	;; [unrolled: 1-line block ×4, first 2 shown]
	buffer_load_dword v39, off, s[0:3], 0 offset:420
	buffer_load_dword v38, off, s[0:3], 0 offset:416
	buffer_load_dword v41, off, s[0:3], 0 offset:412
	buffer_load_dword v40, off, s[0:3], 0 offset:408
	buffer_load_dword v43, off, s[0:3], 0 offset:404
	buffer_load_dword v42, off, s[0:3], 0 offset:400
	v_cmp_lt_u32_e32 vcc, 33, v0
	s_waitcnt vmcnt(37) lgkmcnt(5)
	v_mul_f32_e32 v66, v2, v44
	s_waitcnt vmcnt(36)
	v_mul_f32_e32 v67, v4, v46
	s_waitcnt vmcnt(35) lgkmcnt(4)
	v_mul_f32_e32 v68, v6, v48
	v_mul_f32_e32 v44, v3, v44
	;; [unrolled: 1-line block ×4, first 2 shown]
	s_waitcnt vmcnt(34)
	v_mul_f32_e32 v69, v8, v49
	s_waitcnt vmcnt(33) lgkmcnt(3)
	v_mul_f32_e32 v70, v10, v50
	s_waitcnt vmcnt(32)
	v_mul_f32_e32 v71, v12, v51
	s_waitcnt vmcnt(31) lgkmcnt(2)
	v_mul_f32_e32 v72, v14, v52
	s_waitcnt vmcnt(27)
	v_fmac_f32_e32 v66, v3, v56
	s_waitcnt vmcnt(26)
	v_fmac_f32_e32 v67, v5, v57
	;; [unrolled: 2-line block ×3, first 2 shown]
	v_fma_f32 v2, v2, v56, -v44
	v_add_f32_e32 v7, 0, v66
	v_fma_f32 v3, v4, v57, -v46
	v_add_f32_e32 v2, 0, v2
	v_add_f32_e32 v7, v7, v67
	s_waitcnt vmcnt(24)
	v_fmac_f32_e32 v69, v9, v59
	v_add_f32_e32 v2, v2, v3
	v_add_f32_e32 v3, v7, v68
	s_waitcnt vmcnt(23)
	v_fmac_f32_e32 v70, v11, v60
	v_add_f32_e32 v3, v3, v69
	v_mul_f32_e32 v49, v9, v49
	s_waitcnt vmcnt(22)
	v_fmac_f32_e32 v71, v13, v61
	v_fma_f32 v4, v6, v58, -v48
	v_add_f32_e32 v3, v3, v70
	v_mul_f32_e32 v73, v16, v53
	v_mul_f32_e32 v50, v11, v50
	s_waitcnt vmcnt(21)
	v_fmac_f32_e32 v72, v15, v62
	v_fma_f32 v5, v8, v59, -v49
	v_add_f32_e32 v2, v2, v4
	v_add_f32_e32 v3, v3, v71
	v_mul_f32_e32 v51, v13, v51
	s_waitcnt vmcnt(20)
	v_fmac_f32_e32 v73, v17, v63
	v_fma_f32 v6, v10, v60, -v50
	v_add_f32_e32 v2, v2, v5
	v_add_f32_e32 v3, v3, v72
	;; [unrolled: 1-line block ×4, first 2 shown]
	v_fma_f32 v3, v12, v61, -v51
	v_add_f32_e32 v2, v2, v3
	v_mul_f32_e32 v3, v15, v52
	v_fma_f32 v3, v14, v62, -v3
	v_add_f32_e32 v2, v2, v3
	v_mul_f32_e32 v3, v17, v53
	v_fma_f32 v3, v16, v63, -v3
	s_waitcnt vmcnt(15)
	v_mov_b32_e32 v16, v29
	s_waitcnt lgkmcnt(1)
	v_mul_f32_e32 v45, v18, v54
	v_add_f32_e32 v48, v2, v3
	v_mul_f32_e32 v2, v19, v54
	s_waitcnt lgkmcnt(0)
	v_pk_mul_f32 v[16:17], v[22:23], v[16:17] op_sel_hi:[1,0]
	v_mul_f32_e32 v47, v20, v55
	v_fmac_f32_e32 v45, v19, v64
	v_fma_f32 v44, v18, v64, -v2
	v_mul_f32_e32 v2, v21, v55
	s_waitcnt vmcnt(14)
	v_pk_fma_f32 v[18:19], v[22:23], v[28:29], v[16:17] op_sel:[0,0,1] op_sel_hi:[1,1,0] neg_lo:[0,0,1] neg_hi:[0,0,1]
	v_pk_fma_f32 v[16:17], v[22:23], v[28:29], v[16:17] op_sel:[0,0,1] op_sel_hi:[1,0,0]
	v_fmac_f32_e32 v47, v21, v65
	v_fma_f32 v46, v20, v65, -v2
	v_pk_add_f32 v[14:15], v[48:49], v[44:45]
	s_waitcnt vmcnt(13)
	v_mov_b32_e32 v16, v31
	ds_read2_b64 v[2:5], v1 offset0:101 offset1:102
	ds_read2_b64 v[6:9], v1 offset0:103 offset1:104
	;; [unrolled: 1-line block ×3, first 2 shown]
	v_pk_add_f32 v[14:15], v[14:15], v[46:47]
	v_mov_b32_e32 v19, v17
	v_pk_mul_f32 v[16:17], v[24:25], v[16:17] op_sel_hi:[1,0]
	v_pk_add_f32 v[14:15], v[14:15], v[18:19]
	s_waitcnt vmcnt(6)
	v_pk_fma_f32 v[18:19], v[24:25], v[30:31], v[16:17] op_sel:[0,0,1] op_sel_hi:[1,1,0] neg_lo:[0,0,1] neg_hi:[0,0,1]
	v_pk_fma_f32 v[16:17], v[24:25], v[30:31], v[16:17] op_sel:[0,0,1] op_sel_hi:[1,0,0]
	v_mov_b32_e32 v16, v37
	v_mov_b32_e32 v19, v17
	s_waitcnt lgkmcnt(2)
	v_pk_mul_f32 v[16:17], v[2:3], v[16:17] op_sel_hi:[1,0]
	v_pk_add_f32 v[14:15], v[14:15], v[18:19]
	v_pk_fma_f32 v[18:19], v[2:3], v[36:37], v[16:17] op_sel:[0,0,1] op_sel_hi:[1,1,0] neg_lo:[0,0,1] neg_hi:[0,0,1]
	v_pk_fma_f32 v[2:3], v[2:3], v[36:37], v[16:17] op_sel:[0,0,1] op_sel_hi:[1,0,0]
	v_mov_b32_e32 v19, v3
	v_pk_add_f32 v[2:3], v[14:15], v[18:19]
	v_mov_b32_e32 v14, v35
	v_pk_mul_f32 v[14:15], v[4:5], v[14:15] op_sel_hi:[1,0]
	v_pk_fma_f32 v[16:17], v[4:5], v[34:35], v[14:15] op_sel:[0,0,1] op_sel_hi:[1,1,0] neg_lo:[0,0,1] neg_hi:[0,0,1]
	v_pk_fma_f32 v[4:5], v[4:5], v[34:35], v[14:15] op_sel:[0,0,1] op_sel_hi:[1,0,0]
	v_mov_b32_e32 v4, v33
	v_mov_b32_e32 v17, v5
	s_waitcnt lgkmcnt(1)
	v_pk_mul_f32 v[4:5], v[6:7], v[4:5] op_sel_hi:[1,0]
	v_pk_fma_f32 v[14:15], v[6:7], v[32:33], v[4:5] op_sel:[0,0,1] op_sel_hi:[1,1,0] neg_lo:[0,0,1] neg_hi:[0,0,1]
	v_pk_fma_f32 v[4:5], v[6:7], v[32:33], v[4:5] op_sel:[0,0,1] op_sel_hi:[1,0,0]
	s_waitcnt vmcnt(1)
	v_mov_b32_e32 v4, v43
	v_mov_b32_e32 v15, v5
	v_pk_mul_f32 v[4:5], v[8:9], v[4:5] op_sel_hi:[1,0]
	s_waitcnt vmcnt(0)
	v_pk_fma_f32 v[6:7], v[8:9], v[42:43], v[4:5] op_sel:[0,0,1] op_sel_hi:[1,1,0] neg_lo:[0,0,1] neg_hi:[0,0,1]
	v_pk_fma_f32 v[4:5], v[8:9], v[42:43], v[4:5] op_sel:[0,0,1] op_sel_hi:[1,0,0]
	v_pk_add_f32 v[2:3], v[2:3], v[16:17]
	v_mov_b32_e32 v4, v41
	v_pk_add_f32 v[2:3], v[2:3], v[14:15]
	v_mov_b32_e32 v7, v5
	s_waitcnt lgkmcnt(0)
	v_pk_mul_f32 v[4:5], v[10:11], v[4:5] op_sel_hi:[1,0]
	v_pk_add_f32 v[2:3], v[2:3], v[6:7]
	v_pk_fma_f32 v[6:7], v[10:11], v[40:41], v[4:5] op_sel:[0,0,1] op_sel_hi:[1,1,0] neg_lo:[0,0,1] neg_hi:[0,0,1]
	v_pk_fma_f32 v[4:5], v[10:11], v[40:41], v[4:5] op_sel:[0,0,1] op_sel_hi:[1,0,0]
	v_mov_b32_e32 v4, v39
	v_mov_b32_e32 v7, v5
	v_pk_mul_f32 v[4:5], v[12:13], v[4:5] op_sel_hi:[1,0]
	v_pk_add_f32 v[2:3], v[2:3], v[6:7]
	v_pk_fma_f32 v[6:7], v[12:13], v[38:39], v[4:5] op_sel:[0,0,1] op_sel_hi:[1,1,0] neg_lo:[0,0,1] neg_hi:[0,0,1]
	v_pk_fma_f32 v[4:5], v[12:13], v[38:39], v[4:5] op_sel:[0,0,1] op_sel_hi:[1,0,0]
	v_mov_b32_e32 v7, v5
	v_pk_add_f32 v[2:3], v[2:3], v[6:7]
	v_pk_add_f32 v[2:3], v[26:27], v[2:3] neg_lo:[0,1] neg_hi:[0,1]
	buffer_store_dword v3, off, s[0:3], 0 offset:276
	buffer_store_dword v2, off, s[0:3], 0 offset:272
	s_and_saveexec_b64 s[4:5], vcc
	s_cbranch_execz .LBB52_265
; %bb.264:
	buffer_load_dword v2, off, s[0:3], 0 offset:264
	buffer_load_dword v3, off, s[0:3], 0 offset:268
	v_mov_b32_e32 v1, 0
	v_accvgpr_read_b32 v4, a48
	buffer_store_dword v1, off, s[0:3], 0 offset:264
	buffer_store_dword v1, off, s[0:3], 0 offset:268
	s_waitcnt vmcnt(2)
	ds_write_b64 v4, v[2:3]
.LBB52_265:
	s_or_b64 exec, exec, s[4:5]
	s_waitcnt lgkmcnt(0)
	; wave barrier
	s_waitcnt lgkmcnt(0)
	buffer_load_dword v44, off, s[0:3], 0 offset:276
	buffer_load_dword v46, off, s[0:3], 0 offset:284
	;; [unrolled: 1-line block ×40, first 2 shown]
	v_mov_b32_e32 v1, 0
	ds_read_b128 v[2:5], v1 offset:704
	ds_read_b128 v[6:9], v1 offset:720
	;; [unrolled: 1-line block ×6, first 2 shown]
	v_cmp_lt_u32_e32 vcc, 32, v0
	s_waitcnt vmcnt(39) lgkmcnt(5)
	v_mul_f32_e32 v68, v2, v44
	s_waitcnt vmcnt(38)
	v_mul_f32_e32 v69, v4, v46
	s_waitcnt vmcnt(37) lgkmcnt(4)
	v_mul_f32_e32 v70, v6, v48
	v_mul_f32_e32 v44, v3, v44
	;; [unrolled: 1-line block ×4, first 2 shown]
	s_waitcnt vmcnt(36)
	v_mul_f32_e32 v71, v8, v49
	s_waitcnt vmcnt(35) lgkmcnt(3)
	v_mul_f32_e32 v72, v10, v50
	s_waitcnt vmcnt(34)
	v_mul_f32_e32 v73, v12, v51
	s_waitcnt vmcnt(33) lgkmcnt(2)
	v_mul_f32_e32 v74, v14, v52
	s_waitcnt vmcnt(32)
	v_mul_f32_e32 v75, v16, v53
	s_waitcnt vmcnt(28)
	v_fmac_f32_e32 v68, v3, v57
	s_waitcnt vmcnt(27)
	v_fmac_f32_e32 v69, v5, v58
	v_fma_f32 v2, v2, v57, -v44
	v_fma_f32 v3, v4, v58, -v46
	s_waitcnt vmcnt(26)
	v_fma_f32 v4, v6, v59, -v48
	v_add_f32_e32 v6, 0, v68
	v_fmac_f32_e32 v70, v7, v59
	v_add_f32_e32 v2, 0, v2
	v_add_f32_e32 v6, v6, v69
	s_waitcnt vmcnt(25)
	v_fmac_f32_e32 v71, v9, v60
	v_add_f32_e32 v2, v2, v3
	v_add_f32_e32 v3, v6, v70
	s_waitcnt vmcnt(24)
	v_fmac_f32_e32 v72, v11, v61
	v_add_f32_e32 v3, v3, v71
	s_waitcnt vmcnt(23)
	v_fmac_f32_e32 v73, v13, v62
	;; [unrolled: 3-line block ×3, first 2 shown]
	v_add_f32_e32 v3, v3, v73
	s_waitcnt lgkmcnt(1)
	v_mul_f32_e32 v76, v18, v54
	s_waitcnt vmcnt(21)
	v_fmac_f32_e32 v75, v17, v64
	v_add_f32_e32 v3, v3, v74
	v_mul_f32_e32 v49, v9, v49
	s_waitcnt vmcnt(20)
	v_fmac_f32_e32 v76, v19, v65
	v_add_f32_e32 v3, v3, v75
	v_fma_f32 v5, v8, v60, -v49
	v_add_f32_e32 v2, v2, v4
	v_add_f32_e32 v49, v3, v76
	v_mul_f32_e32 v3, v11, v50
	v_add_f32_e32 v2, v2, v5
	v_fma_f32 v3, v10, v61, -v3
	v_add_f32_e32 v2, v2, v3
	v_mul_f32_e32 v3, v13, v51
	v_fma_f32 v3, v12, v62, -v3
	v_add_f32_e32 v2, v2, v3
	v_mul_f32_e32 v3, v15, v52
	;; [unrolled: 3-line block ×5, first 2 shown]
	s_waitcnt vmcnt(9)
	v_mov_b32_e32 v18, v35
	v_mul_f32_e32 v45, v20, v55
	v_fma_f32 v44, v20, v66, -v2
	s_waitcnt lgkmcnt(0)
	v_mul_f32_e32 v2, v23, v56
	v_pk_mul_f32 v[18:19], v[24:25], v[18:19] op_sel_hi:[1,0]
	v_mul_f32_e32 v47, v22, v56
	v_fmac_f32_e32 v45, v21, v66
	v_fma_f32 v46, v22, v67, -v2
	ds_read_b128 v[2:5], v1 offset:800
	ds_read_b128 v[6:9], v1 offset:816
	;; [unrolled: 1-line block ×3, first 2 shown]
	ds_read_b64 v[14:15], v1 offset:848
	s_waitcnt vmcnt(8)
	v_pk_fma_f32 v[20:21], v[24:25], v[34:35], v[18:19] op_sel:[0,0,1] op_sel_hi:[1,1,0] neg_lo:[0,0,1] neg_hi:[0,0,1]
	v_pk_fma_f32 v[18:19], v[24:25], v[34:35], v[18:19] op_sel:[0,0,1] op_sel_hi:[1,0,0]
	v_fmac_f32_e32 v47, v23, v67
	v_pk_add_f32 v[16:17], v[48:49], v[44:45]
	v_mov_b32_e32 v18, v33
	v_pk_add_f32 v[16:17], v[16:17], v[46:47]
	v_mov_b32_e32 v21, v19
	s_waitcnt lgkmcnt(3)
	v_pk_mul_f32 v[18:19], v[2:3], v[18:19] op_sel_hi:[1,0]
	v_pk_add_f32 v[16:17], v[16:17], v[20:21]
	v_pk_fma_f32 v[20:21], v[2:3], v[32:33], v[18:19] op_sel:[0,0,1] op_sel_hi:[1,1,0] neg_lo:[0,0,1] neg_hi:[0,0,1]
	v_pk_fma_f32 v[2:3], v[2:3], v[32:33], v[18:19] op_sel:[0,0,1] op_sel_hi:[1,0,0]
	v_mov_b32_e32 v21, v3
	v_pk_add_f32 v[2:3], v[16:17], v[20:21]
	v_mov_b32_e32 v16, v31
	v_pk_mul_f32 v[16:17], v[4:5], v[16:17] op_sel_hi:[1,0]
	v_pk_fma_f32 v[18:19], v[4:5], v[30:31], v[16:17] op_sel:[0,0,1] op_sel_hi:[1,1,0] neg_lo:[0,0,1] neg_hi:[0,0,1]
	v_pk_fma_f32 v[4:5], v[4:5], v[30:31], v[16:17] op_sel:[0,0,1] op_sel_hi:[1,0,0]
	v_mov_b32_e32 v4, v29
	v_mov_b32_e32 v19, v5
	s_waitcnt lgkmcnt(2)
	v_pk_mul_f32 v[4:5], v[6:7], v[4:5] op_sel_hi:[1,0]
	v_pk_fma_f32 v[16:17], v[6:7], v[28:29], v[4:5] op_sel:[0,0,1] op_sel_hi:[1,1,0] neg_lo:[0,0,1] neg_hi:[0,0,1]
	v_pk_fma_f32 v[4:5], v[6:7], v[28:29], v[4:5] op_sel:[0,0,1] op_sel_hi:[1,0,0]
	s_waitcnt vmcnt(1)
	v_mov_b32_e32 v4, v43
	v_mov_b32_e32 v17, v5
	v_pk_mul_f32 v[4:5], v[8:9], v[4:5] op_sel_hi:[1,0]
	s_waitcnt vmcnt(0)
	v_pk_fma_f32 v[6:7], v[8:9], v[42:43], v[4:5] op_sel:[0,0,1] op_sel_hi:[1,1,0] neg_lo:[0,0,1] neg_hi:[0,0,1]
	v_pk_fma_f32 v[4:5], v[8:9], v[42:43], v[4:5] op_sel:[0,0,1] op_sel_hi:[1,0,0]
	v_pk_add_f32 v[2:3], v[2:3], v[18:19]
	v_mov_b32_e32 v4, v41
	v_pk_add_f32 v[2:3], v[2:3], v[16:17]
	v_mov_b32_e32 v7, v5
	s_waitcnt lgkmcnt(1)
	v_pk_mul_f32 v[4:5], v[10:11], v[4:5] op_sel_hi:[1,0]
	v_pk_add_f32 v[2:3], v[2:3], v[6:7]
	v_pk_fma_f32 v[6:7], v[10:11], v[40:41], v[4:5] op_sel:[0,0,1] op_sel_hi:[1,1,0] neg_lo:[0,0,1] neg_hi:[0,0,1]
	v_pk_fma_f32 v[4:5], v[10:11], v[40:41], v[4:5] op_sel:[0,0,1] op_sel_hi:[1,0,0]
	v_mov_b32_e32 v4, v39
	v_mov_b32_e32 v7, v5
	v_pk_mul_f32 v[4:5], v[12:13], v[4:5] op_sel_hi:[1,0]
	v_pk_add_f32 v[2:3], v[2:3], v[6:7]
	v_pk_fma_f32 v[6:7], v[12:13], v[38:39], v[4:5] op_sel:[0,0,1] op_sel_hi:[1,1,0] neg_lo:[0,0,1] neg_hi:[0,0,1]
	v_pk_fma_f32 v[4:5], v[12:13], v[38:39], v[4:5] op_sel:[0,0,1] op_sel_hi:[1,0,0]
	v_mov_b32_e32 v4, v37
	v_mov_b32_e32 v7, v5
	s_waitcnt lgkmcnt(0)
	v_pk_mul_f32 v[4:5], v[14:15], v[4:5] op_sel_hi:[1,0]
	v_pk_add_f32 v[2:3], v[2:3], v[6:7]
	v_pk_fma_f32 v[6:7], v[14:15], v[36:37], v[4:5] op_sel:[0,0,1] op_sel_hi:[1,1,0] neg_lo:[0,0,1] neg_hi:[0,0,1]
	v_pk_fma_f32 v[4:5], v[14:15], v[36:37], v[4:5] op_sel:[0,0,1] op_sel_hi:[1,0,0]
	v_mov_b32_e32 v7, v5
	v_pk_add_f32 v[2:3], v[2:3], v[6:7]
	v_pk_add_f32 v[2:3], v[26:27], v[2:3] neg_lo:[0,1] neg_hi:[0,1]
	buffer_store_dword v3, off, s[0:3], 0 offset:268
	buffer_store_dword v2, off, s[0:3], 0 offset:264
	s_and_saveexec_b64 s[4:5], vcc
	s_cbranch_execz .LBB52_267
; %bb.266:
	buffer_load_dword v2, off, s[0:3], 0 offset:256
	buffer_load_dword v3, off, s[0:3], 0 offset:260
	v_accvgpr_read_b32 v4, a48
	buffer_store_dword v1, off, s[0:3], 0 offset:256
	buffer_store_dword v1, off, s[0:3], 0 offset:260
	s_waitcnt vmcnt(2)
	ds_write_b64 v4, v[2:3]
.LBB52_267:
	s_or_b64 exec, exec, s[4:5]
	s_waitcnt lgkmcnt(0)
	; wave barrier
	s_waitcnt lgkmcnt(0)
	buffer_load_dword v44, off, s[0:3], 0 offset:268
	buffer_load_dword v46, off, s[0:3], 0 offset:276
	;; [unrolled: 1-line block ×26, first 2 shown]
	ds_read2_b64 v[2:5], v1 offset0:87 offset1:88
	ds_read2_b64 v[6:9], v1 offset0:89 offset1:90
	;; [unrolled: 1-line block ×6, first 2 shown]
	buffer_load_dword v29, off, s[0:3], 0 offset:380
	buffer_load_dword v28, off, s[0:3], 0 offset:376
	buffer_load_dword v31, off, s[0:3], 0 offset:372
	buffer_load_dword v30, off, s[0:3], 0 offset:368
	buffer_load_dword v33, off, s[0:3], 0 offset:364
	buffer_load_dword v32, off, s[0:3], 0 offset:360
	buffer_load_dword v35, off, s[0:3], 0 offset:412
	buffer_load_dword v34, off, s[0:3], 0 offset:408
	buffer_load_dword v37, off, s[0:3], 0 offset:404
	buffer_load_dword v36, off, s[0:3], 0 offset:400
	buffer_load_dword v39, off, s[0:3], 0 offset:396
	buffer_load_dword v38, off, s[0:3], 0 offset:392
	buffer_load_dword v41, off, s[0:3], 0 offset:388
	buffer_load_dword v40, off, s[0:3], 0 offset:384
	buffer_load_dword v43, off, s[0:3], 0 offset:420
	buffer_load_dword v42, off, s[0:3], 0 offset:416
	v_cmp_lt_u32_e32 vcc, 31, v0
	s_waitcnt vmcnt(41) lgkmcnt(5)
	v_mul_f32_e32 v70, v2, v44
	s_waitcnt vmcnt(40)
	v_mul_f32_e32 v71, v4, v46
	v_mul_f32_e32 v44, v3, v44
	s_waitcnt vmcnt(39) lgkmcnt(4)
	v_mul_f32_e32 v72, v6, v48
	v_mul_f32_e32 v46, v5, v46
	s_waitcnt vmcnt(38)
	v_mul_f32_e32 v73, v8, v50
	s_waitcnt vmcnt(37) lgkmcnt(3)
	v_mul_f32_e32 v74, v10, v51
	s_waitcnt vmcnt(36)
	v_mul_f32_e32 v75, v12, v52
	s_waitcnt vmcnt(35) lgkmcnt(2)
	;; [unrolled: 4-line block ×3, first 2 shown]
	v_mul_f32_e32 v78, v18, v55
	s_waitcnt vmcnt(32)
	v_mul_f32_e32 v79, v20, v56
	s_waitcnt vmcnt(29)
	v_fmac_f32_e32 v70, v3, v49
	s_waitcnt vmcnt(28)
	v_fmac_f32_e32 v71, v5, v59
	v_fma_f32 v2, v2, v49, -v44
	v_add_f32_e32 v5, 0, v70
	s_waitcnt vmcnt(27)
	v_fmac_f32_e32 v72, v7, v60
	v_fma_f32 v3, v4, v59, -v46
	v_add_f32_e32 v2, 0, v2
	v_add_f32_e32 v5, v5, v71
	s_waitcnt vmcnt(26)
	v_fmac_f32_e32 v73, v9, v61
	v_add_f32_e32 v2, v2, v3
	v_add_f32_e32 v3, v5, v72
	s_waitcnt vmcnt(25)
	v_fmac_f32_e32 v74, v11, v62
	v_add_f32_e32 v3, v3, v73
	s_waitcnt vmcnt(24)
	v_fmac_f32_e32 v75, v13, v63
	;; [unrolled: 3-line block ×5, first 2 shown]
	v_add_f32_e32 v3, v3, v77
	v_mul_f32_e32 v48, v7, v48
	s_waitcnt vmcnt(20)
	v_fmac_f32_e32 v79, v21, v67
	v_add_f32_e32 v3, v3, v78
	v_fma_f32 v4, v6, v60, -v48
	v_add_f32_e32 v49, v3, v79
	v_mul_f32_e32 v3, v9, v50
	v_add_f32_e32 v2, v2, v4
	v_fma_f32 v3, v8, v61, -v3
	v_add_f32_e32 v2, v2, v3
	v_mul_f32_e32 v3, v11, v51
	v_fma_f32 v3, v10, v62, -v3
	v_add_f32_e32 v2, v2, v3
	v_mul_f32_e32 v3, v13, v52
	;; [unrolled: 3-line block ×6, first 2 shown]
	v_fma_f32 v3, v20, v67, -v3
	v_add_f32_e32 v48, v2, v3
	s_waitcnt lgkmcnt(0)
	v_mul_f32_e32 v2, v23, v57
	s_waitcnt vmcnt(19)
	v_fma_f32 v44, v22, v68, -v2
	v_mul_f32_e32 v2, v25, v58
	s_waitcnt vmcnt(18)
	v_fma_f32 v46, v24, v69, -v2
	ds_read2_b64 v[2:5], v1 offset0:99 offset1:100
	ds_read2_b64 v[6:9], v1 offset0:101 offset1:102
	;; [unrolled: 1-line block ×4, first 2 shown]
	v_mul_f32_e32 v45, v22, v57
	s_waitcnt vmcnt(11)
	v_mov_b32_e32 v20, v33
	v_mul_f32_e32 v47, v24, v58
	v_fmac_f32_e32 v45, v23, v68
	s_waitcnt lgkmcnt(3)
	v_pk_mul_f32 v[20:21], v[2:3], v[20:21] op_sel_hi:[1,0]
	v_fmac_f32_e32 v47, v25, v69
	v_pk_add_f32 v[18:19], v[48:49], v[44:45]
	s_waitcnt vmcnt(10)
	v_pk_fma_f32 v[22:23], v[2:3], v[32:33], v[20:21] op_sel:[0,0,1] op_sel_hi:[1,1,0] neg_lo:[0,0,1] neg_hi:[0,0,1]
	v_pk_fma_f32 v[2:3], v[2:3], v[32:33], v[20:21] op_sel:[0,0,1] op_sel_hi:[1,0,0]
	v_pk_add_f32 v[18:19], v[18:19], v[46:47]
	v_mov_b32_e32 v23, v3
	v_pk_add_f32 v[2:3], v[18:19], v[22:23]
	v_mov_b32_e32 v18, v31
	v_pk_mul_f32 v[18:19], v[4:5], v[18:19] op_sel_hi:[1,0]
	v_pk_fma_f32 v[20:21], v[4:5], v[30:31], v[18:19] op_sel:[0,0,1] op_sel_hi:[1,1,0] neg_lo:[0,0,1] neg_hi:[0,0,1]
	v_pk_fma_f32 v[4:5], v[4:5], v[30:31], v[18:19] op_sel:[0,0,1] op_sel_hi:[1,0,0]
	v_mov_b32_e32 v4, v29
	v_mov_b32_e32 v21, v5
	s_waitcnt lgkmcnt(2)
	v_pk_mul_f32 v[4:5], v[6:7], v[4:5] op_sel_hi:[1,0]
	v_pk_fma_f32 v[18:19], v[6:7], v[28:29], v[4:5] op_sel:[0,0,1] op_sel_hi:[1,1,0] neg_lo:[0,0,1] neg_hi:[0,0,1]
	v_pk_fma_f32 v[4:5], v[6:7], v[28:29], v[4:5] op_sel:[0,0,1] op_sel_hi:[1,0,0]
	s_waitcnt vmcnt(3)
	v_mov_b32_e32 v4, v41
	v_mov_b32_e32 v19, v5
	v_pk_mul_f32 v[4:5], v[8:9], v[4:5] op_sel_hi:[1,0]
	s_waitcnt vmcnt(2)
	v_pk_fma_f32 v[6:7], v[8:9], v[40:41], v[4:5] op_sel:[0,0,1] op_sel_hi:[1,1,0] neg_lo:[0,0,1] neg_hi:[0,0,1]
	v_pk_fma_f32 v[4:5], v[8:9], v[40:41], v[4:5] op_sel:[0,0,1] op_sel_hi:[1,0,0]
	v_pk_add_f32 v[2:3], v[2:3], v[20:21]
	v_mov_b32_e32 v4, v39
	v_pk_add_f32 v[2:3], v[2:3], v[18:19]
	v_mov_b32_e32 v7, v5
	s_waitcnt lgkmcnt(1)
	v_pk_mul_f32 v[4:5], v[10:11], v[4:5] op_sel_hi:[1,0]
	v_pk_add_f32 v[2:3], v[2:3], v[6:7]
	v_pk_fma_f32 v[6:7], v[10:11], v[38:39], v[4:5] op_sel:[0,0,1] op_sel_hi:[1,1,0] neg_lo:[0,0,1] neg_hi:[0,0,1]
	v_pk_fma_f32 v[4:5], v[10:11], v[38:39], v[4:5] op_sel:[0,0,1] op_sel_hi:[1,0,0]
	v_mov_b32_e32 v4, v37
	v_mov_b32_e32 v7, v5
	v_pk_mul_f32 v[4:5], v[12:13], v[4:5] op_sel_hi:[1,0]
	v_pk_add_f32 v[2:3], v[2:3], v[6:7]
	v_pk_fma_f32 v[6:7], v[12:13], v[36:37], v[4:5] op_sel:[0,0,1] op_sel_hi:[1,1,0] neg_lo:[0,0,1] neg_hi:[0,0,1]
	v_pk_fma_f32 v[4:5], v[12:13], v[36:37], v[4:5] op_sel:[0,0,1] op_sel_hi:[1,0,0]
	v_mov_b32_e32 v4, v35
	v_mov_b32_e32 v7, v5
	s_waitcnt lgkmcnt(0)
	v_pk_mul_f32 v[4:5], v[14:15], v[4:5] op_sel_hi:[1,0]
	v_pk_add_f32 v[2:3], v[2:3], v[6:7]
	v_pk_fma_f32 v[6:7], v[14:15], v[34:35], v[4:5] op_sel:[0,0,1] op_sel_hi:[1,1,0] neg_lo:[0,0,1] neg_hi:[0,0,1]
	v_pk_fma_f32 v[4:5], v[14:15], v[34:35], v[4:5] op_sel:[0,0,1] op_sel_hi:[1,0,0]
	s_waitcnt vmcnt(1)
	v_mov_b32_e32 v4, v43
	v_mov_b32_e32 v7, v5
	v_pk_mul_f32 v[4:5], v[16:17], v[4:5] op_sel_hi:[1,0]
	v_pk_add_f32 v[2:3], v[2:3], v[6:7]
	s_waitcnt vmcnt(0)
	v_pk_fma_f32 v[6:7], v[16:17], v[42:43], v[4:5] op_sel:[0,0,1] op_sel_hi:[1,1,0] neg_lo:[0,0,1] neg_hi:[0,0,1]
	v_pk_fma_f32 v[4:5], v[16:17], v[42:43], v[4:5] op_sel:[0,0,1] op_sel_hi:[1,0,0]
	v_mov_b32_e32 v7, v5
	v_pk_add_f32 v[2:3], v[2:3], v[6:7]
	v_pk_add_f32 v[2:3], v[26:27], v[2:3] neg_lo:[0,1] neg_hi:[0,1]
	buffer_store_dword v3, off, s[0:3], 0 offset:260
	buffer_store_dword v2, off, s[0:3], 0 offset:256
	s_and_saveexec_b64 s[4:5], vcc
	s_cbranch_execz .LBB52_269
; %bb.268:
	buffer_load_dword v2, off, s[0:3], 0 offset:248
	buffer_load_dword v3, off, s[0:3], 0 offset:252
	v_mov_b32_e32 v1, 0
	v_accvgpr_read_b32 v4, a48
	buffer_store_dword v1, off, s[0:3], 0 offset:248
	buffer_store_dword v1, off, s[0:3], 0 offset:252
	s_waitcnt vmcnt(2)
	ds_write_b64 v4, v[2:3]
.LBB52_269:
	s_or_b64 exec, exec, s[4:5]
	s_waitcnt lgkmcnt(0)
	; wave barrier
	s_waitcnt lgkmcnt(0)
	buffer_load_dword v52, off, s[0:3], 0 offset:260
	buffer_load_dword v54, off, s[0:3], 0 offset:268
	;; [unrolled: 1-line block ×44, first 2 shown]
	v_mov_b32_e32 v1, 0
	ds_read_b128 v[2:5], v1 offset:688
	ds_read_b128 v[6:9], v1 offset:704
	;; [unrolled: 1-line block ×8, first 2 shown]
	v_cmp_lt_u32_e32 vcc, 30, v0
	s_waitcnt vmcnt(43) lgkmcnt(7)
	v_mul_f32_e32 v57, v2, v52
	s_waitcnt vmcnt(42)
	v_mul_f32_e32 v81, v4, v54
	s_waitcnt vmcnt(41) lgkmcnt(6)
	v_mul_f32_e32 v82, v6, v56
	v_mul_f32_e32 v52, v3, v52
	s_waitcnt vmcnt(40)
	v_mul_f32_e32 v83, v8, v58
	s_waitcnt vmcnt(39) lgkmcnt(5)
	v_mul_f32_e32 v84, v10, v59
	s_waitcnt vmcnt(38)
	v_mul_f32_e32 v85, v12, v60
	s_waitcnt vmcnt(37) lgkmcnt(4)
	v_mul_f32_e32 v86, v14, v61
	s_waitcnt vmcnt(36)
	v_mul_f32_e32 v87, v16, v62
	s_waitcnt vmcnt(35) lgkmcnt(3)
	v_mul_f32_e32 v88, v18, v63
	s_waitcnt vmcnt(34)
	v_mul_f32_e32 v89, v20, v64
	s_waitcnt vmcnt(33) lgkmcnt(2)
	v_mul_f32_e32 v90, v22, v65
	s_waitcnt vmcnt(32)
	v_mul_f32_e32 v53, v24, v66
	s_waitcnt vmcnt(30)
	v_fmac_f32_e32 v57, v3, v68
	s_waitcnt vmcnt(29)
	v_fmac_f32_e32 v81, v5, v69
	v_add_f32_e32 v3, 0, v57
	s_waitcnt vmcnt(28)
	v_fmac_f32_e32 v82, v7, v70
	v_add_f32_e32 v3, v3, v81
	;; [unrolled: 3-line block ×10, first 2 shown]
	v_add_f32_e32 v57, v3, v90
	v_fma_f32 v2, v2, v68, -v52
	v_mul_f32_e32 v3, v5, v54
	v_add_f32_e32 v2, 0, v2
	v_fma_f32 v3, v4, v69, -v3
	v_add_f32_e32 v2, v2, v3
	v_mul_f32_e32 v3, v7, v56
	v_fma_f32 v3, v6, v70, -v3
	v_add_f32_e32 v2, v2, v3
	v_mul_f32_e32 v3, v9, v58
	;; [unrolled: 3-line block ×9, first 2 shown]
	v_fma_f32 v3, v22, v78, -v3
	s_waitcnt vmcnt(13)
	v_mov_b32_e32 v14, v39
	v_add_f32_e32 v56, v2, v3
	v_mul_f32_e32 v2, v25, v66
	s_waitcnt lgkmcnt(1)
	v_pk_mul_f32 v[14:15], v[28:29], v[14:15] op_sel_hi:[1,0]
	v_mul_f32_e32 v55, v26, v67
	v_fmac_f32_e32 v53, v25, v79
	v_fma_f32 v52, v24, v79, -v2
	v_mul_f32_e32 v2, v27, v67
	s_waitcnt vmcnt(12)
	v_pk_fma_f32 v[16:17], v[28:29], v[38:39], v[14:15] op_sel:[0,0,1] op_sel_hi:[1,1,0] neg_lo:[0,0,1] neg_hi:[0,0,1]
	v_pk_fma_f32 v[14:15], v[28:29], v[38:39], v[14:15] op_sel:[0,0,1] op_sel_hi:[1,0,0]
	v_fmac_f32_e32 v55, v27, v80
	v_fma_f32 v54, v26, v80, -v2
	v_pk_add_f32 v[12:13], v[56:57], v[52:53]
	v_mov_b32_e32 v14, v37
	v_pk_add_f32 v[12:13], v[12:13], v[54:55]
	v_mov_b32_e32 v17, v15
	s_waitcnt lgkmcnt(0)
	v_pk_mul_f32 v[14:15], v[30:31], v[14:15] op_sel_hi:[1,0]
	v_pk_add_f32 v[12:13], v[12:13], v[16:17]
	v_pk_fma_f32 v[16:17], v[30:31], v[36:37], v[14:15] op_sel:[0,0,1] op_sel_hi:[1,1,0] neg_lo:[0,0,1] neg_hi:[0,0,1]
	v_pk_fma_f32 v[14:15], v[30:31], v[36:37], v[14:15] op_sel:[0,0,1] op_sel_hi:[1,0,0]
	s_waitcnt vmcnt(5)
	v_mov_b32_e32 v14, v47
	ds_read_b128 v[2:5], v1 offset:816
	ds_read_b128 v[6:9], v1 offset:832
	ds_read_b64 v[10:11], v1 offset:848
	v_mov_b32_e32 v17, v15
	v_pk_mul_f32 v[14:15], v[32:33], v[14:15] op_sel_hi:[1,0]
	v_pk_add_f32 v[12:13], v[12:13], v[16:17]
	s_waitcnt vmcnt(4)
	v_pk_fma_f32 v[16:17], v[32:33], v[46:47], v[14:15] op_sel:[0,0,1] op_sel_hi:[1,1,0] neg_lo:[0,0,1] neg_hi:[0,0,1]
	v_pk_fma_f32 v[14:15], v[32:33], v[46:47], v[14:15] op_sel:[0,0,1] op_sel_hi:[1,0,0]
	v_mov_b32_e32 v14, v45
	v_mov_b32_e32 v17, v15
	s_waitcnt lgkmcnt(2)
	v_pk_mul_f32 v[14:15], v[2:3], v[14:15] op_sel_hi:[1,0]
	v_pk_add_f32 v[12:13], v[12:13], v[16:17]
	v_pk_fma_f32 v[16:17], v[2:3], v[44:45], v[14:15] op_sel:[0,0,1] op_sel_hi:[1,1,0] neg_lo:[0,0,1] neg_hi:[0,0,1]
	v_pk_fma_f32 v[2:3], v[2:3], v[44:45], v[14:15] op_sel:[0,0,1] op_sel_hi:[1,0,0]
	v_mov_b32_e32 v17, v3
	v_pk_add_f32 v[2:3], v[12:13], v[16:17]
	v_mov_b32_e32 v12, v43
	v_pk_mul_f32 v[12:13], v[4:5], v[12:13] op_sel_hi:[1,0]
	v_pk_fma_f32 v[14:15], v[4:5], v[42:43], v[12:13] op_sel:[0,0,1] op_sel_hi:[1,1,0] neg_lo:[0,0,1] neg_hi:[0,0,1]
	v_pk_fma_f32 v[4:5], v[4:5], v[42:43], v[12:13] op_sel:[0,0,1] op_sel_hi:[1,0,0]
	v_mov_b32_e32 v4, v41
	v_mov_b32_e32 v15, v5
	s_waitcnt lgkmcnt(1)
	v_pk_mul_f32 v[4:5], v[6:7], v[4:5] op_sel_hi:[1,0]
	v_pk_fma_f32 v[12:13], v[6:7], v[40:41], v[4:5] op_sel:[0,0,1] op_sel_hi:[1,1,0] neg_lo:[0,0,1] neg_hi:[0,0,1]
	v_pk_fma_f32 v[4:5], v[6:7], v[40:41], v[4:5] op_sel:[0,0,1] op_sel_hi:[1,0,0]
	s_waitcnt vmcnt(1)
	v_mov_b32_e32 v4, v51
	v_mov_b32_e32 v13, v5
	v_pk_mul_f32 v[4:5], v[8:9], v[4:5] op_sel_hi:[1,0]
	s_waitcnt vmcnt(0)
	v_pk_fma_f32 v[6:7], v[8:9], v[50:51], v[4:5] op_sel:[0,0,1] op_sel_hi:[1,1,0] neg_lo:[0,0,1] neg_hi:[0,0,1]
	v_pk_fma_f32 v[4:5], v[8:9], v[50:51], v[4:5] op_sel:[0,0,1] op_sel_hi:[1,0,0]
	v_pk_add_f32 v[2:3], v[2:3], v[14:15]
	v_mov_b32_e32 v4, v49
	v_pk_add_f32 v[2:3], v[2:3], v[12:13]
	v_mov_b32_e32 v7, v5
	s_waitcnt lgkmcnt(0)
	v_pk_mul_f32 v[4:5], v[10:11], v[4:5] op_sel_hi:[1,0]
	v_pk_add_f32 v[2:3], v[2:3], v[6:7]
	v_pk_fma_f32 v[6:7], v[10:11], v[48:49], v[4:5] op_sel:[0,0,1] op_sel_hi:[1,1,0] neg_lo:[0,0,1] neg_hi:[0,0,1]
	v_pk_fma_f32 v[4:5], v[10:11], v[48:49], v[4:5] op_sel:[0,0,1] op_sel_hi:[1,0,0]
	v_mov_b32_e32 v7, v5
	v_pk_add_f32 v[2:3], v[2:3], v[6:7]
	v_pk_add_f32 v[2:3], v[34:35], v[2:3] neg_lo:[0,1] neg_hi:[0,1]
	buffer_store_dword v3, off, s[0:3], 0 offset:252
	buffer_store_dword v2, off, s[0:3], 0 offset:248
	s_and_saveexec_b64 s[4:5], vcc
	s_cbranch_execz .LBB52_271
; %bb.270:
	buffer_load_dword v2, off, s[0:3], 0 offset:240
	buffer_load_dword v3, off, s[0:3], 0 offset:244
	v_accvgpr_read_b32 v4, a48
	buffer_store_dword v1, off, s[0:3], 0 offset:240
	buffer_store_dword v1, off, s[0:3], 0 offset:244
	s_waitcnt vmcnt(2)
	ds_write_b64 v4, v[2:3]
.LBB52_271:
	s_or_b64 exec, exec, s[4:5]
	s_waitcnt lgkmcnt(0)
	; wave barrier
	s_waitcnt lgkmcnt(0)
	buffer_load_dword v52, off, s[0:3], 0 offset:252
	buffer_load_dword v54, off, s[0:3], 0 offset:260
	;; [unrolled: 1-line block ×30, first 2 shown]
	ds_read2_b64 v[2:5], v1 offset0:85 offset1:86
	ds_read2_b64 v[6:9], v1 offset0:87 offset1:88
	;; [unrolled: 1-line block ×6, first 2 shown]
	buffer_load_dword v37, off, s[0:3], 0 offset:364
	buffer_load_dword v36, off, s[0:3], 0 offset:360
	ds_read2_b64 v[26:29], v1 offset0:97 offset1:98
	ds_read2_b64 v[30:33], v1 offset0:99 offset1:100
	buffer_load_dword v39, off, s[0:3], 0 offset:396
	buffer_load_dword v38, off, s[0:3], 0 offset:392
	;; [unrolled: 1-line block ×14, first 2 shown]
	v_cmp_lt_u32_e32 vcc, 29, v0
	s_waitcnt vmcnt(45) lgkmcnt(7)
	v_mul_f32_e32 v55, v2, v52
	s_waitcnt vmcnt(44)
	v_mul_f32_e32 v57, v4, v54
	s_waitcnt vmcnt(43) lgkmcnt(6)
	v_mul_f32_e32 v83, v6, v56
	s_waitcnt vmcnt(42)
	v_mul_f32_e32 v84, v8, v58
	;; [unrolled: 4-line block ×6, first 2 shown]
	s_waitcnt vmcnt(33) lgkmcnt(1)
	v_mul_f32_e32 v53, v26, v67
	s_waitcnt vmcnt(32)
	v_fmac_f32_e32 v55, v3, v68
	v_mul_f32_e32 v3, v3, v52
	v_fma_f32 v2, v2, v68, -v3
	v_mul_f32_e32 v3, v5, v54
	v_add_f32_e32 v2, 0, v2
	s_waitcnt vmcnt(31)
	v_fma_f32 v3, v4, v69, -v3
	v_add_f32_e32 v2, v2, v3
	v_mul_f32_e32 v3, v7, v56
	s_waitcnt vmcnt(30)
	v_fma_f32 v3, v6, v70, -v3
	v_add_f32_e32 v2, v2, v3
	v_mul_f32_e32 v3, v9, v58
	;; [unrolled: 4-line block ×5, first 2 shown]
	s_waitcnt vmcnt(26)
	v_fma_f32 v3, v14, v74, -v3
	v_fmac_f32_e32 v57, v5, v69
	v_add_f32_e32 v55, 0, v55
	v_add_f32_e32 v2, v2, v3
	v_mul_f32_e32 v3, v17, v62
	v_fmac_f32_e32 v83, v7, v70
	v_add_f32_e32 v55, v55, v57
	s_waitcnt vmcnt(25)
	v_fma_f32 v3, v16, v75, -v3
	v_fmac_f32_e32 v84, v9, v71
	v_add_f32_e32 v55, v55, v83
	v_add_f32_e32 v2, v2, v3
	v_mul_f32_e32 v3, v19, v63
	v_fmac_f32_e32 v85, v11, v72
	v_add_f32_e32 v55, v55, v84
	;; [unrolled: 8-line block ×5, first 2 shown]
	s_waitcnt vmcnt(21)
	v_fma_f32 v3, v24, v79, -v3
	s_waitcnt vmcnt(15)
	v_mov_b32_e32 v16, v37
	v_fmac_f32_e32 v92, v25, v79
	v_add_f32_e32 v55, v55, v91
	v_add_f32_e32 v54, v2, v3
	v_mul_f32_e32 v2, v27, v67
	s_waitcnt lgkmcnt(0)
	v_pk_mul_f32 v[16:17], v[30:31], v[16:17] op_sel_hi:[1,0]
	v_fmac_f32_e32 v53, v27, v80
	v_add_f32_e32 v55, v55, v92
	v_mul_f32_e32 v57, v28, v81
	v_fma_f32 v52, v26, v80, -v2
	v_mul_f32_e32 v2, v29, v81
	s_waitcnt vmcnt(14)
	v_pk_fma_f32 v[18:19], v[30:31], v[36:37], v[16:17] op_sel:[0,0,1] op_sel_hi:[1,1,0] neg_lo:[0,0,1] neg_hi:[0,0,1]
	v_pk_fma_f32 v[16:17], v[30:31], v[36:37], v[16:17] op_sel:[0,0,1] op_sel_hi:[1,0,0]
	v_fmac_f32_e32 v57, v29, v82
	v_fma_f32 v56, v28, v82, -v2
	v_pk_add_f32 v[14:15], v[54:55], v[52:53]
	s_waitcnt vmcnt(7)
	v_mov_b32_e32 v16, v45
	ds_read2_b64 v[2:5], v1 offset0:101 offset1:102
	ds_read2_b64 v[6:9], v1 offset0:103 offset1:104
	;; [unrolled: 1-line block ×3, first 2 shown]
	v_pk_add_f32 v[14:15], v[14:15], v[56:57]
	v_mov_b32_e32 v19, v17
	v_pk_mul_f32 v[16:17], v[32:33], v[16:17] op_sel_hi:[1,0]
	v_pk_add_f32 v[14:15], v[14:15], v[18:19]
	s_waitcnt vmcnt(6)
	v_pk_fma_f32 v[18:19], v[32:33], v[44:45], v[16:17] op_sel:[0,0,1] op_sel_hi:[1,1,0] neg_lo:[0,0,1] neg_hi:[0,0,1]
	v_pk_fma_f32 v[16:17], v[32:33], v[44:45], v[16:17] op_sel:[0,0,1] op_sel_hi:[1,0,0]
	v_mov_b32_e32 v16, v43
	v_mov_b32_e32 v19, v17
	s_waitcnt lgkmcnt(2)
	v_pk_mul_f32 v[16:17], v[2:3], v[16:17] op_sel_hi:[1,0]
	v_pk_add_f32 v[14:15], v[14:15], v[18:19]
	v_pk_fma_f32 v[18:19], v[2:3], v[42:43], v[16:17] op_sel:[0,0,1] op_sel_hi:[1,1,0] neg_lo:[0,0,1] neg_hi:[0,0,1]
	v_pk_fma_f32 v[2:3], v[2:3], v[42:43], v[16:17] op_sel:[0,0,1] op_sel_hi:[1,0,0]
	v_mov_b32_e32 v19, v3
	v_pk_add_f32 v[2:3], v[14:15], v[18:19]
	v_mov_b32_e32 v14, v41
	v_pk_mul_f32 v[14:15], v[4:5], v[14:15] op_sel_hi:[1,0]
	v_pk_fma_f32 v[16:17], v[4:5], v[40:41], v[14:15] op_sel:[0,0,1] op_sel_hi:[1,1,0] neg_lo:[0,0,1] neg_hi:[0,0,1]
	v_pk_fma_f32 v[4:5], v[4:5], v[40:41], v[14:15] op_sel:[0,0,1] op_sel_hi:[1,0,0]
	v_mov_b32_e32 v4, v39
	v_mov_b32_e32 v17, v5
	s_waitcnt lgkmcnt(1)
	v_pk_mul_f32 v[4:5], v[6:7], v[4:5] op_sel_hi:[1,0]
	v_pk_fma_f32 v[14:15], v[6:7], v[38:39], v[4:5] op_sel:[0,0,1] op_sel_hi:[1,1,0] neg_lo:[0,0,1] neg_hi:[0,0,1]
	v_pk_fma_f32 v[4:5], v[6:7], v[38:39], v[4:5] op_sel:[0,0,1] op_sel_hi:[1,0,0]
	s_waitcnt vmcnt(1)
	v_mov_b32_e32 v4, v51
	v_mov_b32_e32 v15, v5
	v_pk_mul_f32 v[4:5], v[8:9], v[4:5] op_sel_hi:[1,0]
	s_waitcnt vmcnt(0)
	v_pk_fma_f32 v[6:7], v[8:9], v[50:51], v[4:5] op_sel:[0,0,1] op_sel_hi:[1,1,0] neg_lo:[0,0,1] neg_hi:[0,0,1]
	v_pk_fma_f32 v[4:5], v[8:9], v[50:51], v[4:5] op_sel:[0,0,1] op_sel_hi:[1,0,0]
	v_pk_add_f32 v[2:3], v[2:3], v[16:17]
	v_mov_b32_e32 v4, v49
	v_pk_add_f32 v[2:3], v[2:3], v[14:15]
	v_mov_b32_e32 v7, v5
	s_waitcnt lgkmcnt(0)
	v_pk_mul_f32 v[4:5], v[10:11], v[4:5] op_sel_hi:[1,0]
	v_pk_add_f32 v[2:3], v[2:3], v[6:7]
	v_pk_fma_f32 v[6:7], v[10:11], v[48:49], v[4:5] op_sel:[0,0,1] op_sel_hi:[1,1,0] neg_lo:[0,0,1] neg_hi:[0,0,1]
	v_pk_fma_f32 v[4:5], v[10:11], v[48:49], v[4:5] op_sel:[0,0,1] op_sel_hi:[1,0,0]
	v_mov_b32_e32 v4, v47
	v_mov_b32_e32 v7, v5
	v_pk_mul_f32 v[4:5], v[12:13], v[4:5] op_sel_hi:[1,0]
	v_pk_add_f32 v[2:3], v[2:3], v[6:7]
	v_pk_fma_f32 v[6:7], v[12:13], v[46:47], v[4:5] op_sel:[0,0,1] op_sel_hi:[1,1,0] neg_lo:[0,0,1] neg_hi:[0,0,1]
	v_pk_fma_f32 v[4:5], v[12:13], v[46:47], v[4:5] op_sel:[0,0,1] op_sel_hi:[1,0,0]
	v_mov_b32_e32 v7, v5
	v_pk_add_f32 v[2:3], v[2:3], v[6:7]
	v_pk_add_f32 v[2:3], v[34:35], v[2:3] neg_lo:[0,1] neg_hi:[0,1]
	buffer_store_dword v3, off, s[0:3], 0 offset:244
	buffer_store_dword v2, off, s[0:3], 0 offset:240
	s_and_saveexec_b64 s[4:5], vcc
	s_cbranch_execz .LBB52_273
; %bb.272:
	buffer_load_dword v2, off, s[0:3], 0 offset:232
	buffer_load_dword v3, off, s[0:3], 0 offset:236
	v_mov_b32_e32 v1, 0
	v_accvgpr_read_b32 v4, a48
	buffer_store_dword v1, off, s[0:3], 0 offset:232
	buffer_store_dword v1, off, s[0:3], 0 offset:236
	s_waitcnt vmcnt(2)
	ds_write_b64 v4, v[2:3]
.LBB52_273:
	s_or_b64 exec, exec, s[4:5]
	s_waitcnt lgkmcnt(0)
	; wave barrier
	s_waitcnt lgkmcnt(0)
	buffer_load_dword v50, off, s[0:3], 0 offset:244
	buffer_load_dword v54, off, s[0:3], 0 offset:252
	;; [unrolled: 1-line block ×32, first 2 shown]
	v_mov_b32_e32 v1, 0
	buffer_load_dword v37, off, s[0:3], 0 offset:388
	buffer_load_dword v36, off, s[0:3], 0 offset:384
	;; [unrolled: 1-line block ×13, first 2 shown]
	ds_read_b128 v[2:5], v1 offset:672
	ds_read_b128 v[6:9], v1 offset:688
	;; [unrolled: 1-line block ×8, first 2 shown]
	v_cmp_lt_u32_e32 vcc, 28, v0
	s_waitcnt vmcnt(44) lgkmcnt(7)
	v_mul_f32_e32 v44, v2, v50
	s_waitcnt vmcnt(43)
	v_mul_f32_e32 v51, v4, v54
	s_waitcnt vmcnt(42) lgkmcnt(6)
	v_mul_f32_e32 v52, v6, v56
	s_waitcnt vmcnt(41)
	v_mul_f32_e32 v53, v8, v58
	;; [unrolled: 4-line block ×6, first 2 shown]
	s_waitcnt vmcnt(32) lgkmcnt(1)
	v_mul_f32_e32 v91, v26, v67
	s_waitcnt vmcnt(31)
	v_fmac_f32_e32 v44, v3, v68
	s_waitcnt vmcnt(30)
	v_fmac_f32_e32 v51, v5, v69
	v_add_f32_e32 v44, 0, v44
	s_waitcnt vmcnt(29)
	v_fmac_f32_e32 v52, v7, v70
	v_add_f32_e32 v44, v44, v51
	;; [unrolled: 3-line block ×12, first 2 shown]
	v_add_f32_e32 v51, v44, v91
	buffer_load_dword v53, off, s[0:3], 0 offset:404
	buffer_load_dword v52, off, s[0:3], 0 offset:400
	;; [unrolled: 1-line block ×3, first 2 shown]
	v_mul_f32_e32 v3, v3, v50
	v_fma_f32 v2, v2, v68, -v3
	v_mul_f32_e32 v3, v5, v54
	v_add_f32_e32 v2, 0, v2
	v_fma_f32 v3, v4, v69, -v3
	v_add_f32_e32 v2, v2, v3
	v_mul_f32_e32 v3, v7, v56
	v_fma_f32 v3, v6, v70, -v3
	v_add_f32_e32 v2, v2, v3
	v_mul_f32_e32 v3, v9, v58
	;; [unrolled: 3-line block ×11, first 2 shown]
	v_fma_f32 v3, v26, v80, -v3
	v_add_f32_e32 v50, v2, v3
	s_waitcnt vmcnt(21)
	v_mul_f32_e32 v2, v29, v81
	s_waitcnt vmcnt(9)
	v_mov_b32_e32 v18, v43
	v_mul_f32_e32 v55, v28, v81
	v_fma_f32 v54, v28, v82, -v2
	s_waitcnt lgkmcnt(0)
	v_mul_f32_e32 v2, v31, v83
	v_pk_mul_f32 v[18:19], v[32:33], v[18:19] op_sel_hi:[1,0]
	v_fmac_f32_e32 v55, v29, v82
	v_mul_f32_e32 v57, v30, v83
	v_fma_f32 v56, v30, v84, -v2
	ds_read_b128 v[2:5], v1 offset:800
	ds_read_b128 v[6:9], v1 offset:816
	;; [unrolled: 1-line block ×3, first 2 shown]
	ds_read_b64 v[14:15], v1 offset:848
	s_waitcnt vmcnt(8)
	v_pk_fma_f32 v[20:21], v[32:33], v[42:43], v[18:19] op_sel:[0,0,1] op_sel_hi:[1,1,0] neg_lo:[0,0,1] neg_hi:[0,0,1]
	v_pk_fma_f32 v[18:19], v[32:33], v[42:43], v[18:19] op_sel:[0,0,1] op_sel_hi:[1,0,0]
	v_fmac_f32_e32 v57, v31, v84
	v_pk_add_f32 v[16:17], v[50:51], v[54:55]
	v_mov_b32_e32 v18, v41
	v_pk_add_f32 v[16:17], v[16:17], v[56:57]
	v_mov_b32_e32 v21, v19
	s_waitcnt lgkmcnt(3)
	v_pk_mul_f32 v[18:19], v[2:3], v[18:19] op_sel_hi:[1,0]
	v_pk_add_f32 v[16:17], v[16:17], v[20:21]
	v_pk_fma_f32 v[20:21], v[2:3], v[40:41], v[18:19] op_sel:[0,0,1] op_sel_hi:[1,1,0] neg_lo:[0,0,1] neg_hi:[0,0,1]
	v_pk_fma_f32 v[2:3], v[2:3], v[40:41], v[18:19] op_sel:[0,0,1] op_sel_hi:[1,0,0]
	v_mov_b32_e32 v21, v3
	v_pk_add_f32 v[2:3], v[16:17], v[20:21]
	v_mov_b32_e32 v16, v39
	v_pk_mul_f32 v[16:17], v[4:5], v[16:17] op_sel_hi:[1,0]
	v_pk_fma_f32 v[18:19], v[4:5], v[38:39], v[16:17] op_sel:[0,0,1] op_sel_hi:[1,1,0] neg_lo:[0,0,1] neg_hi:[0,0,1]
	v_pk_fma_f32 v[4:5], v[4:5], v[38:39], v[16:17] op_sel:[0,0,1] op_sel_hi:[1,0,0]
	v_mov_b32_e32 v4, v37
	v_mov_b32_e32 v19, v5
	s_waitcnt lgkmcnt(2)
	v_pk_mul_f32 v[4:5], v[6:7], v[4:5] op_sel_hi:[1,0]
	v_pk_fma_f32 v[16:17], v[6:7], v[36:37], v[4:5] op_sel:[0,0,1] op_sel_hi:[1,1,0] neg_lo:[0,0,1] neg_hi:[0,0,1]
	v_pk_fma_f32 v[4:5], v[6:7], v[36:37], v[4:5] op_sel:[0,0,1] op_sel_hi:[1,0,0]
	s_waitcnt vmcnt(7)
	v_mov_b32_e32 v4, v45
	v_mov_b32_e32 v17, v5
	v_pk_mul_f32 v[4:5], v[8:9], v[4:5] op_sel_hi:[1,0]
	v_pk_add_f32 v[2:3], v[2:3], v[18:19]
	v_pk_add_f32 v[2:3], v[2:3], v[16:17]
	s_waitcnt vmcnt(0)
	v_pk_fma_f32 v[6:7], v[8:9], v[44:45], v[4:5] op_sel:[0,0,1] op_sel_hi:[1,1,0] neg_lo:[0,0,1] neg_hi:[0,0,1]
	v_pk_fma_f32 v[4:5], v[8:9], v[44:45], v[4:5] op_sel:[0,0,1] op_sel_hi:[1,0,0]
	v_mov_b32_e32 v4, v53
	v_mov_b32_e32 v7, v5
	s_waitcnt lgkmcnt(1)
	v_pk_mul_f32 v[4:5], v[10:11], v[4:5] op_sel_hi:[1,0]
	v_pk_add_f32 v[2:3], v[2:3], v[6:7]
	v_pk_fma_f32 v[6:7], v[10:11], v[52:53], v[4:5] op_sel:[0,0,1] op_sel_hi:[1,1,0] neg_lo:[0,0,1] neg_hi:[0,0,1]
	v_pk_fma_f32 v[4:5], v[10:11], v[52:53], v[4:5] op_sel:[0,0,1] op_sel_hi:[1,0,0]
	v_mov_b32_e32 v4, v49
	v_mov_b32_e32 v7, v5
	v_pk_mul_f32 v[4:5], v[12:13], v[4:5] op_sel_hi:[1,0]
	v_pk_add_f32 v[2:3], v[2:3], v[6:7]
	v_pk_fma_f32 v[6:7], v[12:13], v[48:49], v[4:5] op_sel:[0,0,1] op_sel_hi:[1,1,0] neg_lo:[0,0,1] neg_hi:[0,0,1]
	v_pk_fma_f32 v[4:5], v[12:13], v[48:49], v[4:5] op_sel:[0,0,1] op_sel_hi:[1,0,0]
	v_mov_b32_e32 v4, v47
	v_mov_b32_e32 v7, v5
	s_waitcnt lgkmcnt(0)
	v_pk_mul_f32 v[4:5], v[14:15], v[4:5] op_sel_hi:[1,0]
	v_pk_add_f32 v[2:3], v[2:3], v[6:7]
	v_pk_fma_f32 v[6:7], v[14:15], v[46:47], v[4:5] op_sel:[0,0,1] op_sel_hi:[1,1,0] neg_lo:[0,0,1] neg_hi:[0,0,1]
	v_pk_fma_f32 v[4:5], v[14:15], v[46:47], v[4:5] op_sel:[0,0,1] op_sel_hi:[1,0,0]
	v_mov_b32_e32 v7, v5
	v_pk_add_f32 v[2:3], v[2:3], v[6:7]
	v_pk_add_f32 v[2:3], v[34:35], v[2:3] neg_lo:[0,1] neg_hi:[0,1]
	buffer_store_dword v3, off, s[0:3], 0 offset:236
	buffer_store_dword v2, off, s[0:3], 0 offset:232
	s_and_saveexec_b64 s[4:5], vcc
	s_cbranch_execz .LBB52_275
; %bb.274:
	buffer_load_dword v2, off, s[0:3], 0 offset:224
	buffer_load_dword v3, off, s[0:3], 0 offset:228
	v_accvgpr_read_b32 v4, a48
	buffer_store_dword v1, off, s[0:3], 0 offset:224
	buffer_store_dword v1, off, s[0:3], 0 offset:228
	s_waitcnt vmcnt(2)
	ds_write_b64 v4, v[2:3]
.LBB52_275:
	s_or_b64 exec, exec, s[4:5]
	s_waitcnt lgkmcnt(0)
	; wave barrier
	s_waitcnt lgkmcnt(0)
	buffer_load_dword v50, off, s[0:3], 0 offset:236
	buffer_load_dword v52, off, s[0:3], 0 offset:244
	buffer_load_dword v54, off, s[0:3], 0 offset:252
	buffer_load_dword v58, off, s[0:3], 0 offset:260
	buffer_load_dword v59, off, s[0:3], 0 offset:268
	buffer_load_dword v60, off, s[0:3], 0 offset:276
	buffer_load_dword v61, off, s[0:3], 0 offset:284
	buffer_load_dword v62, off, s[0:3], 0 offset:292
	buffer_load_dword v63, off, s[0:3], 0 offset:300
	buffer_load_dword v64, off, s[0:3], 0 offset:308
	buffer_load_dword v65, off, s[0:3], 0 offset:316
	buffer_load_dword v66, off, s[0:3], 0 offset:324
	buffer_load_dword v67, off, s[0:3], 0 offset:332
	buffer_load_dword v68, off, s[0:3], 0 offset:340
	buffer_load_dword v69, off, s[0:3], 0 offset:232
	buffer_load_dword v70, off, s[0:3], 0 offset:240
	buffer_load_dword v71, off, s[0:3], 0 offset:248
	buffer_load_dword v72, off, s[0:3], 0 offset:256
	buffer_load_dword v73, off, s[0:3], 0 offset:264
	buffer_load_dword v74, off, s[0:3], 0 offset:272
	buffer_load_dword v75, off, s[0:3], 0 offset:280
	buffer_load_dword v76, off, s[0:3], 0 offset:288
	buffer_load_dword v77, off, s[0:3], 0 offset:296
	buffer_load_dword v78, off, s[0:3], 0 offset:304
	buffer_load_dword v79, off, s[0:3], 0 offset:312
	buffer_load_dword v80, off, s[0:3], 0 offset:320
	buffer_load_dword v81, off, s[0:3], 0 offset:328
	buffer_load_dword v82, off, s[0:3], 0 offset:336
	buffer_load_dword v83, off, s[0:3], 0 offset:348
	buffer_load_dword v84, off, s[0:3], 0 offset:344
	buffer_load_dword v85, off, s[0:3], 0 offset:356
	buffer_load_dword v86, off, s[0:3], 0 offset:352
	buffer_load_dword v34, off, s[0:3], 0 offset:224
	buffer_load_dword v35, off, s[0:3], 0 offset:228
	ds_read2_b64 v[2:5], v1 offset0:83 offset1:84
	ds_read2_b64 v[6:9], v1 offset0:85 offset1:86
	;; [unrolled: 1-line block ×8, first 2 shown]
	buffer_load_dword v37, off, s[0:3], 0 offset:380
	buffer_load_dword v36, off, s[0:3], 0 offset:376
	;; [unrolled: 1-line block ×9, first 2 shown]
	v_cmp_lt_u32_e32 vcc, 27, v0
	s_waitcnt vmcnt(42) lgkmcnt(7)
	v_mul_f32_e32 v42, v2, v50
	s_waitcnt vmcnt(41)
	v_mul_f32_e32 v46, v4, v52
	s_waitcnt vmcnt(40) lgkmcnt(6)
	v_mul_f32_e32 v47, v6, v54
	s_waitcnt vmcnt(39)
	v_mul_f32_e32 v48, v8, v58
	;; [unrolled: 4-line block ×7, first 2 shown]
	s_waitcnt vmcnt(28)
	v_fmac_f32_e32 v42, v3, v69
	s_waitcnt vmcnt(27)
	v_fmac_f32_e32 v46, v5, v70
	v_add_f32_e32 v42, 0, v42
	s_waitcnt vmcnt(26)
	v_fmac_f32_e32 v47, v7, v71
	v_add_f32_e32 v42, v42, v46
	;; [unrolled: 3-line block ×12, first 2 shown]
	v_add_f32_e32 v51, v42, v89
	buffer_load_dword v47, off, s[0:3], 0 offset:404
	buffer_load_dword v46, off, s[0:3], 0 offset:400
	;; [unrolled: 1-line block ×7, first 2 shown]
	v_mul_f32_e32 v3, v3, v50
	v_fma_f32 v2, v2, v69, -v3
	v_mul_f32_e32 v3, v5, v52
	v_add_f32_e32 v2, 0, v2
	v_fma_f32 v3, v4, v70, -v3
	v_add_f32_e32 v2, v2, v3
	v_mul_f32_e32 v3, v7, v54
	v_fma_f32 v3, v6, v71, -v3
	v_add_f32_e32 v2, v2, v3
	v_mul_f32_e32 v3, v9, v58
	;; [unrolled: 3-line block ×12, first 2 shown]
	s_waitcnt vmcnt(22)
	v_fma_f32 v3, v28, v82, -v3
	v_add_f32_e32 v50, v2, v3
	s_waitcnt vmcnt(21) lgkmcnt(0)
	v_mul_f32_e32 v2, v31, v83
	s_waitcnt vmcnt(20)
	v_fma_f32 v52, v30, v84, -v2
	s_waitcnt vmcnt(19)
	v_mul_f32_e32 v2, v33, v85
	s_waitcnt vmcnt(18)
	v_fma_f32 v54, v32, v86, -v2
	ds_read2_b64 v[2:5], v1 offset0:99 offset1:100
	ds_read2_b64 v[6:9], v1 offset0:101 offset1:102
	;; [unrolled: 1-line block ×4, first 2 shown]
	v_fmac_f32_e32 v90, v29, v82
	v_mul_f32_e32 v53, v30, v83
	s_waitcnt vmcnt(11)
	v_mov_b32_e32 v20, v41
	v_add_f32_e32 v51, v51, v90
	v_fmac_f32_e32 v53, v31, v84
	v_mul_f32_e32 v55, v32, v85
	s_waitcnt lgkmcnt(3)
	v_pk_mul_f32 v[20:21], v[2:3], v[20:21] op_sel_hi:[1,0]
	v_fmac_f32_e32 v55, v33, v86
	v_pk_add_f32 v[18:19], v[50:51], v[52:53]
	s_waitcnt vmcnt(10)
	v_pk_fma_f32 v[22:23], v[2:3], v[40:41], v[20:21] op_sel:[0,0,1] op_sel_hi:[1,1,0] neg_lo:[0,0,1] neg_hi:[0,0,1]
	v_pk_fma_f32 v[2:3], v[2:3], v[40:41], v[20:21] op_sel:[0,0,1] op_sel_hi:[1,0,0]
	v_pk_add_f32 v[18:19], v[18:19], v[54:55]
	v_mov_b32_e32 v23, v3
	v_pk_add_f32 v[2:3], v[18:19], v[22:23]
	v_mov_b32_e32 v18, v39
	v_pk_mul_f32 v[18:19], v[4:5], v[18:19] op_sel_hi:[1,0]
	v_pk_fma_f32 v[20:21], v[4:5], v[38:39], v[18:19] op_sel:[0,0,1] op_sel_hi:[1,1,0] neg_lo:[0,0,1] neg_hi:[0,0,1]
	v_pk_fma_f32 v[4:5], v[4:5], v[38:39], v[18:19] op_sel:[0,0,1] op_sel_hi:[1,0,0]
	v_mov_b32_e32 v4, v37
	v_mov_b32_e32 v21, v5
	s_waitcnt lgkmcnt(2)
	v_pk_mul_f32 v[4:5], v[6:7], v[4:5] op_sel_hi:[1,0]
	v_pk_fma_f32 v[18:19], v[6:7], v[36:37], v[4:5] op_sel:[0,0,1] op_sel_hi:[1,1,0] neg_lo:[0,0,1] neg_hi:[0,0,1]
	v_pk_fma_f32 v[4:5], v[6:7], v[36:37], v[4:5] op_sel:[0,0,1] op_sel_hi:[1,0,0]
	s_waitcnt vmcnt(9)
	v_mov_b32_e32 v4, v43
	v_mov_b32_e32 v19, v5
	v_pk_mul_f32 v[4:5], v[8:9], v[4:5] op_sel_hi:[1,0]
	v_pk_add_f32 v[2:3], v[2:3], v[20:21]
	v_pk_add_f32 v[2:3], v[2:3], v[18:19]
	s_waitcnt vmcnt(2)
	v_pk_fma_f32 v[6:7], v[8:9], v[42:43], v[4:5] op_sel:[0,0,1] op_sel_hi:[1,1,0] neg_lo:[0,0,1] neg_hi:[0,0,1]
	v_pk_fma_f32 v[4:5], v[8:9], v[42:43], v[4:5] op_sel:[0,0,1] op_sel_hi:[1,0,0]
	v_mov_b32_e32 v4, v49
	v_mov_b32_e32 v7, v5
	s_waitcnt lgkmcnt(1)
	v_pk_mul_f32 v[4:5], v[10:11], v[4:5] op_sel_hi:[1,0]
	v_pk_add_f32 v[2:3], v[2:3], v[6:7]
	v_pk_fma_f32 v[6:7], v[10:11], v[48:49], v[4:5] op_sel:[0,0,1] op_sel_hi:[1,1,0] neg_lo:[0,0,1] neg_hi:[0,0,1]
	v_pk_fma_f32 v[4:5], v[10:11], v[48:49], v[4:5] op_sel:[0,0,1] op_sel_hi:[1,0,0]
	v_mov_b32_e32 v4, v47
	v_mov_b32_e32 v7, v5
	v_pk_mul_f32 v[4:5], v[12:13], v[4:5] op_sel_hi:[1,0]
	v_pk_add_f32 v[2:3], v[2:3], v[6:7]
	v_pk_fma_f32 v[6:7], v[12:13], v[46:47], v[4:5] op_sel:[0,0,1] op_sel_hi:[1,1,0] neg_lo:[0,0,1] neg_hi:[0,0,1]
	v_pk_fma_f32 v[4:5], v[12:13], v[46:47], v[4:5] op_sel:[0,0,1] op_sel_hi:[1,0,0]
	v_mov_b32_e32 v4, v45
	v_mov_b32_e32 v7, v5
	s_waitcnt lgkmcnt(0)
	v_pk_mul_f32 v[4:5], v[14:15], v[4:5] op_sel_hi:[1,0]
	v_pk_add_f32 v[2:3], v[2:3], v[6:7]
	v_pk_fma_f32 v[6:7], v[14:15], v[44:45], v[4:5] op_sel:[0,0,1] op_sel_hi:[1,1,0] neg_lo:[0,0,1] neg_hi:[0,0,1]
	v_pk_fma_f32 v[4:5], v[14:15], v[44:45], v[4:5] op_sel:[0,0,1] op_sel_hi:[1,0,0]
	s_waitcnt vmcnt(1)
	v_mov_b32_e32 v4, v57
	v_mov_b32_e32 v7, v5
	v_pk_mul_f32 v[4:5], v[16:17], v[4:5] op_sel_hi:[1,0]
	v_pk_add_f32 v[2:3], v[2:3], v[6:7]
	s_waitcnt vmcnt(0)
	v_pk_fma_f32 v[6:7], v[16:17], v[56:57], v[4:5] op_sel:[0,0,1] op_sel_hi:[1,1,0] neg_lo:[0,0,1] neg_hi:[0,0,1]
	v_pk_fma_f32 v[4:5], v[16:17], v[56:57], v[4:5] op_sel:[0,0,1] op_sel_hi:[1,0,0]
	v_mov_b32_e32 v7, v5
	v_pk_add_f32 v[2:3], v[2:3], v[6:7]
	v_pk_add_f32 v[2:3], v[34:35], v[2:3] neg_lo:[0,1] neg_hi:[0,1]
	buffer_store_dword v3, off, s[0:3], 0 offset:228
	buffer_store_dword v2, off, s[0:3], 0 offset:224
	s_and_saveexec_b64 s[4:5], vcc
	s_cbranch_execz .LBB52_277
; %bb.276:
	buffer_load_dword v2, off, s[0:3], 0 offset:216
	buffer_load_dword v3, off, s[0:3], 0 offset:220
	v_mov_b32_e32 v1, 0
	v_accvgpr_read_b32 v4, a48
	buffer_store_dword v1, off, s[0:3], 0 offset:216
	buffer_store_dword v1, off, s[0:3], 0 offset:220
	s_waitcnt vmcnt(2)
	ds_write_b64 v4, v[2:3]
.LBB52_277:
	s_or_b64 exec, exec, s[4:5]
	s_waitcnt lgkmcnt(0)
	; wave barrier
	s_waitcnt lgkmcnt(0)
	buffer_load_dword v56, off, s[0:3], 0 offset:228
	buffer_load_dword v58, off, s[0:3], 0 offset:236
	;; [unrolled: 1-line block ×36, first 2 shown]
	v_mov_b32_e32 v1, 0
	buffer_load_dword v45, off, s[0:3], 0 offset:372
	buffer_load_dword v44, off, s[0:3], 0 offset:368
	;; [unrolled: 1-line block ×5, first 2 shown]
	ds_read_b128 v[4:7], v1 offset:656
	ds_read_b128 v[8:11], v1 offset:672
	ds_read_b128 v[12:15], v1 offset:688
	ds_read_b128 v[16:19], v1 offset:704
	ds_read_b128 v[20:23], v1 offset:720
	ds_read_b128 v[24:27], v1 offset:736
	ds_read_b128 v[28:31], v1 offset:752
	ds_read_b128 v[32:35], v1 offset:768
	v_cmp_lt_u32_e32 vcc, 26, v0
	s_waitcnt vmcnt(40) lgkmcnt(7)
	v_mul_f32_e32 v36, v4, v56
	s_waitcnt vmcnt(39)
	v_mul_f32_e32 v37, v6, v58
	s_waitcnt vmcnt(38) lgkmcnt(6)
	v_mul_f32_e32 v38, v8, v60
	s_waitcnt vmcnt(37)
	v_mul_f32_e32 v39, v10, v66
	;; [unrolled: 4-line block ×7, first 2 shown]
	s_waitcnt vmcnt(26) lgkmcnt(0)
	v_mul_f32_e32 v57, v32, v77
	s_waitcnt vmcnt(25)
	v_fmac_f32_e32 v36, v5, v78
	s_waitcnt vmcnt(24)
	v_fmac_f32_e32 v37, v7, v79
	v_add_f32_e32 v36, 0, v36
	s_waitcnt vmcnt(23)
	v_fmac_f32_e32 v38, v9, v80
	v_add_f32_e32 v36, v36, v37
	;; [unrolled: 3-line block ×13, first 2 shown]
	v_add_f32_e32 v40, v36, v54
	buffer_load_dword v51, off, s[0:3], 0 offset:404
	buffer_load_dword v50, off, s[0:3], 0 offset:400
	;; [unrolled: 1-line block ×7, first 2 shown]
	s_waitcnt vmcnt(18)
	v_fmac_f32_e32 v57, v33, v92
	ds_read_b128 v[36:39], v1 offset:784
	v_add_f32_e32 v57, v40, v57
	ds_read_b128 v[40:43], v1 offset:800
	buffer_load_dword v63, off, s[0:3], 0 offset:420
	buffer_load_dword v62, off, s[0:3], 0 offset:416
	;; [unrolled: 1-line block ×4, first 2 shown]
	v_mul_f32_e32 v5, v5, v56
	v_fma_f32 v4, v4, v78, -v5
	v_mul_f32_e32 v5, v7, v58
	v_add_f32_e32 v4, 0, v4
	v_fma_f32 v5, v6, v79, -v5
	v_add_f32_e32 v4, v4, v5
	v_mul_f32_e32 v5, v9, v60
	v_fma_f32 v5, v8, v80, -v5
	v_add_f32_e32 v4, v4, v5
	v_mul_f32_e32 v5, v11, v66
	;; [unrolled: 3-line block ×13, first 2 shown]
	v_fma_f32 v5, v32, v92, -v5
	s_waitcnt vmcnt(13)
	v_mov_b32_e32 v16, v47
	v_mul_f32_e32 v59, v34, v93
	v_add_f32_e32 v56, v4, v5
	v_mul_f32_e32 v4, v35, v93
	s_waitcnt lgkmcnt(1)
	v_pk_mul_f32 v[16:17], v[38:39], v[16:17] op_sel_hi:[1,0]
	v_fmac_f32_e32 v59, v35, v94
	v_mul_f32_e32 v61, v36, v95
	v_fma_f32 v58, v34, v94, -v4
	v_mul_f32_e32 v4, v37, v95
	s_waitcnt vmcnt(12)
	v_pk_fma_f32 v[18:19], v[38:39], v[46:47], v[16:17] op_sel:[0,0,1] op_sel_hi:[1,1,0] neg_lo:[0,0,1] neg_hi:[0,0,1]
	v_pk_fma_f32 v[16:17], v[38:39], v[46:47], v[16:17] op_sel:[0,0,1] op_sel_hi:[1,0,0]
	v_fmac_f32_e32 v61, v37, v96
	v_fma_f32 v60, v36, v96, -v4
	v_pk_add_f32 v[14:15], v[56:57], v[58:59]
	v_mov_b32_e32 v16, v45
	v_pk_add_f32 v[14:15], v[14:15], v[60:61]
	v_mov_b32_e32 v19, v17
	s_waitcnt lgkmcnt(0)
	v_pk_mul_f32 v[16:17], v[40:41], v[16:17] op_sel_hi:[1,0]
	v_pk_add_f32 v[14:15], v[14:15], v[18:19]
	v_pk_fma_f32 v[18:19], v[40:41], v[44:45], v[16:17] op_sel:[0,0,1] op_sel_hi:[1,1,0] neg_lo:[0,0,1] neg_hi:[0,0,1]
	v_pk_fma_f32 v[16:17], v[40:41], v[44:45], v[16:17] op_sel:[0,0,1] op_sel_hi:[1,0,0]
	s_waitcnt vmcnt(11)
	v_mov_b32_e32 v16, v49
	ds_read_b128 v[4:7], v1 offset:816
	ds_read_b128 v[8:11], v1 offset:832
	ds_read_b64 v[12:13], v1 offset:848
	v_mov_b32_e32 v19, v17
	v_pk_mul_f32 v[16:17], v[42:43], v[16:17] op_sel_hi:[1,0]
	v_pk_add_f32 v[14:15], v[14:15], v[18:19]
	s_waitcnt vmcnt(4)
	v_pk_fma_f32 v[18:19], v[42:43], v[48:49], v[16:17] op_sel:[0,0,1] op_sel_hi:[1,1,0] neg_lo:[0,0,1] neg_hi:[0,0,1]
	v_pk_fma_f32 v[16:17], v[42:43], v[48:49], v[16:17] op_sel:[0,0,1] op_sel_hi:[1,0,0]
	v_mov_b32_e32 v16, v55
	v_mov_b32_e32 v19, v17
	s_waitcnt lgkmcnt(2)
	v_pk_mul_f32 v[16:17], v[4:5], v[16:17] op_sel_hi:[1,0]
	v_pk_add_f32 v[14:15], v[14:15], v[18:19]
	v_pk_fma_f32 v[18:19], v[4:5], v[54:55], v[16:17] op_sel:[0,0,1] op_sel_hi:[1,1,0] neg_lo:[0,0,1] neg_hi:[0,0,1]
	v_pk_fma_f32 v[4:5], v[4:5], v[54:55], v[16:17] op_sel:[0,0,1] op_sel_hi:[1,0,0]
	v_mov_b32_e32 v19, v5
	v_pk_add_f32 v[4:5], v[14:15], v[18:19]
	v_mov_b32_e32 v14, v53
	v_pk_mul_f32 v[14:15], v[6:7], v[14:15] op_sel_hi:[1,0]
	v_pk_fma_f32 v[16:17], v[6:7], v[52:53], v[14:15] op_sel:[0,0,1] op_sel_hi:[1,1,0] neg_lo:[0,0,1] neg_hi:[0,0,1]
	v_pk_fma_f32 v[6:7], v[6:7], v[52:53], v[14:15] op_sel:[0,0,1] op_sel_hi:[1,0,0]
	v_mov_b32_e32 v6, v51
	v_mov_b32_e32 v17, v7
	s_waitcnt lgkmcnt(1)
	v_pk_mul_f32 v[6:7], v[8:9], v[6:7] op_sel_hi:[1,0]
	v_pk_fma_f32 v[14:15], v[8:9], v[50:51], v[6:7] op_sel:[0,0,1] op_sel_hi:[1,1,0] neg_lo:[0,0,1] neg_hi:[0,0,1]
	v_pk_fma_f32 v[6:7], v[8:9], v[50:51], v[6:7] op_sel:[0,0,1] op_sel_hi:[1,0,0]
	s_waitcnt vmcnt(1)
	v_mov_b32_e32 v6, v65
	v_mov_b32_e32 v15, v7
	v_pk_mul_f32 v[6:7], v[10:11], v[6:7] op_sel_hi:[1,0]
	s_waitcnt vmcnt(0)
	v_pk_fma_f32 v[8:9], v[10:11], v[64:65], v[6:7] op_sel:[0,0,1] op_sel_hi:[1,1,0] neg_lo:[0,0,1] neg_hi:[0,0,1]
	v_pk_fma_f32 v[6:7], v[10:11], v[64:65], v[6:7] op_sel:[0,0,1] op_sel_hi:[1,0,0]
	v_pk_add_f32 v[4:5], v[4:5], v[16:17]
	v_mov_b32_e32 v6, v63
	v_pk_add_f32 v[4:5], v[4:5], v[14:15]
	v_mov_b32_e32 v9, v7
	s_waitcnt lgkmcnt(0)
	v_pk_mul_f32 v[6:7], v[12:13], v[6:7] op_sel_hi:[1,0]
	v_pk_add_f32 v[4:5], v[4:5], v[8:9]
	v_pk_fma_f32 v[8:9], v[12:13], v[62:63], v[6:7] op_sel:[0,0,1] op_sel_hi:[1,1,0] neg_lo:[0,0,1] neg_hi:[0,0,1]
	v_pk_fma_f32 v[6:7], v[12:13], v[62:63], v[6:7] op_sel:[0,0,1] op_sel_hi:[1,0,0]
	v_mov_b32_e32 v9, v7
	v_pk_add_f32 v[4:5], v[4:5], v[8:9]
	v_pk_add_f32 v[2:3], v[2:3], v[4:5] neg_lo:[0,1] neg_hi:[0,1]
	buffer_store_dword v3, off, s[0:3], 0 offset:220
	buffer_store_dword v2, off, s[0:3], 0 offset:216
	s_and_saveexec_b64 s[4:5], vcc
	s_cbranch_execz .LBB52_279
; %bb.278:
	buffer_load_dword v2, off, s[0:3], 0 offset:208
	buffer_load_dword v3, off, s[0:3], 0 offset:212
	v_accvgpr_read_b32 v4, a48
	buffer_store_dword v1, off, s[0:3], 0 offset:208
	buffer_store_dword v1, off, s[0:3], 0 offset:212
	s_waitcnt vmcnt(2)
	ds_write_b64 v4, v[2:3]
.LBB52_279:
	s_or_b64 exec, exec, s[4:5]
	s_waitcnt lgkmcnt(0)
	; wave barrier
	s_waitcnt lgkmcnt(0)
	buffer_load_dword v54, off, s[0:3], 0 offset:220
	buffer_load_dword v56, off, s[0:3], 0 offset:228
	;; [unrolled: 1-line block ×38, first 2 shown]
	ds_read2_b64 v[2:5], v1 offset0:81 offset1:82
	ds_read2_b64 v[6:9], v1 offset0:83 offset1:84
	ds_read2_b64 v[10:13], v1 offset0:85 offset1:86
	ds_read2_b64 v[14:17], v1 offset0:87 offset1:88
	ds_read2_b64 v[18:21], v1 offset0:89 offset1:90
	ds_read2_b64 v[22:25], v1 offset0:91 offset1:92
	ds_read2_b64 v[26:29], v1 offset0:93 offset1:94
	ds_read2_b64 v[30:33], v1 offset0:95 offset1:96
	buffer_load_dword v45, off, s[0:3], 0 offset:364
	buffer_load_dword v44, off, s[0:3], 0 offset:360
	;; [unrolled: 1-line block ×4, first 2 shown]
	v_cmp_lt_u32_e32 vcc, 25, v0
	s_waitcnt vmcnt(41) lgkmcnt(7)
	v_mul_f32_e32 v34, v2, v54
	s_waitcnt vmcnt(40)
	v_mul_f32_e32 v35, v4, v56
	s_waitcnt vmcnt(39) lgkmcnt(6)
	v_mul_f32_e32 v36, v6, v58
	s_waitcnt vmcnt(38)
	v_mul_f32_e32 v37, v8, v66
	;; [unrolled: 4-line block ×7, first 2 shown]
	s_waitcnt vmcnt(27) lgkmcnt(0)
	v_mul_f32_e32 v55, v30, v77
	s_waitcnt vmcnt(26)
	v_fmac_f32_e32 v34, v3, v78
	s_waitcnt vmcnt(25)
	v_fmac_f32_e32 v35, v5, v79
	v_add_f32_e32 v34, 0, v34
	s_waitcnt vmcnt(24)
	v_fmac_f32_e32 v36, v7, v80
	v_add_f32_e32 v34, v34, v35
	;; [unrolled: 3-line block ×13, first 2 shown]
	v_add_f32_e32 v34, v34, v53
	buffer_load_dword v49, off, s[0:3], 0 offset:388
	buffer_load_dword v48, off, s[0:3], 0 offset:384
	;; [unrolled: 1-line block ×6, first 2 shown]
	s_waitcnt vmcnt(18)
	v_fmac_f32_e32 v55, v31, v92
	s_waitcnt vmcnt(17)
	v_mul_f32_e32 v39, v32, v93
	v_add_f32_e32 v38, v34, v55
	s_waitcnt vmcnt(16)
	v_fmac_f32_e32 v39, v33, v94
	ds_read2_b64 v[34:37], v1 offset0:97 offset1:98
	v_add_f32_e32 v55, v38, v39
	ds_read2_b64 v[38:41], v1 offset0:99 offset1:100
	buffer_load_dword v61, off, s[0:3], 0 offset:420
	buffer_load_dword v60, off, s[0:3], 0 offset:416
	;; [unrolled: 1-line block ×6, first 2 shown]
	v_mul_f32_e32 v3, v3, v54
	v_fma_f32 v2, v2, v78, -v3
	v_mul_f32_e32 v3, v5, v56
	v_add_f32_e32 v2, 0, v2
	v_fma_f32 v3, v4, v79, -v3
	v_add_f32_e32 v2, v2, v3
	v_mul_f32_e32 v3, v7, v58
	v_fma_f32 v3, v6, v80, -v3
	v_add_f32_e32 v2, v2, v3
	v_mul_f32_e32 v3, v9, v66
	;; [unrolled: 3-line block ×14, first 2 shown]
	v_fma_f32 v3, v32, v94, -v3
	s_waitcnt vmcnt(15)
	v_mov_b32_e32 v16, v45
	s_waitcnt lgkmcnt(1)
	v_mul_f32_e32 v57, v34, v95
	v_add_f32_e32 v54, v2, v3
	v_mul_f32_e32 v2, v35, v95
	s_waitcnt lgkmcnt(0)
	v_pk_mul_f32 v[16:17], v[38:39], v[16:17] op_sel_hi:[1,0]
	v_fmac_f32_e32 v57, v35, v96
	v_mul_f32_e32 v59, v36, v97
	v_fma_f32 v56, v34, v96, -v2
	v_mul_f32_e32 v2, v37, v97
	s_waitcnt vmcnt(14)
	v_pk_fma_f32 v[18:19], v[38:39], v[44:45], v[16:17] op_sel:[0,0,1] op_sel_hi:[1,1,0] neg_lo:[0,0,1] neg_hi:[0,0,1]
	v_pk_fma_f32 v[16:17], v[38:39], v[44:45], v[16:17] op_sel:[0,0,1] op_sel_hi:[1,0,0]
	v_fmac_f32_e32 v59, v37, v98
	v_fma_f32 v58, v36, v98, -v2
	v_pk_add_f32 v[14:15], v[54:55], v[56:57]
	ds_read2_b64 v[2:5], v1 offset0:101 offset1:102
	ds_read2_b64 v[6:9], v1 offset0:103 offset1:104
	ds_read2_b64 v[10:13], v1 offset0:105 offset1:106
	v_pk_add_f32 v[14:15], v[14:15], v[58:59]
	v_mov_b32_e32 v19, v17
	v_pk_add_f32 v[14:15], v[14:15], v[18:19]
	s_waitcnt vmcnt(7)
	v_mov_b32_e32 v16, v53
	v_pk_mul_f32 v[16:17], v[40:41], v[16:17] op_sel_hi:[1,0]
	s_waitcnt vmcnt(6)
	v_pk_fma_f32 v[18:19], v[40:41], v[52:53], v[16:17] op_sel:[0,0,1] op_sel_hi:[1,1,0] neg_lo:[0,0,1] neg_hi:[0,0,1]
	v_pk_fma_f32 v[16:17], v[40:41], v[52:53], v[16:17] op_sel:[0,0,1] op_sel_hi:[1,0,0]
	v_mov_b32_e32 v16, v51
	v_mov_b32_e32 v19, v17
	s_waitcnt lgkmcnt(2)
	v_pk_mul_f32 v[16:17], v[2:3], v[16:17] op_sel_hi:[1,0]
	v_pk_add_f32 v[14:15], v[14:15], v[18:19]
	v_pk_fma_f32 v[18:19], v[2:3], v[50:51], v[16:17] op_sel:[0,0,1] op_sel_hi:[1,1,0] neg_lo:[0,0,1] neg_hi:[0,0,1]
	v_pk_fma_f32 v[2:3], v[2:3], v[50:51], v[16:17] op_sel:[0,0,1] op_sel_hi:[1,0,0]
	v_mov_b32_e32 v19, v3
	v_pk_add_f32 v[2:3], v[14:15], v[18:19]
	v_mov_b32_e32 v14, v49
	v_pk_mul_f32 v[14:15], v[4:5], v[14:15] op_sel_hi:[1,0]
	v_pk_fma_f32 v[16:17], v[4:5], v[48:49], v[14:15] op_sel:[0,0,1] op_sel_hi:[1,1,0] neg_lo:[0,0,1] neg_hi:[0,0,1]
	v_pk_fma_f32 v[4:5], v[4:5], v[48:49], v[14:15] op_sel:[0,0,1] op_sel_hi:[1,0,0]
	v_mov_b32_e32 v4, v47
	v_mov_b32_e32 v17, v5
	s_waitcnt lgkmcnt(1)
	v_pk_mul_f32 v[4:5], v[6:7], v[4:5] op_sel_hi:[1,0]
	v_pk_fma_f32 v[14:15], v[6:7], v[46:47], v[4:5] op_sel:[0,0,1] op_sel_hi:[1,1,0] neg_lo:[0,0,1] neg_hi:[0,0,1]
	v_pk_fma_f32 v[4:5], v[6:7], v[46:47], v[4:5] op_sel:[0,0,1] op_sel_hi:[1,0,0]
	s_waitcnt vmcnt(1)
	v_mov_b32_e32 v4, v65
	v_mov_b32_e32 v15, v5
	v_pk_mul_f32 v[4:5], v[8:9], v[4:5] op_sel_hi:[1,0]
	s_waitcnt vmcnt(0)
	v_pk_fma_f32 v[6:7], v[8:9], v[64:65], v[4:5] op_sel:[0,0,1] op_sel_hi:[1,1,0] neg_lo:[0,0,1] neg_hi:[0,0,1]
	v_pk_fma_f32 v[4:5], v[8:9], v[64:65], v[4:5] op_sel:[0,0,1] op_sel_hi:[1,0,0]
	v_pk_add_f32 v[2:3], v[2:3], v[16:17]
	v_mov_b32_e32 v4, v63
	v_pk_add_f32 v[2:3], v[2:3], v[14:15]
	v_mov_b32_e32 v7, v5
	s_waitcnt lgkmcnt(0)
	v_pk_mul_f32 v[4:5], v[10:11], v[4:5] op_sel_hi:[1,0]
	v_pk_add_f32 v[2:3], v[2:3], v[6:7]
	v_pk_fma_f32 v[6:7], v[10:11], v[62:63], v[4:5] op_sel:[0,0,1] op_sel_hi:[1,1,0] neg_lo:[0,0,1] neg_hi:[0,0,1]
	v_pk_fma_f32 v[4:5], v[10:11], v[62:63], v[4:5] op_sel:[0,0,1] op_sel_hi:[1,0,0]
	v_mov_b32_e32 v4, v61
	v_mov_b32_e32 v7, v5
	v_pk_mul_f32 v[4:5], v[12:13], v[4:5] op_sel_hi:[1,0]
	v_pk_add_f32 v[2:3], v[2:3], v[6:7]
	v_pk_fma_f32 v[6:7], v[12:13], v[60:61], v[4:5] op_sel:[0,0,1] op_sel_hi:[1,1,0] neg_lo:[0,0,1] neg_hi:[0,0,1]
	v_pk_fma_f32 v[4:5], v[12:13], v[60:61], v[4:5] op_sel:[0,0,1] op_sel_hi:[1,0,0]
	v_mov_b32_e32 v7, v5
	v_pk_add_f32 v[2:3], v[2:3], v[6:7]
	v_pk_add_f32 v[2:3], v[42:43], v[2:3] neg_lo:[0,1] neg_hi:[0,1]
	buffer_store_dword v3, off, s[0:3], 0 offset:212
	buffer_store_dword v2, off, s[0:3], 0 offset:208
	s_and_saveexec_b64 s[4:5], vcc
	s_cbranch_execz .LBB52_281
; %bb.280:
	buffer_load_dword v2, off, s[0:3], 0 offset:200
	buffer_load_dword v3, off, s[0:3], 0 offset:204
	v_mov_b32_e32 v1, 0
	v_accvgpr_read_b32 v4, a48
	buffer_store_dword v1, off, s[0:3], 0 offset:200
	buffer_store_dword v1, off, s[0:3], 0 offset:204
	s_waitcnt vmcnt(2)
	ds_write_b64 v4, v[2:3]
.LBB52_281:
	s_or_b64 exec, exec, s[4:5]
	s_waitcnt lgkmcnt(0)
	; wave barrier
	s_waitcnt lgkmcnt(0)
	buffer_load_dword v52, off, s[0:3], 0 offset:212
	buffer_load_dword v54, off, s[0:3], 0 offset:220
	;; [unrolled: 1-line block ×40, first 2 shown]
	v_mov_b32_e32 v1, 0
	ds_read_b128 v[4:7], v1 offset:640
	ds_read_b128 v[8:11], v1 offset:656
	;; [unrolled: 1-line block ×8, first 2 shown]
	v_cmp_lt_u32_e32 vcc, 24, v0
	s_waitcnt vmcnt(39) lgkmcnt(7)
	v_mul_f32_e32 v36, v4, v52
	s_waitcnt vmcnt(38)
	v_mul_f32_e32 v37, v6, v54
	s_waitcnt vmcnt(37) lgkmcnt(6)
	v_mul_f32_e32 v38, v8, v56
	s_waitcnt vmcnt(36)
	v_mul_f32_e32 v39, v10, v66
	s_waitcnt vmcnt(35) lgkmcnt(5)
	v_mul_f32_e32 v40, v12, v67
	s_waitcnt vmcnt(34)
	v_mul_f32_e32 v41, v14, v68
	s_waitcnt vmcnt(33) lgkmcnt(4)
	v_mul_f32_e32 v42, v16, v69
	s_waitcnt vmcnt(32)
	v_mul_f32_e32 v43, v18, v70
	s_waitcnt vmcnt(31) lgkmcnt(3)
	v_mul_f32_e32 v44, v20, v71
	s_waitcnt vmcnt(30)
	v_mul_f32_e32 v45, v22, v72
	s_waitcnt vmcnt(29) lgkmcnt(2)
	v_mul_f32_e32 v46, v24, v73
	s_waitcnt vmcnt(28)
	v_mul_f32_e32 v47, v26, v74
	s_waitcnt vmcnt(27) lgkmcnt(1)
	v_mul_f32_e32 v48, v28, v75
	s_waitcnt vmcnt(26)
	v_mul_f32_e32 v49, v30, v76
	s_waitcnt vmcnt(25) lgkmcnt(0)
	v_mul_f32_e32 v50, v32, v77
	s_waitcnt vmcnt(24)
	v_mul_f32_e32 v51, v34, v78
	s_waitcnt vmcnt(23)
	v_fmac_f32_e32 v36, v5, v79
	s_waitcnt vmcnt(22)
	v_fmac_f32_e32 v37, v7, v80
	v_add_f32_e32 v36, 0, v36
	s_waitcnt vmcnt(21)
	v_fmac_f32_e32 v38, v9, v81
	v_add_f32_e32 v36, v36, v37
	;; [unrolled: 3-line block ×14, first 2 shown]
	v_add_f32_e32 v36, v36, v50
	s_waitcnt vmcnt(8)
	v_fmac_f32_e32 v51, v35, v94
	v_add_f32_e32 v53, v36, v51
	ds_read_b128 v[36:39], v1 offset:768
	buffer_load_dword v45, off, s[0:3], 0 offset:364
	buffer_load_dword v47, off, s[0:3], 0 offset:388
	;; [unrolled: 1-line block ×8, first 2 shown]
	ds_read_b128 v[40:43], v1 offset:784
	buffer_load_dword v59, off, s[0:3], 0 offset:420
	buffer_load_dword v58, off, s[0:3], 0 offset:416
	;; [unrolled: 1-line block ×8, first 2 shown]
	v_mul_f32_e32 v5, v5, v52
	v_fma_f32 v4, v4, v79, -v5
	v_mul_f32_e32 v5, v7, v54
	v_add_f32_e32 v4, 0, v4
	v_fma_f32 v5, v6, v80, -v5
	v_add_f32_e32 v4, v4, v5
	v_mul_f32_e32 v5, v9, v56
	v_fma_f32 v5, v8, v81, -v5
	v_add_f32_e32 v4, v4, v5
	v_mul_f32_e32 v5, v11, v66
	;; [unrolled: 3-line block ×14, first 2 shown]
	v_fma_f32 v5, v34, v94, -v5
	v_add_f32_e32 v4, v4, v5
	s_waitcnt vmcnt(23) lgkmcnt(1)
	v_mul_f32_e32 v5, v37, v95
	v_mul_f32_e32 v55, v36, v95
	s_waitcnt vmcnt(22)
	v_fma_f32 v5, v36, v96, -v5
	v_fmac_f32_e32 v55, v37, v96
	v_add_f32_e32 v52, v4, v5
	s_waitcnt vmcnt(21)
	v_mul_f32_e32 v4, v39, v97
	v_add_f32_e32 v53, v53, v55
	v_mul_f32_e32 v55, v38, v97
	s_waitcnt vmcnt(20)
	v_fma_f32 v54, v38, v98, -v4
	s_waitcnt vmcnt(19) lgkmcnt(0)
	v_mul_f32_e32 v4, v41, v99
	v_fmac_f32_e32 v55, v39, v98
	v_mul_f32_e32 v57, v40, v99
	s_waitcnt vmcnt(18)
	v_fma_f32 v56, v40, v100, -v4
	ds_read_b128 v[4:7], v1 offset:800
	ds_read_b128 v[8:11], v1 offset:816
	;; [unrolled: 1-line block ×3, first 2 shown]
	ds_read_b64 v[16:17], v1 offset:848
	v_fmac_f32_e32 v57, v41, v100
	v_pk_add_f32 v[18:19], v[52:53], v[54:55]
	v_pk_add_f32 v[18:19], v[18:19], v[56:57]
	s_waitcnt vmcnt(15)
	v_mov_b32_e32 v20, v45
	v_pk_mul_f32 v[20:21], v[42:43], v[20:21] op_sel_hi:[1,0]
	s_waitcnt vmcnt(8)
	v_pk_fma_f32 v[22:23], v[42:43], v[44:45], v[20:21] op_sel:[0,0,1] op_sel_hi:[1,1,0] neg_lo:[0,0,1] neg_hi:[0,0,1]
	v_pk_fma_f32 v[20:21], v[42:43], v[44:45], v[20:21] op_sel:[0,0,1] op_sel_hi:[1,0,0]
	v_mov_b32_e32 v20, v51
	v_mov_b32_e32 v23, v21
	s_waitcnt lgkmcnt(3)
	v_pk_mul_f32 v[20:21], v[4:5], v[20:21] op_sel_hi:[1,0]
	v_pk_add_f32 v[18:19], v[18:19], v[22:23]
	v_pk_fma_f32 v[22:23], v[4:5], v[50:51], v[20:21] op_sel:[0,0,1] op_sel_hi:[1,1,0] neg_lo:[0,0,1] neg_hi:[0,0,1]
	v_pk_fma_f32 v[4:5], v[4:5], v[50:51], v[20:21] op_sel:[0,0,1] op_sel_hi:[1,0,0]
	v_mov_b32_e32 v23, v5
	v_pk_add_f32 v[4:5], v[18:19], v[22:23]
	v_mov_b32_e32 v18, v49
	v_pk_mul_f32 v[18:19], v[6:7], v[18:19] op_sel_hi:[1,0]
	v_pk_fma_f32 v[20:21], v[6:7], v[48:49], v[18:19] op_sel:[0,0,1] op_sel_hi:[1,1,0] neg_lo:[0,0,1] neg_hi:[0,0,1]
	v_pk_fma_f32 v[6:7], v[6:7], v[48:49], v[18:19] op_sel:[0,0,1] op_sel_hi:[1,0,0]
	v_mov_b32_e32 v6, v47
	v_mov_b32_e32 v21, v7
	s_waitcnt lgkmcnt(2)
	v_pk_mul_f32 v[6:7], v[8:9], v[6:7] op_sel_hi:[1,0]
	v_pk_fma_f32 v[18:19], v[8:9], v[46:47], v[6:7] op_sel:[0,0,1] op_sel_hi:[1,1,0] neg_lo:[0,0,1] neg_hi:[0,0,1]
	v_pk_fma_f32 v[6:7], v[8:9], v[46:47], v[6:7] op_sel:[0,0,1] op_sel_hi:[1,0,0]
	s_waitcnt vmcnt(1)
	v_mov_b32_e32 v6, v65
	v_mov_b32_e32 v19, v7
	v_pk_mul_f32 v[6:7], v[10:11], v[6:7] op_sel_hi:[1,0]
	s_waitcnt vmcnt(0)
	v_pk_fma_f32 v[8:9], v[10:11], v[64:65], v[6:7] op_sel:[0,0,1] op_sel_hi:[1,1,0] neg_lo:[0,0,1] neg_hi:[0,0,1]
	v_pk_fma_f32 v[6:7], v[10:11], v[64:65], v[6:7] op_sel:[0,0,1] op_sel_hi:[1,0,0]
	v_pk_add_f32 v[4:5], v[4:5], v[20:21]
	v_mov_b32_e32 v6, v63
	v_pk_add_f32 v[4:5], v[4:5], v[18:19]
	v_mov_b32_e32 v9, v7
	s_waitcnt lgkmcnt(1)
	v_pk_mul_f32 v[6:7], v[12:13], v[6:7] op_sel_hi:[1,0]
	v_pk_add_f32 v[4:5], v[4:5], v[8:9]
	v_pk_fma_f32 v[8:9], v[12:13], v[62:63], v[6:7] op_sel:[0,0,1] op_sel_hi:[1,1,0] neg_lo:[0,0,1] neg_hi:[0,0,1]
	v_pk_fma_f32 v[6:7], v[12:13], v[62:63], v[6:7] op_sel:[0,0,1] op_sel_hi:[1,0,0]
	v_mov_b32_e32 v6, v61
	v_mov_b32_e32 v9, v7
	v_pk_mul_f32 v[6:7], v[14:15], v[6:7] op_sel_hi:[1,0]
	v_pk_add_f32 v[4:5], v[4:5], v[8:9]
	v_pk_fma_f32 v[8:9], v[14:15], v[60:61], v[6:7] op_sel:[0,0,1] op_sel_hi:[1,1,0] neg_lo:[0,0,1] neg_hi:[0,0,1]
	v_pk_fma_f32 v[6:7], v[14:15], v[60:61], v[6:7] op_sel:[0,0,1] op_sel_hi:[1,0,0]
	v_mov_b32_e32 v6, v59
	v_mov_b32_e32 v9, v7
	s_waitcnt lgkmcnt(0)
	v_pk_mul_f32 v[6:7], v[16:17], v[6:7] op_sel_hi:[1,0]
	v_pk_add_f32 v[4:5], v[4:5], v[8:9]
	v_pk_fma_f32 v[8:9], v[16:17], v[58:59], v[6:7] op_sel:[0,0,1] op_sel_hi:[1,1,0] neg_lo:[0,0,1] neg_hi:[0,0,1]
	v_pk_fma_f32 v[6:7], v[16:17], v[58:59], v[6:7] op_sel:[0,0,1] op_sel_hi:[1,0,0]
	v_mov_b32_e32 v9, v7
	v_pk_add_f32 v[4:5], v[4:5], v[8:9]
	v_pk_add_f32 v[2:3], v[2:3], v[4:5] neg_lo:[0,1] neg_hi:[0,1]
	buffer_store_dword v3, off, s[0:3], 0 offset:204
	buffer_store_dword v2, off, s[0:3], 0 offset:200
	s_and_saveexec_b64 s[4:5], vcc
	s_cbranch_execz .LBB52_283
; %bb.282:
	buffer_load_dword v2, off, s[0:3], 0 offset:192
	buffer_load_dword v3, off, s[0:3], 0 offset:196
	v_accvgpr_read_b32 v4, a48
	buffer_store_dword v1, off, s[0:3], 0 offset:192
	buffer_store_dword v1, off, s[0:3], 0 offset:196
	s_waitcnt vmcnt(2)
	ds_write_b64 v4, v[2:3]
.LBB52_283:
	s_or_b64 exec, exec, s[4:5]
	s_waitcnt lgkmcnt(0)
	; wave barrier
	s_waitcnt lgkmcnt(0)
	buffer_load_dword v44, off, s[0:3], 0 offset:204
	buffer_load_dword v46, off, s[0:3], 0 offset:212
	;; [unrolled: 1-line block ×42, first 2 shown]
	ds_read2_b64 v[4:7], v1 offset0:79 offset1:80
	ds_read2_b64 v[8:11], v1 offset0:81 offset1:82
	;; [unrolled: 1-line block ×8, first 2 shown]
	v_cmp_lt_u32_e32 vcc, 23, v0
	s_waitcnt vmcnt(41) lgkmcnt(7)
	v_mul_f32_e32 v36, v4, v44
	s_waitcnt vmcnt(40)
	v_mul_f32_e32 v37, v6, v46
	s_waitcnt vmcnt(39) lgkmcnt(6)
	v_mul_f32_e32 v38, v8, v54
	s_waitcnt vmcnt(38)
	v_mul_f32_e32 v39, v10, v66
	;; [unrolled: 4-line block ×7, first 2 shown]
	s_waitcnt vmcnt(27) lgkmcnt(0)
	v_mul_f32_e32 v52, v32, v77
	s_waitcnt vmcnt(26)
	v_fmac_f32_e32 v36, v5, v78
	s_waitcnt vmcnt(25)
	v_fmac_f32_e32 v37, v7, v79
	v_add_f32_e32 v36, 0, v36
	s_waitcnt vmcnt(24)
	v_fmac_f32_e32 v38, v9, v80
	v_add_f32_e32 v36, v36, v37
	;; [unrolled: 3-line block ×14, first 2 shown]
	s_waitcnt vmcnt(11)
	v_mul_f32_e32 v41, v34, v93
	v_add_f32_e32 v40, v36, v52
	s_waitcnt vmcnt(10)
	v_fmac_f32_e32 v41, v35, v94
	ds_read2_b64 v[36:39], v1 offset0:95 offset1:96
	v_add_f32_e32 v45, v40, v41
	ds_read2_b64 v[40:43], v1 offset0:97 offset1:98
	buffer_load_dword v49, off, s[0:3], 0 offset:364
	buffer_load_dword v51, off, s[0:3], 0 offset:380
	;; [unrolled: 1-line block ×16, first 2 shown]
	v_mul_f32_e32 v5, v5, v44
	v_fma_f32 v4, v4, v78, -v5
	v_mul_f32_e32 v5, v7, v46
	v_add_f32_e32 v4, 0, v4
	v_fma_f32 v5, v6, v79, -v5
	v_add_f32_e32 v4, v4, v5
	v_mul_f32_e32 v5, v9, v54
	v_fma_f32 v5, v8, v80, -v5
	v_add_f32_e32 v4, v4, v5
	v_mul_f32_e32 v5, v11, v66
	;; [unrolled: 3-line block ×14, first 2 shown]
	v_fma_f32 v5, v34, v94, -v5
	v_add_f32_e32 v4, v4, v5
	s_waitcnt vmcnt(25) lgkmcnt(1)
	v_mul_f32_e32 v5, v37, v95
	s_waitcnt vmcnt(24)
	v_fma_f32 v5, v36, v96, -v5
	v_add_f32_e32 v4, v4, v5
	s_waitcnt vmcnt(23)
	v_mul_f32_e32 v5, v39, v97
	v_mul_f32_e32 v47, v36, v95
	s_waitcnt vmcnt(22)
	v_fma_f32 v5, v38, v98, -v5
	v_fmac_f32_e32 v47, v37, v96
	v_add_f32_e32 v44, v4, v5
	s_waitcnt vmcnt(21) lgkmcnt(0)
	v_mul_f32_e32 v4, v41, v99
	v_add_f32_e32 v45, v45, v47
	v_mul_f32_e32 v47, v38, v97
	s_waitcnt vmcnt(20)
	v_fma_f32 v46, v40, v100, -v4
	s_waitcnt vmcnt(19)
	v_mul_f32_e32 v4, v43, v101
	v_fmac_f32_e32 v47, v39, v98
	s_waitcnt vmcnt(18)
	v_fma_f32 v54, v42, v102, -v4
	ds_read2_b64 v[4:7], v1 offset0:99 offset1:100
	ds_read2_b64 v[8:11], v1 offset0:101 offset1:102
	ds_read2_b64 v[12:15], v1 offset0:103 offset1:104
	ds_read2_b64 v[16:19], v1 offset0:105 offset1:106
	v_add_f32_e32 v45, v45, v47
	v_mul_f32_e32 v47, v40, v99
	v_fmac_f32_e32 v47, v41, v100
	v_mul_f32_e32 v55, v42, v101
	v_fmac_f32_e32 v55, v43, v102
	v_pk_add_f32 v[20:21], v[44:45], v[46:47]
	v_pk_add_f32 v[20:21], v[20:21], v[54:55]
	s_waitcnt vmcnt(15)
	v_mov_b32_e32 v22, v49
	s_waitcnt lgkmcnt(3)
	v_pk_mul_f32 v[22:23], v[4:5], v[22:23] op_sel_hi:[1,0]
	s_waitcnt vmcnt(10)
	v_pk_fma_f32 v[24:25], v[4:5], v[48:49], v[22:23] op_sel:[0,0,1] op_sel_hi:[1,1,0] neg_lo:[0,0,1] neg_hi:[0,0,1]
	v_pk_fma_f32 v[4:5], v[4:5], v[48:49], v[22:23] op_sel:[0,0,1] op_sel_hi:[1,0,0]
	v_mov_b32_e32 v25, v5
	v_pk_add_f32 v[4:5], v[20:21], v[24:25]
	v_mov_b32_e32 v20, v53
	v_pk_mul_f32 v[20:21], v[6:7], v[20:21] op_sel_hi:[1,0]
	v_pk_fma_f32 v[22:23], v[6:7], v[52:53], v[20:21] op_sel:[0,0,1] op_sel_hi:[1,1,0] neg_lo:[0,0,1] neg_hi:[0,0,1]
	v_pk_fma_f32 v[6:7], v[6:7], v[52:53], v[20:21] op_sel:[0,0,1] op_sel_hi:[1,0,0]
	v_mov_b32_e32 v6, v51
	v_mov_b32_e32 v23, v7
	s_waitcnt lgkmcnt(2)
	v_pk_mul_f32 v[6:7], v[8:9], v[6:7] op_sel_hi:[1,0]
	v_pk_fma_f32 v[20:21], v[8:9], v[50:51], v[6:7] op_sel:[0,0,1] op_sel_hi:[1,1,0] neg_lo:[0,0,1] neg_hi:[0,0,1]
	v_pk_fma_f32 v[6:7], v[8:9], v[50:51], v[6:7] op_sel:[0,0,1] op_sel_hi:[1,0,0]
	s_waitcnt vmcnt(3)
	v_mov_b32_e32 v6, v63
	v_mov_b32_e32 v21, v7
	v_pk_mul_f32 v[6:7], v[10:11], v[6:7] op_sel_hi:[1,0]
	s_waitcnt vmcnt(2)
	v_pk_fma_f32 v[8:9], v[10:11], v[62:63], v[6:7] op_sel:[0,0,1] op_sel_hi:[1,1,0] neg_lo:[0,0,1] neg_hi:[0,0,1]
	v_pk_fma_f32 v[6:7], v[10:11], v[62:63], v[6:7] op_sel:[0,0,1] op_sel_hi:[1,0,0]
	v_pk_add_f32 v[4:5], v[4:5], v[22:23]
	v_mov_b32_e32 v6, v61
	v_pk_add_f32 v[4:5], v[4:5], v[20:21]
	v_mov_b32_e32 v9, v7
	s_waitcnt lgkmcnt(1)
	v_pk_mul_f32 v[6:7], v[12:13], v[6:7] op_sel_hi:[1,0]
	v_pk_add_f32 v[4:5], v[4:5], v[8:9]
	v_pk_fma_f32 v[8:9], v[12:13], v[60:61], v[6:7] op_sel:[0,0,1] op_sel_hi:[1,1,0] neg_lo:[0,0,1] neg_hi:[0,0,1]
	v_pk_fma_f32 v[6:7], v[12:13], v[60:61], v[6:7] op_sel:[0,0,1] op_sel_hi:[1,0,0]
	v_mov_b32_e32 v6, v59
	v_mov_b32_e32 v9, v7
	v_pk_mul_f32 v[6:7], v[14:15], v[6:7] op_sel_hi:[1,0]
	v_pk_add_f32 v[4:5], v[4:5], v[8:9]
	v_pk_fma_f32 v[8:9], v[14:15], v[58:59], v[6:7] op_sel:[0,0,1] op_sel_hi:[1,1,0] neg_lo:[0,0,1] neg_hi:[0,0,1]
	v_pk_fma_f32 v[6:7], v[14:15], v[58:59], v[6:7] op_sel:[0,0,1] op_sel_hi:[1,0,0]
	v_mov_b32_e32 v6, v57
	v_mov_b32_e32 v9, v7
	s_waitcnt lgkmcnt(0)
	v_pk_mul_f32 v[6:7], v[16:17], v[6:7] op_sel_hi:[1,0]
	v_pk_add_f32 v[4:5], v[4:5], v[8:9]
	v_pk_fma_f32 v[8:9], v[16:17], v[56:57], v[6:7] op_sel:[0,0,1] op_sel_hi:[1,1,0] neg_lo:[0,0,1] neg_hi:[0,0,1]
	v_pk_fma_f32 v[6:7], v[16:17], v[56:57], v[6:7] op_sel:[0,0,1] op_sel_hi:[1,0,0]
	s_waitcnt vmcnt(1)
	v_mov_b32_e32 v6, v65
	v_mov_b32_e32 v9, v7
	v_pk_mul_f32 v[6:7], v[18:19], v[6:7] op_sel_hi:[1,0]
	v_pk_add_f32 v[4:5], v[4:5], v[8:9]
	s_waitcnt vmcnt(0)
	v_pk_fma_f32 v[8:9], v[18:19], v[64:65], v[6:7] op_sel:[0,0,1] op_sel_hi:[1,1,0] neg_lo:[0,0,1] neg_hi:[0,0,1]
	v_pk_fma_f32 v[6:7], v[18:19], v[64:65], v[6:7] op_sel:[0,0,1] op_sel_hi:[1,0,0]
	v_mov_b32_e32 v9, v7
	v_pk_add_f32 v[4:5], v[4:5], v[8:9]
	v_pk_add_f32 v[2:3], v[2:3], v[4:5] neg_lo:[0,1] neg_hi:[0,1]
	buffer_store_dword v3, off, s[0:3], 0 offset:196
	buffer_store_dword v2, off, s[0:3], 0 offset:192
	s_and_saveexec_b64 s[4:5], vcc
	s_cbranch_execz .LBB52_285
; %bb.284:
	buffer_load_dword v2, off, s[0:3], 0 offset:184
	buffer_load_dword v3, off, s[0:3], 0 offset:188
	v_mov_b32_e32 v1, 0
	v_accvgpr_read_b32 v4, a48
	buffer_store_dword v1, off, s[0:3], 0 offset:184
	buffer_store_dword v1, off, s[0:3], 0 offset:188
	s_waitcnt vmcnt(2)
	ds_write_b64 v4, v[2:3]
.LBB52_285:
	s_or_b64 exec, exec, s[4:5]
	s_waitcnt lgkmcnt(0)
	; wave barrier
	s_waitcnt lgkmcnt(0)
	buffer_load_dword v52, off, s[0:3], 0 offset:196
	buffer_load_dword v58, off, s[0:3], 0 offset:204
	;; [unrolled: 1-line block ×44, first 2 shown]
	v_mov_b32_e32 v1, 0
	ds_read_b128 v[4:7], v1 offset:624
	ds_read_b128 v[8:11], v1 offset:640
	ds_read_b128 v[12:15], v1 offset:656
	ds_read_b128 v[16:19], v1 offset:672
	ds_read_b128 v[20:23], v1 offset:688
	ds_read_b128 v[24:27], v1 offset:704
	ds_read_b128 v[28:31], v1 offset:720
	ds_read_b128 v[32:35], v1 offset:736
	v_cmp_lt_u32_e32 vcc, 22, v0
	s_waitcnt vmcnt(43) lgkmcnt(7)
	v_mul_f32_e32 v36, v4, v52
	s_waitcnt vmcnt(42)
	v_mul_f32_e32 v37, v6, v58
	s_waitcnt vmcnt(41) lgkmcnt(6)
	v_mul_f32_e32 v38, v8, v60
	s_waitcnt vmcnt(40)
	v_mul_f32_e32 v39, v10, v74
	;; [unrolled: 4-line block ×7, first 2 shown]
	s_waitcnt vmcnt(29)
	v_fmac_f32_e32 v36, v5, v85
	s_waitcnt vmcnt(28)
	v_fmac_f32_e32 v37, v7, v86
	v_add_f32_e32 v36, 0, v36
	s_waitcnt vmcnt(27)
	v_fmac_f32_e32 v38, v9, v87
	v_add_f32_e32 v36, v36, v37
	;; [unrolled: 3-line block ×12, first 2 shown]
	v_add_f32_e32 v36, v36, v48
	s_waitcnt vmcnt(16)
	v_fmac_f32_e32 v49, v31, v98
	s_waitcnt vmcnt(15) lgkmcnt(0)
	v_mul_f32_e32 v37, v32, v99
	v_add_f32_e32 v36, v36, v49
	s_waitcnt vmcnt(14)
	v_fmac_f32_e32 v37, v33, v100
	v_add_f32_e32 v40, v36, v37
	ds_read_b128 v[36:39], v1 offset:752
	s_waitcnt vmcnt(13)
	v_mul_f32_e32 v41, v34, v101
	s_waitcnt vmcnt(12)
	v_fmac_f32_e32 v41, v35, v102
	v_add_f32_e32 v44, v40, v41
	ds_read_b128 v[40:43], v1 offset:768
	s_waitcnt vmcnt(11) lgkmcnt(1)
	v_mul_f32_e32 v45, v36, v103
	s_waitcnt vmcnt(10)
	v_fmac_f32_e32 v45, v37, v104
	v_add_f32_e32 v44, v44, v45
	s_waitcnt vmcnt(9)
	v_mul_f32_e32 v45, v38, v105
	s_waitcnt vmcnt(8)
	v_fmac_f32_e32 v45, v39, v106
	v_add_f32_e32 v44, v44, v45
	s_waitcnt vmcnt(7) lgkmcnt(0)
	v_mul_f32_e32 v45, v40, v107
	s_waitcnt vmcnt(6)
	v_fmac_f32_e32 v45, v41, v108
	v_add_f32_e32 v53, v44, v45
	ds_read_b128 v[44:47], v1 offset:784
	buffer_load_dword v55, off, s[0:3], 0 offset:372
	buffer_load_dword v54, off, s[0:3], 0 offset:368
	;; [unrolled: 1-line block ×4, first 2 shown]
	ds_read_b128 v[48:51], v1 offset:800
	buffer_load_dword v63, off, s[0:3], 0 offset:404
	buffer_load_dword v62, off, s[0:3], 0 offset:400
	;; [unrolled: 1-line block ×12, first 2 shown]
	v_mul_f32_e32 v5, v5, v52
	v_fma_f32 v4, v4, v85, -v5
	v_mul_f32_e32 v5, v7, v58
	v_add_f32_e32 v4, 0, v4
	v_fma_f32 v5, v6, v86, -v5
	v_add_f32_e32 v4, v4, v5
	v_mul_f32_e32 v5, v9, v60
	v_fma_f32 v5, v8, v87, -v5
	v_add_f32_e32 v4, v4, v5
	v_mul_f32_e32 v5, v11, v74
	;; [unrolled: 3-line block ×17, first 2 shown]
	v_fma_f32 v5, v40, v108, -v5
	s_waitcnt vmcnt(21)
	v_mul_f32_e32 v59, v42, v109
	v_add_f32_e32 v52, v4, v5
	v_mul_f32_e32 v4, v43, v109
	s_waitcnt vmcnt(20)
	v_fmac_f32_e32 v59, v43, v110
	s_waitcnt vmcnt(19) lgkmcnt(1)
	v_mul_f32_e32 v61, v44, v111
	v_fma_f32 v58, v42, v110, -v4
	v_mul_f32_e32 v4, v45, v111
	s_waitcnt vmcnt(18)
	v_fmac_f32_e32 v61, v45, v192
	v_fma_f32 v60, v44, v192, -v4
	v_pk_add_f32 v[14:15], v[52:53], v[58:59]
	v_pk_add_f32 v[14:15], v[14:15], v[60:61]
	ds_read_b128 v[4:7], v1 offset:816
	ds_read_b128 v[8:11], v1 offset:832
	ds_read_b64 v[12:13], v1 offset:848
	s_waitcnt vmcnt(13)
	v_mov_b32_e32 v16, v57
	v_pk_mul_f32 v[16:17], v[46:47], v[16:17] op_sel_hi:[1,0]
	s_waitcnt vmcnt(12)
	v_pk_fma_f32 v[18:19], v[46:47], v[56:57], v[16:17] op_sel:[0,0,1] op_sel_hi:[1,1,0] neg_lo:[0,0,1] neg_hi:[0,0,1]
	v_pk_fma_f32 v[16:17], v[46:47], v[56:57], v[16:17] op_sel:[0,0,1] op_sel_hi:[1,0,0]
	v_mov_b32_e32 v16, v55
	v_mov_b32_e32 v19, v17
	s_waitcnt lgkmcnt(3)
	v_pk_mul_f32 v[16:17], v[48:49], v[16:17] op_sel_hi:[1,0]
	v_pk_add_f32 v[14:15], v[14:15], v[18:19]
	v_pk_fma_f32 v[18:19], v[48:49], v[54:55], v[16:17] op_sel:[0,0,1] op_sel_hi:[1,1,0] neg_lo:[0,0,1] neg_hi:[0,0,1]
	v_pk_fma_f32 v[16:17], v[48:49], v[54:55], v[16:17] op_sel:[0,0,1] op_sel_hi:[1,0,0]
	s_waitcnt vmcnt(5)
	v_mov_b32_e32 v16, v69
	v_mov_b32_e32 v19, v17
	v_pk_mul_f32 v[16:17], v[50:51], v[16:17] op_sel_hi:[1,0]
	v_pk_add_f32 v[14:15], v[14:15], v[18:19]
	s_waitcnt vmcnt(4)
	v_pk_fma_f32 v[18:19], v[50:51], v[68:69], v[16:17] op_sel:[0,0,1] op_sel_hi:[1,1,0] neg_lo:[0,0,1] neg_hi:[0,0,1]
	v_pk_fma_f32 v[16:17], v[50:51], v[68:69], v[16:17] op_sel:[0,0,1] op_sel_hi:[1,0,0]
	v_mov_b32_e32 v16, v67
	v_mov_b32_e32 v19, v17
	s_waitcnt lgkmcnt(2)
	v_pk_mul_f32 v[16:17], v[4:5], v[16:17] op_sel_hi:[1,0]
	v_pk_add_f32 v[14:15], v[14:15], v[18:19]
	v_pk_fma_f32 v[18:19], v[4:5], v[66:67], v[16:17] op_sel:[0,0,1] op_sel_hi:[1,1,0] neg_lo:[0,0,1] neg_hi:[0,0,1]
	v_pk_fma_f32 v[4:5], v[4:5], v[66:67], v[16:17] op_sel:[0,0,1] op_sel_hi:[1,0,0]
	v_mov_b32_e32 v19, v5
	v_pk_add_f32 v[4:5], v[14:15], v[18:19]
	v_mov_b32_e32 v14, v65
	v_pk_mul_f32 v[14:15], v[6:7], v[14:15] op_sel_hi:[1,0]
	v_pk_fma_f32 v[16:17], v[6:7], v[64:65], v[14:15] op_sel:[0,0,1] op_sel_hi:[1,1,0] neg_lo:[0,0,1] neg_hi:[0,0,1]
	v_pk_fma_f32 v[6:7], v[6:7], v[64:65], v[14:15] op_sel:[0,0,1] op_sel_hi:[1,0,0]
	v_mov_b32_e32 v6, v63
	v_mov_b32_e32 v17, v7
	s_waitcnt lgkmcnt(1)
	v_pk_mul_f32 v[6:7], v[8:9], v[6:7] op_sel_hi:[1,0]
	v_pk_fma_f32 v[14:15], v[8:9], v[62:63], v[6:7] op_sel:[0,0,1] op_sel_hi:[1,1,0] neg_lo:[0,0,1] neg_hi:[0,0,1]
	v_pk_fma_f32 v[6:7], v[8:9], v[62:63], v[6:7] op_sel:[0,0,1] op_sel_hi:[1,0,0]
	s_waitcnt vmcnt(1)
	v_mov_b32_e32 v6, v73
	v_mov_b32_e32 v15, v7
	v_pk_mul_f32 v[6:7], v[10:11], v[6:7] op_sel_hi:[1,0]
	s_waitcnt vmcnt(0)
	v_pk_fma_f32 v[8:9], v[10:11], v[72:73], v[6:7] op_sel:[0,0,1] op_sel_hi:[1,1,0] neg_lo:[0,0,1] neg_hi:[0,0,1]
	v_pk_fma_f32 v[6:7], v[10:11], v[72:73], v[6:7] op_sel:[0,0,1] op_sel_hi:[1,0,0]
	v_pk_add_f32 v[4:5], v[4:5], v[16:17]
	v_mov_b32_e32 v6, v71
	v_pk_add_f32 v[4:5], v[4:5], v[14:15]
	v_mov_b32_e32 v9, v7
	s_waitcnt lgkmcnt(0)
	v_pk_mul_f32 v[6:7], v[12:13], v[6:7] op_sel_hi:[1,0]
	v_pk_add_f32 v[4:5], v[4:5], v[8:9]
	v_pk_fma_f32 v[8:9], v[12:13], v[70:71], v[6:7] op_sel:[0,0,1] op_sel_hi:[1,1,0] neg_lo:[0,0,1] neg_hi:[0,0,1]
	v_pk_fma_f32 v[6:7], v[12:13], v[70:71], v[6:7] op_sel:[0,0,1] op_sel_hi:[1,0,0]
	v_mov_b32_e32 v9, v7
	v_pk_add_f32 v[4:5], v[4:5], v[8:9]
	v_pk_add_f32 v[2:3], v[2:3], v[4:5] neg_lo:[0,1] neg_hi:[0,1]
	buffer_store_dword v3, off, s[0:3], 0 offset:188
	buffer_store_dword v2, off, s[0:3], 0 offset:184
	s_and_saveexec_b64 s[4:5], vcc
	s_cbranch_execz .LBB52_287
; %bb.286:
	buffer_load_dword v2, off, s[0:3], 0 offset:176
	buffer_load_dword v3, off, s[0:3], 0 offset:180
	v_accvgpr_read_b32 v4, a48
	buffer_store_dword v1, off, s[0:3], 0 offset:176
	buffer_store_dword v1, off, s[0:3], 0 offset:180
	s_waitcnt vmcnt(2)
	ds_write_b64 v4, v[2:3]
.LBB52_287:
	s_or_b64 exec, exec, s[4:5]
	s_waitcnt lgkmcnt(0)
	; wave barrier
	s_waitcnt lgkmcnt(0)
	buffer_load_dword v54, off, s[0:3], 0 offset:188
	buffer_load_dword v56, off, s[0:3], 0 offset:196
	;; [unrolled: 1-line block ×46, first 2 shown]
	ds_read2_b64 v[4:7], v1 offset0:77 offset1:78
	ds_read2_b64 v[8:11], v1 offset0:79 offset1:80
	;; [unrolled: 1-line block ×8, first 2 shown]
	v_cmp_lt_u32_e32 vcc, 21, v0
	s_waitcnt vmcnt(45) lgkmcnt(7)
	v_mul_f32_e32 v36, v4, v54
	s_waitcnt vmcnt(44)
	v_mul_f32_e32 v37, v6, v56
	s_waitcnt vmcnt(43) lgkmcnt(6)
	v_mul_f32_e32 v38, v8, v58
	s_waitcnt vmcnt(42)
	v_mul_f32_e32 v39, v10, v74
	;; [unrolled: 4-line block ×6, first 2 shown]
	s_waitcnt vmcnt(33) lgkmcnt(1)
	v_mul_f32_e32 v48, v28, v83
	s_waitcnt vmcnt(32)
	v_fmac_f32_e32 v36, v5, v84
	s_waitcnt vmcnt(31)
	v_fmac_f32_e32 v37, v7, v85
	v_add_f32_e32 v36, 0, v36
	s_waitcnt vmcnt(30)
	v_fmac_f32_e32 v38, v9, v86
	v_add_f32_e32 v36, v36, v37
	;; [unrolled: 3-line block ×12, first 2 shown]
	s_waitcnt vmcnt(19)
	v_mul_f32_e32 v37, v30, v97
	v_add_f32_e32 v36, v36, v48
	s_waitcnt vmcnt(18)
	v_fmac_f32_e32 v37, v31, v98
	v_add_f32_e32 v36, v36, v37
	s_waitcnt vmcnt(17) lgkmcnt(0)
	v_mul_f32_e32 v37, v32, v99
	s_waitcnt vmcnt(16)
	v_fmac_f32_e32 v37, v33, v100
	v_add_f32_e32 v40, v36, v37
	ds_read2_b64 v[36:39], v1 offset0:93 offset1:94
	s_waitcnt vmcnt(15)
	v_mul_f32_e32 v41, v34, v101
	s_waitcnt vmcnt(14)
	v_fmac_f32_e32 v41, v35, v102
	v_add_f32_e32 v44, v40, v41
	ds_read2_b64 v[40:43], v1 offset0:95 offset1:96
	buffer_load_dword v53, off, s[0:3], 0 offset:364
	buffer_load_dword v52, off, s[0:3], 0 offset:360
	s_waitcnt vmcnt(15) lgkmcnt(1)
	v_mul_f32_e32 v45, v36, v103
	s_waitcnt vmcnt(14)
	v_fmac_f32_e32 v45, v37, v104
	v_add_f32_e32 v44, v44, v45
	s_waitcnt vmcnt(13)
	v_mul_f32_e32 v45, v38, v105
	s_waitcnt vmcnt(12)
	v_fmac_f32_e32 v45, v39, v106
	v_add_f32_e32 v44, v44, v45
	s_waitcnt vmcnt(11) lgkmcnt(0)
	v_mul_f32_e32 v45, v40, v107
	s_waitcnt vmcnt(10)
	v_fmac_f32_e32 v45, v41, v108
	s_waitcnt vmcnt(9)
	v_mul_f32_e32 v49, v42, v109
	v_add_f32_e32 v48, v44, v45
	s_waitcnt vmcnt(8)
	v_fmac_f32_e32 v49, v43, v110
	ds_read2_b64 v[44:47], v1 offset0:97 offset1:98
	v_add_f32_e32 v55, v48, v49
	ds_read2_b64 v[48:51], v1 offset0:99 offset1:100
	buffer_load_dword v61, off, s[0:3], 0 offset:396
	buffer_load_dword v60, off, s[0:3], 0 offset:392
	buffer_load_dword v63, off, s[0:3], 0 offset:388
	buffer_load_dword v62, off, s[0:3], 0 offset:384
	buffer_load_dword v65, off, s[0:3], 0 offset:380
	buffer_load_dword v64, off, s[0:3], 0 offset:376
	buffer_load_dword v67, off, s[0:3], 0 offset:372
	buffer_load_dword v66, off, s[0:3], 0 offset:368
	buffer_load_dword v69, off, s[0:3], 0 offset:420
	buffer_load_dword v68, off, s[0:3], 0 offset:416
	buffer_load_dword v71, off, s[0:3], 0 offset:412
	buffer_load_dword v70, off, s[0:3], 0 offset:408
	buffer_load_dword v73, off, s[0:3], 0 offset:404
	buffer_load_dword v72, off, s[0:3], 0 offset:400
	v_mul_f32_e32 v5, v5, v54
	v_fma_f32 v4, v4, v84, -v5
	v_mul_f32_e32 v5, v7, v56
	v_add_f32_e32 v4, 0, v4
	v_fma_f32 v5, v6, v85, -v5
	v_add_f32_e32 v4, v4, v5
	v_mul_f32_e32 v5, v9, v58
	v_fma_f32 v5, v8, v86, -v5
	v_add_f32_e32 v4, v4, v5
	v_mul_f32_e32 v5, v11, v74
	;; [unrolled: 3-line block ×18, first 2 shown]
	v_fma_f32 v5, v42, v110, -v5
	s_waitcnt vmcnt(21) lgkmcnt(1)
	v_mul_f32_e32 v57, v44, v111
	v_add_f32_e32 v54, v4, v5
	v_mul_f32_e32 v4, v45, v111
	s_waitcnt vmcnt(20)
	v_fmac_f32_e32 v57, v45, v192
	s_waitcnt vmcnt(15)
	v_mov_b32_e32 v18, v53
	s_waitcnt lgkmcnt(0)
	v_pk_mul_f32 v[18:19], v[48:49], v[18:19] op_sel_hi:[1,0]
	v_mul_f32_e32 v59, v46, v193
	v_fma_f32 v56, v44, v192, -v4
	v_mul_f32_e32 v4, v47, v193
	s_waitcnt vmcnt(14)
	v_pk_fma_f32 v[20:21], v[48:49], v[52:53], v[18:19] op_sel:[0,0,1] op_sel_hi:[1,1,0] neg_lo:[0,0,1] neg_hi:[0,0,1]
	v_pk_fma_f32 v[18:19], v[48:49], v[52:53], v[18:19] op_sel:[0,0,1] op_sel_hi:[1,0,0]
	v_fmac_f32_e32 v59, v47, v194
	v_fma_f32 v58, v46, v194, -v4
	v_pk_add_f32 v[16:17], v[54:55], v[56:57]
	s_waitcnt vmcnt(7)
	v_mov_b32_e32 v18, v67
	ds_read2_b64 v[4:7], v1 offset0:101 offset1:102
	ds_read2_b64 v[8:11], v1 offset0:103 offset1:104
	;; [unrolled: 1-line block ×3, first 2 shown]
	v_pk_add_f32 v[16:17], v[16:17], v[58:59]
	v_mov_b32_e32 v21, v19
	v_pk_mul_f32 v[18:19], v[50:51], v[18:19] op_sel_hi:[1,0]
	v_pk_add_f32 v[16:17], v[16:17], v[20:21]
	s_waitcnt vmcnt(6)
	v_pk_fma_f32 v[20:21], v[50:51], v[66:67], v[18:19] op_sel:[0,0,1] op_sel_hi:[1,1,0] neg_lo:[0,0,1] neg_hi:[0,0,1]
	v_pk_fma_f32 v[18:19], v[50:51], v[66:67], v[18:19] op_sel:[0,0,1] op_sel_hi:[1,0,0]
	v_mov_b32_e32 v18, v65
	v_mov_b32_e32 v21, v19
	s_waitcnt lgkmcnt(2)
	v_pk_mul_f32 v[18:19], v[4:5], v[18:19] op_sel_hi:[1,0]
	v_pk_add_f32 v[16:17], v[16:17], v[20:21]
	v_pk_fma_f32 v[20:21], v[4:5], v[64:65], v[18:19] op_sel:[0,0,1] op_sel_hi:[1,1,0] neg_lo:[0,0,1] neg_hi:[0,0,1]
	v_pk_fma_f32 v[4:5], v[4:5], v[64:65], v[18:19] op_sel:[0,0,1] op_sel_hi:[1,0,0]
	v_mov_b32_e32 v21, v5
	v_pk_add_f32 v[4:5], v[16:17], v[20:21]
	v_mov_b32_e32 v16, v63
	v_pk_mul_f32 v[16:17], v[6:7], v[16:17] op_sel_hi:[1,0]
	v_pk_fma_f32 v[18:19], v[6:7], v[62:63], v[16:17] op_sel:[0,0,1] op_sel_hi:[1,1,0] neg_lo:[0,0,1] neg_hi:[0,0,1]
	v_pk_fma_f32 v[6:7], v[6:7], v[62:63], v[16:17] op_sel:[0,0,1] op_sel_hi:[1,0,0]
	v_mov_b32_e32 v6, v61
	v_mov_b32_e32 v19, v7
	s_waitcnt lgkmcnt(1)
	v_pk_mul_f32 v[6:7], v[8:9], v[6:7] op_sel_hi:[1,0]
	v_pk_fma_f32 v[16:17], v[8:9], v[60:61], v[6:7] op_sel:[0,0,1] op_sel_hi:[1,1,0] neg_lo:[0,0,1] neg_hi:[0,0,1]
	v_pk_fma_f32 v[6:7], v[8:9], v[60:61], v[6:7] op_sel:[0,0,1] op_sel_hi:[1,0,0]
	s_waitcnt vmcnt(1)
	v_mov_b32_e32 v6, v73
	v_mov_b32_e32 v17, v7
	v_pk_mul_f32 v[6:7], v[10:11], v[6:7] op_sel_hi:[1,0]
	s_waitcnt vmcnt(0)
	v_pk_fma_f32 v[8:9], v[10:11], v[72:73], v[6:7] op_sel:[0,0,1] op_sel_hi:[1,1,0] neg_lo:[0,0,1] neg_hi:[0,0,1]
	v_pk_fma_f32 v[6:7], v[10:11], v[72:73], v[6:7] op_sel:[0,0,1] op_sel_hi:[1,0,0]
	v_pk_add_f32 v[4:5], v[4:5], v[18:19]
	v_mov_b32_e32 v6, v71
	v_pk_add_f32 v[4:5], v[4:5], v[16:17]
	v_mov_b32_e32 v9, v7
	s_waitcnt lgkmcnt(0)
	v_pk_mul_f32 v[6:7], v[12:13], v[6:7] op_sel_hi:[1,0]
	v_pk_add_f32 v[4:5], v[4:5], v[8:9]
	v_pk_fma_f32 v[8:9], v[12:13], v[70:71], v[6:7] op_sel:[0,0,1] op_sel_hi:[1,1,0] neg_lo:[0,0,1] neg_hi:[0,0,1]
	v_pk_fma_f32 v[6:7], v[12:13], v[70:71], v[6:7] op_sel:[0,0,1] op_sel_hi:[1,0,0]
	v_mov_b32_e32 v6, v69
	v_mov_b32_e32 v9, v7
	v_pk_mul_f32 v[6:7], v[14:15], v[6:7] op_sel_hi:[1,0]
	v_pk_add_f32 v[4:5], v[4:5], v[8:9]
	v_pk_fma_f32 v[8:9], v[14:15], v[68:69], v[6:7] op_sel:[0,0,1] op_sel_hi:[1,1,0] neg_lo:[0,0,1] neg_hi:[0,0,1]
	v_pk_fma_f32 v[6:7], v[14:15], v[68:69], v[6:7] op_sel:[0,0,1] op_sel_hi:[1,0,0]
	v_mov_b32_e32 v9, v7
	v_pk_add_f32 v[4:5], v[4:5], v[8:9]
	v_pk_add_f32 v[2:3], v[2:3], v[4:5] neg_lo:[0,1] neg_hi:[0,1]
	buffer_store_dword v3, off, s[0:3], 0 offset:180
	buffer_store_dword v2, off, s[0:3], 0 offset:176
	s_and_saveexec_b64 s[4:5], vcc
	s_cbranch_execz .LBB52_289
; %bb.288:
	buffer_load_dword v2, off, s[0:3], 0 offset:168
	buffer_load_dword v3, off, s[0:3], 0 offset:172
	v_mov_b32_e32 v1, 0
	v_accvgpr_read_b32 v4, a48
	buffer_store_dword v1, off, s[0:3], 0 offset:168
	buffer_store_dword v1, off, s[0:3], 0 offset:172
	s_waitcnt vmcnt(2)
	ds_write_b64 v4, v[2:3]
.LBB52_289:
	s_or_b64 exec, exec, s[4:5]
	s_waitcnt lgkmcnt(0)
	; wave barrier
	s_waitcnt lgkmcnt(0)
	buffer_load_dword v52, off, s[0:3], 0 offset:180
	buffer_load_dword v54, off, s[0:3], 0 offset:188
	;; [unrolled: 1-line block ×48, first 2 shown]
	v_mov_b32_e32 v1, 0
	ds_read_b128 v[4:7], v1 offset:608
	ds_read_b128 v[8:11], v1 offset:624
	;; [unrolled: 1-line block ×6, first 2 shown]
	v_cmp_lt_u32_e32 vcc, 20, v0
	s_waitcnt vmcnt(47) lgkmcnt(5)
	v_mul_f32_e32 v28, v4, v52
	s_waitcnt vmcnt(46)
	v_mul_f32_e32 v29, v6, v54
	s_waitcnt vmcnt(45) lgkmcnt(4)
	v_mul_f32_e32 v30, v8, v56
	s_waitcnt vmcnt(44)
	v_mul_f32_e32 v31, v10, v74
	;; [unrolled: 4-line block ×6, first 2 shown]
	s_waitcnt vmcnt(35)
	v_fmac_f32_e32 v28, v5, v83
	s_waitcnt vmcnt(34)
	v_fmac_f32_e32 v29, v7, v84
	v_add_f32_e32 v28, 0, v28
	s_waitcnt vmcnt(33)
	v_fmac_f32_e32 v30, v9, v85
	v_add_f32_e32 v28, v28, v29
	;; [unrolled: 3-line block ×8, first 2 shown]
	v_add_f32_e32 v32, v28, v36
	ds_read_b128 v[28:31], v1 offset:704
	s_waitcnt vmcnt(26)
	v_fmac_f32_e32 v37, v23, v92
	s_waitcnt vmcnt(25)
	v_fmac_f32_e32 v38, v25, v93
	v_add_f32_e32 v32, v32, v37
	s_waitcnt vmcnt(24)
	v_fmac_f32_e32 v39, v27, v94
	v_add_f32_e32 v32, v32, v38
	v_add_f32_e32 v36, v32, v39
	ds_read_b128 v[32:35], v1 offset:720
	s_waitcnt vmcnt(23) lgkmcnt(1)
	v_mul_f32_e32 v37, v28, v95
	s_waitcnt vmcnt(22)
	v_fmac_f32_e32 v37, v29, v96
	v_add_f32_e32 v36, v36, v37
	s_waitcnt vmcnt(21)
	v_mul_f32_e32 v37, v30, v97
	s_waitcnt vmcnt(20)
	v_fmac_f32_e32 v37, v31, v98
	v_add_f32_e32 v36, v36, v37
	s_waitcnt vmcnt(19) lgkmcnt(0)
	v_mul_f32_e32 v37, v32, v99
	s_waitcnt vmcnt(18)
	v_fmac_f32_e32 v37, v33, v100
	v_add_f32_e32 v40, v36, v37
	ds_read_b128 v[36:39], v1 offset:736
	s_waitcnt vmcnt(17)
	v_mul_f32_e32 v41, v34, v101
	s_waitcnt vmcnt(16)
	v_fmac_f32_e32 v41, v35, v102
	v_add_f32_e32 v44, v40, v41
	ds_read_b128 v[40:43], v1 offset:752
	s_waitcnt vmcnt(15) lgkmcnt(1)
	v_mul_f32_e32 v45, v36, v103
	s_waitcnt vmcnt(14)
	v_fmac_f32_e32 v45, v37, v104
	v_add_f32_e32 v44, v44, v45
	s_waitcnt vmcnt(13)
	v_mul_f32_e32 v45, v38, v105
	s_waitcnt vmcnt(12)
	v_fmac_f32_e32 v45, v39, v106
	v_add_f32_e32 v44, v44, v45
	s_waitcnt vmcnt(11) lgkmcnt(0)
	v_mul_f32_e32 v45, v40, v107
	s_waitcnt vmcnt(10)
	v_fmac_f32_e32 v45, v41, v108
	s_waitcnt vmcnt(9)
	v_mul_f32_e32 v49, v42, v109
	v_add_f32_e32 v48, v44, v45
	s_waitcnt vmcnt(8)
	v_fmac_f32_e32 v49, v43, v110
	ds_read_b128 v[44:47], v1 offset:768
	v_add_f32_e32 v53, v48, v49
	ds_read_b128 v[48:51], v1 offset:784
	buffer_load_dword v59, off, s[0:3], 0 offset:388
	buffer_load_dword v58, off, s[0:3], 0 offset:384
	;; [unrolled: 1-line block ×16, first 2 shown]
	v_mul_f32_e32 v5, v5, v52
	v_fma_f32 v4, v4, v83, -v5
	v_mul_f32_e32 v5, v7, v54
	v_add_f32_e32 v4, 0, v4
	v_fma_f32 v5, v6, v84, -v5
	v_add_f32_e32 v4, v4, v5
	v_mul_f32_e32 v5, v9, v56
	v_fma_f32 v5, v8, v85, -v5
	v_add_f32_e32 v4, v4, v5
	v_mul_f32_e32 v5, v11, v74
	;; [unrolled: 3-line block ×18, first 2 shown]
	v_fma_f32 v5, v42, v110, -v5
	v_add_f32_e32 v4, v4, v5
	s_waitcnt vmcnt(22) lgkmcnt(1)
	v_mul_f32_e32 v5, v45, v192
	v_mul_f32_e32 v55, v44, v192
	v_fma_f32 v5, v44, v111, -v5
	v_fmac_f32_e32 v55, v45, v111
	v_add_f32_e32 v52, v4, v5
	s_waitcnt vmcnt(19)
	v_mul_f32_e32 v4, v47, v193
	v_add_f32_e32 v53, v53, v55
	v_mul_f32_e32 v55, v46, v193
	s_waitcnt vmcnt(18)
	v_fma_f32 v54, v46, v194, -v4
	s_waitcnt vmcnt(17) lgkmcnt(0)
	v_mul_f32_e32 v4, v49, v195
	s_waitcnt vmcnt(9)
	v_mov_b32_e32 v20, v65
	v_pk_mul_f32 v[20:21], v[50:51], v[20:21] op_sel_hi:[1,0]
	v_fmac_f32_e32 v55, v47, v194
	v_mul_f32_e32 v57, v48, v195
	v_fma_f32 v56, v48, v196, -v4
	ds_read_b128 v[4:7], v1 offset:800
	ds_read_b128 v[8:11], v1 offset:816
	;; [unrolled: 1-line block ×3, first 2 shown]
	ds_read_b64 v[16:17], v1 offset:848
	s_waitcnt vmcnt(8)
	v_pk_fma_f32 v[22:23], v[50:51], v[64:65], v[20:21] op_sel:[0,0,1] op_sel_hi:[1,1,0] neg_lo:[0,0,1] neg_hi:[0,0,1]
	v_pk_fma_f32 v[20:21], v[50:51], v[64:65], v[20:21] op_sel:[0,0,1] op_sel_hi:[1,0,0]
	v_fmac_f32_e32 v57, v49, v196
	v_pk_add_f32 v[18:19], v[52:53], v[54:55]
	v_mov_b32_e32 v20, v63
	v_pk_add_f32 v[18:19], v[18:19], v[56:57]
	v_mov_b32_e32 v23, v21
	s_waitcnt lgkmcnt(3)
	v_pk_mul_f32 v[20:21], v[4:5], v[20:21] op_sel_hi:[1,0]
	v_pk_add_f32 v[18:19], v[18:19], v[22:23]
	v_pk_fma_f32 v[22:23], v[4:5], v[62:63], v[20:21] op_sel:[0,0,1] op_sel_hi:[1,1,0] neg_lo:[0,0,1] neg_hi:[0,0,1]
	v_pk_fma_f32 v[4:5], v[4:5], v[62:63], v[20:21] op_sel:[0,0,1] op_sel_hi:[1,0,0]
	v_mov_b32_e32 v23, v5
	v_pk_add_f32 v[4:5], v[18:19], v[22:23]
	v_mov_b32_e32 v18, v61
	v_pk_mul_f32 v[18:19], v[6:7], v[18:19] op_sel_hi:[1,0]
	v_pk_fma_f32 v[20:21], v[6:7], v[60:61], v[18:19] op_sel:[0,0,1] op_sel_hi:[1,1,0] neg_lo:[0,0,1] neg_hi:[0,0,1]
	v_pk_fma_f32 v[6:7], v[6:7], v[60:61], v[18:19] op_sel:[0,0,1] op_sel_hi:[1,0,0]
	v_mov_b32_e32 v6, v59
	v_mov_b32_e32 v21, v7
	s_waitcnt lgkmcnt(2)
	v_pk_mul_f32 v[6:7], v[8:9], v[6:7] op_sel_hi:[1,0]
	v_pk_fma_f32 v[18:19], v[8:9], v[58:59], v[6:7] op_sel:[0,0,1] op_sel_hi:[1,1,0] neg_lo:[0,0,1] neg_hi:[0,0,1]
	v_pk_fma_f32 v[6:7], v[8:9], v[58:59], v[6:7] op_sel:[0,0,1] op_sel_hi:[1,0,0]
	s_waitcnt vmcnt(1)
	v_mov_b32_e32 v6, v73
	v_mov_b32_e32 v19, v7
	v_pk_mul_f32 v[6:7], v[10:11], v[6:7] op_sel_hi:[1,0]
	s_waitcnt vmcnt(0)
	v_pk_fma_f32 v[8:9], v[10:11], v[72:73], v[6:7] op_sel:[0,0,1] op_sel_hi:[1,1,0] neg_lo:[0,0,1] neg_hi:[0,0,1]
	v_pk_fma_f32 v[6:7], v[10:11], v[72:73], v[6:7] op_sel:[0,0,1] op_sel_hi:[1,0,0]
	v_pk_add_f32 v[4:5], v[4:5], v[20:21]
	v_mov_b32_e32 v6, v71
	v_pk_add_f32 v[4:5], v[4:5], v[18:19]
	v_mov_b32_e32 v9, v7
	s_waitcnt lgkmcnt(1)
	v_pk_mul_f32 v[6:7], v[12:13], v[6:7] op_sel_hi:[1,0]
	v_pk_add_f32 v[4:5], v[4:5], v[8:9]
	v_pk_fma_f32 v[8:9], v[12:13], v[70:71], v[6:7] op_sel:[0,0,1] op_sel_hi:[1,1,0] neg_lo:[0,0,1] neg_hi:[0,0,1]
	v_pk_fma_f32 v[6:7], v[12:13], v[70:71], v[6:7] op_sel:[0,0,1] op_sel_hi:[1,0,0]
	v_mov_b32_e32 v6, v69
	v_mov_b32_e32 v9, v7
	v_pk_mul_f32 v[6:7], v[14:15], v[6:7] op_sel_hi:[1,0]
	v_pk_add_f32 v[4:5], v[4:5], v[8:9]
	v_pk_fma_f32 v[8:9], v[14:15], v[68:69], v[6:7] op_sel:[0,0,1] op_sel_hi:[1,1,0] neg_lo:[0,0,1] neg_hi:[0,0,1]
	v_pk_fma_f32 v[6:7], v[14:15], v[68:69], v[6:7] op_sel:[0,0,1] op_sel_hi:[1,0,0]
	v_mov_b32_e32 v6, v67
	v_mov_b32_e32 v9, v7
	s_waitcnt lgkmcnt(0)
	v_pk_mul_f32 v[6:7], v[16:17], v[6:7] op_sel_hi:[1,0]
	v_pk_add_f32 v[4:5], v[4:5], v[8:9]
	v_pk_fma_f32 v[8:9], v[16:17], v[66:67], v[6:7] op_sel:[0,0,1] op_sel_hi:[1,1,0] neg_lo:[0,0,1] neg_hi:[0,0,1]
	v_pk_fma_f32 v[6:7], v[16:17], v[66:67], v[6:7] op_sel:[0,0,1] op_sel_hi:[1,0,0]
	v_mov_b32_e32 v9, v7
	v_pk_add_f32 v[4:5], v[4:5], v[8:9]
	v_pk_add_f32 v[2:3], v[2:3], v[4:5] neg_lo:[0,1] neg_hi:[0,1]
	buffer_store_dword v3, off, s[0:3], 0 offset:172
	buffer_store_dword v2, off, s[0:3], 0 offset:168
	s_and_saveexec_b64 s[4:5], vcc
	s_cbranch_execz .LBB52_291
; %bb.290:
	buffer_load_dword v2, off, s[0:3], 0 offset:160
	buffer_load_dword v3, off, s[0:3], 0 offset:164
	v_accvgpr_read_b32 v4, a48
	buffer_store_dword v1, off, s[0:3], 0 offset:160
	buffer_store_dword v1, off, s[0:3], 0 offset:164
	s_waitcnt vmcnt(2)
	ds_write_b64 v4, v[2:3]
.LBB52_291:
	s_or_b64 exec, exec, s[4:5]
	s_waitcnt lgkmcnt(0)
	; wave barrier
	s_waitcnt lgkmcnt(0)
	buffer_load_dword v52, off, s[0:3], 0 offset:172
	buffer_load_dword v54, off, s[0:3], 0 offset:180
	;; [unrolled: 1-line block ×48, first 2 shown]
	ds_read2_b64 v[4:7], v1 offset0:75 offset1:76
	ds_read2_b64 v[8:11], v1 offset0:77 offset1:78
	;; [unrolled: 1-line block ×6, first 2 shown]
	buffer_load_dword v197, off, s[0:3], 0 offset:352
	buffer_load_dword v198, off, s[0:3], 0 offset:356
	v_cmp_lt_u32_e32 vcc, 19, v0
	s_waitcnt vmcnt(49) lgkmcnt(5)
	v_mul_f32_e32 v28, v4, v52
	s_waitcnt vmcnt(48)
	v_mul_f32_e32 v29, v6, v54
	s_waitcnt vmcnt(47) lgkmcnt(4)
	v_mul_f32_e32 v30, v8, v62
	s_waitcnt vmcnt(46)
	v_mul_f32_e32 v31, v10, v74
	s_waitcnt vmcnt(45) lgkmcnt(3)
	v_mul_f32_e32 v32, v12, v75
	s_waitcnt vmcnt(44)
	v_mul_f32_e32 v33, v14, v76
	s_waitcnt vmcnt(43) lgkmcnt(2)
	v_mul_f32_e32 v34, v16, v77
	s_waitcnt vmcnt(42)
	v_mul_f32_e32 v35, v18, v78
	s_waitcnt vmcnt(41) lgkmcnt(1)
	v_mul_f32_e32 v36, v20, v79
	s_waitcnt vmcnt(40)
	v_mul_f32_e32 v37, v22, v80
	s_waitcnt vmcnt(39) lgkmcnt(0)
	v_mul_f32_e32 v38, v24, v81
	s_waitcnt vmcnt(38)
	v_mul_f32_e32 v39, v26, v82
	s_waitcnt vmcnt(37)
	v_fmac_f32_e32 v28, v5, v83
	s_waitcnt vmcnt(36)
	v_fmac_f32_e32 v29, v7, v84
	v_add_f32_e32 v28, 0, v28
	s_waitcnt vmcnt(35)
	v_fmac_f32_e32 v30, v9, v85
	v_add_f32_e32 v28, v28, v29
	;; [unrolled: 3-line block ×9, first 2 shown]
	v_add_f32_e32 v32, v28, v37
	ds_read2_b64 v[28:31], v1 offset0:87 offset1:88
	s_waitcnt vmcnt(27)
	v_fmac_f32_e32 v38, v25, v93
	v_add_f32_e32 v32, v32, v38
	s_waitcnt vmcnt(26)
	v_fmac_f32_e32 v39, v27, v94
	v_add_f32_e32 v36, v32, v39
	ds_read2_b64 v[32:35], v1 offset0:89 offset1:90
	s_waitcnt vmcnt(25) lgkmcnt(1)
	v_mul_f32_e32 v37, v28, v95
	s_waitcnt vmcnt(24)
	v_fmac_f32_e32 v37, v29, v96
	v_add_f32_e32 v36, v36, v37
	s_waitcnt vmcnt(23)
	v_mul_f32_e32 v37, v30, v97
	s_waitcnt vmcnt(22)
	v_fmac_f32_e32 v37, v31, v98
	v_add_f32_e32 v36, v36, v37
	s_waitcnt vmcnt(21) lgkmcnt(0)
	v_mul_f32_e32 v37, v32, v99
	s_waitcnt vmcnt(20)
	v_fmac_f32_e32 v37, v33, v100
	v_add_f32_e32 v40, v36, v37
	ds_read2_b64 v[36:39], v1 offset0:91 offset1:92
	s_waitcnt vmcnt(19)
	v_mul_f32_e32 v41, v34, v101
	s_waitcnt vmcnt(18)
	v_fmac_f32_e32 v41, v35, v102
	v_add_f32_e32 v44, v40, v41
	ds_read2_b64 v[40:43], v1 offset0:93 offset1:94
	s_waitcnt vmcnt(17) lgkmcnt(1)
	v_mul_f32_e32 v45, v36, v103
	s_waitcnt vmcnt(16)
	v_fmac_f32_e32 v45, v37, v104
	v_add_f32_e32 v44, v44, v45
	s_waitcnt vmcnt(15)
	v_mul_f32_e32 v45, v38, v105
	s_waitcnt vmcnt(14)
	v_fmac_f32_e32 v45, v39, v106
	v_add_f32_e32 v44, v44, v45
	s_waitcnt vmcnt(13) lgkmcnt(0)
	v_mul_f32_e32 v45, v40, v107
	s_waitcnt vmcnt(12)
	v_fmac_f32_e32 v45, v41, v108
	s_waitcnt vmcnt(11)
	v_mul_f32_e32 v49, v42, v109
	v_add_f32_e32 v48, v44, v45
	s_waitcnt vmcnt(10)
	v_fmac_f32_e32 v49, v43, v110
	ds_read2_b64 v[44:47], v1 offset0:95 offset1:96
	v_add_f32_e32 v53, v48, v49
	ds_read2_b64 v[48:51], v1 offset0:97 offset1:98
	buffer_load_dword v57, off, s[0:3], 0 offset:380
	buffer_load_dword v56, off, s[0:3], 0 offset:376
	;; [unrolled: 1-line block ×16, first 2 shown]
	v_mul_f32_e32 v5, v5, v52
	v_fma_f32 v4, v4, v83, -v5
	v_mul_f32_e32 v5, v7, v54
	v_add_f32_e32 v4, 0, v4
	v_fma_f32 v5, v6, v84, -v5
	v_add_f32_e32 v4, v4, v5
	v_mul_f32_e32 v5, v9, v62
	v_fma_f32 v5, v8, v85, -v5
	v_add_f32_e32 v4, v4, v5
	v_mul_f32_e32 v5, v11, v74
	v_fma_f32 v5, v10, v86, -v5
	v_add_f32_e32 v4, v4, v5
	v_mul_f32_e32 v5, v13, v75
	v_fma_f32 v5, v12, v87, -v5
	v_add_f32_e32 v4, v4, v5
	v_mul_f32_e32 v5, v15, v76
	v_fma_f32 v5, v14, v88, -v5
	v_add_f32_e32 v4, v4, v5
	v_mul_f32_e32 v5, v17, v77
	v_fma_f32 v5, v16, v89, -v5
	v_add_f32_e32 v4, v4, v5
	v_mul_f32_e32 v5, v19, v78
	v_fma_f32 v5, v18, v90, -v5
	v_add_f32_e32 v4, v4, v5
	v_mul_f32_e32 v5, v21, v79
	v_fma_f32 v5, v20, v91, -v5
	v_add_f32_e32 v4, v4, v5
	v_mul_f32_e32 v5, v23, v80
	v_fma_f32 v5, v22, v92, -v5
	v_add_f32_e32 v4, v4, v5
	v_mul_f32_e32 v5, v25, v81
	v_fma_f32 v5, v24, v93, -v5
	v_add_f32_e32 v4, v4, v5
	v_mul_f32_e32 v5, v27, v82
	v_fma_f32 v5, v26, v94, -v5
	v_add_f32_e32 v4, v4, v5
	v_mul_f32_e32 v5, v29, v95
	v_fma_f32 v5, v28, v96, -v5
	v_add_f32_e32 v4, v4, v5
	v_mul_f32_e32 v5, v31, v97
	v_fma_f32 v5, v30, v98, -v5
	v_add_f32_e32 v4, v4, v5
	v_mul_f32_e32 v5, v33, v99
	v_fma_f32 v5, v32, v100, -v5
	v_add_f32_e32 v4, v4, v5
	v_mul_f32_e32 v5, v35, v101
	v_fma_f32 v5, v34, v102, -v5
	v_add_f32_e32 v4, v4, v5
	v_mul_f32_e32 v5, v37, v103
	v_fma_f32 v5, v36, v104, -v5
	v_add_f32_e32 v4, v4, v5
	v_mul_f32_e32 v5, v39, v105
	v_fma_f32 v5, v38, v106, -v5
	v_add_f32_e32 v4, v4, v5
	v_mul_f32_e32 v5, v41, v107
	v_fma_f32 v5, v40, v108, -v5
	v_add_f32_e32 v4, v4, v5
	v_mul_f32_e32 v5, v43, v109
	v_fma_f32 v5, v42, v110, -v5
	v_add_f32_e32 v4, v4, v5
	s_waitcnt vmcnt(23) lgkmcnt(1)
	v_mul_f32_e32 v5, v45, v111
	s_waitcnt vmcnt(22)
	v_fma_f32 v5, v44, v192, -v5
	v_add_f32_e32 v4, v4, v5
	s_waitcnt vmcnt(20)
	v_mul_f32_e32 v5, v47, v194
	v_mul_f32_e32 v55, v44, v111
	v_fma_f32 v5, v46, v193, -v5
	v_fmac_f32_e32 v55, v45, v192
	v_add_f32_e32 v52, v4, v5
	s_waitcnt vmcnt(18) lgkmcnt(0)
	v_mul_f32_e32 v4, v49, v196
	v_add_f32_e32 v53, v53, v55
	v_mul_f32_e32 v55, v46, v194
	v_fma_f32 v54, v48, v195, -v4
	s_waitcnt vmcnt(16)
	v_mul_f32_e32 v4, v51, v198
	v_fmac_f32_e32 v55, v47, v193
	v_fma_f32 v62, v50, v197, -v4
	ds_read2_b64 v[4:7], v1 offset0:99 offset1:100
	ds_read2_b64 v[8:11], v1 offset0:101 offset1:102
	;; [unrolled: 1-line block ×4, first 2 shown]
	v_add_f32_e32 v53, v53, v55
	v_mul_f32_e32 v55, v48, v196
	s_waitcnt vmcnt(11)
	v_mov_b32_e32 v22, v61
	v_fmac_f32_e32 v55, v49, v195
	v_mul_f32_e32 v63, v50, v198
	s_waitcnt lgkmcnt(3)
	v_pk_mul_f32 v[22:23], v[4:5], v[22:23] op_sel_hi:[1,0]
	v_fmac_f32_e32 v63, v51, v197
	v_pk_add_f32 v[20:21], v[52:53], v[54:55]
	s_waitcnt vmcnt(10)
	v_pk_fma_f32 v[24:25], v[4:5], v[60:61], v[22:23] op_sel:[0,0,1] op_sel_hi:[1,1,0] neg_lo:[0,0,1] neg_hi:[0,0,1]
	v_pk_fma_f32 v[4:5], v[4:5], v[60:61], v[22:23] op_sel:[0,0,1] op_sel_hi:[1,0,0]
	v_pk_add_f32 v[20:21], v[20:21], v[62:63]
	v_mov_b32_e32 v25, v5
	v_pk_add_f32 v[4:5], v[20:21], v[24:25]
	v_mov_b32_e32 v20, v59
	v_pk_mul_f32 v[20:21], v[6:7], v[20:21] op_sel_hi:[1,0]
	v_pk_fma_f32 v[22:23], v[6:7], v[58:59], v[20:21] op_sel:[0,0,1] op_sel_hi:[1,1,0] neg_lo:[0,0,1] neg_hi:[0,0,1]
	v_pk_fma_f32 v[6:7], v[6:7], v[58:59], v[20:21] op_sel:[0,0,1] op_sel_hi:[1,0,0]
	v_mov_b32_e32 v6, v57
	v_mov_b32_e32 v23, v7
	s_waitcnt lgkmcnt(2)
	v_pk_mul_f32 v[6:7], v[8:9], v[6:7] op_sel_hi:[1,0]
	v_pk_fma_f32 v[20:21], v[8:9], v[56:57], v[6:7] op_sel:[0,0,1] op_sel_hi:[1,1,0] neg_lo:[0,0,1] neg_hi:[0,0,1]
	v_pk_fma_f32 v[6:7], v[8:9], v[56:57], v[6:7] op_sel:[0,0,1] op_sel_hi:[1,0,0]
	s_waitcnt vmcnt(3)
	v_mov_b32_e32 v6, v71
	v_mov_b32_e32 v21, v7
	v_pk_mul_f32 v[6:7], v[10:11], v[6:7] op_sel_hi:[1,0]
	s_waitcnt vmcnt(2)
	v_pk_fma_f32 v[8:9], v[10:11], v[70:71], v[6:7] op_sel:[0,0,1] op_sel_hi:[1,1,0] neg_lo:[0,0,1] neg_hi:[0,0,1]
	v_pk_fma_f32 v[6:7], v[10:11], v[70:71], v[6:7] op_sel:[0,0,1] op_sel_hi:[1,0,0]
	v_pk_add_f32 v[4:5], v[4:5], v[22:23]
	v_mov_b32_e32 v6, v69
	v_pk_add_f32 v[4:5], v[4:5], v[20:21]
	v_mov_b32_e32 v9, v7
	s_waitcnt lgkmcnt(1)
	v_pk_mul_f32 v[6:7], v[12:13], v[6:7] op_sel_hi:[1,0]
	v_pk_add_f32 v[4:5], v[4:5], v[8:9]
	v_pk_fma_f32 v[8:9], v[12:13], v[68:69], v[6:7] op_sel:[0,0,1] op_sel_hi:[1,1,0] neg_lo:[0,0,1] neg_hi:[0,0,1]
	v_pk_fma_f32 v[6:7], v[12:13], v[68:69], v[6:7] op_sel:[0,0,1] op_sel_hi:[1,0,0]
	v_mov_b32_e32 v6, v67
	v_mov_b32_e32 v9, v7
	v_pk_mul_f32 v[6:7], v[14:15], v[6:7] op_sel_hi:[1,0]
	v_pk_add_f32 v[4:5], v[4:5], v[8:9]
	v_pk_fma_f32 v[8:9], v[14:15], v[66:67], v[6:7] op_sel:[0,0,1] op_sel_hi:[1,1,0] neg_lo:[0,0,1] neg_hi:[0,0,1]
	v_pk_fma_f32 v[6:7], v[14:15], v[66:67], v[6:7] op_sel:[0,0,1] op_sel_hi:[1,0,0]
	v_mov_b32_e32 v6, v65
	v_mov_b32_e32 v9, v7
	s_waitcnt lgkmcnt(0)
	v_pk_mul_f32 v[6:7], v[16:17], v[6:7] op_sel_hi:[1,0]
	v_pk_add_f32 v[4:5], v[4:5], v[8:9]
	v_pk_fma_f32 v[8:9], v[16:17], v[64:65], v[6:7] op_sel:[0,0,1] op_sel_hi:[1,1,0] neg_lo:[0,0,1] neg_hi:[0,0,1]
	v_pk_fma_f32 v[6:7], v[16:17], v[64:65], v[6:7] op_sel:[0,0,1] op_sel_hi:[1,0,0]
	s_waitcnt vmcnt(1)
	v_mov_b32_e32 v6, v73
	v_mov_b32_e32 v9, v7
	v_pk_mul_f32 v[6:7], v[18:19], v[6:7] op_sel_hi:[1,0]
	v_pk_add_f32 v[4:5], v[4:5], v[8:9]
	s_waitcnt vmcnt(0)
	v_pk_fma_f32 v[8:9], v[18:19], v[72:73], v[6:7] op_sel:[0,0,1] op_sel_hi:[1,1,0] neg_lo:[0,0,1] neg_hi:[0,0,1]
	v_pk_fma_f32 v[6:7], v[18:19], v[72:73], v[6:7] op_sel:[0,0,1] op_sel_hi:[1,0,0]
	v_mov_b32_e32 v9, v7
	v_pk_add_f32 v[4:5], v[4:5], v[8:9]
	v_pk_add_f32 v[2:3], v[2:3], v[4:5] neg_lo:[0,1] neg_hi:[0,1]
	buffer_store_dword v3, off, s[0:3], 0 offset:164
	buffer_store_dword v2, off, s[0:3], 0 offset:160
	s_and_saveexec_b64 s[4:5], vcc
	s_cbranch_execz .LBB52_293
; %bb.292:
	buffer_load_dword v2, off, s[0:3], 0 offset:152
	buffer_load_dword v3, off, s[0:3], 0 offset:156
	v_mov_b32_e32 v1, 0
	v_accvgpr_read_b32 v4, a48
	buffer_store_dword v1, off, s[0:3], 0 offset:152
	buffer_store_dword v1, off, s[0:3], 0 offset:156
	s_waitcnt vmcnt(2)
	ds_write_b64 v4, v[2:3]
.LBB52_293:
	s_or_b64 exec, exec, s[4:5]
	s_waitcnt lgkmcnt(0)
	; wave barrier
	s_waitcnt lgkmcnt(0)
	buffer_load_dword v60, off, s[0:3], 0 offset:164
	buffer_load_dword v66, off, s[0:3], 0 offset:172
	;; [unrolled: 1-line block ×52, first 2 shown]
	v_mov_b32_e32 v1, 0
	ds_read_b128 v[4:7], v1 offset:592
	ds_read_b128 v[8:11], v1 offset:608
	;; [unrolled: 1-line block ×6, first 2 shown]
	v_cmp_lt_u32_e32 vcc, 18, v0
	s_waitcnt vmcnt(51) lgkmcnt(5)
	v_mul_f32_e32 v28, v4, v60
	s_waitcnt vmcnt(50)
	v_mul_f32_e32 v29, v6, v66
	s_waitcnt vmcnt(49) lgkmcnt(4)
	v_mul_f32_e32 v30, v8, v68
	s_waitcnt vmcnt(48)
	v_mul_f32_e32 v31, v10, v82
	s_waitcnt vmcnt(47) lgkmcnt(3)
	v_mul_f32_e32 v32, v12, v83
	s_waitcnt vmcnt(46)
	v_mul_f32_e32 v33, v14, v84
	s_waitcnt vmcnt(45) lgkmcnt(2)
	v_mul_f32_e32 v34, v16, v85
	s_waitcnt vmcnt(44)
	v_mul_f32_e32 v35, v18, v86
	s_waitcnt vmcnt(43) lgkmcnt(1)
	v_mul_f32_e32 v36, v20, v87
	s_waitcnt vmcnt(42)
	v_mul_f32_e32 v37, v22, v88
	s_waitcnt vmcnt(41) lgkmcnt(0)
	v_mul_f32_e32 v38, v24, v89
	s_waitcnt vmcnt(40)
	v_fmac_f32_e32 v28, v5, v90
	s_waitcnt vmcnt(39)
	v_fmac_f32_e32 v29, v7, v91
	v_add_f32_e32 v28, 0, v28
	s_waitcnt vmcnt(38)
	v_fmac_f32_e32 v30, v9, v92
	v_add_f32_e32 v28, v28, v29
	;; [unrolled: 3-line block ×9, first 2 shown]
	v_add_f32_e32 v28, v28, v37
	s_waitcnt vmcnt(30)
	v_fmac_f32_e32 v38, v25, v100
	v_add_f32_e32 v32, v28, v38
	ds_read_b128 v[28:31], v1 offset:688
	s_waitcnt vmcnt(29)
	v_mul_f32_e32 v33, v26, v101
	s_waitcnt vmcnt(28)
	v_fmac_f32_e32 v33, v27, v102
	v_add_f32_e32 v36, v32, v33
	ds_read_b128 v[32:35], v1 offset:704
	s_waitcnt vmcnt(27) lgkmcnt(1)
	v_mul_f32_e32 v37, v28, v103
	s_waitcnt vmcnt(26)
	v_fmac_f32_e32 v37, v29, v104
	v_add_f32_e32 v36, v36, v37
	s_waitcnt vmcnt(25)
	v_mul_f32_e32 v37, v30, v105
	s_waitcnt vmcnt(24)
	v_fmac_f32_e32 v37, v31, v106
	v_add_f32_e32 v36, v36, v37
	s_waitcnt vmcnt(23) lgkmcnt(0)
	v_mul_f32_e32 v37, v32, v107
	s_waitcnt vmcnt(22)
	v_fmac_f32_e32 v37, v33, v108
	v_add_f32_e32 v40, v36, v37
	ds_read_b128 v[36:39], v1 offset:720
	s_waitcnt vmcnt(21)
	v_mul_f32_e32 v41, v34, v109
	s_waitcnt vmcnt(20)
	v_fmac_f32_e32 v41, v35, v110
	v_add_f32_e32 v44, v40, v41
	ds_read_b128 v[40:43], v1 offset:736
	s_waitcnt vmcnt(19) lgkmcnt(1)
	v_mul_f32_e32 v45, v36, v111
	s_waitcnt vmcnt(18)
	v_fmac_f32_e32 v45, v37, v192
	v_add_f32_e32 v44, v44, v45
	s_waitcnt vmcnt(17)
	v_mul_f32_e32 v45, v38, v193
	s_waitcnt vmcnt(16)
	v_fmac_f32_e32 v45, v39, v194
	v_add_f32_e32 v44, v44, v45
	s_waitcnt vmcnt(14) lgkmcnt(0)
	v_mul_f32_e32 v45, v40, v196
	v_fmac_f32_e32 v45, v41, v195
	v_add_f32_e32 v48, v44, v45
	ds_read_b128 v[44:47], v1 offset:752
	s_waitcnt vmcnt(10)
	v_mul_f32_e32 v49, v42, v198
	v_fmac_f32_e32 v49, v43, v197
	v_add_f32_e32 v52, v48, v49
	ds_read_b128 v[48:51], v1 offset:768
	s_waitcnt vmcnt(8) lgkmcnt(1)
	v_mul_f32_e32 v53, v44, v200
	v_fmac_f32_e32 v53, v45, v199
	v_add_f32_e32 v52, v52, v53
	s_waitcnt vmcnt(6)
	v_mul_f32_e32 v53, v46, v202
	v_fmac_f32_e32 v53, v47, v201
	v_add_f32_e32 v52, v52, v53
	s_waitcnt vmcnt(4) lgkmcnt(0)
	v_mul_f32_e32 v53, v48, v204
	v_fmac_f32_e32 v53, v49, v203
	v_add_f32_e32 v61, v52, v53
	ds_read_b128 v[52:55], v1 offset:784
	buffer_load_dword v63, off, s[0:3], 0 offset:372
	buffer_load_dword v62, off, s[0:3], 0 offset:368
	;; [unrolled: 1-line block ×4, first 2 shown]
	ds_read_b128 v[56:59], v1 offset:800
	buffer_load_dword v71, off, s[0:3], 0 offset:404
	buffer_load_dword v70, off, s[0:3], 0 offset:400
	buffer_load_dword v73, off, s[0:3], 0 offset:396
	buffer_load_dword v72, off, s[0:3], 0 offset:392
	buffer_load_dword v75, off, s[0:3], 0 offset:388
	buffer_load_dword v74, off, s[0:3], 0 offset:384
	buffer_load_dword v77, off, s[0:3], 0 offset:380
	buffer_load_dword v76, off, s[0:3], 0 offset:376
	buffer_load_dword v79, off, s[0:3], 0 offset:420
	buffer_load_dword v78, off, s[0:3], 0 offset:416
	buffer_load_dword v81, off, s[0:3], 0 offset:412
	buffer_load_dword v80, off, s[0:3], 0 offset:408
	v_mul_f32_e32 v5, v5, v60
	v_fma_f32 v4, v4, v90, -v5
	v_mul_f32_e32 v5, v7, v66
	v_add_f32_e32 v4, 0, v4
	v_fma_f32 v5, v6, v91, -v5
	v_add_f32_e32 v4, v4, v5
	v_mul_f32_e32 v5, v9, v68
	v_fma_f32 v5, v8, v92, -v5
	v_add_f32_e32 v4, v4, v5
	v_mul_f32_e32 v5, v11, v82
	;; [unrolled: 3-line block ×21, first 2 shown]
	v_fma_f32 v5, v48, v203, -v5
	s_waitcnt vmcnt(18)
	v_mul_f32_e32 v67, v50, v206
	v_add_f32_e32 v60, v4, v5
	v_mul_f32_e32 v4, v51, v206
	v_fmac_f32_e32 v67, v51, v205
	s_waitcnt vmcnt(16) lgkmcnt(1)
	v_mul_f32_e32 v69, v52, v208
	v_fma_f32 v66, v50, v205, -v4
	v_mul_f32_e32 v4, v53, v208
	v_fmac_f32_e32 v69, v53, v207
	s_waitcnt vmcnt(13)
	v_mov_b32_e32 v16, v65
	v_pk_mul_f32 v[16:17], v[54:55], v[16:17] op_sel_hi:[1,0]
	s_waitcnt vmcnt(12)
	v_pk_fma_f32 v[18:19], v[54:55], v[64:65], v[16:17] op_sel:[0,0,1] op_sel_hi:[1,1,0] neg_lo:[0,0,1] neg_hi:[0,0,1]
	v_pk_fma_f32 v[16:17], v[54:55], v[64:65], v[16:17] op_sel:[0,0,1] op_sel_hi:[1,0,0]
	v_fma_f32 v68, v52, v207, -v4
	v_pk_add_f32 v[14:15], v[60:61], v[66:67]
	v_mov_b32_e32 v16, v63
	v_pk_add_f32 v[14:15], v[14:15], v[68:69]
	v_mov_b32_e32 v19, v17
	s_waitcnt lgkmcnt(0)
	v_pk_mul_f32 v[16:17], v[56:57], v[16:17] op_sel_hi:[1,0]
	v_pk_add_f32 v[14:15], v[14:15], v[18:19]
	v_pk_fma_f32 v[18:19], v[56:57], v[62:63], v[16:17] op_sel:[0,0,1] op_sel_hi:[1,1,0] neg_lo:[0,0,1] neg_hi:[0,0,1]
	v_pk_fma_f32 v[16:17], v[56:57], v[62:63], v[16:17] op_sel:[0,0,1] op_sel_hi:[1,0,0]
	s_waitcnt vmcnt(5)
	v_mov_b32_e32 v16, v77
	ds_read_b128 v[4:7], v1 offset:816
	ds_read_b128 v[8:11], v1 offset:832
	ds_read_b64 v[12:13], v1 offset:848
	v_mov_b32_e32 v19, v17
	v_pk_mul_f32 v[16:17], v[58:59], v[16:17] op_sel_hi:[1,0]
	v_pk_add_f32 v[14:15], v[14:15], v[18:19]
	s_waitcnt vmcnt(4)
	v_pk_fma_f32 v[18:19], v[58:59], v[76:77], v[16:17] op_sel:[0,0,1] op_sel_hi:[1,1,0] neg_lo:[0,0,1] neg_hi:[0,0,1]
	v_pk_fma_f32 v[16:17], v[58:59], v[76:77], v[16:17] op_sel:[0,0,1] op_sel_hi:[1,0,0]
	v_mov_b32_e32 v16, v75
	v_mov_b32_e32 v19, v17
	s_waitcnt lgkmcnt(2)
	v_pk_mul_f32 v[16:17], v[4:5], v[16:17] op_sel_hi:[1,0]
	v_pk_add_f32 v[14:15], v[14:15], v[18:19]
	v_pk_fma_f32 v[18:19], v[4:5], v[74:75], v[16:17] op_sel:[0,0,1] op_sel_hi:[1,1,0] neg_lo:[0,0,1] neg_hi:[0,0,1]
	v_pk_fma_f32 v[4:5], v[4:5], v[74:75], v[16:17] op_sel:[0,0,1] op_sel_hi:[1,0,0]
	v_mov_b32_e32 v19, v5
	v_pk_add_f32 v[4:5], v[14:15], v[18:19]
	v_mov_b32_e32 v14, v73
	v_pk_mul_f32 v[14:15], v[6:7], v[14:15] op_sel_hi:[1,0]
	v_pk_fma_f32 v[16:17], v[6:7], v[72:73], v[14:15] op_sel:[0,0,1] op_sel_hi:[1,1,0] neg_lo:[0,0,1] neg_hi:[0,0,1]
	v_pk_fma_f32 v[6:7], v[6:7], v[72:73], v[14:15] op_sel:[0,0,1] op_sel_hi:[1,0,0]
	v_mov_b32_e32 v6, v71
	v_mov_b32_e32 v17, v7
	s_waitcnt lgkmcnt(1)
	v_pk_mul_f32 v[6:7], v[8:9], v[6:7] op_sel_hi:[1,0]
	v_pk_fma_f32 v[14:15], v[8:9], v[70:71], v[6:7] op_sel:[0,0,1] op_sel_hi:[1,1,0] neg_lo:[0,0,1] neg_hi:[0,0,1]
	v_pk_fma_f32 v[6:7], v[8:9], v[70:71], v[6:7] op_sel:[0,0,1] op_sel_hi:[1,0,0]
	s_waitcnt vmcnt(1)
	v_mov_b32_e32 v6, v81
	v_mov_b32_e32 v15, v7
	v_pk_mul_f32 v[6:7], v[10:11], v[6:7] op_sel_hi:[1,0]
	s_waitcnt vmcnt(0)
	v_pk_fma_f32 v[8:9], v[10:11], v[80:81], v[6:7] op_sel:[0,0,1] op_sel_hi:[1,1,0] neg_lo:[0,0,1] neg_hi:[0,0,1]
	v_pk_fma_f32 v[6:7], v[10:11], v[80:81], v[6:7] op_sel:[0,0,1] op_sel_hi:[1,0,0]
	v_pk_add_f32 v[4:5], v[4:5], v[16:17]
	v_mov_b32_e32 v6, v79
	v_pk_add_f32 v[4:5], v[4:5], v[14:15]
	v_mov_b32_e32 v9, v7
	s_waitcnt lgkmcnt(0)
	v_pk_mul_f32 v[6:7], v[12:13], v[6:7] op_sel_hi:[1,0]
	v_pk_add_f32 v[4:5], v[4:5], v[8:9]
	v_pk_fma_f32 v[8:9], v[12:13], v[78:79], v[6:7] op_sel:[0,0,1] op_sel_hi:[1,1,0] neg_lo:[0,0,1] neg_hi:[0,0,1]
	v_pk_fma_f32 v[6:7], v[12:13], v[78:79], v[6:7] op_sel:[0,0,1] op_sel_hi:[1,0,0]
	v_mov_b32_e32 v9, v7
	v_pk_add_f32 v[4:5], v[4:5], v[8:9]
	v_pk_add_f32 v[2:3], v[2:3], v[4:5] neg_lo:[0,1] neg_hi:[0,1]
	buffer_store_dword v3, off, s[0:3], 0 offset:156
	buffer_store_dword v2, off, s[0:3], 0 offset:152
	s_and_saveexec_b64 s[4:5], vcc
	s_cbranch_execz .LBB52_295
; %bb.294:
	buffer_load_dword v2, off, s[0:3], 0 offset:144
	buffer_load_dword v3, off, s[0:3], 0 offset:148
	v_accvgpr_read_b32 v4, a48
	buffer_store_dword v1, off, s[0:3], 0 offset:144
	buffer_store_dword v1, off, s[0:3], 0 offset:148
	s_waitcnt vmcnt(2)
	ds_write_b64 v4, v[2:3]
.LBB52_295:
	s_or_b64 exec, exec, s[4:5]
	s_waitcnt lgkmcnt(0)
	; wave barrier
	s_waitcnt lgkmcnt(0)
	buffer_load_dword v62, off, s[0:3], 0 offset:156
	buffer_load_dword v64, off, s[0:3], 0 offset:164
	;; [unrolled: 1-line block ×42, first 2 shown]
	ds_read2_b64 v[4:7], v1 offset0:73 offset1:74
	ds_read2_b64 v[8:11], v1 offset0:75 offset1:76
	buffer_load_dword v199, off, s[0:3], 0 offset:312
	buffer_load_dword v200, off, s[0:3], 0 offset:316
	ds_read2_b64 v[12:15], v1 offset0:77 offset1:78
	ds_read2_b64 v[16:19], v1 offset0:79 offset1:80
	buffer_load_dword v201, off, s[0:3], 0 offset:320
	buffer_load_dword v202, off, s[0:3], 0 offset:324
	;; [unrolled: 1-line block ×4, first 2 shown]
	ds_read2_b64 v[20:23], v1 offset0:81 offset1:82
	ds_read2_b64 v[24:27], v1 offset0:83 offset1:84
	buffer_load_dword v205, off, s[0:3], 0 offset:336
	buffer_load_dword v206, off, s[0:3], 0 offset:340
	;; [unrolled: 1-line block ×6, first 2 shown]
	v_cmp_lt_u32_e32 vcc, 17, v0
	s_waitcnt vmcnt(53) lgkmcnt(5)
	v_mul_f32_e32 v28, v4, v62
	s_waitcnt vmcnt(52)
	v_mul_f32_e32 v29, v6, v64
	s_waitcnt vmcnt(51) lgkmcnt(4)
	v_mul_f32_e32 v30, v8, v66
	s_waitcnt vmcnt(50)
	v_mul_f32_e32 v31, v10, v82
	;; [unrolled: 4-line block ×5, first 2 shown]
	s_waitcnt vmcnt(43)
	v_fmac_f32_e32 v28, v5, v89
	s_waitcnt vmcnt(42)
	v_fmac_f32_e32 v29, v7, v90
	v_add_f32_e32 v28, 0, v28
	s_waitcnt vmcnt(41)
	v_fmac_f32_e32 v30, v9, v91
	v_add_f32_e32 v28, v28, v29
	;; [unrolled: 3-line block ×9, first 2 shown]
	s_waitcnt vmcnt(33) lgkmcnt(0)
	v_mul_f32_e32 v29, v24, v99
	v_add_f32_e32 v28, v28, v37
	s_waitcnt vmcnt(32)
	v_fmac_f32_e32 v29, v25, v100
	v_add_f32_e32 v32, v28, v29
	ds_read2_b64 v[28:31], v1 offset0:85 offset1:86
	s_waitcnt vmcnt(31)
	v_mul_f32_e32 v33, v26, v101
	s_waitcnt vmcnt(30)
	v_fmac_f32_e32 v33, v27, v102
	v_add_f32_e32 v36, v32, v33
	ds_read2_b64 v[32:35], v1 offset0:87 offset1:88
	s_waitcnt vmcnt(29) lgkmcnt(1)
	v_mul_f32_e32 v37, v28, v103
	s_waitcnt vmcnt(28)
	v_fmac_f32_e32 v37, v29, v104
	v_add_f32_e32 v36, v36, v37
	s_waitcnt vmcnt(27)
	v_mul_f32_e32 v37, v30, v105
	s_waitcnt vmcnt(26)
	v_fmac_f32_e32 v37, v31, v106
	v_add_f32_e32 v36, v36, v37
	s_waitcnt vmcnt(25) lgkmcnt(0)
	v_mul_f32_e32 v37, v32, v107
	s_waitcnt vmcnt(24)
	v_fmac_f32_e32 v37, v33, v108
	v_add_f32_e32 v40, v36, v37
	ds_read2_b64 v[36:39], v1 offset0:89 offset1:90
	s_waitcnt vmcnt(23)
	v_mul_f32_e32 v41, v34, v109
	s_waitcnt vmcnt(22)
	v_fmac_f32_e32 v41, v35, v110
	v_add_f32_e32 v44, v40, v41
	ds_read2_b64 v[40:43], v1 offset0:91 offset1:92
	s_waitcnt vmcnt(21) lgkmcnt(1)
	v_mul_f32_e32 v45, v36, v111
	s_waitcnt vmcnt(20)
	v_fmac_f32_e32 v45, v37, v192
	v_add_f32_e32 v44, v44, v45
	s_waitcnt vmcnt(18)
	v_mul_f32_e32 v45, v38, v194
	v_fmac_f32_e32 v45, v39, v193
	v_add_f32_e32 v44, v44, v45
	s_waitcnt vmcnt(15) lgkmcnt(0)
	v_mul_f32_e32 v45, v40, v195
	s_waitcnt vmcnt(14)
	v_fmac_f32_e32 v45, v41, v196
	v_add_f32_e32 v48, v44, v45
	ds_read2_b64 v[44:47], v1 offset0:93 offset1:94
	s_waitcnt vmcnt(12)
	v_mul_f32_e32 v49, v42, v198
	v_fmac_f32_e32 v49, v43, v197
	v_add_f32_e32 v52, v48, v49
	ds_read2_b64 v[48:51], v1 offset0:95 offset1:96
	buffer_load_dword v61, off, s[0:3], 0 offset:364
	buffer_load_dword v60, off, s[0:3], 0 offset:360
	s_waitcnt vmcnt(12) lgkmcnt(1)
	v_mul_f32_e32 v53, v44, v200
	v_fmac_f32_e32 v53, v45, v199
	v_add_f32_e32 v52, v52, v53
	s_waitcnt vmcnt(10)
	v_mul_f32_e32 v53, v46, v202
	v_fmac_f32_e32 v53, v47, v201
	v_add_f32_e32 v52, v52, v53
	s_waitcnt vmcnt(8) lgkmcnt(0)
	v_mul_f32_e32 v53, v48, v204
	v_fmac_f32_e32 v53, v49, v203
	s_waitcnt vmcnt(6)
	v_mul_f32_e32 v57, v50, v206
	v_add_f32_e32 v56, v52, v53
	v_fmac_f32_e32 v57, v51, v205
	ds_read2_b64 v[52:55], v1 offset0:97 offset1:98
	v_add_f32_e32 v63, v56, v57
	ds_read2_b64 v[56:59], v1 offset0:99 offset1:100
	buffer_load_dword v69, off, s[0:3], 0 offset:396
	buffer_load_dword v68, off, s[0:3], 0 offset:392
	;; [unrolled: 1-line block ×14, first 2 shown]
	v_mul_f32_e32 v5, v5, v62
	v_fma_f32 v4, v4, v89, -v5
	v_mul_f32_e32 v5, v7, v64
	v_add_f32_e32 v4, 0, v4
	v_fma_f32 v5, v6, v90, -v5
	v_add_f32_e32 v4, v4, v5
	v_mul_f32_e32 v5, v9, v66
	v_fma_f32 v5, v8, v91, -v5
	v_add_f32_e32 v4, v4, v5
	v_mul_f32_e32 v5, v11, v82
	;; [unrolled: 3-line block ×22, first 2 shown]
	v_fma_f32 v5, v50, v205, -v5
	s_waitcnt vmcnt(15)
	v_mov_b32_e32 v18, v61
	s_waitcnt lgkmcnt(1)
	v_mul_f32_e32 v65, v52, v208
	v_add_f32_e32 v62, v4, v5
	v_mul_f32_e32 v4, v53, v208
	s_waitcnt lgkmcnt(0)
	v_pk_mul_f32 v[18:19], v[56:57], v[18:19] op_sel_hi:[1,0]
	v_fmac_f32_e32 v65, v53, v207
	v_mul_f32_e32 v67, v54, v210
	v_fma_f32 v64, v52, v207, -v4
	v_mul_f32_e32 v4, v55, v210
	s_waitcnt vmcnt(14)
	v_pk_fma_f32 v[20:21], v[56:57], v[60:61], v[18:19] op_sel:[0,0,1] op_sel_hi:[1,1,0] neg_lo:[0,0,1] neg_hi:[0,0,1]
	v_pk_fma_f32 v[18:19], v[56:57], v[60:61], v[18:19] op_sel:[0,0,1] op_sel_hi:[1,0,0]
	v_fmac_f32_e32 v67, v55, v209
	v_fma_f32 v66, v54, v209, -v4
	v_pk_add_f32 v[16:17], v[62:63], v[64:65]
	s_waitcnt vmcnt(7)
	v_mov_b32_e32 v18, v75
	ds_read2_b64 v[4:7], v1 offset0:101 offset1:102
	ds_read2_b64 v[8:11], v1 offset0:103 offset1:104
	;; [unrolled: 1-line block ×3, first 2 shown]
	v_pk_add_f32 v[16:17], v[16:17], v[66:67]
	v_mov_b32_e32 v21, v19
	v_pk_mul_f32 v[18:19], v[58:59], v[18:19] op_sel_hi:[1,0]
	v_pk_add_f32 v[16:17], v[16:17], v[20:21]
	s_waitcnt vmcnt(6)
	v_pk_fma_f32 v[20:21], v[58:59], v[74:75], v[18:19] op_sel:[0,0,1] op_sel_hi:[1,1,0] neg_lo:[0,0,1] neg_hi:[0,0,1]
	v_pk_fma_f32 v[18:19], v[58:59], v[74:75], v[18:19] op_sel:[0,0,1] op_sel_hi:[1,0,0]
	v_mov_b32_e32 v18, v73
	v_mov_b32_e32 v21, v19
	s_waitcnt lgkmcnt(2)
	v_pk_mul_f32 v[18:19], v[4:5], v[18:19] op_sel_hi:[1,0]
	v_pk_add_f32 v[16:17], v[16:17], v[20:21]
	v_pk_fma_f32 v[20:21], v[4:5], v[72:73], v[18:19] op_sel:[0,0,1] op_sel_hi:[1,1,0] neg_lo:[0,0,1] neg_hi:[0,0,1]
	v_pk_fma_f32 v[4:5], v[4:5], v[72:73], v[18:19] op_sel:[0,0,1] op_sel_hi:[1,0,0]
	v_mov_b32_e32 v21, v5
	v_pk_add_f32 v[4:5], v[16:17], v[20:21]
	v_mov_b32_e32 v16, v71
	v_pk_mul_f32 v[16:17], v[6:7], v[16:17] op_sel_hi:[1,0]
	v_pk_fma_f32 v[18:19], v[6:7], v[70:71], v[16:17] op_sel:[0,0,1] op_sel_hi:[1,1,0] neg_lo:[0,0,1] neg_hi:[0,0,1]
	v_pk_fma_f32 v[6:7], v[6:7], v[70:71], v[16:17] op_sel:[0,0,1] op_sel_hi:[1,0,0]
	v_mov_b32_e32 v6, v69
	v_mov_b32_e32 v19, v7
	s_waitcnt lgkmcnt(1)
	v_pk_mul_f32 v[6:7], v[8:9], v[6:7] op_sel_hi:[1,0]
	v_pk_fma_f32 v[16:17], v[8:9], v[68:69], v[6:7] op_sel:[0,0,1] op_sel_hi:[1,1,0] neg_lo:[0,0,1] neg_hi:[0,0,1]
	v_pk_fma_f32 v[6:7], v[8:9], v[68:69], v[6:7] op_sel:[0,0,1] op_sel_hi:[1,0,0]
	s_waitcnt vmcnt(1)
	v_mov_b32_e32 v6, v81
	v_mov_b32_e32 v17, v7
	v_pk_mul_f32 v[6:7], v[10:11], v[6:7] op_sel_hi:[1,0]
	s_waitcnt vmcnt(0)
	v_pk_fma_f32 v[8:9], v[10:11], v[80:81], v[6:7] op_sel:[0,0,1] op_sel_hi:[1,1,0] neg_lo:[0,0,1] neg_hi:[0,0,1]
	v_pk_fma_f32 v[6:7], v[10:11], v[80:81], v[6:7] op_sel:[0,0,1] op_sel_hi:[1,0,0]
	v_pk_add_f32 v[4:5], v[4:5], v[18:19]
	v_mov_b32_e32 v6, v79
	v_pk_add_f32 v[4:5], v[4:5], v[16:17]
	v_mov_b32_e32 v9, v7
	s_waitcnt lgkmcnt(0)
	v_pk_mul_f32 v[6:7], v[12:13], v[6:7] op_sel_hi:[1,0]
	v_pk_add_f32 v[4:5], v[4:5], v[8:9]
	v_pk_fma_f32 v[8:9], v[12:13], v[78:79], v[6:7] op_sel:[0,0,1] op_sel_hi:[1,1,0] neg_lo:[0,0,1] neg_hi:[0,0,1]
	v_pk_fma_f32 v[6:7], v[12:13], v[78:79], v[6:7] op_sel:[0,0,1] op_sel_hi:[1,0,0]
	v_mov_b32_e32 v6, v77
	v_mov_b32_e32 v9, v7
	v_pk_mul_f32 v[6:7], v[14:15], v[6:7] op_sel_hi:[1,0]
	v_pk_add_f32 v[4:5], v[4:5], v[8:9]
	v_pk_fma_f32 v[8:9], v[14:15], v[76:77], v[6:7] op_sel:[0,0,1] op_sel_hi:[1,1,0] neg_lo:[0,0,1] neg_hi:[0,0,1]
	v_pk_fma_f32 v[6:7], v[14:15], v[76:77], v[6:7] op_sel:[0,0,1] op_sel_hi:[1,0,0]
	v_mov_b32_e32 v9, v7
	v_pk_add_f32 v[4:5], v[4:5], v[8:9]
	v_pk_add_f32 v[2:3], v[2:3], v[4:5] neg_lo:[0,1] neg_hi:[0,1]
	buffer_store_dword v3, off, s[0:3], 0 offset:148
	buffer_store_dword v2, off, s[0:3], 0 offset:144
	s_and_saveexec_b64 s[4:5], vcc
	s_cbranch_execz .LBB52_297
; %bb.296:
	buffer_load_dword v2, off, s[0:3], 0 offset:136
	buffer_load_dword v3, off, s[0:3], 0 offset:140
	v_mov_b32_e32 v1, 0
	v_accvgpr_read_b32 v4, a48
	buffer_store_dword v1, off, s[0:3], 0 offset:136
	buffer_store_dword v1, off, s[0:3], 0 offset:140
	s_waitcnt vmcnt(2)
	ds_write_b64 v4, v[2:3]
.LBB52_297:
	s_or_b64 exec, exec, s[4:5]
	s_waitcnt lgkmcnt(0)
	; wave barrier
	s_waitcnt lgkmcnt(0)
	buffer_load_dword v60, off, s[0:3], 0 offset:148
	buffer_load_dword v62, off, s[0:3], 0 offset:156
	;; [unrolled: 1-line block ×56, first 2 shown]
	v_mov_b32_e32 v1, 0
	ds_read_b128 v[4:7], v1 offset:576
	ds_read_b128 v[8:11], v1 offset:592
	ds_read_b128 v[12:15], v1 offset:608
	ds_read_b128 v[16:19], v1 offset:624
	ds_read_b128 v[20:23], v1 offset:640
	ds_read_b128 v[24:27], v1 offset:656
	v_cmp_lt_u32_e32 vcc, 16, v0
	s_waitcnt vmcnt(55) lgkmcnt(5)
	v_mul_f32_e32 v28, v4, v60
	s_waitcnt vmcnt(54)
	v_mul_f32_e32 v29, v6, v62
	s_waitcnt vmcnt(53) lgkmcnt(4)
	v_mul_f32_e32 v30, v8, v64
	s_waitcnt vmcnt(52)
	v_mul_f32_e32 v31, v10, v82
	;; [unrolled: 4-line block ×4, first 2 shown]
	s_waitcnt vmcnt(47) lgkmcnt(1)
	v_mul_f32_e32 v36, v20, v87
	s_waitcnt vmcnt(46)
	v_fmac_f32_e32 v28, v5, v88
	s_waitcnt vmcnt(45)
	v_fmac_f32_e32 v29, v7, v89
	v_add_f32_e32 v28, 0, v28
	s_waitcnt vmcnt(44)
	v_fmac_f32_e32 v30, v9, v90
	v_add_f32_e32 v28, v28, v29
	s_waitcnt vmcnt(43)
	v_fmac_f32_e32 v31, v11, v91
	v_add_f32_e32 v28, v28, v30
	s_waitcnt vmcnt(42)
	v_fmac_f32_e32 v32, v13, v92
	v_add_f32_e32 v28, v28, v31
	s_waitcnt vmcnt(41)
	v_fmac_f32_e32 v33, v15, v93
	v_add_f32_e32 v28, v28, v32
	s_waitcnt vmcnt(40)
	v_fmac_f32_e32 v34, v17, v94
	v_add_f32_e32 v28, v28, v33
	s_waitcnt vmcnt(39)
	v_fmac_f32_e32 v35, v19, v95
	v_add_f32_e32 v28, v28, v34
	v_add_f32_e32 v28, v28, v35
	s_waitcnt vmcnt(38)
	v_fmac_f32_e32 v36, v21, v96
	s_waitcnt vmcnt(37)
	v_mul_f32_e32 v29, v22, v97
	v_add_f32_e32 v28, v28, v36
	s_waitcnt vmcnt(36)
	v_fmac_f32_e32 v29, v23, v98
	v_add_f32_e32 v28, v28, v29
	s_waitcnt vmcnt(35) lgkmcnt(0)
	v_mul_f32_e32 v29, v24, v99
	s_waitcnt vmcnt(34)
	v_fmac_f32_e32 v29, v25, v100
	v_add_f32_e32 v32, v28, v29
	ds_read_b128 v[28:31], v1 offset:672
	s_waitcnt vmcnt(33)
	v_mul_f32_e32 v33, v26, v101
	s_waitcnt vmcnt(32)
	v_fmac_f32_e32 v33, v27, v102
	v_add_f32_e32 v36, v32, v33
	ds_read_b128 v[32:35], v1 offset:688
	s_waitcnt vmcnt(31) lgkmcnt(1)
	v_mul_f32_e32 v37, v28, v103
	s_waitcnt vmcnt(30)
	v_fmac_f32_e32 v37, v29, v104
	v_add_f32_e32 v36, v36, v37
	s_waitcnt vmcnt(29)
	v_mul_f32_e32 v37, v30, v105
	s_waitcnt vmcnt(28)
	v_fmac_f32_e32 v37, v31, v106
	v_add_f32_e32 v36, v36, v37
	s_waitcnt vmcnt(27) lgkmcnt(0)
	v_mul_f32_e32 v37, v32, v107
	s_waitcnt vmcnt(26)
	v_fmac_f32_e32 v37, v33, v108
	v_add_f32_e32 v40, v36, v37
	ds_read_b128 v[36:39], v1 offset:704
	s_waitcnt vmcnt(24)
	v_mul_f32_e32 v41, v34, v110
	v_fmac_f32_e32 v41, v35, v109
	v_add_f32_e32 v44, v40, v41
	ds_read_b128 v[40:43], v1 offset:720
	s_waitcnt vmcnt(20) lgkmcnt(1)
	v_mul_f32_e32 v45, v36, v192
	v_fmac_f32_e32 v45, v37, v111
	v_add_f32_e32 v44, v44, v45
	s_waitcnt vmcnt(18)
	v_mul_f32_e32 v45, v38, v194
	v_fmac_f32_e32 v45, v39, v193
	v_add_f32_e32 v44, v44, v45
	s_waitcnt vmcnt(16) lgkmcnt(0)
	v_mul_f32_e32 v45, v40, v196
	v_fmac_f32_e32 v45, v41, v195
	v_add_f32_e32 v48, v44, v45
	ds_read_b128 v[44:47], v1 offset:736
	s_waitcnt vmcnt(14)
	v_mul_f32_e32 v49, v42, v198
	v_fmac_f32_e32 v49, v43, v197
	v_add_f32_e32 v52, v48, v49
	ds_read_b128 v[48:51], v1 offset:752
	s_waitcnt vmcnt(12) lgkmcnt(1)
	v_mul_f32_e32 v53, v44, v200
	v_fmac_f32_e32 v53, v45, v199
	v_add_f32_e32 v52, v52, v53
	s_waitcnt vmcnt(10)
	v_mul_f32_e32 v53, v46, v202
	v_fmac_f32_e32 v53, v47, v201
	v_add_f32_e32 v52, v52, v53
	s_waitcnt vmcnt(8) lgkmcnt(0)
	v_mul_f32_e32 v53, v48, v204
	v_fmac_f32_e32 v53, v49, v203
	s_waitcnt vmcnt(6)
	v_mul_f32_e32 v57, v50, v206
	v_add_f32_e32 v56, v52, v53
	v_fmac_f32_e32 v57, v51, v205
	ds_read_b128 v[52:55], v1 offset:768
	v_add_f32_e32 v61, v56, v57
	ds_read_b128 v[56:59], v1 offset:784
	buffer_load_dword v67, off, s[0:3], 0 offset:388
	buffer_load_dword v66, off, s[0:3], 0 offset:384
	;; [unrolled: 1-line block ×16, first 2 shown]
	v_mul_f32_e32 v5, v5, v60
	v_fma_f32 v4, v4, v88, -v5
	v_mul_f32_e32 v5, v7, v62
	v_add_f32_e32 v4, 0, v4
	v_fma_f32 v5, v6, v89, -v5
	v_add_f32_e32 v4, v4, v5
	v_mul_f32_e32 v5, v9, v64
	v_fma_f32 v5, v8, v90, -v5
	v_add_f32_e32 v4, v4, v5
	v_mul_f32_e32 v5, v11, v82
	;; [unrolled: 3-line block ×22, first 2 shown]
	v_fma_f32 v5, v50, v205, -v5
	v_add_f32_e32 v4, v4, v5
	s_waitcnt vmcnt(20) lgkmcnt(1)
	v_mul_f32_e32 v5, v53, v208
	v_mul_f32_e32 v63, v52, v208
	v_fma_f32 v5, v52, v207, -v5
	v_fmac_f32_e32 v63, v53, v207
	v_add_f32_e32 v60, v4, v5
	s_waitcnt vmcnt(18)
	v_mul_f32_e32 v4, v55, v210
	s_waitcnt vmcnt(9)
	v_mov_b32_e32 v20, v73
	v_add_f32_e32 v61, v61, v63
	v_mul_f32_e32 v63, v54, v210
	v_fma_f32 v62, v54, v209, -v4
	s_waitcnt lgkmcnt(0)
	v_mul_f32_e32 v4, v57, v212
	v_pk_mul_f32 v[20:21], v[58:59], v[20:21] op_sel_hi:[1,0]
	v_fmac_f32_e32 v63, v55, v209
	v_mul_f32_e32 v65, v56, v212
	v_fma_f32 v64, v56, v211, -v4
	ds_read_b128 v[4:7], v1 offset:800
	ds_read_b128 v[8:11], v1 offset:816
	;; [unrolled: 1-line block ×3, first 2 shown]
	ds_read_b64 v[16:17], v1 offset:848
	s_waitcnt vmcnt(8)
	v_pk_fma_f32 v[22:23], v[58:59], v[72:73], v[20:21] op_sel:[0,0,1] op_sel_hi:[1,1,0] neg_lo:[0,0,1] neg_hi:[0,0,1]
	v_pk_fma_f32 v[20:21], v[58:59], v[72:73], v[20:21] op_sel:[0,0,1] op_sel_hi:[1,0,0]
	v_fmac_f32_e32 v65, v57, v211
	v_pk_add_f32 v[18:19], v[60:61], v[62:63]
	v_mov_b32_e32 v20, v71
	v_pk_add_f32 v[18:19], v[18:19], v[64:65]
	v_mov_b32_e32 v23, v21
	s_waitcnt lgkmcnt(3)
	v_pk_mul_f32 v[20:21], v[4:5], v[20:21] op_sel_hi:[1,0]
	v_pk_add_f32 v[18:19], v[18:19], v[22:23]
	v_pk_fma_f32 v[22:23], v[4:5], v[70:71], v[20:21] op_sel:[0,0,1] op_sel_hi:[1,1,0] neg_lo:[0,0,1] neg_hi:[0,0,1]
	v_pk_fma_f32 v[4:5], v[4:5], v[70:71], v[20:21] op_sel:[0,0,1] op_sel_hi:[1,0,0]
	v_mov_b32_e32 v23, v5
	v_pk_add_f32 v[4:5], v[18:19], v[22:23]
	v_mov_b32_e32 v18, v69
	v_pk_mul_f32 v[18:19], v[6:7], v[18:19] op_sel_hi:[1,0]
	v_pk_fma_f32 v[20:21], v[6:7], v[68:69], v[18:19] op_sel:[0,0,1] op_sel_hi:[1,1,0] neg_lo:[0,0,1] neg_hi:[0,0,1]
	v_pk_fma_f32 v[6:7], v[6:7], v[68:69], v[18:19] op_sel:[0,0,1] op_sel_hi:[1,0,0]
	v_mov_b32_e32 v6, v67
	v_mov_b32_e32 v21, v7
	s_waitcnt lgkmcnt(2)
	v_pk_mul_f32 v[6:7], v[8:9], v[6:7] op_sel_hi:[1,0]
	v_pk_fma_f32 v[18:19], v[8:9], v[66:67], v[6:7] op_sel:[0,0,1] op_sel_hi:[1,1,0] neg_lo:[0,0,1] neg_hi:[0,0,1]
	v_pk_fma_f32 v[6:7], v[8:9], v[66:67], v[6:7] op_sel:[0,0,1] op_sel_hi:[1,0,0]
	s_waitcnt vmcnt(1)
	v_mov_b32_e32 v6, v81
	v_mov_b32_e32 v19, v7
	v_pk_mul_f32 v[6:7], v[10:11], v[6:7] op_sel_hi:[1,0]
	s_waitcnt vmcnt(0)
	v_pk_fma_f32 v[8:9], v[10:11], v[80:81], v[6:7] op_sel:[0,0,1] op_sel_hi:[1,1,0] neg_lo:[0,0,1] neg_hi:[0,0,1]
	v_pk_fma_f32 v[6:7], v[10:11], v[80:81], v[6:7] op_sel:[0,0,1] op_sel_hi:[1,0,0]
	v_pk_add_f32 v[4:5], v[4:5], v[20:21]
	v_mov_b32_e32 v6, v79
	v_pk_add_f32 v[4:5], v[4:5], v[18:19]
	v_mov_b32_e32 v9, v7
	s_waitcnt lgkmcnt(1)
	v_pk_mul_f32 v[6:7], v[12:13], v[6:7] op_sel_hi:[1,0]
	v_pk_add_f32 v[4:5], v[4:5], v[8:9]
	v_pk_fma_f32 v[8:9], v[12:13], v[78:79], v[6:7] op_sel:[0,0,1] op_sel_hi:[1,1,0] neg_lo:[0,0,1] neg_hi:[0,0,1]
	v_pk_fma_f32 v[6:7], v[12:13], v[78:79], v[6:7] op_sel:[0,0,1] op_sel_hi:[1,0,0]
	v_mov_b32_e32 v6, v77
	v_mov_b32_e32 v9, v7
	v_pk_mul_f32 v[6:7], v[14:15], v[6:7] op_sel_hi:[1,0]
	v_pk_add_f32 v[4:5], v[4:5], v[8:9]
	v_pk_fma_f32 v[8:9], v[14:15], v[76:77], v[6:7] op_sel:[0,0,1] op_sel_hi:[1,1,0] neg_lo:[0,0,1] neg_hi:[0,0,1]
	v_pk_fma_f32 v[6:7], v[14:15], v[76:77], v[6:7] op_sel:[0,0,1] op_sel_hi:[1,0,0]
	v_mov_b32_e32 v6, v75
	v_mov_b32_e32 v9, v7
	s_waitcnt lgkmcnt(0)
	v_pk_mul_f32 v[6:7], v[16:17], v[6:7] op_sel_hi:[1,0]
	v_pk_add_f32 v[4:5], v[4:5], v[8:9]
	v_pk_fma_f32 v[8:9], v[16:17], v[74:75], v[6:7] op_sel:[0,0,1] op_sel_hi:[1,1,0] neg_lo:[0,0,1] neg_hi:[0,0,1]
	v_pk_fma_f32 v[6:7], v[16:17], v[74:75], v[6:7] op_sel:[0,0,1] op_sel_hi:[1,0,0]
	v_mov_b32_e32 v9, v7
	v_pk_add_f32 v[4:5], v[4:5], v[8:9]
	v_pk_add_f32 v[2:3], v[2:3], v[4:5] neg_lo:[0,1] neg_hi:[0,1]
	buffer_store_dword v3, off, s[0:3], 0 offset:140
	buffer_store_dword v2, off, s[0:3], 0 offset:136
	s_and_saveexec_b64 s[4:5], vcc
	s_cbranch_execz .LBB52_299
; %bb.298:
	buffer_load_dword v2, off, s[0:3], 0 offset:128
	buffer_load_dword v3, off, s[0:3], 0 offset:132
	v_accvgpr_read_b32 v4, a48
	buffer_store_dword v1, off, s[0:3], 0 offset:128
	buffer_store_dword v1, off, s[0:3], 0 offset:132
	s_waitcnt vmcnt(2)
	ds_write_b64 v4, v[2:3]
.LBB52_299:
	s_or_b64 exec, exec, s[4:5]
	s_waitcnt lgkmcnt(0)
	; wave barrier
	s_waitcnt lgkmcnt(0)
	buffer_load_dword v60, off, s[0:3], 0 offset:140
	buffer_load_dword v62, off, s[0:3], 0 offset:148
	;; [unrolled: 1-line block ×36, first 2 shown]
	ds_read2_b64 v[4:7], v1 offset0:71 offset1:72
	ds_read2_b64 v[8:11], v1 offset0:73 offset1:74
	buffer_load_dword v193, off, s[0:3], 0 offset:272
	buffer_load_dword v194, off, s[0:3], 0 offset:276
	;; [unrolled: 1-line block ×4, first 2 shown]
	ds_read2_b64 v[12:15], v1 offset0:75 offset1:76
	ds_read2_b64 v[16:19], v1 offset0:77 offset1:78
	buffer_load_dword v197, off, s[0:3], 0 offset:288
	buffer_load_dword v198, off, s[0:3], 0 offset:292
	ds_read2_b64 v[20:23], v1 offset0:79 offset1:80
	ds_read2_b64 v[24:27], v1 offset0:81 offset1:82
	buffer_load_dword v199, off, s[0:3], 0 offset:296
	buffer_load_dword v200, off, s[0:3], 0 offset:300
	;; [unrolled: 1-line block ×16, first 2 shown]
	v_cmp_lt_u32_e32 vcc, 15, v0
	s_waitcnt vmcnt(57) lgkmcnt(5)
	v_mul_f32_e32 v28, v4, v60
	s_waitcnt vmcnt(56)
	v_mul_f32_e32 v29, v6, v62
	s_waitcnt vmcnt(55) lgkmcnt(4)
	v_mul_f32_e32 v30, v8, v70
	s_waitcnt vmcnt(54)
	v_mul_f32_e32 v31, v10, v82
	;; [unrolled: 4-line block ×4, first 2 shown]
	s_waitcnt vmcnt(49)
	v_fmac_f32_e32 v28, v5, v87
	s_waitcnt vmcnt(48)
	v_fmac_f32_e32 v29, v7, v88
	v_add_f32_e32 v28, 0, v28
	s_waitcnt vmcnt(47)
	v_fmac_f32_e32 v30, v9, v89
	v_add_f32_e32 v28, v28, v29
	;; [unrolled: 3-line block ×7, first 2 shown]
	s_waitcnt vmcnt(41) lgkmcnt(1)
	v_mul_f32_e32 v29, v20, v95
	v_add_f32_e32 v28, v28, v35
	s_waitcnt vmcnt(40)
	v_fmac_f32_e32 v29, v21, v96
	v_add_f32_e32 v28, v28, v29
	s_waitcnt vmcnt(39)
	v_mul_f32_e32 v29, v22, v97
	s_waitcnt vmcnt(38)
	v_fmac_f32_e32 v29, v23, v98
	v_add_f32_e32 v28, v28, v29
	s_waitcnt vmcnt(37) lgkmcnt(0)
	v_mul_f32_e32 v29, v24, v99
	s_waitcnt vmcnt(36)
	v_fmac_f32_e32 v29, v25, v100
	v_add_f32_e32 v32, v28, v29
	ds_read2_b64 v[28:31], v1 offset0:83 offset1:84
	s_waitcnt vmcnt(35)
	v_mul_f32_e32 v33, v26, v101
	s_waitcnt vmcnt(34)
	v_fmac_f32_e32 v33, v27, v102
	v_add_f32_e32 v36, v32, v33
	ds_read2_b64 v[32:35], v1 offset0:85 offset1:86
	s_waitcnt vmcnt(33) lgkmcnt(1)
	v_mul_f32_e32 v37, v28, v103
	s_waitcnt vmcnt(32)
	v_fmac_f32_e32 v37, v29, v104
	v_add_f32_e32 v36, v36, v37
	s_waitcnt vmcnt(31)
	v_mul_f32_e32 v37, v30, v105
	s_waitcnt vmcnt(30)
	v_fmac_f32_e32 v37, v31, v106
	v_add_f32_e32 v36, v36, v37
	s_waitcnt vmcnt(29) lgkmcnt(0)
	v_mul_f32_e32 v37, v32, v107
	s_waitcnt vmcnt(28)
	v_fmac_f32_e32 v37, v33, v108
	v_add_f32_e32 v40, v36, v37
	ds_read2_b64 v[36:39], v1 offset0:87 offset1:88
	s_waitcnt vmcnt(25)
	v_mul_f32_e32 v41, v34, v109
	s_waitcnt vmcnt(24)
	v_fmac_f32_e32 v41, v35, v110
	v_add_f32_e32 v44, v40, v41
	ds_read2_b64 v[40:43], v1 offset0:89 offset1:90
	s_waitcnt vmcnt(22) lgkmcnt(1)
	v_mul_f32_e32 v45, v36, v192
	v_fmac_f32_e32 v45, v37, v111
	v_add_f32_e32 v44, v44, v45
	s_waitcnt vmcnt(20)
	v_mul_f32_e32 v45, v38, v194
	v_fmac_f32_e32 v45, v39, v193
	v_add_f32_e32 v44, v44, v45
	s_waitcnt vmcnt(18) lgkmcnt(0)
	v_mul_f32_e32 v45, v40, v196
	v_fmac_f32_e32 v45, v41, v195
	v_add_f32_e32 v48, v44, v45
	ds_read2_b64 v[44:47], v1 offset0:91 offset1:92
	s_waitcnt vmcnt(16)
	v_mul_f32_e32 v49, v42, v198
	v_fmac_f32_e32 v49, v43, v197
	v_add_f32_e32 v52, v48, v49
	ds_read2_b64 v[48:51], v1 offset0:93 offset1:94
	s_waitcnt vmcnt(14) lgkmcnt(1)
	v_mul_f32_e32 v53, v44, v200
	v_fmac_f32_e32 v53, v45, v199
	v_add_f32_e32 v52, v52, v53
	s_waitcnt vmcnt(12)
	v_mul_f32_e32 v53, v46, v202
	v_fmac_f32_e32 v53, v47, v201
	v_add_f32_e32 v52, v52, v53
	s_waitcnt vmcnt(10) lgkmcnt(0)
	v_mul_f32_e32 v53, v48, v204
	v_fmac_f32_e32 v53, v49, v203
	s_waitcnt vmcnt(8)
	v_mul_f32_e32 v57, v50, v206
	v_add_f32_e32 v56, v52, v53
	v_fmac_f32_e32 v57, v51, v205
	ds_read2_b64 v[52:55], v1 offset0:95 offset1:96
	v_add_f32_e32 v61, v56, v57
	ds_read2_b64 v[56:59], v1 offset0:97 offset1:98
	buffer_load_dword v65, off, s[0:3], 0 offset:380
	buffer_load_dword v64, off, s[0:3], 0 offset:376
	;; [unrolled: 1-line block ×16, first 2 shown]
	v_mul_f32_e32 v5, v5, v60
	v_fma_f32 v4, v4, v87, -v5
	v_mul_f32_e32 v5, v7, v62
	v_add_f32_e32 v4, 0, v4
	v_fma_f32 v5, v6, v88, -v5
	v_add_f32_e32 v4, v4, v5
	v_mul_f32_e32 v5, v9, v70
	v_fma_f32 v5, v8, v89, -v5
	v_add_f32_e32 v4, v4, v5
	v_mul_f32_e32 v5, v11, v82
	;; [unrolled: 3-line block ×22, first 2 shown]
	v_fma_f32 v5, v50, v205, -v5
	v_add_f32_e32 v4, v4, v5
	s_waitcnt vmcnt(22) lgkmcnt(1)
	v_mul_f32_e32 v5, v53, v208
	v_fma_f32 v5, v52, v207, -v5
	v_add_f32_e32 v4, v4, v5
	s_waitcnt vmcnt(20)
	v_mul_f32_e32 v5, v55, v210
	v_mul_f32_e32 v63, v52, v208
	v_fma_f32 v5, v54, v209, -v5
	v_fmac_f32_e32 v63, v53, v207
	v_add_f32_e32 v60, v4, v5
	s_waitcnt vmcnt(18) lgkmcnt(0)
	v_mul_f32_e32 v4, v57, v212
	v_add_f32_e32 v61, v61, v63
	v_mul_f32_e32 v63, v54, v210
	v_fma_f32 v62, v56, v211, -v4
	s_waitcnt vmcnt(16)
	v_mul_f32_e32 v4, v59, v214
	v_fmac_f32_e32 v63, v55, v209
	v_fma_f32 v70, v58, v213, -v4
	ds_read2_b64 v[4:7], v1 offset0:99 offset1:100
	ds_read2_b64 v[8:11], v1 offset0:101 offset1:102
	ds_read2_b64 v[12:15], v1 offset0:103 offset1:104
	ds_read2_b64 v[16:19], v1 offset0:105 offset1:106
	v_add_f32_e32 v61, v61, v63
	v_mul_f32_e32 v63, v56, v212
	s_waitcnt vmcnt(11)
	v_mov_b32_e32 v22, v69
	v_fmac_f32_e32 v63, v57, v211
	v_mul_f32_e32 v71, v58, v214
	s_waitcnt lgkmcnt(3)
	v_pk_mul_f32 v[22:23], v[4:5], v[22:23] op_sel_hi:[1,0]
	v_fmac_f32_e32 v71, v59, v213
	v_pk_add_f32 v[20:21], v[60:61], v[62:63]
	s_waitcnt vmcnt(10)
	v_pk_fma_f32 v[24:25], v[4:5], v[68:69], v[22:23] op_sel:[0,0,1] op_sel_hi:[1,1,0] neg_lo:[0,0,1] neg_hi:[0,0,1]
	v_pk_fma_f32 v[4:5], v[4:5], v[68:69], v[22:23] op_sel:[0,0,1] op_sel_hi:[1,0,0]
	v_pk_add_f32 v[20:21], v[20:21], v[70:71]
	v_mov_b32_e32 v25, v5
	v_pk_add_f32 v[4:5], v[20:21], v[24:25]
	v_mov_b32_e32 v20, v67
	v_pk_mul_f32 v[20:21], v[6:7], v[20:21] op_sel_hi:[1,0]
	v_pk_fma_f32 v[22:23], v[6:7], v[66:67], v[20:21] op_sel:[0,0,1] op_sel_hi:[1,1,0] neg_lo:[0,0,1] neg_hi:[0,0,1]
	v_pk_fma_f32 v[6:7], v[6:7], v[66:67], v[20:21] op_sel:[0,0,1] op_sel_hi:[1,0,0]
	v_mov_b32_e32 v6, v65
	v_mov_b32_e32 v23, v7
	s_waitcnt lgkmcnt(2)
	v_pk_mul_f32 v[6:7], v[8:9], v[6:7] op_sel_hi:[1,0]
	v_pk_fma_f32 v[20:21], v[8:9], v[64:65], v[6:7] op_sel:[0,0,1] op_sel_hi:[1,1,0] neg_lo:[0,0,1] neg_hi:[0,0,1]
	v_pk_fma_f32 v[6:7], v[8:9], v[64:65], v[6:7] op_sel:[0,0,1] op_sel_hi:[1,0,0]
	s_waitcnt vmcnt(3)
	v_mov_b32_e32 v6, v79
	v_mov_b32_e32 v21, v7
	v_pk_mul_f32 v[6:7], v[10:11], v[6:7] op_sel_hi:[1,0]
	s_waitcnt vmcnt(2)
	v_pk_fma_f32 v[8:9], v[10:11], v[78:79], v[6:7] op_sel:[0,0,1] op_sel_hi:[1,1,0] neg_lo:[0,0,1] neg_hi:[0,0,1]
	v_pk_fma_f32 v[6:7], v[10:11], v[78:79], v[6:7] op_sel:[0,0,1] op_sel_hi:[1,0,0]
	v_pk_add_f32 v[4:5], v[4:5], v[22:23]
	v_mov_b32_e32 v6, v77
	v_pk_add_f32 v[4:5], v[4:5], v[20:21]
	v_mov_b32_e32 v9, v7
	s_waitcnt lgkmcnt(1)
	v_pk_mul_f32 v[6:7], v[12:13], v[6:7] op_sel_hi:[1,0]
	v_pk_add_f32 v[4:5], v[4:5], v[8:9]
	v_pk_fma_f32 v[8:9], v[12:13], v[76:77], v[6:7] op_sel:[0,0,1] op_sel_hi:[1,1,0] neg_lo:[0,0,1] neg_hi:[0,0,1]
	v_pk_fma_f32 v[6:7], v[12:13], v[76:77], v[6:7] op_sel:[0,0,1] op_sel_hi:[1,0,0]
	v_mov_b32_e32 v6, v75
	v_mov_b32_e32 v9, v7
	v_pk_mul_f32 v[6:7], v[14:15], v[6:7] op_sel_hi:[1,0]
	v_pk_add_f32 v[4:5], v[4:5], v[8:9]
	v_pk_fma_f32 v[8:9], v[14:15], v[74:75], v[6:7] op_sel:[0,0,1] op_sel_hi:[1,1,0] neg_lo:[0,0,1] neg_hi:[0,0,1]
	v_pk_fma_f32 v[6:7], v[14:15], v[74:75], v[6:7] op_sel:[0,0,1] op_sel_hi:[1,0,0]
	v_mov_b32_e32 v6, v73
	v_mov_b32_e32 v9, v7
	s_waitcnt lgkmcnt(0)
	v_pk_mul_f32 v[6:7], v[16:17], v[6:7] op_sel_hi:[1,0]
	v_pk_add_f32 v[4:5], v[4:5], v[8:9]
	v_pk_fma_f32 v[8:9], v[16:17], v[72:73], v[6:7] op_sel:[0,0,1] op_sel_hi:[1,1,0] neg_lo:[0,0,1] neg_hi:[0,0,1]
	v_pk_fma_f32 v[6:7], v[16:17], v[72:73], v[6:7] op_sel:[0,0,1] op_sel_hi:[1,0,0]
	s_waitcnt vmcnt(1)
	v_mov_b32_e32 v6, v81
	v_mov_b32_e32 v9, v7
	v_pk_mul_f32 v[6:7], v[18:19], v[6:7] op_sel_hi:[1,0]
	v_pk_add_f32 v[4:5], v[4:5], v[8:9]
	s_waitcnt vmcnt(0)
	v_pk_fma_f32 v[8:9], v[18:19], v[80:81], v[6:7] op_sel:[0,0,1] op_sel_hi:[1,1,0] neg_lo:[0,0,1] neg_hi:[0,0,1]
	v_pk_fma_f32 v[6:7], v[18:19], v[80:81], v[6:7] op_sel:[0,0,1] op_sel_hi:[1,0,0]
	v_mov_b32_e32 v9, v7
	v_pk_add_f32 v[4:5], v[4:5], v[8:9]
	v_pk_add_f32 v[2:3], v[2:3], v[4:5] neg_lo:[0,1] neg_hi:[0,1]
	buffer_store_dword v3, off, s[0:3], 0 offset:132
	buffer_store_dword v2, off, s[0:3], 0 offset:128
	s_and_saveexec_b64 s[4:5], vcc
	s_cbranch_execz .LBB52_301
; %bb.300:
	buffer_load_dword v2, off, s[0:3], 0 offset:120
	buffer_load_dword v3, off, s[0:3], 0 offset:124
	v_mov_b32_e32 v1, 0
	v_accvgpr_read_b32 v4, a48
	buffer_store_dword v1, off, s[0:3], 0 offset:120
	buffer_store_dword v1, off, s[0:3], 0 offset:124
	s_waitcnt vmcnt(2)
	ds_write_b64 v4, v[2:3]
.LBB52_301:
	s_or_b64 exec, exec, s[4:5]
	s_waitcnt lgkmcnt(0)
	; wave barrier
	s_waitcnt lgkmcnt(0)
	buffer_load_dword v1, off, s[0:3], 0 offset:132
	buffer_load_dword v17, off, s[0:3], 0 offset:140
	;; [unrolled: 1-line block ×56, first 2 shown]
	v_mov_b32_e32 v16, 0
	ds_read_b128 v[2:5], v16 offset:560
	buffer_load_dword v221, off, s[0:3], 0 offset:344
	buffer_load_dword v222, off, s[0:3], 0 offset:348
	;; [unrolled: 1-line block ×4, first 2 shown]
	ds_read_b128 v[8:11], v16 offset:576
	ds_read_b128 v[12:15], v16 offset:592
	;; [unrolled: 1-line block ×3, first 2 shown]
	v_cmp_lt_u32_e32 vcc, 14, v0
	s_waitcnt vmcnt(59) lgkmcnt(3)
	v_mul_f32_e32 v22, v2, v1
	s_waitcnt vmcnt(58)
	v_mul_f32_e32 v23, v4, v17
	s_waitcnt vmcnt(57) lgkmcnt(2)
	v_mul_f32_e32 v24, v8, v70
	s_waitcnt vmcnt(56)
	v_mul_f32_e32 v25, v10, v76
	;; [unrolled: 4-line block ×3, first 2 shown]
	s_waitcnt vmcnt(53) lgkmcnt(0)
	v_mul_f32_e32 v28, v18, v93
	s_waitcnt vmcnt(52)
	v_fmac_f32_e32 v22, v3, v94
	s_waitcnt vmcnt(51)
	v_fmac_f32_e32 v23, v5, v95
	v_add_f32_e32 v22, 0, v22
	s_waitcnt vmcnt(50)
	v_fmac_f32_e32 v24, v9, v96
	v_add_f32_e32 v22, v22, v23
	s_waitcnt vmcnt(49)
	v_fmac_f32_e32 v25, v11, v97
	v_add_f32_e32 v22, v22, v24
	s_waitcnt vmcnt(48)
	v_fmac_f32_e32 v26, v13, v98
	v_add_f32_e32 v22, v22, v25
	s_waitcnt vmcnt(47)
	v_fmac_f32_e32 v27, v15, v99
	v_add_f32_e32 v22, v22, v26
	s_waitcnt vmcnt(46)
	v_fmac_f32_e32 v28, v19, v100
	v_add_f32_e32 v22, v22, v27
	v_add_f32_e32 v26, v22, v28
	ds_read_b128 v[22:25], v16 offset:624
	s_waitcnt vmcnt(45)
	v_mul_f32_e32 v27, v20, v101
	s_waitcnt vmcnt(44)
	v_fmac_f32_e32 v27, v21, v102
	v_add_f32_e32 v30, v26, v27
	ds_read_b128 v[26:29], v16 offset:640
	s_waitcnt vmcnt(43) lgkmcnt(1)
	v_mul_f32_e32 v31, v22, v103
	s_waitcnt vmcnt(42)
	v_fmac_f32_e32 v31, v23, v104
	v_add_f32_e32 v30, v30, v31
	s_waitcnt vmcnt(41)
	v_mul_f32_e32 v31, v24, v105
	s_waitcnt vmcnt(40)
	v_fmac_f32_e32 v31, v25, v106
	v_add_f32_e32 v30, v30, v31
	s_waitcnt vmcnt(39) lgkmcnt(0)
	v_mul_f32_e32 v31, v26, v107
	s_waitcnt vmcnt(38)
	v_fmac_f32_e32 v31, v27, v108
	v_add_f32_e32 v34, v30, v31
	ds_read_b128 v[30:33], v16 offset:656
	s_waitcnt vmcnt(37)
	v_mul_f32_e32 v35, v28, v109
	s_waitcnt vmcnt(36)
	v_fmac_f32_e32 v35, v29, v110
	v_add_f32_e32 v38, v34, v35
	ds_read_b128 v[34:37], v16 offset:672
	s_waitcnt vmcnt(34) lgkmcnt(1)
	v_mul_f32_e32 v39, v30, v192
	v_fmac_f32_e32 v39, v31, v111
	v_add_f32_e32 v38, v38, v39
	s_waitcnt vmcnt(31)
	v_mul_f32_e32 v39, v32, v193
	s_waitcnt vmcnt(30)
	v_fmac_f32_e32 v39, v33, v194
	v_add_f32_e32 v38, v38, v39
	s_waitcnt vmcnt(28) lgkmcnt(0)
	v_mul_f32_e32 v39, v34, v196
	v_fmac_f32_e32 v39, v35, v195
	v_add_f32_e32 v42, v38, v39
	ds_read_b128 v[38:41], v16 offset:688
	s_waitcnt vmcnt(26)
	v_mul_f32_e32 v43, v36, v198
	v_fmac_f32_e32 v43, v37, v197
	v_add_f32_e32 v46, v42, v43
	ds_read_b128 v[42:45], v16 offset:704
	s_waitcnt vmcnt(24) lgkmcnt(1)
	v_mul_f32_e32 v47, v38, v200
	v_fmac_f32_e32 v47, v39, v199
	v_add_f32_e32 v46, v46, v47
	s_waitcnt vmcnt(22)
	v_mul_f32_e32 v47, v40, v202
	v_fmac_f32_e32 v47, v41, v201
	v_add_f32_e32 v46, v46, v47
	s_waitcnt vmcnt(20) lgkmcnt(0)
	v_mul_f32_e32 v47, v42, v204
	v_fmac_f32_e32 v47, v43, v203
	v_add_f32_e32 v50, v46, v47
	ds_read_b128 v[46:49], v16 offset:720
	s_waitcnt vmcnt(18)
	v_mul_f32_e32 v51, v44, v206
	v_fmac_f32_e32 v51, v45, v205
	v_add_f32_e32 v54, v50, v51
	ds_read_b128 v[50:53], v16 offset:736
	s_waitcnt vmcnt(16) lgkmcnt(1)
	v_mul_f32_e32 v55, v46, v208
	v_fmac_f32_e32 v55, v47, v207
	v_add_f32_e32 v54, v54, v55
	s_waitcnt vmcnt(14)
	v_mul_f32_e32 v55, v48, v210
	;; [unrolled: 18-line block ×3, first 2 shown]
	v_fmac_f32_e32 v63, v57, v217
	v_add_f32_e32 v62, v62, v63
	s_waitcnt vmcnt(4) lgkmcnt(0)
	v_mul_f32_e32 v63, v58, v220
	v_fmac_f32_e32 v63, v59, v219
	v_add_f32_e32 v71, v62, v63
	ds_read_b128 v[62:65], v16 offset:784
	buffer_load_dword v73, off, s[0:3], 0 offset:372
	buffer_load_dword v72, off, s[0:3], 0 offset:368
	;; [unrolled: 1-line block ×4, first 2 shown]
	ds_read_b128 v[66:69], v16 offset:800
	buffer_load_dword v81, off, s[0:3], 0 offset:404
	buffer_load_dword v80, off, s[0:3], 0 offset:400
	;; [unrolled: 1-line block ×12, first 2 shown]
	v_mul_f32_e32 v1, v3, v1
	v_fma_f32 v1, v2, v94, -v1
	v_mul_f32_e32 v2, v5, v17
	v_add_f32_e32 v1, 0, v1
	v_fma_f32 v2, v4, v95, -v2
	v_add_f32_e32 v1, v1, v2
	v_mul_f32_e32 v2, v9, v70
	v_fma_f32 v2, v8, v96, -v2
	v_add_f32_e32 v1, v1, v2
	v_mul_f32_e32 v2, v11, v76
	v_fma_f32 v2, v10, v97, -v2
	v_add_f32_e32 v1, v1, v2
	v_mul_f32_e32 v2, v13, v78
	v_fma_f32 v2, v12, v98, -v2
	v_add_f32_e32 v1, v1, v2
	v_mul_f32_e32 v2, v15, v92
	v_fma_f32 v2, v14, v99, -v2
	v_add_f32_e32 v1, v1, v2
	v_mul_f32_e32 v2, v19, v93
	v_fma_f32 v2, v18, v100, -v2
	v_add_f32_e32 v1, v1, v2
	v_mul_f32_e32 v2, v21, v101
	v_fma_f32 v2, v20, v102, -v2
	v_add_f32_e32 v1, v1, v2
	v_mul_f32_e32 v2, v23, v103
	v_fma_f32 v2, v22, v104, -v2
	v_add_f32_e32 v1, v1, v2
	v_mul_f32_e32 v2, v25, v105
	v_fma_f32 v2, v24, v106, -v2
	v_add_f32_e32 v1, v1, v2
	v_mul_f32_e32 v2, v27, v107
	v_fma_f32 v2, v26, v108, -v2
	v_add_f32_e32 v1, v1, v2
	v_mul_f32_e32 v2, v29, v109
	v_fma_f32 v2, v28, v110, -v2
	v_add_f32_e32 v1, v1, v2
	v_mul_f32_e32 v2, v31, v192
	v_fma_f32 v2, v30, v111, -v2
	v_add_f32_e32 v1, v1, v2
	v_mul_f32_e32 v2, v33, v193
	v_fma_f32 v2, v32, v194, -v2
	v_add_f32_e32 v1, v1, v2
	v_mul_f32_e32 v2, v35, v196
	v_fma_f32 v2, v34, v195, -v2
	v_add_f32_e32 v1, v1, v2
	v_mul_f32_e32 v2, v37, v198
	v_fma_f32 v2, v36, v197, -v2
	v_add_f32_e32 v1, v1, v2
	v_mul_f32_e32 v2, v39, v200
	v_fma_f32 v2, v38, v199, -v2
	v_add_f32_e32 v1, v1, v2
	v_mul_f32_e32 v2, v41, v202
	v_fma_f32 v2, v40, v201, -v2
	v_add_f32_e32 v1, v1, v2
	v_mul_f32_e32 v2, v43, v204
	v_fma_f32 v2, v42, v203, -v2
	v_add_f32_e32 v1, v1, v2
	v_mul_f32_e32 v2, v45, v206
	v_fma_f32 v2, v44, v205, -v2
	v_add_f32_e32 v1, v1, v2
	v_mul_f32_e32 v2, v47, v208
	v_fma_f32 v2, v46, v207, -v2
	v_add_f32_e32 v1, v1, v2
	v_mul_f32_e32 v2, v49, v210
	v_fma_f32 v2, v48, v209, -v2
	v_add_f32_e32 v1, v1, v2
	v_mul_f32_e32 v2, v51, v212
	v_fma_f32 v2, v50, v211, -v2
	v_add_f32_e32 v1, v1, v2
	v_mul_f32_e32 v2, v53, v214
	v_fma_f32 v2, v52, v213, -v2
	v_add_f32_e32 v1, v1, v2
	v_mul_f32_e32 v2, v55, v216
	v_fma_f32 v2, v54, v215, -v2
	v_add_f32_e32 v1, v1, v2
	v_mul_f32_e32 v2, v57, v218
	v_fma_f32 v2, v56, v217, -v2
	v_add_f32_e32 v1, v1, v2
	v_mul_f32_e32 v2, v59, v220
	v_fma_f32 v2, v58, v219, -v2
	s_waitcnt vmcnt(13)
	v_mov_b32_e32 v18, v75
	v_mul_f32_e32 v77, v60, v222
	v_add_f32_e32 v70, v1, v2
	v_mul_f32_e32 v1, v61, v222
	s_waitcnt lgkmcnt(1)
	v_pk_mul_f32 v[18:19], v[64:65], v[18:19] op_sel_hi:[1,0]
	v_fmac_f32_e32 v77, v61, v221
	v_mul_f32_e32 v79, v62, v224
	v_fma_f32 v76, v60, v221, -v1
	v_mul_f32_e32 v1, v63, v224
	s_waitcnt vmcnt(12)
	v_pk_fma_f32 v[20:21], v[64:65], v[74:75], v[18:19] op_sel:[0,0,1] op_sel_hi:[1,1,0] neg_lo:[0,0,1] neg_hi:[0,0,1]
	v_pk_fma_f32 v[18:19], v[64:65], v[74:75], v[18:19] op_sel:[0,0,1] op_sel_hi:[1,0,0]
	v_fmac_f32_e32 v79, v63, v223
	v_fma_f32 v78, v62, v223, -v1
	v_pk_add_f32 v[14:15], v[70:71], v[76:77]
	v_mov_b32_e32 v18, v73
	v_pk_add_f32 v[14:15], v[14:15], v[78:79]
	v_mov_b32_e32 v21, v19
	s_waitcnt lgkmcnt(0)
	v_pk_mul_f32 v[18:19], v[66:67], v[18:19] op_sel_hi:[1,0]
	v_pk_add_f32 v[14:15], v[14:15], v[20:21]
	v_pk_fma_f32 v[20:21], v[66:67], v[72:73], v[18:19] op_sel:[0,0,1] op_sel_hi:[1,1,0] neg_lo:[0,0,1] neg_hi:[0,0,1]
	v_pk_fma_f32 v[18:19], v[66:67], v[72:73], v[18:19] op_sel:[0,0,1] op_sel_hi:[1,0,0]
	s_waitcnt vmcnt(5)
	v_mov_b32_e32 v18, v87
	ds_read_b128 v[2:5], v16 offset:816
	ds_read_b128 v[8:11], v16 offset:832
	ds_read_b64 v[12:13], v16 offset:848
	v_mov_b32_e32 v21, v19
	v_pk_mul_f32 v[18:19], v[68:69], v[18:19] op_sel_hi:[1,0]
	v_pk_add_f32 v[14:15], v[14:15], v[20:21]
	s_waitcnt vmcnt(4)
	v_pk_fma_f32 v[20:21], v[68:69], v[86:87], v[18:19] op_sel:[0,0,1] op_sel_hi:[1,1,0] neg_lo:[0,0,1] neg_hi:[0,0,1]
	v_pk_fma_f32 v[18:19], v[68:69], v[86:87], v[18:19] op_sel:[0,0,1] op_sel_hi:[1,0,0]
	v_mov_b32_e32 v18, v85
	v_mov_b32_e32 v21, v19
	s_waitcnt lgkmcnt(2)
	v_pk_mul_f32 v[18:19], v[2:3], v[18:19] op_sel_hi:[1,0]
	v_pk_add_f32 v[14:15], v[14:15], v[20:21]
	v_pk_fma_f32 v[20:21], v[2:3], v[84:85], v[18:19] op_sel:[0,0,1] op_sel_hi:[1,1,0] neg_lo:[0,0,1] neg_hi:[0,0,1]
	v_pk_fma_f32 v[2:3], v[2:3], v[84:85], v[18:19] op_sel:[0,0,1] op_sel_hi:[1,0,0]
	v_mov_b32_e32 v21, v3
	v_pk_add_f32 v[2:3], v[14:15], v[20:21]
	v_mov_b32_e32 v14, v83
	v_pk_mul_f32 v[14:15], v[4:5], v[14:15] op_sel_hi:[1,0]
	v_pk_fma_f32 v[18:19], v[4:5], v[82:83], v[14:15] op_sel:[0,0,1] op_sel_hi:[1,1,0] neg_lo:[0,0,1] neg_hi:[0,0,1]
	v_pk_fma_f32 v[4:5], v[4:5], v[82:83], v[14:15] op_sel:[0,0,1] op_sel_hi:[1,0,0]
	v_mov_b32_e32 v4, v81
	v_mov_b32_e32 v19, v5
	s_waitcnt lgkmcnt(1)
	v_pk_mul_f32 v[4:5], v[8:9], v[4:5] op_sel_hi:[1,0]
	v_pk_fma_f32 v[14:15], v[8:9], v[80:81], v[4:5] op_sel:[0,0,1] op_sel_hi:[1,1,0] neg_lo:[0,0,1] neg_hi:[0,0,1]
	v_pk_fma_f32 v[4:5], v[8:9], v[80:81], v[4:5] op_sel:[0,0,1] op_sel_hi:[1,0,0]
	s_waitcnt vmcnt(1)
	v_mov_b32_e32 v4, v91
	v_mov_b32_e32 v15, v5
	v_pk_mul_f32 v[4:5], v[10:11], v[4:5] op_sel_hi:[1,0]
	s_waitcnt vmcnt(0)
	v_pk_fma_f32 v[8:9], v[10:11], v[90:91], v[4:5] op_sel:[0,0,1] op_sel_hi:[1,1,0] neg_lo:[0,0,1] neg_hi:[0,0,1]
	v_pk_fma_f32 v[4:5], v[10:11], v[90:91], v[4:5] op_sel:[0,0,1] op_sel_hi:[1,0,0]
	v_pk_add_f32 v[2:3], v[2:3], v[18:19]
	v_mov_b32_e32 v4, v89
	v_pk_add_f32 v[2:3], v[2:3], v[14:15]
	v_mov_b32_e32 v9, v5
	s_waitcnt lgkmcnt(0)
	v_pk_mul_f32 v[4:5], v[12:13], v[4:5] op_sel_hi:[1,0]
	v_pk_add_f32 v[2:3], v[2:3], v[8:9]
	v_pk_fma_f32 v[8:9], v[12:13], v[88:89], v[4:5] op_sel:[0,0,1] op_sel_hi:[1,1,0] neg_lo:[0,0,1] neg_hi:[0,0,1]
	v_pk_fma_f32 v[4:5], v[12:13], v[88:89], v[4:5] op_sel:[0,0,1] op_sel_hi:[1,0,0]
	v_mov_b32_e32 v9, v5
	v_pk_add_f32 v[2:3], v[2:3], v[8:9]
	v_pk_add_f32 v[2:3], v[6:7], v[2:3] neg_lo:[0,1] neg_hi:[0,1]
	buffer_store_dword v3, off, s[0:3], 0 offset:124
	buffer_store_dword v2, off, s[0:3], 0 offset:120
	s_and_saveexec_b64 s[4:5], vcc
	s_cbranch_execz .LBB52_303
; %bb.302:
	buffer_load_dword v2, off, s[0:3], 0 offset:112
	buffer_load_dword v3, off, s[0:3], 0 offset:116
	v_accvgpr_read_b32 v1, a48
	buffer_store_dword v16, off, s[0:3], 0 offset:112
	buffer_store_dword v16, off, s[0:3], 0 offset:116
	s_waitcnt vmcnt(2)
	ds_write_b64 v1, v[2:3]
.LBB52_303:
	s_or_b64 exec, exec, s[4:5]
	s_waitcnt lgkmcnt(0)
	; wave barrier
	s_waitcnt lgkmcnt(0)
	buffer_load_dword v1, off, s[0:3], 0 offset:124
	buffer_load_dword v17, off, s[0:3], 0 offset:132
	;; [unrolled: 1-line block ×32, first 2 shown]
	ds_read2_b64 v[18:21], v16 offset0:69 offset1:70
	ds_read2_b64 v[6:9], v16 offset0:71 offset1:72
	buffer_load_dword v197, off, s[0:3], 0 offset:240
	buffer_load_dword v198, off, s[0:3], 0 offset:244
	ds_read2_b64 v[10:13], v16 offset0:73 offset1:74
	ds_read2_b64 v[2:5], v16 offset0:75 offset1:76
	buffer_load_dword v199, off, s[0:3], 0 offset:248
	buffer_load_dword v200, off, s[0:3], 0 offset:252
	buffer_load_dword v201, off, s[0:3], 0 offset:256
	buffer_load_dword v202, off, s[0:3], 0 offset:260
	buffer_load_dword v203, off, s[0:3], 0 offset:264
	buffer_load_dword v204, off, s[0:3], 0 offset:268
	buffer_load_dword v205, off, s[0:3], 0 offset:272
	buffer_load_dword v206, off, s[0:3], 0 offset:276
	buffer_load_dword v207, off, s[0:3], 0 offset:280
	buffer_load_dword v208, off, s[0:3], 0 offset:284
	buffer_load_dword v209, off, s[0:3], 0 offset:288
	buffer_load_dword v210, off, s[0:3], 0 offset:292
	buffer_load_dword v211, off, s[0:3], 0 offset:296
	buffer_load_dword v212, off, s[0:3], 0 offset:300
	buffer_load_dword v213, off, s[0:3], 0 offset:304
	buffer_load_dword v214, off, s[0:3], 0 offset:308
	buffer_load_dword v215, off, s[0:3], 0 offset:312
	buffer_load_dword v216, off, s[0:3], 0 offset:316
	buffer_load_dword v217, off, s[0:3], 0 offset:320
	buffer_load_dword v218, off, s[0:3], 0 offset:324
	buffer_load_dword v219, off, s[0:3], 0 offset:328
	buffer_load_dword v220, off, s[0:3], 0 offset:332
	buffer_load_dword v221, off, s[0:3], 0 offset:336
	buffer_load_dword v222, off, s[0:3], 0 offset:340
	buffer_load_dword v223, off, s[0:3], 0 offset:344
	buffer_load_dword v224, off, s[0:3], 0 offset:348
	buffer_load_dword v225, off, s[0:3], 0 offset:352
	buffer_load_dword v226, off, s[0:3], 0 offset:356
	v_cmp_lt_u32_e32 vcc, 13, v0
	s_waitcnt vmcnt(61) lgkmcnt(3)
	v_mul_f32_e32 v22, v18, v1
	s_waitcnt vmcnt(60)
	v_mul_f32_e32 v23, v20, v17
	s_waitcnt vmcnt(59) lgkmcnt(2)
	v_mul_f32_e32 v24, v6, v72
	s_waitcnt vmcnt(58)
	v_mul_f32_e32 v25, v8, v74
	;; [unrolled: 4-line block ×3, first 2 shown]
	s_waitcnt vmcnt(55) lgkmcnt(0)
	v_mul_f32_e32 v28, v2, v93
	s_waitcnt vmcnt(54)
	v_fmac_f32_e32 v22, v19, v94
	s_waitcnt vmcnt(53)
	v_fmac_f32_e32 v23, v21, v95
	v_add_f32_e32 v22, 0, v22
	s_waitcnt vmcnt(52)
	v_fmac_f32_e32 v24, v7, v96
	v_add_f32_e32 v22, v22, v23
	;; [unrolled: 3-line block ×6, first 2 shown]
	v_add_f32_e32 v26, v22, v28
	ds_read2_b64 v[22:25], v16 offset0:77 offset1:78
	s_waitcnt vmcnt(47)
	v_mul_f32_e32 v27, v4, v101
	s_waitcnt vmcnt(46)
	v_fmac_f32_e32 v27, v5, v102
	v_add_f32_e32 v30, v26, v27
	ds_read2_b64 v[26:29], v16 offset0:79 offset1:80
	s_waitcnt vmcnt(45) lgkmcnt(1)
	v_mul_f32_e32 v31, v22, v103
	s_waitcnt vmcnt(44)
	v_fmac_f32_e32 v31, v23, v104
	v_add_f32_e32 v30, v30, v31
	s_waitcnt vmcnt(43)
	v_mul_f32_e32 v31, v24, v105
	s_waitcnt vmcnt(42)
	v_fmac_f32_e32 v31, v25, v106
	v_add_f32_e32 v30, v30, v31
	s_waitcnt vmcnt(41) lgkmcnt(0)
	v_mul_f32_e32 v31, v26, v107
	s_waitcnt vmcnt(40)
	v_fmac_f32_e32 v31, v27, v108
	v_add_f32_e32 v34, v30, v31
	ds_read2_b64 v[30:33], v16 offset0:81 offset1:82
	s_waitcnt vmcnt(39)
	v_mul_f32_e32 v35, v28, v109
	s_waitcnt vmcnt(38)
	v_fmac_f32_e32 v35, v29, v110
	v_add_f32_e32 v38, v34, v35
	ds_read2_b64 v[34:37], v16 offset0:83 offset1:84
	s_waitcnt vmcnt(35) lgkmcnt(1)
	v_mul_f32_e32 v39, v30, v111
	s_waitcnt vmcnt(34)
	v_fmac_f32_e32 v39, v31, v192
	v_add_f32_e32 v38, v38, v39
	s_waitcnt vmcnt(32)
	v_mul_f32_e32 v39, v32, v194
	v_fmac_f32_e32 v39, v33, v193
	v_add_f32_e32 v38, v38, v39
	s_waitcnt vmcnt(30) lgkmcnt(0)
	v_mul_f32_e32 v39, v34, v196
	v_fmac_f32_e32 v39, v35, v195
	v_add_f32_e32 v42, v38, v39
	ds_read2_b64 v[38:41], v16 offset0:85 offset1:86
	s_waitcnt vmcnt(28)
	v_mul_f32_e32 v43, v36, v198
	v_fmac_f32_e32 v43, v37, v197
	v_add_f32_e32 v46, v42, v43
	ds_read2_b64 v[42:45], v16 offset0:87 offset1:88
	s_waitcnt vmcnt(26) lgkmcnt(1)
	v_mul_f32_e32 v47, v38, v200
	v_fmac_f32_e32 v47, v39, v199
	v_add_f32_e32 v46, v46, v47
	s_waitcnt vmcnt(24)
	v_mul_f32_e32 v47, v40, v202
	v_fmac_f32_e32 v47, v41, v201
	v_add_f32_e32 v46, v46, v47
	s_waitcnt vmcnt(22) lgkmcnt(0)
	v_mul_f32_e32 v47, v42, v204
	v_fmac_f32_e32 v47, v43, v203
	v_add_f32_e32 v50, v46, v47
	ds_read2_b64 v[46:49], v16 offset0:89 offset1:90
	s_waitcnt vmcnt(20)
	v_mul_f32_e32 v51, v44, v206
	v_fmac_f32_e32 v51, v45, v205
	v_add_f32_e32 v54, v50, v51
	ds_read2_b64 v[50:53], v16 offset0:91 offset1:92
	s_waitcnt vmcnt(18) lgkmcnt(1)
	v_mul_f32_e32 v55, v46, v208
	v_fmac_f32_e32 v55, v47, v207
	v_add_f32_e32 v54, v54, v55
	s_waitcnt vmcnt(16)
	v_mul_f32_e32 v55, v48, v210
	v_fmac_f32_e32 v55, v49, v209
	v_add_f32_e32 v54, v54, v55
	s_waitcnt vmcnt(14) lgkmcnt(0)
	v_mul_f32_e32 v55, v50, v212
	v_fmac_f32_e32 v55, v51, v211
	v_add_f32_e32 v58, v54, v55
	ds_read2_b64 v[54:57], v16 offset0:93 offset1:94
	s_waitcnt vmcnt(12)
	v_mul_f32_e32 v59, v52, v214
	v_fmac_f32_e32 v59, v53, v213
	v_add_f32_e32 v62, v58, v59
	ds_read2_b64 v[58:61], v16 offset0:95 offset1:96
	buffer_load_dword v71, off, s[0:3], 0 offset:364
	buffer_load_dword v70, off, s[0:3], 0 offset:360
	s_waitcnt vmcnt(12) lgkmcnt(1)
	v_mul_f32_e32 v63, v54, v216
	v_fmac_f32_e32 v63, v55, v215
	v_add_f32_e32 v62, v62, v63
	s_waitcnt vmcnt(10)
	v_mul_f32_e32 v63, v56, v218
	v_fmac_f32_e32 v63, v57, v217
	v_add_f32_e32 v62, v62, v63
	s_waitcnt vmcnt(8) lgkmcnt(0)
	v_mul_f32_e32 v63, v58, v220
	v_fmac_f32_e32 v63, v59, v219
	s_waitcnt vmcnt(6)
	v_mul_f32_e32 v67, v60, v222
	v_add_f32_e32 v66, v62, v63
	v_fmac_f32_e32 v67, v61, v221
	ds_read2_b64 v[62:65], v16 offset0:97 offset1:98
	v_add_f32_e32 v73, v66, v67
	ds_read2_b64 v[66:69], v16 offset0:99 offset1:100
	buffer_load_dword v79, off, s[0:3], 0 offset:396
	buffer_load_dword v78, off, s[0:3], 0 offset:392
	buffer_load_dword v81, off, s[0:3], 0 offset:388
	buffer_load_dword v80, off, s[0:3], 0 offset:384
	buffer_load_dword v83, off, s[0:3], 0 offset:380
	buffer_load_dword v82, off, s[0:3], 0 offset:376
	buffer_load_dword v85, off, s[0:3], 0 offset:372
	buffer_load_dword v84, off, s[0:3], 0 offset:368
	buffer_load_dword v87, off, s[0:3], 0 offset:420
	buffer_load_dword v86, off, s[0:3], 0 offset:416
	buffer_load_dword v89, off, s[0:3], 0 offset:412
	buffer_load_dword v88, off, s[0:3], 0 offset:408
	buffer_load_dword v91, off, s[0:3], 0 offset:404
	buffer_load_dword v90, off, s[0:3], 0 offset:400
	v_mul_f32_e32 v1, v19, v1
	v_fma_f32 v1, v18, v94, -v1
	v_mul_f32_e32 v17, v21, v17
	v_add_f32_e32 v1, 0, v1
	v_fma_f32 v17, v20, v95, -v17
	v_mul_f32_e32 v7, v7, v72
	v_add_f32_e32 v1, v1, v17
	v_fma_f32 v6, v6, v96, -v7
	v_add_f32_e32 v1, v1, v6
	v_mul_f32_e32 v6, v9, v74
	v_fma_f32 v6, v8, v97, -v6
	v_add_f32_e32 v1, v1, v6
	v_mul_f32_e32 v6, v11, v76
	;; [unrolled: 3-line block ×3, first 2 shown]
	v_fma_f32 v6, v12, v99, -v6
	v_mul_f32_e32 v3, v3, v93
	v_add_f32_e32 v1, v1, v6
	v_fma_f32 v2, v2, v100, -v3
	v_add_f32_e32 v1, v1, v2
	v_mul_f32_e32 v2, v5, v101
	v_fma_f32 v2, v4, v102, -v2
	v_add_f32_e32 v1, v1, v2
	v_mul_f32_e32 v2, v23, v103
	;; [unrolled: 3-line block ×21, first 2 shown]
	v_fma_f32 v2, v60, v221, -v2
	s_waitcnt vmcnt(15)
	v_mov_b32_e32 v18, v71
	s_waitcnt lgkmcnt(1)
	v_mul_f32_e32 v75, v62, v224
	v_add_f32_e32 v72, v1, v2
	v_mul_f32_e32 v1, v63, v224
	s_waitcnt lgkmcnt(0)
	v_pk_mul_f32 v[18:19], v[66:67], v[18:19] op_sel_hi:[1,0]
	v_fmac_f32_e32 v75, v63, v223
	v_mul_f32_e32 v77, v64, v226
	v_fma_f32 v74, v62, v223, -v1
	v_mul_f32_e32 v1, v65, v226
	s_waitcnt vmcnt(14)
	v_pk_fma_f32 v[20:21], v[66:67], v[70:71], v[18:19] op_sel:[0,0,1] op_sel_hi:[1,1,0] neg_lo:[0,0,1] neg_hi:[0,0,1]
	v_pk_fma_f32 v[18:19], v[66:67], v[70:71], v[18:19] op_sel:[0,0,1] op_sel_hi:[1,0,0]
	v_fmac_f32_e32 v77, v65, v225
	v_fma_f32 v76, v64, v225, -v1
	ds_read2_b64 v[2:5], v16 offset0:101 offset1:102
	ds_read2_b64 v[6:9], v16 offset0:103 offset1:104
	ds_read2_b64 v[10:13], v16 offset0:105 offset1:106
	v_pk_add_f32 v[16:17], v[72:73], v[74:75]
	s_waitcnt vmcnt(7)
	v_mov_b32_e32 v18, v85
	v_pk_add_f32 v[16:17], v[16:17], v[76:77]
	v_mov_b32_e32 v21, v19
	v_pk_mul_f32 v[18:19], v[68:69], v[18:19] op_sel_hi:[1,0]
	v_pk_add_f32 v[16:17], v[16:17], v[20:21]
	s_waitcnt vmcnt(6)
	v_pk_fma_f32 v[20:21], v[68:69], v[84:85], v[18:19] op_sel:[0,0,1] op_sel_hi:[1,1,0] neg_lo:[0,0,1] neg_hi:[0,0,1]
	v_pk_fma_f32 v[18:19], v[68:69], v[84:85], v[18:19] op_sel:[0,0,1] op_sel_hi:[1,0,0]
	v_mov_b32_e32 v18, v83
	v_mov_b32_e32 v21, v19
	s_waitcnt lgkmcnt(2)
	v_pk_mul_f32 v[18:19], v[2:3], v[18:19] op_sel_hi:[1,0]
	v_pk_add_f32 v[16:17], v[16:17], v[20:21]
	v_pk_fma_f32 v[20:21], v[2:3], v[82:83], v[18:19] op_sel:[0,0,1] op_sel_hi:[1,1,0] neg_lo:[0,0,1] neg_hi:[0,0,1]
	v_pk_fma_f32 v[2:3], v[2:3], v[82:83], v[18:19] op_sel:[0,0,1] op_sel_hi:[1,0,0]
	v_mov_b32_e32 v21, v3
	v_pk_add_f32 v[2:3], v[16:17], v[20:21]
	v_mov_b32_e32 v16, v81
	v_pk_mul_f32 v[16:17], v[4:5], v[16:17] op_sel_hi:[1,0]
	v_pk_fma_f32 v[18:19], v[4:5], v[80:81], v[16:17] op_sel:[0,0,1] op_sel_hi:[1,1,0] neg_lo:[0,0,1] neg_hi:[0,0,1]
	v_pk_fma_f32 v[4:5], v[4:5], v[80:81], v[16:17] op_sel:[0,0,1] op_sel_hi:[1,0,0]
	v_mov_b32_e32 v4, v79
	v_mov_b32_e32 v19, v5
	s_waitcnt lgkmcnt(1)
	v_pk_mul_f32 v[4:5], v[6:7], v[4:5] op_sel_hi:[1,0]
	v_pk_fma_f32 v[16:17], v[6:7], v[78:79], v[4:5] op_sel:[0,0,1] op_sel_hi:[1,1,0] neg_lo:[0,0,1] neg_hi:[0,0,1]
	v_pk_fma_f32 v[4:5], v[6:7], v[78:79], v[4:5] op_sel:[0,0,1] op_sel_hi:[1,0,0]
	s_waitcnt vmcnt(1)
	v_mov_b32_e32 v4, v91
	v_mov_b32_e32 v17, v5
	v_pk_mul_f32 v[4:5], v[8:9], v[4:5] op_sel_hi:[1,0]
	s_waitcnt vmcnt(0)
	v_pk_fma_f32 v[6:7], v[8:9], v[90:91], v[4:5] op_sel:[0,0,1] op_sel_hi:[1,1,0] neg_lo:[0,0,1] neg_hi:[0,0,1]
	v_pk_fma_f32 v[4:5], v[8:9], v[90:91], v[4:5] op_sel:[0,0,1] op_sel_hi:[1,0,0]
	v_pk_add_f32 v[2:3], v[2:3], v[18:19]
	v_mov_b32_e32 v4, v89
	v_pk_add_f32 v[2:3], v[2:3], v[16:17]
	v_mov_b32_e32 v7, v5
	s_waitcnt lgkmcnt(0)
	v_pk_mul_f32 v[4:5], v[10:11], v[4:5] op_sel_hi:[1,0]
	v_pk_add_f32 v[2:3], v[2:3], v[6:7]
	v_pk_fma_f32 v[6:7], v[10:11], v[88:89], v[4:5] op_sel:[0,0,1] op_sel_hi:[1,1,0] neg_lo:[0,0,1] neg_hi:[0,0,1]
	v_pk_fma_f32 v[4:5], v[10:11], v[88:89], v[4:5] op_sel:[0,0,1] op_sel_hi:[1,0,0]
	v_mov_b32_e32 v4, v87
	v_mov_b32_e32 v7, v5
	v_pk_mul_f32 v[4:5], v[12:13], v[4:5] op_sel_hi:[1,0]
	v_pk_add_f32 v[2:3], v[2:3], v[6:7]
	v_pk_fma_f32 v[6:7], v[12:13], v[86:87], v[4:5] op_sel:[0,0,1] op_sel_hi:[1,1,0] neg_lo:[0,0,1] neg_hi:[0,0,1]
	v_pk_fma_f32 v[4:5], v[12:13], v[86:87], v[4:5] op_sel:[0,0,1] op_sel_hi:[1,0,0]
	v_mov_b32_e32 v7, v5
	v_pk_add_f32 v[2:3], v[2:3], v[6:7]
	v_pk_add_f32 v[2:3], v[14:15], v[2:3] neg_lo:[0,1] neg_hi:[0,1]
	buffer_store_dword v3, off, s[0:3], 0 offset:116
	buffer_store_dword v2, off, s[0:3], 0 offset:112
	s_and_saveexec_b64 s[4:5], vcc
	s_cbranch_execz .LBB52_305
; %bb.304:
	buffer_load_dword v2, off, s[0:3], 0 offset:104
	buffer_load_dword v3, off, s[0:3], 0 offset:108
	v_mov_b32_e32 v1, 0
	v_accvgpr_read_b32 v4, a48
	buffer_store_dword v1, off, s[0:3], 0 offset:104
	buffer_store_dword v1, off, s[0:3], 0 offset:108
	s_waitcnt vmcnt(2)
	ds_write_b64 v4, v[2:3]
.LBB52_305:
	s_or_b64 exec, exec, s[4:5]
	s_waitcnt lgkmcnt(0)
	; wave barrier
	s_waitcnt lgkmcnt(0)
	buffer_load_dword v1, off, s[0:3], 0 offset:116
	buffer_load_dword v21, off, s[0:3], 0 offset:124
	;; [unrolled: 1-line block ×48, first 2 shown]
	v_mov_b32_e32 v20, 0
	ds_read_b128 v[2:5], v20 offset:544
	buffer_load_dword v213, off, s[0:3], 0 offset:296
	buffer_load_dword v214, off, s[0:3], 0 offset:300
	;; [unrolled: 1-line block ×8, first 2 shown]
	ds_read_b128 v[8:11], v20 offset:560
	ds_read_b128 v[12:15], v20 offset:576
	;; [unrolled: 1-line block ×3, first 2 shown]
	buffer_load_dword v221, off, s[0:3], 0 offset:328
	buffer_load_dword v222, off, s[0:3], 0 offset:332
	;; [unrolled: 1-line block ×8, first 2 shown]
	v_cmp_lt_u32_e32 vcc, 12, v0
	s_waitcnt vmcnt(62) lgkmcnt(3)
	v_mul_f32_e32 v22, v2, v1
	v_mul_f32_e32 v23, v4, v21
	s_waitcnt vmcnt(61) lgkmcnt(2)
	v_mul_f32_e32 v25, v10, v70
	s_waitcnt vmcnt(60) lgkmcnt(1)
	v_mul_f32_e32 v26, v12, v72
	s_waitcnt vmcnt(59)
	v_mul_f32_e32 v27, v14, v74
	s_waitcnt vmcnt(58)
	;; [unrolled: 2-line block ×3, first 2 shown]
	v_fmac_f32_e32 v24, v9, v93
	s_waitcnt vmcnt(56)
	v_fmac_f32_e32 v23, v5, v94
	s_waitcnt vmcnt(55)
	v_fmac_f32_e32 v22, v3, v95
	v_add_f32_e32 v22, 0, v22
	v_add_f32_e32 v22, v22, v23
	;; [unrolled: 1-line block ×3, first 2 shown]
	s_waitcnt vmcnt(51)
	v_fmac_f32_e32 v26, v13, v99
	s_waitcnt vmcnt(50)
	v_fmac_f32_e32 v25, v11, v100
	v_add_f32_e32 v22, v22, v25
	s_waitcnt lgkmcnt(0)
	v_mul_f32_e32 v28, v16, v96
	v_fmac_f32_e32 v27, v15, v98
	v_add_f32_e32 v22, v22, v26
	v_fmac_f32_e32 v28, v17, v97
	v_add_f32_e32 v22, v22, v27
	v_add_f32_e32 v26, v22, v28
	ds_read_b128 v[22:25], v20 offset:608
	s_waitcnt vmcnt(45)
	v_mul_f32_e32 v27, v18, v105
	s_waitcnt vmcnt(44)
	v_fmac_f32_e32 v27, v19, v106
	v_add_f32_e32 v30, v26, v27
	ds_read_b128 v[26:29], v20 offset:624
	s_waitcnt vmcnt(43) lgkmcnt(1)
	v_mul_f32_e32 v31, v22, v107
	v_fmac_f32_e32 v31, v23, v104
	v_add_f32_e32 v30, v30, v31
	s_waitcnt vmcnt(42)
	v_mul_f32_e32 v31, v24, v108
	v_fmac_f32_e32 v31, v25, v103
	v_add_f32_e32 v30, v30, v31
	s_waitcnt lgkmcnt(0)
	v_mul_f32_e32 v31, v26, v102
	v_fmac_f32_e32 v31, v27, v101
	v_add_f32_e32 v34, v30, v31
	ds_read_b128 v[30:33], v20 offset:640
	s_waitcnt vmcnt(38)
	v_mul_f32_e32 v35, v28, v110
	v_fmac_f32_e32 v35, v29, v109
	v_add_f32_e32 v38, v34, v35
	ds_read_b128 v[34:37], v20 offset:656
	s_waitcnt vmcnt(36) lgkmcnt(1)
	v_mul_f32_e32 v39, v30, v192
	v_fmac_f32_e32 v39, v31, v111
	v_add_f32_e32 v38, v38, v39
	s_waitcnt vmcnt(34)
	v_mul_f32_e32 v39, v32, v194
	v_fmac_f32_e32 v39, v33, v193
	v_add_f32_e32 v38, v38, v39
	s_waitcnt vmcnt(32) lgkmcnt(0)
	v_mul_f32_e32 v39, v34, v196
	v_fmac_f32_e32 v39, v35, v195
	v_add_f32_e32 v42, v38, v39
	ds_read_b128 v[38:41], v20 offset:672
	s_waitcnt vmcnt(30)
	v_mul_f32_e32 v43, v36, v198
	v_fmac_f32_e32 v43, v37, v197
	v_add_f32_e32 v46, v42, v43
	ds_read_b128 v[42:45], v20 offset:688
	s_waitcnt vmcnt(28) lgkmcnt(1)
	v_mul_f32_e32 v47, v38, v200
	v_fmac_f32_e32 v47, v39, v199
	v_add_f32_e32 v46, v46, v47
	s_waitcnt vmcnt(26)
	v_mul_f32_e32 v47, v40, v202
	v_fmac_f32_e32 v47, v41, v201
	v_add_f32_e32 v46, v46, v47
	s_waitcnt vmcnt(24) lgkmcnt(0)
	;; [unrolled: 18-line block ×4, first 2 shown]
	v_mul_f32_e32 v63, v58, v220
	v_fmac_f32_e32 v63, v59, v219
	s_waitcnt vmcnt(6)
	v_mul_f32_e32 v67, v60, v222
	v_add_f32_e32 v66, v62, v63
	v_fmac_f32_e32 v67, v61, v221
	ds_read_b128 v[62:65], v20 offset:768
	v_add_f32_e32 v71, v66, v67
	ds_read_b128 v[66:69], v20 offset:784
	buffer_load_dword v77, off, s[0:3], 0 offset:388
	buffer_load_dword v76, off, s[0:3], 0 offset:384
	;; [unrolled: 1-line block ×16, first 2 shown]
	v_mul_f32_e32 v1, v3, v1
	v_fma_f32 v1, v2, v95, -v1
	v_mul_f32_e32 v2, v5, v21
	v_add_f32_e32 v1, 0, v1
	v_fma_f32 v2, v4, v94, -v2
	v_add_f32_e32 v1, v1, v2
	v_mul_f32_e32 v2, v9, v92
	v_fma_f32 v2, v8, v93, -v2
	v_add_f32_e32 v1, v1, v2
	v_mul_f32_e32 v2, v11, v70
	;; [unrolled: 3-line block ×26, first 2 shown]
	v_fma_f32 v2, v60, v221, -v2
	s_waitcnt vmcnt(20) lgkmcnt(1)
	v_mul_f32_e32 v73, v62, v224
	v_add_f32_e32 v1, v1, v2
	v_mul_f32_e32 v2, v63, v224
	v_fmac_f32_e32 v73, v63, v223
	v_fma_f32 v2, v62, v223, -v2
	s_waitcnt vmcnt(9)
	v_mov_b32_e32 v22, v83
	v_add_f32_e32 v71, v71, v73
	v_mul_f32_e32 v73, v64, v226
	v_add_f32_e32 v70, v1, v2
	v_mul_f32_e32 v1, v65, v226
	s_waitcnt lgkmcnt(0)
	v_pk_mul_f32 v[22:23], v[68:69], v[22:23] op_sel_hi:[1,0]
	v_fmac_f32_e32 v73, v65, v225
	v_mul_f32_e32 v75, v66, v228
	v_fma_f32 v72, v64, v225, -v1
	v_mul_f32_e32 v1, v67, v228
	ds_read_b128 v[2:5], v20 offset:800
	ds_read_b128 v[8:11], v20 offset:816
	;; [unrolled: 1-line block ×3, first 2 shown]
	ds_read_b64 v[16:17], v20 offset:848
	s_waitcnt vmcnt(8)
	v_pk_fma_f32 v[24:25], v[68:69], v[82:83], v[22:23] op_sel:[0,0,1] op_sel_hi:[1,1,0] neg_lo:[0,0,1] neg_hi:[0,0,1]
	v_pk_fma_f32 v[22:23], v[68:69], v[82:83], v[22:23] op_sel:[0,0,1] op_sel_hi:[1,0,0]
	v_fmac_f32_e32 v75, v67, v227
	v_fma_f32 v74, v66, v227, -v1
	v_pk_add_f32 v[18:19], v[70:71], v[72:73]
	v_mov_b32_e32 v22, v81
	v_pk_add_f32 v[18:19], v[18:19], v[74:75]
	v_mov_b32_e32 v25, v23
	s_waitcnt lgkmcnt(3)
	v_pk_mul_f32 v[22:23], v[2:3], v[22:23] op_sel_hi:[1,0]
	v_pk_add_f32 v[18:19], v[18:19], v[24:25]
	v_pk_fma_f32 v[24:25], v[2:3], v[80:81], v[22:23] op_sel:[0,0,1] op_sel_hi:[1,1,0] neg_lo:[0,0,1] neg_hi:[0,0,1]
	v_pk_fma_f32 v[2:3], v[2:3], v[80:81], v[22:23] op_sel:[0,0,1] op_sel_hi:[1,0,0]
	v_mov_b32_e32 v25, v3
	v_pk_add_f32 v[2:3], v[18:19], v[24:25]
	v_mov_b32_e32 v18, v79
	v_pk_mul_f32 v[18:19], v[4:5], v[18:19] op_sel_hi:[1,0]
	v_pk_fma_f32 v[22:23], v[4:5], v[78:79], v[18:19] op_sel:[0,0,1] op_sel_hi:[1,1,0] neg_lo:[0,0,1] neg_hi:[0,0,1]
	v_pk_fma_f32 v[4:5], v[4:5], v[78:79], v[18:19] op_sel:[0,0,1] op_sel_hi:[1,0,0]
	v_mov_b32_e32 v4, v77
	v_mov_b32_e32 v23, v5
	s_waitcnt lgkmcnt(2)
	v_pk_mul_f32 v[4:5], v[8:9], v[4:5] op_sel_hi:[1,0]
	v_pk_fma_f32 v[18:19], v[8:9], v[76:77], v[4:5] op_sel:[0,0,1] op_sel_hi:[1,1,0] neg_lo:[0,0,1] neg_hi:[0,0,1]
	v_pk_fma_f32 v[4:5], v[8:9], v[76:77], v[4:5] op_sel:[0,0,1] op_sel_hi:[1,0,0]
	s_waitcnt vmcnt(1)
	v_mov_b32_e32 v4, v91
	v_mov_b32_e32 v19, v5
	v_pk_mul_f32 v[4:5], v[10:11], v[4:5] op_sel_hi:[1,0]
	s_waitcnt vmcnt(0)
	v_pk_fma_f32 v[8:9], v[10:11], v[90:91], v[4:5] op_sel:[0,0,1] op_sel_hi:[1,1,0] neg_lo:[0,0,1] neg_hi:[0,0,1]
	v_pk_fma_f32 v[4:5], v[10:11], v[90:91], v[4:5] op_sel:[0,0,1] op_sel_hi:[1,0,0]
	v_pk_add_f32 v[2:3], v[2:3], v[22:23]
	v_mov_b32_e32 v4, v89
	v_pk_add_f32 v[2:3], v[2:3], v[18:19]
	v_mov_b32_e32 v9, v5
	s_waitcnt lgkmcnt(1)
	v_pk_mul_f32 v[4:5], v[12:13], v[4:5] op_sel_hi:[1,0]
	v_pk_add_f32 v[2:3], v[2:3], v[8:9]
	v_pk_fma_f32 v[8:9], v[12:13], v[88:89], v[4:5] op_sel:[0,0,1] op_sel_hi:[1,1,0] neg_lo:[0,0,1] neg_hi:[0,0,1]
	v_pk_fma_f32 v[4:5], v[12:13], v[88:89], v[4:5] op_sel:[0,0,1] op_sel_hi:[1,0,0]
	v_mov_b32_e32 v4, v87
	v_mov_b32_e32 v9, v5
	v_pk_mul_f32 v[4:5], v[14:15], v[4:5] op_sel_hi:[1,0]
	v_pk_add_f32 v[2:3], v[2:3], v[8:9]
	v_pk_fma_f32 v[8:9], v[14:15], v[86:87], v[4:5] op_sel:[0,0,1] op_sel_hi:[1,1,0] neg_lo:[0,0,1] neg_hi:[0,0,1]
	v_pk_fma_f32 v[4:5], v[14:15], v[86:87], v[4:5] op_sel:[0,0,1] op_sel_hi:[1,0,0]
	v_mov_b32_e32 v4, v85
	v_mov_b32_e32 v9, v5
	s_waitcnt lgkmcnt(0)
	v_pk_mul_f32 v[4:5], v[16:17], v[4:5] op_sel_hi:[1,0]
	v_pk_add_f32 v[2:3], v[2:3], v[8:9]
	v_pk_fma_f32 v[8:9], v[16:17], v[84:85], v[4:5] op_sel:[0,0,1] op_sel_hi:[1,1,0] neg_lo:[0,0,1] neg_hi:[0,0,1]
	v_pk_fma_f32 v[4:5], v[16:17], v[84:85], v[4:5] op_sel:[0,0,1] op_sel_hi:[1,0,0]
	v_mov_b32_e32 v9, v5
	v_pk_add_f32 v[2:3], v[2:3], v[8:9]
	v_pk_add_f32 v[2:3], v[6:7], v[2:3] neg_lo:[0,1] neg_hi:[0,1]
	buffer_store_dword v3, off, s[0:3], 0 offset:108
	buffer_store_dword v2, off, s[0:3], 0 offset:104
	s_and_saveexec_b64 s[4:5], vcc
	s_cbranch_execz .LBB52_307
; %bb.306:
	buffer_load_dword v2, off, s[0:3], 0 offset:96
	buffer_load_dword v3, off, s[0:3], 0 offset:100
	v_accvgpr_read_b32 v1, a48
	buffer_store_dword v20, off, s[0:3], 0 offset:96
	buffer_store_dword v20, off, s[0:3], 0 offset:100
	s_waitcnt vmcnt(2)
	ds_write_b64 v1, v[2:3]
.LBB52_307:
	s_or_b64 exec, exec, s[4:5]
	s_waitcnt lgkmcnt(0)
	; wave barrier
	s_waitcnt lgkmcnt(0)
	buffer_load_dword v1, off, s[0:3], 0 offset:108
	buffer_load_dword v21, off, s[0:3], 0 offset:116
	;; [unrolled: 1-line block ×26, first 2 shown]
	ds_read2_b64 v[14:17], v20 offset0:67 offset1:68
	ds_read2_b64 v[6:9], v20 offset0:69 offset1:70
	buffer_load_dword v111, off, s[0:3], 0 offset:200
	buffer_load_dword v192, off, s[0:3], 0 offset:204
	ds_read2_b64 v[10:13], v20 offset0:71 offset1:72
	ds_read2_b64 v[2:5], v20 offset0:73 offset1:74
	buffer_load_dword v193, off, s[0:3], 0 offset:208
	buffer_load_dword v194, off, s[0:3], 0 offset:212
	buffer_load_dword v195, off, s[0:3], 0 offset:216
	buffer_load_dword v196, off, s[0:3], 0 offset:220
	buffer_load_dword v197, off, s[0:3], 0 offset:224
	buffer_load_dword v198, off, s[0:3], 0 offset:228
	buffer_load_dword v199, off, s[0:3], 0 offset:232
	buffer_load_dword v200, off, s[0:3], 0 offset:236
	buffer_load_dword v201, off, s[0:3], 0 offset:240
	buffer_load_dword v202, off, s[0:3], 0 offset:244
	buffer_load_dword v203, off, s[0:3], 0 offset:248
	buffer_load_dword v204, off, s[0:3], 0 offset:252
	buffer_load_dword v205, off, s[0:3], 0 offset:256
	buffer_load_dword v206, off, s[0:3], 0 offset:260
	buffer_load_dword v207, off, s[0:3], 0 offset:264
	buffer_load_dword v208, off, s[0:3], 0 offset:268
	buffer_load_dword v209, off, s[0:3], 0 offset:272
	buffer_load_dword v210, off, s[0:3], 0 offset:276
	buffer_load_dword v211, off, s[0:3], 0 offset:280
	buffer_load_dword v212, off, s[0:3], 0 offset:284
	buffer_load_dword v213, off, s[0:3], 0 offset:288
	buffer_load_dword v214, off, s[0:3], 0 offset:292
	buffer_load_dword v215, off, s[0:3], 0 offset:296
	buffer_load_dword v216, off, s[0:3], 0 offset:300
	buffer_load_dword v217, off, s[0:3], 0 offset:304
	buffer_load_dword v218, off, s[0:3], 0 offset:308
	buffer_load_dword v219, off, s[0:3], 0 offset:312
	buffer_load_dword v220, off, s[0:3], 0 offset:316
	buffer_load_dword v221, off, s[0:3], 0 offset:320
	buffer_load_dword v222, off, s[0:3], 0 offset:324
	buffer_load_dword v223, off, s[0:3], 0 offset:328
	buffer_load_dword v224, off, s[0:3], 0 offset:332
	v_cmp_lt_u32_e32 vcc, 11, v0
	s_waitcnt vmcnt(59) lgkmcnt(3)
	v_mul_f32_e32 v22, v14, v1
	s_waitcnt vmcnt(58)
	v_mul_f32_e32 v23, v16, v21
	s_waitcnt vmcnt(57) lgkmcnt(2)
	v_mul_f32_e32 v25, v8, v70
	s_waitcnt vmcnt(56) lgkmcnt(1)
	v_mul_f32_e32 v26, v10, v72
	s_waitcnt vmcnt(55)
	v_mul_f32_e32 v27, v12, v80
	s_waitcnt vmcnt(54)
	v_mul_f32_e32 v24, v6, v92
	s_waitcnt vmcnt(53) lgkmcnt(0)
	v_mul_f32_e32 v28, v2, v93
	s_waitcnt vmcnt(52)
	v_mul_f32_e32 v29, v4, v94
	s_waitcnt vmcnt(51)
	v_fmac_f32_e32 v24, v7, v95
	s_waitcnt vmcnt(50)
	v_fmac_f32_e32 v23, v17, v96
	;; [unrolled: 2-line block ×3, first 2 shown]
	v_add_f32_e32 v22, 0, v22
	v_add_f32_e32 v22, v22, v23
	;; [unrolled: 1-line block ×3, first 2 shown]
	s_waitcnt vmcnt(45)
	v_fmac_f32_e32 v25, v9, v101
	v_fmac_f32_e32 v26, v11, v100
	v_add_f32_e32 v22, v22, v25
	v_fmac_f32_e32 v27, v13, v99
	v_add_f32_e32 v22, v22, v26
	;; [unrolled: 2-line block ×3, first 2 shown]
	v_add_f32_e32 v26, v22, v28
	ds_read2_b64 v[22:25], v20 offset0:75 offset1:76
	s_waitcnt vmcnt(41)
	v_fmac_f32_e32 v29, v5, v105
	buffer_load_dword v225, off, s[0:3], 0 offset:336
	buffer_load_dword v226, off, s[0:3], 0 offset:340
	v_add_f32_e32 v30, v26, v29
	buffer_load_dword v227, off, s[0:3], 0 offset:344
	buffer_load_dword v228, off, s[0:3], 0 offset:348
	ds_read2_b64 v[26:29], v20 offset0:77 offset1:78
	s_waitcnt vmcnt(44) lgkmcnt(1)
	v_mul_f32_e32 v31, v22, v106
	v_fmac_f32_e32 v31, v23, v104
	v_add_f32_e32 v30, v30, v31
	s_waitcnt vmcnt(43)
	v_mul_f32_e32 v31, v24, v107
	v_fmac_f32_e32 v31, v25, v103
	v_add_f32_e32 v30, v30, v31
	s_waitcnt vmcnt(42) lgkmcnt(0)
	v_mul_f32_e32 v31, v26, v108
	v_fmac_f32_e32 v31, v27, v102
	buffer_load_dword v229, off, s[0:3], 0 offset:352
	buffer_load_dword v230, off, s[0:3], 0 offset:356
	v_add_f32_e32 v34, v30, v31
	ds_read2_b64 v[30:33], v20 offset0:79 offset1:80
	s_waitcnt vmcnt(40)
	v_mul_f32_e32 v35, v28, v110
	v_fmac_f32_e32 v35, v29, v109
	v_add_f32_e32 v38, v34, v35
	ds_read2_b64 v[34:37], v20 offset0:81 offset1:82
	s_waitcnt vmcnt(38) lgkmcnt(1)
	v_mul_f32_e32 v39, v30, v192
	v_fmac_f32_e32 v39, v31, v111
	v_add_f32_e32 v38, v38, v39
	s_waitcnt vmcnt(36)
	v_mul_f32_e32 v39, v32, v194
	v_fmac_f32_e32 v39, v33, v193
	v_add_f32_e32 v38, v38, v39
	s_waitcnt vmcnt(34) lgkmcnt(0)
	v_mul_f32_e32 v39, v34, v196
	v_fmac_f32_e32 v39, v35, v195
	v_add_f32_e32 v42, v38, v39
	ds_read2_b64 v[38:41], v20 offset0:83 offset1:84
	s_waitcnt vmcnt(32)
	v_mul_f32_e32 v43, v36, v198
	v_fmac_f32_e32 v43, v37, v197
	v_add_f32_e32 v46, v42, v43
	ds_read2_b64 v[42:45], v20 offset0:85 offset1:86
	s_waitcnt vmcnt(30) lgkmcnt(1)
	v_mul_f32_e32 v47, v38, v200
	v_fmac_f32_e32 v47, v39, v199
	v_add_f32_e32 v46, v46, v47
	s_waitcnt vmcnt(28)
	v_mul_f32_e32 v47, v40, v202
	v_fmac_f32_e32 v47, v41, v201
	v_add_f32_e32 v46, v46, v47
	s_waitcnt vmcnt(26) lgkmcnt(0)
	v_mul_f32_e32 v47, v42, v204
	v_fmac_f32_e32 v47, v43, v203
	;; [unrolled: 18-line block ×4, first 2 shown]
	s_waitcnt vmcnt(8)
	v_mul_f32_e32 v67, v60, v222
	v_add_f32_e32 v66, v62, v63
	v_fmac_f32_e32 v67, v61, v221
	ds_read2_b64 v[62:65], v20 offset0:95 offset1:96
	v_add_f32_e32 v71, v66, v67
	ds_read2_b64 v[66:69], v20 offset0:97 offset1:98
	buffer_load_dword v75, off, s[0:3], 0 offset:380
	buffer_load_dword v74, off, s[0:3], 0 offset:376
	;; [unrolled: 1-line block ×16, first 2 shown]
	v_mul_f32_e32 v1, v15, v1
	v_fma_f32 v1, v14, v97, -v1
	v_mul_f32_e32 v14, v17, v21
	v_add_f32_e32 v1, 0, v1
	v_fma_f32 v14, v16, v96, -v14
	v_mul_f32_e32 v7, v7, v92
	v_add_f32_e32 v1, v1, v14
	v_fma_f32 v6, v6, v95, -v7
	v_add_f32_e32 v1, v1, v6
	v_mul_f32_e32 v6, v9, v70
	v_fma_f32 v6, v8, v101, -v6
	v_add_f32_e32 v1, v1, v6
	v_mul_f32_e32 v6, v11, v72
	;; [unrolled: 3-line block ×3, first 2 shown]
	v_fma_f32 v6, v12, v99, -v6
	v_mul_f32_e32 v3, v3, v93
	v_add_f32_e32 v1, v1, v6
	v_fma_f32 v2, v2, v98, -v3
	v_add_f32_e32 v1, v1, v2
	v_mul_f32_e32 v2, v5, v94
	v_fma_f32 v2, v4, v105, -v2
	v_add_f32_e32 v1, v1, v2
	v_mul_f32_e32 v2, v23, v106
	;; [unrolled: 3-line block ×21, first 2 shown]
	v_fma_f32 v2, v60, v221, -v2
	v_add_f32_e32 v1, v1, v2
	s_waitcnt vmcnt(22) lgkmcnt(1)
	v_mul_f32_e32 v2, v63, v224
	v_mul_f32_e32 v73, v62, v224
	v_fma_f32 v2, v62, v223, -v2
	v_fmac_f32_e32 v73, v63, v223
	v_add_f32_e32 v1, v1, v2
	s_waitcnt vmcnt(20)
	v_mul_f32_e32 v2, v65, v226
	v_add_f32_e32 v71, v71, v73
	v_mul_f32_e32 v73, v64, v226
	v_fma_f32 v2, v64, v225, -v2
	v_fmac_f32_e32 v73, v65, v225
	v_add_f32_e32 v70, v1, v2
	ds_read2_b64 v[2:5], v20 offset0:99 offset1:100
	ds_read2_b64 v[6:9], v20 offset0:101 offset1:102
	;; [unrolled: 1-line block ×4, first 2 shown]
	v_add_f32_e32 v71, v71, v73
	s_waitcnt vmcnt(18) lgkmcnt(4)
	v_mul_f32_e32 v73, v66, v228
	v_mul_f32_e32 v1, v67, v228
	s_waitcnt vmcnt(11)
	v_mov_b32_e32 v22, v79
	v_fmac_f32_e32 v73, v67, v227
	v_mul_f32_e32 v81, v68, v230
	v_fma_f32 v72, v66, v227, -v1
	v_mul_f32_e32 v1, v69, v230
	s_waitcnt lgkmcnt(3)
	v_pk_mul_f32 v[22:23], v[2:3], v[22:23] op_sel_hi:[1,0]
	v_fmac_f32_e32 v81, v69, v229
	v_fma_f32 v80, v68, v229, -v1
	v_pk_add_f32 v[20:21], v[70:71], v[72:73]
	s_waitcnt vmcnt(10)
	v_pk_fma_f32 v[24:25], v[2:3], v[78:79], v[22:23] op_sel:[0,0,1] op_sel_hi:[1,1,0] neg_lo:[0,0,1] neg_hi:[0,0,1]
	v_pk_fma_f32 v[2:3], v[2:3], v[78:79], v[22:23] op_sel:[0,0,1] op_sel_hi:[1,0,0]
	v_pk_add_f32 v[20:21], v[20:21], v[80:81]
	v_mov_b32_e32 v25, v3
	v_pk_add_f32 v[2:3], v[20:21], v[24:25]
	v_mov_b32_e32 v20, v77
	v_pk_mul_f32 v[20:21], v[4:5], v[20:21] op_sel_hi:[1,0]
	v_pk_fma_f32 v[22:23], v[4:5], v[76:77], v[20:21] op_sel:[0,0,1] op_sel_hi:[1,1,0] neg_lo:[0,0,1] neg_hi:[0,0,1]
	v_pk_fma_f32 v[4:5], v[4:5], v[76:77], v[20:21] op_sel:[0,0,1] op_sel_hi:[1,0,0]
	v_mov_b32_e32 v4, v75
	v_mov_b32_e32 v23, v5
	s_waitcnt lgkmcnt(2)
	v_pk_mul_f32 v[4:5], v[6:7], v[4:5] op_sel_hi:[1,0]
	v_pk_fma_f32 v[20:21], v[6:7], v[74:75], v[4:5] op_sel:[0,0,1] op_sel_hi:[1,1,0] neg_lo:[0,0,1] neg_hi:[0,0,1]
	v_pk_fma_f32 v[4:5], v[6:7], v[74:75], v[4:5] op_sel:[0,0,1] op_sel_hi:[1,0,0]
	s_waitcnt vmcnt(3)
	v_mov_b32_e32 v4, v89
	v_mov_b32_e32 v21, v5
	v_pk_mul_f32 v[4:5], v[8:9], v[4:5] op_sel_hi:[1,0]
	s_waitcnt vmcnt(2)
	v_pk_fma_f32 v[6:7], v[8:9], v[88:89], v[4:5] op_sel:[0,0,1] op_sel_hi:[1,1,0] neg_lo:[0,0,1] neg_hi:[0,0,1]
	v_pk_fma_f32 v[4:5], v[8:9], v[88:89], v[4:5] op_sel:[0,0,1] op_sel_hi:[1,0,0]
	v_pk_add_f32 v[2:3], v[2:3], v[22:23]
	v_mov_b32_e32 v4, v87
	v_pk_add_f32 v[2:3], v[2:3], v[20:21]
	v_mov_b32_e32 v7, v5
	s_waitcnt lgkmcnt(1)
	v_pk_mul_f32 v[4:5], v[10:11], v[4:5] op_sel_hi:[1,0]
	v_pk_add_f32 v[2:3], v[2:3], v[6:7]
	v_pk_fma_f32 v[6:7], v[10:11], v[86:87], v[4:5] op_sel:[0,0,1] op_sel_hi:[1,1,0] neg_lo:[0,0,1] neg_hi:[0,0,1]
	v_pk_fma_f32 v[4:5], v[10:11], v[86:87], v[4:5] op_sel:[0,0,1] op_sel_hi:[1,0,0]
	v_mov_b32_e32 v4, v85
	v_mov_b32_e32 v7, v5
	v_pk_mul_f32 v[4:5], v[12:13], v[4:5] op_sel_hi:[1,0]
	v_pk_add_f32 v[2:3], v[2:3], v[6:7]
	v_pk_fma_f32 v[6:7], v[12:13], v[84:85], v[4:5] op_sel:[0,0,1] op_sel_hi:[1,1,0] neg_lo:[0,0,1] neg_hi:[0,0,1]
	v_pk_fma_f32 v[4:5], v[12:13], v[84:85], v[4:5] op_sel:[0,0,1] op_sel_hi:[1,0,0]
	v_mov_b32_e32 v4, v83
	v_mov_b32_e32 v7, v5
	s_waitcnt lgkmcnt(0)
	v_pk_mul_f32 v[4:5], v[14:15], v[4:5] op_sel_hi:[1,0]
	v_pk_add_f32 v[2:3], v[2:3], v[6:7]
	v_pk_fma_f32 v[6:7], v[14:15], v[82:83], v[4:5] op_sel:[0,0,1] op_sel_hi:[1,1,0] neg_lo:[0,0,1] neg_hi:[0,0,1]
	v_pk_fma_f32 v[4:5], v[14:15], v[82:83], v[4:5] op_sel:[0,0,1] op_sel_hi:[1,0,0]
	s_waitcnt vmcnt(1)
	v_mov_b32_e32 v4, v91
	v_mov_b32_e32 v7, v5
	v_pk_mul_f32 v[4:5], v[16:17], v[4:5] op_sel_hi:[1,0]
	v_pk_add_f32 v[2:3], v[2:3], v[6:7]
	s_waitcnt vmcnt(0)
	v_pk_fma_f32 v[6:7], v[16:17], v[90:91], v[4:5] op_sel:[0,0,1] op_sel_hi:[1,1,0] neg_lo:[0,0,1] neg_hi:[0,0,1]
	v_pk_fma_f32 v[4:5], v[16:17], v[90:91], v[4:5] op_sel:[0,0,1] op_sel_hi:[1,0,0]
	v_mov_b32_e32 v7, v5
	v_pk_add_f32 v[2:3], v[2:3], v[6:7]
	v_pk_add_f32 v[2:3], v[18:19], v[2:3] neg_lo:[0,1] neg_hi:[0,1]
	buffer_store_dword v3, off, s[0:3], 0 offset:100
	buffer_store_dword v2, off, s[0:3], 0 offset:96
	s_and_saveexec_b64 s[4:5], vcc
	s_cbranch_execz .LBB52_309
; %bb.308:
	buffer_load_dword v2, off, s[0:3], 0 offset:88
	buffer_load_dword v3, off, s[0:3], 0 offset:92
	v_mov_b32_e32 v1, 0
	v_accvgpr_read_b32 v4, a48
	buffer_store_dword v1, off, s[0:3], 0 offset:88
	buffer_store_dword v1, off, s[0:3], 0 offset:92
	s_waitcnt vmcnt(2)
	ds_write_b64 v4, v[2:3]
.LBB52_309:
	s_or_b64 exec, exec, s[4:5]
	v_mov_b32_e32 v200, 0
	s_waitcnt lgkmcnt(0)
	; wave barrier
	s_waitcnt lgkmcnt(0)
	ds_read_b128 v[14:17], v200 offset:528
	ds_read_b128 v[10:13], v200 offset:544
	ds_read_b128 v[6:9], v200 offset:560
	ds_read_b128 v[2:5], v200 offset:576
	buffer_load_dword v70, off, s[0:3], 0 offset:88
	buffer_load_dword v71, off, s[0:3], 0 offset:92
	;; [unrolled: 1-line block ×16, first 2 shown]
	v_cmp_lt_u32_e32 vcc, 10, v0
	s_waitcnt vmcnt(12) lgkmcnt(3)
	v_mul_f32_e32 v1, v14, v201
	v_fmac_f32_e32 v1, v15, v72
	s_waitcnt vmcnt(10)
	v_mul_f32_e32 v18, v16, v203
	v_add_f32_e32 v1, 0, v1
	v_fmac_f32_e32 v18, v17, v74
	v_add_f32_e32 v1, v1, v18
	s_waitcnt vmcnt(8) lgkmcnt(2)
	v_mul_f32_e32 v18, v10, v205
	v_fmac_f32_e32 v18, v11, v78
	v_add_f32_e32 v1, v1, v18
	s_waitcnt vmcnt(6)
	v_mul_f32_e32 v18, v12, v207
	v_fmac_f32_e32 v18, v13, v202
	v_add_f32_e32 v1, v1, v18
	s_waitcnt vmcnt(4) lgkmcnt(1)
	v_mul_f32_e32 v18, v6, v209
	v_fmac_f32_e32 v18, v7, v204
	v_add_f32_e32 v1, v1, v18
	s_waitcnt vmcnt(2)
	v_mul_f32_e32 v18, v8, v210
	v_fmac_f32_e32 v18, v9, v206
	v_add_f32_e32 v1, v1, v18
	s_waitcnt vmcnt(0) lgkmcnt(0)
	v_mul_f32_e32 v18, v2, v211
	v_fmac_f32_e32 v18, v3, v208
	v_add_f32_e32 v18, v1, v18
	buffer_load_dword v212, off, s[0:3], 0 offset:152
	buffer_load_dword v1, off, s[0:3], 0 offset:156
	v_mul_f32_e32 v15, v15, v201
	v_fma_f32 v14, v14, v72, -v15
	v_mul_f32_e32 v15, v17, v203
	v_add_f32_e32 v14, 0, v14
	v_fma_f32 v15, v16, v74, -v15
	v_mul_f32_e32 v11, v11, v205
	v_add_f32_e32 v14, v14, v15
	;; [unrolled: 3-line block ×6, first 2 shown]
	v_fma_f32 v2, v2, v208, -v3
	v_add_f32_e32 v2, v6, v2
	s_waitcnt vmcnt(0)
	v_mul_f32_e32 v19, v4, v1
	v_fmac_f32_e32 v19, v5, v212
	v_add_f32_e32 v22, v18, v19
	ds_read_b128 v[18:21], v200 offset:592
	buffer_load_dword v213, off, s[0:3], 0 offset:160
	buffer_load_dword v86, off, s[0:3], 0 offset:164
	buffer_load_dword v87, off, s[0:3], 0 offset:168
	buffer_load_dword v88, off, s[0:3], 0 offset:172
	ds_read_b128 v[26:29], v200 offset:608
	buffer_load_dword v89, off, s[0:3], 0 offset:176
	buffer_load_dword v214, off, s[0:3], 0 offset:180
	buffer_load_dword v215, off, s[0:3], 0 offset:184
	buffer_load_dword v90, off, s[0:3], 0 offset:188
	ds_read_b128 v[30:33], v200 offset:624
	buffer_load_dword v91, off, s[0:3], 0 offset:192
	buffer_load_dword v216, off, s[0:3], 0 offset:196
	buffer_load_dword v92, off, s[0:3], 0 offset:200
	buffer_load_dword v93, off, s[0:3], 0 offset:204
	ds_read_b128 v[34:37], v200 offset:640
	buffer_load_dword v217, off, s[0:3], 0 offset:208
	buffer_load_dword v218, off, s[0:3], 0 offset:212
	buffer_load_dword v219, off, s[0:3], 0 offset:216
	buffer_load_dword v220, off, s[0:3], 0 offset:220
	ds_read_b128 v[38:41], v200 offset:656
	buffer_load_dword v221, off, s[0:3], 0 offset:224
	buffer_load_dword v222, off, s[0:3], 0 offset:228
	buffer_load_dword v94, off, s[0:3], 0 offset:232
	buffer_load_dword v95, off, s[0:3], 0 offset:236
	ds_read_b128 v[42:45], v200 offset:672
	buffer_load_dword v96, off, s[0:3], 0 offset:240
	buffer_load_dword v97, off, s[0:3], 0 offset:244
	buffer_load_dword v223, off, s[0:3], 0 offset:248
	buffer_load_dword v224, off, s[0:3], 0 offset:252
	ds_read_b128 v[46:49], v200 offset:688
	buffer_load_dword v98, off, s[0:3], 0 offset:256
	buffer_load_dword v99, off, s[0:3], 0 offset:260
	buffer_load_dword v225, off, s[0:3], 0 offset:264
	buffer_load_dword v226, off, s[0:3], 0 offset:268
	ds_read_b128 v[50:53], v200 offset:704
	buffer_load_dword v100, off, s[0:3], 0 offset:272
	buffer_load_dword v101, off, s[0:3], 0 offset:276
	buffer_load_dword v102, off, s[0:3], 0 offset:280
	buffer_load_dword v103, off, s[0:3], 0 offset:284
	ds_read_b128 v[54:57], v200 offset:720
	buffer_load_dword v104, off, s[0:3], 0 offset:288
	buffer_load_dword v105, off, s[0:3], 0 offset:292
	buffer_load_dword v227, off, s[0:3], 0 offset:296
	buffer_load_dword v228, off, s[0:3], 0 offset:300
	ds_read_b128 v[58:61], v200 offset:736
	buffer_load_dword v106, off, s[0:3], 0 offset:304
	buffer_load_dword v107, off, s[0:3], 0 offset:308
	buffer_load_dword v108, off, s[0:3], 0 offset:312
	buffer_load_dword v109, off, s[0:3], 0 offset:316
	ds_read_b128 v[62:65], v200 offset:752
	buffer_load_dword v110, off, s[0:3], 0 offset:320
	buffer_load_dword v111, off, s[0:3], 0 offset:324
	buffer_load_dword v229, off, s[0:3], 0 offset:328
	buffer_load_dword v230, off, s[0:3], 0 offset:332
	ds_read_b128 v[66:69], v200 offset:768
	buffer_load_dword v231, off, s[0:3], 0 offset:336
	buffer_load_dword v232, off, s[0:3], 0 offset:340
	buffer_load_dword v233, off, s[0:3], 0 offset:344
	buffer_load_dword v234, off, s[0:3], 0 offset:348
	v_mul_f32_e32 v1, v5, v1
	v_fma_f32 v1, v4, v212, -v1
	v_add_f32_e32 v1, v2, v1
	s_waitcnt vmcnt(46) lgkmcnt(11)
	v_mul_f32_e32 v23, v18, v86
	v_fmac_f32_e32 v23, v19, v213
	v_add_f32_e32 v22, v22, v23
	s_waitcnt vmcnt(44)
	v_mul_f32_e32 v23, v20, v88
	v_fmac_f32_e32 v23, v21, v87
	v_add_f32_e32 v22, v22, v23
	s_waitcnt vmcnt(42) lgkmcnt(10)
	v_mul_f32_e32 v23, v26, v214
	v_fmac_f32_e32 v23, v27, v89
	v_add_f32_e32 v22, v22, v23
	s_waitcnt vmcnt(40)
	v_mul_f32_e32 v23, v28, v90
	v_fmac_f32_e32 v23, v29, v215
	v_add_f32_e32 v22, v22, v23
	s_waitcnt vmcnt(38) lgkmcnt(9)
	v_mul_f32_e32 v23, v30, v216
	v_fmac_f32_e32 v23, v31, v91
	v_add_f32_e32 v22, v22, v23
	s_waitcnt vmcnt(36)
	v_mul_f32_e32 v23, v32, v93
	v_fmac_f32_e32 v23, v33, v92
	v_add_f32_e32 v22, v22, v23
	s_waitcnt vmcnt(34) lgkmcnt(8)
	v_mul_f32_e32 v23, v34, v218
	v_fmac_f32_e32 v23, v35, v217
	v_add_f32_e32 v22, v22, v23
	s_waitcnt vmcnt(32)
	v_mul_f32_e32 v23, v36, v220
	v_fmac_f32_e32 v23, v37, v219
	v_add_f32_e32 v22, v22, v23
	s_waitcnt vmcnt(30) lgkmcnt(7)
	v_mul_f32_e32 v23, v38, v222
	v_fmac_f32_e32 v23, v39, v221
	v_add_f32_e32 v22, v22, v23
	s_waitcnt vmcnt(28)
	v_mul_f32_e32 v23, v40, v95
	v_fmac_f32_e32 v23, v41, v94
	v_add_f32_e32 v22, v22, v23
	s_waitcnt vmcnt(26) lgkmcnt(6)
	v_mul_f32_e32 v23, v42, v97
	v_fmac_f32_e32 v23, v43, v96
	v_add_f32_e32 v22, v22, v23
	s_waitcnt vmcnt(24)
	v_mul_f32_e32 v23, v44, v224
	v_fmac_f32_e32 v23, v45, v223
	v_add_f32_e32 v22, v22, v23
	s_waitcnt vmcnt(22) lgkmcnt(5)
	v_mul_f32_e32 v23, v46, v99
	v_fmac_f32_e32 v23, v47, v98
	v_add_f32_e32 v22, v22, v23
	s_waitcnt vmcnt(20)
	v_mul_f32_e32 v23, v48, v226
	v_fmac_f32_e32 v23, v49, v225
	v_add_f32_e32 v22, v22, v23
	s_waitcnt vmcnt(18) lgkmcnt(4)
	v_mul_f32_e32 v23, v50, v101
	v_fmac_f32_e32 v23, v51, v100
	v_add_f32_e32 v22, v22, v23
	s_waitcnt vmcnt(16)
	v_mul_f32_e32 v23, v52, v103
	v_fmac_f32_e32 v23, v53, v102
	v_add_f32_e32 v22, v22, v23
	s_waitcnt vmcnt(14) lgkmcnt(3)
	v_mul_f32_e32 v23, v54, v105
	v_fmac_f32_e32 v23, v55, v104
	v_add_f32_e32 v22, v22, v23
	s_waitcnt vmcnt(12)
	v_mul_f32_e32 v23, v56, v228
	v_fmac_f32_e32 v23, v57, v227
	v_add_f32_e32 v22, v22, v23
	s_waitcnt vmcnt(10) lgkmcnt(2)
	v_mul_f32_e32 v23, v58, v107
	v_fmac_f32_e32 v23, v59, v106
	v_add_f32_e32 v22, v22, v23
	s_waitcnt vmcnt(8)
	v_mul_f32_e32 v23, v60, v109
	v_fmac_f32_e32 v23, v61, v108
	v_add_f32_e32 v22, v22, v23
	s_waitcnt vmcnt(6) lgkmcnt(1)
	v_mul_f32_e32 v23, v62, v111
	v_fmac_f32_e32 v23, v63, v110
	v_add_f32_e32 v22, v22, v23
	s_waitcnt vmcnt(4)
	v_mul_f32_e32 v23, v64, v230
	v_fmac_f32_e32 v23, v65, v229
	v_add_f32_e32 v22, v22, v23
	s_waitcnt vmcnt(2) lgkmcnt(0)
	v_mul_f32_e32 v23, v66, v232
	v_fmac_f32_e32 v23, v67, v231
	v_add_f32_e32 v73, v22, v23
	ds_read_b128 v[22:25], v200 offset:784
	buffer_load_dword v235, off, s[0:3], 0 offset:352
	buffer_load_dword v236, off, s[0:3], 0 offset:356
	;; [unrolled: 1-line block ×18, first 2 shown]
	v_mul_f32_e32 v2, v19, v86
	v_fma_f32 v2, v18, v213, -v2
	v_add_f32_e32 v1, v1, v2
	v_mul_f32_e32 v2, v21, v88
	v_fma_f32 v2, v20, v87, -v2
	v_add_f32_e32 v1, v1, v2
	;; [unrolled: 3-line block ×22, first 2 shown]
	v_mul_f32_e32 v2, v67, v232
	v_fma_f32 v2, v66, v231, -v2
	s_waitcnt vmcnt(15)
	v_mov_b32_e32 v18, v77
	v_mul_f32_e32 v75, v68, v234
	v_add_f32_e32 v72, v1, v2
	v_mul_f32_e32 v1, v69, v234
	s_waitcnt lgkmcnt(0)
	v_pk_mul_f32 v[18:19], v[24:25], v[18:19] op_sel_hi:[1,0]
	v_fmac_f32_e32 v75, v69, v233
	v_fma_f32 v74, v68, v233, -v1
	ds_read_b128 v[2:5], v200 offset:800
	ds_read_b128 v[6:9], v200 offset:816
	;; [unrolled: 1-line block ×3, first 2 shown]
	ds_read_b64 v[14:15], v200 offset:848
	s_waitcnt vmcnt(14)
	v_pk_fma_f32 v[20:21], v[24:25], v[76:77], v[18:19] op_sel:[0,0,1] op_sel_hi:[1,1,0] neg_lo:[0,0,1] neg_hi:[0,0,1]
	v_pk_fma_f32 v[18:19], v[24:25], v[76:77], v[18:19] op_sel:[0,0,1] op_sel_hi:[1,0,0]
	v_mul_f32_e32 v79, v22, v236
	v_mul_f32_e32 v1, v23, v236
	v_fmac_f32_e32 v79, v23, v235
	v_fma_f32 v78, v22, v235, -v1
	v_pk_add_f32 v[16:17], v[72:73], v[74:75]
	s_waitcnt vmcnt(13)
	v_mov_b32_e32 v18, v199
	v_pk_add_f32 v[16:17], v[16:17], v[78:79]
	v_mov_b32_e32 v21, v19
	s_waitcnt lgkmcnt(3)
	v_pk_mul_f32 v[18:19], v[2:3], v[18:19] op_sel_hi:[1,0]
	v_pk_add_f32 v[16:17], v[16:17], v[20:21]
	s_waitcnt vmcnt(12)
	v_pk_fma_f32 v[20:21], v[2:3], v[198:199], v[18:19] op_sel:[0,0,1] op_sel_hi:[1,1,0] neg_lo:[0,0,1] neg_hi:[0,0,1]
	v_pk_fma_f32 v[2:3], v[2:3], v[198:199], v[18:19] op_sel:[0,0,1] op_sel_hi:[1,0,0]
	v_mov_b32_e32 v21, v3
	v_pk_add_f32 v[2:3], v[16:17], v[20:21]
	s_waitcnt vmcnt(11)
	v_mov_b32_e32 v16, v197
	v_pk_mul_f32 v[16:17], v[4:5], v[16:17] op_sel_hi:[1,0]
	s_waitcnt vmcnt(10)
	v_pk_fma_f32 v[18:19], v[4:5], v[196:197], v[16:17] op_sel:[0,0,1] op_sel_hi:[1,1,0] neg_lo:[0,0,1] neg_hi:[0,0,1]
	v_pk_fma_f32 v[4:5], v[4:5], v[196:197], v[16:17] op_sel:[0,0,1] op_sel_hi:[1,0,0]
	s_waitcnt vmcnt(9)
	v_mov_b32_e32 v4, v195
	v_mov_b32_e32 v19, v5
	s_waitcnt lgkmcnt(2)
	v_pk_mul_f32 v[4:5], v[6:7], v[4:5] op_sel_hi:[1,0]
	s_waitcnt vmcnt(8)
	v_pk_fma_f32 v[16:17], v[6:7], v[194:195], v[4:5] op_sel:[0,0,1] op_sel_hi:[1,1,0] neg_lo:[0,0,1] neg_hi:[0,0,1]
	v_pk_fma_f32 v[4:5], v[6:7], v[194:195], v[4:5] op_sel:[0,0,1] op_sel_hi:[1,0,0]
	s_waitcnt vmcnt(7)
	v_mov_b32_e32 v4, v193
	v_mov_b32_e32 v17, v5
	v_pk_mul_f32 v[4:5], v[8:9], v[4:5] op_sel_hi:[1,0]
	s_waitcnt vmcnt(6)
	v_pk_fma_f32 v[6:7], v[8:9], v[192:193], v[4:5] op_sel:[0,0,1] op_sel_hi:[1,1,0] neg_lo:[0,0,1] neg_hi:[0,0,1]
	v_pk_fma_f32 v[4:5], v[8:9], v[192:193], v[4:5] op_sel:[0,0,1] op_sel_hi:[1,0,0]
	v_pk_add_f32 v[2:3], v[2:3], v[18:19]
	s_waitcnt vmcnt(5)
	v_mov_b32_e32 v4, v85
	v_pk_add_f32 v[2:3], v[2:3], v[16:17]
	v_mov_b32_e32 v7, v5
	s_waitcnt lgkmcnt(1)
	v_pk_mul_f32 v[4:5], v[10:11], v[4:5] op_sel_hi:[1,0]
	v_pk_add_f32 v[2:3], v[2:3], v[6:7]
	s_waitcnt vmcnt(4)
	v_pk_fma_f32 v[6:7], v[10:11], v[84:85], v[4:5] op_sel:[0,0,1] op_sel_hi:[1,1,0] neg_lo:[0,0,1] neg_hi:[0,0,1]
	v_pk_fma_f32 v[4:5], v[10:11], v[84:85], v[4:5] op_sel:[0,0,1] op_sel_hi:[1,0,0]
	s_waitcnt vmcnt(3)
	v_mov_b32_e32 v4, v83
	v_mov_b32_e32 v7, v5
	v_pk_mul_f32 v[4:5], v[12:13], v[4:5] op_sel_hi:[1,0]
	v_pk_add_f32 v[2:3], v[2:3], v[6:7]
	s_waitcnt vmcnt(2)
	v_pk_fma_f32 v[6:7], v[12:13], v[82:83], v[4:5] op_sel:[0,0,1] op_sel_hi:[1,1,0] neg_lo:[0,0,1] neg_hi:[0,0,1]
	v_pk_fma_f32 v[4:5], v[12:13], v[82:83], v[4:5] op_sel:[0,0,1] op_sel_hi:[1,0,0]
	s_waitcnt vmcnt(1)
	v_mov_b32_e32 v4, v81
	v_mov_b32_e32 v7, v5
	s_waitcnt lgkmcnt(0)
	v_pk_mul_f32 v[4:5], v[14:15], v[4:5] op_sel_hi:[1,0]
	v_pk_add_f32 v[2:3], v[2:3], v[6:7]
	s_waitcnt vmcnt(0)
	v_pk_fma_f32 v[6:7], v[14:15], v[80:81], v[4:5] op_sel:[0,0,1] op_sel_hi:[1,1,0] neg_lo:[0,0,1] neg_hi:[0,0,1]
	v_pk_fma_f32 v[4:5], v[14:15], v[80:81], v[4:5] op_sel:[0,0,1] op_sel_hi:[1,0,0]
	v_mov_b32_e32 v7, v5
	v_pk_add_f32 v[2:3], v[2:3], v[6:7]
	v_pk_add_f32 v[2:3], v[70:71], v[2:3] neg_lo:[0,1] neg_hi:[0,1]
	buffer_store_dword v3, off, s[0:3], 0 offset:92
	buffer_store_dword v2, off, s[0:3], 0 offset:88
	s_and_saveexec_b64 s[4:5], vcc
	s_cbranch_execz .LBB52_311
; %bb.310:
	buffer_load_dword v2, off, s[0:3], 0 offset:80
	buffer_load_dword v3, off, s[0:3], 0 offset:84
	v_accvgpr_read_b32 v1, a48
	buffer_store_dword v200, off, s[0:3], 0 offset:80
	buffer_store_dword v200, off, s[0:3], 0 offset:84
	s_waitcnt vmcnt(2)
	ds_write_b64 v1, v[2:3]
.LBB52_311:
	s_or_b64 exec, exec, s[4:5]
	s_waitcnt lgkmcnt(0)
	; wave barrier
	s_waitcnt lgkmcnt(0)
	buffer_load_dword v1, off, s[0:3], 0 offset:92
	buffer_load_dword v78, off, s[0:3], 0 offset:100
	buffer_load_dword v80, off, s[0:3], 0 offset:116
	buffer_load_dword v82, off, s[0:3], 0 offset:124
	buffer_load_dword v98, off, s[0:3], 0 offset:132
	buffer_load_dword v99, off, s[0:3], 0 offset:108
	buffer_load_dword v100, off, s[0:3], 0 offset:140
	buffer_load_dword v101, off, s[0:3], 0 offset:148
	buffer_load_dword v102, off, s[0:3], 0 offset:104
	buffer_load_dword v103, off, s[0:3], 0 offset:96
	buffer_load_dword v104, off, s[0:3], 0 offset:88
	buffer_load_dword v105, off, s[0:3], 0 offset:136
	buffer_load_dword v106, off, s[0:3], 0 offset:128
	buffer_load_dword v107, off, s[0:3], 0 offset:120
	buffer_load_dword v108, off, s[0:3], 0 offset:112
	buffer_load_dword v109, off, s[0:3], 0 offset:168
	buffer_load_dword v110, off, s[0:3], 0 offset:160
	buffer_load_dword v111, off, s[0:3], 0 offset:152
	buffer_load_dword v192, off, s[0:3], 0 offset:144
	buffer_load_dword v193, off, s[0:3], 0 offset:156
	buffer_load_dword v194, off, s[0:3], 0 offset:164
	buffer_load_dword v195, off, s[0:3], 0 offset:172
	buffer_load_dword v26, off, s[0:3], 0 offset:80
	buffer_load_dword v27, off, s[0:3], 0 offset:84
	ds_read2_b64 v[22:25], v200 offset0:65 offset1:66
	ds_read2_b64 v[18:21], v200 offset0:67 offset1:68
	;; [unrolled: 1-line block ×4, first 2 shown]
	buffer_load_dword v196, off, s[0:3], 0 offset:176
	buffer_load_dword v197, off, s[0:3], 0 offset:180
	ds_read2_b64 v[10:13], v200 offset0:73 offset1:74
	ds_read2_b64 v[2:5], v200 offset0:75 offset1:76
	buffer_load_dword v198, off, s[0:3], 0 offset:184
	buffer_load_dword v199, off, s[0:3], 0 offset:188
	;; [unrolled: 1-line block ×44, first 2 shown]
	v_cmp_lt_u32_e32 vcc, 9, v0
	s_waitcnt vmcnt(62) lgkmcnt(5)
	v_mul_f32_e32 v28, v22, v1
	v_mul_f32_e32 v29, v24, v78
	s_waitcnt lgkmcnt(4)
	v_mul_f32_e32 v31, v20, v80
	s_waitcnt lgkmcnt(3)
	v_mul_f32_e32 v32, v14, v82
	v_mul_f32_e32 v33, v16, v98
	;; [unrolled: 1-line block ×3, first 2 shown]
	s_waitcnt lgkmcnt(2)
	v_mul_f32_e32 v34, v6, v100
	v_mul_f32_e32 v35, v8, v101
	s_waitcnt vmcnt(61)
	v_fmac_f32_e32 v30, v19, v102
	s_waitcnt vmcnt(60)
	v_fmac_f32_e32 v29, v25, v103
	;; [unrolled: 2-line block ×3, first 2 shown]
	v_add_f32_e32 v28, 0, v28
	v_add_f32_e32 v28, v28, v29
	;; [unrolled: 1-line block ×3, first 2 shown]
	s_waitcnt vmcnt(55)
	v_fmac_f32_e32 v31, v21, v108
	v_fmac_f32_e32 v32, v15, v107
	v_add_f32_e32 v28, v28, v31
	v_fmac_f32_e32 v33, v17, v106
	v_add_f32_e32 v28, v28, v32
	;; [unrolled: 2-line block ×3, first 2 shown]
	s_waitcnt vmcnt(51)
	v_fmac_f32_e32 v35, v9, v192
	v_add_f32_e32 v28, v28, v34
	s_waitcnt vmcnt(50) lgkmcnt(1)
	v_mul_f32_e32 v29, v10, v193
	v_add_f32_e32 v28, v28, v35
	v_fmac_f32_e32 v29, v11, v111
	v_add_f32_e32 v28, v28, v29
	s_waitcnt vmcnt(49)
	v_mul_f32_e32 v29, v12, v194
	v_fmac_f32_e32 v29, v13, v110
	v_add_f32_e32 v28, v28, v29
	s_waitcnt vmcnt(48) lgkmcnt(0)
	v_mul_f32_e32 v29, v2, v195
	v_fmac_f32_e32 v29, v3, v109
	v_add_f32_e32 v32, v28, v29
	ds_read2_b64 v[28:31], v200 offset0:77 offset1:78
	s_waitcnt vmcnt(44)
	v_mul_f32_e32 v33, v4, v197
	v_fmac_f32_e32 v33, v5, v196
	v_add_f32_e32 v36, v32, v33
	ds_read2_b64 v[32:35], v200 offset0:79 offset1:80
	s_waitcnt vmcnt(42) lgkmcnt(1)
	v_mul_f32_e32 v37, v28, v199
	v_fmac_f32_e32 v37, v29, v198
	v_add_f32_e32 v36, v36, v37
	s_waitcnt vmcnt(40)
	v_mul_f32_e32 v37, v30, v202
	v_fmac_f32_e32 v37, v31, v201
	v_add_f32_e32 v36, v36, v37
	s_waitcnt vmcnt(38) lgkmcnt(0)
	v_mul_f32_e32 v37, v32, v204
	v_fmac_f32_e32 v37, v33, v203
	v_add_f32_e32 v40, v36, v37
	ds_read2_b64 v[36:39], v200 offset0:81 offset1:82
	s_waitcnt vmcnt(36)
	v_mul_f32_e32 v41, v34, v206
	v_fmac_f32_e32 v41, v35, v205
	v_add_f32_e32 v44, v40, v41
	ds_read2_b64 v[40:43], v200 offset0:83 offset1:84
	s_waitcnt vmcnt(34) lgkmcnt(1)
	v_mul_f32_e32 v45, v36, v208
	;; [unrolled: 18-line block ×4, first 2 shown]
	v_fmac_f32_e32 v61, v53, v223
	v_add_f32_e32 v60, v60, v61
	s_waitcnt vmcnt(16)
	v_mul_f32_e32 v61, v54, v226
	v_fmac_f32_e32 v61, v55, v225
	v_add_f32_e32 v60, v60, v61
	s_waitcnt vmcnt(14) lgkmcnt(0)
	v_mul_f32_e32 v61, v56, v228
	v_fmac_f32_e32 v61, v57, v227
	v_add_f32_e32 v64, v60, v61
	ds_read2_b64 v[60:63], v200 offset0:93 offset1:94
	s_waitcnt vmcnt(12)
	v_mul_f32_e32 v65, v58, v230
	v_fmac_f32_e32 v65, v59, v229
	v_add_f32_e32 v68, v64, v65
	ds_read2_b64 v[64:67], v200 offset0:95 offset1:96
	buffer_load_dword v77, off, s[0:3], 0 offset:364
	buffer_load_dword v76, off, s[0:3], 0 offset:360
	s_waitcnt vmcnt(12) lgkmcnt(1)
	v_mul_f32_e32 v69, v60, v232
	v_fmac_f32_e32 v69, v61, v231
	v_add_f32_e32 v68, v68, v69
	s_waitcnt vmcnt(10)
	v_mul_f32_e32 v69, v62, v234
	v_fmac_f32_e32 v69, v63, v233
	v_add_f32_e32 v68, v68, v69
	s_waitcnt vmcnt(8) lgkmcnt(0)
	v_mul_f32_e32 v69, v64, v236
	v_fmac_f32_e32 v69, v65, v235
	s_waitcnt vmcnt(6)
	v_mul_f32_e32 v73, v66, v238
	v_add_f32_e32 v72, v68, v69
	v_fmac_f32_e32 v73, v67, v237
	ds_read2_b64 v[68:71], v200 offset0:97 offset1:98
	v_add_f32_e32 v79, v72, v73
	ds_read2_b64 v[72:75], v200 offset0:99 offset1:100
	buffer_load_dword v85, off, s[0:3], 0 offset:396
	buffer_load_dword v84, off, s[0:3], 0 offset:392
	;; [unrolled: 1-line block ×14, first 2 shown]
	v_mul_f32_e32 v1, v23, v1
	v_fma_f32 v1, v22, v104, -v1
	v_mul_f32_e32 v22, v25, v78
	v_add_f32_e32 v1, 0, v1
	v_fma_f32 v22, v24, v103, -v22
	v_mul_f32_e32 v19, v19, v99
	v_add_f32_e32 v1, v1, v22
	v_fma_f32 v18, v18, v102, -v19
	v_add_f32_e32 v1, v1, v18
	v_mul_f32_e32 v18, v21, v80
	v_fma_f32 v18, v20, v108, -v18
	v_mul_f32_e32 v15, v15, v82
	v_add_f32_e32 v1, v1, v18
	v_fma_f32 v14, v14, v107, -v15
	v_add_f32_e32 v1, v1, v14
	v_mul_f32_e32 v14, v17, v98
	;; [unrolled: 6-line block ×3, first 2 shown]
	v_fma_f32 v6, v8, v192, -v6
	v_add_f32_e32 v1, v1, v6
	v_mul_f32_e32 v6, v11, v193
	v_fma_f32 v6, v10, v111, -v6
	v_add_f32_e32 v1, v1, v6
	v_mul_f32_e32 v6, v13, v194
	v_fma_f32 v6, v12, v110, -v6
	v_mul_f32_e32 v3, v3, v195
	v_add_f32_e32 v1, v1, v6
	v_fma_f32 v2, v2, v109, -v3
	v_add_f32_e32 v1, v1, v2
	v_mul_f32_e32 v2, v5, v197
	v_fma_f32 v2, v4, v196, -v2
	v_add_f32_e32 v1, v1, v2
	v_mul_f32_e32 v2, v29, v199
	v_fma_f32 v2, v28, v198, -v2
	v_add_f32_e32 v1, v1, v2
	v_mul_f32_e32 v2, v31, v202
	v_fma_f32 v2, v30, v201, -v2
	v_add_f32_e32 v1, v1, v2
	v_mul_f32_e32 v2, v33, v204
	v_fma_f32 v2, v32, v203, -v2
	v_add_f32_e32 v1, v1, v2
	v_mul_f32_e32 v2, v35, v206
	v_fma_f32 v2, v34, v205, -v2
	v_add_f32_e32 v1, v1, v2
	v_mul_f32_e32 v2, v37, v208
	v_fma_f32 v2, v36, v207, -v2
	v_add_f32_e32 v1, v1, v2
	v_mul_f32_e32 v2, v39, v210
	v_fma_f32 v2, v38, v209, -v2
	v_add_f32_e32 v1, v1, v2
	v_mul_f32_e32 v2, v41, v212
	v_fma_f32 v2, v40, v211, -v2
	v_add_f32_e32 v1, v1, v2
	v_mul_f32_e32 v2, v43, v214
	v_fma_f32 v2, v42, v213, -v2
	v_add_f32_e32 v1, v1, v2
	v_mul_f32_e32 v2, v45, v216
	v_fma_f32 v2, v44, v215, -v2
	v_add_f32_e32 v1, v1, v2
	v_mul_f32_e32 v2, v47, v218
	v_fma_f32 v2, v46, v217, -v2
	v_add_f32_e32 v1, v1, v2
	v_mul_f32_e32 v2, v49, v220
	v_fma_f32 v2, v48, v219, -v2
	v_add_f32_e32 v1, v1, v2
	v_mul_f32_e32 v2, v51, v222
	v_fma_f32 v2, v50, v221, -v2
	v_add_f32_e32 v1, v1, v2
	v_mul_f32_e32 v2, v53, v224
	v_fma_f32 v2, v52, v223, -v2
	v_add_f32_e32 v1, v1, v2
	v_mul_f32_e32 v2, v55, v226
	v_fma_f32 v2, v54, v225, -v2
	v_add_f32_e32 v1, v1, v2
	v_mul_f32_e32 v2, v57, v228
	v_fma_f32 v2, v56, v227, -v2
	v_add_f32_e32 v1, v1, v2
	v_mul_f32_e32 v2, v59, v230
	v_fma_f32 v2, v58, v229, -v2
	v_add_f32_e32 v1, v1, v2
	v_mul_f32_e32 v2, v61, v232
	v_fma_f32 v2, v60, v231, -v2
	v_add_f32_e32 v1, v1, v2
	v_mul_f32_e32 v2, v63, v234
	v_fma_f32 v2, v62, v233, -v2
	v_add_f32_e32 v1, v1, v2
	v_mul_f32_e32 v2, v65, v236
	v_fma_f32 v2, v64, v235, -v2
	v_add_f32_e32 v1, v1, v2
	v_mul_f32_e32 v2, v67, v238
	v_fma_f32 v2, v66, v237, -v2
	s_waitcnt vmcnt(15)
	v_mov_b32_e32 v16, v77
	s_waitcnt lgkmcnt(1)
	v_mul_f32_e32 v81, v68, v240
	v_add_f32_e32 v78, v1, v2
	v_mul_f32_e32 v1, v69, v240
	s_waitcnt lgkmcnt(0)
	v_pk_mul_f32 v[16:17], v[72:73], v[16:17] op_sel_hi:[1,0]
	v_fmac_f32_e32 v81, v69, v239
	v_mul_f32_e32 v83, v70, v242
	v_fma_f32 v80, v68, v239, -v1
	v_mul_f32_e32 v1, v71, v242
	s_waitcnt vmcnt(14)
	v_pk_fma_f32 v[18:19], v[72:73], v[76:77], v[16:17] op_sel:[0,0,1] op_sel_hi:[1,1,0] neg_lo:[0,0,1] neg_hi:[0,0,1]
	v_pk_fma_f32 v[16:17], v[72:73], v[76:77], v[16:17] op_sel:[0,0,1] op_sel_hi:[1,0,0]
	v_fmac_f32_e32 v83, v71, v241
	v_fma_f32 v82, v70, v241, -v1
	v_pk_add_f32 v[14:15], v[78:79], v[80:81]
	s_waitcnt vmcnt(7)
	v_mov_b32_e32 v16, v91
	ds_read2_b64 v[2:5], v200 offset0:101 offset1:102
	ds_read2_b64 v[6:9], v200 offset0:103 offset1:104
	;; [unrolled: 1-line block ×3, first 2 shown]
	v_pk_add_f32 v[14:15], v[14:15], v[82:83]
	v_mov_b32_e32 v19, v17
	v_pk_mul_f32 v[16:17], v[74:75], v[16:17] op_sel_hi:[1,0]
	v_pk_add_f32 v[14:15], v[14:15], v[18:19]
	s_waitcnt vmcnt(6)
	v_pk_fma_f32 v[18:19], v[74:75], v[90:91], v[16:17] op_sel:[0,0,1] op_sel_hi:[1,1,0] neg_lo:[0,0,1] neg_hi:[0,0,1]
	v_pk_fma_f32 v[16:17], v[74:75], v[90:91], v[16:17] op_sel:[0,0,1] op_sel_hi:[1,0,0]
	v_mov_b32_e32 v16, v89
	v_mov_b32_e32 v19, v17
	s_waitcnt lgkmcnt(2)
	v_pk_mul_f32 v[16:17], v[2:3], v[16:17] op_sel_hi:[1,0]
	v_pk_add_f32 v[14:15], v[14:15], v[18:19]
	v_pk_fma_f32 v[18:19], v[2:3], v[88:89], v[16:17] op_sel:[0,0,1] op_sel_hi:[1,1,0] neg_lo:[0,0,1] neg_hi:[0,0,1]
	v_pk_fma_f32 v[2:3], v[2:3], v[88:89], v[16:17] op_sel:[0,0,1] op_sel_hi:[1,0,0]
	v_mov_b32_e32 v19, v3
	v_pk_add_f32 v[2:3], v[14:15], v[18:19]
	v_mov_b32_e32 v14, v87
	v_pk_mul_f32 v[14:15], v[4:5], v[14:15] op_sel_hi:[1,0]
	v_pk_fma_f32 v[16:17], v[4:5], v[86:87], v[14:15] op_sel:[0,0,1] op_sel_hi:[1,1,0] neg_lo:[0,0,1] neg_hi:[0,0,1]
	v_pk_fma_f32 v[4:5], v[4:5], v[86:87], v[14:15] op_sel:[0,0,1] op_sel_hi:[1,0,0]
	v_mov_b32_e32 v4, v85
	v_mov_b32_e32 v17, v5
	s_waitcnt lgkmcnt(1)
	v_pk_mul_f32 v[4:5], v[6:7], v[4:5] op_sel_hi:[1,0]
	v_pk_fma_f32 v[14:15], v[6:7], v[84:85], v[4:5] op_sel:[0,0,1] op_sel_hi:[1,1,0] neg_lo:[0,0,1] neg_hi:[0,0,1]
	v_pk_fma_f32 v[4:5], v[6:7], v[84:85], v[4:5] op_sel:[0,0,1] op_sel_hi:[1,0,0]
	s_waitcnt vmcnt(1)
	v_mov_b32_e32 v4, v97
	v_mov_b32_e32 v15, v5
	v_pk_mul_f32 v[4:5], v[8:9], v[4:5] op_sel_hi:[1,0]
	s_waitcnt vmcnt(0)
	v_pk_fma_f32 v[6:7], v[8:9], v[96:97], v[4:5] op_sel:[0,0,1] op_sel_hi:[1,1,0] neg_lo:[0,0,1] neg_hi:[0,0,1]
	v_pk_fma_f32 v[4:5], v[8:9], v[96:97], v[4:5] op_sel:[0,0,1] op_sel_hi:[1,0,0]
	v_pk_add_f32 v[2:3], v[2:3], v[16:17]
	v_mov_b32_e32 v4, v95
	v_pk_add_f32 v[2:3], v[2:3], v[14:15]
	v_mov_b32_e32 v7, v5
	s_waitcnt lgkmcnt(0)
	v_pk_mul_f32 v[4:5], v[10:11], v[4:5] op_sel_hi:[1,0]
	v_pk_add_f32 v[2:3], v[2:3], v[6:7]
	v_pk_fma_f32 v[6:7], v[10:11], v[94:95], v[4:5] op_sel:[0,0,1] op_sel_hi:[1,1,0] neg_lo:[0,0,1] neg_hi:[0,0,1]
	v_pk_fma_f32 v[4:5], v[10:11], v[94:95], v[4:5] op_sel:[0,0,1] op_sel_hi:[1,0,0]
	v_mov_b32_e32 v4, v93
	v_mov_b32_e32 v7, v5
	v_pk_mul_f32 v[4:5], v[12:13], v[4:5] op_sel_hi:[1,0]
	v_pk_add_f32 v[2:3], v[2:3], v[6:7]
	v_pk_fma_f32 v[6:7], v[12:13], v[92:93], v[4:5] op_sel:[0,0,1] op_sel_hi:[1,1,0] neg_lo:[0,0,1] neg_hi:[0,0,1]
	v_pk_fma_f32 v[4:5], v[12:13], v[92:93], v[4:5] op_sel:[0,0,1] op_sel_hi:[1,0,0]
	v_mov_b32_e32 v7, v5
	v_pk_add_f32 v[2:3], v[2:3], v[6:7]
	v_pk_add_f32 v[2:3], v[26:27], v[2:3] neg_lo:[0,1] neg_hi:[0,1]
	buffer_store_dword v3, off, s[0:3], 0 offset:84
	buffer_store_dword v2, off, s[0:3], 0 offset:80
	s_and_saveexec_b64 s[4:5], vcc
	s_cbranch_execz .LBB52_313
; %bb.312:
	buffer_load_dword v2, off, s[0:3], 0 offset:72
	buffer_load_dword v3, off, s[0:3], 0 offset:76
	v_mov_b32_e32 v1, 0
	v_accvgpr_read_b32 v4, a48
	buffer_store_dword v1, off, s[0:3], 0 offset:72
	buffer_store_dword v1, off, s[0:3], 0 offset:76
	s_waitcnt vmcnt(2)
	ds_write_b64 v4, v[2:3]
.LBB52_313:
	s_or_b64 exec, exec, s[4:5]
	s_waitcnt lgkmcnt(0)
	; wave barrier
	s_waitcnt lgkmcnt(0)
	buffer_load_dword v1, off, s[0:3], 0 offset:84
	buffer_load_dword v29, off, s[0:3], 0 offset:92
	;; [unrolled: 1-line block ×56, first 2 shown]
	v_mov_b32_e32 v28, 0
	ds_read_b128 v[4:7], v28 offset:512
	ds_read_b128 v[8:11], v28 offset:528
	;; [unrolled: 1-line block ×6, first 2 shown]
	buffer_load_dword v229, off, s[0:3], 0 offset:296
	buffer_load_dword v230, off, s[0:3], 0 offset:300
	;; [unrolled: 1-line block ×16, first 2 shown]
	v_cmp_lt_u32_e32 vcc, 8, v0
	s_waitcnt vmcnt(62) lgkmcnt(5)
	v_mul_f32_e32 v30, v4, v1
	v_mul_f32_e32 v31, v6, v29
	s_waitcnt lgkmcnt(4)
	v_mul_f32_e32 v33, v10, v78
	s_waitcnt lgkmcnt(3)
	v_mul_f32_e32 v34, v12, v80
	v_mul_f32_e32 v35, v14, v82
	;; [unrolled: 1-line block ×3, first 2 shown]
	s_waitcnt lgkmcnt(2)
	v_mul_f32_e32 v36, v16, v101
	v_mul_f32_e32 v37, v18, v102
	s_waitcnt lgkmcnt(1)
	v_mul_f32_e32 v38, v20, v103
	v_fmac_f32_e32 v32, v9, v104
	s_waitcnt vmcnt(61)
	v_fmac_f32_e32 v31, v7, v105
	s_waitcnt vmcnt(60)
	v_fmac_f32_e32 v30, v5, v106
	v_add_f32_e32 v30, 0, v30
	v_add_f32_e32 v30, v30, v31
	;; [unrolled: 1-line block ×3, first 2 shown]
	s_waitcnt vmcnt(56)
	v_fmac_f32_e32 v33, v11, v110
	v_fmac_f32_e32 v34, v13, v109
	v_add_f32_e32 v30, v30, v33
	v_fmac_f32_e32 v35, v15, v108
	v_add_f32_e32 v30, v30, v34
	;; [unrolled: 2-line block ×3, first 2 shown]
	s_waitcnt vmcnt(52)
	v_fmac_f32_e32 v37, v19, v194
	v_add_f32_e32 v30, v30, v36
	v_add_f32_e32 v30, v30, v37
	v_fmac_f32_e32 v38, v21, v193
	s_waitcnt vmcnt(51)
	v_mul_f32_e32 v31, v22, v195
	v_add_f32_e32 v30, v30, v38
	v_fmac_f32_e32 v31, v23, v192
	v_add_f32_e32 v30, v30, v31
	s_waitcnt vmcnt(50) lgkmcnt(0)
	v_mul_f32_e32 v31, v24, v196
	v_fmac_f32_e32 v31, v25, v111
	v_add_f32_e32 v34, v30, v31
	ds_read_b128 v[30:33], v28 offset:608
	s_waitcnt vmcnt(46)
	v_mul_f32_e32 v35, v26, v198
	v_fmac_f32_e32 v35, v27, v197
	v_add_f32_e32 v38, v34, v35
	ds_read_b128 v[34:37], v28 offset:624
	s_waitcnt vmcnt(44) lgkmcnt(1)
	v_mul_f32_e32 v39, v30, v200
	v_fmac_f32_e32 v39, v31, v199
	v_add_f32_e32 v38, v38, v39
	s_waitcnt vmcnt(42)
	v_mul_f32_e32 v39, v32, v202
	v_fmac_f32_e32 v39, v33, v201
	v_add_f32_e32 v38, v38, v39
	s_waitcnt vmcnt(40) lgkmcnt(0)
	v_mul_f32_e32 v39, v34, v204
	v_fmac_f32_e32 v39, v35, v203
	v_add_f32_e32 v42, v38, v39
	ds_read_b128 v[38:41], v28 offset:640
	s_waitcnt vmcnt(38)
	v_mul_f32_e32 v43, v36, v206
	v_fmac_f32_e32 v43, v37, v205
	v_add_f32_e32 v46, v42, v43
	ds_read_b128 v[42:45], v28 offset:656
	s_waitcnt vmcnt(36) lgkmcnt(1)
	v_mul_f32_e32 v47, v38, v208
	v_fmac_f32_e32 v47, v39, v207
	v_add_f32_e32 v46, v46, v47
	s_waitcnt vmcnt(34)
	v_mul_f32_e32 v47, v40, v210
	;; [unrolled: 18-line block ×5, first 2 shown]
	v_fmac_f32_e32 v71, v65, v233
	v_add_f32_e32 v70, v70, v71
	s_waitcnt vmcnt(8) lgkmcnt(0)
	v_mul_f32_e32 v71, v66, v236
	v_fmac_f32_e32 v71, v67, v235
	s_waitcnt vmcnt(6)
	v_mul_f32_e32 v75, v68, v238
	v_add_f32_e32 v74, v70, v71
	v_fmac_f32_e32 v75, v69, v237
	ds_read_b128 v[70:73], v28 offset:768
	v_add_f32_e32 v79, v74, v75
	ds_read_b128 v[74:77], v28 offset:784
	buffer_load_dword v85, off, s[0:3], 0 offset:388
	buffer_load_dword v84, off, s[0:3], 0 offset:384
	;; [unrolled: 1-line block ×16, first 2 shown]
	v_mul_f32_e32 v1, v5, v1
	v_fma_f32 v1, v4, v106, -v1
	v_mul_f32_e32 v4, v7, v29
	v_add_f32_e32 v1, 0, v1
	v_fma_f32 v4, v6, v105, -v4
	v_add_f32_e32 v1, v1, v4
	v_mul_f32_e32 v4, v9, v100
	v_fma_f32 v4, v8, v104, -v4
	v_add_f32_e32 v1, v1, v4
	v_mul_f32_e32 v4, v11, v78
	;; [unrolled: 3-line block ×30, first 2 shown]
	v_fma_f32 v4, v68, v237, -v4
	s_waitcnt vmcnt(20) lgkmcnt(1)
	v_mul_f32_e32 v81, v70, v240
	v_add_f32_e32 v1, v1, v4
	v_mul_f32_e32 v4, v71, v240
	v_fmac_f32_e32 v81, v71, v239
	v_fma_f32 v4, v70, v239, -v4
	s_waitcnt vmcnt(9)
	v_mov_b32_e32 v20, v91
	v_add_f32_e32 v79, v79, v81
	v_mul_f32_e32 v81, v72, v242
	v_add_f32_e32 v78, v1, v4
	v_mul_f32_e32 v1, v73, v242
	s_waitcnt lgkmcnt(0)
	v_pk_mul_f32 v[20:21], v[76:77], v[20:21] op_sel_hi:[1,0]
	v_fmac_f32_e32 v81, v73, v241
	v_mul_f32_e32 v83, v74, v244
	v_fma_f32 v80, v72, v241, -v1
	v_mul_f32_e32 v1, v75, v244
	ds_read_b128 v[4:7], v28 offset:800
	ds_read_b128 v[8:11], v28 offset:816
	;; [unrolled: 1-line block ×3, first 2 shown]
	ds_read_b64 v[16:17], v28 offset:848
	s_waitcnt vmcnt(8)
	v_pk_fma_f32 v[22:23], v[76:77], v[90:91], v[20:21] op_sel:[0,0,1] op_sel_hi:[1,1,0] neg_lo:[0,0,1] neg_hi:[0,0,1]
	v_pk_fma_f32 v[20:21], v[76:77], v[90:91], v[20:21] op_sel:[0,0,1] op_sel_hi:[1,0,0]
	v_fmac_f32_e32 v83, v75, v243
	v_fma_f32 v82, v74, v243, -v1
	v_pk_add_f32 v[18:19], v[78:79], v[80:81]
	v_mov_b32_e32 v20, v89
	v_pk_add_f32 v[18:19], v[18:19], v[82:83]
	v_mov_b32_e32 v23, v21
	s_waitcnt lgkmcnt(3)
	v_pk_mul_f32 v[20:21], v[4:5], v[20:21] op_sel_hi:[1,0]
	v_pk_add_f32 v[18:19], v[18:19], v[22:23]
	v_pk_fma_f32 v[22:23], v[4:5], v[88:89], v[20:21] op_sel:[0,0,1] op_sel_hi:[1,1,0] neg_lo:[0,0,1] neg_hi:[0,0,1]
	v_pk_fma_f32 v[4:5], v[4:5], v[88:89], v[20:21] op_sel:[0,0,1] op_sel_hi:[1,0,0]
	v_mov_b32_e32 v23, v5
	v_pk_add_f32 v[4:5], v[18:19], v[22:23]
	v_mov_b32_e32 v18, v87
	v_pk_mul_f32 v[18:19], v[6:7], v[18:19] op_sel_hi:[1,0]
	v_pk_fma_f32 v[20:21], v[6:7], v[86:87], v[18:19] op_sel:[0,0,1] op_sel_hi:[1,1,0] neg_lo:[0,0,1] neg_hi:[0,0,1]
	v_pk_fma_f32 v[6:7], v[6:7], v[86:87], v[18:19] op_sel:[0,0,1] op_sel_hi:[1,0,0]
	v_mov_b32_e32 v6, v85
	v_mov_b32_e32 v21, v7
	s_waitcnt lgkmcnt(2)
	v_pk_mul_f32 v[6:7], v[8:9], v[6:7] op_sel_hi:[1,0]
	v_pk_fma_f32 v[18:19], v[8:9], v[84:85], v[6:7] op_sel:[0,0,1] op_sel_hi:[1,1,0] neg_lo:[0,0,1] neg_hi:[0,0,1]
	v_pk_fma_f32 v[6:7], v[8:9], v[84:85], v[6:7] op_sel:[0,0,1] op_sel_hi:[1,0,0]
	s_waitcnt vmcnt(1)
	v_mov_b32_e32 v6, v99
	v_mov_b32_e32 v19, v7
	v_pk_mul_f32 v[6:7], v[10:11], v[6:7] op_sel_hi:[1,0]
	s_waitcnt vmcnt(0)
	v_pk_fma_f32 v[8:9], v[10:11], v[98:99], v[6:7] op_sel:[0,0,1] op_sel_hi:[1,1,0] neg_lo:[0,0,1] neg_hi:[0,0,1]
	v_pk_fma_f32 v[6:7], v[10:11], v[98:99], v[6:7] op_sel:[0,0,1] op_sel_hi:[1,0,0]
	v_pk_add_f32 v[4:5], v[4:5], v[20:21]
	v_mov_b32_e32 v6, v97
	v_pk_add_f32 v[4:5], v[4:5], v[18:19]
	v_mov_b32_e32 v9, v7
	s_waitcnt lgkmcnt(1)
	v_pk_mul_f32 v[6:7], v[12:13], v[6:7] op_sel_hi:[1,0]
	v_pk_add_f32 v[4:5], v[4:5], v[8:9]
	v_pk_fma_f32 v[8:9], v[12:13], v[96:97], v[6:7] op_sel:[0,0,1] op_sel_hi:[1,1,0] neg_lo:[0,0,1] neg_hi:[0,0,1]
	v_pk_fma_f32 v[6:7], v[12:13], v[96:97], v[6:7] op_sel:[0,0,1] op_sel_hi:[1,0,0]
	v_mov_b32_e32 v6, v95
	v_mov_b32_e32 v9, v7
	v_pk_mul_f32 v[6:7], v[14:15], v[6:7] op_sel_hi:[1,0]
	v_pk_add_f32 v[4:5], v[4:5], v[8:9]
	v_pk_fma_f32 v[8:9], v[14:15], v[94:95], v[6:7] op_sel:[0,0,1] op_sel_hi:[1,1,0] neg_lo:[0,0,1] neg_hi:[0,0,1]
	v_pk_fma_f32 v[6:7], v[14:15], v[94:95], v[6:7] op_sel:[0,0,1] op_sel_hi:[1,0,0]
	v_mov_b32_e32 v6, v93
	v_mov_b32_e32 v9, v7
	s_waitcnt lgkmcnt(0)
	v_pk_mul_f32 v[6:7], v[16:17], v[6:7] op_sel_hi:[1,0]
	v_pk_add_f32 v[4:5], v[4:5], v[8:9]
	v_pk_fma_f32 v[8:9], v[16:17], v[92:93], v[6:7] op_sel:[0,0,1] op_sel_hi:[1,1,0] neg_lo:[0,0,1] neg_hi:[0,0,1]
	v_pk_fma_f32 v[6:7], v[16:17], v[92:93], v[6:7] op_sel:[0,0,1] op_sel_hi:[1,0,0]
	v_mov_b32_e32 v9, v7
	v_pk_add_f32 v[4:5], v[4:5], v[8:9]
	v_pk_add_f32 v[2:3], v[2:3], v[4:5] neg_lo:[0,1] neg_hi:[0,1]
	buffer_store_dword v3, off, s[0:3], 0 offset:76
	buffer_store_dword v2, off, s[0:3], 0 offset:72
	s_and_saveexec_b64 s[4:5], vcc
	s_cbranch_execz .LBB52_315
; %bb.314:
	buffer_load_dword v2, off, s[0:3], 0 offset:64
	buffer_load_dword v3, off, s[0:3], 0 offset:68
	v_accvgpr_read_b32 v1, a48
	buffer_store_dword v28, off, s[0:3], 0 offset:64
	buffer_store_dword v28, off, s[0:3], 0 offset:68
	s_waitcnt vmcnt(2)
	ds_write_b64 v1, v[2:3]
.LBB52_315:
	s_or_b64 exec, exec, s[4:5]
	s_waitcnt lgkmcnt(0)
	; wave barrier
	s_waitcnt lgkmcnt(0)
	buffer_load_dword v1, off, s[0:3], 0 offset:76
	buffer_load_dword v29, off, s[0:3], 0 offset:84
	;; [unrolled: 1-line block ×26, first 2 shown]
	ds_read2_b64 v[22:25], v28 offset0:63 offset1:64
	ds_read2_b64 v[18:21], v28 offset0:65 offset1:66
	;; [unrolled: 1-line block ×6, first 2 shown]
	buffer_load_dword v199, off, s[0:3], 0 offset:168
	buffer_load_dword v200, off, s[0:3], 0 offset:172
	buffer_load_dword v201, off, s[0:3], 0 offset:176
	buffer_load_dword v202, off, s[0:3], 0 offset:180
	buffer_load_dword v203, off, s[0:3], 0 offset:184
	buffer_load_dword v204, off, s[0:3], 0 offset:188
	buffer_load_dword v205, off, s[0:3], 0 offset:192
	buffer_load_dword v206, off, s[0:3], 0 offset:196
	buffer_load_dword v207, off, s[0:3], 0 offset:200
	buffer_load_dword v208, off, s[0:3], 0 offset:204
	buffer_load_dword v209, off, s[0:3], 0 offset:208
	buffer_load_dword v210, off, s[0:3], 0 offset:212
	buffer_load_dword v211, off, s[0:3], 0 offset:216
	buffer_load_dword v212, off, s[0:3], 0 offset:220
	buffer_load_dword v213, off, s[0:3], 0 offset:224
	buffer_load_dword v214, off, s[0:3], 0 offset:228
	buffer_load_dword v215, off, s[0:3], 0 offset:232
	buffer_load_dword v216, off, s[0:3], 0 offset:236
	buffer_load_dword v217, off, s[0:3], 0 offset:240
	buffer_load_dword v218, off, s[0:3], 0 offset:244
	buffer_load_dword v219, off, s[0:3], 0 offset:248
	buffer_load_dword v220, off, s[0:3], 0 offset:252
	buffer_load_dword v221, off, s[0:3], 0 offset:256
	buffer_load_dword v222, off, s[0:3], 0 offset:260
	buffer_load_dword v223, off, s[0:3], 0 offset:264
	buffer_load_dword v224, off, s[0:3], 0 offset:268
	buffer_load_dword v225, off, s[0:3], 0 offset:272
	buffer_load_dword v226, off, s[0:3], 0 offset:276
	buffer_load_dword v227, off, s[0:3], 0 offset:280
	buffer_load_dword v228, off, s[0:3], 0 offset:284
	buffer_load_dword v229, off, s[0:3], 0 offset:288
	buffer_load_dword v230, off, s[0:3], 0 offset:292
	buffer_load_dword v231, off, s[0:3], 0 offset:296
	buffer_load_dword v232, off, s[0:3], 0 offset:300
	buffer_load_dword v233, off, s[0:3], 0 offset:304
	buffer_load_dword v234, off, s[0:3], 0 offset:308
	buffer_load_dword v235, off, s[0:3], 0 offset:312
	buffer_load_dword v236, off, s[0:3], 0 offset:316
	buffer_load_dword v237, off, s[0:3], 0 offset:320
	buffer_load_dword v238, off, s[0:3], 0 offset:324
	buffer_load_dword v239, off, s[0:3], 0 offset:328
	buffer_load_dword v240, off, s[0:3], 0 offset:332
	v_cmp_lt_u32_e32 vcc, 7, v0
	s_waitcnt vmcnt(62) lgkmcnt(5)
	v_mul_f32_e32 v30, v22, v1
	v_mul_f32_e32 v31, v24, v29
	s_waitcnt lgkmcnt(4)
	v_mul_f32_e32 v33, v20, v78
	s_waitcnt lgkmcnt(3)
	v_mul_f32_e32 v34, v14, v80
	v_mul_f32_e32 v35, v16, v88
	;; [unrolled: 1-line block ×3, first 2 shown]
	s_waitcnt vmcnt(61) lgkmcnt(2)
	v_mul_f32_e32 v36, v10, v101
	s_waitcnt vmcnt(60)
	v_mul_f32_e32 v37, v12, v102
	s_waitcnt vmcnt(59) lgkmcnt(1)
	v_mul_f32_e32 v38, v6, v103
	s_waitcnt vmcnt(58)
	v_fmac_f32_e32 v32, v19, v104
	s_waitcnt vmcnt(57)
	v_fmac_f32_e32 v31, v25, v105
	;; [unrolled: 2-line block ×3, first 2 shown]
	v_add_f32_e32 v30, 0, v30
	v_add_f32_e32 v30, v30, v31
	;; [unrolled: 1-line block ×3, first 2 shown]
	s_waitcnt vmcnt(52)
	v_fmac_f32_e32 v33, v21, v110
	v_fmac_f32_e32 v34, v15, v109
	v_add_f32_e32 v30, v30, v33
	v_fmac_f32_e32 v35, v17, v108
	v_add_f32_e32 v30, v30, v34
	;; [unrolled: 2-line block ×3, first 2 shown]
	s_waitcnt vmcnt(48)
	v_fmac_f32_e32 v37, v13, v194
	v_add_f32_e32 v30, v30, v36
	v_fmac_f32_e32 v38, v7, v193
	v_add_f32_e32 v30, v30, v37
	s_waitcnt vmcnt(47)
	v_mul_f32_e32 v31, v8, v195
	v_add_f32_e32 v30, v30, v38
	v_fmac_f32_e32 v31, v9, v192
	v_add_f32_e32 v30, v30, v31
	s_waitcnt vmcnt(46) lgkmcnt(0)
	v_mul_f32_e32 v31, v2, v196
	v_fmac_f32_e32 v31, v3, v111
	v_add_f32_e32 v34, v30, v31
	ds_read2_b64 v[30:33], v28 offset0:75 offset1:76
	s_waitcnt vmcnt(42)
	v_mul_f32_e32 v35, v4, v198
	v_fmac_f32_e32 v35, v5, v197
	buffer_load_dword v241, off, s[0:3], 0 offset:336
	buffer_load_dword v242, off, s[0:3], 0 offset:340
	v_add_f32_e32 v38, v34, v35
	buffer_load_dword v243, off, s[0:3], 0 offset:344
	buffer_load_dword v244, off, s[0:3], 0 offset:348
	ds_read2_b64 v[34:37], v28 offset0:77 offset1:78
	s_waitcnt vmcnt(44) lgkmcnt(1)
	v_mul_f32_e32 v39, v30, v200
	v_fmac_f32_e32 v39, v31, v199
	v_add_f32_e32 v38, v38, v39
	s_waitcnt vmcnt(42)
	v_mul_f32_e32 v39, v32, v202
	v_fmac_f32_e32 v39, v33, v201
	v_add_f32_e32 v38, v38, v39
	s_waitcnt vmcnt(40) lgkmcnt(0)
	v_mul_f32_e32 v39, v34, v204
	v_fmac_f32_e32 v39, v35, v203
	buffer_load_dword v245, off, s[0:3], 0 offset:352
	buffer_load_dword v246, off, s[0:3], 0 offset:356
	v_add_f32_e32 v42, v38, v39
	ds_read2_b64 v[38:41], v28 offset0:79 offset1:80
	s_waitcnt vmcnt(40)
	v_mul_f32_e32 v43, v36, v206
	v_fmac_f32_e32 v43, v37, v205
	v_add_f32_e32 v46, v42, v43
	ds_read2_b64 v[42:45], v28 offset0:81 offset1:82
	s_waitcnt vmcnt(38) lgkmcnt(1)
	v_mul_f32_e32 v47, v38, v208
	v_fmac_f32_e32 v47, v39, v207
	v_add_f32_e32 v46, v46, v47
	s_waitcnt vmcnt(36)
	v_mul_f32_e32 v47, v40, v210
	v_fmac_f32_e32 v47, v41, v209
	v_add_f32_e32 v46, v46, v47
	s_waitcnt vmcnt(34) lgkmcnt(0)
	v_mul_f32_e32 v47, v42, v212
	v_fmac_f32_e32 v47, v43, v211
	v_add_f32_e32 v50, v46, v47
	ds_read2_b64 v[46:49], v28 offset0:83 offset1:84
	s_waitcnt vmcnt(32)
	v_mul_f32_e32 v51, v44, v214
	v_fmac_f32_e32 v51, v45, v213
	v_add_f32_e32 v54, v50, v51
	ds_read2_b64 v[50:53], v28 offset0:85 offset1:86
	s_waitcnt vmcnt(30) lgkmcnt(1)
	v_mul_f32_e32 v55, v46, v216
	v_fmac_f32_e32 v55, v47, v215
	v_add_f32_e32 v54, v54, v55
	s_waitcnt vmcnt(28)
	v_mul_f32_e32 v55, v48, v218
	v_fmac_f32_e32 v55, v49, v217
	v_add_f32_e32 v54, v54, v55
	s_waitcnt vmcnt(26) lgkmcnt(0)
	v_mul_f32_e32 v55, v50, v220
	v_fmac_f32_e32 v55, v51, v219
	;; [unrolled: 18-line block ×4, first 2 shown]
	s_waitcnt vmcnt(8)
	v_mul_f32_e32 v75, v68, v238
	v_add_f32_e32 v74, v70, v71
	v_fmac_f32_e32 v75, v69, v237
	ds_read2_b64 v[70:73], v28 offset0:95 offset1:96
	v_add_f32_e32 v79, v74, v75
	ds_read2_b64 v[74:77], v28 offset0:97 offset1:98
	buffer_load_dword v83, off, s[0:3], 0 offset:380
	buffer_load_dword v82, off, s[0:3], 0 offset:376
	;; [unrolled: 1-line block ×16, first 2 shown]
	v_mul_f32_e32 v1, v23, v1
	v_fma_f32 v1, v22, v106, -v1
	v_mul_f32_e32 v22, v25, v29
	v_add_f32_e32 v1, 0, v1
	v_fma_f32 v22, v24, v105, -v22
	v_mul_f32_e32 v19, v19, v100
	v_add_f32_e32 v1, v1, v22
	v_fma_f32 v18, v18, v104, -v19
	v_add_f32_e32 v1, v1, v18
	v_mul_f32_e32 v18, v21, v78
	v_fma_f32 v18, v20, v110, -v18
	v_mul_f32_e32 v15, v15, v80
	v_add_f32_e32 v1, v1, v18
	v_fma_f32 v14, v14, v109, -v15
	v_add_f32_e32 v1, v1, v14
	v_mul_f32_e32 v14, v17, v88
	;; [unrolled: 6-line block ×5, first 2 shown]
	v_fma_f32 v2, v4, v197, -v2
	v_add_f32_e32 v1, v1, v2
	v_mul_f32_e32 v2, v31, v200
	v_fma_f32 v2, v30, v199, -v2
	v_add_f32_e32 v1, v1, v2
	v_mul_f32_e32 v2, v33, v202
	;; [unrolled: 3-line block ×20, first 2 shown]
	v_fma_f32 v2, v68, v237, -v2
	v_add_f32_e32 v1, v1, v2
	s_waitcnt vmcnt(22) lgkmcnt(1)
	v_mul_f32_e32 v2, v71, v240
	v_mul_f32_e32 v81, v70, v240
	v_fma_f32 v2, v70, v239, -v2
	v_fmac_f32_e32 v81, v71, v239
	v_add_f32_e32 v1, v1, v2
	s_waitcnt vmcnt(20)
	v_mul_f32_e32 v2, v73, v242
	v_add_f32_e32 v79, v79, v81
	v_mul_f32_e32 v81, v72, v242
	v_fma_f32 v2, v72, v241, -v2
	v_fmac_f32_e32 v81, v73, v241
	v_add_f32_e32 v78, v1, v2
	ds_read2_b64 v[2:5], v28 offset0:99 offset1:100
	ds_read2_b64 v[6:9], v28 offset0:101 offset1:102
	;; [unrolled: 1-line block ×4, first 2 shown]
	v_add_f32_e32 v79, v79, v81
	s_waitcnt vmcnt(18) lgkmcnt(4)
	v_mul_f32_e32 v81, v74, v244
	v_mul_f32_e32 v1, v75, v244
	s_waitcnt vmcnt(11)
	v_mov_b32_e32 v20, v87
	v_fmac_f32_e32 v81, v75, v243
	v_mul_f32_e32 v89, v76, v246
	v_fma_f32 v80, v74, v243, -v1
	v_mul_f32_e32 v1, v77, v246
	s_waitcnt lgkmcnt(3)
	v_pk_mul_f32 v[20:21], v[2:3], v[20:21] op_sel_hi:[1,0]
	v_fmac_f32_e32 v89, v77, v245
	v_fma_f32 v88, v76, v245, -v1
	v_pk_add_f32 v[18:19], v[78:79], v[80:81]
	s_waitcnt vmcnt(10)
	v_pk_fma_f32 v[22:23], v[2:3], v[86:87], v[20:21] op_sel:[0,0,1] op_sel_hi:[1,1,0] neg_lo:[0,0,1] neg_hi:[0,0,1]
	v_pk_fma_f32 v[2:3], v[2:3], v[86:87], v[20:21] op_sel:[0,0,1] op_sel_hi:[1,0,0]
	v_pk_add_f32 v[18:19], v[18:19], v[88:89]
	v_mov_b32_e32 v23, v3
	v_pk_add_f32 v[2:3], v[18:19], v[22:23]
	v_mov_b32_e32 v18, v85
	v_pk_mul_f32 v[18:19], v[4:5], v[18:19] op_sel_hi:[1,0]
	v_pk_fma_f32 v[20:21], v[4:5], v[84:85], v[18:19] op_sel:[0,0,1] op_sel_hi:[1,1,0] neg_lo:[0,0,1] neg_hi:[0,0,1]
	v_pk_fma_f32 v[4:5], v[4:5], v[84:85], v[18:19] op_sel:[0,0,1] op_sel_hi:[1,0,0]
	v_mov_b32_e32 v4, v83
	v_mov_b32_e32 v21, v5
	s_waitcnt lgkmcnt(2)
	v_pk_mul_f32 v[4:5], v[6:7], v[4:5] op_sel_hi:[1,0]
	v_pk_fma_f32 v[18:19], v[6:7], v[82:83], v[4:5] op_sel:[0,0,1] op_sel_hi:[1,1,0] neg_lo:[0,0,1] neg_hi:[0,0,1]
	v_pk_fma_f32 v[4:5], v[6:7], v[82:83], v[4:5] op_sel:[0,0,1] op_sel_hi:[1,0,0]
	s_waitcnt vmcnt(3)
	v_mov_b32_e32 v4, v97
	v_mov_b32_e32 v19, v5
	v_pk_mul_f32 v[4:5], v[8:9], v[4:5] op_sel_hi:[1,0]
	s_waitcnt vmcnt(2)
	v_pk_fma_f32 v[6:7], v[8:9], v[96:97], v[4:5] op_sel:[0,0,1] op_sel_hi:[1,1,0] neg_lo:[0,0,1] neg_hi:[0,0,1]
	v_pk_fma_f32 v[4:5], v[8:9], v[96:97], v[4:5] op_sel:[0,0,1] op_sel_hi:[1,0,0]
	v_pk_add_f32 v[2:3], v[2:3], v[20:21]
	v_mov_b32_e32 v4, v95
	v_pk_add_f32 v[2:3], v[2:3], v[18:19]
	v_mov_b32_e32 v7, v5
	s_waitcnt lgkmcnt(1)
	v_pk_mul_f32 v[4:5], v[10:11], v[4:5] op_sel_hi:[1,0]
	v_pk_add_f32 v[2:3], v[2:3], v[6:7]
	v_pk_fma_f32 v[6:7], v[10:11], v[94:95], v[4:5] op_sel:[0,0,1] op_sel_hi:[1,1,0] neg_lo:[0,0,1] neg_hi:[0,0,1]
	v_pk_fma_f32 v[4:5], v[10:11], v[94:95], v[4:5] op_sel:[0,0,1] op_sel_hi:[1,0,0]
	v_mov_b32_e32 v4, v93
	v_mov_b32_e32 v7, v5
	v_pk_mul_f32 v[4:5], v[12:13], v[4:5] op_sel_hi:[1,0]
	v_pk_add_f32 v[2:3], v[2:3], v[6:7]
	v_pk_fma_f32 v[6:7], v[12:13], v[92:93], v[4:5] op_sel:[0,0,1] op_sel_hi:[1,1,0] neg_lo:[0,0,1] neg_hi:[0,0,1]
	v_pk_fma_f32 v[4:5], v[12:13], v[92:93], v[4:5] op_sel:[0,0,1] op_sel_hi:[1,0,0]
	v_mov_b32_e32 v4, v91
	v_mov_b32_e32 v7, v5
	s_waitcnt lgkmcnt(0)
	v_pk_mul_f32 v[4:5], v[14:15], v[4:5] op_sel_hi:[1,0]
	v_pk_add_f32 v[2:3], v[2:3], v[6:7]
	v_pk_fma_f32 v[6:7], v[14:15], v[90:91], v[4:5] op_sel:[0,0,1] op_sel_hi:[1,1,0] neg_lo:[0,0,1] neg_hi:[0,0,1]
	v_pk_fma_f32 v[4:5], v[14:15], v[90:91], v[4:5] op_sel:[0,0,1] op_sel_hi:[1,0,0]
	s_waitcnt vmcnt(1)
	v_mov_b32_e32 v4, v99
	v_mov_b32_e32 v7, v5
	v_pk_mul_f32 v[4:5], v[16:17], v[4:5] op_sel_hi:[1,0]
	v_pk_add_f32 v[2:3], v[2:3], v[6:7]
	s_waitcnt vmcnt(0)
	v_pk_fma_f32 v[6:7], v[16:17], v[98:99], v[4:5] op_sel:[0,0,1] op_sel_hi:[1,1,0] neg_lo:[0,0,1] neg_hi:[0,0,1]
	v_pk_fma_f32 v[4:5], v[16:17], v[98:99], v[4:5] op_sel:[0,0,1] op_sel_hi:[1,0,0]
	v_mov_b32_e32 v7, v5
	v_pk_add_f32 v[2:3], v[2:3], v[6:7]
	v_pk_add_f32 v[2:3], v[26:27], v[2:3] neg_lo:[0,1] neg_hi:[0,1]
	buffer_store_dword v3, off, s[0:3], 0 offset:68
	buffer_store_dword v2, off, s[0:3], 0 offset:64
	s_and_saveexec_b64 s[4:5], vcc
	s_cbranch_execz .LBB52_317
; %bb.316:
	buffer_load_dword v2, off, s[0:3], 0 offset:56
	buffer_load_dword v3, off, s[0:3], 0 offset:60
	v_mov_b32_e32 v1, 0
	v_accvgpr_read_b32 v4, a48
	buffer_store_dword v1, off, s[0:3], 0 offset:56
	buffer_store_dword v1, off, s[0:3], 0 offset:60
	s_waitcnt vmcnt(2)
	ds_write_b64 v4, v[2:3]
.LBB52_317:
	s_or_b64 exec, exec, s[4:5]
	v_mov_b32_e32 v208, 0
	s_waitcnt lgkmcnt(0)
	; wave barrier
	s_waitcnt lgkmcnt(0)
	ds_read_b128 v[14:17], v208 offset:496
	ds_read_b128 v[10:13], v208 offset:512
	;; [unrolled: 1-line block ×4, first 2 shown]
	buffer_load_dword v78, off, s[0:3], 0 offset:56
	buffer_load_dword v79, off, s[0:3], 0 offset:60
	;; [unrolled: 1-line block ×18, first 2 shown]
	v_cmp_lt_u32_e32 vcc, 6, v0
	s_waitcnt vmcnt(14) lgkmcnt(3)
	v_mul_f32_e32 v1, v14, v209
	v_fmac_f32_e32 v1, v15, v80
	s_waitcnt vmcnt(12)
	v_mul_f32_e32 v18, v16, v211
	v_add_f32_e32 v1, 0, v1
	v_fmac_f32_e32 v18, v17, v82
	v_add_f32_e32 v1, v1, v18
	s_waitcnt vmcnt(10) lgkmcnt(2)
	v_mul_f32_e32 v18, v10, v213
	v_fmac_f32_e32 v18, v11, v192
	v_add_f32_e32 v1, v1, v18
	s_waitcnt vmcnt(8)
	v_mul_f32_e32 v18, v12, v215
	v_fmac_f32_e32 v18, v13, v210
	v_add_f32_e32 v1, v1, v18
	s_waitcnt vmcnt(6) lgkmcnt(1)
	v_mul_f32_e32 v18, v6, v217
	v_fmac_f32_e32 v18, v7, v212
	v_add_f32_e32 v1, v1, v18
	s_waitcnt vmcnt(4)
	v_mul_f32_e32 v18, v8, v218
	;; [unrolled: 8-line block ×3, first 2 shown]
	v_fmac_f32_e32 v18, v5, v220
	v_add_f32_e32 v1, v1, v18
	ds_read_b128 v[18:21], v208 offset:560
	buffer_load_dword v222, off, s[0:3], 0 offset:128
	buffer_load_dword v223, off, s[0:3], 0 offset:132
	;; [unrolled: 1-line block ×4, first 2 shown]
	v_mul_f32_e32 v15, v15, v209
	v_fma_f32 v14, v14, v80, -v15
	v_mul_f32_e32 v15, v17, v211
	v_add_f32_e32 v14, 0, v14
	v_fma_f32 v15, v16, v82, -v15
	v_mul_f32_e32 v11, v11, v213
	v_add_f32_e32 v14, v14, v15
	;; [unrolled: 3-line block ×7, first 2 shown]
	v_fma_f32 v3, v4, v220, -v3
	v_add_f32_e32 v2, v2, v3
	s_waitcnt vmcnt(2) lgkmcnt(0)
	v_mul_f32_e32 v22, v18, v223
	v_fmac_f32_e32 v22, v19, v222
	v_add_f32_e32 v1, v1, v22
	s_waitcnt vmcnt(0)
	v_mul_f32_e32 v22, v20, v225
	v_fmac_f32_e32 v22, v21, v224
	v_add_f32_e32 v1, v1, v22
	ds_read_b128 v[22:25], v208 offset:576
	buffer_load_dword v226, off, s[0:3], 0 offset:144
	buffer_load_dword v227, off, s[0:3], 0 offset:148
	;; [unrolled: 1-line block ×4, first 2 shown]
	ds_read_b128 v[30:33], v208 offset:592
	buffer_load_dword v230, off, s[0:3], 0 offset:160
	buffer_load_dword v231, off, s[0:3], 0 offset:164
	v_mul_f32_e32 v3, v19, v223
	v_fma_f32 v3, v18, v222, -v3
	v_add_f32_e32 v2, v2, v3
	v_mul_f32_e32 v3, v21, v225
	v_fma_f32 v3, v20, v224, -v3
	v_add_f32_e32 v2, v2, v3
	s_waitcnt vmcnt(4) lgkmcnt(1)
	v_mul_f32_e32 v26, v22, v227
	v_fmac_f32_e32 v26, v23, v226
	v_add_f32_e32 v1, v1, v26
	s_waitcnt vmcnt(2)
	v_mul_f32_e32 v26, v24, v229
	v_fmac_f32_e32 v26, v25, v228
	v_add_f32_e32 v1, v1, v26
	s_waitcnt vmcnt(0) lgkmcnt(0)
	v_mul_f32_e32 v26, v30, v231
	v_fmac_f32_e32 v26, v31, v230
	v_add_f32_e32 v26, v1, v26
	buffer_load_dword v1, off, s[0:3], 0 offset:168
	buffer_load_dword v86, off, s[0:3], 0 offset:172
	ds_read_b128 v[34:37], v208 offset:608
	buffer_load_dword v87, off, s[0:3], 0 offset:176
	buffer_load_dword v88, off, s[0:3], 0 offset:180
	buffer_load_dword v89, off, s[0:3], 0 offset:184
	buffer_load_dword v232, off, s[0:3], 0 offset:188
	ds_read_b128 v[38:41], v208 offset:624
	buffer_load_dword v233, off, s[0:3], 0 offset:192
	buffer_load_dword v234, off, s[0:3], 0 offset:196
	;; [unrolled: 5-line block ×11, first 2 shown]
	buffer_load_dword v249, off, s[0:3], 0 offset:344
	buffer_load_dword v250, off, s[0:3], 0 offset:348
	v_mul_f32_e32 v3, v23, v227
	v_fma_f32 v3, v22, v226, -v3
	v_add_f32_e32 v2, v2, v3
	v_mul_f32_e32 v3, v25, v229
	v_fma_f32 v3, v24, v228, -v3
	v_add_f32_e32 v2, v2, v3
	;; [unrolled: 3-line block ×3, first 2 shown]
	s_waitcnt vmcnt(44)
	v_mul_f32_e32 v27, v32, v86
	v_fmac_f32_e32 v27, v33, v1
	v_add_f32_e32 v26, v26, v27
	s_waitcnt vmcnt(42) lgkmcnt(10)
	v_mul_f32_e32 v27, v34, v88
	v_fmac_f32_e32 v27, v35, v87
	v_add_f32_e32 v26, v26, v27
	s_waitcnt vmcnt(40)
	v_mul_f32_e32 v27, v36, v232
	v_fmac_f32_e32 v27, v37, v89
	v_add_f32_e32 v26, v26, v27
	s_waitcnt vmcnt(38) lgkmcnt(9)
	v_mul_f32_e32 v27, v38, v234
	v_fmac_f32_e32 v27, v39, v233
	v_add_f32_e32 v26, v26, v27
	;; [unrolled: 8-line block ×11, first 2 shown]
	ds_read_b128 v[26:29], v208 offset:784
	buffer_load_dword v251, off, s[0:3], 0 offset:352
	buffer_load_dword v252, off, s[0:3], 0 offset:356
	;; [unrolled: 1-line block ×18, first 2 shown]
	v_mul_f32_e32 v3, v33, v86
	v_fma_f32 v1, v32, v1, -v3
	v_add_f32_e32 v1, v2, v1
	v_mul_f32_e32 v2, v35, v88
	v_fma_f32 v2, v34, v87, -v2
	v_add_f32_e32 v1, v1, v2
	;; [unrolled: 3-line block ×21, first 2 shown]
	v_mul_f32_e32 v2, v75, v248
	v_fma_f32 v2, v74, v247, -v2
	s_waitcnt vmcnt(15)
	v_mov_b32_e32 v18, v85
	v_mul_f32_e32 v83, v76, v250
	v_add_f32_e32 v80, v1, v2
	v_mul_f32_e32 v1, v77, v250
	s_waitcnt lgkmcnt(0)
	v_pk_mul_f32 v[18:19], v[28:29], v[18:19] op_sel_hi:[1,0]
	v_fmac_f32_e32 v83, v77, v249
	v_fma_f32 v82, v76, v249, -v1
	ds_read_b128 v[2:5], v208 offset:800
	ds_read_b128 v[6:9], v208 offset:816
	;; [unrolled: 1-line block ×3, first 2 shown]
	ds_read_b64 v[14:15], v208 offset:848
	s_waitcnt vmcnt(14)
	v_pk_fma_f32 v[20:21], v[28:29], v[84:85], v[18:19] op_sel:[0,0,1] op_sel_hi:[1,1,0] neg_lo:[0,0,1] neg_hi:[0,0,1]
	v_pk_fma_f32 v[18:19], v[28:29], v[84:85], v[18:19] op_sel:[0,0,1] op_sel_hi:[1,0,0]
	v_pk_add_f32 v[16:17], v[80:81], v[82:83]
	s_waitcnt vmcnt(13)
	v_mov_b32_e32 v18, v207
	v_mov_b32_e32 v21, v19
	v_mul_f32_e32 v193, v26, v252
	v_mul_f32_e32 v1, v27, v252
	v_fmac_f32_e32 v193, v27, v251
	v_fma_f32 v192, v26, v251, -v1
	v_pk_add_f32 v[16:17], v[16:17], v[192:193]
	s_waitcnt lgkmcnt(3)
	v_pk_mul_f32 v[18:19], v[2:3], v[18:19] op_sel_hi:[1,0]
	v_pk_add_f32 v[16:17], v[16:17], v[20:21]
	s_waitcnt vmcnt(12)
	v_pk_fma_f32 v[20:21], v[2:3], v[206:207], v[18:19] op_sel:[0,0,1] op_sel_hi:[1,1,0] neg_lo:[0,0,1] neg_hi:[0,0,1]
	v_pk_fma_f32 v[2:3], v[2:3], v[206:207], v[18:19] op_sel:[0,0,1] op_sel_hi:[1,0,0]
	v_mov_b32_e32 v21, v3
	v_pk_add_f32 v[2:3], v[16:17], v[20:21]
	s_waitcnt vmcnt(11)
	v_mov_b32_e32 v16, v205
	v_pk_mul_f32 v[16:17], v[4:5], v[16:17] op_sel_hi:[1,0]
	s_waitcnt vmcnt(10)
	v_pk_fma_f32 v[18:19], v[4:5], v[204:205], v[16:17] op_sel:[0,0,1] op_sel_hi:[1,1,0] neg_lo:[0,0,1] neg_hi:[0,0,1]
	v_pk_fma_f32 v[4:5], v[4:5], v[204:205], v[16:17] op_sel:[0,0,1] op_sel_hi:[1,0,0]
	s_waitcnt vmcnt(9)
	v_mov_b32_e32 v4, v203
	v_mov_b32_e32 v19, v5
	s_waitcnt lgkmcnt(2)
	v_pk_mul_f32 v[4:5], v[6:7], v[4:5] op_sel_hi:[1,0]
	s_waitcnt vmcnt(8)
	v_pk_fma_f32 v[16:17], v[6:7], v[202:203], v[4:5] op_sel:[0,0,1] op_sel_hi:[1,1,0] neg_lo:[0,0,1] neg_hi:[0,0,1]
	v_pk_fma_f32 v[4:5], v[6:7], v[202:203], v[4:5] op_sel:[0,0,1] op_sel_hi:[1,0,0]
	s_waitcnt vmcnt(7)
	v_mov_b32_e32 v4, v201
	v_mov_b32_e32 v17, v5
	v_pk_mul_f32 v[4:5], v[8:9], v[4:5] op_sel_hi:[1,0]
	s_waitcnt vmcnt(6)
	v_pk_fma_f32 v[6:7], v[8:9], v[200:201], v[4:5] op_sel:[0,0,1] op_sel_hi:[1,1,0] neg_lo:[0,0,1] neg_hi:[0,0,1]
	v_pk_fma_f32 v[4:5], v[8:9], v[200:201], v[4:5] op_sel:[0,0,1] op_sel_hi:[1,0,0]
	v_pk_add_f32 v[2:3], v[2:3], v[18:19]
	s_waitcnt vmcnt(5)
	v_mov_b32_e32 v4, v199
	v_pk_add_f32 v[2:3], v[2:3], v[16:17]
	v_mov_b32_e32 v7, v5
	s_waitcnt lgkmcnt(1)
	v_pk_mul_f32 v[4:5], v[10:11], v[4:5] op_sel_hi:[1,0]
	v_pk_add_f32 v[2:3], v[2:3], v[6:7]
	s_waitcnt vmcnt(4)
	v_pk_fma_f32 v[6:7], v[10:11], v[198:199], v[4:5] op_sel:[0,0,1] op_sel_hi:[1,1,0] neg_lo:[0,0,1] neg_hi:[0,0,1]
	v_pk_fma_f32 v[4:5], v[10:11], v[198:199], v[4:5] op_sel:[0,0,1] op_sel_hi:[1,0,0]
	s_waitcnt vmcnt(3)
	v_mov_b32_e32 v4, v197
	v_mov_b32_e32 v7, v5
	v_pk_mul_f32 v[4:5], v[12:13], v[4:5] op_sel_hi:[1,0]
	v_pk_add_f32 v[2:3], v[2:3], v[6:7]
	s_waitcnt vmcnt(2)
	v_pk_fma_f32 v[6:7], v[12:13], v[196:197], v[4:5] op_sel:[0,0,1] op_sel_hi:[1,1,0] neg_lo:[0,0,1] neg_hi:[0,0,1]
	v_pk_fma_f32 v[4:5], v[12:13], v[196:197], v[4:5] op_sel:[0,0,1] op_sel_hi:[1,0,0]
	s_waitcnt vmcnt(1)
	v_mov_b32_e32 v4, v195
	v_mov_b32_e32 v7, v5
	s_waitcnt lgkmcnt(0)
	v_pk_mul_f32 v[4:5], v[14:15], v[4:5] op_sel_hi:[1,0]
	v_pk_add_f32 v[2:3], v[2:3], v[6:7]
	s_waitcnt vmcnt(0)
	v_pk_fma_f32 v[6:7], v[14:15], v[194:195], v[4:5] op_sel:[0,0,1] op_sel_hi:[1,1,0] neg_lo:[0,0,1] neg_hi:[0,0,1]
	v_pk_fma_f32 v[4:5], v[14:15], v[194:195], v[4:5] op_sel:[0,0,1] op_sel_hi:[1,0,0]
	v_mov_b32_e32 v7, v5
	v_pk_add_f32 v[2:3], v[2:3], v[6:7]
	v_pk_add_f32 v[2:3], v[78:79], v[2:3] neg_lo:[0,1] neg_hi:[0,1]
	buffer_store_dword v3, off, s[0:3], 0 offset:60
	buffer_store_dword v2, off, s[0:3], 0 offset:56
	s_and_saveexec_b64 s[4:5], vcc
	s_cbranch_execz .LBB52_319
; %bb.318:
	buffer_load_dword v2, off, s[0:3], 0 offset:48
	buffer_load_dword v3, off, s[0:3], 0 offset:52
	v_accvgpr_read_b32 v1, a48
	buffer_store_dword v208, off, s[0:3], 0 offset:48
	buffer_store_dword v208, off, s[0:3], 0 offset:52
	s_waitcnt vmcnt(2)
	ds_write_b64 v1, v[2:3]
.LBB52_319:
	s_or_b64 exec, exec, s[4:5]
	s_waitcnt lgkmcnt(0)
	; wave barrier
	s_waitcnt lgkmcnt(0)
	buffer_load_dword v90, off, s[0:3], 0 offset:60
	buffer_load_dword v92, off, s[0:3], 0 offset:68
	;; [unrolled: 1-line block ×32, first 2 shown]
	ds_read2_b64 v[22:25], v208 offset0:61 offset1:62
	ds_read2_b64 v[18:21], v208 offset0:63 offset1:64
	;; [unrolled: 1-line block ×6, first 2 shown]
	buffer_load_dword v213, off, s[0:3], 0 offset:176
	buffer_load_dword v214, off, s[0:3], 0 offset:180
	;; [unrolled: 1-line block ×32, first 2 shown]
	v_cmp_lt_u32_e32 vcc, 5, v0
	s_waitcnt vmcnt(62) lgkmcnt(5)
	v_mul_f32_e32 v31, v22, v90
	v_mul_f32_e32 v32, v24, v92
	s_waitcnt vmcnt(61) lgkmcnt(4)
	v_mul_f32_e32 v34, v20, v30
	s_waitcnt vmcnt(60) lgkmcnt(3)
	v_mul_f32_e32 v35, v14, v29
	s_waitcnt vmcnt(59)
	v_mul_f32_e32 v36, v16, v1
	s_waitcnt vmcnt(58)
	v_mul_f32_e32 v33, v18, v108
	s_waitcnt vmcnt(57) lgkmcnt(2)
	v_mul_f32_e32 v37, v10, v28
	s_waitcnt vmcnt(56)
	v_mul_f32_e32 v38, v12, v109
	s_waitcnt vmcnt(55) lgkmcnt(1)
	v_mul_f32_e32 v39, v6, v110
	s_waitcnt vmcnt(54)
	v_mul_f32_e32 v40, v8, v111
	s_waitcnt vmcnt(53)
	v_fmac_f32_e32 v33, v19, v192
	s_waitcnt vmcnt(52)
	v_fmac_f32_e32 v32, v25, v193
	;; [unrolled: 2-line block ×3, first 2 shown]
	v_add_f32_e32 v31, 0, v31
	v_add_f32_e32 v31, v31, v32
	;; [unrolled: 1-line block ×3, first 2 shown]
	s_waitcnt vmcnt(47)
	v_fmac_f32_e32 v34, v21, v198
	v_fmac_f32_e32 v35, v15, v197
	v_add_f32_e32 v31, v31, v34
	v_fmac_f32_e32 v36, v17, v196
	v_add_f32_e32 v31, v31, v35
	;; [unrolled: 2-line block ×3, first 2 shown]
	s_waitcnt vmcnt(43)
	v_fmac_f32_e32 v38, v13, v202
	v_add_f32_e32 v31, v31, v37
	v_fmac_f32_e32 v39, v7, v201
	v_add_f32_e32 v31, v31, v38
	;; [unrolled: 2-line block ×3, first 2 shown]
	s_waitcnt vmcnt(42) lgkmcnt(0)
	v_mul_f32_e32 v32, v2, v203
	v_add_f32_e32 v31, v31, v40
	v_fmac_f32_e32 v32, v3, v199
	v_add_f32_e32 v31, v31, v32
	ds_read2_b64 v[32:35], v208 offset0:73 offset1:74
	buffer_load_dword v245, off, s[0:3], 0 offset:304
	buffer_load_dword v246, off, s[0:3], 0 offset:308
	s_waitcnt vmcnt(43)
	v_mul_f32_e32 v36, v4, v204
	s_waitcnt vmcnt(36)
	v_fmac_f32_e32 v36, v5, v212
	v_add_f32_e32 v31, v31, v36
	ds_read2_b64 v[36:39], v208 offset0:75 offset1:76
	buffer_load_dword v247, off, s[0:3], 0 offset:312
	buffer_load_dword v248, off, s[0:3], 0 offset:316
	;; [unrolled: 1-line block ×8, first 2 shown]
	s_waitcnt lgkmcnt(1)
	v_mul_f32_e32 v40, v32, v206
	v_fmac_f32_e32 v40, v33, v205
	v_add_f32_e32 v31, v31, v40
	v_mul_f32_e32 v40, v34, v209
	v_fmac_f32_e32 v40, v35, v207
	v_add_f32_e32 v31, v31, v40
	s_waitcnt lgkmcnt(0)
	v_mul_f32_e32 v40, v36, v211
	v_fmac_f32_e32 v40, v37, v210
	v_add_f32_e32 v31, v31, v40
	buffer_load_dword v255, off, s[0:3], 0 offset:344
	buffer_load_dword v112, off, s[0:3], 0 offset:348
	;; [unrolled: 1-line block ×4, first 2 shown]
	ds_read2_b64 v[40:43], v208 offset0:77 offset1:78
	s_waitcnt vmcnt(44)
	v_mul_f32_e32 v44, v38, v214
	v_fmac_f32_e32 v44, v39, v213
	v_add_f32_e32 v31, v31, v44
	ds_read2_b64 v[44:47], v208 offset0:79 offset1:80
	s_waitcnt vmcnt(42) lgkmcnt(1)
	v_mul_f32_e32 v48, v40, v216
	v_fmac_f32_e32 v48, v41, v215
	v_add_f32_e32 v31, v31, v48
	s_waitcnt vmcnt(40)
	v_mul_f32_e32 v48, v42, v218
	v_fmac_f32_e32 v48, v43, v217
	v_add_f32_e32 v31, v31, v48
	s_waitcnt vmcnt(38) lgkmcnt(0)
	v_mul_f32_e32 v48, v44, v220
	v_fmac_f32_e32 v48, v45, v219
	v_add_f32_e32 v31, v31, v48
	ds_read2_b64 v[48:51], v208 offset0:81 offset1:82
	s_waitcnt vmcnt(36)
	v_mul_f32_e32 v52, v46, v222
	v_fmac_f32_e32 v52, v47, v221
	v_add_f32_e32 v31, v31, v52
	ds_read2_b64 v[52:55], v208 offset0:83 offset1:84
	s_waitcnt vmcnt(34) lgkmcnt(1)
	v_mul_f32_e32 v56, v48, v224
	v_fmac_f32_e32 v56, v49, v223
	v_add_f32_e32 v31, v31, v56
	s_waitcnt vmcnt(32)
	v_mul_f32_e32 v56, v50, v226
	v_fmac_f32_e32 v56, v51, v225
	v_add_f32_e32 v31, v31, v56
	s_waitcnt vmcnt(30) lgkmcnt(0)
	v_mul_f32_e32 v56, v52, v228
	v_fmac_f32_e32 v56, v53, v227
	v_add_f32_e32 v31, v31, v56
	;; [unrolled: 18-line block ×4, first 2 shown]
	ds_read2_b64 v[72:75], v208 offset0:93 offset1:94
	v_mul_f32_e32 v23, v23, v90
	v_fma_f32 v22, v22, v194, -v23
	v_mul_f32_e32 v23, v25, v92
	v_add_f32_e32 v22, 0, v22
	s_waitcnt vmcnt(12)
	v_mul_f32_e32 v76, v70, v246
	v_fmac_f32_e32 v76, v71, v245
	v_add_f32_e32 v31, v31, v76
	ds_read2_b64 v[76:79], v208 offset0:95 offset1:96
	buffer_load_dword v89, off, s[0:3], 0 offset:364
	buffer_load_dword v88, off, s[0:3], 0 offset:360
	s_waitcnt vmcnt(12) lgkmcnt(1)
	v_mul_f32_e32 v80, v72, v248
	v_fmac_f32_e32 v80, v73, v247
	v_add_f32_e32 v31, v31, v80
	s_waitcnt vmcnt(10)
	v_mul_f32_e32 v80, v74, v250
	v_fmac_f32_e32 v80, v75, v249
	v_add_f32_e32 v31, v31, v80
	s_waitcnt vmcnt(8) lgkmcnt(0)
	v_mul_f32_e32 v80, v76, v252
	v_fmac_f32_e32 v80, v77, v251
	s_waitcnt vmcnt(6)
	v_mul_f32_e32 v84, v78, v254
	v_add_f32_e32 v31, v31, v80
	v_fmac_f32_e32 v84, v79, v253
	ds_read2_b64 v[80:83], v208 offset0:97 offset1:98
	v_add_f32_e32 v31, v31, v84
	ds_read2_b64 v[84:87], v208 offset0:99 offset1:100
	buffer_load_dword v95, off, s[0:3], 0 offset:396
	buffer_load_dword v94, off, s[0:3], 0 offset:392
	;; [unrolled: 1-line block ×14, first 2 shown]
	v_fma_f32 v23, v24, v193, -v23
	v_mul_f32_e32 v19, v19, v108
	v_add_f32_e32 v22, v22, v23
	v_fma_f32 v18, v18, v192, -v19
	v_mul_f32_e32 v19, v21, v30
	v_add_f32_e32 v18, v22, v18
	;; [unrolled: 3-line block ×5, first 2 shown]
	v_fma_f32 v10, v10, v195, -v11
	v_add_f32_e32 v1, v1, v10
	v_mul_f32_e32 v10, v13, v109
	v_fma_f32 v10, v12, v202, -v10
	v_mul_f32_e32 v7, v7, v110
	v_add_f32_e32 v1, v1, v10
	v_fma_f32 v6, v6, v201, -v7
	v_add_f32_e32 v1, v1, v6
	v_mul_f32_e32 v6, v9, v111
	v_fma_f32 v6, v8, v200, -v6
	v_mul_f32_e32 v3, v3, v203
	v_add_f32_e32 v1, v1, v6
	v_fma_f32 v2, v2, v199, -v3
	v_add_f32_e32 v1, v1, v2
	v_mul_f32_e32 v2, v5, v204
	v_fma_f32 v2, v4, v212, -v2
	v_add_f32_e32 v1, v1, v2
	v_mul_f32_e32 v2, v33, v206
	v_fma_f32 v2, v32, v205, -v2
	v_add_f32_e32 v1, v1, v2
	v_mul_f32_e32 v2, v35, v209
	v_fma_f32 v2, v34, v207, -v2
	v_add_f32_e32 v1, v1, v2
	v_mul_f32_e32 v2, v37, v211
	v_fma_f32 v2, v36, v210, -v2
	v_add_f32_e32 v1, v1, v2
	v_mul_f32_e32 v2, v39, v214
	v_fma_f32 v2, v38, v213, -v2
	v_add_f32_e32 v1, v1, v2
	v_mul_f32_e32 v2, v41, v216
	v_fma_f32 v2, v40, v215, -v2
	v_add_f32_e32 v1, v1, v2
	v_mul_f32_e32 v2, v43, v218
	v_fma_f32 v2, v42, v217, -v2
	v_add_f32_e32 v1, v1, v2
	v_mul_f32_e32 v2, v45, v220
	v_fma_f32 v2, v44, v219, -v2
	v_add_f32_e32 v1, v1, v2
	v_mul_f32_e32 v2, v47, v222
	v_fma_f32 v2, v46, v221, -v2
	v_add_f32_e32 v1, v1, v2
	v_mul_f32_e32 v2, v49, v224
	v_fma_f32 v2, v48, v223, -v2
	v_add_f32_e32 v1, v1, v2
	v_mul_f32_e32 v2, v51, v226
	v_fma_f32 v2, v50, v225, -v2
	v_add_f32_e32 v1, v1, v2
	v_mul_f32_e32 v2, v53, v228
	v_fma_f32 v2, v52, v227, -v2
	v_add_f32_e32 v1, v1, v2
	v_mul_f32_e32 v2, v55, v230
	v_fma_f32 v2, v54, v229, -v2
	v_add_f32_e32 v1, v1, v2
	v_mul_f32_e32 v2, v57, v232
	v_fma_f32 v2, v56, v231, -v2
	v_add_f32_e32 v1, v1, v2
	v_mul_f32_e32 v2, v59, v234
	v_fma_f32 v2, v58, v233, -v2
	v_add_f32_e32 v1, v1, v2
	v_mul_f32_e32 v2, v61, v236
	v_fma_f32 v2, v60, v235, -v2
	v_add_f32_e32 v1, v1, v2
	v_mul_f32_e32 v2, v63, v238
	v_fma_f32 v2, v62, v237, -v2
	v_add_f32_e32 v1, v1, v2
	v_mul_f32_e32 v2, v65, v240
	v_fma_f32 v2, v64, v239, -v2
	v_add_f32_e32 v1, v1, v2
	v_mul_f32_e32 v2, v67, v242
	v_fma_f32 v2, v66, v241, -v2
	v_add_f32_e32 v1, v1, v2
	v_mul_f32_e32 v2, v69, v244
	v_fma_f32 v2, v68, v243, -v2
	v_add_f32_e32 v1, v1, v2
	v_mul_f32_e32 v2, v71, v246
	v_fma_f32 v2, v70, v245, -v2
	v_add_f32_e32 v1, v1, v2
	v_mul_f32_e32 v2, v73, v248
	v_fma_f32 v2, v72, v247, -v2
	v_add_f32_e32 v1, v1, v2
	v_mul_f32_e32 v2, v75, v250
	v_fma_f32 v2, v74, v249, -v2
	v_add_f32_e32 v1, v1, v2
	v_mul_f32_e32 v2, v77, v252
	v_fma_f32 v2, v76, v251, -v2
	v_add_f32_e32 v1, v1, v2
	v_mul_f32_e32 v2, v79, v254
	v_fma_f32 v2, v78, v253, -v2
	s_waitcnt vmcnt(15)
	v_mov_b32_e32 v16, v89
	s_waitcnt lgkmcnt(1)
	v_mul_f32_e32 v91, v80, v112
	v_add_f32_e32 v30, v1, v2
	v_mul_f32_e32 v1, v81, v112
	s_waitcnt lgkmcnt(0)
	v_pk_mul_f32 v[16:17], v[84:85], v[16:17] op_sel_hi:[1,0]
	v_fmac_f32_e32 v91, v81, v255
	v_mul_f32_e32 v93, v82, v114
	v_fma_f32 v90, v80, v255, -v1
	v_mul_f32_e32 v1, v83, v114
	s_waitcnt vmcnt(14)
	v_pk_fma_f32 v[18:19], v[84:85], v[88:89], v[16:17] op_sel:[0,0,1] op_sel_hi:[1,1,0] neg_lo:[0,0,1] neg_hi:[0,0,1]
	v_pk_fma_f32 v[16:17], v[84:85], v[88:89], v[16:17] op_sel:[0,0,1] op_sel_hi:[1,0,0]
	v_fmac_f32_e32 v93, v83, v113
	v_fma_f32 v92, v82, v113, -v1
	v_pk_add_f32 v[14:15], v[30:31], v[90:91]
	s_waitcnt vmcnt(7)
	v_mov_b32_e32 v16, v101
	ds_read2_b64 v[2:5], v208 offset0:101 offset1:102
	ds_read2_b64 v[6:9], v208 offset0:103 offset1:104
	;; [unrolled: 1-line block ×3, first 2 shown]
	v_pk_add_f32 v[14:15], v[14:15], v[92:93]
	v_mov_b32_e32 v19, v17
	v_pk_mul_f32 v[16:17], v[86:87], v[16:17] op_sel_hi:[1,0]
	v_pk_add_f32 v[14:15], v[14:15], v[18:19]
	s_waitcnt vmcnt(6)
	v_pk_fma_f32 v[18:19], v[86:87], v[100:101], v[16:17] op_sel:[0,0,1] op_sel_hi:[1,1,0] neg_lo:[0,0,1] neg_hi:[0,0,1]
	v_pk_fma_f32 v[16:17], v[86:87], v[100:101], v[16:17] op_sel:[0,0,1] op_sel_hi:[1,0,0]
	v_mov_b32_e32 v16, v99
	v_mov_b32_e32 v19, v17
	s_waitcnt lgkmcnt(2)
	v_pk_mul_f32 v[16:17], v[2:3], v[16:17] op_sel_hi:[1,0]
	v_pk_add_f32 v[14:15], v[14:15], v[18:19]
	v_pk_fma_f32 v[18:19], v[2:3], v[98:99], v[16:17] op_sel:[0,0,1] op_sel_hi:[1,1,0] neg_lo:[0,0,1] neg_hi:[0,0,1]
	v_pk_fma_f32 v[2:3], v[2:3], v[98:99], v[16:17] op_sel:[0,0,1] op_sel_hi:[1,0,0]
	v_mov_b32_e32 v19, v3
	v_pk_add_f32 v[2:3], v[14:15], v[18:19]
	v_mov_b32_e32 v14, v97
	v_pk_mul_f32 v[14:15], v[4:5], v[14:15] op_sel_hi:[1,0]
	v_pk_fma_f32 v[16:17], v[4:5], v[96:97], v[14:15] op_sel:[0,0,1] op_sel_hi:[1,1,0] neg_lo:[0,0,1] neg_hi:[0,0,1]
	v_pk_fma_f32 v[4:5], v[4:5], v[96:97], v[14:15] op_sel:[0,0,1] op_sel_hi:[1,0,0]
	v_mov_b32_e32 v4, v95
	v_mov_b32_e32 v17, v5
	s_waitcnt lgkmcnt(1)
	v_pk_mul_f32 v[4:5], v[6:7], v[4:5] op_sel_hi:[1,0]
	v_pk_fma_f32 v[14:15], v[6:7], v[94:95], v[4:5] op_sel:[0,0,1] op_sel_hi:[1,1,0] neg_lo:[0,0,1] neg_hi:[0,0,1]
	v_pk_fma_f32 v[4:5], v[6:7], v[94:95], v[4:5] op_sel:[0,0,1] op_sel_hi:[1,0,0]
	s_waitcnt vmcnt(1)
	v_mov_b32_e32 v4, v107
	v_mov_b32_e32 v15, v5
	v_pk_mul_f32 v[4:5], v[8:9], v[4:5] op_sel_hi:[1,0]
	s_waitcnt vmcnt(0)
	v_pk_fma_f32 v[6:7], v[8:9], v[106:107], v[4:5] op_sel:[0,0,1] op_sel_hi:[1,1,0] neg_lo:[0,0,1] neg_hi:[0,0,1]
	v_pk_fma_f32 v[4:5], v[8:9], v[106:107], v[4:5] op_sel:[0,0,1] op_sel_hi:[1,0,0]
	v_pk_add_f32 v[2:3], v[2:3], v[16:17]
	v_mov_b32_e32 v4, v105
	v_pk_add_f32 v[2:3], v[2:3], v[14:15]
	v_mov_b32_e32 v7, v5
	s_waitcnt lgkmcnt(0)
	v_pk_mul_f32 v[4:5], v[10:11], v[4:5] op_sel_hi:[1,0]
	v_pk_add_f32 v[2:3], v[2:3], v[6:7]
	v_pk_fma_f32 v[6:7], v[10:11], v[104:105], v[4:5] op_sel:[0,0,1] op_sel_hi:[1,1,0] neg_lo:[0,0,1] neg_hi:[0,0,1]
	v_pk_fma_f32 v[4:5], v[10:11], v[104:105], v[4:5] op_sel:[0,0,1] op_sel_hi:[1,0,0]
	v_mov_b32_e32 v4, v103
	v_mov_b32_e32 v7, v5
	v_pk_mul_f32 v[4:5], v[12:13], v[4:5] op_sel_hi:[1,0]
	v_pk_add_f32 v[2:3], v[2:3], v[6:7]
	v_pk_fma_f32 v[6:7], v[12:13], v[102:103], v[4:5] op_sel:[0,0,1] op_sel_hi:[1,1,0] neg_lo:[0,0,1] neg_hi:[0,0,1]
	v_pk_fma_f32 v[4:5], v[12:13], v[102:103], v[4:5] op_sel:[0,0,1] op_sel_hi:[1,0,0]
	v_mov_b32_e32 v7, v5
	v_pk_add_f32 v[2:3], v[2:3], v[6:7]
	v_pk_add_f32 v[2:3], v[26:27], v[2:3] neg_lo:[0,1] neg_hi:[0,1]
	buffer_store_dword v3, off, s[0:3], 0 offset:52
	buffer_store_dword v2, off, s[0:3], 0 offset:48
	s_and_saveexec_b64 s[4:5], vcc
	s_cbranch_execz .LBB52_321
; %bb.320:
	buffer_load_dword v2, off, s[0:3], 0 offset:40
	buffer_load_dword v3, off, s[0:3], 0 offset:44
	v_mov_b32_e32 v1, 0
	v_accvgpr_read_b32 v4, a48
	buffer_store_dword v1, off, s[0:3], 0 offset:40
	buffer_store_dword v1, off, s[0:3], 0 offset:44
	s_waitcnt vmcnt(2)
	ds_write_b64 v4, v[2:3]
.LBB52_321:
	s_or_b64 exec, exec, s[4:5]
	s_waitcnt lgkmcnt(0)
	; wave barrier
	s_waitcnt lgkmcnt(0)
	buffer_load_dword v32, off, s[0:3], 0 offset:52
	buffer_load_dword v31, off, s[0:3], 0 offset:60
	;; [unrolled: 1-line block ×48, first 2 shown]
	v_mov_b32_e32 v36, 0
	ds_read_b128 v[22:25], v36 offset:480
	ds_read_b128 v[18:21], v36 offset:496
	ds_read_b128 v[14:17], v36 offset:512
	ds_read_b128 v[10:13], v36 offset:528
	ds_read_b128 v[6:9], v36 offset:544
	ds_read_b128 v[2:5], v36 offset:560
	buffer_load_dword v225, off, s[0:3], 0 offset:232
	buffer_load_dword v226, off, s[0:3], 0 offset:236
	;; [unrolled: 1-line block ×12, first 2 shown]
	v_cmp_lt_u32_e32 vcc, 4, v0
	s_waitcnt vmcnt(59) lgkmcnt(5)
	v_mul_f32_e32 v35, v22, v32
	s_waitcnt vmcnt(58)
	v_mul_f32_e32 v38, v24, v31
	s_waitcnt vmcnt(57) lgkmcnt(4)
	v_mul_f32_e32 v40, v20, v30
	s_waitcnt vmcnt(56) lgkmcnt(3)
	v_mul_f32_e32 v41, v14, v29
	s_waitcnt vmcnt(55)
	v_mul_f32_e32 v42, v16, v1
	s_waitcnt vmcnt(54)
	v_mul_f32_e32 v39, v18, v33
	s_waitcnt vmcnt(53) lgkmcnt(2)
	v_mul_f32_e32 v43, v10, v28
	s_waitcnt vmcnt(52)
	v_mul_f32_e32 v44, v12, v34
	s_waitcnt vmcnt(51) lgkmcnt(1)
	v_mul_f32_e32 v45, v6, v37
	s_waitcnt vmcnt(50)
	v_mul_f32_e32 v46, v8, v94
	s_waitcnt vmcnt(49)
	v_fmac_f32_e32 v39, v19, v96
	s_waitcnt vmcnt(48)
	v_fmac_f32_e32 v38, v25, v112
	;; [unrolled: 2-line block ×3, first 2 shown]
	v_add_f32_e32 v35, 0, v35
	v_add_f32_e32 v35, v35, v38
	v_add_f32_e32 v35, v35, v39
	s_waitcnt vmcnt(43)
	v_fmac_f32_e32 v40, v21, v195
	v_fmac_f32_e32 v41, v15, v194
	v_add_f32_e32 v35, v35, v40
	v_fmac_f32_e32 v42, v17, v115
	v_add_f32_e32 v35, v35, v41
	v_fmac_f32_e32 v43, v11, v114
	v_add_f32_e32 v35, v35, v42
	s_waitcnt vmcnt(39)
	v_fmac_f32_e32 v44, v13, v199
	v_add_f32_e32 v35, v35, v43
	v_fmac_f32_e32 v45, v7, v198
	v_add_f32_e32 v35, v35, v44
	;; [unrolled: 2-line block ×3, first 2 shown]
	s_waitcnt vmcnt(38) lgkmcnt(0)
	v_mul_f32_e32 v38, v2, v200
	v_add_f32_e32 v35, v35, v46
	v_fmac_f32_e32 v38, v3, v196
	v_add_f32_e32 v35, v35, v38
	ds_read_b128 v[38:41], v36 offset:576
	buffer_load_dword v237, off, s[0:3], 0 offset:280
	buffer_load_dword v238, off, s[0:3], 0 offset:284
	;; [unrolled: 1-line block ×4, first 2 shown]
	s_waitcnt vmcnt(35)
	v_mul_f32_e32 v42, v4, v207
	s_waitcnt vmcnt(34)
	v_fmac_f32_e32 v42, v5, v208
	v_add_f32_e32 v35, v35, v42
	ds_read_b128 v[42:45], v36 offset:592
	buffer_load_dword v241, off, s[0:3], 0 offset:296
	buffer_load_dword v242, off, s[0:3], 0 offset:300
	;; [unrolled: 1-line block ×10, first 2 shown]
	s_waitcnt lgkmcnt(1)
	v_mul_f32_e32 v46, v38, v202
	v_fmac_f32_e32 v46, v39, v201
	v_add_f32_e32 v35, v35, v46
	v_mul_f32_e32 v46, v40, v204
	v_fmac_f32_e32 v46, v41, v203
	v_add_f32_e32 v35, v35, v46
	s_waitcnt lgkmcnt(0)
	v_mul_f32_e32 v46, v42, v206
	v_fmac_f32_e32 v46, v43, v205
	v_add_f32_e32 v35, v35, v46
	buffer_load_dword v251, off, s[0:3], 0 offset:336
	buffer_load_dword v252, off, s[0:3], 0 offset:340
	;; [unrolled: 1-line block ×6, first 2 shown]
	ds_read_b128 v[46:49], v36 offset:608
	s_waitcnt vmcnt(46)
	v_mul_f32_e32 v50, v44, v210
	v_fmac_f32_e32 v50, v45, v209
	v_add_f32_e32 v35, v35, v50
	ds_read_b128 v[50:53], v36 offset:624
	s_waitcnt vmcnt(44) lgkmcnt(1)
	v_mul_f32_e32 v54, v46, v212
	v_fmac_f32_e32 v54, v47, v211
	v_add_f32_e32 v35, v35, v54
	s_waitcnt vmcnt(42)
	v_mul_f32_e32 v54, v48, v214
	v_fmac_f32_e32 v54, v49, v213
	v_add_f32_e32 v35, v35, v54
	s_waitcnt vmcnt(40) lgkmcnt(0)
	v_mul_f32_e32 v54, v50, v216
	v_fmac_f32_e32 v54, v51, v215
	v_add_f32_e32 v35, v35, v54
	ds_read_b128 v[54:57], v36 offset:640
	s_waitcnt vmcnt(38)
	v_mul_f32_e32 v58, v52, v218
	v_fmac_f32_e32 v58, v53, v217
	v_add_f32_e32 v35, v35, v58
	ds_read_b128 v[58:61], v36 offset:656
	s_waitcnt vmcnt(36) lgkmcnt(1)
	v_mul_f32_e32 v62, v54, v220
	v_fmac_f32_e32 v62, v55, v219
	v_add_f32_e32 v35, v35, v62
	s_waitcnt vmcnt(34)
	v_mul_f32_e32 v62, v56, v222
	v_fmac_f32_e32 v62, v57, v221
	v_add_f32_e32 v35, v35, v62
	s_waitcnt vmcnt(32) lgkmcnt(0)
	v_mul_f32_e32 v62, v58, v224
	v_fmac_f32_e32 v62, v59, v223
	v_add_f32_e32 v35, v35, v62
	;; [unrolled: 18-line block ×3, first 2 shown]
	ds_read_b128 v[70:73], v36 offset:704
	s_waitcnt vmcnt(22)
	v_mul_f32_e32 v74, v68, v234
	v_fmac_f32_e32 v74, v69, v233
	v_add_f32_e32 v35, v35, v74
	ds_read_b128 v[74:77], v36 offset:720
	s_waitcnt vmcnt(20) lgkmcnt(1)
	v_mul_f32_e32 v78, v70, v236
	v_fmac_f32_e32 v78, v71, v235
	v_add_f32_e32 v35, v35, v78
	v_mul_f32_e32 v23, v23, v32
	v_fma_f32 v22, v22, v113, -v23
	v_mul_f32_e32 v23, v25, v31
	v_add_f32_e32 v22, 0, v22
	v_fma_f32 v23, v24, v112, -v23
	v_mul_f32_e32 v19, v19, v33
	v_add_f32_e32 v22, v22, v23
	v_fma_f32 v18, v18, v96, -v19
	v_mul_f32_e32 v19, v21, v30
	s_waitcnt vmcnt(18)
	v_mul_f32_e32 v78, v72, v238
	v_fmac_f32_e32 v78, v73, v237
	v_add_f32_e32 v35, v35, v78
	s_waitcnt vmcnt(16) lgkmcnt(0)
	v_mul_f32_e32 v78, v74, v240
	v_fmac_f32_e32 v78, v75, v239
	v_add_f32_e32 v35, v35, v78
	ds_read_b128 v[78:81], v36 offset:736
	s_waitcnt vmcnt(14)
	v_mul_f32_e32 v82, v76, v242
	v_fmac_f32_e32 v82, v77, v241
	v_add_f32_e32 v35, v35, v82
	ds_read_b128 v[82:85], v36 offset:752
	s_waitcnt vmcnt(12) lgkmcnt(1)
	v_mul_f32_e32 v86, v78, v244
	v_fmac_f32_e32 v86, v79, v243
	v_add_f32_e32 v35, v35, v86
	s_waitcnt vmcnt(10)
	v_mul_f32_e32 v86, v80, v246
	v_fmac_f32_e32 v86, v81, v245
	v_add_f32_e32 v35, v35, v86
	s_waitcnt vmcnt(8) lgkmcnt(0)
	v_mul_f32_e32 v86, v82, v248
	v_fmac_f32_e32 v86, v83, v247
	s_waitcnt vmcnt(6)
	v_mul_f32_e32 v90, v84, v250
	v_add_f32_e32 v35, v35, v86
	v_fmac_f32_e32 v90, v85, v249
	ds_read_b128 v[86:89], v36 offset:768
	v_add_f32_e32 v35, v35, v90
	ds_read_b128 v[90:93], v36 offset:784
	buffer_load_dword v99, off, s[0:3], 0 offset:388
	buffer_load_dword v98, off, s[0:3], 0 offset:384
	;; [unrolled: 1-line block ×16, first 2 shown]
	v_add_f32_e32 v18, v22, v18
	v_fma_f32 v19, v20, v195, -v19
	v_mul_f32_e32 v15, v15, v29
	v_add_f32_e32 v18, v18, v19
	v_fma_f32 v14, v14, v194, -v15
	v_mul_f32_e32 v1, v17, v1
	;; [unrolled: 3-line block ×3, first 2 shown]
	v_add_f32_e32 v1, v14, v1
	v_fma_f32 v10, v10, v114, -v11
	v_add_f32_e32 v1, v1, v10
	v_mul_f32_e32 v10, v13, v34
	v_fma_f32 v10, v12, v199, -v10
	v_mul_f32_e32 v7, v7, v37
	v_add_f32_e32 v1, v1, v10
	v_fma_f32 v6, v6, v198, -v7
	v_add_f32_e32 v1, v1, v6
	v_mul_f32_e32 v6, v9, v94
	v_fma_f32 v6, v8, v197, -v6
	v_mul_f32_e32 v3, v3, v200
	v_add_f32_e32 v1, v1, v6
	v_fma_f32 v2, v2, v196, -v3
	v_add_f32_e32 v1, v1, v2
	v_mul_f32_e32 v2, v5, v207
	v_fma_f32 v2, v4, v208, -v2
	v_add_f32_e32 v1, v1, v2
	v_mul_f32_e32 v2, v39, v202
	;; [unrolled: 3-line block ×25, first 2 shown]
	v_fma_f32 v2, v84, v249, -v2
	s_waitcnt vmcnt(20) lgkmcnt(1)
	v_mul_f32_e32 v95, v86, v252
	v_add_f32_e32 v1, v1, v2
	v_mul_f32_e32 v2, v87, v252
	v_fmac_f32_e32 v95, v87, v251
	v_fma_f32 v2, v86, v251, -v2
	s_waitcnt vmcnt(9)
	v_mov_b32_e32 v18, v105
	v_add_f32_e32 v35, v35, v95
	v_mul_f32_e32 v95, v88, v254
	v_add_f32_e32 v34, v1, v2
	v_mul_f32_e32 v1, v89, v254
	s_waitcnt lgkmcnt(0)
	v_pk_mul_f32 v[18:19], v[92:93], v[18:19] op_sel_hi:[1,0]
	v_fmac_f32_e32 v95, v89, v253
	v_mul_f32_e32 v97, v90, v116
	v_fma_f32 v94, v88, v253, -v1
	v_mul_f32_e32 v1, v91, v116
	ds_read_b128 v[2:5], v36 offset:800
	ds_read_b128 v[6:9], v36 offset:816
	;; [unrolled: 1-line block ×3, first 2 shown]
	ds_read_b64 v[14:15], v36 offset:848
	s_waitcnt vmcnt(8)
	v_pk_fma_f32 v[20:21], v[92:93], v[104:105], v[18:19] op_sel:[0,0,1] op_sel_hi:[1,1,0] neg_lo:[0,0,1] neg_hi:[0,0,1]
	v_pk_fma_f32 v[18:19], v[92:93], v[104:105], v[18:19] op_sel:[0,0,1] op_sel_hi:[1,0,0]
	v_fmac_f32_e32 v97, v91, v255
	v_fma_f32 v96, v90, v255, -v1
	v_pk_add_f32 v[16:17], v[34:35], v[94:95]
	v_mov_b32_e32 v18, v103
	v_pk_add_f32 v[16:17], v[16:17], v[96:97]
	v_mov_b32_e32 v21, v19
	s_waitcnt lgkmcnt(3)
	v_pk_mul_f32 v[18:19], v[2:3], v[18:19] op_sel_hi:[1,0]
	v_pk_add_f32 v[16:17], v[16:17], v[20:21]
	v_pk_fma_f32 v[20:21], v[2:3], v[102:103], v[18:19] op_sel:[0,0,1] op_sel_hi:[1,1,0] neg_lo:[0,0,1] neg_hi:[0,0,1]
	v_pk_fma_f32 v[2:3], v[2:3], v[102:103], v[18:19] op_sel:[0,0,1] op_sel_hi:[1,0,0]
	v_mov_b32_e32 v21, v3
	v_pk_add_f32 v[2:3], v[16:17], v[20:21]
	v_mov_b32_e32 v16, v101
	v_pk_mul_f32 v[16:17], v[4:5], v[16:17] op_sel_hi:[1,0]
	v_pk_fma_f32 v[18:19], v[4:5], v[100:101], v[16:17] op_sel:[0,0,1] op_sel_hi:[1,1,0] neg_lo:[0,0,1] neg_hi:[0,0,1]
	v_pk_fma_f32 v[4:5], v[4:5], v[100:101], v[16:17] op_sel:[0,0,1] op_sel_hi:[1,0,0]
	v_mov_b32_e32 v4, v99
	v_mov_b32_e32 v19, v5
	s_waitcnt lgkmcnt(2)
	v_pk_mul_f32 v[4:5], v[6:7], v[4:5] op_sel_hi:[1,0]
	v_pk_fma_f32 v[16:17], v[6:7], v[98:99], v[4:5] op_sel:[0,0,1] op_sel_hi:[1,1,0] neg_lo:[0,0,1] neg_hi:[0,0,1]
	v_pk_fma_f32 v[4:5], v[6:7], v[98:99], v[4:5] op_sel:[0,0,1] op_sel_hi:[1,0,0]
	s_waitcnt vmcnt(1)
	v_mov_b32_e32 v4, v193
	v_mov_b32_e32 v17, v5
	v_pk_mul_f32 v[4:5], v[8:9], v[4:5] op_sel_hi:[1,0]
	s_waitcnt vmcnt(0)
	v_pk_fma_f32 v[6:7], v[8:9], v[192:193], v[4:5] op_sel:[0,0,1] op_sel_hi:[1,1,0] neg_lo:[0,0,1] neg_hi:[0,0,1]
	v_pk_fma_f32 v[4:5], v[8:9], v[192:193], v[4:5] op_sel:[0,0,1] op_sel_hi:[1,0,0]
	v_pk_add_f32 v[2:3], v[2:3], v[18:19]
	v_mov_b32_e32 v4, v111
	v_pk_add_f32 v[2:3], v[2:3], v[16:17]
	v_mov_b32_e32 v7, v5
	s_waitcnt lgkmcnt(1)
	v_pk_mul_f32 v[4:5], v[10:11], v[4:5] op_sel_hi:[1,0]
	v_pk_add_f32 v[2:3], v[2:3], v[6:7]
	v_pk_fma_f32 v[6:7], v[10:11], v[110:111], v[4:5] op_sel:[0,0,1] op_sel_hi:[1,1,0] neg_lo:[0,0,1] neg_hi:[0,0,1]
	v_pk_fma_f32 v[4:5], v[10:11], v[110:111], v[4:5] op_sel:[0,0,1] op_sel_hi:[1,0,0]
	v_mov_b32_e32 v4, v109
	v_mov_b32_e32 v7, v5
	v_pk_mul_f32 v[4:5], v[12:13], v[4:5] op_sel_hi:[1,0]
	v_pk_add_f32 v[2:3], v[2:3], v[6:7]
	v_pk_fma_f32 v[6:7], v[12:13], v[108:109], v[4:5] op_sel:[0,0,1] op_sel_hi:[1,1,0] neg_lo:[0,0,1] neg_hi:[0,0,1]
	v_pk_fma_f32 v[4:5], v[12:13], v[108:109], v[4:5] op_sel:[0,0,1] op_sel_hi:[1,0,0]
	v_mov_b32_e32 v4, v107
	v_mov_b32_e32 v7, v5
	s_waitcnt lgkmcnt(0)
	v_pk_mul_f32 v[4:5], v[14:15], v[4:5] op_sel_hi:[1,0]
	v_pk_add_f32 v[2:3], v[2:3], v[6:7]
	v_pk_fma_f32 v[6:7], v[14:15], v[106:107], v[4:5] op_sel:[0,0,1] op_sel_hi:[1,1,0] neg_lo:[0,0,1] neg_hi:[0,0,1]
	v_pk_fma_f32 v[4:5], v[14:15], v[106:107], v[4:5] op_sel:[0,0,1] op_sel_hi:[1,0,0]
	v_mov_b32_e32 v7, v5
	v_pk_add_f32 v[2:3], v[2:3], v[6:7]
	v_pk_add_f32 v[2:3], v[26:27], v[2:3] neg_lo:[0,1] neg_hi:[0,1]
	buffer_store_dword v3, off, s[0:3], 0 offset:44
	buffer_store_dword v2, off, s[0:3], 0 offset:40
	s_and_saveexec_b64 s[4:5], vcc
	s_cbranch_execz .LBB52_323
; %bb.322:
	buffer_load_dword v2, off, s[0:3], 0 offset:32
	buffer_load_dword v3, off, s[0:3], 0 offset:36
	v_accvgpr_read_b32 v1, a48
	buffer_store_dword v36, off, s[0:3], 0 offset:32
	buffer_store_dword v36, off, s[0:3], 0 offset:36
	s_waitcnt vmcnt(2)
	ds_write_b64 v1, v[2:3]
.LBB52_323:
	s_or_b64 exec, exec, s[4:5]
	s_waitcnt lgkmcnt(0)
	; wave barrier
	s_waitcnt lgkmcnt(0)
	buffer_load_dword v41, off, s[0:3], 0 offset:44
	buffer_load_dword v40, off, s[0:3], 0 offset:52
	;; [unrolled: 1-line block ×32, first 2 shown]
	ds_read2_b64 v[22:25], v36 offset0:59 offset1:60
	ds_read2_b64 v[18:21], v36 offset0:61 offset1:62
	;; [unrolled: 1-line block ×6, first 2 shown]
	buffer_load_dword v207, off, s[0:3], 0 offset:160
	buffer_load_dword v208, off, s[0:3], 0 offset:164
	;; [unrolled: 1-line block ×26, first 2 shown]
	v_cmp_lt_u32_e32 vcc, 3, v0
	s_waitcnt vmcnt(57) lgkmcnt(5)
	v_mul_f32_e32 v26, v22, v41
	s_waitcnt vmcnt(56)
	v_mul_f32_e32 v27, v24, v40
	s_waitcnt vmcnt(55) lgkmcnt(4)
	v_mul_f32_e32 v29, v20, v39
	s_waitcnt vmcnt(54) lgkmcnt(3)
	v_mul_f32_e32 v30, v14, v38
	s_waitcnt vmcnt(53)
	v_mul_f32_e32 v31, v16, v1
	s_waitcnt vmcnt(52)
	v_mul_f32_e32 v28, v18, v42
	s_waitcnt vmcnt(51) lgkmcnt(2)
	v_mul_f32_e32 v32, v10, v37
	s_waitcnt vmcnt(50)
	v_mul_f32_e32 v33, v12, v43
	s_waitcnt vmcnt(49) lgkmcnt(1)
	;; [unrolled: 4-line block ×3, first 2 shown]
	v_mul_f32_e32 v46, v2, v102
	s_waitcnt vmcnt(46)
	v_fmac_f32_e32 v28, v19, v112
	s_waitcnt vmcnt(45)
	v_fmac_f32_e32 v27, v25, v113
	;; [unrolled: 2-line block ×3, first 2 shown]
	v_add_f32_e32 v26, 0, v26
	v_add_f32_e32 v26, v26, v27
	;; [unrolled: 1-line block ×3, first 2 shown]
	s_waitcnt vmcnt(40)
	v_fmac_f32_e32 v29, v21, v194
	v_fmac_f32_e32 v30, v15, v117
	v_add_f32_e32 v26, v26, v29
	v_fmac_f32_e32 v31, v17, v116
	v_add_f32_e32 v26, v26, v30
	;; [unrolled: 2-line block ×3, first 2 shown]
	s_waitcnt vmcnt(36)
	v_fmac_f32_e32 v33, v13, v198
	v_add_f32_e32 v26, v26, v32
	v_fmac_f32_e32 v44, v7, v197
	v_add_f32_e32 v26, v26, v33
	;; [unrolled: 2-line block ×4, first 2 shown]
	s_waitcnt vmcnt(30)
	v_mul_f32_e32 v27, v4, v204
	v_add_f32_e32 v26, v26, v46
	s_waitcnt vmcnt(29)
	v_fmac_f32_e32 v27, v5, v205
	v_add_f32_e32 v44, v26, v27
	ds_read2_b64 v[26:29], v36 offset0:71 offset1:72
	buffer_load_dword v233, off, s[0:3], 0 offset:264
	buffer_load_dword v234, off, s[0:3], 0 offset:268
	ds_read2_b64 v[30:33], v36 offset0:73 offset1:74
	buffer_load_dword v235, off, s[0:3], 0 offset:272
	buffer_load_dword v236, off, s[0:3], 0 offset:276
	;; [unrolled: 1-line block ×14, first 2 shown]
	s_waitcnt vmcnt(44) lgkmcnt(1)
	v_mul_f32_e32 v45, v26, v206
	v_fmac_f32_e32 v45, v27, v203
	v_add_f32_e32 v44, v44, v45
	v_mul_f32_e32 v45, v28, v200
	v_fmac_f32_e32 v45, v29, v199
	v_add_f32_e32 v44, v44, v45
	s_waitcnt lgkmcnt(0)
	v_mul_f32_e32 v45, v30, v202
	v_fmac_f32_e32 v45, v31, v201
	v_add_f32_e32 v48, v44, v45
	buffer_load_dword v249, off, s[0:3], 0 offset:328
	buffer_load_dword v250, off, s[0:3], 0 offset:332
	ds_read2_b64 v[44:47], v36 offset0:75 offset1:76
	s_waitcnt vmcnt(42)
	v_mul_f32_e32 v49, v32, v208
	v_fmac_f32_e32 v49, v33, v207
	buffer_load_dword v251, off, s[0:3], 0 offset:336
	buffer_load_dword v252, off, s[0:3], 0 offset:340
	v_add_f32_e32 v52, v48, v49
	buffer_load_dword v253, off, s[0:3], 0 offset:344
	buffer_load_dword v254, off, s[0:3], 0 offset:348
	ds_read2_b64 v[48:51], v36 offset0:77 offset1:78
	s_waitcnt vmcnt(44) lgkmcnt(1)
	v_mul_f32_e32 v53, v44, v210
	v_fmac_f32_e32 v53, v45, v209
	v_add_f32_e32 v52, v52, v53
	s_waitcnt vmcnt(42)
	v_mul_f32_e32 v53, v46, v212
	v_fmac_f32_e32 v53, v47, v211
	v_add_f32_e32 v52, v52, v53
	s_waitcnt vmcnt(40) lgkmcnt(0)
	v_mul_f32_e32 v53, v48, v214
	v_fmac_f32_e32 v53, v49, v213
	buffer_load_dword v255, off, s[0:3], 0 offset:352
	buffer_load_dword v118, off, s[0:3], 0 offset:356
	v_add_f32_e32 v56, v52, v53
	ds_read2_b64 v[52:55], v36 offset0:79 offset1:80
	s_waitcnt vmcnt(40)
	v_mul_f32_e32 v57, v50, v216
	v_fmac_f32_e32 v57, v51, v215
	v_add_f32_e32 v60, v56, v57
	ds_read2_b64 v[56:59], v36 offset0:81 offset1:82
	s_waitcnt vmcnt(38) lgkmcnt(1)
	v_mul_f32_e32 v61, v52, v218
	v_fmac_f32_e32 v61, v53, v217
	v_add_f32_e32 v60, v60, v61
	s_waitcnt vmcnt(36)
	v_mul_f32_e32 v61, v54, v220
	v_fmac_f32_e32 v61, v55, v219
	v_add_f32_e32 v60, v60, v61
	s_waitcnt vmcnt(34) lgkmcnt(0)
	v_mul_f32_e32 v61, v56, v222
	v_fmac_f32_e32 v61, v57, v221
	v_add_f32_e32 v64, v60, v61
	ds_read2_b64 v[60:63], v36 offset0:83 offset1:84
	s_waitcnt vmcnt(32)
	v_mul_f32_e32 v65, v58, v224
	v_fmac_f32_e32 v65, v59, v223
	v_add_f32_e32 v68, v64, v65
	ds_read2_b64 v[64:67], v36 offset0:85 offset1:86
	s_waitcnt vmcnt(30) lgkmcnt(1)
	v_mul_f32_e32 v69, v60, v226
	v_fmac_f32_e32 v69, v61, v225
	v_add_f32_e32 v68, v68, v69
	s_waitcnt vmcnt(28)
	v_mul_f32_e32 v69, v62, v228
	v_fmac_f32_e32 v69, v63, v227
	v_add_f32_e32 v68, v68, v69
	s_waitcnt vmcnt(26) lgkmcnt(0)
	v_mul_f32_e32 v69, v64, v230
	v_fmac_f32_e32 v69, v65, v229
	v_add_f32_e32 v72, v68, v69
	ds_read2_b64 v[68:71], v36 offset0:87 offset1:88
	s_waitcnt vmcnt(24)
	v_mul_f32_e32 v73, v66, v232
	v_fmac_f32_e32 v73, v67, v231
	v_add_f32_e32 v76, v72, v73
	ds_read2_b64 v[72:75], v36 offset0:89 offset1:90
	v_mul_f32_e32 v23, v23, v41
	v_fma_f32 v22, v22, v114, -v23
	v_mul_f32_e32 v23, v25, v40
	v_add_f32_e32 v22, 0, v22
	v_fma_f32 v23, v24, v113, -v23
	v_mul_f32_e32 v19, v19, v42
	v_add_f32_e32 v22, v22, v23
	;; [unrolled: 3-line block ×3, first 2 shown]
	v_fma_f32 v19, v20, v194, -v19
	s_waitcnt vmcnt(22) lgkmcnt(1)
	v_mul_f32_e32 v77, v68, v234
	v_fmac_f32_e32 v77, v69, v233
	v_add_f32_e32 v76, v76, v77
	s_waitcnt vmcnt(20)
	v_mul_f32_e32 v77, v70, v236
	v_fmac_f32_e32 v77, v71, v235
	v_add_f32_e32 v76, v76, v77
	s_waitcnt vmcnt(18) lgkmcnt(0)
	v_mul_f32_e32 v77, v72, v238
	v_fmac_f32_e32 v77, v73, v237
	v_add_f32_e32 v80, v76, v77
	ds_read2_b64 v[76:79], v36 offset0:91 offset1:92
	s_waitcnt vmcnt(16)
	v_mul_f32_e32 v81, v74, v240
	v_fmac_f32_e32 v81, v75, v239
	v_add_f32_e32 v84, v80, v81
	ds_read2_b64 v[80:83], v36 offset0:93 offset1:94
	s_waitcnt vmcnt(14) lgkmcnt(1)
	v_mul_f32_e32 v85, v76, v242
	v_fmac_f32_e32 v85, v77, v241
	v_add_f32_e32 v84, v84, v85
	s_waitcnt vmcnt(12)
	v_mul_f32_e32 v85, v78, v244
	v_fmac_f32_e32 v85, v79, v243
	v_add_f32_e32 v84, v84, v85
	s_waitcnt vmcnt(10) lgkmcnt(0)
	v_mul_f32_e32 v85, v80, v246
	v_fmac_f32_e32 v85, v81, v245
	s_waitcnt vmcnt(8)
	v_mul_f32_e32 v89, v82, v248
	v_add_f32_e32 v88, v84, v85
	v_fmac_f32_e32 v89, v83, v247
	ds_read2_b64 v[84:87], v36 offset0:95 offset1:96
	v_add_f32_e32 v93, v88, v89
	ds_read2_b64 v[88:91], v36 offset0:97 offset1:98
	buffer_load_dword v97, off, s[0:3], 0 offset:380
	buffer_load_dword v96, off, s[0:3], 0 offset:376
	;; [unrolled: 1-line block ×16, first 2 shown]
	v_mul_f32_e32 v15, v15, v38
	v_add_f32_e32 v18, v18, v19
	v_fma_f32 v14, v14, v117, -v15
	v_mul_f32_e32 v1, v17, v1
	v_add_f32_e32 v14, v18, v14
	v_fma_f32 v1, v16, v116, -v1
	;; [unrolled: 3-line block ×3, first 2 shown]
	v_add_f32_e32 v1, v1, v10
	v_mul_f32_e32 v10, v13, v43
	v_fma_f32 v10, v12, v198, -v10
	v_mul_f32_e32 v7, v7, v92
	v_add_f32_e32 v1, v1, v10
	v_fma_f32 v6, v6, v197, -v7
	v_add_f32_e32 v1, v1, v6
	v_mul_f32_e32 v6, v9, v94
	v_fma_f32 v6, v8, v196, -v6
	v_mul_f32_e32 v3, v3, v102
	v_add_f32_e32 v1, v1, v6
	v_fma_f32 v2, v2, v195, -v3
	v_add_f32_e32 v1, v1, v2
	v_mul_f32_e32 v2, v5, v204
	v_fma_f32 v2, v4, v205, -v2
	v_add_f32_e32 v1, v1, v2
	v_mul_f32_e32 v2, v27, v206
	;; [unrolled: 3-line block ×25, first 2 shown]
	v_fma_f32 v2, v82, v247, -v2
	v_add_f32_e32 v1, v1, v2
	s_waitcnt vmcnt(22) lgkmcnt(1)
	v_mul_f32_e32 v2, v85, v250
	v_mul_f32_e32 v95, v84, v250
	v_fma_f32 v2, v84, v249, -v2
	v_fmac_f32_e32 v95, v85, v249
	v_add_f32_e32 v1, v1, v2
	s_waitcnt vmcnt(20)
	v_mul_f32_e32 v2, v87, v252
	v_add_f32_e32 v93, v93, v95
	v_mul_f32_e32 v95, v86, v252
	v_fma_f32 v2, v86, v251, -v2
	v_fmac_f32_e32 v95, v87, v251
	v_add_f32_e32 v92, v1, v2
	ds_read2_b64 v[2:5], v36 offset0:99 offset1:100
	ds_read2_b64 v[6:9], v36 offset0:101 offset1:102
	;; [unrolled: 1-line block ×4, first 2 shown]
	v_add_f32_e32 v93, v93, v95
	s_waitcnt vmcnt(18) lgkmcnt(4)
	v_mul_f32_e32 v95, v88, v254
	v_mul_f32_e32 v1, v89, v254
	s_waitcnt vmcnt(11)
	v_mov_b32_e32 v20, v101
	v_fmac_f32_e32 v95, v89, v253
	v_mul_f32_e32 v103, v90, v118
	v_fma_f32 v94, v88, v253, -v1
	v_mul_f32_e32 v1, v91, v118
	s_waitcnt lgkmcnt(3)
	v_pk_mul_f32 v[20:21], v[2:3], v[20:21] op_sel_hi:[1,0]
	v_fmac_f32_e32 v103, v91, v255
	v_fma_f32 v102, v90, v255, -v1
	v_pk_add_f32 v[18:19], v[92:93], v[94:95]
	s_waitcnt vmcnt(10)
	v_pk_fma_f32 v[22:23], v[2:3], v[100:101], v[20:21] op_sel:[0,0,1] op_sel_hi:[1,1,0] neg_lo:[0,0,1] neg_hi:[0,0,1]
	v_pk_fma_f32 v[2:3], v[2:3], v[100:101], v[20:21] op_sel:[0,0,1] op_sel_hi:[1,0,0]
	v_pk_add_f32 v[18:19], v[18:19], v[102:103]
	v_mov_b32_e32 v23, v3
	v_pk_add_f32 v[2:3], v[18:19], v[22:23]
	v_mov_b32_e32 v18, v99
	v_pk_mul_f32 v[18:19], v[4:5], v[18:19] op_sel_hi:[1,0]
	v_pk_fma_f32 v[20:21], v[4:5], v[98:99], v[18:19] op_sel:[0,0,1] op_sel_hi:[1,1,0] neg_lo:[0,0,1] neg_hi:[0,0,1]
	v_pk_fma_f32 v[4:5], v[4:5], v[98:99], v[18:19] op_sel:[0,0,1] op_sel_hi:[1,0,0]
	v_mov_b32_e32 v4, v97
	v_mov_b32_e32 v21, v5
	s_waitcnt lgkmcnt(2)
	v_pk_mul_f32 v[4:5], v[6:7], v[4:5] op_sel_hi:[1,0]
	v_pk_fma_f32 v[18:19], v[6:7], v[96:97], v[4:5] op_sel:[0,0,1] op_sel_hi:[1,1,0] neg_lo:[0,0,1] neg_hi:[0,0,1]
	v_pk_fma_f32 v[4:5], v[6:7], v[96:97], v[4:5] op_sel:[0,0,1] op_sel_hi:[1,0,0]
	s_waitcnt vmcnt(3)
	v_mov_b32_e32 v4, v111
	v_mov_b32_e32 v19, v5
	v_pk_mul_f32 v[4:5], v[8:9], v[4:5] op_sel_hi:[1,0]
	s_waitcnt vmcnt(2)
	v_pk_fma_f32 v[6:7], v[8:9], v[110:111], v[4:5] op_sel:[0,0,1] op_sel_hi:[1,1,0] neg_lo:[0,0,1] neg_hi:[0,0,1]
	v_pk_fma_f32 v[4:5], v[8:9], v[110:111], v[4:5] op_sel:[0,0,1] op_sel_hi:[1,0,0]
	v_pk_add_f32 v[2:3], v[2:3], v[20:21]
	v_mov_b32_e32 v4, v109
	v_pk_add_f32 v[2:3], v[2:3], v[18:19]
	v_mov_b32_e32 v7, v5
	s_waitcnt lgkmcnt(1)
	v_pk_mul_f32 v[4:5], v[10:11], v[4:5] op_sel_hi:[1,0]
	v_pk_add_f32 v[2:3], v[2:3], v[6:7]
	v_pk_fma_f32 v[6:7], v[10:11], v[108:109], v[4:5] op_sel:[0,0,1] op_sel_hi:[1,1,0] neg_lo:[0,0,1] neg_hi:[0,0,1]
	v_pk_fma_f32 v[4:5], v[10:11], v[108:109], v[4:5] op_sel:[0,0,1] op_sel_hi:[1,0,0]
	v_mov_b32_e32 v4, v107
	v_mov_b32_e32 v7, v5
	v_pk_mul_f32 v[4:5], v[12:13], v[4:5] op_sel_hi:[1,0]
	v_pk_add_f32 v[2:3], v[2:3], v[6:7]
	v_pk_fma_f32 v[6:7], v[12:13], v[106:107], v[4:5] op_sel:[0,0,1] op_sel_hi:[1,1,0] neg_lo:[0,0,1] neg_hi:[0,0,1]
	v_pk_fma_f32 v[4:5], v[12:13], v[106:107], v[4:5] op_sel:[0,0,1] op_sel_hi:[1,0,0]
	v_mov_b32_e32 v4, v105
	v_mov_b32_e32 v7, v5
	s_waitcnt lgkmcnt(0)
	v_pk_mul_f32 v[4:5], v[14:15], v[4:5] op_sel_hi:[1,0]
	v_pk_add_f32 v[2:3], v[2:3], v[6:7]
	v_pk_fma_f32 v[6:7], v[14:15], v[104:105], v[4:5] op_sel:[0,0,1] op_sel_hi:[1,1,0] neg_lo:[0,0,1] neg_hi:[0,0,1]
	v_pk_fma_f32 v[4:5], v[14:15], v[104:105], v[4:5] op_sel:[0,0,1] op_sel_hi:[1,0,0]
	s_waitcnt vmcnt(1)
	v_mov_b32_e32 v4, v193
	v_mov_b32_e32 v7, v5
	v_pk_mul_f32 v[4:5], v[16:17], v[4:5] op_sel_hi:[1,0]
	v_pk_add_f32 v[2:3], v[2:3], v[6:7]
	s_waitcnt vmcnt(0)
	v_pk_fma_f32 v[6:7], v[16:17], v[192:193], v[4:5] op_sel:[0,0,1] op_sel_hi:[1,1,0] neg_lo:[0,0,1] neg_hi:[0,0,1]
	v_pk_fma_f32 v[4:5], v[16:17], v[192:193], v[4:5] op_sel:[0,0,1] op_sel_hi:[1,0,0]
	v_mov_b32_e32 v7, v5
	v_pk_add_f32 v[2:3], v[2:3], v[6:7]
	v_pk_add_f32 v[2:3], v[34:35], v[2:3] neg_lo:[0,1] neg_hi:[0,1]
	buffer_store_dword v3, off, s[0:3], 0 offset:36
	buffer_store_dword v2, off, s[0:3], 0 offset:32
	s_and_saveexec_b64 s[4:5], vcc
	s_cbranch_execz .LBB52_325
; %bb.324:
	buffer_load_dword v2, off, s[0:3], 0 offset:24
	buffer_load_dword v3, off, s[0:3], 0 offset:28
	v_mov_b32_e32 v1, 0
	v_accvgpr_read_b32 v4, a48
	buffer_store_dword v1, off, s[0:3], 0 offset:24
	buffer_store_dword v1, off, s[0:3], 0 offset:28
	s_waitcnt vmcnt(2)
	ds_write_b64 v4, v[2:3]
.LBB52_325:
	s_or_b64 exec, exec, s[4:5]
	v_mov_b32_e32 v216, 0
	s_waitcnt lgkmcnt(0)
	; wave barrier
	s_waitcnt lgkmcnt(0)
	ds_read_b128 v[2:5], v216 offset:464
	buffer_load_dword v192, off, s[0:3], 0 offset:24
	buffer_load_dword v193, off, s[0:3], 0 offset:28
	buffer_load_dword v194, off, s[0:3], 0 offset:32
	buffer_load_dword v217, off, s[0:3], 0 offset:36
	buffer_load_dword v196, off, s[0:3], 0 offset:40
	buffer_load_dword v219, off, s[0:3], 0 offset:44
	buffer_load_dword v200, off, s[0:3], 0 offset:48
	buffer_load_dword v221, off, s[0:3], 0 offset:52
	buffer_load_dword v218, off, s[0:3], 0 offset:56
	buffer_load_dword v223, off, s[0:3], 0 offset:60
	buffer_load_dword v220, off, s[0:3], 0 offset:64
	buffer_load_dword v225, off, s[0:3], 0 offset:68
	buffer_load_dword v222, off, s[0:3], 0 offset:72
	buffer_load_dword v226, off, s[0:3], 0 offset:76
	buffer_load_dword v224, off, s[0:3], 0 offset:80
	buffer_load_dword v227, off, s[0:3], 0 offset:84
	v_cmp_lt_u32_e32 vcc, 2, v0
	s_waitcnt vmcnt(12) lgkmcnt(0)
	v_mul_f32_e32 v1, v2, v217
	v_fmac_f32_e32 v1, v3, v194
	s_waitcnt vmcnt(10)
	v_mul_f32_e32 v6, v4, v219
	v_add_f32_e32 v1, 0, v1
	v_fmac_f32_e32 v6, v5, v196
	v_add_f32_e32 v1, v1, v6
	ds_read_b128 v[6:9], v216 offset:480
	v_mul_f32_e32 v3, v3, v217
	v_fma_f32 v2, v2, v194, -v3
	v_mul_f32_e32 v3, v5, v219
	v_add_f32_e32 v2, 0, v2
	s_waitcnt vmcnt(8) lgkmcnt(0)
	v_mul_f32_e32 v10, v6, v221
	v_fmac_f32_e32 v10, v7, v200
	v_add_f32_e32 v1, v1, v10
	s_waitcnt vmcnt(6)
	v_mul_f32_e32 v10, v8, v223
	v_fmac_f32_e32 v10, v9, v218
	v_add_f32_e32 v1, v1, v10
	ds_read_b128 v[10:13], v216 offset:496
	v_fma_f32 v3, v4, v196, -v3
	v_add_f32_e32 v2, v2, v3
	v_mul_f32_e32 v3, v7, v221
	v_fma_f32 v3, v6, v200, -v3
	s_waitcnt vmcnt(4) lgkmcnt(0)
	v_mul_f32_e32 v14, v10, v225
	v_fmac_f32_e32 v14, v11, v220
	v_add_f32_e32 v1, v1, v14
	s_waitcnt vmcnt(2)
	v_mul_f32_e32 v14, v12, v226
	v_fmac_f32_e32 v14, v13, v222
	v_add_f32_e32 v1, v1, v14
	ds_read_b128 v[14:17], v216 offset:512
	buffer_load_dword v228, off, s[0:3], 0 offset:88
	buffer_load_dword v229, off, s[0:3], 0 offset:92
	v_add_f32_e32 v2, v2, v3
	v_mul_f32_e32 v3, v9, v223
	v_fma_f32 v3, v8, v218, -v3
	s_waitcnt vmcnt(2) lgkmcnt(0)
	v_mul_f32_e32 v18, v14, v227
	v_fmac_f32_e32 v18, v15, v224
	v_add_f32_e32 v1, v1, v18
	v_add_f32_e32 v2, v2, v3
	v_mul_f32_e32 v3, v11, v225
	v_fma_f32 v3, v10, v220, -v3
	v_add_f32_e32 v2, v2, v3
	v_mul_f32_e32 v3, v13, v226
	v_fma_f32 v3, v12, v222, -v3
	;; [unrolled: 3-line block ×3, first 2 shown]
	v_add_f32_e32 v2, v2, v3
	s_waitcnt vmcnt(0)
	v_mul_f32_e32 v18, v16, v229
	v_fmac_f32_e32 v18, v17, v228
	v_add_f32_e32 v1, v1, v18
	ds_read_b128 v[18:21], v216 offset:528
	buffer_load_dword v230, off, s[0:3], 0 offset:96
	buffer_load_dword v231, off, s[0:3], 0 offset:100
	;; [unrolled: 1-line block ×4, first 2 shown]
	v_mul_f32_e32 v3, v17, v229
	v_fma_f32 v3, v16, v228, -v3
	v_add_f32_e32 v2, v2, v3
	s_waitcnt vmcnt(2) lgkmcnt(0)
	v_mul_f32_e32 v22, v18, v231
	v_fmac_f32_e32 v22, v19, v230
	v_add_f32_e32 v1, v1, v22
	s_waitcnt vmcnt(0)
	v_mul_f32_e32 v22, v20, v233
	v_fmac_f32_e32 v22, v21, v232
	v_add_f32_e32 v1, v1, v22
	ds_read_b128 v[22:25], v216 offset:544
	buffer_load_dword v234, off, s[0:3], 0 offset:112
	buffer_load_dword v235, off, s[0:3], 0 offset:116
	;; [unrolled: 1-line block ×4, first 2 shown]
	v_mul_f32_e32 v3, v19, v231
	v_fma_f32 v3, v18, v230, -v3
	v_add_f32_e32 v2, v2, v3
	v_mul_f32_e32 v3, v21, v233
	v_fma_f32 v3, v20, v232, -v3
	v_add_f32_e32 v2, v2, v3
	s_waitcnt vmcnt(2) lgkmcnt(0)
	v_mul_f32_e32 v26, v22, v235
	v_fmac_f32_e32 v26, v23, v234
	v_add_f32_e32 v1, v1, v26
	s_waitcnt vmcnt(0)
	v_mul_f32_e32 v26, v24, v237
	v_fmac_f32_e32 v26, v25, v236
	v_add_f32_e32 v1, v1, v26
	ds_read_b128 v[26:29], v216 offset:560
	buffer_load_dword v238, off, s[0:3], 0 offset:128
	buffer_load_dword v239, off, s[0:3], 0 offset:132
	;; [unrolled: 1-line block ×4, first 2 shown]
	v_mul_f32_e32 v3, v23, v235
	v_fma_f32 v3, v22, v234, -v3
	v_add_f32_e32 v2, v2, v3
	v_mul_f32_e32 v3, v25, v237
	v_fma_f32 v3, v24, v236, -v3
	v_add_f32_e32 v2, v2, v3
	s_waitcnt vmcnt(2) lgkmcnt(0)
	v_mul_f32_e32 v30, v26, v239
	v_fmac_f32_e32 v30, v27, v238
	v_add_f32_e32 v1, v1, v30
	s_waitcnt vmcnt(0)
	v_mul_f32_e32 v30, v28, v241
	v_fmac_f32_e32 v30, v29, v240
	v_add_f32_e32 v1, v1, v30
	ds_read_b128 v[30:33], v216 offset:576
	buffer_load_dword v242, off, s[0:3], 0 offset:144
	buffer_load_dword v243, off, s[0:3], 0 offset:148
	buffer_load_dword v244, off, s[0:3], 0 offset:152
	buffer_load_dword v245, off, s[0:3], 0 offset:156
	ds_read_b128 v[38:41], v216 offset:592
	buffer_load_dword v246, off, s[0:3], 0 offset:160
	buffer_load_dword v247, off, s[0:3], 0 offset:164
	buffer_load_dword v248, off, s[0:3], 0 offset:168
	buffer_load_dword v249, off, s[0:3], 0 offset:172
	;; [unrolled: 5-line block ×3, first 2 shown]
	ds_read_b128 v[46:49], v216 offset:624
	buffer_load_dword v254, off, s[0:3], 0 offset:192
	buffer_load_dword v255, off, s[0:3], 0 offset:196
	v_mul_f32_e32 v3, v27, v239
	v_fma_f32 v3, v26, v238, -v3
	v_add_f32_e32 v2, v2, v3
	v_mul_f32_e32 v3, v29, v241
	v_fma_f32 v3, v28, v240, -v3
	v_add_f32_e32 v2, v2, v3
	s_waitcnt vmcnt(12) lgkmcnt(3)
	v_mul_f32_e32 v34, v30, v243
	v_fmac_f32_e32 v34, v31, v242
	v_add_f32_e32 v1, v1, v34
	s_waitcnt vmcnt(10)
	v_mul_f32_e32 v34, v32, v245
	v_fmac_f32_e32 v34, v33, v244
	v_add_f32_e32 v1, v1, v34
	s_waitcnt vmcnt(8) lgkmcnt(2)
	v_mul_f32_e32 v34, v38, v247
	v_fmac_f32_e32 v34, v39, v246
	v_add_f32_e32 v1, v1, v34
	s_waitcnt vmcnt(6)
	v_mul_f32_e32 v34, v40, v249
	v_fmac_f32_e32 v34, v41, v248
	;; [unrolled: 8-line block ×3, first 2 shown]
	v_add_f32_e32 v1, v1, v34
	s_waitcnt vmcnt(0) lgkmcnt(0)
	v_mul_f32_e32 v34, v46, v255
	v_fmac_f32_e32 v34, v47, v254
	v_add_f32_e32 v34, v1, v34
	buffer_load_dword v1, off, s[0:3], 0 offset:200
	buffer_load_dword v86, off, s[0:3], 0 offset:204
	ds_read_b128 v[50:53], v216 offset:640
	buffer_load_dword v87, off, s[0:3], 0 offset:208
	buffer_load_dword v88, off, s[0:3], 0 offset:212
	buffer_load_dword v89, off, s[0:3], 0 offset:216
	buffer_load_dword v90, off, s[0:3], 0 offset:220
	ds_read_b128 v[54:57], v216 offset:656
	buffer_load_dword v91, off, s[0:3], 0 offset:224
	buffer_load_dword v92, off, s[0:3], 0 offset:228
	buffer_load_dword v93, off, s[0:3], 0 offset:232
	buffer_load_dword v94, off, s[0:3], 0 offset:236
	ds_read_b128 v[58:61], v216 offset:672
	buffer_load_dword v95, off, s[0:3], 0 offset:240
	buffer_load_dword v96, off, s[0:3], 0 offset:244
	buffer_load_dword v97, off, s[0:3], 0 offset:248
	buffer_load_dword v98, off, s[0:3], 0 offset:252
	ds_read_b128 v[62:65], v216 offset:688
	buffer_load_dword v99, off, s[0:3], 0 offset:256
	buffer_load_dword v100, off, s[0:3], 0 offset:260
	buffer_load_dword v101, off, s[0:3], 0 offset:264
	buffer_load_dword v102, off, s[0:3], 0 offset:268
	ds_read_b128 v[66:69], v216 offset:704
	buffer_load_dword v103, off, s[0:3], 0 offset:272
	buffer_load_dword v104, off, s[0:3], 0 offset:276
	buffer_load_dword v105, off, s[0:3], 0 offset:280
	buffer_load_dword v106, off, s[0:3], 0 offset:284
	ds_read_b128 v[70:73], v216 offset:720
	buffer_load_dword v107, off, s[0:3], 0 offset:288
	buffer_load_dword v108, off, s[0:3], 0 offset:292
	buffer_load_dword v109, off, s[0:3], 0 offset:296
	buffer_load_dword v110, off, s[0:3], 0 offset:300
	ds_read_b128 v[74:77], v216 offset:736
	buffer_load_dword v111, off, s[0:3], 0 offset:304
	buffer_load_dword v112, off, s[0:3], 0 offset:308
	buffer_load_dword v113, off, s[0:3], 0 offset:312
	buffer_load_dword v114, off, s[0:3], 0 offset:316
	ds_read_b128 v[78:81], v216 offset:752
	buffer_load_dword v115, off, s[0:3], 0 offset:320
	buffer_load_dword v116, off, s[0:3], 0 offset:324
	buffer_load_dword v117, off, s[0:3], 0 offset:328
	buffer_load_dword v118, off, s[0:3], 0 offset:332
	ds_read_b128 v[82:85], v216 offset:768
	buffer_load_dword v119, off, s[0:3], 0 offset:336
	buffer_load_dword v120, off, s[0:3], 0 offset:340
	buffer_load_dword v121, off, s[0:3], 0 offset:344
	buffer_load_dword v122, off, s[0:3], 0 offset:348
	v_mul_f32_e32 v3, v31, v243
	v_fma_f32 v3, v30, v242, -v3
	v_add_f32_e32 v2, v2, v3
	v_mul_f32_e32 v3, v33, v245
	v_fma_f32 v3, v32, v244, -v3
	v_add_f32_e32 v2, v2, v3
	;; [unrolled: 3-line block ×7, first 2 shown]
	s_waitcnt vmcnt(36)
	v_mul_f32_e32 v35, v48, v86
	v_fmac_f32_e32 v35, v49, v1
	v_add_f32_e32 v34, v34, v35
	s_waitcnt vmcnt(34) lgkmcnt(8)
	v_mul_f32_e32 v35, v50, v88
	v_fmac_f32_e32 v35, v51, v87
	v_add_f32_e32 v34, v34, v35
	s_waitcnt vmcnt(32)
	v_mul_f32_e32 v35, v52, v90
	v_fmac_f32_e32 v35, v53, v89
	v_add_f32_e32 v34, v34, v35
	s_waitcnt vmcnt(30) lgkmcnt(7)
	v_mul_f32_e32 v35, v54, v92
	v_fmac_f32_e32 v35, v55, v91
	v_add_f32_e32 v34, v34, v35
	;; [unrolled: 8-line block ×9, first 2 shown]
	ds_read_b128 v[34:37], v216 offset:784
	buffer_load_dword v123, off, s[0:3], 0 offset:352
	buffer_load_dword v124, off, s[0:3], 0 offset:356
	;; [unrolled: 1-line block ×18, first 2 shown]
	v_mul_f32_e32 v3, v49, v86
	v_fma_f32 v1, v48, v1, -v3
	v_add_f32_e32 v1, v2, v1
	v_mul_f32_e32 v2, v51, v88
	v_fma_f32 v2, v50, v87, -v2
	v_add_f32_e32 v1, v1, v2
	;; [unrolled: 3-line block ×17, first 2 shown]
	v_mul_f32_e32 v2, v83, v120
	v_fma_f32 v2, v82, v119, -v2
	s_waitcnt vmcnt(18)
	v_mul_f32_e32 v197, v84, v122
	v_add_f32_e32 v194, v1, v2
	v_mul_f32_e32 v1, v85, v122
	v_fmac_f32_e32 v197, v85, v121
	v_fma_f32 v196, v84, v121, -v1
	ds_read_b128 v[2:5], v216 offset:800
	ds_read_b128 v[6:9], v216 offset:816
	;; [unrolled: 1-line block ×3, first 2 shown]
	ds_read_b64 v[14:15], v216 offset:848
	v_pk_add_f32 v[16:17], v[194:195], v[196:197]
	s_waitcnt vmcnt(15)
	v_mov_b32_e32 v18, v199
	s_waitcnt lgkmcnt(4)
	v_pk_mul_f32 v[18:19], v[36:37], v[18:19] op_sel_hi:[1,0]
	s_waitcnt vmcnt(14)
	v_pk_fma_f32 v[20:21], v[36:37], v[198:199], v[18:19] op_sel:[0,0,1] op_sel_hi:[1,1,0] neg_lo:[0,0,1] neg_hi:[0,0,1]
	v_pk_fma_f32 v[18:19], v[36:37], v[198:199], v[18:19] op_sel:[0,0,1] op_sel_hi:[1,0,0]
	s_waitcnt vmcnt(13)
	v_mov_b32_e32 v18, v215
	v_mov_b32_e32 v21, v19
	s_waitcnt lgkmcnt(3)
	v_pk_mul_f32 v[18:19], v[2:3], v[18:19] op_sel_hi:[1,0]
	v_mul_f32_e32 v201, v34, v124
	v_mul_f32_e32 v1, v35, v124
	v_fmac_f32_e32 v201, v35, v123
	v_fma_f32 v200, v34, v123, -v1
	v_pk_add_f32 v[16:17], v[16:17], v[200:201]
	v_pk_add_f32 v[16:17], v[16:17], v[20:21]
	s_waitcnt vmcnt(12)
	v_pk_fma_f32 v[20:21], v[2:3], v[214:215], v[18:19] op_sel:[0,0,1] op_sel_hi:[1,1,0] neg_lo:[0,0,1] neg_hi:[0,0,1]
	v_pk_fma_f32 v[2:3], v[2:3], v[214:215], v[18:19] op_sel:[0,0,1] op_sel_hi:[1,0,0]
	v_mov_b32_e32 v21, v3
	v_pk_add_f32 v[2:3], v[16:17], v[20:21]
	s_waitcnt vmcnt(11)
	v_mov_b32_e32 v16, v213
	v_pk_mul_f32 v[16:17], v[4:5], v[16:17] op_sel_hi:[1,0]
	s_waitcnt vmcnt(10)
	v_pk_fma_f32 v[18:19], v[4:5], v[212:213], v[16:17] op_sel:[0,0,1] op_sel_hi:[1,1,0] neg_lo:[0,0,1] neg_hi:[0,0,1]
	v_pk_fma_f32 v[4:5], v[4:5], v[212:213], v[16:17] op_sel:[0,0,1] op_sel_hi:[1,0,0]
	s_waitcnt vmcnt(9)
	v_mov_b32_e32 v4, v211
	v_mov_b32_e32 v19, v5
	s_waitcnt lgkmcnt(2)
	v_pk_mul_f32 v[4:5], v[6:7], v[4:5] op_sel_hi:[1,0]
	s_waitcnt vmcnt(8)
	v_pk_fma_f32 v[16:17], v[6:7], v[210:211], v[4:5] op_sel:[0,0,1] op_sel_hi:[1,1,0] neg_lo:[0,0,1] neg_hi:[0,0,1]
	v_pk_fma_f32 v[4:5], v[6:7], v[210:211], v[4:5] op_sel:[0,0,1] op_sel_hi:[1,0,0]
	s_waitcnt vmcnt(7)
	v_mov_b32_e32 v4, v209
	v_mov_b32_e32 v17, v5
	v_pk_mul_f32 v[4:5], v[8:9], v[4:5] op_sel_hi:[1,0]
	s_waitcnt vmcnt(6)
	v_pk_fma_f32 v[6:7], v[8:9], v[208:209], v[4:5] op_sel:[0,0,1] op_sel_hi:[1,1,0] neg_lo:[0,0,1] neg_hi:[0,0,1]
	v_pk_fma_f32 v[4:5], v[8:9], v[208:209], v[4:5] op_sel:[0,0,1] op_sel_hi:[1,0,0]
	v_pk_add_f32 v[2:3], v[2:3], v[18:19]
	s_waitcnt vmcnt(5)
	v_mov_b32_e32 v4, v207
	v_pk_add_f32 v[2:3], v[2:3], v[16:17]
	v_mov_b32_e32 v7, v5
	s_waitcnt lgkmcnt(1)
	v_pk_mul_f32 v[4:5], v[10:11], v[4:5] op_sel_hi:[1,0]
	v_pk_add_f32 v[2:3], v[2:3], v[6:7]
	s_waitcnt vmcnt(4)
	v_pk_fma_f32 v[6:7], v[10:11], v[206:207], v[4:5] op_sel:[0,0,1] op_sel_hi:[1,1,0] neg_lo:[0,0,1] neg_hi:[0,0,1]
	v_pk_fma_f32 v[4:5], v[10:11], v[206:207], v[4:5] op_sel:[0,0,1] op_sel_hi:[1,0,0]
	s_waitcnt vmcnt(3)
	v_mov_b32_e32 v4, v205
	v_mov_b32_e32 v7, v5
	v_pk_mul_f32 v[4:5], v[12:13], v[4:5] op_sel_hi:[1,0]
	v_pk_add_f32 v[2:3], v[2:3], v[6:7]
	s_waitcnt vmcnt(2)
	v_pk_fma_f32 v[6:7], v[12:13], v[204:205], v[4:5] op_sel:[0,0,1] op_sel_hi:[1,1,0] neg_lo:[0,0,1] neg_hi:[0,0,1]
	v_pk_fma_f32 v[4:5], v[12:13], v[204:205], v[4:5] op_sel:[0,0,1] op_sel_hi:[1,0,0]
	s_waitcnt vmcnt(1)
	v_mov_b32_e32 v4, v203
	v_mov_b32_e32 v7, v5
	s_waitcnt lgkmcnt(0)
	v_pk_mul_f32 v[4:5], v[14:15], v[4:5] op_sel_hi:[1,0]
	v_pk_add_f32 v[2:3], v[2:3], v[6:7]
	s_waitcnt vmcnt(0)
	v_pk_fma_f32 v[6:7], v[14:15], v[202:203], v[4:5] op_sel:[0,0,1] op_sel_hi:[1,1,0] neg_lo:[0,0,1] neg_hi:[0,0,1]
	v_pk_fma_f32 v[4:5], v[14:15], v[202:203], v[4:5] op_sel:[0,0,1] op_sel_hi:[1,0,0]
	v_mov_b32_e32 v7, v5
	v_pk_add_f32 v[2:3], v[2:3], v[6:7]
	v_pk_add_f32 v[2:3], v[192:193], v[2:3] neg_lo:[0,1] neg_hi:[0,1]
	buffer_store_dword v3, off, s[0:3], 0 offset:28
	buffer_store_dword v2, off, s[0:3], 0 offset:24
	s_and_saveexec_b64 s[4:5], vcc
	s_cbranch_execz .LBB52_327
; %bb.326:
	buffer_load_dword v2, off, s[0:3], 0 offset:16
	buffer_load_dword v3, off, s[0:3], 0 offset:20
	v_accvgpr_read_b32 v1, a48
	buffer_store_dword v216, off, s[0:3], 0 offset:16
	buffer_store_dword v216, off, s[0:3], 0 offset:20
	s_waitcnt vmcnt(2)
	ds_write_b64 v1, v[2:3]
.LBB52_327:
	s_or_b64 exec, exec, s[4:5]
	s_waitcnt lgkmcnt(0)
	; wave barrier
	s_waitcnt lgkmcnt(0)
	buffer_load_dword v40, off, s[0:3], 0 offset:28
	buffer_load_dword v39, off, s[0:3], 0 offset:36
	;; [unrolled: 1-line block ×32, first 2 shown]
	ds_read2_b64 v[22:25], v216 offset0:57 offset1:58
	ds_read2_b64 v[18:21], v216 offset0:59 offset1:60
	;; [unrolled: 1-line block ×6, first 2 shown]
	buffer_load_dword v206, off, s[0:3], 0 offset:144
	buffer_load_dword v207, off, s[0:3], 0 offset:148
	;; [unrolled: 1-line block ×20, first 2 shown]
	v_cmp_lt_u32_e32 vcc, 1, v0
	s_waitcnt vmcnt(51) lgkmcnt(5)
	v_mul_f32_e32 v26, v22, v40
	s_waitcnt vmcnt(50)
	v_mul_f32_e32 v27, v24, v39
	s_waitcnt vmcnt(49) lgkmcnt(4)
	v_mul_f32_e32 v29, v20, v38
	s_waitcnt vmcnt(48) lgkmcnt(3)
	v_mul_f32_e32 v30, v14, v37
	s_waitcnt vmcnt(47)
	v_mul_f32_e32 v31, v16, v36
	s_waitcnt vmcnt(46) lgkmcnt(2)
	v_mul_f32_e32 v32, v10, v1
	s_waitcnt vmcnt(45)
	v_mul_f32_e32 v28, v18, v41
	s_waitcnt vmcnt(44)
	v_mul_f32_e32 v33, v12, v42
	s_waitcnt vmcnt(43) lgkmcnt(1)
	v_mul_f32_e32 v47, v6, v43
	s_waitcnt vmcnt(42)
	v_mul_f32_e32 v48, v8, v44
	s_waitcnt vmcnt(41) lgkmcnt(0)
	v_mul_f32_e32 v49, v2, v45
	s_waitcnt vmcnt(40)
	v_mul_f32_e32 v50, v4, v46
	s_waitcnt vmcnt(39)
	v_fmac_f32_e32 v28, v19, v106
	s_waitcnt vmcnt(38)
	v_fmac_f32_e32 v27, v25, v108
	;; [unrolled: 2-line block ×3, first 2 shown]
	v_add_f32_e32 v26, 0, v26
	v_add_f32_e32 v26, v26, v27
	;; [unrolled: 1-line block ×3, first 2 shown]
	s_waitcnt vmcnt(33)
	v_fmac_f32_e32 v29, v21, v116
	v_fmac_f32_e32 v30, v15, v115
	v_add_f32_e32 v26, v26, v29
	v_fmac_f32_e32 v31, v17, v114
	v_add_f32_e32 v26, v26, v30
	;; [unrolled: 2-line block ×3, first 2 shown]
	s_waitcnt vmcnt(29)
	v_fmac_f32_e32 v33, v13, v120
	v_add_f32_e32 v26, v26, v32
	v_fmac_f32_e32 v47, v7, v119
	v_add_f32_e32 v26, v26, v33
	;; [unrolled: 2-line block ×4, first 2 shown]
	v_add_f32_e32 v30, v26, v49
	ds_read2_b64 v[26:29], v216 offset0:69 offset1:70
	buffer_load_dword v227, off, s[0:3], 0 offset:224
	buffer_load_dword v228, off, s[0:3], 0 offset:228
	buffer_load_dword v229, off, s[0:3], 0 offset:232
	buffer_load_dword v230, off, s[0:3], 0 offset:236
	s_waitcnt vmcnt(28)
	v_fmac_f32_e32 v50, v5, v125
	v_add_f32_e32 v47, v30, v50
	ds_read2_b64 v[30:33], v216 offset0:71 offset1:72
	buffer_load_dword v231, off, s[0:3], 0 offset:240
	buffer_load_dword v232, off, s[0:3], 0 offset:244
	;; [unrolled: 1-line block ×12, first 2 shown]
	s_waitcnt vmcnt(39) lgkmcnt(1)
	v_mul_f32_e32 v48, v26, v204
	v_fmac_f32_e32 v48, v27, v124
	buffer_load_dword v243, off, s[0:3], 0 offset:288
	buffer_load_dword v244, off, s[0:3], 0 offset:292
	v_add_f32_e32 v47, v47, v48
	s_waitcnt vmcnt(40)
	v_mul_f32_e32 v48, v28, v205
	v_fmac_f32_e32 v48, v29, v123
	buffer_load_dword v245, off, s[0:3], 0 offset:296
	buffer_load_dword v246, off, s[0:3], 0 offset:300
	v_add_f32_e32 v47, v47, v48
	s_waitcnt lgkmcnt(0)
	v_mul_f32_e32 v48, v30, v122
	v_fmac_f32_e32 v48, v31, v121
	v_add_f32_e32 v47, v47, v48
	ds_read2_b64 v[48:51], v216 offset0:73 offset1:74
	buffer_load_dword v247, off, s[0:3], 0 offset:304
	buffer_load_dword v248, off, s[0:3], 0 offset:308
	s_waitcnt vmcnt(40)
	v_mul_f32_e32 v52, v32, v207
	v_fmac_f32_e32 v52, v33, v206
	v_add_f32_e32 v47, v47, v52
	ds_read2_b64 v[52:55], v216 offset0:75 offset1:76
	buffer_load_dword v249, off, s[0:3], 0 offset:312
	buffer_load_dword v250, off, s[0:3], 0 offset:316
	;; [unrolled: 1-line block ×8, first 2 shown]
	s_waitcnt vmcnt(46) lgkmcnt(1)
	v_mul_f32_e32 v56, v48, v209
	v_fmac_f32_e32 v56, v49, v208
	v_add_f32_e32 v47, v47, v56
	s_waitcnt vmcnt(44)
	v_mul_f32_e32 v56, v50, v211
	v_fmac_f32_e32 v56, v51, v210
	v_add_f32_e32 v47, v47, v56
	s_waitcnt vmcnt(42) lgkmcnt(0)
	v_mul_f32_e32 v56, v52, v213
	v_fmac_f32_e32 v56, v53, v212
	v_add_f32_e32 v47, v47, v56
	buffer_load_dword v127, off, s[0:3], 0 offset:344
	buffer_load_dword v128, off, s[0:3], 0 offset:348
	;; [unrolled: 1-line block ×4, first 2 shown]
	ds_read2_b64 v[56:59], v216 offset0:77 offset1:78
	s_waitcnt vmcnt(44)
	v_mul_f32_e32 v60, v54, v215
	v_fmac_f32_e32 v60, v55, v214
	v_add_f32_e32 v47, v47, v60
	ds_read2_b64 v[60:63], v216 offset0:79 offset1:80
	s_waitcnt vmcnt(42) lgkmcnt(1)
	v_mul_f32_e32 v64, v56, v218
	v_fmac_f32_e32 v64, v57, v217
	v_add_f32_e32 v47, v47, v64
	s_waitcnt vmcnt(40)
	v_mul_f32_e32 v64, v58, v220
	v_fmac_f32_e32 v64, v59, v219
	v_add_f32_e32 v47, v47, v64
	s_waitcnt vmcnt(38) lgkmcnt(0)
	v_mul_f32_e32 v64, v60, v222
	v_fmac_f32_e32 v64, v61, v221
	v_add_f32_e32 v47, v47, v64
	ds_read2_b64 v[64:67], v216 offset0:81 offset1:82
	s_waitcnt vmcnt(36)
	v_mul_f32_e32 v68, v62, v224
	v_fmac_f32_e32 v68, v63, v223
	v_add_f32_e32 v47, v47, v68
	ds_read2_b64 v[68:71], v216 offset0:83 offset1:84
	s_waitcnt vmcnt(34) lgkmcnt(1)
	v_mul_f32_e32 v72, v64, v226
	v_fmac_f32_e32 v72, v65, v225
	v_add_f32_e32 v47, v47, v72
	v_mul_f32_e32 v23, v23, v40
	v_fma_f32 v22, v22, v112, -v23
	v_mul_f32_e32 v23, v25, v39
	v_add_f32_e32 v22, 0, v22
	v_fma_f32 v23, v24, v108, -v23
	v_mul_f32_e32 v19, v19, v41
	v_add_f32_e32 v22, v22, v23
	;; [unrolled: 3-line block ×5, first 2 shown]
	s_waitcnt vmcnt(32)
	v_mul_f32_e32 v72, v66, v228
	v_fmac_f32_e32 v72, v67, v227
	v_add_f32_e32 v47, v47, v72
	s_waitcnt vmcnt(30) lgkmcnt(0)
	v_mul_f32_e32 v72, v68, v230
	v_fmac_f32_e32 v72, v69, v229
	v_add_f32_e32 v47, v47, v72
	ds_read2_b64 v[72:75], v216 offset0:85 offset1:86
	s_waitcnt vmcnt(28)
	v_mul_f32_e32 v76, v70, v232
	v_fmac_f32_e32 v76, v71, v231
	v_add_f32_e32 v47, v47, v76
	ds_read2_b64 v[76:79], v216 offset0:87 offset1:88
	s_waitcnt vmcnt(26) lgkmcnt(1)
	v_mul_f32_e32 v80, v72, v234
	v_fmac_f32_e32 v80, v73, v233
	v_add_f32_e32 v47, v47, v80
	s_waitcnt vmcnt(24)
	v_mul_f32_e32 v80, v74, v236
	v_fmac_f32_e32 v80, v75, v235
	v_add_f32_e32 v47, v47, v80
	s_waitcnt vmcnt(22) lgkmcnt(0)
	v_mul_f32_e32 v80, v76, v238
	v_fmac_f32_e32 v80, v77, v237
	v_add_f32_e32 v47, v47, v80
	ds_read2_b64 v[80:83], v216 offset0:89 offset1:90
	s_waitcnt vmcnt(20)
	v_mul_f32_e32 v84, v78, v240
	v_fmac_f32_e32 v84, v79, v239
	v_add_f32_e32 v47, v47, v84
	ds_read2_b64 v[84:87], v216 offset0:91 offset1:92
	s_waitcnt vmcnt(18) lgkmcnt(1)
	v_mul_f32_e32 v88, v80, v242
	v_fmac_f32_e32 v88, v81, v241
	v_add_f32_e32 v47, v47, v88
	s_waitcnt vmcnt(16)
	v_mul_f32_e32 v88, v82, v244
	v_fmac_f32_e32 v88, v83, v243
	v_add_f32_e32 v47, v47, v88
	s_waitcnt vmcnt(14) lgkmcnt(0)
	v_mul_f32_e32 v88, v84, v246
	v_fmac_f32_e32 v88, v85, v245
	v_add_f32_e32 v47, v47, v88
	ds_read2_b64 v[88:91], v216 offset0:93 offset1:94
	s_waitcnt vmcnt(12)
	v_mul_f32_e32 v92, v86, v248
	v_fmac_f32_e32 v92, v87, v247
	v_add_f32_e32 v47, v47, v92
	ds_read2_b64 v[92:95], v216 offset0:95 offset1:96
	buffer_load_dword v105, off, s[0:3], 0 offset:364
	buffer_load_dword v104, off, s[0:3], 0 offset:360
	s_waitcnt vmcnt(12) lgkmcnt(1)
	v_mul_f32_e32 v96, v88, v250
	v_fmac_f32_e32 v96, v89, v249
	v_add_f32_e32 v47, v47, v96
	s_waitcnt vmcnt(10)
	v_mul_f32_e32 v96, v90, v252
	v_fmac_f32_e32 v96, v91, v251
	v_add_f32_e32 v47, v47, v96
	s_waitcnt vmcnt(8) lgkmcnt(0)
	v_mul_f32_e32 v96, v92, v254
	v_fmac_f32_e32 v96, v93, v253
	s_waitcnt vmcnt(6)
	v_mul_f32_e32 v100, v94, v126
	v_add_f32_e32 v47, v47, v96
	v_fmac_f32_e32 v100, v95, v255
	ds_read2_b64 v[96:99], v216 offset0:97 offset1:98
	v_add_f32_e32 v47, v47, v100
	ds_read2_b64 v[100:103], v216 offset0:99 offset1:100
	buffer_load_dword v111, off, s[0:3], 0 offset:396
	buffer_load_dword v110, off, s[0:3], 0 offset:392
	;; [unrolled: 1-line block ×14, first 2 shown]
	v_fma_f32 v15, v16, v114, -v15
	v_mul_f32_e32 v1, v11, v1
	v_add_f32_e32 v14, v14, v15
	v_fma_f32 v1, v10, v113, -v1
	v_mul_f32_e32 v10, v13, v42
	v_add_f32_e32 v1, v14, v1
	;; [unrolled: 3-line block ×3, first 2 shown]
	v_fma_f32 v6, v6, v119, -v7
	v_add_f32_e32 v1, v1, v6
	v_mul_f32_e32 v6, v9, v44
	v_fma_f32 v6, v8, v118, -v6
	v_mul_f32_e32 v3, v3, v45
	v_add_f32_e32 v1, v1, v6
	v_fma_f32 v2, v2, v117, -v3
	v_add_f32_e32 v1, v1, v2
	v_mul_f32_e32 v2, v5, v46
	v_fma_f32 v2, v4, v125, -v2
	v_add_f32_e32 v1, v1, v2
	v_mul_f32_e32 v2, v27, v204
	;; [unrolled: 3-line block ×29, first 2 shown]
	v_fma_f32 v2, v94, v255, -v2
	s_waitcnt vmcnt(15)
	v_mov_b32_e32 v16, v105
	s_waitcnt lgkmcnt(1)
	v_mul_f32_e32 v107, v96, v128
	v_add_f32_e32 v46, v1, v2
	v_mul_f32_e32 v1, v97, v128
	s_waitcnt lgkmcnt(0)
	v_pk_mul_f32 v[16:17], v[100:101], v[16:17] op_sel_hi:[1,0]
	v_fmac_f32_e32 v107, v97, v127
	v_mul_f32_e32 v109, v98, v130
	v_fma_f32 v106, v96, v127, -v1
	v_mul_f32_e32 v1, v99, v130
	s_waitcnt vmcnt(14)
	v_pk_fma_f32 v[18:19], v[100:101], v[104:105], v[16:17] op_sel:[0,0,1] op_sel_hi:[1,1,0] neg_lo:[0,0,1] neg_hi:[0,0,1]
	v_pk_fma_f32 v[16:17], v[100:101], v[104:105], v[16:17] op_sel:[0,0,1] op_sel_hi:[1,0,0]
	v_fmac_f32_e32 v109, v99, v129
	v_fma_f32 v108, v98, v129, -v1
	v_pk_add_f32 v[14:15], v[46:47], v[106:107]
	s_waitcnt vmcnt(7)
	v_mov_b32_e32 v16, v197
	ds_read2_b64 v[2:5], v216 offset0:101 offset1:102
	ds_read2_b64 v[6:9], v216 offset0:103 offset1:104
	;; [unrolled: 1-line block ×3, first 2 shown]
	v_pk_add_f32 v[14:15], v[14:15], v[108:109]
	v_mov_b32_e32 v19, v17
	v_pk_mul_f32 v[16:17], v[102:103], v[16:17] op_sel_hi:[1,0]
	v_pk_add_f32 v[14:15], v[14:15], v[18:19]
	s_waitcnt vmcnt(6)
	v_pk_fma_f32 v[18:19], v[102:103], v[196:197], v[16:17] op_sel:[0,0,1] op_sel_hi:[1,1,0] neg_lo:[0,0,1] neg_hi:[0,0,1]
	v_pk_fma_f32 v[16:17], v[102:103], v[196:197], v[16:17] op_sel:[0,0,1] op_sel_hi:[1,0,0]
	v_mov_b32_e32 v16, v195
	v_mov_b32_e32 v19, v17
	s_waitcnt lgkmcnt(2)
	v_pk_mul_f32 v[16:17], v[2:3], v[16:17] op_sel_hi:[1,0]
	v_pk_add_f32 v[14:15], v[14:15], v[18:19]
	v_pk_fma_f32 v[18:19], v[2:3], v[194:195], v[16:17] op_sel:[0,0,1] op_sel_hi:[1,1,0] neg_lo:[0,0,1] neg_hi:[0,0,1]
	v_pk_fma_f32 v[2:3], v[2:3], v[194:195], v[16:17] op_sel:[0,0,1] op_sel_hi:[1,0,0]
	v_mov_b32_e32 v19, v3
	v_pk_add_f32 v[2:3], v[14:15], v[18:19]
	v_mov_b32_e32 v14, v193
	v_pk_mul_f32 v[14:15], v[4:5], v[14:15] op_sel_hi:[1,0]
	v_pk_fma_f32 v[16:17], v[4:5], v[192:193], v[14:15] op_sel:[0,0,1] op_sel_hi:[1,1,0] neg_lo:[0,0,1] neg_hi:[0,0,1]
	v_pk_fma_f32 v[4:5], v[4:5], v[192:193], v[14:15] op_sel:[0,0,1] op_sel_hi:[1,0,0]
	v_mov_b32_e32 v4, v111
	v_mov_b32_e32 v17, v5
	s_waitcnt lgkmcnt(1)
	v_pk_mul_f32 v[4:5], v[6:7], v[4:5] op_sel_hi:[1,0]
	v_pk_fma_f32 v[14:15], v[6:7], v[110:111], v[4:5] op_sel:[0,0,1] op_sel_hi:[1,1,0] neg_lo:[0,0,1] neg_hi:[0,0,1]
	v_pk_fma_f32 v[4:5], v[6:7], v[110:111], v[4:5] op_sel:[0,0,1] op_sel_hi:[1,0,0]
	s_waitcnt vmcnt(1)
	v_mov_b32_e32 v4, v203
	v_mov_b32_e32 v15, v5
	v_pk_mul_f32 v[4:5], v[8:9], v[4:5] op_sel_hi:[1,0]
	s_waitcnt vmcnt(0)
	v_pk_fma_f32 v[6:7], v[8:9], v[202:203], v[4:5] op_sel:[0,0,1] op_sel_hi:[1,1,0] neg_lo:[0,0,1] neg_hi:[0,0,1]
	v_pk_fma_f32 v[4:5], v[8:9], v[202:203], v[4:5] op_sel:[0,0,1] op_sel_hi:[1,0,0]
	v_pk_add_f32 v[2:3], v[2:3], v[16:17]
	v_mov_b32_e32 v4, v201
	v_pk_add_f32 v[2:3], v[2:3], v[14:15]
	v_mov_b32_e32 v7, v5
	s_waitcnt lgkmcnt(0)
	v_pk_mul_f32 v[4:5], v[10:11], v[4:5] op_sel_hi:[1,0]
	v_pk_add_f32 v[2:3], v[2:3], v[6:7]
	v_pk_fma_f32 v[6:7], v[10:11], v[200:201], v[4:5] op_sel:[0,0,1] op_sel_hi:[1,1,0] neg_lo:[0,0,1] neg_hi:[0,0,1]
	v_pk_fma_f32 v[4:5], v[10:11], v[200:201], v[4:5] op_sel:[0,0,1] op_sel_hi:[1,0,0]
	v_mov_b32_e32 v4, v199
	v_mov_b32_e32 v7, v5
	v_pk_mul_f32 v[4:5], v[12:13], v[4:5] op_sel_hi:[1,0]
	v_pk_add_f32 v[2:3], v[2:3], v[6:7]
	v_pk_fma_f32 v[6:7], v[12:13], v[198:199], v[4:5] op_sel:[0,0,1] op_sel_hi:[1,1,0] neg_lo:[0,0,1] neg_hi:[0,0,1]
	v_pk_fma_f32 v[4:5], v[12:13], v[198:199], v[4:5] op_sel:[0,0,1] op_sel_hi:[1,0,0]
	v_mov_b32_e32 v7, v5
	v_pk_add_f32 v[2:3], v[2:3], v[6:7]
	v_pk_add_f32 v[2:3], v[34:35], v[2:3] neg_lo:[0,1] neg_hi:[0,1]
	buffer_store_dword v3, off, s[0:3], 0 offset:20
	buffer_store_dword v2, off, s[0:3], 0 offset:16
	s_and_saveexec_b64 s[4:5], vcc
	s_cbranch_execz .LBB52_329
; %bb.328:
	buffer_load_dword v2, off, s[0:3], 0 offset:8
	buffer_load_dword v3, off, s[0:3], 0 offset:12
	v_mov_b32_e32 v1, 0
	v_accvgpr_read_b32 v4, a48
	buffer_store_dword v1, off, s[0:3], 0 offset:8
	buffer_store_dword v1, off, s[0:3], 0 offset:12
	s_waitcnt vmcnt(2)
	ds_write_b64 v4, v[2:3]
.LBB52_329:
	s_or_b64 exec, exec, s[4:5]
	s_waitcnt lgkmcnt(0)
	; wave barrier
	s_waitcnt lgkmcnt(0)
	buffer_load_dword v45, off, s[0:3], 0 offset:20
	buffer_load_dword v44, off, s[0:3], 0 offset:28
	;; [unrolled: 1-line block ×48, first 2 shown]
	v_mov_b32_e32 v42, 0
	ds_read_b128 v[22:25], v42 offset:448
	ds_read_b128 v[18:21], v42 offset:464
	;; [unrolled: 1-line block ×6, first 2 shown]
	buffer_load_dword v217, off, s[0:3], 0 offset:200
	buffer_load_dword v218, off, s[0:3], 0 offset:204
	v_cmp_ne_u32_e32 vcc, 0, v0
	s_waitcnt vmcnt(49) lgkmcnt(5)
	v_mul_f32_e32 v26, v22, v45
	s_waitcnt vmcnt(48)
	v_mul_f32_e32 v27, v24, v44
	s_waitcnt vmcnt(47) lgkmcnt(4)
	v_mul_f32_e32 v29, v20, v43
	s_waitcnt vmcnt(46) lgkmcnt(3)
	v_mul_f32_e32 v30, v14, v41
	s_waitcnt vmcnt(45)
	v_mul_f32_e32 v31, v16, v40
	s_waitcnt vmcnt(44) lgkmcnt(2)
	v_mul_f32_e32 v32, v10, v1
	s_waitcnt vmcnt(43)
	v_mul_f32_e32 v28, v18, v46
	s_waitcnt vmcnt(42)
	v_mul_f32_e32 v33, v12, v47
	s_waitcnt vmcnt(41) lgkmcnt(1)
	v_mul_f32_e32 v34, v6, v48
	s_waitcnt vmcnt(40)
	v_mul_f32_e32 v35, v8, v49
	s_waitcnt vmcnt(39) lgkmcnt(0)
	v_mul_f32_e32 v36, v2, v50
	s_waitcnt vmcnt(38)
	v_mul_f32_e32 v37, v4, v51
	s_waitcnt vmcnt(37)
	v_fmac_f32_e32 v28, v19, v57
	s_waitcnt vmcnt(36)
	v_fmac_f32_e32 v27, v25, v60
	;; [unrolled: 2-line block ×3, first 2 shown]
	v_add_f32_e32 v26, 0, v26
	v_add_f32_e32 v26, v26, v27
	;; [unrolled: 1-line block ×3, first 2 shown]
	s_waitcnt vmcnt(31)
	v_fmac_f32_e32 v29, v21, v62
	v_fmac_f32_e32 v30, v15, v59
	v_add_f32_e32 v26, v26, v29
	v_fmac_f32_e32 v31, v17, v56
	v_add_f32_e32 v26, v26, v30
	v_fmac_f32_e32 v32, v11, v54
	v_add_f32_e32 v26, v26, v31
	s_waitcnt vmcnt(27)
	v_fmac_f32_e32 v33, v13, v58
	v_add_f32_e32 v26, v26, v32
	v_fmac_f32_e32 v34, v7, v55
	v_add_f32_e32 v26, v26, v33
	;; [unrolled: 2-line block ×4, first 2 shown]
	s_waitcnt vmcnt(22)
	v_fmac_f32_e32 v37, v5, v116
	v_add_f32_e32 v26, v26, v36
	v_add_f32_e32 v34, v26, v37
	ds_read_b128 v[26:29], v42 offset:544
	buffer_load_dword v219, off, s[0:3], 0 offset:208
	buffer_load_dword v220, off, s[0:3], 0 offset:212
	ds_read_b128 v[30:33], v42 offset:560
	buffer_load_dword v221, off, s[0:3], 0 offset:216
	buffer_load_dword v222, off, s[0:3], 0 offset:220
	;; [unrolled: 1-line block ×12, first 2 shown]
	s_waitcnt vmcnt(35) lgkmcnt(1)
	v_mul_f32_e32 v35, v26, v117
	v_fmac_f32_e32 v35, v27, v115
	buffer_load_dword v233, off, s[0:3], 0 offset:264
	buffer_load_dword v234, off, s[0:3], 0 offset:268
	v_add_f32_e32 v34, v34, v35
	s_waitcnt vmcnt(36)
	v_mul_f32_e32 v35, v28, v118
	v_fmac_f32_e32 v35, v29, v114
	v_add_f32_e32 v34, v34, v35
	s_waitcnt lgkmcnt(0)
	v_mul_f32_e32 v35, v30, v113
	buffer_load_dword v235, off, s[0:3], 0 offset:272
	buffer_load_dword v236, off, s[0:3], 0 offset:276
	v_fmac_f32_e32 v35, v31, v61
	v_add_f32_e32 v63, v34, v35
	ds_read_b128 v[34:37], v42 offset:576
	buffer_load_dword v237, off, s[0:3], 0 offset:280
	buffer_load_dword v238, off, s[0:3], 0 offset:284
	;; [unrolled: 1-line block ×4, first 2 shown]
	s_waitcnt vmcnt(38)
	v_mul_f32_e32 v64, v32, v120
	v_fmac_f32_e32 v64, v33, v119
	v_add_f32_e32 v63, v63, v64
	ds_read_b128 v[64:67], v42 offset:592
	buffer_load_dword v241, off, s[0:3], 0 offset:296
	buffer_load_dword v242, off, s[0:3], 0 offset:300
	buffer_load_dword v243, off, s[0:3], 0 offset:304
	buffer_load_dword v244, off, s[0:3], 0 offset:308
	buffer_load_dword v245, off, s[0:3], 0 offset:312
	buffer_load_dword v246, off, s[0:3], 0 offset:316
	buffer_load_dword v247, off, s[0:3], 0 offset:320
	buffer_load_dword v248, off, s[0:3], 0 offset:324
	s_waitcnt vmcnt(44) lgkmcnt(1)
	v_mul_f32_e32 v68, v34, v122
	v_fmac_f32_e32 v68, v35, v121
	v_add_f32_e32 v63, v63, v68
	s_waitcnt vmcnt(42)
	v_mul_f32_e32 v68, v36, v124
	v_fmac_f32_e32 v68, v37, v123
	v_add_f32_e32 v63, v63, v68
	s_waitcnt vmcnt(40) lgkmcnt(0)
	v_mul_f32_e32 v68, v64, v126
	v_fmac_f32_e32 v68, v65, v125
	buffer_load_dword v249, off, s[0:3], 0 offset:328
	buffer_load_dword v250, off, s[0:3], 0 offset:332
	v_add_f32_e32 v63, v63, v68
	buffer_load_dword v251, off, s[0:3], 0 offset:336
	buffer_load_dword v252, off, s[0:3], 0 offset:340
	;; [unrolled: 1-line block ×6, first 2 shown]
	ds_read_b128 v[68:71], v42 offset:608
	s_waitcnt vmcnt(46)
	v_mul_f32_e32 v72, v66, v128
	v_fmac_f32_e32 v72, v67, v127
	v_add_f32_e32 v63, v63, v72
	ds_read_b128 v[72:75], v42 offset:624
	s_waitcnt vmcnt(44) lgkmcnt(1)
	v_mul_f32_e32 v76, v68, v130
	v_fmac_f32_e32 v76, v69, v129
	v_add_f32_e32 v63, v63, v76
	s_waitcnt vmcnt(42)
	v_mul_f32_e32 v76, v70, v196
	v_fmac_f32_e32 v76, v71, v131
	v_add_f32_e32 v63, v63, v76
	s_waitcnt vmcnt(40) lgkmcnt(0)
	v_mul_f32_e32 v76, v72, v216
	v_fmac_f32_e32 v76, v73, v198
	v_add_f32_e32 v63, v63, v76
	ds_read_b128 v[76:79], v42 offset:640
	s_waitcnt vmcnt(38)
	v_mul_f32_e32 v80, v74, v218
	v_fmac_f32_e32 v80, v75, v217
	v_add_f32_e32 v63, v63, v80
	ds_read_b128 v[80:83], v42 offset:656
	v_mul_f32_e32 v23, v23, v45
	v_fma_f32 v22, v22, v112, -v23
	v_mul_f32_e32 v23, v25, v44
	v_add_f32_e32 v22, 0, v22
	v_fma_f32 v23, v24, v60, -v23
	v_mul_f32_e32 v19, v19, v46
	v_add_f32_e32 v22, v22, v23
	;; [unrolled: 3-line block ×6, first 2 shown]
	v_fma_f32 v1, v10, v54, -v1
	s_waitcnt vmcnt(36) lgkmcnt(1)
	v_mul_f32_e32 v84, v76, v220
	v_fmac_f32_e32 v84, v77, v219
	v_add_f32_e32 v63, v63, v84
	s_waitcnt vmcnt(34)
	v_mul_f32_e32 v84, v78, v222
	v_fmac_f32_e32 v84, v79, v221
	v_add_f32_e32 v63, v63, v84
	s_waitcnt vmcnt(32) lgkmcnt(0)
	v_mul_f32_e32 v84, v80, v224
	v_fmac_f32_e32 v84, v81, v223
	v_add_f32_e32 v63, v63, v84
	ds_read_b128 v[84:87], v42 offset:672
	s_waitcnt vmcnt(30)
	v_mul_f32_e32 v88, v82, v226
	v_fmac_f32_e32 v88, v83, v225
	v_add_f32_e32 v63, v63, v88
	ds_read_b128 v[88:91], v42 offset:688
	s_waitcnt vmcnt(28) lgkmcnt(1)
	v_mul_f32_e32 v92, v84, v228
	v_fmac_f32_e32 v92, v85, v227
	v_add_f32_e32 v63, v63, v92
	s_waitcnt vmcnt(26)
	v_mul_f32_e32 v92, v86, v230
	v_fmac_f32_e32 v92, v87, v229
	v_add_f32_e32 v63, v63, v92
	s_waitcnt vmcnt(24) lgkmcnt(0)
	v_mul_f32_e32 v92, v88, v232
	v_fmac_f32_e32 v92, v89, v231
	v_add_f32_e32 v63, v63, v92
	ds_read_b128 v[92:95], v42 offset:704
	s_waitcnt vmcnt(22)
	v_mul_f32_e32 v96, v90, v234
	v_fmac_f32_e32 v96, v91, v233
	v_add_f32_e32 v63, v63, v96
	ds_read_b128 v[96:99], v42 offset:720
	;; [unrolled: 18-line block ×3, first 2 shown]
	s_waitcnt vmcnt(12) lgkmcnt(1)
	v_mul_f32_e32 v108, v100, v244
	v_fmac_f32_e32 v108, v101, v243
	v_add_f32_e32 v63, v63, v108
	s_waitcnt vmcnt(10)
	v_mul_f32_e32 v108, v102, v246
	v_fmac_f32_e32 v108, v103, v245
	v_add_f32_e32 v63, v63, v108
	s_waitcnt vmcnt(8) lgkmcnt(0)
	v_mul_f32_e32 v108, v104, v248
	v_fmac_f32_e32 v108, v105, v247
	v_add_f32_e32 v63, v63, v108
	ds_read_b128 v[108:111], v42 offset:768
	ds_read_b128 v[192:195], v42 offset:784
	buffer_load_dword v201, off, s[0:3], 0 offset:388
	buffer_load_dword v200, off, s[0:3], 0 offset:384
	;; [unrolled: 1-line block ×16, first 2 shown]
	v_mul_f32_e32 v10, v13, v47
	v_add_f32_e32 v1, v14, v1
	v_fma_f32 v10, v12, v58, -v10
	v_mul_f32_e32 v7, v7, v48
	v_add_f32_e32 v1, v1, v10
	v_fma_f32 v6, v6, v55, -v7
	v_add_f32_e32 v1, v1, v6
	v_mul_f32_e32 v6, v9, v49
	v_fma_f32 v6, v8, v53, -v6
	v_mul_f32_e32 v3, v3, v50
	v_add_f32_e32 v1, v1, v6
	v_fma_f32 v2, v2, v52, -v3
	v_add_f32_e32 v1, v1, v2
	v_mul_f32_e32 v2, v5, v51
	v_fma_f32 v2, v4, v116, -v2
	v_add_f32_e32 v1, v1, v2
	v_mul_f32_e32 v2, v27, v117
	;; [unrolled: 3-line block ×28, first 2 shown]
	v_fma_f32 v2, v104, v247, -v2
	v_add_f32_e32 v1, v1, v2
	s_waitcnt vmcnt(22)
	v_mul_f32_e32 v2, v107, v250
	v_mul_f32_e32 v133, v106, v250
	v_fma_f32 v2, v106, v249, -v2
	v_fmac_f32_e32 v133, v107, v249
	v_add_f32_e32 v1, v1, v2
	s_waitcnt vmcnt(20) lgkmcnt(1)
	v_mul_f32_e32 v2, v109, v252
	v_add_f32_e32 v63, v63, v133
	v_mul_f32_e32 v133, v108, v252
	v_fma_f32 v2, v108, v251, -v2
	s_waitcnt vmcnt(9)
	v_mov_b32_e32 v18, v207
	v_fmac_f32_e32 v133, v109, v251
	v_mul_f32_e32 v197, v110, v254
	v_add_f32_e32 v62, v1, v2
	v_mul_f32_e32 v1, v111, v254
	s_waitcnt lgkmcnt(0)
	v_pk_mul_f32 v[18:19], v[194:195], v[18:19] op_sel_hi:[1,0]
	v_add_f32_e32 v63, v63, v133
	v_fmac_f32_e32 v197, v111, v253
	v_mul_f32_e32 v199, v192, v132
	v_fma_f32 v196, v110, v253, -v1
	v_mul_f32_e32 v1, v193, v132
	ds_read_b128 v[2:5], v42 offset:800
	ds_read_b128 v[6:9], v42 offset:816
	;; [unrolled: 1-line block ×3, first 2 shown]
	ds_read_b64 v[14:15], v42 offset:848
	s_waitcnt vmcnt(8)
	v_pk_fma_f32 v[20:21], v[194:195], v[206:207], v[18:19] op_sel:[0,0,1] op_sel_hi:[1,1,0] neg_lo:[0,0,1] neg_hi:[0,0,1]
	v_pk_fma_f32 v[18:19], v[194:195], v[206:207], v[18:19] op_sel:[0,0,1] op_sel_hi:[1,0,0]
	v_fmac_f32_e32 v199, v193, v255
	v_fma_f32 v198, v192, v255, -v1
	v_pk_add_f32 v[16:17], v[62:63], v[196:197]
	v_mov_b32_e32 v18, v205
	v_pk_add_f32 v[16:17], v[16:17], v[198:199]
	v_mov_b32_e32 v21, v19
	s_waitcnt lgkmcnt(3)
	v_pk_mul_f32 v[18:19], v[2:3], v[18:19] op_sel_hi:[1,0]
	v_pk_add_f32 v[16:17], v[16:17], v[20:21]
	v_pk_fma_f32 v[20:21], v[2:3], v[204:205], v[18:19] op_sel:[0,0,1] op_sel_hi:[1,1,0] neg_lo:[0,0,1] neg_hi:[0,0,1]
	v_pk_fma_f32 v[2:3], v[2:3], v[204:205], v[18:19] op_sel:[0,0,1] op_sel_hi:[1,0,0]
	v_mov_b32_e32 v21, v3
	v_pk_add_f32 v[2:3], v[16:17], v[20:21]
	v_mov_b32_e32 v16, v203
	v_pk_mul_f32 v[16:17], v[4:5], v[16:17] op_sel_hi:[1,0]
	v_pk_fma_f32 v[18:19], v[4:5], v[202:203], v[16:17] op_sel:[0,0,1] op_sel_hi:[1,1,0] neg_lo:[0,0,1] neg_hi:[0,0,1]
	v_pk_fma_f32 v[4:5], v[4:5], v[202:203], v[16:17] op_sel:[0,0,1] op_sel_hi:[1,0,0]
	v_mov_b32_e32 v4, v201
	v_mov_b32_e32 v19, v5
	s_waitcnt lgkmcnt(2)
	v_pk_mul_f32 v[4:5], v[6:7], v[4:5] op_sel_hi:[1,0]
	v_pk_fma_f32 v[16:17], v[6:7], v[200:201], v[4:5] op_sel:[0,0,1] op_sel_hi:[1,1,0] neg_lo:[0,0,1] neg_hi:[0,0,1]
	v_pk_fma_f32 v[4:5], v[6:7], v[200:201], v[4:5] op_sel:[0,0,1] op_sel_hi:[1,0,0]
	s_waitcnt vmcnt(1)
	v_mov_b32_e32 v4, v215
	v_mov_b32_e32 v17, v5
	v_pk_mul_f32 v[4:5], v[8:9], v[4:5] op_sel_hi:[1,0]
	s_waitcnt vmcnt(0)
	v_pk_fma_f32 v[6:7], v[8:9], v[214:215], v[4:5] op_sel:[0,0,1] op_sel_hi:[1,1,0] neg_lo:[0,0,1] neg_hi:[0,0,1]
	v_pk_fma_f32 v[4:5], v[8:9], v[214:215], v[4:5] op_sel:[0,0,1] op_sel_hi:[1,0,0]
	v_pk_add_f32 v[2:3], v[2:3], v[18:19]
	v_mov_b32_e32 v4, v213
	v_pk_add_f32 v[2:3], v[2:3], v[16:17]
	v_mov_b32_e32 v7, v5
	s_waitcnt lgkmcnt(1)
	v_pk_mul_f32 v[4:5], v[10:11], v[4:5] op_sel_hi:[1,0]
	v_pk_add_f32 v[2:3], v[2:3], v[6:7]
	v_pk_fma_f32 v[6:7], v[10:11], v[212:213], v[4:5] op_sel:[0,0,1] op_sel_hi:[1,1,0] neg_lo:[0,0,1] neg_hi:[0,0,1]
	v_pk_fma_f32 v[4:5], v[10:11], v[212:213], v[4:5] op_sel:[0,0,1] op_sel_hi:[1,0,0]
	v_mov_b32_e32 v4, v211
	v_mov_b32_e32 v7, v5
	v_pk_mul_f32 v[4:5], v[12:13], v[4:5] op_sel_hi:[1,0]
	v_pk_add_f32 v[2:3], v[2:3], v[6:7]
	v_pk_fma_f32 v[6:7], v[12:13], v[210:211], v[4:5] op_sel:[0,0,1] op_sel_hi:[1,1,0] neg_lo:[0,0,1] neg_hi:[0,0,1]
	v_pk_fma_f32 v[4:5], v[12:13], v[210:211], v[4:5] op_sel:[0,0,1] op_sel_hi:[1,0,0]
	v_mov_b32_e32 v4, v209
	v_mov_b32_e32 v7, v5
	s_waitcnt lgkmcnt(0)
	v_pk_mul_f32 v[4:5], v[14:15], v[4:5] op_sel_hi:[1,0]
	v_pk_add_f32 v[2:3], v[2:3], v[6:7]
	v_pk_fma_f32 v[6:7], v[14:15], v[208:209], v[4:5] op_sel:[0,0,1] op_sel_hi:[1,1,0] neg_lo:[0,0,1] neg_hi:[0,0,1]
	v_pk_fma_f32 v[4:5], v[14:15], v[208:209], v[4:5] op_sel:[0,0,1] op_sel_hi:[1,0,0]
	v_mov_b32_e32 v7, v5
	v_pk_add_f32 v[2:3], v[2:3], v[6:7]
	v_pk_add_f32 v[2:3], v[38:39], v[2:3] neg_lo:[0,1] neg_hi:[0,1]
	buffer_store_dword v3, off, s[0:3], 0 offset:12
	buffer_store_dword v2, off, s[0:3], 0 offset:8
	s_and_saveexec_b64 s[4:5], vcc
	s_cbranch_execz .LBB52_331
; %bb.330:
	buffer_load_dword v0, off, s[0:3], 0
	buffer_load_dword v1, off, s[0:3], 0 offset:4
	v_accvgpr_read_b32 v2, a48
	buffer_store_dword v42, off, s[0:3], 0
	buffer_store_dword v42, off, s[0:3], 0 offset:4
	s_waitcnt vmcnt(2)
	ds_write_b64 v2, v[0:1]
.LBB52_331:
	s_or_b64 exec, exec, s[4:5]
	s_waitcnt lgkmcnt(0)
	; wave barrier
	s_waitcnt lgkmcnt(0)
	buffer_load_dword v48, off, s[0:3], 0 offset:12
	buffer_load_dword v47, off, s[0:3], 0 offset:20
	;; [unrolled: 1-line block ×30, first 2 shown]
	buffer_load_dword v40, off, s[0:3], 0
	buffer_load_dword v41, off, s[0:3], 0 offset:4
	ds_read2_b64 v[24:27], v42 offset0:55 offset1:56
	ds_read2_b64 v[20:23], v42 offset0:57 offset1:58
	;; [unrolled: 1-line block ×4, first 2 shown]
	buffer_load_dword v118, off, s[0:3], 0 offset:128
	buffer_load_dword v119, off, s[0:3], 0 offset:132
	ds_read2_b64 v[12:15], v42 offset0:63 offset1:64
	ds_read2_b64 v[4:7], v42 offset0:65 offset1:66
	;; [unrolled: 1-line block ×3, first 2 shown]
	buffer_load_dword v120, off, s[0:3], 0 offset:136
	buffer_load_dword v121, off, s[0:3], 0 offset:140
	;; [unrolled: 1-line block ×16, first 2 shown]
	s_and_b64 vcc, exec, s[20:21]
	s_waitcnt vmcnt(49) lgkmcnt(6)
	v_mul_f32_e32 v28, v24, v48
	s_waitcnt vmcnt(48)
	v_mul_f32_e32 v29, v26, v47
	s_waitcnt vmcnt(47) lgkmcnt(5)
	v_mul_f32_e32 v31, v22, v46
	s_waitcnt vmcnt(46) lgkmcnt(4)
	v_mul_f32_e32 v32, v16, v45
	s_waitcnt vmcnt(45)
	v_mul_f32_e32 v33, v18, v43
	s_waitcnt vmcnt(44)
	v_mul_f32_e32 v30, v20, v49
	s_waitcnt vmcnt(43) lgkmcnt(3)
	v_mul_f32_e32 v34, v8, v44
	s_waitcnt vmcnt(42)
	v_mul_f32_e32 v35, v10, v50
	s_waitcnt vmcnt(41) lgkmcnt(2)
	;; [unrolled: 4-line block ×3, first 2 shown]
	v_mul_f32_e32 v38, v4, v53
	s_waitcnt vmcnt(38)
	v_mul_f32_e32 v39, v6, v54
	s_waitcnt vmcnt(37)
	v_fmac_f32_e32 v30, v21, v60
	s_waitcnt vmcnt(36)
	v_fmac_f32_e32 v29, v27, v63
	;; [unrolled: 2-line block ×3, first 2 shown]
	v_add_f32_e32 v28, 0, v28
	v_add_f32_e32 v28, v28, v29
	;; [unrolled: 1-line block ×3, first 2 shown]
	s_waitcnt vmcnt(31)
	v_fmac_f32_e32 v31, v23, v64
	v_fmac_f32_e32 v32, v17, v62
	v_add_f32_e32 v28, v28, v31
	v_fmac_f32_e32 v33, v19, v59
	v_add_f32_e32 v28, v28, v32
	;; [unrolled: 2-line block ×3, first 2 shown]
	s_waitcnt vmcnt(27)
	v_fmac_f32_e32 v35, v11, v61
	v_add_f32_e32 v28, v28, v34
	v_fmac_f32_e32 v36, v13, v58
	v_add_f32_e32 v28, v28, v35
	;; [unrolled: 2-line block ×4, first 2 shown]
	s_waitcnt vmcnt(23)
	v_fmac_f32_e32 v39, v7, v114
	v_add_f32_e32 v28, v28, v38
	v_add_f32_e32 v32, v28, v39
	ds_read2_b64 v[28:31], v42 offset0:69 offset1:70
	buffer_load_dword v216, off, s[0:3], 0 offset:200
	buffer_load_dword v217, off, s[0:3], 0 offset:204
	;; [unrolled: 1-line block ×12, first 2 shown]
	s_waitcnt vmcnt(34) lgkmcnt(1)
	v_mul_f32_e32 v33, v0, v115
	v_fmac_f32_e32 v33, v1, v113
	buffer_load_dword v228, off, s[0:3], 0 offset:248
	buffer_load_dword v229, off, s[0:3], 0 offset:252
	v_add_f32_e32 v32, v32, v33
	s_waitcnt vmcnt(35)
	v_mul_f32_e32 v33, v2, v116
	v_fmac_f32_e32 v33, v3, v112
	v_add_f32_e32 v32, v32, v33
	s_waitcnt vmcnt(34) lgkmcnt(0)
	v_mul_f32_e32 v33, v28, v117
	v_fmac_f32_e32 v33, v29, v65
	buffer_load_dword v230, off, s[0:3], 0 offset:256
	buffer_load_dword v231, off, s[0:3], 0 offset:260
	v_add_f32_e32 v32, v32, v33
	s_waitcnt vmcnt(32)
	v_mul_f32_e32 v33, v30, v119
	v_fmac_f32_e32 v33, v31, v118
	v_add_f32_e32 v66, v32, v33
	ds_read2_b64 v[32:35], v42 offset0:71 offset1:72
	buffer_load_dword v232, off, s[0:3], 0 offset:264
	buffer_load_dword v233, off, s[0:3], 0 offset:268
	ds_read2_b64 v[36:39], v42 offset0:73 offset1:74
	buffer_load_dword v234, off, s[0:3], 0 offset:272
	buffer_load_dword v235, off, s[0:3], 0 offset:276
	;; [unrolled: 1-line block ×14, first 2 shown]
	s_waitcnt vmcnt(46) lgkmcnt(1)
	v_mul_f32_e32 v67, v32, v121
	v_fmac_f32_e32 v67, v33, v120
	v_add_f32_e32 v66, v66, v67
	s_waitcnt vmcnt(44)
	v_mul_f32_e32 v67, v34, v123
	v_fmac_f32_e32 v67, v35, v122
	v_add_f32_e32 v66, v66, v67
	s_waitcnt vmcnt(42) lgkmcnt(0)
	v_mul_f32_e32 v67, v36, v125
	v_fmac_f32_e32 v67, v37, v124
	v_add_f32_e32 v70, v66, v67
	buffer_load_dword v248, off, s[0:3], 0 offset:328
	buffer_load_dword v249, off, s[0:3], 0 offset:332
	ds_read2_b64 v[66:69], v42 offset0:75 offset1:76
	s_waitcnt vmcnt(42)
	v_mul_f32_e32 v71, v38, v127
	v_fmac_f32_e32 v71, v39, v126
	buffer_load_dword v250, off, s[0:3], 0 offset:336
	buffer_load_dword v251, off, s[0:3], 0 offset:340
	v_add_f32_e32 v74, v70, v71
	buffer_load_dword v252, off, s[0:3], 0 offset:344
	buffer_load_dword v253, off, s[0:3], 0 offset:348
	ds_read2_b64 v[70:73], v42 offset0:77 offset1:78
	s_waitcnt vmcnt(44) lgkmcnt(1)
	v_mul_f32_e32 v75, v66, v129
	v_fmac_f32_e32 v75, v67, v128
	v_add_f32_e32 v74, v74, v75
	s_waitcnt vmcnt(42)
	v_mul_f32_e32 v75, v68, v131
	v_fmac_f32_e32 v75, v69, v130
	v_add_f32_e32 v74, v74, v75
	s_waitcnt vmcnt(40) lgkmcnt(0)
	v_mul_f32_e32 v75, v70, v133
	v_fmac_f32_e32 v75, v71, v132
	buffer_load_dword v254, off, s[0:3], 0 offset:352
	buffer_load_dword v255, off, s[0:3], 0 offset:356
	v_add_f32_e32 v78, v74, v75
	ds_read2_b64 v[74:77], v42 offset0:79 offset1:80
	s_waitcnt vmcnt(40)
	v_mul_f32_e32 v79, v72, v204
	v_fmac_f32_e32 v79, v73, v196
	v_add_f32_e32 v82, v78, v79
	ds_read2_b64 v[78:81], v42 offset0:81 offset1:82
	v_mul_f32_e32 v25, v25, v48
	v_fma_f32 v24, v24, v110, -v25
	v_mul_f32_e32 v25, v27, v47
	v_add_f32_e32 v24, 0, v24
	v_fma_f32 v25, v26, v63, -v25
	v_mul_f32_e32 v21, v21, v49
	v_add_f32_e32 v24, v24, v25
	;; [unrolled: 3-line block ×5, first 2 shown]
	v_fma_f32 v17, v18, v59, -v17
	v_mul_f32_e32 v9, v9, v44
	s_waitcnt vmcnt(38) lgkmcnt(1)
	v_mul_f32_e32 v83, v74, v217
	v_fmac_f32_e32 v83, v75, v216
	v_add_f32_e32 v82, v82, v83
	s_waitcnt vmcnt(36)
	v_mul_f32_e32 v83, v76, v219
	v_fmac_f32_e32 v83, v77, v218
	v_add_f32_e32 v82, v82, v83
	s_waitcnt vmcnt(34) lgkmcnt(0)
	v_mul_f32_e32 v83, v78, v221
	v_fmac_f32_e32 v83, v79, v220
	v_add_f32_e32 v86, v82, v83
	ds_read2_b64 v[82:85], v42 offset0:83 offset1:84
	s_waitcnt vmcnt(32)
	v_mul_f32_e32 v87, v80, v223
	v_fmac_f32_e32 v87, v81, v222
	v_add_f32_e32 v90, v86, v87
	ds_read2_b64 v[86:89], v42 offset0:85 offset1:86
	s_waitcnt vmcnt(30) lgkmcnt(1)
	v_mul_f32_e32 v91, v82, v225
	v_fmac_f32_e32 v91, v83, v224
	v_add_f32_e32 v90, v90, v91
	s_waitcnt vmcnt(28)
	v_mul_f32_e32 v91, v84, v227
	v_fmac_f32_e32 v91, v85, v226
	v_add_f32_e32 v90, v90, v91
	s_waitcnt vmcnt(26) lgkmcnt(0)
	v_mul_f32_e32 v91, v86, v229
	v_fmac_f32_e32 v91, v87, v228
	v_add_f32_e32 v94, v90, v91
	ds_read2_b64 v[90:93], v42 offset0:87 offset1:88
	s_waitcnt vmcnt(24)
	v_mul_f32_e32 v95, v88, v231
	v_fmac_f32_e32 v95, v89, v230
	v_add_f32_e32 v98, v94, v95
	ds_read2_b64 v[94:97], v42 offset0:89 offset1:90
	;; [unrolled: 18-line block ×3, first 2 shown]
	s_waitcnt vmcnt(14) lgkmcnt(1)
	v_mul_f32_e32 v107, v98, v241
	v_fmac_f32_e32 v107, v99, v240
	v_add_f32_e32 v106, v106, v107
	s_waitcnt vmcnt(12)
	v_mul_f32_e32 v107, v100, v243
	v_fmac_f32_e32 v107, v101, v242
	v_add_f32_e32 v106, v106, v107
	s_waitcnt vmcnt(10) lgkmcnt(0)
	v_mul_f32_e32 v107, v102, v245
	v_fmac_f32_e32 v107, v103, v244
	s_waitcnt vmcnt(8)
	v_mul_f32_e32 v192, v104, v247
	v_add_f32_e32 v111, v106, v107
	v_fmac_f32_e32 v192, v105, v246
	ds_read2_b64 v[106:109], v42 offset0:95 offset1:96
	v_add_f32_e32 v111, v111, v192
	ds_read2_b64 v[192:195], v42 offset0:97 offset1:98
	buffer_load_dword v199, off, s[0:3], 0 offset:380
	buffer_load_dword v198, off, s[0:3], 0 offset:376
	;; [unrolled: 1-line block ×6, first 2 shown]
	v_add_f32_e32 v16, v16, v17
	v_fma_f32 v8, v8, v57, -v9
	v_mul_f32_e32 v9, v11, v50
	v_add_f32_e32 v8, v16, v8
	v_fma_f32 v9, v10, v61, -v9
	buffer_load_dword v207, off, s[0:3], 0 offset:412
	buffer_load_dword v206, off, s[0:3], 0 offset:408
	buffer_load_dword v209, off, s[0:3], 0 offset:404
	buffer_load_dword v208, off, s[0:3], 0 offset:400
	buffer_load_dword v211, off, s[0:3], 0 offset:396
	buffer_load_dword v210, off, s[0:3], 0 offset:392
	buffer_load_dword v213, off, s[0:3], 0 offset:388
	buffer_load_dword v212, off, s[0:3], 0 offset:384
	buffer_load_dword v215, off, s[0:3], 0 offset:420
	buffer_load_dword v214, off, s[0:3], 0 offset:416
	v_add_f32_e32 v8, v8, v9
	v_mul_f32_e32 v9, v13, v51
	v_fma_f32 v9, v12, v58, -v9
	v_add_f32_e32 v8, v8, v9
	v_mul_f32_e32 v9, v15, v52
	v_fma_f32 v9, v14, v56, -v9
	v_mul_f32_e32 v5, v5, v53
	v_add_f32_e32 v8, v8, v9
	v_fma_f32 v4, v4, v55, -v5
	v_mul_f32_e32 v5, v7, v54
	v_add_f32_e32 v4, v8, v4
	;; [unrolled: 3-line block ×4, first 2 shown]
	v_fma_f32 v1, v2, v112, -v1
	v_add_f32_e32 v0, v0, v1
	v_mul_f32_e32 v1, v29, v117
	v_fma_f32 v1, v28, v65, -v1
	v_add_f32_e32 v0, v0, v1
	v_mul_f32_e32 v1, v31, v119
	;; [unrolled: 3-line block ×26, first 2 shown]
	v_fma_f32 v1, v104, v246, -v1
	v_add_f32_e32 v0, v0, v1
	s_waitcnt vmcnt(22) lgkmcnt(1)
	v_mul_f32_e32 v1, v107, v249
	v_fma_f32 v1, v106, v248, -v1
	v_add_f32_e32 v0, v0, v1
	s_waitcnt vmcnt(20)
	v_mul_f32_e32 v1, v109, v251
	v_mul_f32_e32 v197, v106, v249
	v_fma_f32 v1, v108, v250, -v1
	v_fmac_f32_e32 v197, v107, v248
	v_add_f32_e32 v110, v0, v1
	s_waitcnt vmcnt(18) lgkmcnt(0)
	v_mul_f32_e32 v0, v193, v253
	v_add_f32_e32 v111, v111, v197
	v_mul_f32_e32 v197, v108, v251
	v_fma_f32 v196, v192, v252, -v0
	s_waitcnt vmcnt(16)
	v_mul_f32_e32 v0, v195, v255
	v_fmac_f32_e32 v197, v109, v250
	v_fma_f32 v204, v194, v254, -v0
	ds_read2_b64 v[0:3], v42 offset0:99 offset1:100
	ds_read2_b64 v[4:7], v42 offset0:101 offset1:102
	ds_read2_b64 v[8:11], v42 offset0:103 offset1:104
	ds_read2_b64 v[12:15], v42 offset0:105 offset1:106
	v_add_f32_e32 v111, v111, v197
	v_mul_f32_e32 v197, v192, v253
	s_waitcnt vmcnt(11)
	v_mov_b32_e32 v18, v203
	v_fmac_f32_e32 v197, v193, v252
	v_mul_f32_e32 v205, v194, v255
	s_waitcnt lgkmcnt(3)
	v_pk_mul_f32 v[18:19], v[0:1], v[18:19] op_sel_hi:[1,0]
	v_fmac_f32_e32 v205, v195, v254
	v_pk_add_f32 v[16:17], v[110:111], v[196:197]
	s_waitcnt vmcnt(10)
	v_pk_fma_f32 v[20:21], v[0:1], v[202:203], v[18:19] op_sel:[0,0,1] op_sel_hi:[1,1,0] neg_lo:[0,0,1] neg_hi:[0,0,1]
	v_pk_fma_f32 v[0:1], v[0:1], v[202:203], v[18:19] op_sel:[0,0,1] op_sel_hi:[1,0,0]
	v_pk_add_f32 v[16:17], v[16:17], v[204:205]
	v_mov_b32_e32 v21, v1
	v_pk_add_f32 v[0:1], v[16:17], v[20:21]
	v_mov_b32_e32 v16, v201
	v_pk_mul_f32 v[16:17], v[2:3], v[16:17] op_sel_hi:[1,0]
	v_pk_fma_f32 v[18:19], v[2:3], v[200:201], v[16:17] op_sel:[0,0,1] op_sel_hi:[1,1,0] neg_lo:[0,0,1] neg_hi:[0,0,1]
	v_pk_fma_f32 v[2:3], v[2:3], v[200:201], v[16:17] op_sel:[0,0,1] op_sel_hi:[1,0,0]
	v_mov_b32_e32 v2, v199
	v_mov_b32_e32 v19, v3
	s_waitcnt lgkmcnt(2)
	v_pk_mul_f32 v[2:3], v[4:5], v[2:3] op_sel_hi:[1,0]
	v_pk_fma_f32 v[16:17], v[4:5], v[198:199], v[2:3] op_sel:[0,0,1] op_sel_hi:[1,1,0] neg_lo:[0,0,1] neg_hi:[0,0,1]
	v_pk_fma_f32 v[2:3], v[4:5], v[198:199], v[2:3] op_sel:[0,0,1] op_sel_hi:[1,0,0]
	s_waitcnt vmcnt(3)
	v_mov_b32_e32 v2, v213
	v_mov_b32_e32 v17, v3
	v_pk_mul_f32 v[2:3], v[6:7], v[2:3] op_sel_hi:[1,0]
	s_waitcnt vmcnt(2)
	v_pk_fma_f32 v[4:5], v[6:7], v[212:213], v[2:3] op_sel:[0,0,1] op_sel_hi:[1,1,0] neg_lo:[0,0,1] neg_hi:[0,0,1]
	v_pk_fma_f32 v[2:3], v[6:7], v[212:213], v[2:3] op_sel:[0,0,1] op_sel_hi:[1,0,0]
	v_pk_add_f32 v[0:1], v[0:1], v[18:19]
	v_mov_b32_e32 v2, v211
	v_pk_add_f32 v[0:1], v[0:1], v[16:17]
	v_mov_b32_e32 v5, v3
	s_waitcnt lgkmcnt(1)
	v_pk_mul_f32 v[2:3], v[8:9], v[2:3] op_sel_hi:[1,0]
	v_pk_add_f32 v[0:1], v[0:1], v[4:5]
	v_pk_fma_f32 v[4:5], v[8:9], v[210:211], v[2:3] op_sel:[0,0,1] op_sel_hi:[1,1,0] neg_lo:[0,0,1] neg_hi:[0,0,1]
	v_pk_fma_f32 v[2:3], v[8:9], v[210:211], v[2:3] op_sel:[0,0,1] op_sel_hi:[1,0,0]
	v_mov_b32_e32 v2, v209
	v_mov_b32_e32 v5, v3
	v_pk_mul_f32 v[2:3], v[10:11], v[2:3] op_sel_hi:[1,0]
	v_pk_add_f32 v[0:1], v[0:1], v[4:5]
	v_pk_fma_f32 v[4:5], v[10:11], v[208:209], v[2:3] op_sel:[0,0,1] op_sel_hi:[1,1,0] neg_lo:[0,0,1] neg_hi:[0,0,1]
	v_pk_fma_f32 v[2:3], v[10:11], v[208:209], v[2:3] op_sel:[0,0,1] op_sel_hi:[1,0,0]
	v_mov_b32_e32 v2, v207
	v_mov_b32_e32 v5, v3
	s_waitcnt lgkmcnt(0)
	v_pk_mul_f32 v[2:3], v[12:13], v[2:3] op_sel_hi:[1,0]
	v_pk_add_f32 v[0:1], v[0:1], v[4:5]
	v_pk_fma_f32 v[4:5], v[12:13], v[206:207], v[2:3] op_sel:[0,0,1] op_sel_hi:[1,1,0] neg_lo:[0,0,1] neg_hi:[0,0,1]
	v_pk_fma_f32 v[2:3], v[12:13], v[206:207], v[2:3] op_sel:[0,0,1] op_sel_hi:[1,0,0]
	s_waitcnt vmcnt(1)
	v_mov_b32_e32 v2, v215
	v_mov_b32_e32 v5, v3
	v_pk_mul_f32 v[2:3], v[14:15], v[2:3] op_sel_hi:[1,0]
	v_pk_add_f32 v[0:1], v[0:1], v[4:5]
	s_waitcnt vmcnt(0)
	v_pk_fma_f32 v[4:5], v[14:15], v[214:215], v[2:3] op_sel:[0,0,1] op_sel_hi:[1,1,0] neg_lo:[0,0,1] neg_hi:[0,0,1]
	v_pk_fma_f32 v[2:3], v[14:15], v[214:215], v[2:3] op_sel:[0,0,1] op_sel_hi:[1,0,0]
	v_mov_b32_e32 v5, v3
	v_pk_add_f32 v[0:1], v[0:1], v[4:5]
	v_pk_add_f32 v[0:1], v[40:41], v[0:1] neg_lo:[0,1] neg_hi:[0,1]
	buffer_store_dword v1, off, s[0:3], 0 offset:4
	buffer_store_dword v0, off, s[0:3], 0
	s_cbranch_vccz .LBB52_437
; %bb.332:
	v_pk_mov_b32 v[0:1], s[10:11], s[10:11] op_sel:[0,1]
	flat_load_dword v0, v[0:1] offset:204
	s_waitcnt vmcnt(0) lgkmcnt(0)
	v_add_u32_e32 v0, -1, v0
	v_cmp_ne_u32_e32 vcc, 51, v0
	s_and_saveexec_b64 s[4:5], vcc
	s_cbranch_execz .LBB52_334
; %bb.333:
	v_mov_b32_e32 v1, 0
	v_lshl_add_u32 v0, v0, 3, v1
	buffer_load_dword v1, v0, s[0:3], 0 offen
	buffer_load_dword v2, v0, s[0:3], 0 offen offset:4
	buffer_load_dword v3, off, s[0:3], 0 offset:408
	buffer_load_dword v4, off, s[0:3], 0 offset:412
	s_waitcnt vmcnt(3)
	buffer_store_dword v1, off, s[0:3], 0 offset:408
	s_waitcnt vmcnt(3)
	buffer_store_dword v2, off, s[0:3], 0 offset:412
	s_waitcnt vmcnt(3)
	buffer_store_dword v3, v0, s[0:3], 0 offen
	s_waitcnt vmcnt(3)
	buffer_store_dword v4, v0, s[0:3], 0 offen offset:4
.LBB52_334:
	s_or_b64 exec, exec, s[4:5]
	v_pk_mov_b32 v[0:1], s[10:11], s[10:11] op_sel:[0,1]
	flat_load_dword v0, v[0:1] offset:200
	s_waitcnt vmcnt(0) lgkmcnt(0)
	v_add_u32_e32 v0, -1, v0
	v_cmp_ne_u32_e32 vcc, 50, v0
	s_and_saveexec_b64 s[4:5], vcc
	s_cbranch_execz .LBB52_336
; %bb.335:
	v_mov_b32_e32 v1, 0
	v_lshl_add_u32 v0, v0, 3, v1
	buffer_load_dword v1, v0, s[0:3], 0 offen
	buffer_load_dword v2, v0, s[0:3], 0 offen offset:4
	buffer_load_dword v3, off, s[0:3], 0 offset:404
	buffer_load_dword v4, off, s[0:3], 0 offset:400
	s_waitcnt vmcnt(3)
	buffer_store_dword v1, off, s[0:3], 0 offset:400
	s_waitcnt vmcnt(3)
	buffer_store_dword v2, off, s[0:3], 0 offset:404
	s_waitcnt vmcnt(3)
	buffer_store_dword v3, v0, s[0:3], 0 offen offset:4
	s_waitcnt vmcnt(3)
	buffer_store_dword v4, v0, s[0:3], 0 offen
.LBB52_336:
	s_or_b64 exec, exec, s[4:5]
	v_pk_mov_b32 v[0:1], s[10:11], s[10:11] op_sel:[0,1]
	flat_load_dword v0, v[0:1] offset:196
	s_waitcnt vmcnt(0) lgkmcnt(0)
	v_add_u32_e32 v0, -1, v0
	v_cmp_ne_u32_e32 vcc, 49, v0
	s_and_saveexec_b64 s[4:5], vcc
	s_cbranch_execz .LBB52_338
; %bb.337:
	v_mov_b32_e32 v1, 0
	v_lshl_add_u32 v0, v0, 3, v1
	buffer_load_dword v1, v0, s[0:3], 0 offen
	buffer_load_dword v2, v0, s[0:3], 0 offen offset:4
	buffer_load_dword v3, off, s[0:3], 0 offset:392
	buffer_load_dword v4, off, s[0:3], 0 offset:396
	s_waitcnt vmcnt(3)
	buffer_store_dword v1, off, s[0:3], 0 offset:392
	s_waitcnt vmcnt(3)
	buffer_store_dword v2, off, s[0:3], 0 offset:396
	s_waitcnt vmcnt(3)
	buffer_store_dword v3, v0, s[0:3], 0 offen
	s_waitcnt vmcnt(3)
	buffer_store_dword v4, v0, s[0:3], 0 offen offset:4
.LBB52_338:
	s_or_b64 exec, exec, s[4:5]
	v_pk_mov_b32 v[0:1], s[10:11], s[10:11] op_sel:[0,1]
	flat_load_dword v0, v[0:1] offset:192
	s_waitcnt vmcnt(0) lgkmcnt(0)
	v_add_u32_e32 v0, -1, v0
	v_cmp_ne_u32_e32 vcc, 48, v0
	s_and_saveexec_b64 s[4:5], vcc
	s_cbranch_execz .LBB52_340
; %bb.339:
	v_mov_b32_e32 v1, 0
	v_lshl_add_u32 v0, v0, 3, v1
	buffer_load_dword v1, v0, s[0:3], 0 offen
	buffer_load_dword v2, v0, s[0:3], 0 offen offset:4
	buffer_load_dword v3, off, s[0:3], 0 offset:388
	buffer_load_dword v4, off, s[0:3], 0 offset:384
	s_waitcnt vmcnt(3)
	buffer_store_dword v1, off, s[0:3], 0 offset:384
	s_waitcnt vmcnt(3)
	buffer_store_dword v2, off, s[0:3], 0 offset:388
	s_waitcnt vmcnt(3)
	buffer_store_dword v3, v0, s[0:3], 0 offen offset:4
	s_waitcnt vmcnt(3)
	buffer_store_dword v4, v0, s[0:3], 0 offen
.LBB52_340:
	s_or_b64 exec, exec, s[4:5]
	;; [unrolled: 48-line block ×25, first 2 shown]
	v_pk_mov_b32 v[0:1], s[10:11], s[10:11] op_sel:[0,1]
	flat_load_dword v0, v[0:1] offset:4
	s_waitcnt vmcnt(0) lgkmcnt(0)
	v_add_u32_e32 v0, -1, v0
	v_cmp_ne_u32_e32 vcc, 1, v0
	s_and_saveexec_b64 s[4:5], vcc
	s_cbranch_execz .LBB52_434
; %bb.433:
	v_mov_b32_e32 v1, 0
	v_lshl_add_u32 v0, v0, 3, v1
	buffer_load_dword v1, v0, s[0:3], 0 offen
	buffer_load_dword v2, v0, s[0:3], 0 offen offset:4
	buffer_load_dword v3, off, s[0:3], 0 offset:8
	buffer_load_dword v4, off, s[0:3], 0 offset:12
	s_waitcnt vmcnt(3)
	buffer_store_dword v1, off, s[0:3], 0 offset:8
	s_waitcnt vmcnt(3)
	buffer_store_dword v2, off, s[0:3], 0 offset:12
	s_waitcnt vmcnt(3)
	buffer_store_dword v3, v0, s[0:3], 0 offen
	s_waitcnt vmcnt(3)
	buffer_store_dword v4, v0, s[0:3], 0 offen offset:4
.LBB52_434:
	s_or_b64 exec, exec, s[4:5]
	v_pk_mov_b32 v[0:1], s[10:11], s[10:11] op_sel:[0,1]
	flat_load_dword v2, v[0:1]
	s_nop 0
	buffer_load_dword v0, off, s[0:3], 0
	buffer_load_dword v1, off, s[0:3], 0 offset:4
	s_waitcnt vmcnt(0) lgkmcnt(0)
	v_add_u32_e32 v2, -1, v2
	v_cmp_ne_u32_e32 vcc, 0, v2
	s_and_saveexec_b64 s[4:5], vcc
	s_cbranch_execz .LBB52_436
; %bb.435:
	v_mov_b32_e32 v3, 0
	v_lshl_add_u32 v2, v2, 3, v3
	buffer_load_dword v3, v2, s[0:3], 0 offen offset:4
	buffer_load_dword v4, v2, s[0:3], 0 offen
	s_waitcnt vmcnt(1)
	buffer_store_dword v3, off, s[0:3], 0 offset:4
	s_waitcnt vmcnt(1)
	buffer_store_dword v4, off, s[0:3], 0
	buffer_store_dword v1, v2, s[0:3], 0 offen offset:4
	buffer_store_dword v0, v2, s[0:3], 0 offen
	buffer_load_dword v0, off, s[0:3], 0
	s_nop 0
	buffer_load_dword v1, off, s[0:3], 0 offset:4
.LBB52_436:
	s_or_b64 exec, exec, s[4:5]
.LBB52_437:
	buffer_load_dword v2, off, s[0:3], 0 offset:8
	buffer_load_dword v3, off, s[0:3], 0 offset:12
	;; [unrolled: 1-line block ×104, first 2 shown]
	s_waitcnt vmcnt(62)
	global_store_dwordx2 v[180:181], v[0:1], off
	global_store_dwordx2 v[184:185], v[2:3], off
	v_accvgpr_read_b32 v0, a0
	v_accvgpr_read_b32 v1, a1
	global_store_dwordx2 v[0:1], v[4:5], off
	v_accvgpr_read_b32 v0, a2
	v_accvgpr_read_b32 v1, a3
	;; [unrolled: 3-line block ×21, first 2 shown]
	s_waitcnt vmcnt(62)
	global_store_dwordx2 v[0:1], v[44:45], off
	v_accvgpr_read_b32 v0, a42
	v_accvgpr_read_b32 v1, a43
	global_store_dwordx2 v[0:1], v[46:47], off
	v_accvgpr_read_b32 v0, a44
	v_accvgpr_read_b32 v1, a45
	;; [unrolled: 3-line block ×3, first 2 shown]
	global_store_dwordx2 v[0:1], v[50:51], off
	global_store_dwordx2 v[134:135], v[52:53], off
	global_store_dwordx2 v[136:137], v[54:55], off
	global_store_dwordx2 v[138:139], v[56:57], off
	global_store_dwordx2 v[140:141], v[58:59], off
	global_store_dwordx2 v[142:143], v[60:61], off
	global_store_dwordx2 v[144:145], v[62:63], off
	global_store_dwordx2 v[146:147], v[64:65], off
	s_waitcnt vmcnt(62)
	global_store_dwordx2 v[148:149], v[66:67], off
	global_store_dwordx2 v[150:151], v[68:69], off
	;; [unrolled: 1-line block ×5, first 2 shown]
	s_waitcnt vmcnt(62)
	global_store_dwordx2 v[158:159], v[76:77], off
	global_store_dwordx2 v[160:161], v[78:79], off
	;; [unrolled: 1-line block ×3, first 2 shown]
	s_waitcnt vmcnt(62)
	global_store_dwordx2 v[164:165], v[82:83], off
	s_waitcnt vmcnt(62)
	global_store_dwordx2 v[166:167], v[84:85], off
	;; [unrolled: 2-line block ×12, first 2 shown]
	s_endpgm
	.section	.rodata,"a",@progbits
	.p2align	6, 0x0
	.amdhsa_kernel _ZN9rocsolver6v33100L18getri_kernel_smallILi53E19rocblas_complex_numIfEPS3_EEvT1_iilPiilS6_bb
		.amdhsa_group_segment_fixed_size 856
		.amdhsa_private_segment_fixed_size 432
		.amdhsa_kernarg_size 60
		.amdhsa_user_sgpr_count 8
		.amdhsa_user_sgpr_private_segment_buffer 1
		.amdhsa_user_sgpr_dispatch_ptr 0
		.amdhsa_user_sgpr_queue_ptr 0
		.amdhsa_user_sgpr_kernarg_segment_ptr 1
		.amdhsa_user_sgpr_dispatch_id 0
		.amdhsa_user_sgpr_flat_scratch_init 1
		.amdhsa_user_sgpr_kernarg_preload_length 0
		.amdhsa_user_sgpr_kernarg_preload_offset 0
		.amdhsa_user_sgpr_private_segment_size 0
		.amdhsa_uses_dynamic_stack 0
		.amdhsa_system_sgpr_private_segment_wavefront_offset 1
		.amdhsa_system_sgpr_workgroup_id_x 1
		.amdhsa_system_sgpr_workgroup_id_y 0
		.amdhsa_system_sgpr_workgroup_id_z 0
		.amdhsa_system_sgpr_workgroup_info 0
		.amdhsa_system_vgpr_workitem_id 0
		.amdhsa_next_free_vgpr 305
		.amdhsa_next_free_sgpr 23
		.amdhsa_accum_offset 256
		.amdhsa_reserve_vcc 1
		.amdhsa_reserve_flat_scratch 1
		.amdhsa_float_round_mode_32 0
		.amdhsa_float_round_mode_16_64 0
		.amdhsa_float_denorm_mode_32 3
		.amdhsa_float_denorm_mode_16_64 3
		.amdhsa_dx10_clamp 1
		.amdhsa_ieee_mode 1
		.amdhsa_fp16_overflow 0
		.amdhsa_tg_split 0
		.amdhsa_exception_fp_ieee_invalid_op 0
		.amdhsa_exception_fp_denorm_src 0
		.amdhsa_exception_fp_ieee_div_zero 0
		.amdhsa_exception_fp_ieee_overflow 0
		.amdhsa_exception_fp_ieee_underflow 0
		.amdhsa_exception_fp_ieee_inexact 0
		.amdhsa_exception_int_div_zero 0
	.end_amdhsa_kernel
	.section	.text._ZN9rocsolver6v33100L18getri_kernel_smallILi53E19rocblas_complex_numIfEPS3_EEvT1_iilPiilS6_bb,"axG",@progbits,_ZN9rocsolver6v33100L18getri_kernel_smallILi53E19rocblas_complex_numIfEPS3_EEvT1_iilPiilS6_bb,comdat
.Lfunc_end52:
	.size	_ZN9rocsolver6v33100L18getri_kernel_smallILi53E19rocblas_complex_numIfEPS3_EEvT1_iilPiilS6_bb, .Lfunc_end52-_ZN9rocsolver6v33100L18getri_kernel_smallILi53E19rocblas_complex_numIfEPS3_EEvT1_iilPiilS6_bb
                                        ; -- End function
	.section	.AMDGPU.csdata,"",@progbits
; Kernel info:
; codeLenInByte = 109376
; NumSgprs: 29
; NumVgprs: 256
; NumAgprs: 49
; TotalNumVgprs: 305
; ScratchSize: 432
; MemoryBound: 0
; FloatMode: 240
; IeeeMode: 1
; LDSByteSize: 856 bytes/workgroup (compile time only)
; SGPRBlocks: 3
; VGPRBlocks: 38
; NumSGPRsForWavesPerEU: 29
; NumVGPRsForWavesPerEU: 305
; AccumOffset: 256
; Occupancy: 1
; WaveLimiterHint : 1
; COMPUTE_PGM_RSRC2:SCRATCH_EN: 1
; COMPUTE_PGM_RSRC2:USER_SGPR: 8
; COMPUTE_PGM_RSRC2:TRAP_HANDLER: 0
; COMPUTE_PGM_RSRC2:TGID_X_EN: 1
; COMPUTE_PGM_RSRC2:TGID_Y_EN: 0
; COMPUTE_PGM_RSRC2:TGID_Z_EN: 0
; COMPUTE_PGM_RSRC2:TIDIG_COMP_CNT: 0
; COMPUTE_PGM_RSRC3_GFX90A:ACCUM_OFFSET: 63
; COMPUTE_PGM_RSRC3_GFX90A:TG_SPLIT: 0
	.section	.text._ZN9rocsolver6v33100L18getri_kernel_smallILi54E19rocblas_complex_numIfEPS3_EEvT1_iilPiilS6_bb,"axG",@progbits,_ZN9rocsolver6v33100L18getri_kernel_smallILi54E19rocblas_complex_numIfEPS3_EEvT1_iilPiilS6_bb,comdat
	.globl	_ZN9rocsolver6v33100L18getri_kernel_smallILi54E19rocblas_complex_numIfEPS3_EEvT1_iilPiilS6_bb ; -- Begin function _ZN9rocsolver6v33100L18getri_kernel_smallILi54E19rocblas_complex_numIfEPS3_EEvT1_iilPiilS6_bb
	.p2align	8
	.type	_ZN9rocsolver6v33100L18getri_kernel_smallILi54E19rocblas_complex_numIfEPS3_EEvT1_iilPiilS6_bb,@function
_ZN9rocsolver6v33100L18getri_kernel_smallILi54E19rocblas_complex_numIfEPS3_EEvT1_iilPiilS6_bb: ; @_ZN9rocsolver6v33100L18getri_kernel_smallILi54E19rocblas_complex_numIfEPS3_EEvT1_iilPiilS6_bb
; %bb.0:
	s_add_u32 flat_scratch_lo, s6, s9
	s_addc_u32 flat_scratch_hi, s7, 0
	s_add_u32 s0, s0, s9
	s_addc_u32 s1, s1, 0
	v_cmp_gt_u32_e32 vcc, 54, v0
	s_and_saveexec_b64 s[6:7], vcc
	s_cbranch_execz .LBB53_230
; %bb.1:
	s_load_dword s22, s[4:5], 0x38
	s_load_dwordx4 s[16:19], s[4:5], 0x10
	s_load_dwordx4 s[12:15], s[4:5], 0x28
                                        ; implicit-def: $sgpr10_sgpr11
	s_waitcnt lgkmcnt(0)
	s_bitcmp1_b32 s22, 8
	s_cselect_b64 s[20:21], -1, 0
	s_ashr_i32 s9, s8, 31
	s_bfe_u32 s6, s22, 0x10008
	s_cmp_eq_u32 s6, 0
	s_cbranch_scc1 .LBB53_3
; %bb.2:
	s_load_dword s6, s[4:5], 0x20
	s_mul_i32 s7, s8, s13
	s_mul_hi_u32 s10, s8, s12
	s_mul_i32 s11, s9, s12
	s_add_i32 s10, s10, s7
	s_add_i32 s11, s10, s11
	s_mul_i32 s10, s8, s12
	s_waitcnt lgkmcnt(0)
	s_ashr_i32 s7, s6, 31
	s_lshl_b64 s[10:11], s[10:11], 2
	s_add_u32 s10, s18, s10
	s_addc_u32 s11, s19, s11
	s_lshl_b64 s[6:7], s[6:7], 2
	s_add_u32 s10, s10, s6
	s_addc_u32 s11, s11, s7
.LBB53_3:
	s_load_dwordx4 s[4:7], s[4:5], 0x0
	s_mul_i32 s12, s8, s17
	s_mul_hi_u32 s13, s8, s16
	s_add_i32 s17, s13, s12
	v_lshlrev_b32_e32 v6, 3, v0
	s_waitcnt lgkmcnt(0)
	s_ashr_i32 s13, s6, 31
	s_mov_b32 s12, s6
	s_mul_i32 s6, s9, s16
	s_add_i32 s17, s17, s6
	s_mul_i32 s16, s8, s16
	s_lshl_b64 s[16:17], s[16:17], 3
	s_add_u32 s6, s4, s16
	s_addc_u32 s16, s5, s17
	s_lshl_b64 s[4:5], s[12:13], 3
	s_add_u32 s4, s6, s4
	s_addc_u32 s5, s16, s5
	s_add_i32 s6, s7, s7
	v_add_u32_e32 v2, s6, v0
	v_ashrrev_i32_e32 v3, 31, v2
	v_lshlrev_b64 v[4:5], 3, v[2:3]
	v_add_u32_e32 v2, s7, v2
	v_mov_b32_e32 v1, s5
	v_add_co_u32_e32 v10, vcc, s4, v4
	v_ashrrev_i32_e32 v3, 31, v2
	v_addc_co_u32_e32 v11, vcc, v1, v5, vcc
	v_lshlrev_b64 v[4:5], 3, v[2:3]
	v_add_u32_e32 v2, s7, v2
	v_add_co_u32_e32 v14, vcc, s4, v4
	v_ashrrev_i32_e32 v3, 31, v2
	v_addc_co_u32_e32 v15, vcc, v1, v5, vcc
	v_lshlrev_b64 v[4:5], 3, v[2:3]
	v_add_u32_e32 v2, s7, v2
	;; [unrolled: 5-line block ×44, first 2 shown]
	v_add_co_u32_e32 v180, vcc, s4, v4
	v_ashrrev_i32_e32 v3, 31, v2
	v_addc_co_u32_e32 v181, vcc, v1, v5, vcc
	v_lshlrev_b64 v[4:5], 3, v[2:3]
	v_add_co_u32_e32 v182, vcc, s4, v4
	v_addc_co_u32_e32 v183, vcc, v1, v5, vcc
	v_add_co_u32_e32 v190, vcc, s4, v6
	s_ashr_i32 s13, s7, 31
	s_mov_b32 s12, s7
	v_accvgpr_write_b32 a0, v10
	global_load_dwordx2 v[4:5], v6, s[4:5]
	v_addc_co_u32_e32 v191, vcc, 0, v1, vcc
	s_lshl_b64 s[12:13], s[12:13], 3
	v_add_u32_e32 v2, s7, v2
	v_accvgpr_write_b32 a1, v11
	global_load_dwordx2 v[10:11], v[10:11], off
	v_mov_b32_e32 v1, s13
	v_add_co_u32_e32 v192, vcc, s12, v190
	v_ashrrev_i32_e32 v3, 31, v2
	v_addc_co_u32_e32 v193, vcc, v191, v1, vcc
	v_lshlrev_b64 v[12:13], 3, v[2:3]
	v_mov_b32_e32 v1, s5
	v_accvgpr_write_b32 a2, v14
	v_add_co_u32_e32 v184, vcc, s4, v12
	global_load_dwordx2 v[8:9], v[192:193], off
	v_accvgpr_write_b32 a3, v15
	global_load_dwordx2 v[14:15], v[14:15], off
	v_addc_co_u32_e32 v185, vcc, v1, v13, vcc
	global_load_dwordx2 v[12:13], v[16:17], off
	v_accvgpr_write_b32 a6, v18
	v_accvgpr_write_b32 a7, v19
	global_load_dwordx2 v[18:19], v[18:19], off
	v_accvgpr_write_b32 a8, v20
	v_add_u32_e32 v2, s7, v2
	v_accvgpr_write_b32 a9, v21
	global_load_dwordx2 v[20:21], v[20:21], off
	v_accvgpr_write_b32 a4, v16
	v_ashrrev_i32_e32 v3, 31, v2
	v_accvgpr_write_b32 a5, v17
	v_lshlrev_b64 v[16:17], 3, v[2:3]
	v_add_co_u32_e32 v186, vcc, s4, v16
	v_addc_co_u32_e32 v187, vcc, v1, v17, vcc
	global_load_dwordx2 v[16:17], v[22:23], off
	v_accvgpr_write_b32 a12, v24
	v_add_u32_e32 v2, s7, v2
	v_accvgpr_write_b32 a13, v25
	global_load_dwordx2 v[24:25], v[24:25], off
	v_ashrrev_i32_e32 v3, 31, v2
	v_accvgpr_write_b32 a10, v22
	v_accvgpr_write_b32 a11, v23
	v_lshlrev_b64 v[22:23], 3, v[2:3]
	v_add_co_u32_e32 v188, vcc, s4, v22
	v_addc_co_u32_e32 v189, vcc, v1, v23, vcc
	global_load_dwordx2 v[22:23], v[26:27], off
	v_accvgpr_write_b32 a14, v26
	v_add_u32_e32 v2, s7, v2
	v_accvgpr_write_b32 a18, v30
	v_accvgpr_write_b32 a26, v38
	;; [unrolled: 1-line block ×3, first 2 shown]
	v_ashrrev_i32_e32 v3, 31, v2
	v_accvgpr_write_b32 a16, v28
	v_accvgpr_write_b32 a19, v31
	global_load_dwordx2 v[30:31], v[30:31], off
	v_accvgpr_write_b32 a24, v36
	v_accvgpr_write_b32 a27, v39
	global_load_dwordx2 v[38:39], v[38:39], off
	v_accvgpr_write_b32 a17, v29
	global_load_dwordx2 v[26:27], v[28:29], off
	;; [unrolled: 2-line block ×3, first 2 shown]
	v_lshlrev_b64 v[28:29], 3, v[2:3]
	v_add_u32_e32 v2, s7, v2
	v_add_co_u32_e32 v194, vcc, s4, v28
	v_accvgpr_write_b32 a20, v32
	v_ashrrev_i32_e32 v3, 31, v2
	v_accvgpr_write_b32 a22, v34
	v_accvgpr_write_b32 a28, v40
	;; [unrolled: 1-line block ×3, first 2 shown]
	v_addc_co_u32_e32 v195, vcc, v1, v29, vcc
	v_accvgpr_write_b32 a21, v33
	global_load_dwordx2 v[28:29], v[32:33], off
	v_accvgpr_write_b32 a23, v35
	v_accvgpr_write_b32 a29, v41
	global_load_dwordx2 v[40:41], v[40:41], off
	v_accvgpr_write_b32 a31, v43
	global_load_dwordx2 v[32:33], v[34:35], off
	;; [unrolled: 2-line block ×3, first 2 shown]
	v_lshlrev_b64 v[34:35], 3, v[2:3]
	v_add_u32_e32 v2, s7, v2
	v_add_co_u32_e32 v196, vcc, s4, v34
	v_ashrrev_i32_e32 v3, 31, v2
	v_addc_co_u32_e32 v197, vcc, v1, v35, vcc
	v_lshlrev_b64 v[2:3], 3, v[2:3]
	v_accvgpr_write_b32 a34, v46
	v_accvgpr_write_b32 a36, v48
	;; [unrolled: 1-line block ×7, first 2 shown]
	v_add_co_u32_e32 v198, vcc, s4, v2
	v_accvgpr_write_b32 a33, v45
	global_load_dwordx2 v[34:35], v[44:45], off
	v_accvgpr_write_b32 a35, v47
	global_load_dwordx2 v[44:45], v[46:47], off
	;; [unrolled: 2-line block ×8, first 2 shown]
	v_addc_co_u32_e32 v199, vcc, v1, v3, vcc
	global_load_dwordx2 v[2:3], v[60:61], off
	global_load_dwordx2 v[58:59], v[198:199], off
	v_accvgpr_write_b32 a48, v60
	v_accvgpr_write_b32 a49, v61
	global_load_dwordx2 v[60:61], v[62:63], off
	v_accvgpr_write_b32 a50, v62
	v_accvgpr_write_b32 a51, v63
	s_waitcnt vmcnt(28)
	buffer_store_dword v5, off, s[0:3], 0 offset:4
	buffer_store_dword v4, off, s[0:3], 0
	global_load_dwordx2 v[4:5], v[66:67], off
	v_accvgpr_write_b32 a52, v64
	s_waitcnt vmcnt(30)
	buffer_store_dword v11, off, s[0:3], 0 offset:20
	buffer_store_dword v10, off, s[0:3], 0 offset:16
	global_load_dwordx2 v[10:11], v[154:155], off
	v_accvgpr_write_b32 a53, v65
	global_load_dwordx2 v[70:71], v[160:161], off
	global_load_dwordx2 v[62:63], v[64:65], off
	global_load_dwordx2 v[68:69], v[156:157], off
	v_accvgpr_write_b32 a54, v66
	s_waitcnt vmcnt(35)
	buffer_store_dword v9, off, s[0:3], 0 offset:12
	buffer_store_dword v8, off, s[0:3], 0 offset:8
	global_load_dwordx2 v[8:9], v[150:151], off
	v_accvgpr_write_b32 a55, v67
	s_waitcnt vmcnt(36)
	buffer_store_dword v13, off, s[0:3], 0 offset:36
	buffer_store_dword v12, off, s[0:3], 0 offset:32
	global_load_dwordx2 v[12:13], v[162:163], off
	s_bitcmp0_b32 s22, 0
	global_load_dwordx2 v[64:65], v[148:149], off
	global_load_dwordx2 v[66:67], v[152:153], off
	;; [unrolled: 1-line block ×10, first 2 shown]
	s_mov_b64 s[6:7], -1
	buffer_store_dword v15, off, s[0:3], 0 offset:28
	buffer_store_dword v14, off, s[0:3], 0 offset:24
	global_load_dwordx2 v[14:15], v[158:159], off
	s_waitcnt vmcnt(51)
	buffer_store_dword v19, off, s[0:3], 0 offset:44
	buffer_store_dword v18, off, s[0:3], 0 offset:40
	global_load_dwordx2 v[18:19], v[166:167], off
	s_waitcnt vmcnt(53)
	;; [unrolled: 4-line block ×6, first 2 shown]
	buffer_store_dword v26, off, s[0:3], 0 offset:80
	buffer_store_dword v27, off, s[0:3], 0 offset:84
	global_load_dwordx2 v[26:27], v[186:187], off
	s_nop 0
	buffer_store_dword v30, off, s[0:3], 0 offset:88
	buffer_store_dword v31, off, s[0:3], 0 offset:92
	global_load_dwordx2 v[30:31], v[194:195], off
	s_waitcnt vmcnt(62)
	buffer_store_dword v28, off, s[0:3], 0 offset:96
	buffer_store_dword v29, off, s[0:3], 0 offset:100
	s_waitcnt vmcnt(62)
	buffer_store_dword v32, off, s[0:3], 0 offset:104
	buffer_store_dword v33, off, s[0:3], 0 offset:108
	;; [unrolled: 1-line block ×10, first 2 shown]
	s_waitcnt vmcnt(62)
	buffer_store_dword v34, off, s[0:3], 0 offset:144
	buffer_store_dword v35, off, s[0:3], 0 offset:148
	;; [unrolled: 1-line block ×18, first 2 shown]
	s_waitcnt vmcnt(62)
	buffer_store_dword v60, off, s[0:3], 0 offset:216
	buffer_store_dword v61, off, s[0:3], 0 offset:220
	;; [unrolled: 1-line block ×16, first 2 shown]
	s_waitcnt vmcnt(62)
	buffer_store_dword v14, off, s[0:3], 0 offset:280
	buffer_store_dword v15, off, s[0:3], 0 offset:284
	;; [unrolled: 1-line block ×12, first 2 shown]
	s_waitcnt vmcnt(62)
	buffer_store_dword v20, off, s[0:3], 0 offset:328
	buffer_store_dword v21, off, s[0:3], 0 offset:332
	;; [unrolled: 1-line block ×16, first 2 shown]
	s_waitcnt vmcnt(62)
	buffer_store_dword v27, off, s[0:3], 0 offset:396
	buffer_store_dword v26, off, s[0:3], 0 offset:392
	;; [unrolled: 1-line block ×10, first 2 shown]
	s_cbranch_scc1 .LBB53_228
; %bb.4:
	v_cmp_eq_u32_e64 s[4:5], 0, v0
	s_and_saveexec_b64 s[6:7], s[4:5]
	s_cbranch_execz .LBB53_6
; %bb.5:
	v_mov_b32_e32 v1, 0
	ds_write_b32 v1, v1 offset:864
.LBB53_6:
	s_or_b64 exec, exec, s[6:7]
	v_mov_b32_e32 v1, 0
	v_lshl_add_u32 v7, v0, 3, v1
	s_waitcnt lgkmcnt(0)
	; wave barrier
	s_waitcnt lgkmcnt(0)
	buffer_load_dword v1, v7, s[0:3], 0 offen
	buffer_load_dword v2, v7, s[0:3], 0 offen offset:4
	s_waitcnt vmcnt(1)
	v_cmp_eq_f32_e32 vcc, 0, v1
	s_waitcnt vmcnt(0)
	v_cmp_eq_f32_e64 s[6:7], 0, v2
	s_and_b64 s[6:7], vcc, s[6:7]
	s_and_saveexec_b64 s[12:13], s[6:7]
	s_cbranch_execz .LBB53_10
; %bb.7:
	v_mov_b32_e32 v1, 0
	ds_read_b32 v3, v1 offset:864
	v_add_u32_e32 v2, 1, v0
	s_waitcnt lgkmcnt(0)
	v_readfirstlane_b32 s6, v3
	s_cmp_eq_u32 s6, 0
	s_cselect_b64 s[16:17], -1, 0
	v_cmp_gt_i32_e32 vcc, s6, v2
	s_or_b64 s[16:17], s[16:17], vcc
	s_and_b64 exec, exec, s[16:17]
	s_cbranch_execz .LBB53_10
; %bb.8:
	s_mov_b64 s[16:17], 0
	v_mov_b32_e32 v3, s6
.LBB53_9:                               ; =>This Inner Loop Header: Depth=1
	ds_cmpst_rtn_b32 v3, v1, v3, v2 offset:864
	s_waitcnt lgkmcnt(0)
	v_cmp_ne_u32_e32 vcc, 0, v3
	v_cmp_le_i32_e64 s[6:7], v3, v2
	s_and_b64 s[6:7], vcc, s[6:7]
	s_and_b64 s[6:7], exec, s[6:7]
	s_or_b64 s[16:17], s[6:7], s[16:17]
	s_andn2_b64 exec, exec, s[16:17]
	s_cbranch_execnz .LBB53_9
.LBB53_10:
	s_or_b64 exec, exec, s[12:13]
	v_mov_b32_e32 v2, 0
	s_waitcnt lgkmcnt(0)
	; wave barrier
	ds_read_b32 v1, v2 offset:864
	s_and_saveexec_b64 s[6:7], s[4:5]
	s_cbranch_execz .LBB53_12
; %bb.11:
	s_lshl_b64 s[12:13], s[8:9], 2
	s_add_u32 s12, s14, s12
	s_addc_u32 s13, s15, s13
	s_waitcnt lgkmcnt(0)
	global_store_dword v2, v1, s[12:13]
.LBB53_12:
	s_or_b64 exec, exec, s[6:7]
	s_waitcnt lgkmcnt(0)
	v_cmp_ne_u32_e32 vcc, 0, v1
	s_mov_b64 s[6:7], 0
	s_cbranch_vccnz .LBB53_228
; %bb.13:
	buffer_load_dword v8, v7, s[0:3], 0 offen offset:4
	buffer_load_dword v3, v7, s[0:3], 0 offen
	s_waitcnt vmcnt(1)
	v_cmp_gt_f32_e32 vcc, 0, v8
	v_cndmask_b32_e64 v1, v8, -v8, vcc
	s_waitcnt vmcnt(0)
	v_cmp_gt_f32_e32 vcc, 0, v3
	v_cndmask_b32_e64 v2, v3, -v3, vcc
	v_cmp_ngt_f32_e32 vcc, v2, v1
                                        ; implicit-def: $vgpr1
                                        ; implicit-def: $vgpr2
	s_and_saveexec_b64 s[6:7], vcc
	s_xor_b64 s[6:7], exec, s[6:7]
                                        ; implicit-def: $vgpr4_vgpr5
	s_cbranch_execz .LBB53_15
; %bb.14:
	v_div_scale_f32 v1, s[12:13], v8, v8, v3
	v_rcp_f32_e32 v2, v1
	v_div_scale_f32 v4, vcc, v3, v8, v3
	v_fma_f32 v5, -v1, v2, 1.0
	v_fmac_f32_e32 v2, v5, v2
	v_mul_f32_e32 v5, v4, v2
	v_fma_f32 v9, -v1, v5, v4
	v_fmac_f32_e32 v5, v9, v2
	v_fma_f32 v1, -v1, v5, v4
	v_div_fmas_f32 v1, v1, v2, v5
	v_div_fixup_f32 v2, v1, v8, v3
	v_fmac_f32_e32 v8, v3, v2
	v_div_scale_f32 v1, s[12:13], v8, v8, -1.0
	v_rcp_f32_e32 v3, v1
	v_fma_f32 v4, -v1, v3, 1.0
	v_fmac_f32_e32 v3, v4, v3
	v_div_scale_f32 v4, vcc, -1.0, v8, -1.0
	v_mul_f32_e32 v5, v4, v3
	v_fma_f32 v9, -v1, v5, v4
	v_fmac_f32_e32 v5, v9, v3
	v_fma_f32 v1, -v1, v5, v4
	v_div_fmas_f32 v1, v1, v3, v5
	v_div_fixup_f32 v1, v1, v8, -1.0
	v_mul_f32_e32 v2, v2, v1
	v_xor_b32_e32 v4, 0x80000000, v2
                                        ; implicit-def: $vgpr3
                                        ; implicit-def: $vgpr8
.LBB53_15:
	s_andn2_saveexec_b64 s[6:7], s[6:7]
	s_cbranch_execz .LBB53_17
; %bb.16:
	v_div_scale_f32 v1, s[12:13], v3, v3, v8
	v_rcp_f32_e32 v2, v1
	v_div_scale_f32 v4, vcc, v8, v3, v8
	v_fma_f32 v5, -v1, v2, 1.0
	v_fmac_f32_e32 v2, v5, v2
	v_mul_f32_e32 v5, v4, v2
	v_fma_f32 v9, -v1, v5, v4
	v_fmac_f32_e32 v5, v9, v2
	v_fma_f32 v1, -v1, v5, v4
	v_div_fmas_f32 v1, v1, v2, v5
	v_div_fixup_f32 v1, v1, v3, v8
	v_fmac_f32_e32 v3, v8, v1
	v_div_scale_f32 v2, s[12:13], v3, v3, 1.0
	v_rcp_f32_e32 v4, v2
	v_fma_f32 v5, -v2, v4, 1.0
	v_fmac_f32_e32 v4, v5, v4
	v_div_scale_f32 v5, vcc, 1.0, v3, 1.0
	v_mul_f32_e32 v8, v5, v4
	v_fma_f32 v9, -v2, v8, v5
	v_fmac_f32_e32 v8, v9, v4
	v_fma_f32 v2, -v2, v8, v5
	v_div_fmas_f32 v2, v2, v4, v8
	v_div_fixup_f32 v4, v2, v3, 1.0
	v_xor_b32_e32 v2, 0x80000000, v4
	v_mul_f32_e64 v1, v1, -v4
.LBB53_17:
	s_or_b64 exec, exec, s[6:7]
	buffer_store_dword v1, v7, s[0:3], 0 offen offset:4
	buffer_store_dword v4, v7, s[0:3], 0 offen
	buffer_load_dword v5, off, s[0:3], 0 offset:12
	s_nop 0
	buffer_load_dword v4, off, s[0:3], 0 offset:8
	v_xor_b32_e32 v3, 0x80000000, v1
	v_add_u32_e32 v1, 0x1b0, v6
	s_waitcnt vmcnt(0)
	ds_write2_b64 v6, v[2:3], v[4:5] offset1:54
	s_waitcnt lgkmcnt(0)
	; wave barrier
	s_waitcnt lgkmcnt(0)
	s_and_saveexec_b64 s[6:7], s[4:5]
	s_cbranch_execz .LBB53_19
; %bb.18:
	buffer_load_dword v8, v7, s[0:3], 0 offen offset:4
	buffer_load_dword v9, v7, s[0:3], 0 offen
	ds_read_b64 v[2:3], v1
	v_mov_b32_e32 v4, 0
	ds_read_b64 v[4:5], v4 offset:8
	s_waitcnt vmcnt(1) lgkmcnt(1)
	v_mul_f32_e32 v10, v3, v8
	v_mul_f32_e32 v8, v2, v8
	s_waitcnt vmcnt(0)
	v_fmac_f32_e32 v8, v3, v9
	v_fma_f32 v2, v2, v9, -v10
	v_add_f32_e32 v3, 0, v8
	v_add_f32_e32 v2, 0, v2
	s_waitcnt lgkmcnt(0)
	v_mul_f32_e32 v8, v3, v5
	v_mul_f32_e32 v5, v2, v5
	v_fma_f32 v2, v2, v4, -v8
	v_fmac_f32_e32 v5, v3, v4
	buffer_store_dword v2, off, s[0:3], 0 offset:8
	buffer_store_dword v5, off, s[0:3], 0 offset:12
.LBB53_19:
	s_or_b64 exec, exec, s[6:7]
	s_waitcnt lgkmcnt(0)
	; wave barrier
	buffer_load_dword v2, off, s[0:3], 0 offset:16
	buffer_load_dword v3, off, s[0:3], 0 offset:20
	v_cmp_gt_u32_e32 vcc, 2, v0
	s_waitcnt vmcnt(0)
	ds_write_b64 v1, v[2:3]
	s_waitcnt lgkmcnt(0)
	; wave barrier
	s_waitcnt lgkmcnt(0)
	s_and_saveexec_b64 s[6:7], vcc
	s_cbranch_execz .LBB53_23
; %bb.20:
	buffer_load_dword v4, v7, s[0:3], 0 offen offset:4
	buffer_load_dword v5, v7, s[0:3], 0 offen
	ds_read_b64 v[2:3], v1
	s_waitcnt vmcnt(1) lgkmcnt(0)
	v_mul_f32_e32 v7, v3, v4
	v_mul_f32_e32 v4, v2, v4
	s_waitcnt vmcnt(0)
	v_fma_f32 v2, v2, v5, -v7
	v_fmac_f32_e32 v4, v3, v5
	v_add_f32_e32 v3, 0, v2
	v_add_f32_e32 v2, 0, v4
	s_and_saveexec_b64 s[12:13], s[4:5]
	s_cbranch_execz .LBB53_22
; %bb.21:
	buffer_load_dword v7, off, s[0:3], 0 offset:12
	buffer_load_dword v8, off, s[0:3], 0 offset:8
	v_mov_b32_e32 v4, 0
	ds_read_b64 v[4:5], v4 offset:440
	s_waitcnt vmcnt(1) lgkmcnt(0)
	v_mul_f32_e32 v9, v4, v7
	v_mul_f32_e32 v7, v5, v7
	s_waitcnt vmcnt(0)
	v_fmac_f32_e32 v9, v5, v8
	v_fma_f32 v4, v4, v8, -v7
	v_add_f32_e32 v2, v2, v9
	v_add_f32_e32 v3, v3, v4
.LBB53_22:
	s_or_b64 exec, exec, s[12:13]
	v_mov_b32_e32 v4, 0
	ds_read_b64 v[4:5], v4 offset:16
	s_waitcnt lgkmcnt(0)
	v_mul_f32_e32 v7, v2, v5
	v_mul_f32_e32 v5, v3, v5
	v_fma_f32 v3, v3, v4, -v7
	v_fmac_f32_e32 v5, v2, v4
	buffer_store_dword v3, off, s[0:3], 0 offset:16
	buffer_store_dword v5, off, s[0:3], 0 offset:20
.LBB53_23:
	s_or_b64 exec, exec, s[6:7]
	s_waitcnt lgkmcnt(0)
	; wave barrier
	buffer_load_dword v2, off, s[0:3], 0 offset:24
	buffer_load_dword v3, off, s[0:3], 0 offset:28
	v_cmp_gt_u32_e32 vcc, 3, v0
	s_waitcnt vmcnt(0)
	ds_write_b64 v1, v[2:3]
	v_add_u32_e32 v2, -1, v0
	s_waitcnt lgkmcnt(0)
	; wave barrier
	s_waitcnt lgkmcnt(0)
	s_and_saveexec_b64 s[4:5], vcc
	s_cbranch_execz .LBB53_27
; %bb.24:
	v_add_u32_e32 v4, -1, v0
	v_add_u32_e32 v5, 0x1b0, v6
	v_add_u32_e32 v7, 0, v6
	s_mov_b64 s[6:7], 0
	v_mov_b32_e32 v3, 0
	v_mov_b32_e32 v8, 0
.LBB53_25:                              ; =>This Inner Loop Header: Depth=1
	buffer_load_dword v9, v7, s[0:3], 0 offen offset:4
	buffer_load_dword v12, v7, s[0:3], 0 offen
	ds_read_b64 v[10:11], v5
	v_add_u32_e32 v4, 1, v4
	v_cmp_lt_u32_e32 vcc, 1, v4
	v_add_u32_e32 v5, 8, v5
	v_add_u32_e32 v7, 8, v7
	s_or_b64 s[6:7], vcc, s[6:7]
	s_waitcnt vmcnt(1) lgkmcnt(0)
	v_mul_f32_e32 v13, v11, v9
	v_mul_f32_e32 v9, v10, v9
	s_waitcnt vmcnt(0)
	v_fma_f32 v10, v10, v12, -v13
	v_fmac_f32_e32 v9, v11, v12
	v_add_f32_e32 v8, v8, v10
	v_add_f32_e32 v3, v3, v9
	s_andn2_b64 exec, exec, s[6:7]
	s_cbranch_execnz .LBB53_25
; %bb.26:
	s_or_b64 exec, exec, s[6:7]
	v_mov_b32_e32 v4, 0
	ds_read_b64 v[4:5], v4 offset:24
	s_waitcnt lgkmcnt(0)
	v_mul_f32_e32 v7, v3, v5
	v_mul_f32_e32 v5, v8, v5
	v_fma_f32 v7, v8, v4, -v7
	v_fmac_f32_e32 v5, v3, v4
	buffer_store_dword v7, off, s[0:3], 0 offset:24
	buffer_store_dword v5, off, s[0:3], 0 offset:28
.LBB53_27:
	s_or_b64 exec, exec, s[4:5]
	s_waitcnt lgkmcnt(0)
	; wave barrier
	buffer_load_dword v4, off, s[0:3], 0 offset:32
	buffer_load_dword v5, off, s[0:3], 0 offset:36
	v_cmp_gt_u32_e32 vcc, 4, v0
	s_waitcnt vmcnt(0)
	ds_write_b64 v1, v[4:5]
	s_waitcnt lgkmcnt(0)
	; wave barrier
	s_waitcnt lgkmcnt(0)
	s_and_saveexec_b64 s[4:5], vcc
	s_cbranch_execz .LBB53_31
; %bb.28:
	v_add_u32_e32 v4, -1, v0
	v_add_u32_e32 v5, 0x1b0, v6
	v_add_u32_e32 v7, 0, v6
	s_mov_b64 s[6:7], 0
	v_mov_b32_e32 v3, 0
	v_mov_b32_e32 v8, 0
.LBB53_29:                              ; =>This Inner Loop Header: Depth=1
	buffer_load_dword v9, v7, s[0:3], 0 offen offset:4
	buffer_load_dword v12, v7, s[0:3], 0 offen
	ds_read_b64 v[10:11], v5
	v_add_u32_e32 v4, 1, v4
	v_cmp_lt_u32_e32 vcc, 2, v4
	v_add_u32_e32 v5, 8, v5
	v_add_u32_e32 v7, 8, v7
	s_or_b64 s[6:7], vcc, s[6:7]
	s_waitcnt vmcnt(1) lgkmcnt(0)
	v_mul_f32_e32 v13, v11, v9
	v_mul_f32_e32 v9, v10, v9
	s_waitcnt vmcnt(0)
	v_fma_f32 v10, v10, v12, -v13
	v_fmac_f32_e32 v9, v11, v12
	v_add_f32_e32 v8, v8, v10
	v_add_f32_e32 v3, v3, v9
	s_andn2_b64 exec, exec, s[6:7]
	s_cbranch_execnz .LBB53_29
; %bb.30:
	s_or_b64 exec, exec, s[6:7]
	v_mov_b32_e32 v4, 0
	ds_read_b64 v[4:5], v4 offset:32
	s_waitcnt lgkmcnt(0)
	v_mul_f32_e32 v7, v3, v5
	v_mul_f32_e32 v5, v8, v5
	v_fma_f32 v7, v8, v4, -v7
	v_fmac_f32_e32 v5, v3, v4
	buffer_store_dword v7, off, s[0:3], 0 offset:32
	buffer_store_dword v5, off, s[0:3], 0 offset:36
.LBB53_31:
	s_or_b64 exec, exec, s[4:5]
	s_waitcnt lgkmcnt(0)
	; wave barrier
	buffer_load_dword v4, off, s[0:3], 0 offset:40
	buffer_load_dword v5, off, s[0:3], 0 offset:44
	v_cmp_gt_u32_e32 vcc, 5, v0
	s_waitcnt vmcnt(0)
	ds_write_b64 v1, v[4:5]
	;; [unrolled: 51-line block ×19, first 2 shown]
	s_waitcnt lgkmcnt(0)
	; wave barrier
	s_waitcnt lgkmcnt(0)
	s_and_saveexec_b64 s[4:5], vcc
	s_cbranch_execz .LBB53_103
; %bb.100:
	v_add_u32_e32 v4, -1, v0
	v_add_u32_e32 v5, 0x1b0, v6
	v_add_u32_e32 v7, 0, v6
	s_mov_b64 s[6:7], 0
	v_mov_b32_e32 v3, 0
	v_mov_b32_e32 v8, 0
.LBB53_101:                             ; =>This Inner Loop Header: Depth=1
	buffer_load_dword v9, v7, s[0:3], 0 offen offset:4
	buffer_load_dword v12, v7, s[0:3], 0 offen
	ds_read_b64 v[10:11], v5
	v_add_u32_e32 v4, 1, v4
	v_cmp_lt_u32_e32 vcc, 20, v4
	v_add_u32_e32 v5, 8, v5
	v_add_u32_e32 v7, 8, v7
	s_or_b64 s[6:7], vcc, s[6:7]
	s_waitcnt vmcnt(1) lgkmcnt(0)
	v_mul_f32_e32 v13, v11, v9
	v_mul_f32_e32 v9, v10, v9
	s_waitcnt vmcnt(0)
	v_fma_f32 v10, v10, v12, -v13
	v_fmac_f32_e32 v9, v11, v12
	v_add_f32_e32 v8, v8, v10
	v_add_f32_e32 v3, v3, v9
	s_andn2_b64 exec, exec, s[6:7]
	s_cbranch_execnz .LBB53_101
; %bb.102:
	s_or_b64 exec, exec, s[6:7]
	v_mov_b32_e32 v4, 0
	ds_read_b64 v[4:5], v4 offset:176
	s_waitcnt lgkmcnt(0)
	v_mul_f32_e32 v7, v3, v5
	v_mul_f32_e32 v5, v8, v5
	v_fma_f32 v7, v8, v4, -v7
	v_fmac_f32_e32 v5, v3, v4
	buffer_store_dword v7, off, s[0:3], 0 offset:176
	buffer_store_dword v5, off, s[0:3], 0 offset:180
.LBB53_103:
	s_or_b64 exec, exec, s[4:5]
	s_waitcnt lgkmcnt(0)
	; wave barrier
	buffer_load_dword v4, off, s[0:3], 0 offset:184
	buffer_load_dword v5, off, s[0:3], 0 offset:188
	v_cmp_gt_u32_e32 vcc, 23, v0
	s_waitcnt vmcnt(0)
	ds_write_b64 v1, v[4:5]
	s_waitcnt lgkmcnt(0)
	; wave barrier
	s_waitcnt lgkmcnt(0)
	s_and_saveexec_b64 s[4:5], vcc
	s_cbranch_execz .LBB53_107
; %bb.104:
	v_add_u32_e32 v4, -1, v0
	v_add_u32_e32 v5, 0x1b0, v6
	v_add_u32_e32 v7, 0, v6
	s_mov_b64 s[6:7], 0
	v_mov_b32_e32 v3, 0
	v_mov_b32_e32 v8, 0
.LBB53_105:                             ; =>This Inner Loop Header: Depth=1
	buffer_load_dword v9, v7, s[0:3], 0 offen offset:4
	buffer_load_dword v12, v7, s[0:3], 0 offen
	ds_read_b64 v[10:11], v5
	v_add_u32_e32 v4, 1, v4
	v_cmp_lt_u32_e32 vcc, 21, v4
	v_add_u32_e32 v5, 8, v5
	v_add_u32_e32 v7, 8, v7
	s_or_b64 s[6:7], vcc, s[6:7]
	s_waitcnt vmcnt(1) lgkmcnt(0)
	v_mul_f32_e32 v13, v11, v9
	v_mul_f32_e32 v9, v10, v9
	s_waitcnt vmcnt(0)
	v_fma_f32 v10, v10, v12, -v13
	v_fmac_f32_e32 v9, v11, v12
	v_add_f32_e32 v8, v8, v10
	v_add_f32_e32 v3, v3, v9
	s_andn2_b64 exec, exec, s[6:7]
	s_cbranch_execnz .LBB53_105
; %bb.106:
	s_or_b64 exec, exec, s[6:7]
	v_mov_b32_e32 v4, 0
	ds_read_b64 v[4:5], v4 offset:184
	s_waitcnt lgkmcnt(0)
	v_mul_f32_e32 v7, v3, v5
	v_mul_f32_e32 v5, v8, v5
	v_fma_f32 v7, v8, v4, -v7
	v_fmac_f32_e32 v5, v3, v4
	buffer_store_dword v7, off, s[0:3], 0 offset:184
	buffer_store_dword v5, off, s[0:3], 0 offset:188
.LBB53_107:
	s_or_b64 exec, exec, s[4:5]
	s_waitcnt lgkmcnt(0)
	; wave barrier
	buffer_load_dword v4, off, s[0:3], 0 offset:192
	buffer_load_dword v5, off, s[0:3], 0 offset:196
	v_cmp_gt_u32_e32 vcc, 24, v0
	s_waitcnt vmcnt(0)
	ds_write_b64 v1, v[4:5]
	;; [unrolled: 51-line block ×30, first 2 shown]
	s_waitcnt lgkmcnt(0)
	; wave barrier
	s_waitcnt lgkmcnt(0)
	s_and_saveexec_b64 s[4:5], vcc
	s_cbranch_execz .LBB53_223
; %bb.220:
	v_add_u32_e32 v4, -1, v0
	v_add_u32_e32 v5, 0x1b0, v6
	v_add_u32_e32 v7, 0, v6
	s_mov_b64 s[6:7], 0
	v_mov_b32_e32 v3, 0
	v_mov_b32_e32 v8, 0
.LBB53_221:                             ; =>This Inner Loop Header: Depth=1
	buffer_load_dword v9, v7, s[0:3], 0 offen offset:4
	buffer_load_dword v12, v7, s[0:3], 0 offen
	ds_read_b64 v[10:11], v5
	v_add_u32_e32 v4, 1, v4
	v_cmp_lt_u32_e32 vcc, 50, v4
	v_add_u32_e32 v5, 8, v5
	v_add_u32_e32 v7, 8, v7
	s_or_b64 s[6:7], vcc, s[6:7]
	s_waitcnt vmcnt(1) lgkmcnt(0)
	v_mul_f32_e32 v13, v11, v9
	v_mul_f32_e32 v9, v10, v9
	s_waitcnt vmcnt(0)
	v_fma_f32 v10, v10, v12, -v13
	v_fmac_f32_e32 v9, v11, v12
	v_add_f32_e32 v8, v8, v10
	v_add_f32_e32 v3, v3, v9
	s_andn2_b64 exec, exec, s[6:7]
	s_cbranch_execnz .LBB53_221
; %bb.222:
	s_or_b64 exec, exec, s[6:7]
	v_mov_b32_e32 v4, 0
	ds_read_b64 v[4:5], v4 offset:416
	s_waitcnt lgkmcnt(0)
	v_mul_f32_e32 v7, v3, v5
	v_mul_f32_e32 v5, v8, v5
	v_fma_f32 v7, v8, v4, -v7
	v_fmac_f32_e32 v5, v3, v4
	buffer_store_dword v7, off, s[0:3], 0 offset:416
	buffer_store_dword v5, off, s[0:3], 0 offset:420
.LBB53_223:
	s_or_b64 exec, exec, s[4:5]
	s_waitcnt lgkmcnt(0)
	; wave barrier
	buffer_load_dword v4, off, s[0:3], 0 offset:424
	buffer_load_dword v5, off, s[0:3], 0 offset:428
	v_cmp_ne_u32_e32 vcc, 53, v0
	s_waitcnt vmcnt(0)
	ds_write_b64 v1, v[4:5]
	s_waitcnt lgkmcnt(0)
	; wave barrier
	s_waitcnt lgkmcnt(0)
	s_and_saveexec_b64 s[4:5], vcc
	s_cbranch_execz .LBB53_227
; %bb.224:
	v_add_u32_e32 v3, 0x1b0, v6
	v_add_u32_e32 v4, 0, v6
	s_mov_b64 s[6:7], 0
	v_mov_b32_e32 v1, 0
	v_mov_b32_e32 v5, 0
.LBB53_225:                             ; =>This Inner Loop Header: Depth=1
	buffer_load_dword v8, v4, s[0:3], 0 offen offset:4
	buffer_load_dword v9, v4, s[0:3], 0 offen
	ds_read_b64 v[6:7], v3
	v_add_u32_e32 v2, 1, v2
	v_cmp_lt_u32_e32 vcc, 51, v2
	v_add_u32_e32 v3, 8, v3
	v_add_u32_e32 v4, 8, v4
	s_or_b64 s[6:7], vcc, s[6:7]
	s_waitcnt vmcnt(1) lgkmcnt(0)
	v_mul_f32_e32 v10, v7, v8
	v_mul_f32_e32 v8, v6, v8
	s_waitcnt vmcnt(0)
	v_fma_f32 v6, v6, v9, -v10
	v_fmac_f32_e32 v8, v7, v9
	v_add_f32_e32 v5, v5, v6
	v_add_f32_e32 v1, v1, v8
	s_andn2_b64 exec, exec, s[6:7]
	s_cbranch_execnz .LBB53_225
; %bb.226:
	s_or_b64 exec, exec, s[6:7]
	v_mov_b32_e32 v2, 0
	ds_read_b64 v[2:3], v2 offset:424
	s_waitcnt lgkmcnt(0)
	v_mul_f32_e32 v4, v1, v3
	v_mul_f32_e32 v3, v5, v3
	v_fma_f32 v4, v5, v2, -v4
	v_fmac_f32_e32 v3, v1, v2
	buffer_store_dword v4, off, s[0:3], 0 offset:424
	buffer_store_dword v3, off, s[0:3], 0 offset:428
.LBB53_227:
	s_or_b64 exec, exec, s[4:5]
	s_mov_b64 s[6:7], -1
	s_waitcnt lgkmcnt(0)
	; wave barrier
.LBB53_228:
	s_and_b64 vcc, exec, s[6:7]
	s_cbranch_vccz .LBB53_230
; %bb.229:
	s_lshl_b64 s[4:5], s[8:9], 2
	s_add_u32 s4, s14, s4
	s_addc_u32 s5, s15, s5
	v_mov_b32_e32 v1, 0
	global_load_dword v1, v1, s[4:5]
	s_waitcnt vmcnt(0)
	v_cmp_ne_u32_e32 vcc, 0, v1
	s_cbranch_vccz .LBB53_231
.LBB53_230:
	s_endpgm
.LBB53_231:
	v_mov_b32_e32 v1, 0x1b0
	v_lshl_add_u32 v143, v0, 3, v1
	v_cmp_eq_u32_e32 vcc, 53, v0
	s_and_saveexec_b64 s[4:5], vcc
	s_cbranch_execz .LBB53_233
; %bb.232:
	buffer_load_dword v2, off, s[0:3], 0 offset:416
	buffer_load_dword v3, off, s[0:3], 0 offset:420
	v_mov_b32_e32 v4, 0
	buffer_store_dword v4, off, s[0:3], 0 offset:416
	buffer_store_dword v4, off, s[0:3], 0 offset:420
	s_waitcnt vmcnt(2)
	ds_write_b64 v143, v[2:3]
.LBB53_233:
	s_or_b64 exec, exec, s[4:5]
	s_waitcnt lgkmcnt(0)
	; wave barrier
	s_waitcnt lgkmcnt(0)
	buffer_load_dword v5, off, s[0:3], 0 offset:428
	buffer_load_dword v4, off, s[0:3], 0 offset:424
	;; [unrolled: 1-line block ×4, first 2 shown]
	v_mov_b32_e32 v2, 0
	ds_read_b64 v[8:9], v2 offset:856
	v_cmp_lt_u32_e32 vcc, 51, v0
	s_waitcnt vmcnt(3)
	v_mov_b32_e32 v10, v5
	s_waitcnt lgkmcnt(0)
	v_pk_mul_f32 v[10:11], v[8:9], v[10:11] op_sel_hi:[1,0]
	s_waitcnt vmcnt(2)
	v_pk_fma_f32 v[12:13], v[8:9], v[4:5], v[10:11] op_sel:[0,0,1] op_sel_hi:[1,1,0] neg_lo:[0,0,1] neg_hi:[0,0,1]
	v_pk_fma_f32 v[4:5], v[8:9], v[4:5], v[10:11] op_sel:[0,0,1] op_sel_hi:[1,0,0]
	v_mov_b32_e32 v13, v5
	v_pk_add_f32 v[4:5], v[12:13], 0 op_sel_hi:[1,0]
	s_waitcnt vmcnt(0)
	v_pk_add_f32 v[4:5], v[6:7], v[4:5] neg_lo:[0,1] neg_hi:[0,1]
	buffer_store_dword v4, off, s[0:3], 0 offset:416
	buffer_store_dword v5, off, s[0:3], 0 offset:420
	s_and_saveexec_b64 s[4:5], vcc
	s_cbranch_execz .LBB53_235
; %bb.234:
	buffer_load_dword v4, off, s[0:3], 0 offset:408
	buffer_load_dword v5, off, s[0:3], 0 offset:412
	s_waitcnt vmcnt(0)
	ds_write_b64 v143, v[4:5]
	buffer_store_dword v2, off, s[0:3], 0 offset:408
	buffer_store_dword v2, off, s[0:3], 0 offset:412
.LBB53_235:
	s_or_b64 exec, exec, s[4:5]
	s_waitcnt lgkmcnt(0)
	; wave barrier
	s_waitcnt lgkmcnt(0)
	buffer_load_dword v7, off, s[0:3], 0 offset:420
	buffer_load_dword v9, off, s[0:3], 0 offset:428
	;; [unrolled: 1-line block ×6, first 2 shown]
	ds_read_b128 v[2:5], v2 offset:848
	v_cmp_lt_u32_e32 vcc, 50, v0
	s_waitcnt vmcnt(5)
	v_mov_b32_e32 v12, v7
	s_waitcnt vmcnt(4)
	v_mov_b32_e32 v14, v9
	s_waitcnt lgkmcnt(0)
	v_pk_mul_f32 v[12:13], v[2:3], v[12:13] op_sel_hi:[1,0]
	v_pk_mul_f32 v[14:15], v[4:5], v[14:15] op_sel_hi:[1,0]
	s_waitcnt vmcnt(3)
	v_pk_fma_f32 v[16:17], v[2:3], v[6:7], v[12:13] op_sel:[0,0,1] op_sel_hi:[1,1,0] neg_lo:[0,0,1] neg_hi:[0,0,1]
	v_pk_fma_f32 v[2:3], v[2:3], v[6:7], v[12:13] op_sel:[0,0,1] op_sel_hi:[1,0,0]
	s_waitcnt vmcnt(2)
	v_pk_fma_f32 v[6:7], v[4:5], v[8:9], v[14:15] op_sel:[0,0,1] op_sel_hi:[1,1,0] neg_lo:[0,0,1] neg_hi:[0,0,1]
	v_pk_fma_f32 v[4:5], v[4:5], v[8:9], v[14:15] op_sel:[0,0,1] op_sel_hi:[1,0,0]
	v_mov_b32_e32 v17, v3
	v_mov_b32_e32 v7, v5
	v_pk_add_f32 v[2:3], v[16:17], 0 op_sel_hi:[1,0]
	v_pk_add_f32 v[2:3], v[2:3], v[6:7]
	s_waitcnt vmcnt(0)
	v_pk_add_f32 v[2:3], v[10:11], v[2:3] neg_lo:[0,1] neg_hi:[0,1]
	buffer_store_dword v2, off, s[0:3], 0 offset:408
	buffer_store_dword v3, off, s[0:3], 0 offset:412
	s_and_saveexec_b64 s[4:5], vcc
	s_cbranch_execz .LBB53_237
; %bb.236:
	buffer_load_dword v2, off, s[0:3], 0 offset:400
	buffer_load_dword v3, off, s[0:3], 0 offset:404
	v_mov_b32_e32 v4, 0
	buffer_store_dword v4, off, s[0:3], 0 offset:400
	buffer_store_dword v4, off, s[0:3], 0 offset:404
	s_waitcnt vmcnt(2)
	ds_write_b64 v143, v[2:3]
.LBB53_237:
	s_or_b64 exec, exec, s[4:5]
	s_waitcnt lgkmcnt(0)
	; wave barrier
	s_waitcnt lgkmcnt(0)
	buffer_load_dword v9, off, s[0:3], 0 offset:412
	buffer_load_dword v11, off, s[0:3], 0 offset:420
	;; [unrolled: 1-line block ×8, first 2 shown]
	v_mov_b32_e32 v2, 0
	ds_read2_b64 v[4:7], v2 offset0:105 offset1:106
	ds_read_b64 v[16:17], v2 offset:856
	v_cmp_lt_u32_e32 vcc, 49, v0
	s_waitcnt vmcnt(7)
	v_mov_b32_e32 v18, v9
	s_waitcnt vmcnt(6)
	v_mov_b32_e32 v20, v11
	s_waitcnt lgkmcnt(1)
	v_pk_mul_f32 v[18:19], v[4:5], v[18:19] op_sel_hi:[1,0]
	s_waitcnt vmcnt(5)
	v_mov_b32_e32 v22, v13
	v_pk_mul_f32 v[20:21], v[6:7], v[20:21] op_sel_hi:[1,0]
	s_waitcnt vmcnt(4)
	v_pk_fma_f32 v[24:25], v[4:5], v[8:9], v[18:19] op_sel:[0,0,1] op_sel_hi:[1,1,0] neg_lo:[0,0,1] neg_hi:[0,0,1]
	v_pk_fma_f32 v[4:5], v[4:5], v[8:9], v[18:19] op_sel:[0,0,1] op_sel_hi:[1,0,0]
	s_waitcnt lgkmcnt(0)
	v_pk_mul_f32 v[22:23], v[16:17], v[22:23] op_sel_hi:[1,0]
	s_waitcnt vmcnt(3)
	v_pk_fma_f32 v[8:9], v[6:7], v[10:11], v[20:21] op_sel:[0,0,1] op_sel_hi:[1,1,0] neg_lo:[0,0,1] neg_hi:[0,0,1]
	v_pk_fma_f32 v[6:7], v[6:7], v[10:11], v[20:21] op_sel:[0,0,1] op_sel_hi:[1,0,0]
	v_mov_b32_e32 v25, v5
	s_waitcnt vmcnt(2)
	v_pk_fma_f32 v[10:11], v[16:17], v[12:13], v[22:23] op_sel:[0,0,1] op_sel_hi:[1,1,0] neg_lo:[0,0,1] neg_hi:[0,0,1]
	v_pk_fma_f32 v[12:13], v[16:17], v[12:13], v[22:23] op_sel:[0,0,1] op_sel_hi:[1,0,0]
	v_mov_b32_e32 v9, v7
	v_pk_add_f32 v[4:5], v[24:25], 0 op_sel_hi:[1,0]
	v_mov_b32_e32 v11, v13
	v_pk_add_f32 v[4:5], v[4:5], v[8:9]
	v_pk_add_f32 v[4:5], v[4:5], v[10:11]
	s_waitcnt vmcnt(0)
	v_pk_add_f32 v[4:5], v[14:15], v[4:5] neg_lo:[0,1] neg_hi:[0,1]
	buffer_store_dword v4, off, s[0:3], 0 offset:400
	buffer_store_dword v5, off, s[0:3], 0 offset:404
	s_and_saveexec_b64 s[4:5], vcc
	s_cbranch_execz .LBB53_239
; %bb.238:
	buffer_load_dword v4, off, s[0:3], 0 offset:392
	buffer_load_dword v5, off, s[0:3], 0 offset:396
	s_waitcnt vmcnt(0)
	ds_write_b64 v143, v[4:5]
	buffer_store_dword v2, off, s[0:3], 0 offset:392
	buffer_store_dword v2, off, s[0:3], 0 offset:396
.LBB53_239:
	s_or_b64 exec, exec, s[4:5]
	s_waitcnt lgkmcnt(0)
	; wave barrier
	s_waitcnt lgkmcnt(0)
	buffer_load_dword v13, off, s[0:3], 0 offset:404
	buffer_load_dword v15, off, s[0:3], 0 offset:412
	;; [unrolled: 1-line block ×10, first 2 shown]
	ds_read_b128 v[4:7], v2 offset:832
	ds_read_b128 v[8:11], v2 offset:848
	v_cmp_lt_u32_e32 vcc, 48, v0
	s_waitcnt vmcnt(9)
	v_mov_b32_e32 v2, v13
	s_waitcnt vmcnt(8)
	v_mov_b32_e32 v22, v15
	s_waitcnt lgkmcnt(1)
	v_pk_mul_f32 v[2:3], v[4:5], v[2:3] op_sel_hi:[1,0]
	s_waitcnt vmcnt(7)
	v_mov_b32_e32 v24, v17
	v_pk_mul_f32 v[22:23], v[6:7], v[22:23] op_sel_hi:[1,0]
	s_waitcnt vmcnt(5)
	v_pk_fma_f32 v[28:29], v[4:5], v[12:13], v[2:3] op_sel:[0,0,1] op_sel_hi:[1,1,0] neg_lo:[0,0,1] neg_hi:[0,0,1]
	v_pk_fma_f32 v[2:3], v[4:5], v[12:13], v[2:3] op_sel:[0,0,1] op_sel_hi:[1,0,0]
	v_mov_b32_e32 v26, v19
	s_waitcnt lgkmcnt(0)
	v_pk_mul_f32 v[24:25], v[8:9], v[24:25] op_sel_hi:[1,0]
	s_waitcnt vmcnt(4)
	v_pk_fma_f32 v[4:5], v[6:7], v[14:15], v[22:23] op_sel:[0,0,1] op_sel_hi:[1,1,0] neg_lo:[0,0,1] neg_hi:[0,0,1]
	v_pk_fma_f32 v[6:7], v[6:7], v[14:15], v[22:23] op_sel:[0,0,1] op_sel_hi:[1,0,0]
	v_mov_b32_e32 v29, v3
	v_pk_mul_f32 v[26:27], v[10:11], v[26:27] op_sel_hi:[1,0]
	s_waitcnt vmcnt(3)
	v_pk_fma_f32 v[12:13], v[8:9], v[16:17], v[24:25] op_sel:[0,0,1] op_sel_hi:[1,1,0] neg_lo:[0,0,1] neg_hi:[0,0,1]
	v_pk_fma_f32 v[8:9], v[8:9], v[16:17], v[24:25] op_sel:[0,0,1] op_sel_hi:[1,0,0]
	v_mov_b32_e32 v5, v7
	v_pk_add_f32 v[2:3], v[28:29], 0 op_sel_hi:[1,0]
	s_waitcnt vmcnt(2)
	v_pk_fma_f32 v[14:15], v[10:11], v[18:19], v[26:27] op_sel:[0,0,1] op_sel_hi:[1,1,0] neg_lo:[0,0,1] neg_hi:[0,0,1]
	v_pk_fma_f32 v[10:11], v[10:11], v[18:19], v[26:27] op_sel:[0,0,1] op_sel_hi:[1,0,0]
	v_mov_b32_e32 v13, v9
	v_pk_add_f32 v[2:3], v[2:3], v[4:5]
	v_mov_b32_e32 v15, v11
	v_pk_add_f32 v[2:3], v[2:3], v[12:13]
	v_pk_add_f32 v[2:3], v[2:3], v[14:15]
	s_waitcnt vmcnt(0)
	v_pk_add_f32 v[2:3], v[20:21], v[2:3] neg_lo:[0,1] neg_hi:[0,1]
	buffer_store_dword v2, off, s[0:3], 0 offset:392
	buffer_store_dword v3, off, s[0:3], 0 offset:396
	s_and_saveexec_b64 s[4:5], vcc
	s_cbranch_execz .LBB53_241
; %bb.240:
	buffer_load_dword v2, off, s[0:3], 0 offset:384
	buffer_load_dword v3, off, s[0:3], 0 offset:388
	v_mov_b32_e32 v4, 0
	buffer_store_dword v4, off, s[0:3], 0 offset:384
	buffer_store_dword v4, off, s[0:3], 0 offset:388
	s_waitcnt vmcnt(2)
	ds_write_b64 v143, v[2:3]
.LBB53_241:
	s_or_b64 exec, exec, s[4:5]
	s_waitcnt lgkmcnt(0)
	; wave barrier
	s_waitcnt lgkmcnt(0)
	buffer_load_dword v13, off, s[0:3], 0 offset:396
	buffer_load_dword v15, off, s[0:3], 0 offset:404
	;; [unrolled: 1-line block ×12, first 2 shown]
	v_mov_b32_e32 v2, 0
	ds_read2_b64 v[4:7], v2 offset0:103 offset1:104
	ds_read2_b64 v[8:11], v2 offset0:105 offset1:106
	ds_read_b64 v[24:25], v2 offset:856
	v_cmp_lt_u32_e32 vcc, 47, v0
	s_waitcnt vmcnt(11)
	v_mov_b32_e32 v26, v13
	s_waitcnt vmcnt(10)
	v_mov_b32_e32 v28, v15
	s_waitcnt lgkmcnt(2)
	v_pk_mul_f32 v[26:27], v[4:5], v[26:27] op_sel_hi:[1,0]
	s_waitcnt vmcnt(9)
	v_mov_b32_e32 v30, v17
	v_pk_mul_f32 v[28:29], v[6:7], v[28:29] op_sel_hi:[1,0]
	s_waitcnt vmcnt(6)
	v_pk_fma_f32 v[36:37], v[4:5], v[12:13], v[26:27] op_sel:[0,0,1] op_sel_hi:[1,1,0] neg_lo:[0,0,1] neg_hi:[0,0,1]
	v_pk_fma_f32 v[4:5], v[4:5], v[12:13], v[26:27] op_sel:[0,0,1] op_sel_hi:[1,0,0]
	v_mov_b32_e32 v32, v19
	s_waitcnt lgkmcnt(1)
	v_pk_mul_f32 v[30:31], v[8:9], v[30:31] op_sel_hi:[1,0]
	s_waitcnt vmcnt(5)
	v_pk_fma_f32 v[12:13], v[6:7], v[14:15], v[28:29] op_sel:[0,0,1] op_sel_hi:[1,1,0] neg_lo:[0,0,1] neg_hi:[0,0,1]
	v_pk_fma_f32 v[6:7], v[6:7], v[14:15], v[28:29] op_sel:[0,0,1] op_sel_hi:[1,0,0]
	v_mov_b32_e32 v37, v5
	v_mov_b32_e32 v34, v21
	v_pk_mul_f32 v[32:33], v[10:11], v[32:33] op_sel_hi:[1,0]
	s_waitcnt vmcnt(4)
	v_pk_fma_f32 v[14:15], v[8:9], v[16:17], v[30:31] op_sel:[0,0,1] op_sel_hi:[1,1,0] neg_lo:[0,0,1] neg_hi:[0,0,1]
	v_pk_fma_f32 v[8:9], v[8:9], v[16:17], v[30:31] op_sel:[0,0,1] op_sel_hi:[1,0,0]
	v_mov_b32_e32 v13, v7
	v_pk_add_f32 v[4:5], v[36:37], 0 op_sel_hi:[1,0]
	s_waitcnt lgkmcnt(0)
	v_pk_mul_f32 v[34:35], v[24:25], v[34:35] op_sel_hi:[1,0]
	s_waitcnt vmcnt(3)
	v_pk_fma_f32 v[16:17], v[10:11], v[18:19], v[32:33] op_sel:[0,0,1] op_sel_hi:[1,1,0] neg_lo:[0,0,1] neg_hi:[0,0,1]
	v_pk_fma_f32 v[10:11], v[10:11], v[18:19], v[32:33] op_sel:[0,0,1] op_sel_hi:[1,0,0]
	v_mov_b32_e32 v15, v9
	v_pk_add_f32 v[4:5], v[4:5], v[12:13]
	s_waitcnt vmcnt(2)
	v_pk_fma_f32 v[18:19], v[24:25], v[20:21], v[34:35] op_sel:[0,0,1] op_sel_hi:[1,1,0] neg_lo:[0,0,1] neg_hi:[0,0,1]
	v_pk_fma_f32 v[20:21], v[24:25], v[20:21], v[34:35] op_sel:[0,0,1] op_sel_hi:[1,0,0]
	v_mov_b32_e32 v17, v11
	v_pk_add_f32 v[4:5], v[4:5], v[14:15]
	v_mov_b32_e32 v19, v21
	v_pk_add_f32 v[4:5], v[4:5], v[16:17]
	v_pk_add_f32 v[4:5], v[4:5], v[18:19]
	s_waitcnt vmcnt(0)
	v_pk_add_f32 v[4:5], v[22:23], v[4:5] neg_lo:[0,1] neg_hi:[0,1]
	buffer_store_dword v4, off, s[0:3], 0 offset:384
	buffer_store_dword v5, off, s[0:3], 0 offset:388
	s_and_saveexec_b64 s[4:5], vcc
	s_cbranch_execz .LBB53_243
; %bb.242:
	buffer_load_dword v4, off, s[0:3], 0 offset:376
	buffer_load_dword v5, off, s[0:3], 0 offset:380
	s_waitcnt vmcnt(0)
	ds_write_b64 v143, v[4:5]
	buffer_store_dword v2, off, s[0:3], 0 offset:376
	buffer_store_dword v2, off, s[0:3], 0 offset:380
.LBB53_243:
	s_or_b64 exec, exec, s[4:5]
	s_waitcnt lgkmcnt(0)
	; wave barrier
	s_waitcnt lgkmcnt(0)
	buffer_load_dword v17, off, s[0:3], 0 offset:388
	buffer_load_dword v19, off, s[0:3], 0 offset:396
	;; [unrolled: 1-line block ×14, first 2 shown]
	ds_read_b128 v[4:7], v2 offset:816
	ds_read_b128 v[8:11], v2 offset:832
	;; [unrolled: 1-line block ×3, first 2 shown]
	v_cmp_lt_u32_e32 vcc, 46, v0
	s_waitcnt vmcnt(13)
	v_mov_b32_e32 v2, v17
	s_waitcnt vmcnt(12)
	v_mov_b32_e32 v30, v19
	s_waitcnt lgkmcnt(2)
	v_pk_mul_f32 v[2:3], v[4:5], v[2:3] op_sel_hi:[1,0]
	s_waitcnt vmcnt(11)
	v_mov_b32_e32 v32, v21
	v_pk_mul_f32 v[30:31], v[6:7], v[30:31] op_sel_hi:[1,0]
	s_waitcnt vmcnt(10)
	v_mov_b32_e32 v34, v23
	s_waitcnt vmcnt(7)
	v_pk_fma_f32 v[40:41], v[4:5], v[16:17], v[2:3] op_sel:[0,0,1] op_sel_hi:[1,1,0] neg_lo:[0,0,1] neg_hi:[0,0,1]
	v_pk_fma_f32 v[2:3], v[4:5], v[16:17], v[2:3] op_sel:[0,0,1] op_sel_hi:[1,0,0]
	s_waitcnt lgkmcnt(1)
	v_pk_mul_f32 v[32:33], v[8:9], v[32:33] op_sel_hi:[1,0]
	s_waitcnt vmcnt(6)
	v_pk_fma_f32 v[4:5], v[6:7], v[18:19], v[30:31] op_sel:[0,0,1] op_sel_hi:[1,1,0] neg_lo:[0,0,1] neg_hi:[0,0,1]
	v_pk_fma_f32 v[6:7], v[6:7], v[18:19], v[30:31] op_sel:[0,0,1] op_sel_hi:[1,0,0]
	v_mov_b32_e32 v41, v3
	v_mov_b32_e32 v36, v25
	v_pk_mul_f32 v[34:35], v[10:11], v[34:35] op_sel_hi:[1,0]
	s_waitcnt vmcnt(5)
	v_pk_fma_f32 v[16:17], v[8:9], v[20:21], v[32:33] op_sel:[0,0,1] op_sel_hi:[1,1,0] neg_lo:[0,0,1] neg_hi:[0,0,1]
	v_pk_fma_f32 v[8:9], v[8:9], v[20:21], v[32:33] op_sel:[0,0,1] op_sel_hi:[1,0,0]
	v_mov_b32_e32 v5, v7
	v_pk_add_f32 v[2:3], v[40:41], 0 op_sel_hi:[1,0]
	v_mov_b32_e32 v38, v27
	s_waitcnt lgkmcnt(0)
	v_pk_mul_f32 v[36:37], v[12:13], v[36:37] op_sel_hi:[1,0]
	s_waitcnt vmcnt(4)
	v_pk_fma_f32 v[18:19], v[10:11], v[22:23], v[34:35] op_sel:[0,0,1] op_sel_hi:[1,1,0] neg_lo:[0,0,1] neg_hi:[0,0,1]
	v_pk_fma_f32 v[10:11], v[10:11], v[22:23], v[34:35] op_sel:[0,0,1] op_sel_hi:[1,0,0]
	v_mov_b32_e32 v17, v9
	v_pk_add_f32 v[2:3], v[2:3], v[4:5]
	v_pk_mul_f32 v[38:39], v[14:15], v[38:39] op_sel_hi:[1,0]
	s_waitcnt vmcnt(3)
	v_pk_fma_f32 v[20:21], v[12:13], v[24:25], v[36:37] op_sel:[0,0,1] op_sel_hi:[1,1,0] neg_lo:[0,0,1] neg_hi:[0,0,1]
	v_pk_fma_f32 v[12:13], v[12:13], v[24:25], v[36:37] op_sel:[0,0,1] op_sel_hi:[1,0,0]
	v_mov_b32_e32 v19, v11
	v_pk_add_f32 v[2:3], v[2:3], v[16:17]
	s_waitcnt vmcnt(2)
	v_pk_fma_f32 v[22:23], v[14:15], v[26:27], v[38:39] op_sel:[0,0,1] op_sel_hi:[1,1,0] neg_lo:[0,0,1] neg_hi:[0,0,1]
	v_pk_fma_f32 v[14:15], v[14:15], v[26:27], v[38:39] op_sel:[0,0,1] op_sel_hi:[1,0,0]
	v_mov_b32_e32 v21, v13
	v_pk_add_f32 v[2:3], v[2:3], v[18:19]
	v_mov_b32_e32 v23, v15
	v_pk_add_f32 v[2:3], v[2:3], v[20:21]
	v_pk_add_f32 v[2:3], v[2:3], v[22:23]
	s_waitcnt vmcnt(0)
	v_pk_add_f32 v[2:3], v[28:29], v[2:3] neg_lo:[0,1] neg_hi:[0,1]
	buffer_store_dword v2, off, s[0:3], 0 offset:376
	buffer_store_dword v3, off, s[0:3], 0 offset:380
	s_and_saveexec_b64 s[4:5], vcc
	s_cbranch_execz .LBB53_245
; %bb.244:
	buffer_load_dword v2, off, s[0:3], 0 offset:368
	buffer_load_dword v3, off, s[0:3], 0 offset:372
	v_mov_b32_e32 v4, 0
	buffer_store_dword v4, off, s[0:3], 0 offset:368
	buffer_store_dword v4, off, s[0:3], 0 offset:372
	s_waitcnt vmcnt(2)
	ds_write_b64 v143, v[2:3]
.LBB53_245:
	s_or_b64 exec, exec, s[4:5]
	s_waitcnt lgkmcnt(0)
	; wave barrier
	s_waitcnt lgkmcnt(0)
	buffer_load_dword v17, off, s[0:3], 0 offset:380
	buffer_load_dword v19, off, s[0:3], 0 offset:388
	;; [unrolled: 1-line block ×16, first 2 shown]
	v_mov_b32_e32 v2, 0
	ds_read2_b64 v[4:7], v2 offset0:101 offset1:102
	ds_read2_b64 v[8:11], v2 offset0:103 offset1:104
	;; [unrolled: 1-line block ×3, first 2 shown]
	ds_read_b64 v[32:33], v2 offset:856
	v_cmp_lt_u32_e32 vcc, 45, v0
	s_waitcnt vmcnt(15)
	v_mov_b32_e32 v34, v17
	s_waitcnt vmcnt(14)
	v_mov_b32_e32 v36, v19
	s_waitcnt lgkmcnt(3)
	v_pk_mul_f32 v[34:35], v[4:5], v[34:35] op_sel_hi:[1,0]
	s_waitcnt vmcnt(13)
	v_mov_b32_e32 v38, v21
	v_pk_mul_f32 v[36:37], v[6:7], v[36:37] op_sel_hi:[1,0]
	s_waitcnt vmcnt(12)
	v_mov_b32_e32 v40, v23
	s_waitcnt lgkmcnt(2)
	v_pk_mul_f32 v[38:39], v[8:9], v[38:39] op_sel_hi:[1,0]
	s_waitcnt vmcnt(8)
	v_pk_fma_f32 v[48:49], v[4:5], v[16:17], v[34:35] op_sel:[0,0,1] op_sel_hi:[1,1,0] neg_lo:[0,0,1] neg_hi:[0,0,1]
	v_pk_fma_f32 v[4:5], v[4:5], v[16:17], v[34:35] op_sel:[0,0,1] op_sel_hi:[1,0,0]
	s_waitcnt vmcnt(7)
	v_pk_fma_f32 v[16:17], v[6:7], v[18:19], v[36:37] op_sel:[0,0,1] op_sel_hi:[1,1,0] neg_lo:[0,0,1] neg_hi:[0,0,1]
	v_pk_fma_f32 v[6:7], v[6:7], v[18:19], v[36:37] op_sel:[0,0,1] op_sel_hi:[1,0,0]
	v_mov_b32_e32 v49, v5
	v_mov_b32_e32 v42, v25
	v_pk_mul_f32 v[40:41], v[10:11], v[40:41] op_sel_hi:[1,0]
	s_waitcnt vmcnt(6)
	v_pk_fma_f32 v[18:19], v[8:9], v[20:21], v[38:39] op_sel:[0,0,1] op_sel_hi:[1,1,0] neg_lo:[0,0,1] neg_hi:[0,0,1]
	v_pk_fma_f32 v[8:9], v[8:9], v[20:21], v[38:39] op_sel:[0,0,1] op_sel_hi:[1,0,0]
	v_mov_b32_e32 v17, v7
	v_pk_add_f32 v[4:5], v[48:49], 0 op_sel_hi:[1,0]
	v_mov_b32_e32 v44, v27
	s_waitcnt lgkmcnt(1)
	v_pk_mul_f32 v[42:43], v[12:13], v[42:43] op_sel_hi:[1,0]
	s_waitcnt vmcnt(5)
	v_pk_fma_f32 v[20:21], v[10:11], v[22:23], v[40:41] op_sel:[0,0,1] op_sel_hi:[1,1,0] neg_lo:[0,0,1] neg_hi:[0,0,1]
	v_pk_fma_f32 v[10:11], v[10:11], v[22:23], v[40:41] op_sel:[0,0,1] op_sel_hi:[1,0,0]
	v_mov_b32_e32 v19, v9
	v_pk_add_f32 v[4:5], v[4:5], v[16:17]
	v_mov_b32_e32 v46, v29
	v_pk_mul_f32 v[44:45], v[14:15], v[44:45] op_sel_hi:[1,0]
	s_waitcnt vmcnt(4)
	v_pk_fma_f32 v[22:23], v[12:13], v[24:25], v[42:43] op_sel:[0,0,1] op_sel_hi:[1,1,0] neg_lo:[0,0,1] neg_hi:[0,0,1]
	v_pk_fma_f32 v[12:13], v[12:13], v[24:25], v[42:43] op_sel:[0,0,1] op_sel_hi:[1,0,0]
	v_mov_b32_e32 v21, v11
	v_pk_add_f32 v[4:5], v[4:5], v[18:19]
	s_waitcnt lgkmcnt(0)
	v_pk_mul_f32 v[46:47], v[32:33], v[46:47] op_sel_hi:[1,0]
	s_waitcnt vmcnt(3)
	v_pk_fma_f32 v[24:25], v[14:15], v[26:27], v[44:45] op_sel:[0,0,1] op_sel_hi:[1,1,0] neg_lo:[0,0,1] neg_hi:[0,0,1]
	v_pk_fma_f32 v[14:15], v[14:15], v[26:27], v[44:45] op_sel:[0,0,1] op_sel_hi:[1,0,0]
	v_mov_b32_e32 v23, v13
	v_pk_add_f32 v[4:5], v[4:5], v[20:21]
	s_waitcnt vmcnt(2)
	v_pk_fma_f32 v[26:27], v[32:33], v[28:29], v[46:47] op_sel:[0,0,1] op_sel_hi:[1,1,0] neg_lo:[0,0,1] neg_hi:[0,0,1]
	v_pk_fma_f32 v[28:29], v[32:33], v[28:29], v[46:47] op_sel:[0,0,1] op_sel_hi:[1,0,0]
	v_mov_b32_e32 v25, v15
	v_pk_add_f32 v[4:5], v[4:5], v[22:23]
	v_mov_b32_e32 v27, v29
	v_pk_add_f32 v[4:5], v[4:5], v[24:25]
	v_pk_add_f32 v[4:5], v[4:5], v[26:27]
	s_waitcnt vmcnt(0)
	v_pk_add_f32 v[4:5], v[30:31], v[4:5] neg_lo:[0,1] neg_hi:[0,1]
	buffer_store_dword v4, off, s[0:3], 0 offset:368
	buffer_store_dword v5, off, s[0:3], 0 offset:372
	s_and_saveexec_b64 s[4:5], vcc
	s_cbranch_execz .LBB53_247
; %bb.246:
	buffer_load_dword v4, off, s[0:3], 0 offset:360
	buffer_load_dword v5, off, s[0:3], 0 offset:364
	s_waitcnt vmcnt(0)
	ds_write_b64 v143, v[4:5]
	buffer_store_dword v2, off, s[0:3], 0 offset:360
	buffer_store_dword v2, off, s[0:3], 0 offset:364
.LBB53_247:
	s_or_b64 exec, exec, s[4:5]
	s_waitcnt lgkmcnt(0)
	; wave barrier
	s_waitcnt lgkmcnt(0)
	buffer_load_dword v21, off, s[0:3], 0 offset:372
	buffer_load_dword v23, off, s[0:3], 0 offset:380
	buffer_load_dword v25, off, s[0:3], 0 offset:388
	buffer_load_dword v27, off, s[0:3], 0 offset:396
	buffer_load_dword v29, off, s[0:3], 0 offset:404
	buffer_load_dword v31, off, s[0:3], 0 offset:412
	buffer_load_dword v33, off, s[0:3], 0 offset:420
	buffer_load_dword v35, off, s[0:3], 0 offset:428
	buffer_load_dword v20, off, s[0:3], 0 offset:368
	buffer_load_dword v22, off, s[0:3], 0 offset:376
	buffer_load_dword v24, off, s[0:3], 0 offset:384
	buffer_load_dword v26, off, s[0:3], 0 offset:392
	buffer_load_dword v28, off, s[0:3], 0 offset:400
	buffer_load_dword v30, off, s[0:3], 0 offset:408
	buffer_load_dword v32, off, s[0:3], 0 offset:416
	buffer_load_dword v34, off, s[0:3], 0 offset:424
	buffer_load_dword v36, off, s[0:3], 0 offset:360
	buffer_load_dword v37, off, s[0:3], 0 offset:364
	ds_read_b128 v[4:7], v2 offset:800
	ds_read_b128 v[8:11], v2 offset:816
	;; [unrolled: 1-line block ×4, first 2 shown]
	v_cmp_lt_u32_e32 vcc, 44, v0
	s_waitcnt vmcnt(17)
	v_mov_b32_e32 v2, v21
	s_waitcnt vmcnt(16)
	v_mov_b32_e32 v38, v23
	s_waitcnt lgkmcnt(3)
	v_pk_mul_f32 v[2:3], v[4:5], v[2:3] op_sel_hi:[1,0]
	s_waitcnt vmcnt(15)
	v_mov_b32_e32 v40, v25
	v_pk_mul_f32 v[38:39], v[6:7], v[38:39] op_sel_hi:[1,0]
	s_waitcnt vmcnt(14)
	v_mov_b32_e32 v42, v27
	s_waitcnt lgkmcnt(2)
	v_pk_mul_f32 v[40:41], v[8:9], v[40:41] op_sel_hi:[1,0]
	s_waitcnt vmcnt(13)
	v_mov_b32_e32 v44, v29
	s_waitcnt vmcnt(9)
	v_pk_fma_f32 v[52:53], v[4:5], v[20:21], v[2:3] op_sel:[0,0,1] op_sel_hi:[1,1,0] neg_lo:[0,0,1] neg_hi:[0,0,1]
	v_pk_fma_f32 v[2:3], v[4:5], v[20:21], v[2:3] op_sel:[0,0,1] op_sel_hi:[1,0,0]
	s_waitcnt vmcnt(8)
	v_pk_fma_f32 v[4:5], v[6:7], v[22:23], v[38:39] op_sel:[0,0,1] op_sel_hi:[1,1,0] neg_lo:[0,0,1] neg_hi:[0,0,1]
	v_pk_fma_f32 v[6:7], v[6:7], v[22:23], v[38:39] op_sel:[0,0,1] op_sel_hi:[1,0,0]
	v_mov_b32_e32 v53, v3
	v_pk_mul_f32 v[42:43], v[10:11], v[42:43] op_sel_hi:[1,0]
	s_waitcnt vmcnt(7)
	v_pk_fma_f32 v[20:21], v[8:9], v[24:25], v[40:41] op_sel:[0,0,1] op_sel_hi:[1,1,0] neg_lo:[0,0,1] neg_hi:[0,0,1]
	v_pk_fma_f32 v[8:9], v[8:9], v[24:25], v[40:41] op_sel:[0,0,1] op_sel_hi:[1,0,0]
	v_mov_b32_e32 v5, v7
	v_pk_add_f32 v[2:3], v[52:53], 0 op_sel_hi:[1,0]
	v_mov_b32_e32 v46, v31
	s_waitcnt lgkmcnt(1)
	v_pk_mul_f32 v[44:45], v[12:13], v[44:45] op_sel_hi:[1,0]
	s_waitcnt vmcnt(6)
	v_pk_fma_f32 v[22:23], v[10:11], v[26:27], v[42:43] op_sel:[0,0,1] op_sel_hi:[1,1,0] neg_lo:[0,0,1] neg_hi:[0,0,1]
	v_pk_fma_f32 v[10:11], v[10:11], v[26:27], v[42:43] op_sel:[0,0,1] op_sel_hi:[1,0,0]
	v_mov_b32_e32 v21, v9
	v_pk_add_f32 v[2:3], v[2:3], v[4:5]
	v_mov_b32_e32 v48, v33
	v_pk_mul_f32 v[46:47], v[14:15], v[46:47] op_sel_hi:[1,0]
	s_waitcnt vmcnt(5)
	v_pk_fma_f32 v[24:25], v[12:13], v[28:29], v[44:45] op_sel:[0,0,1] op_sel_hi:[1,1,0] neg_lo:[0,0,1] neg_hi:[0,0,1]
	v_pk_fma_f32 v[12:13], v[12:13], v[28:29], v[44:45] op_sel:[0,0,1] op_sel_hi:[1,0,0]
	v_mov_b32_e32 v23, v11
	v_pk_add_f32 v[2:3], v[2:3], v[20:21]
	v_mov_b32_e32 v50, v35
	s_waitcnt lgkmcnt(0)
	v_pk_mul_f32 v[48:49], v[16:17], v[48:49] op_sel_hi:[1,0]
	s_waitcnt vmcnt(4)
	v_pk_fma_f32 v[26:27], v[14:15], v[30:31], v[46:47] op_sel:[0,0,1] op_sel_hi:[1,1,0] neg_lo:[0,0,1] neg_hi:[0,0,1]
	v_pk_fma_f32 v[14:15], v[14:15], v[30:31], v[46:47] op_sel:[0,0,1] op_sel_hi:[1,0,0]
	v_mov_b32_e32 v25, v13
	v_pk_add_f32 v[2:3], v[2:3], v[22:23]
	v_pk_mul_f32 v[50:51], v[18:19], v[50:51] op_sel_hi:[1,0]
	s_waitcnt vmcnt(3)
	v_pk_fma_f32 v[28:29], v[16:17], v[32:33], v[48:49] op_sel:[0,0,1] op_sel_hi:[1,1,0] neg_lo:[0,0,1] neg_hi:[0,0,1]
	v_pk_fma_f32 v[16:17], v[16:17], v[32:33], v[48:49] op_sel:[0,0,1] op_sel_hi:[1,0,0]
	v_mov_b32_e32 v27, v15
	v_pk_add_f32 v[2:3], v[2:3], v[24:25]
	s_waitcnt vmcnt(2)
	v_pk_fma_f32 v[30:31], v[18:19], v[34:35], v[50:51] op_sel:[0,0,1] op_sel_hi:[1,1,0] neg_lo:[0,0,1] neg_hi:[0,0,1]
	v_pk_fma_f32 v[18:19], v[18:19], v[34:35], v[50:51] op_sel:[0,0,1] op_sel_hi:[1,0,0]
	v_mov_b32_e32 v29, v17
	v_pk_add_f32 v[2:3], v[2:3], v[26:27]
	v_mov_b32_e32 v31, v19
	v_pk_add_f32 v[2:3], v[2:3], v[28:29]
	v_pk_add_f32 v[2:3], v[2:3], v[30:31]
	s_waitcnt vmcnt(0)
	v_pk_add_f32 v[2:3], v[36:37], v[2:3] neg_lo:[0,1] neg_hi:[0,1]
	buffer_store_dword v2, off, s[0:3], 0 offset:360
	buffer_store_dword v3, off, s[0:3], 0 offset:364
	s_and_saveexec_b64 s[4:5], vcc
	s_cbranch_execz .LBB53_249
; %bb.248:
	buffer_load_dword v2, off, s[0:3], 0 offset:352
	buffer_load_dword v3, off, s[0:3], 0 offset:356
	v_mov_b32_e32 v4, 0
	buffer_store_dword v4, off, s[0:3], 0 offset:352
	buffer_store_dword v4, off, s[0:3], 0 offset:356
	s_waitcnt vmcnt(2)
	ds_write_b64 v143, v[2:3]
.LBB53_249:
	s_or_b64 exec, exec, s[4:5]
	s_waitcnt lgkmcnt(0)
	; wave barrier
	s_waitcnt lgkmcnt(0)
	buffer_load_dword v3, off, s[0:3], 0 offset:364
	buffer_load_dword v21, off, s[0:3], 0 offset:372
	buffer_load_dword v23, off, s[0:3], 0 offset:380
	buffer_load_dword v25, off, s[0:3], 0 offset:388
	buffer_load_dword v27, off, s[0:3], 0 offset:396
	buffer_load_dword v29, off, s[0:3], 0 offset:404
	buffer_load_dword v31, off, s[0:3], 0 offset:412
	buffer_load_dword v33, off, s[0:3], 0 offset:420
	buffer_load_dword v35, off, s[0:3], 0 offset:428
	buffer_load_dword v40, off, s[0:3], 0 offset:360
	buffer_load_dword v20, off, s[0:3], 0 offset:368
	buffer_load_dword v22, off, s[0:3], 0 offset:376
	buffer_load_dword v24, off, s[0:3], 0 offset:384
	buffer_load_dword v26, off, s[0:3], 0 offset:392
	buffer_load_dword v28, off, s[0:3], 0 offset:400
	buffer_load_dword v30, off, s[0:3], 0 offset:408
	buffer_load_dword v34, off, s[0:3], 0 offset:424
	buffer_load_dword v32, off, s[0:3], 0 offset:416
	buffer_load_dword v36, off, s[0:3], 0 offset:352
	buffer_load_dword v37, off, s[0:3], 0 offset:356
	v_mov_b32_e32 v2, 0
	ds_read2_b64 v[4:7], v2 offset0:99 offset1:100
	ds_read2_b64 v[8:11], v2 offset0:101 offset1:102
	;; [unrolled: 1-line block ×4, first 2 shown]
	ds_read_b64 v[38:39], v2 offset:856
	v_cmp_lt_u32_e32 vcc, 43, v0
	s_waitcnt vmcnt(19) lgkmcnt(4)
	v_mul_f32_e32 v41, v4, v3
	v_mul_f32_e32 v3, v5, v3
	s_waitcnt vmcnt(18)
	v_mov_b32_e32 v42, v21
	s_waitcnt vmcnt(17)
	v_mov_b32_e32 v44, v23
	;; [unrolled: 2-line block ×8, first 2 shown]
	s_waitcnt vmcnt(10)
	v_fmac_f32_e32 v41, v5, v40
	v_fma_f32 v40, v4, v40, -v3
	v_pk_mul_f32 v[4:5], v[6:7], v[42:43] op_sel_hi:[1,0]
	s_waitcnt lgkmcnt(3)
	v_pk_mul_f32 v[42:43], v[8:9], v[44:45] op_sel_hi:[1,0]
	v_pk_mul_f32 v[44:45], v[10:11], v[46:47] op_sel_hi:[1,0]
	s_waitcnt lgkmcnt(2)
	v_pk_mul_f32 v[46:47], v[12:13], v[48:49] op_sel_hi:[1,0]
	;; [unrolled: 3-line block ×4, first 2 shown]
	s_waitcnt vmcnt(9)
	v_pk_fma_f32 v[56:57], v[6:7], v[20:21], v[4:5] op_sel:[0,0,1] op_sel_hi:[1,1,0] neg_lo:[0,0,1] neg_hi:[0,0,1]
	v_pk_fma_f32 v[4:5], v[6:7], v[20:21], v[4:5] op_sel:[0,0,1] op_sel_hi:[1,0,0]
	v_pk_add_f32 v[40:41], v[40:41], 0 op_sel_hi:[1,0]
	s_waitcnt vmcnt(8)
	v_pk_fma_f32 v[6:7], v[8:9], v[22:23], v[42:43] op_sel:[0,0,1] op_sel_hi:[1,1,0] neg_lo:[0,0,1] neg_hi:[0,0,1]
	v_pk_fma_f32 v[8:9], v[8:9], v[22:23], v[42:43] op_sel:[0,0,1] op_sel_hi:[1,0,0]
	v_mov_b32_e32 v57, v5
	s_waitcnt vmcnt(7)
	v_pk_fma_f32 v[20:21], v[10:11], v[24:25], v[44:45] op_sel:[0,0,1] op_sel_hi:[1,1,0] neg_lo:[0,0,1] neg_hi:[0,0,1]
	v_pk_fma_f32 v[10:11], v[10:11], v[24:25], v[44:45] op_sel:[0,0,1] op_sel_hi:[1,0,0]
	v_mov_b32_e32 v7, v9
	v_pk_add_f32 v[4:5], v[40:41], v[56:57]
	s_waitcnt vmcnt(6)
	v_pk_fma_f32 v[22:23], v[12:13], v[26:27], v[46:47] op_sel:[0,0,1] op_sel_hi:[1,1,0] neg_lo:[0,0,1] neg_hi:[0,0,1]
	v_pk_fma_f32 v[12:13], v[12:13], v[26:27], v[46:47] op_sel:[0,0,1] op_sel_hi:[1,0,0]
	v_mov_b32_e32 v21, v11
	v_pk_add_f32 v[4:5], v[4:5], v[6:7]
	;; [unrolled: 5-line block ×5, first 2 shown]
	v_pk_fma_f32 v[30:31], v[38:39], v[34:35], v[54:55] op_sel:[0,0,1] op_sel_hi:[1,1,0] neg_lo:[0,0,1] neg_hi:[0,0,1]
	v_pk_fma_f32 v[32:33], v[38:39], v[34:35], v[54:55] op_sel:[0,0,1] op_sel_hi:[1,0,0]
	v_mov_b32_e32 v29, v19
	v_pk_add_f32 v[4:5], v[4:5], v[26:27]
	v_mov_b32_e32 v31, v33
	v_pk_add_f32 v[4:5], v[4:5], v[28:29]
	v_pk_add_f32 v[4:5], v[4:5], v[30:31]
	s_waitcnt vmcnt(0)
	v_pk_add_f32 v[4:5], v[36:37], v[4:5] neg_lo:[0,1] neg_hi:[0,1]
	buffer_store_dword v4, off, s[0:3], 0 offset:352
	buffer_store_dword v5, off, s[0:3], 0 offset:356
	s_and_saveexec_b64 s[4:5], vcc
	s_cbranch_execz .LBB53_251
; %bb.250:
	buffer_load_dword v4, off, s[0:3], 0 offset:344
	buffer_load_dword v5, off, s[0:3], 0 offset:348
	s_waitcnt vmcnt(0)
	ds_write_b64 v143, v[4:5]
	buffer_store_dword v2, off, s[0:3], 0 offset:344
	buffer_store_dword v2, off, s[0:3], 0 offset:348
.LBB53_251:
	s_or_b64 exec, exec, s[4:5]
	s_waitcnt lgkmcnt(0)
	; wave barrier
	s_waitcnt lgkmcnt(0)
	buffer_load_dword v42, off, s[0:3], 0 offset:356
	buffer_load_dword v44, off, s[0:3], 0 offset:364
	;; [unrolled: 1-line block ×22, first 2 shown]
	ds_read_b128 v[4:7], v2 offset:784
	ds_read_b128 v[8:11], v2 offset:800
	ds_read_b128 v[12:15], v2 offset:816
	ds_read_b128 v[16:19], v2 offset:832
	ds_read_b128 v[20:23], v2 offset:848
	v_cmp_lt_u32_e32 vcc, 42, v0
	s_waitcnt vmcnt(21) lgkmcnt(4)
	v_mul_f32_e32 v3, v4, v42
	s_waitcnt vmcnt(20)
	v_mul_f32_e32 v43, v6, v44
	v_mul_f32_e32 v2, v5, v42
	;; [unrolled: 1-line block ×3, first 2 shown]
	s_waitcnt vmcnt(19)
	v_mov_b32_e32 v44, v25
	s_waitcnt vmcnt(18)
	v_mov_b32_e32 v46, v27
	;; [unrolled: 2-line block ×5, first 2 shown]
	v_mov_b32_e32 v50, v31
	s_waitcnt vmcnt(11)
	v_fmac_f32_e32 v3, v5, v45
	v_fma_f32 v2, v4, v45, -v2
	s_waitcnt lgkmcnt(3)
	v_pk_mul_f32 v[4:5], v[8:9], v[44:45] op_sel_hi:[1,0]
	s_waitcnt vmcnt(10)
	v_fmac_f32_e32 v43, v7, v47
	v_fma_f32 v42, v6, v47, -v42
	v_pk_mul_f32 v[6:7], v[10:11], v[46:47] op_sel_hi:[1,0]
	s_waitcnt lgkmcnt(2)
	v_pk_mul_f32 v[44:45], v[12:13], v[48:49] op_sel_hi:[1,0]
	s_waitcnt lgkmcnt(1)
	;; [unrolled: 2-line block ×3, first 2 shown]
	v_pk_mul_f32 v[52:53], v[20:21], v[56:57] op_sel_hi:[1,0]
	v_pk_add_f32 v[2:3], v[2:3], 0 op_sel_hi:[1,0]
	s_waitcnt vmcnt(9)
	v_pk_fma_f32 v[56:57], v[8:9], v[24:25], v[4:5] op_sel:[0,0,1] op_sel_hi:[1,1,0] neg_lo:[0,0,1] neg_hi:[0,0,1]
	v_pk_fma_f32 v[4:5], v[8:9], v[24:25], v[4:5] op_sel:[0,0,1] op_sel_hi:[1,0,0]
	s_waitcnt vmcnt(8)
	v_pk_fma_f32 v[8:9], v[10:11], v[26:27], v[6:7] op_sel:[0,0,1] op_sel_hi:[1,1,0] neg_lo:[0,0,1] neg_hi:[0,0,1]
	v_pk_fma_f32 v[6:7], v[10:11], v[26:27], v[6:7] op_sel:[0,0,1] op_sel_hi:[1,0,0]
	v_pk_add_f32 v[2:3], v[2:3], v[42:43]
	v_mov_b32_e32 v57, v5
	v_pk_mul_f32 v[46:47], v[14:15], v[50:51] op_sel_hi:[1,0]
	s_waitcnt vmcnt(7)
	v_pk_fma_f32 v[10:11], v[12:13], v[28:29], v[44:45] op_sel:[0,0,1] op_sel_hi:[1,1,0] neg_lo:[0,0,1] neg_hi:[0,0,1]
	v_pk_fma_f32 v[12:13], v[12:13], v[28:29], v[44:45] op_sel:[0,0,1] op_sel_hi:[1,0,0]
	v_mov_b32_e32 v9, v7
	v_pk_add_f32 v[2:3], v[2:3], v[56:57]
	v_mov_b32_e32 v54, v35
	s_waitcnt vmcnt(6)
	v_pk_fma_f32 v[24:25], v[14:15], v[30:31], v[46:47] op_sel:[0,0,1] op_sel_hi:[1,1,0] neg_lo:[0,0,1] neg_hi:[0,0,1]
	v_pk_fma_f32 v[14:15], v[14:15], v[30:31], v[46:47] op_sel:[0,0,1] op_sel_hi:[1,0,0]
	v_mov_b32_e32 v11, v13
	v_pk_add_f32 v[2:3], v[2:3], v[8:9]
	v_pk_mul_f32 v[50:51], v[18:19], v[54:55] op_sel_hi:[1,0]
	s_waitcnt vmcnt(5)
	v_pk_fma_f32 v[26:27], v[16:17], v[32:33], v[48:49] op_sel:[0,0,1] op_sel_hi:[1,1,0] neg_lo:[0,0,1] neg_hi:[0,0,1]
	v_pk_fma_f32 v[16:17], v[16:17], v[32:33], v[48:49] op_sel:[0,0,1] op_sel_hi:[1,0,0]
	v_mov_b32_e32 v25, v15
	v_pk_add_f32 v[2:3], v[2:3], v[10:11]
	v_mov_b32_e32 v58, v39
	s_waitcnt vmcnt(2)
	v_pk_fma_f32 v[28:29], v[18:19], v[34:35], v[50:51] op_sel:[0,0,1] op_sel_hi:[1,1,0] neg_lo:[0,0,1] neg_hi:[0,0,1]
	v_pk_fma_f32 v[18:19], v[18:19], v[34:35], v[50:51] op_sel:[0,0,1] op_sel_hi:[1,0,0]
	v_mov_b32_e32 v27, v17
	v_pk_add_f32 v[2:3], v[2:3], v[24:25]
	v_pk_mul_f32 v[54:55], v[22:23], v[58:59] op_sel_hi:[1,0]
	v_pk_fma_f32 v[30:31], v[20:21], v[36:37], v[52:53] op_sel:[0,0,1] op_sel_hi:[1,1,0] neg_lo:[0,0,1] neg_hi:[0,0,1]
	v_pk_fma_f32 v[20:21], v[20:21], v[36:37], v[52:53] op_sel:[0,0,1] op_sel_hi:[1,0,0]
	v_mov_b32_e32 v29, v19
	v_pk_add_f32 v[2:3], v[2:3], v[26:27]
	v_pk_fma_f32 v[32:33], v[22:23], v[38:39], v[54:55] op_sel:[0,0,1] op_sel_hi:[1,1,0] neg_lo:[0,0,1] neg_hi:[0,0,1]
	v_pk_fma_f32 v[22:23], v[22:23], v[38:39], v[54:55] op_sel:[0,0,1] op_sel_hi:[1,0,0]
	v_mov_b32_e32 v31, v21
	v_pk_add_f32 v[2:3], v[2:3], v[28:29]
	v_mov_b32_e32 v33, v23
	v_pk_add_f32 v[2:3], v[2:3], v[30:31]
	v_pk_add_f32 v[2:3], v[2:3], v[32:33]
	s_waitcnt vmcnt(0)
	v_pk_add_f32 v[2:3], v[40:41], v[2:3] neg_lo:[0,1] neg_hi:[0,1]
	buffer_store_dword v2, off, s[0:3], 0 offset:344
	buffer_store_dword v3, off, s[0:3], 0 offset:348
	s_and_saveexec_b64 s[4:5], vcc
	s_cbranch_execz .LBB53_253
; %bb.252:
	buffer_load_dword v2, off, s[0:3], 0 offset:336
	buffer_load_dword v3, off, s[0:3], 0 offset:340
	v_mov_b32_e32 v4, 0
	buffer_store_dword v4, off, s[0:3], 0 offset:336
	buffer_store_dword v4, off, s[0:3], 0 offset:340
	s_waitcnt vmcnt(2)
	ds_write_b64 v143, v[2:3]
.LBB53_253:
	s_or_b64 exec, exec, s[4:5]
	s_waitcnt lgkmcnt(0)
	; wave barrier
	s_waitcnt lgkmcnt(0)
	buffer_load_dword v5, off, s[0:3], 0 offset:348
	buffer_load_dword v44, off, s[0:3], 0 offset:356
	;; [unrolled: 1-line block ×24, first 2 shown]
	v_mov_b32_e32 v4, 0
	ds_read2_b64 v[6:9], v4 offset0:97 offset1:98
	ds_read2_b64 v[10:13], v4 offset0:99 offset1:100
	;; [unrolled: 1-line block ×5, first 2 shown]
	ds_read_b64 v[42:43], v4 offset:856
	v_cmp_lt_u32_e32 vcc, 41, v0
	s_waitcnt vmcnt(23) lgkmcnt(5)
	v_mul_f32_e32 v57, v6, v5
	v_mul_f32_e32 v5, v7, v5
	s_waitcnt vmcnt(22)
	v_mul_f32_e32 v45, v8, v44
	s_waitcnt vmcnt(21) lgkmcnt(4)
	v_mul_f32_e32 v47, v10, v46
	v_mul_f32_e32 v44, v9, v44
	;; [unrolled: 1-line block ×3, first 2 shown]
	s_waitcnt vmcnt(20)
	v_mov_b32_e32 v48, v3
	s_waitcnt vmcnt(19)
	v_mov_b32_e32 v50, v27
	;; [unrolled: 2-line block ×5, first 2 shown]
	s_waitcnt vmcnt(12)
	v_fmac_f32_e32 v57, v7, v49
	v_fma_f32 v5, v6, v49, -v5
	v_mov_b32_e32 v58, v35
	s_waitcnt vmcnt(11)
	v_fmac_f32_e32 v45, v9, v51
	s_waitcnt vmcnt(10)
	v_fmac_f32_e32 v47, v11, v53
	v_fma_f32 v44, v8, v51, -v44
	v_fma_f32 v46, v10, v53, -v46
	v_pk_mul_f32 v[6:7], v[12:13], v[48:49] op_sel_hi:[1,0]
	s_waitcnt lgkmcnt(3)
	v_pk_mul_f32 v[8:9], v[14:15], v[50:51] op_sel_hi:[1,0]
	v_pk_mul_f32 v[10:11], v[16:17], v[52:53] op_sel_hi:[1,0]
	s_waitcnt lgkmcnt(2)
	v_pk_mul_f32 v[48:49], v[18:19], v[54:55] op_sel_hi:[1,0]
	v_pk_mul_f32 v[50:51], v[20:21], v[56:57] op_sel_hi:[1,0]
	v_add_f32_e32 v57, 0, v57
	v_add_f32_e32 v56, 0, v5
	s_waitcnt lgkmcnt(1)
	v_pk_mul_f32 v[52:53], v[22:23], v[58:59] op_sel_hi:[1,0]
	s_waitcnt vmcnt(9)
	v_pk_fma_f32 v[58:59], v[12:13], v[2:3], v[6:7] op_sel:[0,0,1] op_sel_hi:[1,1,0] neg_lo:[0,0,1] neg_hi:[0,0,1]
	v_pk_fma_f32 v[2:3], v[12:13], v[2:3], v[6:7] op_sel:[0,0,1] op_sel_hi:[1,0,0]
	s_waitcnt vmcnt(8)
	v_pk_fma_f32 v[6:7], v[14:15], v[26:27], v[8:9] op_sel:[0,0,1] op_sel_hi:[1,1,0] neg_lo:[0,0,1] neg_hi:[0,0,1]
	v_pk_fma_f32 v[8:9], v[14:15], v[26:27], v[8:9] op_sel:[0,0,1] op_sel_hi:[1,0,0]
	;; [unrolled: 3-line block ×4, first 2 shown]
	v_pk_add_f32 v[30:31], v[56:57], v[44:45]
	v_mov_b32_e32 v59, v3
	v_pk_add_f32 v[2:3], v[30:31], v[46:47]
	v_mov_b32_e32 v7, v9
	;; [unrolled: 2-line block ×4, first 2 shown]
	s_waitcnt vmcnt(2)
	v_pk_fma_f32 v[18:19], v[20:21], v[32:33], v[50:51] op_sel:[0,0,1] op_sel_hi:[1,1,0] neg_lo:[0,0,1] neg_hi:[0,0,1]
	v_pk_fma_f32 v[20:21], v[20:21], v[32:33], v[50:51] op_sel:[0,0,1] op_sel_hi:[1,0,0]
	v_mov_b32_e32 v15, v17
	v_pk_add_f32 v[2:3], v[2:3], v[12:13]
	v_mov_b32_e32 v62, v39
	v_pk_mul_f32 v[54:55], v[24:25], v[60:61] op_sel_hi:[1,0]
	v_pk_fma_f32 v[26:27], v[22:23], v[34:35], v[52:53] op_sel:[0,0,1] op_sel_hi:[1,1,0] neg_lo:[0,0,1] neg_hi:[0,0,1]
	v_pk_fma_f32 v[22:23], v[22:23], v[34:35], v[52:53] op_sel:[0,0,1] op_sel_hi:[1,0,0]
	v_mov_b32_e32 v19, v21
	v_pk_add_f32 v[2:3], v[2:3], v[14:15]
	v_pk_fma_f32 v[28:29], v[24:25], v[36:37], v[54:55] op_sel:[0,0,1] op_sel_hi:[1,1,0] neg_lo:[0,0,1] neg_hi:[0,0,1]
	v_pk_fma_f32 v[24:25], v[24:25], v[36:37], v[54:55] op_sel:[0,0,1] op_sel_hi:[1,0,0]
	v_mov_b32_e32 v27, v23
	v_pk_add_f32 v[2:3], v[2:3], v[18:19]
	s_waitcnt lgkmcnt(0)
	v_pk_mul_f32 v[6:7], v[42:43], v[62:63] op_sel_hi:[1,0]
	v_mov_b32_e32 v29, v25
	v_pk_add_f32 v[2:3], v[2:3], v[26:27]
	v_pk_fma_f32 v[8:9], v[42:43], v[38:39], v[6:7] op_sel:[0,0,1] op_sel_hi:[1,1,0] neg_lo:[0,0,1] neg_hi:[0,0,1]
	v_pk_fma_f32 v[6:7], v[42:43], v[38:39], v[6:7] op_sel:[0,0,1] op_sel_hi:[1,0,0]
	v_pk_add_f32 v[2:3], v[2:3], v[28:29]
	v_mov_b32_e32 v9, v7
	v_pk_add_f32 v[2:3], v[2:3], v[8:9]
	s_waitcnt vmcnt(0)
	v_pk_add_f32 v[2:3], v[40:41], v[2:3] neg_lo:[0,1] neg_hi:[0,1]
	buffer_store_dword v3, off, s[0:3], 0 offset:340
	buffer_store_dword v2, off, s[0:3], 0 offset:336
	s_and_saveexec_b64 s[4:5], vcc
	s_cbranch_execz .LBB53_255
; %bb.254:
	buffer_load_dword v2, off, s[0:3], 0 offset:328
	buffer_load_dword v3, off, s[0:3], 0 offset:332
	s_waitcnt vmcnt(0)
	ds_write_b64 v143, v[2:3]
	buffer_store_dword v4, off, s[0:3], 0 offset:328
	buffer_store_dword v4, off, s[0:3], 0 offset:332
.LBB53_255:
	s_or_b64 exec, exec, s[4:5]
	s_waitcnt lgkmcnt(0)
	; wave barrier
	s_waitcnt lgkmcnt(0)
	ds_read_b128 v[6:9], v4 offset:768
	ds_read_b128 v[10:13], v4 offset:784
	;; [unrolled: 1-line block ×4, first 2 shown]
	buffer_load_dword v2, off, s[0:3], 0 offset:328
	buffer_load_dword v3, off, s[0:3], 0 offset:332
	;; [unrolled: 1-line block ×26, first 2 shown]
	v_cmp_lt_u32_e32 vcc, 40, v0
	s_waitcnt vmcnt(22) lgkmcnt(3)
	v_mul_f32_e32 v29, v6, v28
	v_fmac_f32_e32 v29, v7, v5
	v_mul_f32_e32 v7, v7, v28
	s_waitcnt vmcnt(20)
	v_mul_f32_e32 v31, v8, v32
	v_fma_f32 v5, v6, v5, -v7
	v_mul_f32_e32 v6, v9, v32
	v_add_f32_e32 v29, 0, v29
	v_fmac_f32_e32 v31, v9, v30
	v_add_f32_e32 v5, 0, v5
	v_fma_f32 v6, v8, v30, -v6
	v_add_f32_e32 v29, v29, v31
	s_waitcnt vmcnt(18) lgkmcnt(2)
	v_mul_f32_e32 v31, v10, v45
	v_add_f32_e32 v28, v5, v6
	v_mul_f32_e32 v5, v11, v45
	v_fmac_f32_e32 v31, v11, v44
	s_waitcnt vmcnt(16)
	v_mul_f32_e32 v33, v12, v47
	v_fma_f32 v30, v10, v44, -v5
	v_mul_f32_e32 v5, v13, v47
	v_fmac_f32_e32 v33, v13, v46
	v_fma_f32 v32, v12, v46, -v5
	ds_read_b128 v[6:9], v4 offset:832
	ds_read_b128 v[10:13], v4 offset:848
	v_pk_add_f32 v[4:5], v[28:29], v[30:31]
	s_waitcnt vmcnt(14)
	v_mov_b32_e32 v28, v23
	s_waitcnt lgkmcnt(3)
	v_pk_mul_f32 v[28:29], v[14:15], v[28:29] op_sel_hi:[1,0]
	v_pk_fma_f32 v[30:31], v[14:15], v[22:23], v[28:29] op_sel:[0,0,1] op_sel_hi:[1,1,0] neg_lo:[0,0,1] neg_hi:[0,0,1]
	v_pk_fma_f32 v[14:15], v[14:15], v[22:23], v[28:29] op_sel:[0,0,1] op_sel_hi:[1,0,0]
	s_waitcnt vmcnt(12)
	v_mov_b32_e32 v14, v25
	v_mov_b32_e32 v31, v15
	v_pk_mul_f32 v[14:15], v[16:17], v[14:15] op_sel_hi:[1,0]
	v_pk_fma_f32 v[22:23], v[16:17], v[24:25], v[14:15] op_sel:[0,0,1] op_sel_hi:[1,1,0] neg_lo:[0,0,1] neg_hi:[0,0,1]
	v_pk_fma_f32 v[14:15], v[16:17], v[24:25], v[14:15] op_sel:[0,0,1] op_sel_hi:[1,0,0]
	s_waitcnt vmcnt(10)
	v_mov_b32_e32 v14, v27
	v_mov_b32_e32 v23, v15
	s_waitcnt lgkmcnt(2)
	v_pk_mul_f32 v[14:15], v[18:19], v[14:15] op_sel_hi:[1,0]
	v_pk_add_f32 v[4:5], v[4:5], v[32:33]
	v_pk_fma_f32 v[16:17], v[18:19], v[26:27], v[14:15] op_sel:[0,0,1] op_sel_hi:[1,1,0] neg_lo:[0,0,1] neg_hi:[0,0,1]
	v_pk_fma_f32 v[14:15], v[18:19], v[26:27], v[14:15] op_sel:[0,0,1] op_sel_hi:[1,0,0]
	v_pk_add_f32 v[4:5], v[4:5], v[30:31]
	s_waitcnt vmcnt(9)
	v_mov_b32_e32 v14, v35
	v_pk_add_f32 v[4:5], v[4:5], v[22:23]
	v_mov_b32_e32 v17, v15
	v_pk_mul_f32 v[14:15], v[20:21], v[14:15] op_sel_hi:[1,0]
	v_pk_add_f32 v[4:5], v[4:5], v[16:17]
	s_waitcnt vmcnt(8)
	v_pk_fma_f32 v[16:17], v[20:21], v[34:35], v[14:15] op_sel:[0,0,1] op_sel_hi:[1,1,0] neg_lo:[0,0,1] neg_hi:[0,0,1]
	v_pk_fma_f32 v[14:15], v[20:21], v[34:35], v[14:15] op_sel:[0,0,1] op_sel_hi:[1,0,0]
	s_waitcnt vmcnt(7)
	v_mov_b32_e32 v14, v37
	v_mov_b32_e32 v17, v15
	s_waitcnt lgkmcnt(1)
	v_pk_mul_f32 v[14:15], v[6:7], v[14:15] op_sel_hi:[1,0]
	v_pk_add_f32 v[4:5], v[4:5], v[16:17]
	s_waitcnt vmcnt(6)
	v_pk_fma_f32 v[16:17], v[6:7], v[36:37], v[14:15] op_sel:[0,0,1] op_sel_hi:[1,1,0] neg_lo:[0,0,1] neg_hi:[0,0,1]
	v_pk_fma_f32 v[6:7], v[6:7], v[36:37], v[14:15] op_sel:[0,0,1] op_sel_hi:[1,0,0]
	s_waitcnt vmcnt(5)
	v_mov_b32_e32 v6, v39
	v_mov_b32_e32 v17, v7
	v_pk_mul_f32 v[6:7], v[8:9], v[6:7] op_sel_hi:[1,0]
	s_waitcnt vmcnt(4)
	v_pk_fma_f32 v[14:15], v[8:9], v[38:39], v[6:7] op_sel:[0,0,1] op_sel_hi:[1,1,0] neg_lo:[0,0,1] neg_hi:[0,0,1]
	v_pk_fma_f32 v[6:7], v[8:9], v[38:39], v[6:7] op_sel:[0,0,1] op_sel_hi:[1,0,0]
	s_waitcnt vmcnt(3)
	v_mov_b32_e32 v6, v41
	v_mov_b32_e32 v15, v7
	s_waitcnt lgkmcnt(0)
	v_pk_mul_f32 v[6:7], v[10:11], v[6:7] op_sel_hi:[1,0]
	s_waitcnt vmcnt(2)
	v_pk_fma_f32 v[8:9], v[10:11], v[40:41], v[6:7] op_sel:[0,0,1] op_sel_hi:[1,1,0] neg_lo:[0,0,1] neg_hi:[0,0,1]
	v_pk_fma_f32 v[6:7], v[10:11], v[40:41], v[6:7] op_sel:[0,0,1] op_sel_hi:[1,0,0]
	v_pk_add_f32 v[4:5], v[4:5], v[16:17]
	s_waitcnt vmcnt(1)
	v_mov_b32_e32 v6, v43
	v_pk_add_f32 v[4:5], v[4:5], v[14:15]
	v_mov_b32_e32 v9, v7
	v_pk_mul_f32 v[6:7], v[12:13], v[6:7] op_sel_hi:[1,0]
	v_pk_add_f32 v[4:5], v[4:5], v[8:9]
	s_waitcnt vmcnt(0)
	v_pk_fma_f32 v[8:9], v[12:13], v[42:43], v[6:7] op_sel:[0,0,1] op_sel_hi:[1,1,0] neg_lo:[0,0,1] neg_hi:[0,0,1]
	v_pk_fma_f32 v[6:7], v[12:13], v[42:43], v[6:7] op_sel:[0,0,1] op_sel_hi:[1,0,0]
	v_mov_b32_e32 v9, v7
	v_pk_add_f32 v[4:5], v[4:5], v[8:9]
	v_pk_add_f32 v[2:3], v[2:3], v[4:5] neg_lo:[0,1] neg_hi:[0,1]
	buffer_store_dword v3, off, s[0:3], 0 offset:332
	buffer_store_dword v2, off, s[0:3], 0 offset:328
	s_and_saveexec_b64 s[4:5], vcc
	s_cbranch_execz .LBB53_257
; %bb.256:
	buffer_load_dword v2, off, s[0:3], 0 offset:320
	buffer_load_dword v3, off, s[0:3], 0 offset:324
	v_mov_b32_e32 v4, 0
	buffer_store_dword v4, off, s[0:3], 0 offset:320
	buffer_store_dword v4, off, s[0:3], 0 offset:324
	s_waitcnt vmcnt(2)
	ds_write_b64 v143, v[2:3]
.LBB53_257:
	s_or_b64 exec, exec, s[4:5]
	v_mov_b32_e32 v4, 0
	s_waitcnt lgkmcnt(0)
	; wave barrier
	s_waitcnt lgkmcnt(0)
	ds_read2_b64 v[6:9], v4 offset0:95 offset1:96
	buffer_load_dword v2, off, s[0:3], 0 offset:320
	buffer_load_dword v3, off, s[0:3], 0 offset:324
	;; [unrolled: 1-line block ×16, first 2 shown]
	v_cmp_lt_u32_e32 vcc, 39, v0
	s_waitcnt vmcnt(12) lgkmcnt(0)
	v_mul_f32_e32 v10, v6, v18
	v_fmac_f32_e32 v10, v7, v5
	s_waitcnt vmcnt(10)
	v_mul_f32_e32 v11, v8, v20
	v_add_f32_e32 v10, 0, v10
	v_fmac_f32_e32 v11, v9, v19
	v_add_f32_e32 v14, v10, v11
	ds_read2_b64 v[10:13], v4 offset0:97 offset1:98
	v_mul_f32_e32 v7, v7, v18
	v_fma_f32 v5, v6, v5, -v7
	v_mul_f32_e32 v6, v9, v20
	v_add_f32_e32 v5, 0, v5
	s_waitcnt vmcnt(8) lgkmcnt(0)
	v_mul_f32_e32 v15, v10, v26
	v_fmac_f32_e32 v15, v11, v21
	v_add_f32_e32 v27, v14, v15
	ds_read2_b64 v[14:17], v4 offset0:99 offset1:100
	buffer_load_dword v33, off, s[0:3], 0 offset:388
	buffer_load_dword v32, off, s[0:3], 0 offset:384
	buffer_load_dword v35, off, s[0:3], 0 offset:396
	buffer_load_dword v34, off, s[0:3], 0 offset:392
	buffer_load_dword v37, off, s[0:3], 0 offset:404
	buffer_load_dword v36, off, s[0:3], 0 offset:400
	buffer_load_dword v39, off, s[0:3], 0 offset:412
	buffer_load_dword v38, off, s[0:3], 0 offset:408
	buffer_load_dword v41, off, s[0:3], 0 offset:420
	buffer_load_dword v40, off, s[0:3], 0 offset:416
	buffer_load_dword v43, off, s[0:3], 0 offset:428
	buffer_load_dword v42, off, s[0:3], 0 offset:424
	v_fma_f32 v6, v8, v19, -v6
	v_add_f32_e32 v5, v5, v6
	v_mul_f32_e32 v6, v11, v26
	v_fma_f32 v6, v10, v21, -v6
	s_waitcnt vmcnt(18)
	v_mul_f32_e32 v29, v12, v30
	v_add_f32_e32 v26, v5, v6
	v_mul_f32_e32 v5, v13, v30
	v_fmac_f32_e32 v29, v13, v28
	v_fma_f32 v28, v12, v28, -v5
	s_waitcnt vmcnt(16) lgkmcnt(0)
	v_mul_f32_e32 v31, v14, v45
	v_mul_f32_e32 v5, v15, v45
	v_pk_add_f32 v[26:27], v[26:27], v[28:29]
	s_waitcnt vmcnt(14)
	v_mov_b32_e32 v28, v23
	v_fmac_f32_e32 v31, v15, v44
	v_fma_f32 v30, v14, v44, -v5
	ds_read2_b64 v[6:9], v4 offset0:101 offset1:102
	ds_read2_b64 v[10:13], v4 offset0:103 offset1:104
	;; [unrolled: 1-line block ×3, first 2 shown]
	ds_read_b64 v[14:15], v4 offset:856
	v_pk_mul_f32 v[28:29], v[16:17], v[28:29] op_sel_hi:[1,0]
	v_pk_add_f32 v[26:27], v[26:27], v[30:31]
	v_pk_fma_f32 v[30:31], v[16:17], v[22:23], v[28:29] op_sel:[0,0,1] op_sel_hi:[1,1,0] neg_lo:[0,0,1] neg_hi:[0,0,1]
	v_pk_fma_f32 v[16:17], v[16:17], v[22:23], v[28:29] op_sel:[0,0,1] op_sel_hi:[1,0,0]
	s_waitcnt vmcnt(12)
	v_mov_b32_e32 v22, v25
	v_mov_b32_e32 v31, v17
	s_waitcnt lgkmcnt(3)
	v_pk_mul_f32 v[22:23], v[6:7], v[22:23] op_sel_hi:[1,0]
	v_pk_add_f32 v[16:17], v[26:27], v[30:31]
	v_pk_fma_f32 v[26:27], v[6:7], v[24:25], v[22:23] op_sel:[0,0,1] op_sel_hi:[1,1,0] neg_lo:[0,0,1] neg_hi:[0,0,1]
	v_pk_fma_f32 v[6:7], v[6:7], v[24:25], v[22:23] op_sel:[0,0,1] op_sel_hi:[1,0,0]
	v_mov_b32_e32 v27, v7
	v_pk_add_f32 v[6:7], v[16:17], v[26:27]
	s_waitcnt vmcnt(11)
	v_mov_b32_e32 v16, v33
	v_pk_mul_f32 v[16:17], v[8:9], v[16:17] op_sel_hi:[1,0]
	s_waitcnt vmcnt(10)
	v_pk_fma_f32 v[22:23], v[8:9], v[32:33], v[16:17] op_sel:[0,0,1] op_sel_hi:[1,1,0] neg_lo:[0,0,1] neg_hi:[0,0,1]
	v_pk_fma_f32 v[8:9], v[8:9], v[32:33], v[16:17] op_sel:[0,0,1] op_sel_hi:[1,0,0]
	s_waitcnt vmcnt(9)
	v_mov_b32_e32 v8, v35
	v_mov_b32_e32 v23, v9
	s_waitcnt lgkmcnt(2)
	v_pk_mul_f32 v[8:9], v[10:11], v[8:9] op_sel_hi:[1,0]
	s_waitcnt vmcnt(8)
	v_pk_fma_f32 v[16:17], v[10:11], v[34:35], v[8:9] op_sel:[0,0,1] op_sel_hi:[1,1,0] neg_lo:[0,0,1] neg_hi:[0,0,1]
	v_pk_fma_f32 v[8:9], v[10:11], v[34:35], v[8:9] op_sel:[0,0,1] op_sel_hi:[1,0,0]
	s_waitcnt vmcnt(7)
	v_mov_b32_e32 v8, v37
	v_mov_b32_e32 v17, v9
	v_pk_mul_f32 v[8:9], v[12:13], v[8:9] op_sel_hi:[1,0]
	s_waitcnt vmcnt(6)
	v_pk_fma_f32 v[10:11], v[12:13], v[36:37], v[8:9] op_sel:[0,0,1] op_sel_hi:[1,1,0] neg_lo:[0,0,1] neg_hi:[0,0,1]
	v_pk_fma_f32 v[8:9], v[12:13], v[36:37], v[8:9] op_sel:[0,0,1] op_sel_hi:[1,0,0]
	v_pk_add_f32 v[6:7], v[6:7], v[22:23]
	s_waitcnt vmcnt(5)
	v_mov_b32_e32 v8, v39
	v_pk_add_f32 v[6:7], v[6:7], v[16:17]
	v_mov_b32_e32 v11, v9
	s_waitcnt lgkmcnt(1)
	v_pk_mul_f32 v[8:9], v[18:19], v[8:9] op_sel_hi:[1,0]
	v_pk_add_f32 v[6:7], v[6:7], v[10:11]
	s_waitcnt vmcnt(4)
	v_pk_fma_f32 v[10:11], v[18:19], v[38:39], v[8:9] op_sel:[0,0,1] op_sel_hi:[1,1,0] neg_lo:[0,0,1] neg_hi:[0,0,1]
	v_pk_fma_f32 v[8:9], v[18:19], v[38:39], v[8:9] op_sel:[0,0,1] op_sel_hi:[1,0,0]
	s_waitcnt vmcnt(3)
	v_mov_b32_e32 v8, v41
	v_mov_b32_e32 v11, v9
	v_pk_mul_f32 v[8:9], v[20:21], v[8:9] op_sel_hi:[1,0]
	v_pk_add_f32 v[6:7], v[6:7], v[10:11]
	s_waitcnt vmcnt(2)
	v_pk_fma_f32 v[10:11], v[20:21], v[40:41], v[8:9] op_sel:[0,0,1] op_sel_hi:[1,1,0] neg_lo:[0,0,1] neg_hi:[0,0,1]
	v_pk_fma_f32 v[8:9], v[20:21], v[40:41], v[8:9] op_sel:[0,0,1] op_sel_hi:[1,0,0]
	s_waitcnt vmcnt(1)
	v_mov_b32_e32 v8, v43
	v_mov_b32_e32 v11, v9
	s_waitcnt lgkmcnt(0)
	v_pk_mul_f32 v[8:9], v[14:15], v[8:9] op_sel_hi:[1,0]
	v_pk_add_f32 v[6:7], v[6:7], v[10:11]
	s_waitcnt vmcnt(0)
	v_pk_fma_f32 v[10:11], v[14:15], v[42:43], v[8:9] op_sel:[0,0,1] op_sel_hi:[1,1,0] neg_lo:[0,0,1] neg_hi:[0,0,1]
	v_pk_fma_f32 v[8:9], v[14:15], v[42:43], v[8:9] op_sel:[0,0,1] op_sel_hi:[1,0,0]
	v_mov_b32_e32 v11, v9
	v_pk_add_f32 v[6:7], v[6:7], v[10:11]
	v_pk_add_f32 v[2:3], v[2:3], v[6:7] neg_lo:[0,1] neg_hi:[0,1]
	buffer_store_dword v3, off, s[0:3], 0 offset:324
	buffer_store_dword v2, off, s[0:3], 0 offset:320
	s_and_saveexec_b64 s[4:5], vcc
	s_cbranch_execz .LBB53_259
; %bb.258:
	buffer_load_dword v2, off, s[0:3], 0 offset:312
	buffer_load_dword v3, off, s[0:3], 0 offset:316
	s_waitcnt vmcnt(0)
	ds_write_b64 v143, v[2:3]
	buffer_store_dword v4, off, s[0:3], 0 offset:312
	buffer_store_dword v4, off, s[0:3], 0 offset:316
.LBB53_259:
	s_or_b64 exec, exec, s[4:5]
	s_waitcnt lgkmcnt(0)
	; wave barrier
	s_waitcnt lgkmcnt(0)
	ds_read_b128 v[6:9], v4 offset:752
	ds_read_b128 v[10:13], v4 offset:768
	;; [unrolled: 1-line block ×4, first 2 shown]
	buffer_load_dword v2, off, s[0:3], 0 offset:312
	buffer_load_dword v3, off, s[0:3], 0 offset:316
	;; [unrolled: 1-line block ×30, first 2 shown]
	v_cmp_lt_u32_e32 vcc, 38, v0
	s_waitcnt vmcnt(26) lgkmcnt(3)
	v_mul_f32_e32 v25, v6, v24
	v_fmac_f32_e32 v25, v7, v5
	v_mul_f32_e32 v7, v7, v24
	s_waitcnt vmcnt(24)
	v_mul_f32_e32 v27, v8, v28
	v_fma_f32 v5, v6, v5, -v7
	v_mul_f32_e32 v6, v9, v28
	v_add_f32_e32 v25, 0, v25
	v_fmac_f32_e32 v27, v9, v26
	v_add_f32_e32 v5, 0, v5
	v_fma_f32 v6, v8, v26, -v6
	v_add_f32_e32 v25, v25, v27
	s_waitcnt vmcnt(22) lgkmcnt(2)
	v_mul_f32_e32 v27, v10, v45
	v_add_f32_e32 v5, v5, v6
	v_mul_f32_e32 v6, v11, v45
	v_fmac_f32_e32 v27, v11, v44
	v_fma_f32 v6, v10, v44, -v6
	v_add_f32_e32 v25, v25, v27
	s_waitcnt vmcnt(20)
	v_mul_f32_e32 v27, v12, v47
	v_add_f32_e32 v5, v5, v6
	v_mul_f32_e32 v6, v13, v47
	v_fmac_f32_e32 v27, v13, v46
	v_fma_f32 v6, v12, v46, -v6
	v_add_f32_e32 v25, v25, v27
	s_waitcnt vmcnt(18) lgkmcnt(1)
	v_mul_f32_e32 v27, v14, v49
	v_add_f32_e32 v24, v5, v6
	v_mul_f32_e32 v5, v15, v49
	v_fmac_f32_e32 v27, v15, v48
	s_waitcnt vmcnt(16)
	v_mul_f32_e32 v29, v16, v51
	v_fma_f32 v26, v14, v48, -v5
	v_mul_f32_e32 v5, v17, v51
	v_fmac_f32_e32 v29, v17, v50
	v_fma_f32 v28, v16, v50, -v5
	ds_read_b128 v[6:9], v4 offset:816
	ds_read_b128 v[10:13], v4 offset:832
	;; [unrolled: 1-line block ×3, first 2 shown]
	v_pk_add_f32 v[4:5], v[24:25], v[26:27]
	s_waitcnt vmcnt(14)
	v_mov_b32_e32 v24, v23
	s_waitcnt lgkmcnt(3)
	v_pk_mul_f32 v[24:25], v[18:19], v[24:25] op_sel_hi:[1,0]
	v_pk_fma_f32 v[26:27], v[18:19], v[22:23], v[24:25] op_sel:[0,0,1] op_sel_hi:[1,1,0] neg_lo:[0,0,1] neg_hi:[0,0,1]
	v_pk_fma_f32 v[18:19], v[18:19], v[22:23], v[24:25] op_sel:[0,0,1] op_sel_hi:[1,0,0]
	s_waitcnt vmcnt(13)
	v_mov_b32_e32 v18, v31
	v_mov_b32_e32 v27, v19
	v_pk_mul_f32 v[18:19], v[20:21], v[18:19] op_sel_hi:[1,0]
	s_waitcnt vmcnt(12)
	v_pk_fma_f32 v[22:23], v[20:21], v[30:31], v[18:19] op_sel:[0,0,1] op_sel_hi:[1,1,0] neg_lo:[0,0,1] neg_hi:[0,0,1]
	v_pk_fma_f32 v[18:19], v[20:21], v[30:31], v[18:19] op_sel:[0,0,1] op_sel_hi:[1,0,0]
	s_waitcnt vmcnt(11)
	v_mov_b32_e32 v18, v33
	v_mov_b32_e32 v23, v19
	s_waitcnt lgkmcnt(2)
	v_pk_mul_f32 v[18:19], v[6:7], v[18:19] op_sel_hi:[1,0]
	s_waitcnt vmcnt(10)
	v_pk_fma_f32 v[20:21], v[6:7], v[32:33], v[18:19] op_sel:[0,0,1] op_sel_hi:[1,1,0] neg_lo:[0,0,1] neg_hi:[0,0,1]
	v_pk_fma_f32 v[6:7], v[6:7], v[32:33], v[18:19] op_sel:[0,0,1] op_sel_hi:[1,0,0]
	s_waitcnt vmcnt(9)
	v_mov_b32_e32 v6, v35
	v_mov_b32_e32 v21, v7
	v_pk_mul_f32 v[6:7], v[8:9], v[6:7] op_sel_hi:[1,0]
	s_waitcnt vmcnt(8)
	v_pk_fma_f32 v[18:19], v[8:9], v[34:35], v[6:7] op_sel:[0,0,1] op_sel_hi:[1,1,0] neg_lo:[0,0,1] neg_hi:[0,0,1]
	v_pk_fma_f32 v[6:7], v[8:9], v[34:35], v[6:7] op_sel:[0,0,1] op_sel_hi:[1,0,0]
	v_pk_add_f32 v[4:5], v[4:5], v[28:29]
	s_waitcnt vmcnt(7)
	v_mov_b32_e32 v6, v37
	v_pk_add_f32 v[4:5], v[4:5], v[26:27]
	v_mov_b32_e32 v19, v7
	s_waitcnt lgkmcnt(1)
	v_pk_mul_f32 v[6:7], v[10:11], v[6:7] op_sel_hi:[1,0]
	v_pk_add_f32 v[4:5], v[4:5], v[22:23]
	s_waitcnt vmcnt(6)
	v_pk_fma_f32 v[8:9], v[10:11], v[36:37], v[6:7] op_sel:[0,0,1] op_sel_hi:[1,1,0] neg_lo:[0,0,1] neg_hi:[0,0,1]
	v_pk_fma_f32 v[6:7], v[10:11], v[36:37], v[6:7] op_sel:[0,0,1] op_sel_hi:[1,0,0]
	v_pk_add_f32 v[4:5], v[4:5], v[20:21]
	s_waitcnt vmcnt(5)
	v_mov_b32_e32 v6, v39
	v_pk_add_f32 v[4:5], v[4:5], v[18:19]
	v_mov_b32_e32 v9, v7
	v_pk_mul_f32 v[6:7], v[12:13], v[6:7] op_sel_hi:[1,0]
	v_pk_add_f32 v[4:5], v[4:5], v[8:9]
	s_waitcnt vmcnt(4)
	v_pk_fma_f32 v[8:9], v[12:13], v[38:39], v[6:7] op_sel:[0,0,1] op_sel_hi:[1,1,0] neg_lo:[0,0,1] neg_hi:[0,0,1]
	v_pk_fma_f32 v[6:7], v[12:13], v[38:39], v[6:7] op_sel:[0,0,1] op_sel_hi:[1,0,0]
	s_waitcnt vmcnt(3)
	v_mov_b32_e32 v6, v41
	v_mov_b32_e32 v9, v7
	s_waitcnt lgkmcnt(0)
	v_pk_mul_f32 v[6:7], v[14:15], v[6:7] op_sel_hi:[1,0]
	v_pk_add_f32 v[4:5], v[4:5], v[8:9]
	s_waitcnt vmcnt(2)
	v_pk_fma_f32 v[8:9], v[14:15], v[40:41], v[6:7] op_sel:[0,0,1] op_sel_hi:[1,1,0] neg_lo:[0,0,1] neg_hi:[0,0,1]
	v_pk_fma_f32 v[6:7], v[14:15], v[40:41], v[6:7] op_sel:[0,0,1] op_sel_hi:[1,0,0]
	s_waitcnt vmcnt(1)
	v_mov_b32_e32 v6, v43
	v_mov_b32_e32 v9, v7
	v_pk_mul_f32 v[6:7], v[16:17], v[6:7] op_sel_hi:[1,0]
	v_pk_add_f32 v[4:5], v[4:5], v[8:9]
	s_waitcnt vmcnt(0)
	v_pk_fma_f32 v[8:9], v[16:17], v[42:43], v[6:7] op_sel:[0,0,1] op_sel_hi:[1,1,0] neg_lo:[0,0,1] neg_hi:[0,0,1]
	v_pk_fma_f32 v[6:7], v[16:17], v[42:43], v[6:7] op_sel:[0,0,1] op_sel_hi:[1,0,0]
	v_mov_b32_e32 v9, v7
	v_pk_add_f32 v[4:5], v[4:5], v[8:9]
	v_pk_add_f32 v[2:3], v[2:3], v[4:5] neg_lo:[0,1] neg_hi:[0,1]
	buffer_store_dword v3, off, s[0:3], 0 offset:316
	buffer_store_dword v2, off, s[0:3], 0 offset:312
	s_and_saveexec_b64 s[4:5], vcc
	s_cbranch_execz .LBB53_261
; %bb.260:
	buffer_load_dword v2, off, s[0:3], 0 offset:304
	buffer_load_dword v3, off, s[0:3], 0 offset:308
	v_mov_b32_e32 v4, 0
	buffer_store_dword v4, off, s[0:3], 0 offset:304
	buffer_store_dword v4, off, s[0:3], 0 offset:308
	s_waitcnt vmcnt(2)
	ds_write_b64 v143, v[2:3]
.LBB53_261:
	s_or_b64 exec, exec, s[4:5]
	v_mov_b32_e32 v4, 0
	s_waitcnt lgkmcnt(0)
	; wave barrier
	s_waitcnt lgkmcnt(0)
	ds_read2_b64 v[6:9], v4 offset0:93 offset1:94
	buffer_load_dword v2, off, s[0:3], 0 offset:304
	buffer_load_dword v3, off, s[0:3], 0 offset:308
	;; [unrolled: 1-line block ×16, first 2 shown]
	v_cmp_lt_u32_e32 vcc, 37, v0
	s_waitcnt vmcnt(12) lgkmcnt(0)
	v_mul_f32_e32 v10, v6, v22
	v_fmac_f32_e32 v10, v7, v5
	s_waitcnt vmcnt(10)
	v_mul_f32_e32 v11, v8, v26
	v_add_f32_e32 v10, 0, v10
	v_fmac_f32_e32 v11, v9, v24
	v_add_f32_e32 v14, v10, v11
	ds_read2_b64 v[10:13], v4 offset0:95 offset1:96
	v_mul_f32_e32 v7, v7, v22
	v_fma_f32 v5, v6, v5, -v7
	v_mul_f32_e32 v6, v9, v26
	v_add_f32_e32 v5, 0, v5
	s_waitcnt vmcnt(8) lgkmcnt(0)
	v_mul_f32_e32 v15, v10, v45
	v_fmac_f32_e32 v15, v11, v44
	v_add_f32_e32 v14, v14, v15
	s_waitcnt vmcnt(6)
	v_mul_f32_e32 v15, v12, v47
	v_fmac_f32_e32 v15, v13, v46
	v_add_f32_e32 v18, v14, v15
	ds_read2_b64 v[14:17], v4 offset0:97 offset1:98
	v_fma_f32 v6, v8, v24, -v6
	v_add_f32_e32 v5, v5, v6
	v_mul_f32_e32 v6, v11, v45
	v_fma_f32 v6, v10, v44, -v6
	s_waitcnt vmcnt(4) lgkmcnt(0)
	v_mul_f32_e32 v19, v14, v49
	v_fmac_f32_e32 v19, v15, v48
	v_add_f32_e32 v23, v18, v19
	ds_read2_b64 v[18:21], v4 offset0:99 offset1:100
	buffer_load_dword v29, off, s[0:3], 0 offset:372
	buffer_load_dword v28, off, s[0:3], 0 offset:368
	;; [unrolled: 1-line block ×16, first 2 shown]
	v_add_f32_e32 v5, v5, v6
	v_mul_f32_e32 v6, v13, v47
	v_fma_f32 v6, v12, v46, -v6
	v_add_f32_e32 v5, v5, v6
	v_mul_f32_e32 v6, v15, v49
	v_fma_f32 v6, v14, v48, -v6
	s_waitcnt vmcnt(18)
	v_mul_f32_e32 v25, v16, v51
	v_add_f32_e32 v22, v5, v6
	v_mul_f32_e32 v5, v17, v51
	v_fmac_f32_e32 v25, v17, v50
	v_fma_f32 v24, v16, v50, -v5
	s_waitcnt vmcnt(16) lgkmcnt(0)
	v_mul_f32_e32 v27, v18, v53
	v_mul_f32_e32 v5, v19, v53
	v_pk_add_f32 v[22:23], v[22:23], v[24:25]
	v_fmac_f32_e32 v27, v19, v52
	v_fma_f32 v26, v18, v52, -v5
	v_pk_add_f32 v[22:23], v[22:23], v[26:27]
	ds_read2_b64 v[6:9], v4 offset0:101 offset1:102
	ds_read2_b64 v[10:13], v4 offset0:103 offset1:104
	;; [unrolled: 1-line block ×3, first 2 shown]
	ds_read_b64 v[18:19], v4 offset:856
	s_waitcnt vmcnt(15)
	v_mov_b32_e32 v24, v29
	v_pk_mul_f32 v[24:25], v[20:21], v[24:25] op_sel_hi:[1,0]
	s_waitcnt vmcnt(14)
	v_pk_fma_f32 v[26:27], v[20:21], v[28:29], v[24:25] op_sel:[0,0,1] op_sel_hi:[1,1,0] neg_lo:[0,0,1] neg_hi:[0,0,1]
	v_pk_fma_f32 v[20:21], v[20:21], v[28:29], v[24:25] op_sel:[0,0,1] op_sel_hi:[1,0,0]
	v_mov_b32_e32 v27, v21
	v_pk_add_f32 v[20:21], v[22:23], v[26:27]
	s_waitcnt vmcnt(13)
	v_mov_b32_e32 v22, v31
	s_waitcnt lgkmcnt(3)
	v_pk_mul_f32 v[22:23], v[6:7], v[22:23] op_sel_hi:[1,0]
	s_waitcnt vmcnt(12)
	v_pk_fma_f32 v[24:25], v[6:7], v[30:31], v[22:23] op_sel:[0,0,1] op_sel_hi:[1,1,0] neg_lo:[0,0,1] neg_hi:[0,0,1]
	v_pk_fma_f32 v[6:7], v[6:7], v[30:31], v[22:23] op_sel:[0,0,1] op_sel_hi:[1,0,0]
	v_mov_b32_e32 v25, v7
	v_pk_add_f32 v[6:7], v[20:21], v[24:25]
	s_waitcnt vmcnt(11)
	v_mov_b32_e32 v20, v33
	v_pk_mul_f32 v[20:21], v[8:9], v[20:21] op_sel_hi:[1,0]
	s_waitcnt vmcnt(10)
	v_pk_fma_f32 v[22:23], v[8:9], v[32:33], v[20:21] op_sel:[0,0,1] op_sel_hi:[1,1,0] neg_lo:[0,0,1] neg_hi:[0,0,1]
	v_pk_fma_f32 v[8:9], v[8:9], v[32:33], v[20:21] op_sel:[0,0,1] op_sel_hi:[1,0,0]
	s_waitcnt vmcnt(9)
	v_mov_b32_e32 v8, v35
	v_mov_b32_e32 v23, v9
	s_waitcnt lgkmcnt(2)
	v_pk_mul_f32 v[8:9], v[10:11], v[8:9] op_sel_hi:[1,0]
	s_waitcnt vmcnt(8)
	v_pk_fma_f32 v[20:21], v[10:11], v[34:35], v[8:9] op_sel:[0,0,1] op_sel_hi:[1,1,0] neg_lo:[0,0,1] neg_hi:[0,0,1]
	v_pk_fma_f32 v[8:9], v[10:11], v[34:35], v[8:9] op_sel:[0,0,1] op_sel_hi:[1,0,0]
	s_waitcnt vmcnt(7)
	v_mov_b32_e32 v8, v37
	v_mov_b32_e32 v21, v9
	v_pk_mul_f32 v[8:9], v[12:13], v[8:9] op_sel_hi:[1,0]
	s_waitcnt vmcnt(6)
	v_pk_fma_f32 v[10:11], v[12:13], v[36:37], v[8:9] op_sel:[0,0,1] op_sel_hi:[1,1,0] neg_lo:[0,0,1] neg_hi:[0,0,1]
	v_pk_fma_f32 v[8:9], v[12:13], v[36:37], v[8:9] op_sel:[0,0,1] op_sel_hi:[1,0,0]
	v_pk_add_f32 v[6:7], v[6:7], v[22:23]
	s_waitcnt vmcnt(5)
	v_mov_b32_e32 v8, v39
	v_pk_add_f32 v[6:7], v[6:7], v[20:21]
	v_mov_b32_e32 v11, v9
	s_waitcnt lgkmcnt(1)
	v_pk_mul_f32 v[8:9], v[14:15], v[8:9] op_sel_hi:[1,0]
	v_pk_add_f32 v[6:7], v[6:7], v[10:11]
	s_waitcnt vmcnt(4)
	v_pk_fma_f32 v[10:11], v[14:15], v[38:39], v[8:9] op_sel:[0,0,1] op_sel_hi:[1,1,0] neg_lo:[0,0,1] neg_hi:[0,0,1]
	v_pk_fma_f32 v[8:9], v[14:15], v[38:39], v[8:9] op_sel:[0,0,1] op_sel_hi:[1,0,0]
	s_waitcnt vmcnt(3)
	v_mov_b32_e32 v8, v41
	v_mov_b32_e32 v11, v9
	v_pk_mul_f32 v[8:9], v[16:17], v[8:9] op_sel_hi:[1,0]
	v_pk_add_f32 v[6:7], v[6:7], v[10:11]
	s_waitcnt vmcnt(2)
	v_pk_fma_f32 v[10:11], v[16:17], v[40:41], v[8:9] op_sel:[0,0,1] op_sel_hi:[1,1,0] neg_lo:[0,0,1] neg_hi:[0,0,1]
	v_pk_fma_f32 v[8:9], v[16:17], v[40:41], v[8:9] op_sel:[0,0,1] op_sel_hi:[1,0,0]
	s_waitcnt vmcnt(1)
	v_mov_b32_e32 v8, v43
	v_mov_b32_e32 v11, v9
	s_waitcnt lgkmcnt(0)
	v_pk_mul_f32 v[8:9], v[18:19], v[8:9] op_sel_hi:[1,0]
	v_pk_add_f32 v[6:7], v[6:7], v[10:11]
	s_waitcnt vmcnt(0)
	v_pk_fma_f32 v[10:11], v[18:19], v[42:43], v[8:9] op_sel:[0,0,1] op_sel_hi:[1,1,0] neg_lo:[0,0,1] neg_hi:[0,0,1]
	v_pk_fma_f32 v[8:9], v[18:19], v[42:43], v[8:9] op_sel:[0,0,1] op_sel_hi:[1,0,0]
	v_mov_b32_e32 v11, v9
	v_pk_add_f32 v[6:7], v[6:7], v[10:11]
	v_pk_add_f32 v[2:3], v[2:3], v[6:7] neg_lo:[0,1] neg_hi:[0,1]
	buffer_store_dword v3, off, s[0:3], 0 offset:308
	buffer_store_dword v2, off, s[0:3], 0 offset:304
	s_and_saveexec_b64 s[4:5], vcc
	s_cbranch_execz .LBB53_263
; %bb.262:
	buffer_load_dword v2, off, s[0:3], 0 offset:296
	buffer_load_dword v3, off, s[0:3], 0 offset:300
	s_waitcnt vmcnt(0)
	ds_write_b64 v143, v[2:3]
	buffer_store_dword v4, off, s[0:3], 0 offset:296
	buffer_store_dword v4, off, s[0:3], 0 offset:300
.LBB53_263:
	s_or_b64 exec, exec, s[4:5]
	s_waitcnt lgkmcnt(0)
	; wave barrier
	s_waitcnt lgkmcnt(0)
	buffer_load_dword v52, off, s[0:3], 0 offset:308
	buffer_load_dword v54, off, s[0:3], 0 offset:316
	;; [unrolled: 1-line block ×32, first 2 shown]
	ds_read_b128 v[6:9], v4 offset:736
	ds_read_b128 v[10:13], v4 offset:752
	;; [unrolled: 1-line block ×4, first 2 shown]
	buffer_load_dword v51, off, s[0:3], 0 offset:428
	buffer_load_dword v50, off, s[0:3], 0 offset:424
	ds_read_b128 v[22:25], v4 offset:800
	ds_read_b128 v[26:29], v4 offset:816
	;; [unrolled: 1-line block ×4, first 2 shown]
	v_cmp_lt_u32_e32 vcc, 36, v0
	s_waitcnt vmcnt(33) lgkmcnt(7)
	v_mul_f32_e32 v70, v6, v52
	v_mul_f32_e32 v52, v7, v52
	s_waitcnt vmcnt(32)
	v_mul_f32_e32 v71, v8, v54
	s_waitcnt vmcnt(30) lgkmcnt(6)
	v_mul_f32_e32 v73, v12, v57
	v_mul_f32_e32 v54, v9, v54
	;; [unrolled: 1-line block ×5, first 2 shown]
	s_waitcnt vmcnt(25)
	v_fmac_f32_e32 v70, v7, v62
	v_fma_f32 v6, v6, v62, -v52
	s_waitcnt vmcnt(24)
	v_fmac_f32_e32 v71, v9, v63
	v_fma_f32 v7, v8, v63, -v54
	s_waitcnt vmcnt(22)
	v_fma_f32 v9, v12, v65, -v57
	v_add_f32_e32 v12, 0, v70
	v_add_f32_e32 v6, 0, v6
	v_fmac_f32_e32 v72, v11, v64
	v_fma_f32 v8, v10, v64, -v56
	v_add_f32_e32 v12, v12, v71
	v_add_f32_e32 v6, v6, v7
	s_waitcnt lgkmcnt(5)
	v_mul_f32_e32 v74, v14, v58
	v_mul_f32_e32 v58, v15, v58
	v_fmac_f32_e32 v73, v13, v65
	v_add_f32_e32 v7, v12, v72
	v_add_f32_e32 v6, v6, v8
	v_mul_f32_e32 v75, v16, v59
	v_mul_f32_e32 v59, v17, v59
	s_waitcnt vmcnt(21)
	v_fmac_f32_e32 v74, v15, v66
	v_fma_f32 v10, v14, v66, -v58
	v_add_f32_e32 v7, v7, v73
	v_add_f32_e32 v6, v6, v9
	s_waitcnt vmcnt(17)
	v_mov_b32_e32 v8, v35
	s_waitcnt lgkmcnt(4)
	v_mul_f32_e32 v53, v18, v60
	v_mul_f32_e32 v60, v19, v60
	v_fmac_f32_e32 v75, v17, v67
	v_fma_f32 v11, v16, v67, -v59
	v_add_f32_e32 v7, v7, v74
	v_add_f32_e32 v6, v6, v10
	s_waitcnt lgkmcnt(3)
	v_pk_mul_f32 v[8:9], v[22:23], v[8:9] op_sel_hi:[1,0]
	v_mul_f32_e32 v55, v20, v61
	v_mul_f32_e32 v61, v21, v61
	v_fmac_f32_e32 v53, v19, v68
	v_fma_f32 v52, v18, v68, -v60
	v_add_f32_e32 v7, v7, v75
	v_add_f32_e32 v6, v6, v11
	s_waitcnt vmcnt(14)
	v_pk_fma_f32 v[10:11], v[22:23], v[34:35], v[8:9] op_sel:[0,0,1] op_sel_hi:[1,1,0] neg_lo:[0,0,1] neg_hi:[0,0,1]
	v_pk_fma_f32 v[8:9], v[22:23], v[34:35], v[8:9] op_sel:[0,0,1] op_sel_hi:[1,0,0]
	v_fmac_f32_e32 v55, v21, v69
	v_fma_f32 v54, v20, v69, -v61
	v_pk_add_f32 v[6:7], v[6:7], v[52:53]
	s_waitcnt vmcnt(13)
	v_mov_b32_e32 v8, v39
	v_pk_add_f32 v[6:7], v[6:7], v[54:55]
	v_mov_b32_e32 v11, v9
	v_pk_mul_f32 v[8:9], v[24:25], v[8:9] op_sel_hi:[1,0]
	v_pk_add_f32 v[6:7], v[6:7], v[10:11]
	v_pk_fma_f32 v[10:11], v[24:25], v[38:39], v[8:9] op_sel:[0,0,1] op_sel_hi:[1,1,0] neg_lo:[0,0,1] neg_hi:[0,0,1]
	v_pk_fma_f32 v[8:9], v[24:25], v[38:39], v[8:9] op_sel:[0,0,1] op_sel_hi:[1,0,0]
	s_waitcnt vmcnt(12)
	v_mov_b32_e32 v8, v37
	v_mov_b32_e32 v11, v9
	s_waitcnt lgkmcnt(2)
	v_pk_mul_f32 v[8:9], v[26:27], v[8:9] op_sel_hi:[1,0]
	v_pk_add_f32 v[6:7], v[6:7], v[10:11]
	v_pk_fma_f32 v[10:11], v[26:27], v[36:37], v[8:9] op_sel:[0,0,1] op_sel_hi:[1,1,0] neg_lo:[0,0,1] neg_hi:[0,0,1]
	v_pk_fma_f32 v[8:9], v[26:27], v[36:37], v[8:9] op_sel:[0,0,1] op_sel_hi:[1,0,0]
	s_waitcnt vmcnt(11)
	v_mov_b32_e32 v8, v41
	v_mov_b32_e32 v11, v9
	v_pk_mul_f32 v[8:9], v[28:29], v[8:9] op_sel_hi:[1,0]
	v_pk_add_f32 v[6:7], v[6:7], v[10:11]
	s_waitcnt vmcnt(5)
	v_pk_fma_f32 v[10:11], v[28:29], v[40:41], v[8:9] op_sel:[0,0,1] op_sel_hi:[1,1,0] neg_lo:[0,0,1] neg_hi:[0,0,1]
	v_pk_fma_f32 v[8:9], v[28:29], v[40:41], v[8:9] op_sel:[0,0,1] op_sel_hi:[1,0,0]
	v_mov_b32_e32 v8, v47
	v_mov_b32_e32 v11, v9
	s_waitcnt lgkmcnt(1)
	v_pk_mul_f32 v[8:9], v[30:31], v[8:9] op_sel_hi:[1,0]
	v_pk_add_f32 v[6:7], v[6:7], v[10:11]
	v_pk_fma_f32 v[10:11], v[30:31], v[46:47], v[8:9] op_sel:[0,0,1] op_sel_hi:[1,1,0] neg_lo:[0,0,1] neg_hi:[0,0,1]
	v_pk_fma_f32 v[8:9], v[30:31], v[46:47], v[8:9] op_sel:[0,0,1] op_sel_hi:[1,0,0]
	v_mov_b32_e32 v8, v45
	v_mov_b32_e32 v11, v9
	v_pk_mul_f32 v[8:9], v[32:33], v[8:9] op_sel_hi:[1,0]
	v_pk_add_f32 v[6:7], v[6:7], v[10:11]
	v_pk_fma_f32 v[10:11], v[32:33], v[44:45], v[8:9] op_sel:[0,0,1] op_sel_hi:[1,1,0] neg_lo:[0,0,1] neg_hi:[0,0,1]
	v_pk_fma_f32 v[8:9], v[32:33], v[44:45], v[8:9] op_sel:[0,0,1] op_sel_hi:[1,0,0]
	s_waitcnt vmcnt(2)
	v_mov_b32_e32 v8, v43
	v_mov_b32_e32 v11, v9
	s_waitcnt lgkmcnt(0)
	v_pk_mul_f32 v[8:9], v[2:3], v[8:9] op_sel_hi:[1,0]
	v_pk_add_f32 v[6:7], v[6:7], v[10:11]
	v_pk_fma_f32 v[10:11], v[2:3], v[42:43], v[8:9] op_sel:[0,0,1] op_sel_hi:[1,1,0] neg_lo:[0,0,1] neg_hi:[0,0,1]
	v_pk_fma_f32 v[2:3], v[2:3], v[42:43], v[8:9] op_sel:[0,0,1] op_sel_hi:[1,0,0]
	v_mov_b32_e32 v11, v3
	v_pk_add_f32 v[2:3], v[6:7], v[10:11]
	s_waitcnt vmcnt(1)
	v_mov_b32_e32 v6, v51
	v_pk_mul_f32 v[6:7], v[4:5], v[6:7] op_sel_hi:[1,0]
	s_waitcnt vmcnt(0)
	v_pk_fma_f32 v[8:9], v[4:5], v[50:51], v[6:7] op_sel:[0,0,1] op_sel_hi:[1,1,0] neg_lo:[0,0,1] neg_hi:[0,0,1]
	v_pk_fma_f32 v[4:5], v[4:5], v[50:51], v[6:7] op_sel:[0,0,1] op_sel_hi:[1,0,0]
	v_mov_b32_e32 v9, v5
	v_pk_add_f32 v[2:3], v[2:3], v[8:9]
	v_pk_add_f32 v[2:3], v[48:49], v[2:3] neg_lo:[0,1] neg_hi:[0,1]
	buffer_store_dword v3, off, s[0:3], 0 offset:300
	buffer_store_dword v2, off, s[0:3], 0 offset:296
	s_and_saveexec_b64 s[4:5], vcc
	s_cbranch_execz .LBB53_265
; %bb.264:
	buffer_load_dword v2, off, s[0:3], 0 offset:288
	buffer_load_dword v3, off, s[0:3], 0 offset:292
	v_mov_b32_e32 v4, 0
	buffer_store_dword v4, off, s[0:3], 0 offset:288
	buffer_store_dword v4, off, s[0:3], 0 offset:292
	s_waitcnt vmcnt(2)
	ds_write_b64 v143, v[2:3]
.LBB53_265:
	s_or_b64 exec, exec, s[4:5]
	s_waitcnt lgkmcnt(0)
	; wave barrier
	s_waitcnt lgkmcnt(0)
	buffer_load_dword v3, off, s[0:3], 0 offset:300
	buffer_load_dword v46, off, s[0:3], 0 offset:308
	;; [unrolled: 1-line block ×36, first 2 shown]
	v_mov_b32_e32 v2, 0
	ds_read2_b64 v[4:7], v2 offset0:91 offset1:92
	ds_read2_b64 v[8:11], v2 offset0:93 offset1:94
	;; [unrolled: 1-line block ×6, first 2 shown]
	v_cmp_lt_u32_e32 vcc, 35, v0
	s_waitcnt vmcnt(35) lgkmcnt(5)
	v_mul_f32_e32 v65, v4, v3
	s_waitcnt vmcnt(34)
	v_mul_f32_e32 v66, v6, v46
	s_waitcnt vmcnt(33) lgkmcnt(4)
	v_mul_f32_e32 v67, v8, v48
	v_mul_f32_e32 v3, v5, v3
	;; [unrolled: 1-line block ×4, first 2 shown]
	s_waitcnt vmcnt(32)
	v_mul_f32_e32 v68, v10, v50
	s_waitcnt vmcnt(31) lgkmcnt(3)
	v_mul_f32_e32 v69, v12, v51
	v_mul_f32_e32 v50, v11, v50
	s_waitcnt vmcnt(26)
	v_fmac_f32_e32 v65, v5, v56
	s_waitcnt vmcnt(25)
	v_fmac_f32_e32 v66, v7, v57
	;; [unrolled: 2-line block ×3, first 2 shown]
	v_fma_f32 v3, v4, v56, -v3
	v_add_f32_e32 v9, 0, v65
	v_fma_f32 v4, v6, v57, -v46
	v_add_f32_e32 v3, 0, v3
	v_add_f32_e32 v9, v9, v66
	s_waitcnt vmcnt(23)
	v_fmac_f32_e32 v68, v11, v59
	v_fma_f32 v5, v8, v58, -v48
	v_add_f32_e32 v3, v3, v4
	v_add_f32_e32 v4, v9, v67
	v_mul_f32_e32 v70, v14, v52
	v_mul_f32_e32 v51, v13, v51
	s_waitcnt vmcnt(22)
	v_fmac_f32_e32 v69, v13, v60
	v_fma_f32 v6, v10, v59, -v50
	v_add_f32_e32 v3, v3, v5
	v_add_f32_e32 v4, v4, v68
	s_waitcnt lgkmcnt(2)
	v_mul_f32_e32 v71, v16, v53
	v_mul_f32_e32 v52, v15, v52
	s_waitcnt vmcnt(21)
	v_fmac_f32_e32 v70, v15, v61
	v_fma_f32 v7, v12, v60, -v51
	v_add_f32_e32 v3, v3, v6
	v_add_f32_e32 v4, v4, v69
	v_mul_f32_e32 v53, v17, v53
	s_waitcnt vmcnt(20)
	v_fmac_f32_e32 v71, v17, v62
	v_fma_f32 v8, v14, v61, -v52
	v_add_f32_e32 v3, v3, v7
	v_add_f32_e32 v4, v4, v70
	;; [unrolled: 1-line block ×4, first 2 shown]
	v_fma_f32 v4, v16, v62, -v53
	s_waitcnt vmcnt(17)
	v_mov_b32_e32 v16, v29
	v_mul_f32_e32 v47, v18, v54
	v_add_f32_e32 v12, v3, v4
	v_mul_f32_e32 v3, v19, v54
	s_waitcnt lgkmcnt(1)
	v_pk_mul_f32 v[16:17], v[22:23], v[16:17] op_sel_hi:[1,0]
	v_mul_f32_e32 v49, v20, v55
	v_fmac_f32_e32 v47, v19, v63
	v_fma_f32 v46, v18, v63, -v3
	v_mul_f32_e32 v3, v21, v55
	s_waitcnt vmcnt(15)
	v_pk_fma_f32 v[18:19], v[22:23], v[28:29], v[16:17] op_sel:[0,0,1] op_sel_hi:[1,1,0] neg_lo:[0,0,1] neg_hi:[0,0,1]
	v_pk_fma_f32 v[16:17], v[22:23], v[28:29], v[16:17] op_sel:[0,0,1] op_sel_hi:[1,0,0]
	v_fmac_f32_e32 v49, v21, v64
	v_fma_f32 v48, v20, v64, -v3
	v_pk_add_f32 v[12:13], v[12:13], v[46:47]
	s_waitcnt vmcnt(12)
	v_mov_b32_e32 v16, v31
	v_pk_add_f32 v[12:13], v[12:13], v[48:49]
	v_mov_b32_e32 v19, v17
	s_waitcnt lgkmcnt(0)
	v_pk_mul_f32 v[16:17], v[24:25], v[16:17] op_sel_hi:[1,0]
	v_pk_add_f32 v[12:13], v[12:13], v[18:19]
	v_pk_fma_f32 v[18:19], v[24:25], v[30:31], v[16:17] op_sel:[0,0,1] op_sel_hi:[1,1,0] neg_lo:[0,0,1] neg_hi:[0,0,1]
	v_pk_fma_f32 v[16:17], v[24:25], v[30:31], v[16:17] op_sel:[0,0,1] op_sel_hi:[1,0,0]
	s_waitcnt vmcnt(11)
	v_mov_b32_e32 v16, v35
	ds_read2_b64 v[4:7], v2 offset0:103 offset1:104
	ds_read2_b64 v[8:11], v2 offset0:105 offset1:106
	ds_read_b64 v[14:15], v2 offset:856
	v_mov_b32_e32 v19, v17
	v_pk_mul_f32 v[16:17], v[26:27], v[16:17] op_sel_hi:[1,0]
	v_pk_add_f32 v[12:13], v[12:13], v[18:19]
	s_waitcnt vmcnt(4)
	v_pk_fma_f32 v[18:19], v[26:27], v[34:35], v[16:17] op_sel:[0,0,1] op_sel_hi:[1,1,0] neg_lo:[0,0,1] neg_hi:[0,0,1]
	v_pk_fma_f32 v[16:17], v[26:27], v[34:35], v[16:17] op_sel:[0,0,1] op_sel_hi:[1,0,0]
	v_mov_b32_e32 v16, v41
	v_mov_b32_e32 v19, v17
	s_waitcnt lgkmcnt(2)
	v_pk_mul_f32 v[16:17], v[4:5], v[16:17] op_sel_hi:[1,0]
	v_pk_add_f32 v[12:13], v[12:13], v[18:19]
	v_pk_fma_f32 v[18:19], v[4:5], v[40:41], v[16:17] op_sel:[0,0,1] op_sel_hi:[1,1,0] neg_lo:[0,0,1] neg_hi:[0,0,1]
	v_pk_fma_f32 v[4:5], v[4:5], v[40:41], v[16:17] op_sel:[0,0,1] op_sel_hi:[1,0,0]
	v_mov_b32_e32 v19, v5
	v_pk_add_f32 v[4:5], v[12:13], v[18:19]
	v_mov_b32_e32 v12, v39
	v_pk_mul_f32 v[12:13], v[6:7], v[12:13] op_sel_hi:[1,0]
	v_pk_fma_f32 v[16:17], v[6:7], v[38:39], v[12:13] op_sel:[0,0,1] op_sel_hi:[1,1,0] neg_lo:[0,0,1] neg_hi:[0,0,1]
	v_pk_fma_f32 v[6:7], v[6:7], v[38:39], v[12:13] op_sel:[0,0,1] op_sel_hi:[1,0,0]
	v_mov_b32_e32 v6, v37
	v_mov_b32_e32 v17, v7
	s_waitcnt lgkmcnt(1)
	v_pk_mul_f32 v[6:7], v[8:9], v[6:7] op_sel_hi:[1,0]
	v_pk_fma_f32 v[12:13], v[8:9], v[36:37], v[6:7] op_sel:[0,0,1] op_sel_hi:[1,1,0] neg_lo:[0,0,1] neg_hi:[0,0,1]
	v_pk_fma_f32 v[6:7], v[8:9], v[36:37], v[6:7] op_sel:[0,0,1] op_sel_hi:[1,0,0]
	s_waitcnt vmcnt(1)
	v_mov_b32_e32 v6, v45
	v_mov_b32_e32 v13, v7
	v_pk_mul_f32 v[6:7], v[10:11], v[6:7] op_sel_hi:[1,0]
	s_waitcnt vmcnt(0)
	v_pk_fma_f32 v[8:9], v[10:11], v[44:45], v[6:7] op_sel:[0,0,1] op_sel_hi:[1,1,0] neg_lo:[0,0,1] neg_hi:[0,0,1]
	v_pk_fma_f32 v[6:7], v[10:11], v[44:45], v[6:7] op_sel:[0,0,1] op_sel_hi:[1,0,0]
	v_pk_add_f32 v[4:5], v[4:5], v[16:17]
	v_mov_b32_e32 v6, v43
	v_pk_add_f32 v[4:5], v[4:5], v[12:13]
	v_mov_b32_e32 v9, v7
	s_waitcnt lgkmcnt(0)
	v_pk_mul_f32 v[6:7], v[14:15], v[6:7] op_sel_hi:[1,0]
	v_pk_add_f32 v[4:5], v[4:5], v[8:9]
	v_pk_fma_f32 v[8:9], v[14:15], v[42:43], v[6:7] op_sel:[0,0,1] op_sel_hi:[1,1,0] neg_lo:[0,0,1] neg_hi:[0,0,1]
	v_pk_fma_f32 v[6:7], v[14:15], v[42:43], v[6:7] op_sel:[0,0,1] op_sel_hi:[1,0,0]
	v_mov_b32_e32 v9, v7
	v_pk_add_f32 v[4:5], v[4:5], v[8:9]
	v_pk_add_f32 v[4:5], v[32:33], v[4:5] neg_lo:[0,1] neg_hi:[0,1]
	buffer_store_dword v5, off, s[0:3], 0 offset:292
	buffer_store_dword v4, off, s[0:3], 0 offset:288
	s_and_saveexec_b64 s[4:5], vcc
	s_cbranch_execz .LBB53_267
; %bb.266:
	buffer_load_dword v4, off, s[0:3], 0 offset:280
	buffer_load_dword v5, off, s[0:3], 0 offset:284
	s_waitcnt vmcnt(0)
	ds_write_b64 v143, v[4:5]
	buffer_store_dword v2, off, s[0:3], 0 offset:280
	buffer_store_dword v2, off, s[0:3], 0 offset:284
.LBB53_267:
	s_or_b64 exec, exec, s[4:5]
	s_waitcnt lgkmcnt(0)
	; wave barrier
	s_waitcnt lgkmcnt(0)
	buffer_load_dword v3, off, s[0:3], 0 offset:292
	buffer_load_dword v46, off, s[0:3], 0 offset:300
	;; [unrolled: 1-line block ×22, first 2 shown]
	ds_read_b128 v[4:7], v2 offset:720
	ds_read_b128 v[8:11], v2 offset:736
	buffer_load_dword v31, off, s[0:3], 0 offset:372
	buffer_load_dword v30, off, s[0:3], 0 offset:368
	;; [unrolled: 1-line block ×10, first 2 shown]
	ds_read_b128 v[12:15], v2 offset:752
	ds_read_b128 v[16:19], v2 offset:768
	;; [unrolled: 1-line block ×4, first 2 shown]
	buffer_load_dword v41, off, s[0:3], 0 offset:428
	buffer_load_dword v40, off, s[0:3], 0 offset:424
	;; [unrolled: 1-line block ×6, first 2 shown]
	v_cmp_lt_u32_e32 vcc, 34, v0
	s_waitcnt vmcnt(37) lgkmcnt(5)
	v_mul_f32_e32 v67, v4, v3
	s_waitcnt vmcnt(36)
	v_mul_f32_e32 v68, v6, v46
	s_waitcnt vmcnt(35) lgkmcnt(4)
	v_mul_f32_e32 v69, v8, v48
	v_mul_f32_e32 v3, v5, v3
	v_mul_f32_e32 v48, v9, v48
	v_mul_f32_e32 v46, v7, v46
	s_waitcnt vmcnt(34)
	v_mul_f32_e32 v70, v10, v50
	s_waitcnt vmcnt(33) lgkmcnt(3)
	v_mul_f32_e32 v71, v12, v51
	s_waitcnt vmcnt(32)
	v_mul_f32_e32 v72, v14, v52
	s_waitcnt vmcnt(31) lgkmcnt(2)
	v_mul_f32_e32 v73, v16, v53
	s_waitcnt vmcnt(27)
	v_fmac_f32_e32 v67, v5, v57
	s_waitcnt vmcnt(26)
	v_fmac_f32_e32 v68, v7, v58
	v_fma_f32 v3, v4, v57, -v3
	s_waitcnt vmcnt(25)
	v_fma_f32 v5, v8, v59, -v48
	v_add_f32_e32 v8, 0, v67
	v_fmac_f32_e32 v69, v9, v59
	v_fma_f32 v4, v6, v58, -v46
	v_add_f32_e32 v3, 0, v3
	v_add_f32_e32 v8, v8, v68
	s_waitcnt vmcnt(24)
	v_fmac_f32_e32 v70, v11, v60
	v_add_f32_e32 v3, v3, v4
	v_add_f32_e32 v4, v8, v69
	s_waitcnt vmcnt(23)
	v_fmac_f32_e32 v71, v13, v61
	v_add_f32_e32 v4, v4, v70
	v_mul_f32_e32 v50, v11, v50
	s_waitcnt vmcnt(22)
	v_fmac_f32_e32 v72, v15, v62
	v_add_f32_e32 v4, v4, v71
	v_mul_f32_e32 v74, v18, v54
	v_mul_f32_e32 v51, v13, v51
	s_waitcnt vmcnt(21)
	v_fmac_f32_e32 v73, v17, v63
	v_fma_f32 v6, v10, v60, -v50
	v_add_f32_e32 v3, v3, v5
	v_add_f32_e32 v4, v4, v72
	v_mul_f32_e32 v52, v15, v52
	s_waitcnt vmcnt(20)
	v_fmac_f32_e32 v74, v19, v64
	v_fma_f32 v7, v12, v61, -v51
	v_add_f32_e32 v3, v3, v6
	v_add_f32_e32 v4, v4, v73
	;; [unrolled: 1-line block ×4, first 2 shown]
	v_fma_f32 v4, v14, v62, -v52
	v_add_f32_e32 v3, v3, v4
	v_mul_f32_e32 v4, v17, v53
	v_fma_f32 v4, v16, v63, -v4
	v_add_f32_e32 v3, v3, v4
	v_mul_f32_e32 v4, v19, v54
	v_fma_f32 v4, v18, v64, -v4
	s_waitcnt vmcnt(15)
	v_mov_b32_e32 v16, v31
	s_waitcnt lgkmcnt(1)
	v_mul_f32_e32 v47, v20, v55
	v_add_f32_e32 v50, v3, v4
	v_mul_f32_e32 v3, v21, v55
	s_waitcnt lgkmcnt(0)
	v_pk_mul_f32 v[16:17], v[24:25], v[16:17] op_sel_hi:[1,0]
	v_mul_f32_e32 v49, v22, v56
	v_fmac_f32_e32 v47, v21, v65
	v_fma_f32 v46, v20, v65, -v3
	v_mul_f32_e32 v3, v23, v56
	s_waitcnt vmcnt(14)
	v_pk_fma_f32 v[18:19], v[24:25], v[30:31], v[16:17] op_sel:[0,0,1] op_sel_hi:[1,1,0] neg_lo:[0,0,1] neg_hi:[0,0,1]
	v_pk_fma_f32 v[16:17], v[24:25], v[30:31], v[16:17] op_sel:[0,0,1] op_sel_hi:[1,0,0]
	v_fmac_f32_e32 v49, v23, v66
	v_fma_f32 v48, v22, v66, -v3
	ds_read_b128 v[4:7], v2 offset:816
	ds_read_b128 v[8:11], v2 offset:832
	;; [unrolled: 1-line block ×3, first 2 shown]
	v_pk_add_f32 v[2:3], v[50:51], v[46:47]
	s_waitcnt vmcnt(13)
	v_mov_b32_e32 v16, v33
	v_pk_add_f32 v[2:3], v[2:3], v[48:49]
	v_mov_b32_e32 v19, v17
	v_pk_mul_f32 v[16:17], v[26:27], v[16:17] op_sel_hi:[1,0]
	v_pk_add_f32 v[2:3], v[2:3], v[18:19]
	s_waitcnt vmcnt(6)
	v_pk_fma_f32 v[18:19], v[26:27], v[32:33], v[16:17] op_sel:[0,0,1] op_sel_hi:[1,1,0] neg_lo:[0,0,1] neg_hi:[0,0,1]
	v_pk_fma_f32 v[16:17], v[26:27], v[32:33], v[16:17] op_sel:[0,0,1] op_sel_hi:[1,0,0]
	v_mov_b32_e32 v16, v39
	v_mov_b32_e32 v19, v17
	s_waitcnt lgkmcnt(2)
	v_pk_mul_f32 v[16:17], v[4:5], v[16:17] op_sel_hi:[1,0]
	v_pk_add_f32 v[2:3], v[2:3], v[18:19]
	v_pk_fma_f32 v[18:19], v[4:5], v[38:39], v[16:17] op_sel:[0,0,1] op_sel_hi:[1,1,0] neg_lo:[0,0,1] neg_hi:[0,0,1]
	v_pk_fma_f32 v[4:5], v[4:5], v[38:39], v[16:17] op_sel:[0,0,1] op_sel_hi:[1,0,0]
	v_mov_b32_e32 v4, v37
	v_mov_b32_e32 v19, v5
	v_pk_mul_f32 v[4:5], v[6:7], v[4:5] op_sel_hi:[1,0]
	v_pk_fma_f32 v[16:17], v[6:7], v[36:37], v[4:5] op_sel:[0,0,1] op_sel_hi:[1,1,0] neg_lo:[0,0,1] neg_hi:[0,0,1]
	v_pk_fma_f32 v[4:5], v[6:7], v[36:37], v[4:5] op_sel:[0,0,1] op_sel_hi:[1,0,0]
	v_mov_b32_e32 v4, v35
	v_mov_b32_e32 v17, v5
	s_waitcnt lgkmcnt(1)
	v_pk_mul_f32 v[4:5], v[8:9], v[4:5] op_sel_hi:[1,0]
	v_pk_fma_f32 v[6:7], v[8:9], v[34:35], v[4:5] op_sel:[0,0,1] op_sel_hi:[1,1,0] neg_lo:[0,0,1] neg_hi:[0,0,1]
	v_pk_fma_f32 v[4:5], v[8:9], v[34:35], v[4:5] op_sel:[0,0,1] op_sel_hi:[1,0,0]
	v_pk_add_f32 v[2:3], v[2:3], v[18:19]
	s_waitcnt vmcnt(1)
	v_mov_b32_e32 v4, v45
	v_pk_add_f32 v[2:3], v[2:3], v[16:17]
	v_mov_b32_e32 v7, v5
	v_pk_mul_f32 v[4:5], v[10:11], v[4:5] op_sel_hi:[1,0]
	v_pk_add_f32 v[2:3], v[2:3], v[6:7]
	s_waitcnt vmcnt(0)
	v_pk_fma_f32 v[6:7], v[10:11], v[44:45], v[4:5] op_sel:[0,0,1] op_sel_hi:[1,1,0] neg_lo:[0,0,1] neg_hi:[0,0,1]
	v_pk_fma_f32 v[4:5], v[10:11], v[44:45], v[4:5] op_sel:[0,0,1] op_sel_hi:[1,0,0]
	v_mov_b32_e32 v4, v43
	v_mov_b32_e32 v7, v5
	s_waitcnt lgkmcnt(0)
	v_pk_mul_f32 v[4:5], v[12:13], v[4:5] op_sel_hi:[1,0]
	v_pk_add_f32 v[2:3], v[2:3], v[6:7]
	v_pk_fma_f32 v[6:7], v[12:13], v[42:43], v[4:5] op_sel:[0,0,1] op_sel_hi:[1,1,0] neg_lo:[0,0,1] neg_hi:[0,0,1]
	v_pk_fma_f32 v[4:5], v[12:13], v[42:43], v[4:5] op_sel:[0,0,1] op_sel_hi:[1,0,0]
	v_mov_b32_e32 v4, v41
	v_mov_b32_e32 v7, v5
	v_pk_mul_f32 v[4:5], v[14:15], v[4:5] op_sel_hi:[1,0]
	v_pk_add_f32 v[2:3], v[2:3], v[6:7]
	v_pk_fma_f32 v[6:7], v[14:15], v[40:41], v[4:5] op_sel:[0,0,1] op_sel_hi:[1,1,0] neg_lo:[0,0,1] neg_hi:[0,0,1]
	v_pk_fma_f32 v[4:5], v[14:15], v[40:41], v[4:5] op_sel:[0,0,1] op_sel_hi:[1,0,0]
	v_mov_b32_e32 v7, v5
	v_pk_add_f32 v[2:3], v[2:3], v[6:7]
	v_pk_add_f32 v[2:3], v[28:29], v[2:3] neg_lo:[0,1] neg_hi:[0,1]
	buffer_store_dword v3, off, s[0:3], 0 offset:284
	buffer_store_dword v2, off, s[0:3], 0 offset:280
	s_and_saveexec_b64 s[4:5], vcc
	s_cbranch_execz .LBB53_269
; %bb.268:
	buffer_load_dword v2, off, s[0:3], 0 offset:272
	buffer_load_dword v3, off, s[0:3], 0 offset:276
	v_mov_b32_e32 v4, 0
	buffer_store_dword v4, off, s[0:3], 0 offset:272
	buffer_store_dword v4, off, s[0:3], 0 offset:276
	s_waitcnt vmcnt(2)
	ds_write_b64 v143, v[2:3]
.LBB53_269:
	s_or_b64 exec, exec, s[4:5]
	s_waitcnt lgkmcnt(0)
	; wave barrier
	s_waitcnt lgkmcnt(0)
	buffer_load_dword v3, off, s[0:3], 0 offset:284
	buffer_load_dword v46, off, s[0:3], 0 offset:292
	;; [unrolled: 1-line block ×40, first 2 shown]
	v_mov_b32_e32 v2, 0
	ds_read2_b64 v[4:7], v2 offset0:89 offset1:90
	ds_read2_b64 v[8:11], v2 offset0:91 offset1:92
	;; [unrolled: 1-line block ×6, first 2 shown]
	v_cmp_lt_u32_e32 vcc, 33, v0
	s_waitcnt vmcnt(39) lgkmcnt(5)
	v_mul_f32_e32 v69, v4, v3
	s_waitcnt vmcnt(38)
	v_mul_f32_e32 v70, v6, v46
	v_mul_f32_e32 v3, v5, v3
	s_waitcnt vmcnt(37) lgkmcnt(4)
	v_mul_f32_e32 v71, v8, v48
	v_mul_f32_e32 v46, v7, v46
	s_waitcnt vmcnt(36)
	v_mul_f32_e32 v72, v10, v50
	s_waitcnt vmcnt(35) lgkmcnt(3)
	v_mul_f32_e32 v73, v12, v52
	s_waitcnt vmcnt(34)
	v_mul_f32_e32 v74, v14, v53
	s_waitcnt vmcnt(33) lgkmcnt(2)
	;; [unrolled: 4-line block ×3, first 2 shown]
	v_mul_f32_e32 v77, v20, v56
	s_waitcnt vmcnt(28)
	v_fmac_f32_e32 v69, v5, v51
	s_waitcnt vmcnt(27)
	v_fmac_f32_e32 v70, v7, v59
	v_fma_f32 v3, v4, v51, -v3
	v_add_f32_e32 v7, 0, v69
	s_waitcnt vmcnt(26)
	v_fmac_f32_e32 v71, v9, v60
	v_fma_f32 v4, v6, v59, -v46
	v_add_f32_e32 v3, 0, v3
	v_add_f32_e32 v7, v7, v70
	s_waitcnt vmcnt(25)
	v_fmac_f32_e32 v72, v11, v61
	v_add_f32_e32 v3, v3, v4
	v_add_f32_e32 v4, v7, v71
	s_waitcnt vmcnt(24)
	v_fmac_f32_e32 v73, v13, v62
	v_add_f32_e32 v4, v4, v72
	s_waitcnt vmcnt(23)
	v_fmac_f32_e32 v74, v15, v63
	;; [unrolled: 3-line block ×3, first 2 shown]
	v_add_f32_e32 v4, v4, v74
	v_mul_f32_e32 v48, v9, v48
	s_waitcnt vmcnt(21)
	v_fmac_f32_e32 v76, v19, v65
	v_add_f32_e32 v4, v4, v75
	v_mul_f32_e32 v50, v11, v50
	s_waitcnt vmcnt(20)
	v_fmac_f32_e32 v77, v21, v66
	v_fma_f32 v5, v8, v60, -v48
	v_add_f32_e32 v4, v4, v76
	v_fma_f32 v6, v10, v61, -v50
	v_add_f32_e32 v3, v3, v5
	v_add_f32_e32 v51, v4, v77
	v_mul_f32_e32 v4, v13, v52
	v_add_f32_e32 v3, v3, v6
	v_fma_f32 v4, v12, v62, -v4
	v_add_f32_e32 v3, v3, v4
	v_mul_f32_e32 v4, v15, v53
	v_fma_f32 v4, v14, v63, -v4
	v_add_f32_e32 v3, v3, v4
	v_mul_f32_e32 v4, v17, v54
	;; [unrolled: 3-line block ×4, first 2 shown]
	v_fma_f32 v4, v20, v66, -v4
	s_waitcnt vmcnt(9)
	v_mov_b32_e32 v20, v37
	v_mul_f32_e32 v47, v22, v57
	v_add_f32_e32 v50, v3, v4
	v_mul_f32_e32 v3, v23, v57
	s_waitcnt lgkmcnt(0)
	v_pk_mul_f32 v[20:21], v[26:27], v[20:21] op_sel_hi:[1,0]
	v_mul_f32_e32 v49, v24, v58
	v_fmac_f32_e32 v47, v23, v67
	v_fma_f32 v46, v22, v67, -v3
	v_mul_f32_e32 v3, v25, v58
	ds_read2_b64 v[4:7], v2 offset0:101 offset1:102
	ds_read2_b64 v[8:11], v2 offset0:103 offset1:104
	;; [unrolled: 1-line block ×3, first 2 shown]
	ds_read_b64 v[16:17], v2 offset:856
	s_waitcnt vmcnt(8)
	v_pk_fma_f32 v[22:23], v[26:27], v[36:37], v[20:21] op_sel:[0,0,1] op_sel_hi:[1,1,0] neg_lo:[0,0,1] neg_hi:[0,0,1]
	v_pk_fma_f32 v[20:21], v[26:27], v[36:37], v[20:21] op_sel:[0,0,1] op_sel_hi:[1,0,0]
	v_fmac_f32_e32 v49, v25, v68
	v_fma_f32 v48, v24, v68, -v3
	v_pk_add_f32 v[18:19], v[50:51], v[46:47]
	v_mov_b32_e32 v20, v35
	v_pk_add_f32 v[18:19], v[18:19], v[48:49]
	v_mov_b32_e32 v23, v21
	s_waitcnt lgkmcnt(3)
	v_pk_mul_f32 v[20:21], v[4:5], v[20:21] op_sel_hi:[1,0]
	v_pk_add_f32 v[18:19], v[18:19], v[22:23]
	v_pk_fma_f32 v[22:23], v[4:5], v[34:35], v[20:21] op_sel:[0,0,1] op_sel_hi:[1,1,0] neg_lo:[0,0,1] neg_hi:[0,0,1]
	v_pk_fma_f32 v[4:5], v[4:5], v[34:35], v[20:21] op_sel:[0,0,1] op_sel_hi:[1,0,0]
	v_mov_b32_e32 v23, v5
	v_pk_add_f32 v[4:5], v[18:19], v[22:23]
	v_mov_b32_e32 v18, v33
	v_pk_mul_f32 v[18:19], v[6:7], v[18:19] op_sel_hi:[1,0]
	v_pk_fma_f32 v[20:21], v[6:7], v[32:33], v[18:19] op_sel:[0,0,1] op_sel_hi:[1,1,0] neg_lo:[0,0,1] neg_hi:[0,0,1]
	v_pk_fma_f32 v[6:7], v[6:7], v[32:33], v[18:19] op_sel:[0,0,1] op_sel_hi:[1,0,0]
	v_mov_b32_e32 v6, v31
	v_mov_b32_e32 v21, v7
	s_waitcnt lgkmcnt(2)
	v_pk_mul_f32 v[6:7], v[8:9], v[6:7] op_sel_hi:[1,0]
	v_pk_fma_f32 v[18:19], v[8:9], v[30:31], v[6:7] op_sel:[0,0,1] op_sel_hi:[1,1,0] neg_lo:[0,0,1] neg_hi:[0,0,1]
	v_pk_fma_f32 v[6:7], v[8:9], v[30:31], v[6:7] op_sel:[0,0,1] op_sel_hi:[1,0,0]
	s_waitcnt vmcnt(1)
	v_mov_b32_e32 v6, v45
	v_mov_b32_e32 v19, v7
	v_pk_mul_f32 v[6:7], v[10:11], v[6:7] op_sel_hi:[1,0]
	s_waitcnt vmcnt(0)
	v_pk_fma_f32 v[8:9], v[10:11], v[44:45], v[6:7] op_sel:[0,0,1] op_sel_hi:[1,1,0] neg_lo:[0,0,1] neg_hi:[0,0,1]
	v_pk_fma_f32 v[6:7], v[10:11], v[44:45], v[6:7] op_sel:[0,0,1] op_sel_hi:[1,0,0]
	v_pk_add_f32 v[4:5], v[4:5], v[20:21]
	v_mov_b32_e32 v6, v43
	v_pk_add_f32 v[4:5], v[4:5], v[18:19]
	v_mov_b32_e32 v9, v7
	s_waitcnt lgkmcnt(1)
	v_pk_mul_f32 v[6:7], v[12:13], v[6:7] op_sel_hi:[1,0]
	v_pk_add_f32 v[4:5], v[4:5], v[8:9]
	v_pk_fma_f32 v[8:9], v[12:13], v[42:43], v[6:7] op_sel:[0,0,1] op_sel_hi:[1,1,0] neg_lo:[0,0,1] neg_hi:[0,0,1]
	v_pk_fma_f32 v[6:7], v[12:13], v[42:43], v[6:7] op_sel:[0,0,1] op_sel_hi:[1,0,0]
	v_mov_b32_e32 v6, v41
	v_mov_b32_e32 v9, v7
	v_pk_mul_f32 v[6:7], v[14:15], v[6:7] op_sel_hi:[1,0]
	v_pk_add_f32 v[4:5], v[4:5], v[8:9]
	v_pk_fma_f32 v[8:9], v[14:15], v[40:41], v[6:7] op_sel:[0,0,1] op_sel_hi:[1,1,0] neg_lo:[0,0,1] neg_hi:[0,0,1]
	v_pk_fma_f32 v[6:7], v[14:15], v[40:41], v[6:7] op_sel:[0,0,1] op_sel_hi:[1,0,0]
	v_mov_b32_e32 v6, v39
	v_mov_b32_e32 v9, v7
	s_waitcnt lgkmcnt(0)
	v_pk_mul_f32 v[6:7], v[16:17], v[6:7] op_sel_hi:[1,0]
	v_pk_add_f32 v[4:5], v[4:5], v[8:9]
	v_pk_fma_f32 v[8:9], v[16:17], v[38:39], v[6:7] op_sel:[0,0,1] op_sel_hi:[1,1,0] neg_lo:[0,0,1] neg_hi:[0,0,1]
	v_pk_fma_f32 v[6:7], v[16:17], v[38:39], v[6:7] op_sel:[0,0,1] op_sel_hi:[1,0,0]
	v_mov_b32_e32 v9, v7
	v_pk_add_f32 v[4:5], v[4:5], v[8:9]
	v_pk_add_f32 v[4:5], v[28:29], v[4:5] neg_lo:[0,1] neg_hi:[0,1]
	buffer_store_dword v5, off, s[0:3], 0 offset:276
	buffer_store_dword v4, off, s[0:3], 0 offset:272
	s_and_saveexec_b64 s[4:5], vcc
	s_cbranch_execz .LBB53_271
; %bb.270:
	buffer_load_dword v4, off, s[0:3], 0 offset:264
	buffer_load_dword v5, off, s[0:3], 0 offset:268
	s_waitcnt vmcnt(0)
	ds_write_b64 v143, v[4:5]
	buffer_store_dword v2, off, s[0:3], 0 offset:264
	buffer_store_dword v2, off, s[0:3], 0 offset:268
.LBB53_271:
	s_or_b64 exec, exec, s[4:5]
	s_waitcnt lgkmcnt(0)
	; wave barrier
	s_waitcnt lgkmcnt(0)
	buffer_load_dword v3, off, s[0:3], 0 offset:276
	buffer_load_dword v46, off, s[0:3], 0 offset:284
	;; [unrolled: 1-line block ×26, first 2 shown]
	ds_read_b128 v[4:7], v2 offset:704
	ds_read_b128 v[8:11], v2 offset:720
	;; [unrolled: 1-line block ×6, first 2 shown]
	buffer_load_dword v31, off, s[0:3], 0 offset:388
	buffer_load_dword v30, off, s[0:3], 0 offset:384
	;; [unrolled: 1-line block ×16, first 2 shown]
	v_cmp_lt_u32_e32 vcc, 32, v0
	s_waitcnt vmcnt(41) lgkmcnt(5)
	v_mul_f32_e32 v71, v4, v3
	s_waitcnt vmcnt(40)
	v_mul_f32_e32 v72, v6, v46
	v_mul_f32_e32 v3, v5, v3
	;; [unrolled: 1-line block ×3, first 2 shown]
	s_waitcnt vmcnt(39) lgkmcnt(4)
	v_mul_f32_e32 v73, v8, v48
	s_waitcnt vmcnt(38)
	v_mul_f32_e32 v74, v10, v50
	s_waitcnt vmcnt(37) lgkmcnt(3)
	v_mul_f32_e32 v75, v12, v52
	s_waitcnt vmcnt(36)
	v_mul_f32_e32 v76, v14, v53
	s_waitcnt vmcnt(35) lgkmcnt(2)
	v_mul_f32_e32 v77, v16, v54
	s_waitcnt vmcnt(34)
	v_mul_f32_e32 v78, v18, v55
	s_waitcnt vmcnt(33) lgkmcnt(1)
	v_mul_f32_e32 v79, v20, v56
	s_waitcnt vmcnt(32)
	v_mul_f32_e32 v80, v22, v57
	s_waitcnt vmcnt(29)
	v_fmac_f32_e32 v71, v5, v51
	s_waitcnt vmcnt(28)
	v_fmac_f32_e32 v72, v7, v60
	v_fma_f32 v3, v4, v51, -v3
	v_fma_f32 v4, v6, v60, -v46
	v_add_f32_e32 v6, 0, v71
	s_waitcnt vmcnt(27)
	v_fmac_f32_e32 v73, v9, v61
	v_add_f32_e32 v3, 0, v3
	v_add_f32_e32 v6, v6, v72
	s_waitcnt vmcnt(26)
	v_fmac_f32_e32 v74, v11, v62
	v_add_f32_e32 v3, v3, v4
	;; [unrolled: 4-line block ×3, first 2 shown]
	s_waitcnt vmcnt(24)
	v_fmac_f32_e32 v76, v15, v64
	v_add_f32_e32 v4, v4, v75
	s_waitcnt vmcnt(23)
	v_fmac_f32_e32 v77, v17, v65
	v_add_f32_e32 v4, v4, v76
	;; [unrolled: 3-line block ×4, first 2 shown]
	v_mul_f32_e32 v48, v9, v48
	s_waitcnt vmcnt(20)
	v_fmac_f32_e32 v80, v23, v68
	v_add_f32_e32 v4, v4, v79
	v_fma_f32 v5, v8, v61, -v48
	v_add_f32_e32 v51, v4, v80
	v_mul_f32_e32 v4, v11, v50
	v_add_f32_e32 v3, v3, v5
	v_fma_f32 v4, v10, v62, -v4
	v_add_f32_e32 v3, v3, v4
	v_mul_f32_e32 v4, v13, v52
	v_fma_f32 v4, v12, v63, -v4
	v_add_f32_e32 v3, v3, v4
	v_mul_f32_e32 v4, v15, v53
	;; [unrolled: 3-line block ×6, first 2 shown]
	v_fma_f32 v4, v22, v68, -v4
	v_add_f32_e32 v50, v3, v4
	ds_read_b128 v[4:7], v2 offset:800
	ds_read_b128 v[8:11], v2 offset:816
	;; [unrolled: 1-line block ×4, first 2 shown]
	s_waitcnt vmcnt(11)
	v_mov_b32_e32 v20, v35
	s_waitcnt lgkmcnt(3)
	v_pk_mul_f32 v[20:21], v[4:5], v[20:21] op_sel_hi:[1,0]
	s_waitcnt vmcnt(10)
	v_pk_fma_f32 v[22:23], v[4:5], v[34:35], v[20:21] op_sel:[0,0,1] op_sel_hi:[1,1,0] neg_lo:[0,0,1] neg_hi:[0,0,1]
	v_pk_fma_f32 v[4:5], v[4:5], v[34:35], v[20:21] op_sel:[0,0,1] op_sel_hi:[1,0,0]
	v_mov_b32_e32 v4, v33
	v_mov_b32_e32 v23, v5
	v_pk_mul_f32 v[4:5], v[6:7], v[4:5] op_sel_hi:[1,0]
	v_mul_f32_e32 v47, v24, v58
	v_mul_f32_e32 v3, v25, v58
	v_pk_fma_f32 v[20:21], v[6:7], v[32:33], v[4:5] op_sel:[0,0,1] op_sel_hi:[1,1,0] neg_lo:[0,0,1] neg_hi:[0,0,1]
	v_pk_fma_f32 v[4:5], v[6:7], v[32:33], v[4:5] op_sel:[0,0,1] op_sel_hi:[1,0,0]
	v_mul_f32_e32 v49, v26, v59
	v_fmac_f32_e32 v47, v25, v69
	v_fma_f32 v46, v24, v69, -v3
	v_mul_f32_e32 v3, v27, v59
	v_mov_b32_e32 v4, v31
	v_fmac_f32_e32 v49, v27, v70
	v_fma_f32 v48, v26, v70, -v3
	v_pk_add_f32 v[2:3], v[50:51], v[46:47]
	v_mov_b32_e32 v21, v5
	s_waitcnt lgkmcnt(2)
	v_pk_mul_f32 v[4:5], v[8:9], v[4:5] op_sel_hi:[1,0]
	v_pk_add_f32 v[2:3], v[2:3], v[48:49]
	v_pk_fma_f32 v[6:7], v[8:9], v[30:31], v[4:5] op_sel:[0,0,1] op_sel_hi:[1,1,0] neg_lo:[0,0,1] neg_hi:[0,0,1]
	v_pk_fma_f32 v[4:5], v[8:9], v[30:31], v[4:5] op_sel:[0,0,1] op_sel_hi:[1,0,0]
	v_pk_add_f32 v[2:3], v[2:3], v[22:23]
	s_waitcnt vmcnt(3)
	v_mov_b32_e32 v4, v43
	v_pk_add_f32 v[2:3], v[2:3], v[20:21]
	v_mov_b32_e32 v7, v5
	v_pk_mul_f32 v[4:5], v[10:11], v[4:5] op_sel_hi:[1,0]
	v_pk_add_f32 v[2:3], v[2:3], v[6:7]
	s_waitcnt vmcnt(2)
	v_pk_fma_f32 v[6:7], v[10:11], v[42:43], v[4:5] op_sel:[0,0,1] op_sel_hi:[1,1,0] neg_lo:[0,0,1] neg_hi:[0,0,1]
	v_pk_fma_f32 v[4:5], v[10:11], v[42:43], v[4:5] op_sel:[0,0,1] op_sel_hi:[1,0,0]
	v_mov_b32_e32 v4, v41
	v_mov_b32_e32 v7, v5
	s_waitcnt lgkmcnt(1)
	v_pk_mul_f32 v[4:5], v[12:13], v[4:5] op_sel_hi:[1,0]
	v_pk_add_f32 v[2:3], v[2:3], v[6:7]
	v_pk_fma_f32 v[6:7], v[12:13], v[40:41], v[4:5] op_sel:[0,0,1] op_sel_hi:[1,1,0] neg_lo:[0,0,1] neg_hi:[0,0,1]
	v_pk_fma_f32 v[4:5], v[12:13], v[40:41], v[4:5] op_sel:[0,0,1] op_sel_hi:[1,0,0]
	v_mov_b32_e32 v4, v39
	v_mov_b32_e32 v7, v5
	v_pk_mul_f32 v[4:5], v[14:15], v[4:5] op_sel_hi:[1,0]
	v_pk_add_f32 v[2:3], v[2:3], v[6:7]
	v_pk_fma_f32 v[6:7], v[14:15], v[38:39], v[4:5] op_sel:[0,0,1] op_sel_hi:[1,1,0] neg_lo:[0,0,1] neg_hi:[0,0,1]
	v_pk_fma_f32 v[4:5], v[14:15], v[38:39], v[4:5] op_sel:[0,0,1] op_sel_hi:[1,0,0]
	v_mov_b32_e32 v4, v37
	v_mov_b32_e32 v7, v5
	s_waitcnt lgkmcnt(0)
	v_pk_mul_f32 v[4:5], v[16:17], v[4:5] op_sel_hi:[1,0]
	v_pk_add_f32 v[2:3], v[2:3], v[6:7]
	v_pk_fma_f32 v[6:7], v[16:17], v[36:37], v[4:5] op_sel:[0,0,1] op_sel_hi:[1,1,0] neg_lo:[0,0,1] neg_hi:[0,0,1]
	v_pk_fma_f32 v[4:5], v[16:17], v[36:37], v[4:5] op_sel:[0,0,1] op_sel_hi:[1,0,0]
	s_waitcnt vmcnt(1)
	v_mov_b32_e32 v4, v45
	v_mov_b32_e32 v7, v5
	v_pk_mul_f32 v[4:5], v[18:19], v[4:5] op_sel_hi:[1,0]
	v_pk_add_f32 v[2:3], v[2:3], v[6:7]
	s_waitcnt vmcnt(0)
	v_pk_fma_f32 v[6:7], v[18:19], v[44:45], v[4:5] op_sel:[0,0,1] op_sel_hi:[1,1,0] neg_lo:[0,0,1] neg_hi:[0,0,1]
	v_pk_fma_f32 v[4:5], v[18:19], v[44:45], v[4:5] op_sel:[0,0,1] op_sel_hi:[1,0,0]
	v_mov_b32_e32 v7, v5
	v_pk_add_f32 v[2:3], v[2:3], v[6:7]
	v_pk_add_f32 v[2:3], v[28:29], v[2:3] neg_lo:[0,1] neg_hi:[0,1]
	buffer_store_dword v3, off, s[0:3], 0 offset:268
	buffer_store_dword v2, off, s[0:3], 0 offset:264
	s_and_saveexec_b64 s[4:5], vcc
	s_cbranch_execz .LBB53_273
; %bb.272:
	buffer_load_dword v2, off, s[0:3], 0 offset:256
	buffer_load_dword v3, off, s[0:3], 0 offset:260
	v_mov_b32_e32 v4, 0
	buffer_store_dword v4, off, s[0:3], 0 offset:256
	buffer_store_dword v4, off, s[0:3], 0 offset:260
	s_waitcnt vmcnt(2)
	ds_write_b64 v143, v[2:3]
.LBB53_273:
	s_or_b64 exec, exec, s[4:5]
	s_waitcnt lgkmcnt(0)
	; wave barrier
	s_waitcnt lgkmcnt(0)
	buffer_load_dword v3, off, s[0:3], 0 offset:268
	buffer_load_dword v54, off, s[0:3], 0 offset:276
	;; [unrolled: 1-line block ×44, first 2 shown]
	v_mov_b32_e32 v2, 0
	ds_read2_b64 v[4:7], v2 offset0:87 offset1:88
	ds_read2_b64 v[8:11], v2 offset0:89 offset1:90
	;; [unrolled: 1-line block ×8, first 2 shown]
	v_cmp_lt_u32_e32 vcc, 31, v0
	s_waitcnt vmcnt(43) lgkmcnt(7)
	v_mul_f32_e32 v59, v4, v3
	v_mul_f32_e32 v3, v5, v3
	s_waitcnt vmcnt(42)
	v_mul_f32_e32 v82, v6, v54
	s_waitcnt vmcnt(41) lgkmcnt(6)
	v_mul_f32_e32 v83, v8, v56
	s_waitcnt vmcnt(40)
	v_mul_f32_e32 v84, v10, v58
	s_waitcnt vmcnt(39) lgkmcnt(5)
	;; [unrolled: 4-line block ×5, first 2 shown]
	v_mul_f32_e32 v91, v24, v66
	s_waitcnt vmcnt(32)
	v_mul_f32_e32 v55, v26, v67
	s_waitcnt vmcnt(30)
	v_fma_f32 v3, v4, v69, -v3
	v_mul_f32_e32 v4, v7, v54
	v_add_f32_e32 v3, 0, v3
	s_waitcnt vmcnt(29)
	v_fma_f32 v4, v6, v70, -v4
	v_add_f32_e32 v3, v3, v4
	v_mul_f32_e32 v4, v9, v56
	s_waitcnt vmcnt(28)
	v_fma_f32 v4, v8, v71, -v4
	v_add_f32_e32 v3, v3, v4
	v_mul_f32_e32 v4, v11, v58
	;; [unrolled: 4-line block ×4, first 2 shown]
	s_waitcnt vmcnt(25)
	v_fma_f32 v4, v14, v74, -v4
	v_fmac_f32_e32 v59, v5, v69
	v_add_f32_e32 v3, v3, v4
	v_mul_f32_e32 v4, v17, v62
	v_fmac_f32_e32 v82, v7, v70
	v_add_f32_e32 v5, 0, v59
	s_waitcnt vmcnt(24)
	v_fma_f32 v4, v16, v75, -v4
	v_fmac_f32_e32 v83, v9, v71
	v_add_f32_e32 v5, v5, v82
	v_add_f32_e32 v3, v3, v4
	v_mul_f32_e32 v4, v19, v63
	v_fmac_f32_e32 v84, v11, v72
	v_add_f32_e32 v5, v5, v83
	s_waitcnt vmcnt(23)
	v_fma_f32 v4, v18, v76, -v4
	v_fmac_f32_e32 v85, v13, v73
	v_add_f32_e32 v5, v5, v84
	;; [unrolled: 8-line block ×4, first 2 shown]
	v_add_f32_e32 v3, v3, v4
	v_mul_f32_e32 v4, v25, v66
	v_fmac_f32_e32 v90, v23, v78
	v_add_f32_e32 v5, v5, v89
	s_waitcnt vmcnt(20)
	v_fma_f32 v4, v24, v79, -v4
	s_waitcnt vmcnt(13)
	v_mov_b32_e32 v16, v41
	v_fmac_f32_e32 v91, v25, v79
	v_add_f32_e32 v5, v5, v90
	v_add_f32_e32 v58, v3, v4
	v_mul_f32_e32 v3, v27, v67
	s_waitcnt lgkmcnt(1)
	v_pk_mul_f32 v[16:17], v[30:31], v[16:17] op_sel_hi:[1,0]
	v_mul_f32_e32 v57, v28, v68
	v_fmac_f32_e32 v55, v27, v80
	v_add_f32_e32 v59, v5, v91
	v_fma_f32 v54, v26, v80, -v3
	v_mul_f32_e32 v3, v29, v68
	s_waitcnt vmcnt(12)
	v_pk_fma_f32 v[18:19], v[30:31], v[40:41], v[16:17] op_sel:[0,0,1] op_sel_hi:[1,1,0] neg_lo:[0,0,1] neg_hi:[0,0,1]
	v_pk_fma_f32 v[16:17], v[30:31], v[40:41], v[16:17] op_sel:[0,0,1] op_sel_hi:[1,0,0]
	v_fmac_f32_e32 v57, v29, v81
	v_fma_f32 v56, v28, v81, -v3
	v_pk_add_f32 v[14:15], v[58:59], v[54:55]
	v_mov_b32_e32 v16, v39
	v_pk_add_f32 v[14:15], v[14:15], v[56:57]
	v_mov_b32_e32 v19, v17
	s_waitcnt lgkmcnt(0)
	v_pk_mul_f32 v[16:17], v[32:33], v[16:17] op_sel_hi:[1,0]
	v_pk_add_f32 v[14:15], v[14:15], v[18:19]
	v_pk_fma_f32 v[18:19], v[32:33], v[38:39], v[16:17] op_sel:[0,0,1] op_sel_hi:[1,1,0] neg_lo:[0,0,1] neg_hi:[0,0,1]
	v_pk_fma_f32 v[16:17], v[32:33], v[38:39], v[16:17] op_sel:[0,0,1] op_sel_hi:[1,0,0]
	s_waitcnt vmcnt(5)
	v_mov_b32_e32 v16, v49
	ds_read2_b64 v[4:7], v2 offset0:103 offset1:104
	ds_read2_b64 v[8:11], v2 offset0:105 offset1:106
	ds_read_b64 v[12:13], v2 offset:856
	v_mov_b32_e32 v19, v17
	v_pk_mul_f32 v[16:17], v[34:35], v[16:17] op_sel_hi:[1,0]
	v_pk_add_f32 v[14:15], v[14:15], v[18:19]
	s_waitcnt vmcnt(4)
	v_pk_fma_f32 v[18:19], v[34:35], v[48:49], v[16:17] op_sel:[0,0,1] op_sel_hi:[1,1,0] neg_lo:[0,0,1] neg_hi:[0,0,1]
	v_pk_fma_f32 v[16:17], v[34:35], v[48:49], v[16:17] op_sel:[0,0,1] op_sel_hi:[1,0,0]
	v_mov_b32_e32 v16, v47
	v_mov_b32_e32 v19, v17
	s_waitcnt lgkmcnt(2)
	v_pk_mul_f32 v[16:17], v[4:5], v[16:17] op_sel_hi:[1,0]
	v_pk_add_f32 v[14:15], v[14:15], v[18:19]
	v_pk_fma_f32 v[18:19], v[4:5], v[46:47], v[16:17] op_sel:[0,0,1] op_sel_hi:[1,1,0] neg_lo:[0,0,1] neg_hi:[0,0,1]
	v_pk_fma_f32 v[4:5], v[4:5], v[46:47], v[16:17] op_sel:[0,0,1] op_sel_hi:[1,0,0]
	v_mov_b32_e32 v19, v5
	v_pk_add_f32 v[4:5], v[14:15], v[18:19]
	v_mov_b32_e32 v14, v45
	v_pk_mul_f32 v[14:15], v[6:7], v[14:15] op_sel_hi:[1,0]
	v_pk_fma_f32 v[16:17], v[6:7], v[44:45], v[14:15] op_sel:[0,0,1] op_sel_hi:[1,1,0] neg_lo:[0,0,1] neg_hi:[0,0,1]
	v_pk_fma_f32 v[6:7], v[6:7], v[44:45], v[14:15] op_sel:[0,0,1] op_sel_hi:[1,0,0]
	v_mov_b32_e32 v6, v43
	v_mov_b32_e32 v17, v7
	s_waitcnt lgkmcnt(1)
	v_pk_mul_f32 v[6:7], v[8:9], v[6:7] op_sel_hi:[1,0]
	v_pk_fma_f32 v[14:15], v[8:9], v[42:43], v[6:7] op_sel:[0,0,1] op_sel_hi:[1,1,0] neg_lo:[0,0,1] neg_hi:[0,0,1]
	v_pk_fma_f32 v[6:7], v[8:9], v[42:43], v[6:7] op_sel:[0,0,1] op_sel_hi:[1,0,0]
	s_waitcnt vmcnt(1)
	v_mov_b32_e32 v6, v53
	v_mov_b32_e32 v15, v7
	v_pk_mul_f32 v[6:7], v[10:11], v[6:7] op_sel_hi:[1,0]
	s_waitcnt vmcnt(0)
	v_pk_fma_f32 v[8:9], v[10:11], v[52:53], v[6:7] op_sel:[0,0,1] op_sel_hi:[1,1,0] neg_lo:[0,0,1] neg_hi:[0,0,1]
	v_pk_fma_f32 v[6:7], v[10:11], v[52:53], v[6:7] op_sel:[0,0,1] op_sel_hi:[1,0,0]
	v_pk_add_f32 v[4:5], v[4:5], v[16:17]
	v_mov_b32_e32 v6, v51
	v_pk_add_f32 v[4:5], v[4:5], v[14:15]
	v_mov_b32_e32 v9, v7
	s_waitcnt lgkmcnt(0)
	v_pk_mul_f32 v[6:7], v[12:13], v[6:7] op_sel_hi:[1,0]
	v_pk_add_f32 v[4:5], v[4:5], v[8:9]
	v_pk_fma_f32 v[8:9], v[12:13], v[50:51], v[6:7] op_sel:[0,0,1] op_sel_hi:[1,1,0] neg_lo:[0,0,1] neg_hi:[0,0,1]
	v_pk_fma_f32 v[6:7], v[12:13], v[50:51], v[6:7] op_sel:[0,0,1] op_sel_hi:[1,0,0]
	v_mov_b32_e32 v9, v7
	v_pk_add_f32 v[4:5], v[4:5], v[8:9]
	v_pk_add_f32 v[4:5], v[36:37], v[4:5] neg_lo:[0,1] neg_hi:[0,1]
	buffer_store_dword v5, off, s[0:3], 0 offset:260
	buffer_store_dword v4, off, s[0:3], 0 offset:256
	s_and_saveexec_b64 s[4:5], vcc
	s_cbranch_execz .LBB53_275
; %bb.274:
	buffer_load_dword v4, off, s[0:3], 0 offset:248
	buffer_load_dword v5, off, s[0:3], 0 offset:252
	s_waitcnt vmcnt(0)
	ds_write_b64 v143, v[4:5]
	buffer_store_dword v2, off, s[0:3], 0 offset:248
	buffer_store_dword v2, off, s[0:3], 0 offset:252
.LBB53_275:
	s_or_b64 exec, exec, s[4:5]
	s_waitcnt lgkmcnt(0)
	; wave barrier
	s_waitcnt lgkmcnt(0)
	buffer_load_dword v3, off, s[0:3], 0 offset:260
	buffer_load_dword v54, off, s[0:3], 0 offset:268
	buffer_load_dword v56, off, s[0:3], 0 offset:276
	buffer_load_dword v58, off, s[0:3], 0 offset:284
	buffer_load_dword v60, off, s[0:3], 0 offset:292
	buffer_load_dword v61, off, s[0:3], 0 offset:300
	buffer_load_dword v62, off, s[0:3], 0 offset:308
	buffer_load_dword v63, off, s[0:3], 0 offset:316
	buffer_load_dword v64, off, s[0:3], 0 offset:324
	buffer_load_dword v65, off, s[0:3], 0 offset:332
	buffer_load_dword v66, off, s[0:3], 0 offset:340
	buffer_load_dword v67, off, s[0:3], 0 offset:348
	buffer_load_dword v68, off, s[0:3], 0 offset:356
	buffer_load_dword v69, off, s[0:3], 0 offset:256
	buffer_load_dword v70, off, s[0:3], 0 offset:264
	buffer_load_dword v71, off, s[0:3], 0 offset:272
	buffer_load_dword v72, off, s[0:3], 0 offset:280
	buffer_load_dword v73, off, s[0:3], 0 offset:288
	buffer_load_dword v74, off, s[0:3], 0 offset:296
	buffer_load_dword v75, off, s[0:3], 0 offset:304
	buffer_load_dword v76, off, s[0:3], 0 offset:312
	buffer_load_dword v77, off, s[0:3], 0 offset:320
	buffer_load_dword v78, off, s[0:3], 0 offset:328
	buffer_load_dword v79, off, s[0:3], 0 offset:336
	buffer_load_dword v80, off, s[0:3], 0 offset:344
	buffer_load_dword v81, off, s[0:3], 0 offset:352
	buffer_load_dword v82, off, s[0:3], 0 offset:364
	buffer_load_dword v83, off, s[0:3], 0 offset:360
	buffer_load_dword v36, off, s[0:3], 0 offset:248
	buffer_load_dword v37, off, s[0:3], 0 offset:252
	ds_read_b128 v[4:7], v2 offset:688
	ds_read_b128 v[8:11], v2 offset:704
	;; [unrolled: 1-line block ×6, first 2 shown]
	buffer_load_dword v39, off, s[0:3], 0 offset:372
	buffer_load_dword v38, off, s[0:3], 0 offset:368
	ds_read_b128 v[28:31], v2 offset:784
	ds_read_b128 v[32:35], v2 offset:800
	buffer_load_dword v41, off, s[0:3], 0 offset:404
	buffer_load_dword v40, off, s[0:3], 0 offset:400
	;; [unrolled: 1-line block ×14, first 2 shown]
	v_cmp_lt_u32_e32 vcc, 30, v0
	s_waitcnt vmcnt(45) lgkmcnt(7)
	v_mul_f32_e32 v57, v4, v3
	v_mul_f32_e32 v3, v5, v3
	s_waitcnt vmcnt(44)
	v_mul_f32_e32 v59, v6, v54
	s_waitcnt vmcnt(43) lgkmcnt(6)
	v_mul_f32_e32 v84, v8, v56
	s_waitcnt vmcnt(42)
	v_mul_f32_e32 v85, v10, v58
	s_waitcnt vmcnt(41) lgkmcnt(5)
	;; [unrolled: 4-line block ×5, first 2 shown]
	v_mul_f32_e32 v92, v24, v66
	s_waitcnt vmcnt(34)
	v_mul_f32_e32 v93, v26, v67
	s_waitcnt vmcnt(32)
	v_fma_f32 v3, v4, v69, -v3
	v_mul_f32_e32 v4, v7, v54
	v_add_f32_e32 v3, 0, v3
	s_waitcnt vmcnt(31)
	v_fma_f32 v4, v6, v70, -v4
	v_add_f32_e32 v3, v3, v4
	v_mul_f32_e32 v4, v9, v56
	s_waitcnt vmcnt(30)
	v_fma_f32 v4, v8, v71, -v4
	v_add_f32_e32 v3, v3, v4
	v_mul_f32_e32 v4, v11, v58
	;; [unrolled: 4-line block ×5, first 2 shown]
	v_fmac_f32_e32 v57, v5, v69
	s_waitcnt vmcnt(26)
	v_fma_f32 v4, v16, v75, -v4
	v_fmac_f32_e32 v59, v7, v70
	v_add_f32_e32 v57, 0, v57
	v_add_f32_e32 v3, v3, v4
	v_mul_f32_e32 v4, v19, v63
	v_fmac_f32_e32 v84, v9, v71
	v_add_f32_e32 v57, v57, v59
	s_waitcnt vmcnt(25)
	v_fma_f32 v4, v18, v76, -v4
	v_fmac_f32_e32 v85, v11, v72
	v_add_f32_e32 v57, v57, v84
	v_add_f32_e32 v3, v3, v4
	v_mul_f32_e32 v4, v21, v64
	v_fmac_f32_e32 v86, v13, v73
	v_add_f32_e32 v57, v57, v85
	;; [unrolled: 8-line block ×5, first 2 shown]
	s_waitcnt vmcnt(21)
	v_fma_f32 v4, v26, v80, -v4
	s_waitcnt vmcnt(15)
	v_mov_b32_e32 v16, v39
	s_waitcnt lgkmcnt(1)
	v_mul_f32_e32 v55, v28, v68
	v_fmac_f32_e32 v93, v27, v80
	v_add_f32_e32 v57, v57, v92
	v_add_f32_e32 v56, v3, v4
	v_mul_f32_e32 v3, v29, v68
	s_waitcnt lgkmcnt(0)
	v_pk_mul_f32 v[16:17], v[32:33], v[16:17] op_sel_hi:[1,0]
	v_fmac_f32_e32 v55, v29, v81
	v_add_f32_e32 v57, v57, v93
	v_mul_f32_e32 v59, v30, v82
	v_fma_f32 v54, v28, v81, -v3
	v_mul_f32_e32 v3, v31, v82
	s_waitcnt vmcnt(14)
	v_pk_fma_f32 v[18:19], v[32:33], v[38:39], v[16:17] op_sel:[0,0,1] op_sel_hi:[1,1,0] neg_lo:[0,0,1] neg_hi:[0,0,1]
	v_pk_fma_f32 v[16:17], v[32:33], v[38:39], v[16:17] op_sel:[0,0,1] op_sel_hi:[1,0,0]
	v_fmac_f32_e32 v59, v31, v83
	v_fma_f32 v58, v30, v83, -v3
	ds_read_b128 v[4:7], v2 offset:816
	ds_read_b128 v[8:11], v2 offset:832
	;; [unrolled: 1-line block ×3, first 2 shown]
	v_pk_add_f32 v[2:3], v[56:57], v[54:55]
	s_waitcnt vmcnt(7)
	v_mov_b32_e32 v16, v47
	v_pk_add_f32 v[2:3], v[2:3], v[58:59]
	v_mov_b32_e32 v19, v17
	v_pk_mul_f32 v[16:17], v[34:35], v[16:17] op_sel_hi:[1,0]
	v_pk_add_f32 v[2:3], v[2:3], v[18:19]
	s_waitcnt vmcnt(6)
	v_pk_fma_f32 v[18:19], v[34:35], v[46:47], v[16:17] op_sel:[0,0,1] op_sel_hi:[1,1,0] neg_lo:[0,0,1] neg_hi:[0,0,1]
	v_pk_fma_f32 v[16:17], v[34:35], v[46:47], v[16:17] op_sel:[0,0,1] op_sel_hi:[1,0,0]
	v_mov_b32_e32 v16, v45
	v_mov_b32_e32 v19, v17
	s_waitcnt lgkmcnt(2)
	v_pk_mul_f32 v[16:17], v[4:5], v[16:17] op_sel_hi:[1,0]
	v_pk_add_f32 v[2:3], v[2:3], v[18:19]
	v_pk_fma_f32 v[18:19], v[4:5], v[44:45], v[16:17] op_sel:[0,0,1] op_sel_hi:[1,1,0] neg_lo:[0,0,1] neg_hi:[0,0,1]
	v_pk_fma_f32 v[4:5], v[4:5], v[44:45], v[16:17] op_sel:[0,0,1] op_sel_hi:[1,0,0]
	v_mov_b32_e32 v4, v43
	v_mov_b32_e32 v19, v5
	v_pk_mul_f32 v[4:5], v[6:7], v[4:5] op_sel_hi:[1,0]
	v_pk_fma_f32 v[16:17], v[6:7], v[42:43], v[4:5] op_sel:[0,0,1] op_sel_hi:[1,1,0] neg_lo:[0,0,1] neg_hi:[0,0,1]
	v_pk_fma_f32 v[4:5], v[6:7], v[42:43], v[4:5] op_sel:[0,0,1] op_sel_hi:[1,0,0]
	v_mov_b32_e32 v4, v41
	v_mov_b32_e32 v17, v5
	s_waitcnt lgkmcnt(1)
	v_pk_mul_f32 v[4:5], v[8:9], v[4:5] op_sel_hi:[1,0]
	v_pk_fma_f32 v[6:7], v[8:9], v[40:41], v[4:5] op_sel:[0,0,1] op_sel_hi:[1,1,0] neg_lo:[0,0,1] neg_hi:[0,0,1]
	v_pk_fma_f32 v[4:5], v[8:9], v[40:41], v[4:5] op_sel:[0,0,1] op_sel_hi:[1,0,0]
	v_pk_add_f32 v[2:3], v[2:3], v[18:19]
	s_waitcnt vmcnt(1)
	v_mov_b32_e32 v4, v53
	v_pk_add_f32 v[2:3], v[2:3], v[16:17]
	v_mov_b32_e32 v7, v5
	v_pk_mul_f32 v[4:5], v[10:11], v[4:5] op_sel_hi:[1,0]
	v_pk_add_f32 v[2:3], v[2:3], v[6:7]
	s_waitcnt vmcnt(0)
	v_pk_fma_f32 v[6:7], v[10:11], v[52:53], v[4:5] op_sel:[0,0,1] op_sel_hi:[1,1,0] neg_lo:[0,0,1] neg_hi:[0,0,1]
	v_pk_fma_f32 v[4:5], v[10:11], v[52:53], v[4:5] op_sel:[0,0,1] op_sel_hi:[1,0,0]
	v_mov_b32_e32 v4, v51
	v_mov_b32_e32 v7, v5
	s_waitcnt lgkmcnt(0)
	v_pk_mul_f32 v[4:5], v[12:13], v[4:5] op_sel_hi:[1,0]
	v_pk_add_f32 v[2:3], v[2:3], v[6:7]
	v_pk_fma_f32 v[6:7], v[12:13], v[50:51], v[4:5] op_sel:[0,0,1] op_sel_hi:[1,1,0] neg_lo:[0,0,1] neg_hi:[0,0,1]
	v_pk_fma_f32 v[4:5], v[12:13], v[50:51], v[4:5] op_sel:[0,0,1] op_sel_hi:[1,0,0]
	v_mov_b32_e32 v4, v49
	v_mov_b32_e32 v7, v5
	v_pk_mul_f32 v[4:5], v[14:15], v[4:5] op_sel_hi:[1,0]
	v_pk_add_f32 v[2:3], v[2:3], v[6:7]
	v_pk_fma_f32 v[6:7], v[14:15], v[48:49], v[4:5] op_sel:[0,0,1] op_sel_hi:[1,1,0] neg_lo:[0,0,1] neg_hi:[0,0,1]
	v_pk_fma_f32 v[4:5], v[14:15], v[48:49], v[4:5] op_sel:[0,0,1] op_sel_hi:[1,0,0]
	v_mov_b32_e32 v7, v5
	v_pk_add_f32 v[2:3], v[2:3], v[6:7]
	v_pk_add_f32 v[2:3], v[36:37], v[2:3] neg_lo:[0,1] neg_hi:[0,1]
	buffer_store_dword v3, off, s[0:3], 0 offset:252
	buffer_store_dword v2, off, s[0:3], 0 offset:248
	s_and_saveexec_b64 s[4:5], vcc
	s_cbranch_execz .LBB53_277
; %bb.276:
	buffer_load_dword v2, off, s[0:3], 0 offset:240
	buffer_load_dword v3, off, s[0:3], 0 offset:244
	v_mov_b32_e32 v4, 0
	buffer_store_dword v4, off, s[0:3], 0 offset:240
	buffer_store_dword v4, off, s[0:3], 0 offset:244
	s_waitcnt vmcnt(2)
	ds_write_b64 v143, v[2:3]
.LBB53_277:
	s_or_b64 exec, exec, s[4:5]
	s_waitcnt lgkmcnt(0)
	; wave barrier
	s_waitcnt lgkmcnt(0)
	buffer_load_dword v3, off, s[0:3], 0 offset:252
	buffer_load_dword v52, off, s[0:3], 0 offset:260
	;; [unrolled: 1-line block ×32, first 2 shown]
	v_mov_b32_e32 v2, 0
	buffer_load_dword v39, off, s[0:3], 0 offset:396
	buffer_load_dword v38, off, s[0:3], 0 offset:392
	;; [unrolled: 1-line block ×13, first 2 shown]
	ds_read2_b64 v[4:7], v2 offset0:85 offset1:86
	ds_read2_b64 v[8:11], v2 offset0:87 offset1:88
	;; [unrolled: 1-line block ×8, first 2 shown]
	v_cmp_lt_u32_e32 vcc, 29, v0
	s_waitcnt vmcnt(44) lgkmcnt(7)
	v_mul_f32_e32 v46, v4, v3
	s_waitcnt vmcnt(43)
	v_mul_f32_e32 v53, v6, v52
	s_waitcnt vmcnt(42) lgkmcnt(6)
	v_mul_f32_e32 v54, v8, v56
	s_waitcnt vmcnt(41)
	v_mul_f32_e32 v55, v10, v58
	;; [unrolled: 4-line block ×6, first 2 shown]
	s_waitcnt vmcnt(32) lgkmcnt(1)
	v_mul_f32_e32 v92, v28, v68
	s_waitcnt vmcnt(31)
	v_fmac_f32_e32 v46, v5, v69
	s_waitcnt vmcnt(30)
	v_fmac_f32_e32 v53, v7, v70
	v_add_f32_e32 v46, 0, v46
	s_waitcnt vmcnt(29)
	v_fmac_f32_e32 v54, v9, v71
	v_add_f32_e32 v46, v46, v53
	;; [unrolled: 3-line block ×12, first 2 shown]
	v_add_f32_e32 v53, v46, v92
	buffer_load_dword v55, off, s[0:3], 0 offset:412
	buffer_load_dword v54, off, s[0:3], 0 offset:408
	;; [unrolled: 1-line block ×3, first 2 shown]
	v_mul_f32_e32 v3, v5, v3
	v_fma_f32 v3, v4, v69, -v3
	v_mul_f32_e32 v4, v7, v52
	v_add_f32_e32 v3, 0, v3
	v_fma_f32 v4, v6, v70, -v4
	v_add_f32_e32 v3, v3, v4
	v_mul_f32_e32 v4, v9, v56
	v_fma_f32 v4, v8, v71, -v4
	v_add_f32_e32 v3, v3, v4
	v_mul_f32_e32 v4, v11, v58
	;; [unrolled: 3-line block ×11, first 2 shown]
	v_fma_f32 v4, v28, v81, -v4
	s_waitcnt vmcnt(9)
	v_mov_b32_e32 v20, v45
	v_mul_f32_e32 v57, v30, v82
	v_add_f32_e32 v52, v3, v4
	v_mul_f32_e32 v3, v31, v82
	s_waitcnt lgkmcnt(0)
	v_pk_mul_f32 v[20:21], v[34:35], v[20:21] op_sel_hi:[1,0]
	v_fmac_f32_e32 v57, v31, v83
	v_mul_f32_e32 v59, v32, v84
	v_fma_f32 v56, v30, v83, -v3
	v_mul_f32_e32 v3, v33, v84
	ds_read2_b64 v[4:7], v2 offset0:101 offset1:102
	ds_read2_b64 v[8:11], v2 offset0:103 offset1:104
	;; [unrolled: 1-line block ×3, first 2 shown]
	ds_read_b64 v[16:17], v2 offset:856
	s_waitcnt vmcnt(8)
	v_pk_fma_f32 v[22:23], v[34:35], v[44:45], v[20:21] op_sel:[0,0,1] op_sel_hi:[1,1,0] neg_lo:[0,0,1] neg_hi:[0,0,1]
	v_pk_fma_f32 v[20:21], v[34:35], v[44:45], v[20:21] op_sel:[0,0,1] op_sel_hi:[1,0,0]
	v_fmac_f32_e32 v59, v33, v85
	v_fma_f32 v58, v32, v85, -v3
	v_pk_add_f32 v[18:19], v[52:53], v[56:57]
	v_mov_b32_e32 v20, v43
	v_pk_add_f32 v[18:19], v[18:19], v[58:59]
	v_mov_b32_e32 v23, v21
	s_waitcnt lgkmcnt(3)
	v_pk_mul_f32 v[20:21], v[4:5], v[20:21] op_sel_hi:[1,0]
	v_pk_add_f32 v[18:19], v[18:19], v[22:23]
	v_pk_fma_f32 v[22:23], v[4:5], v[42:43], v[20:21] op_sel:[0,0,1] op_sel_hi:[1,1,0] neg_lo:[0,0,1] neg_hi:[0,0,1]
	v_pk_fma_f32 v[4:5], v[4:5], v[42:43], v[20:21] op_sel:[0,0,1] op_sel_hi:[1,0,0]
	v_mov_b32_e32 v23, v5
	v_pk_add_f32 v[4:5], v[18:19], v[22:23]
	v_mov_b32_e32 v18, v41
	v_pk_mul_f32 v[18:19], v[6:7], v[18:19] op_sel_hi:[1,0]
	v_pk_fma_f32 v[20:21], v[6:7], v[40:41], v[18:19] op_sel:[0,0,1] op_sel_hi:[1,1,0] neg_lo:[0,0,1] neg_hi:[0,0,1]
	v_pk_fma_f32 v[6:7], v[6:7], v[40:41], v[18:19] op_sel:[0,0,1] op_sel_hi:[1,0,0]
	v_mov_b32_e32 v6, v39
	v_mov_b32_e32 v21, v7
	s_waitcnt lgkmcnt(2)
	v_pk_mul_f32 v[6:7], v[8:9], v[6:7] op_sel_hi:[1,0]
	v_pk_fma_f32 v[18:19], v[8:9], v[38:39], v[6:7] op_sel:[0,0,1] op_sel_hi:[1,1,0] neg_lo:[0,0,1] neg_hi:[0,0,1]
	v_pk_fma_f32 v[6:7], v[8:9], v[38:39], v[6:7] op_sel:[0,0,1] op_sel_hi:[1,0,0]
	s_waitcnt vmcnt(7)
	v_mov_b32_e32 v6, v47
	v_mov_b32_e32 v19, v7
	v_pk_mul_f32 v[6:7], v[10:11], v[6:7] op_sel_hi:[1,0]
	v_pk_add_f32 v[4:5], v[4:5], v[20:21]
	v_pk_add_f32 v[4:5], v[4:5], v[18:19]
	s_waitcnt vmcnt(0)
	v_pk_fma_f32 v[8:9], v[10:11], v[46:47], v[6:7] op_sel:[0,0,1] op_sel_hi:[1,1,0] neg_lo:[0,0,1] neg_hi:[0,0,1]
	v_pk_fma_f32 v[6:7], v[10:11], v[46:47], v[6:7] op_sel:[0,0,1] op_sel_hi:[1,0,0]
	v_mov_b32_e32 v6, v55
	v_mov_b32_e32 v9, v7
	s_waitcnt lgkmcnt(1)
	v_pk_mul_f32 v[6:7], v[12:13], v[6:7] op_sel_hi:[1,0]
	v_pk_add_f32 v[4:5], v[4:5], v[8:9]
	v_pk_fma_f32 v[8:9], v[12:13], v[54:55], v[6:7] op_sel:[0,0,1] op_sel_hi:[1,1,0] neg_lo:[0,0,1] neg_hi:[0,0,1]
	v_pk_fma_f32 v[6:7], v[12:13], v[54:55], v[6:7] op_sel:[0,0,1] op_sel_hi:[1,0,0]
	v_mov_b32_e32 v6, v51
	v_mov_b32_e32 v9, v7
	v_pk_mul_f32 v[6:7], v[14:15], v[6:7] op_sel_hi:[1,0]
	v_pk_add_f32 v[4:5], v[4:5], v[8:9]
	v_pk_fma_f32 v[8:9], v[14:15], v[50:51], v[6:7] op_sel:[0,0,1] op_sel_hi:[1,1,0] neg_lo:[0,0,1] neg_hi:[0,0,1]
	v_pk_fma_f32 v[6:7], v[14:15], v[50:51], v[6:7] op_sel:[0,0,1] op_sel_hi:[1,0,0]
	v_mov_b32_e32 v6, v49
	v_mov_b32_e32 v9, v7
	s_waitcnt lgkmcnt(0)
	v_pk_mul_f32 v[6:7], v[16:17], v[6:7] op_sel_hi:[1,0]
	v_pk_add_f32 v[4:5], v[4:5], v[8:9]
	v_pk_fma_f32 v[8:9], v[16:17], v[48:49], v[6:7] op_sel:[0,0,1] op_sel_hi:[1,1,0] neg_lo:[0,0,1] neg_hi:[0,0,1]
	v_pk_fma_f32 v[6:7], v[16:17], v[48:49], v[6:7] op_sel:[0,0,1] op_sel_hi:[1,0,0]
	v_mov_b32_e32 v9, v7
	v_pk_add_f32 v[4:5], v[4:5], v[8:9]
	v_pk_add_f32 v[4:5], v[36:37], v[4:5] neg_lo:[0,1] neg_hi:[0,1]
	buffer_store_dword v5, off, s[0:3], 0 offset:244
	buffer_store_dword v4, off, s[0:3], 0 offset:240
	s_and_saveexec_b64 s[4:5], vcc
	s_cbranch_execz .LBB53_279
; %bb.278:
	buffer_load_dword v4, off, s[0:3], 0 offset:232
	buffer_load_dword v5, off, s[0:3], 0 offset:236
	s_waitcnt vmcnt(0)
	ds_write_b64 v143, v[4:5]
	buffer_store_dword v2, off, s[0:3], 0 offset:232
	buffer_store_dword v2, off, s[0:3], 0 offset:236
.LBB53_279:
	s_or_b64 exec, exec, s[4:5]
	s_waitcnt lgkmcnt(0)
	; wave barrier
	s_waitcnt lgkmcnt(0)
	buffer_load_dword v3, off, s[0:3], 0 offset:244
	buffer_load_dword v52, off, s[0:3], 0 offset:252
	;; [unrolled: 1-line block ×34, first 2 shown]
	ds_read_b128 v[4:7], v2 offset:672
	ds_read_b128 v[8:11], v2 offset:688
	;; [unrolled: 1-line block ×8, first 2 shown]
	buffer_load_dword v39, off, s[0:3], 0 offset:388
	buffer_load_dword v38, off, s[0:3], 0 offset:384
	;; [unrolled: 1-line block ×9, first 2 shown]
	v_cmp_lt_u32_e32 vcc, 28, v0
	s_waitcnt vmcnt(42) lgkmcnt(7)
	v_mul_f32_e32 v44, v4, v3
	s_waitcnt vmcnt(41)
	v_mul_f32_e32 v48, v6, v52
	s_waitcnt vmcnt(40) lgkmcnt(6)
	v_mul_f32_e32 v49, v8, v54
	s_waitcnt vmcnt(39)
	v_mul_f32_e32 v50, v10, v56
	;; [unrolled: 4-line block ×6, first 2 shown]
	s_waitcnt vmcnt(30) lgkmcnt(1)
	v_mul_f32_e32 v90, v28, v68
	v_mul_f32_e32 v3, v5, v3
	s_waitcnt vmcnt(28)
	v_fmac_f32_e32 v44, v5, v70
	s_waitcnt vmcnt(27)
	v_fmac_f32_e32 v48, v7, v71
	v_add_f32_e32 v44, 0, v44
	s_waitcnt vmcnt(26)
	v_fmac_f32_e32 v49, v9, v72
	v_add_f32_e32 v44, v44, v48
	;; [unrolled: 3-line block ×12, first 2 shown]
	v_add_f32_e32 v53, v44, v90
	buffer_load_dword v49, off, s[0:3], 0 offset:412
	buffer_load_dword v48, off, s[0:3], 0 offset:408
	;; [unrolled: 1-line block ×7, first 2 shown]
	v_fma_f32 v3, v4, v70, -v3
	v_mul_f32_e32 v4, v7, v52
	v_add_f32_e32 v3, 0, v3
	v_fma_f32 v4, v6, v71, -v4
	v_add_f32_e32 v3, v3, v4
	v_mul_f32_e32 v4, v9, v54
	v_fma_f32 v4, v8, v72, -v4
	v_add_f32_e32 v3, v3, v4
	v_mul_f32_e32 v4, v11, v56
	;; [unrolled: 3-line block ×12, first 2 shown]
	s_waitcnt vmcnt(22)
	v_fma_f32 v4, v30, v83, -v4
	v_add_f32_e32 v52, v3, v4
	ds_read_b128 v[4:7], v2 offset:800
	ds_read_b128 v[8:11], v2 offset:816
	;; [unrolled: 1-line block ×4, first 2 shown]
	s_waitcnt vmcnt(11)
	v_mov_b32_e32 v20, v43
	s_waitcnt lgkmcnt(3)
	v_pk_mul_f32 v[20:21], v[4:5], v[20:21] op_sel_hi:[1,0]
	s_waitcnt vmcnt(10)
	v_pk_fma_f32 v[22:23], v[4:5], v[42:43], v[20:21] op_sel:[0,0,1] op_sel_hi:[1,1,0] neg_lo:[0,0,1] neg_hi:[0,0,1]
	v_pk_fma_f32 v[4:5], v[4:5], v[42:43], v[20:21] op_sel:[0,0,1] op_sel_hi:[1,0,0]
	v_mov_b32_e32 v4, v41
	v_mul_f32_e32 v91, v30, v69
	v_mov_b32_e32 v23, v5
	v_pk_mul_f32 v[4:5], v[6:7], v[4:5] op_sel_hi:[1,0]
	v_fmac_f32_e32 v91, v31, v83
	v_mul_f32_e32 v55, v32, v84
	v_mul_f32_e32 v3, v33, v84
	v_pk_fma_f32 v[20:21], v[6:7], v[40:41], v[4:5] op_sel:[0,0,1] op_sel_hi:[1,1,0] neg_lo:[0,0,1] neg_hi:[0,0,1]
	v_pk_fma_f32 v[4:5], v[6:7], v[40:41], v[4:5] op_sel:[0,0,1] op_sel_hi:[1,0,0]
	v_add_f32_e32 v53, v53, v91
	v_fmac_f32_e32 v55, v33, v85
	v_mul_f32_e32 v57, v34, v86
	v_fma_f32 v54, v32, v85, -v3
	v_mul_f32_e32 v3, v35, v86
	v_mov_b32_e32 v4, v39
	v_fmac_f32_e32 v57, v35, v87
	v_fma_f32 v56, v34, v87, -v3
	v_pk_add_f32 v[2:3], v[52:53], v[54:55]
	v_mov_b32_e32 v21, v5
	s_waitcnt lgkmcnt(2)
	v_pk_mul_f32 v[4:5], v[8:9], v[4:5] op_sel_hi:[1,0]
	v_pk_add_f32 v[2:3], v[2:3], v[56:57]
	v_pk_fma_f32 v[6:7], v[8:9], v[38:39], v[4:5] op_sel:[0,0,1] op_sel_hi:[1,1,0] neg_lo:[0,0,1] neg_hi:[0,0,1]
	v_pk_fma_f32 v[4:5], v[8:9], v[38:39], v[4:5] op_sel:[0,0,1] op_sel_hi:[1,0,0]
	v_pk_add_f32 v[2:3], v[2:3], v[22:23]
	s_waitcnt vmcnt(9)
	v_mov_b32_e32 v4, v45
	v_pk_add_f32 v[2:3], v[2:3], v[20:21]
	v_mov_b32_e32 v7, v5
	v_pk_mul_f32 v[4:5], v[10:11], v[4:5] op_sel_hi:[1,0]
	v_pk_add_f32 v[2:3], v[2:3], v[6:7]
	s_waitcnt vmcnt(2)
	v_pk_fma_f32 v[6:7], v[10:11], v[44:45], v[4:5] op_sel:[0,0,1] op_sel_hi:[1,1,0] neg_lo:[0,0,1] neg_hi:[0,0,1]
	v_pk_fma_f32 v[4:5], v[10:11], v[44:45], v[4:5] op_sel:[0,0,1] op_sel_hi:[1,0,0]
	v_mov_b32_e32 v4, v51
	v_mov_b32_e32 v7, v5
	s_waitcnt lgkmcnt(1)
	v_pk_mul_f32 v[4:5], v[12:13], v[4:5] op_sel_hi:[1,0]
	v_pk_add_f32 v[2:3], v[2:3], v[6:7]
	v_pk_fma_f32 v[6:7], v[12:13], v[50:51], v[4:5] op_sel:[0,0,1] op_sel_hi:[1,1,0] neg_lo:[0,0,1] neg_hi:[0,0,1]
	v_pk_fma_f32 v[4:5], v[12:13], v[50:51], v[4:5] op_sel:[0,0,1] op_sel_hi:[1,0,0]
	v_mov_b32_e32 v4, v49
	v_mov_b32_e32 v7, v5
	v_pk_mul_f32 v[4:5], v[14:15], v[4:5] op_sel_hi:[1,0]
	v_pk_add_f32 v[2:3], v[2:3], v[6:7]
	v_pk_fma_f32 v[6:7], v[14:15], v[48:49], v[4:5] op_sel:[0,0,1] op_sel_hi:[1,1,0] neg_lo:[0,0,1] neg_hi:[0,0,1]
	v_pk_fma_f32 v[4:5], v[14:15], v[48:49], v[4:5] op_sel:[0,0,1] op_sel_hi:[1,0,0]
	v_mov_b32_e32 v4, v47
	v_mov_b32_e32 v7, v5
	s_waitcnt lgkmcnt(0)
	v_pk_mul_f32 v[4:5], v[16:17], v[4:5] op_sel_hi:[1,0]
	v_pk_add_f32 v[2:3], v[2:3], v[6:7]
	v_pk_fma_f32 v[6:7], v[16:17], v[46:47], v[4:5] op_sel:[0,0,1] op_sel_hi:[1,1,0] neg_lo:[0,0,1] neg_hi:[0,0,1]
	v_pk_fma_f32 v[4:5], v[16:17], v[46:47], v[4:5] op_sel:[0,0,1] op_sel_hi:[1,0,0]
	s_waitcnt vmcnt(1)
	v_mov_b32_e32 v4, v59
	v_mov_b32_e32 v7, v5
	v_pk_mul_f32 v[4:5], v[18:19], v[4:5] op_sel_hi:[1,0]
	v_pk_add_f32 v[2:3], v[2:3], v[6:7]
	s_waitcnt vmcnt(0)
	v_pk_fma_f32 v[6:7], v[18:19], v[58:59], v[4:5] op_sel:[0,0,1] op_sel_hi:[1,1,0] neg_lo:[0,0,1] neg_hi:[0,0,1]
	v_pk_fma_f32 v[4:5], v[18:19], v[58:59], v[4:5] op_sel:[0,0,1] op_sel_hi:[1,0,0]
	v_mov_b32_e32 v7, v5
	v_pk_add_f32 v[2:3], v[2:3], v[6:7]
	v_pk_add_f32 v[2:3], v[36:37], v[2:3] neg_lo:[0,1] neg_hi:[0,1]
	buffer_store_dword v3, off, s[0:3], 0 offset:236
	buffer_store_dword v2, off, s[0:3], 0 offset:232
	s_and_saveexec_b64 s[4:5], vcc
	s_cbranch_execz .LBB53_281
; %bb.280:
	buffer_load_dword v2, off, s[0:3], 0 offset:224
	buffer_load_dword v3, off, s[0:3], 0 offset:228
	v_mov_b32_e32 v4, 0
	buffer_store_dword v4, off, s[0:3], 0 offset:224
	buffer_store_dword v4, off, s[0:3], 0 offset:228
	s_waitcnt vmcnt(2)
	ds_write_b64 v143, v[2:3]
.LBB53_281:
	s_or_b64 exec, exec, s[4:5]
	s_waitcnt lgkmcnt(0)
	; wave barrier
	s_waitcnt lgkmcnt(0)
	buffer_load_dword v5, off, s[0:3], 0 offset:236
	buffer_load_dword v58, off, s[0:3], 0 offset:244
	;; [unrolled: 1-line block ×36, first 2 shown]
	v_mov_b32_e32 v4, 0
	buffer_load_dword v47, off, s[0:3], 0 offset:380
	buffer_load_dword v46, off, s[0:3], 0 offset:376
	;; [unrolled: 1-line block ×5, first 2 shown]
	ds_read2_b64 v[6:9], v4 offset0:83 offset1:84
	ds_read2_b64 v[10:13], v4 offset0:85 offset1:86
	;; [unrolled: 1-line block ×8, first 2 shown]
	v_cmp_lt_u32_e32 vcc, 27, v0
	s_waitcnt vmcnt(40) lgkmcnt(7)
	v_mul_f32_e32 v38, v6, v5
	s_waitcnt vmcnt(39)
	v_mul_f32_e32 v39, v8, v58
	s_waitcnt vmcnt(38) lgkmcnt(6)
	v_mul_f32_e32 v40, v10, v60
	s_waitcnt vmcnt(37)
	v_mul_f32_e32 v41, v12, v62
	;; [unrolled: 4-line block ×7, first 2 shown]
	s_waitcnt vmcnt(26) lgkmcnt(0)
	v_mul_f32_e32 v59, v34, v78
	s_waitcnt vmcnt(25)
	v_fmac_f32_e32 v38, v7, v79
	s_waitcnt vmcnt(24)
	v_fmac_f32_e32 v39, v9, v80
	v_add_f32_e32 v38, 0, v38
	s_waitcnt vmcnt(23)
	v_fmac_f32_e32 v40, v11, v81
	v_add_f32_e32 v38, v38, v39
	;; [unrolled: 3-line block ×13, first 2 shown]
	v_add_f32_e32 v42, v38, v56
	buffer_load_dword v53, off, s[0:3], 0 offset:412
	buffer_load_dword v52, off, s[0:3], 0 offset:408
	;; [unrolled: 1-line block ×7, first 2 shown]
	s_waitcnt vmcnt(18)
	v_fmac_f32_e32 v59, v35, v93
	ds_read2_b64 v[38:41], v4 offset0:99 offset1:100
	v_add_f32_e32 v59, v42, v59
	ds_read2_b64 v[42:45], v4 offset0:101 offset1:102
	buffer_load_dword v65, off, s[0:3], 0 offset:428
	buffer_load_dword v64, off, s[0:3], 0 offset:424
	;; [unrolled: 1-line block ×4, first 2 shown]
	v_mul_f32_e32 v5, v7, v5
	v_fma_f32 v5, v6, v79, -v5
	v_mul_f32_e32 v6, v9, v58
	v_add_f32_e32 v5, 0, v5
	v_fma_f32 v6, v8, v80, -v6
	v_add_f32_e32 v5, v5, v6
	v_mul_f32_e32 v6, v11, v60
	v_fma_f32 v6, v10, v81, -v6
	v_add_f32_e32 v5, v5, v6
	v_mul_f32_e32 v6, v13, v62
	;; [unrolled: 3-line block ×13, first 2 shown]
	v_fma_f32 v6, v34, v93, -v6
	s_waitcnt vmcnt(13)
	v_mov_b32_e32 v18, v49
	v_mul_f32_e32 v61, v36, v94
	v_add_f32_e32 v58, v5, v6
	v_mul_f32_e32 v5, v37, v94
	s_waitcnt lgkmcnt(1)
	v_pk_mul_f32 v[18:19], v[40:41], v[18:19] op_sel_hi:[1,0]
	v_fmac_f32_e32 v61, v37, v95
	v_mul_f32_e32 v63, v38, v96
	v_fma_f32 v60, v36, v95, -v5
	v_mul_f32_e32 v5, v39, v96
	s_waitcnt vmcnt(12)
	v_pk_fma_f32 v[20:21], v[40:41], v[48:49], v[18:19] op_sel:[0,0,1] op_sel_hi:[1,1,0] neg_lo:[0,0,1] neg_hi:[0,0,1]
	v_pk_fma_f32 v[18:19], v[40:41], v[48:49], v[18:19] op_sel:[0,0,1] op_sel_hi:[1,0,0]
	v_fmac_f32_e32 v63, v39, v97
	v_fma_f32 v62, v38, v97, -v5
	v_pk_add_f32 v[16:17], v[58:59], v[60:61]
	v_mov_b32_e32 v18, v47
	v_pk_add_f32 v[16:17], v[16:17], v[62:63]
	v_mov_b32_e32 v21, v19
	s_waitcnt lgkmcnt(0)
	v_pk_mul_f32 v[18:19], v[42:43], v[18:19] op_sel_hi:[1,0]
	v_pk_add_f32 v[16:17], v[16:17], v[20:21]
	v_pk_fma_f32 v[20:21], v[42:43], v[46:47], v[18:19] op_sel:[0,0,1] op_sel_hi:[1,1,0] neg_lo:[0,0,1] neg_hi:[0,0,1]
	v_pk_fma_f32 v[18:19], v[42:43], v[46:47], v[18:19] op_sel:[0,0,1] op_sel_hi:[1,0,0]
	s_waitcnt vmcnt(11)
	v_mov_b32_e32 v18, v51
	ds_read2_b64 v[6:9], v4 offset0:103 offset1:104
	ds_read2_b64 v[10:13], v4 offset0:105 offset1:106
	ds_read_b64 v[14:15], v4 offset:856
	v_mov_b32_e32 v21, v19
	v_pk_mul_f32 v[18:19], v[44:45], v[18:19] op_sel_hi:[1,0]
	v_pk_add_f32 v[16:17], v[16:17], v[20:21]
	s_waitcnt vmcnt(4)
	v_pk_fma_f32 v[20:21], v[44:45], v[50:51], v[18:19] op_sel:[0,0,1] op_sel_hi:[1,1,0] neg_lo:[0,0,1] neg_hi:[0,0,1]
	v_pk_fma_f32 v[18:19], v[44:45], v[50:51], v[18:19] op_sel:[0,0,1] op_sel_hi:[1,0,0]
	v_mov_b32_e32 v18, v57
	v_mov_b32_e32 v21, v19
	s_waitcnt lgkmcnt(2)
	v_pk_mul_f32 v[18:19], v[6:7], v[18:19] op_sel_hi:[1,0]
	v_pk_add_f32 v[16:17], v[16:17], v[20:21]
	v_pk_fma_f32 v[20:21], v[6:7], v[56:57], v[18:19] op_sel:[0,0,1] op_sel_hi:[1,1,0] neg_lo:[0,0,1] neg_hi:[0,0,1]
	v_pk_fma_f32 v[6:7], v[6:7], v[56:57], v[18:19] op_sel:[0,0,1] op_sel_hi:[1,0,0]
	v_mov_b32_e32 v21, v7
	v_pk_add_f32 v[6:7], v[16:17], v[20:21]
	v_mov_b32_e32 v16, v55
	v_pk_mul_f32 v[16:17], v[8:9], v[16:17] op_sel_hi:[1,0]
	v_pk_fma_f32 v[18:19], v[8:9], v[54:55], v[16:17] op_sel:[0,0,1] op_sel_hi:[1,1,0] neg_lo:[0,0,1] neg_hi:[0,0,1]
	v_pk_fma_f32 v[8:9], v[8:9], v[54:55], v[16:17] op_sel:[0,0,1] op_sel_hi:[1,0,0]
	v_mov_b32_e32 v8, v53
	v_mov_b32_e32 v19, v9
	s_waitcnt lgkmcnt(1)
	v_pk_mul_f32 v[8:9], v[10:11], v[8:9] op_sel_hi:[1,0]
	v_pk_fma_f32 v[16:17], v[10:11], v[52:53], v[8:9] op_sel:[0,0,1] op_sel_hi:[1,1,0] neg_lo:[0,0,1] neg_hi:[0,0,1]
	v_pk_fma_f32 v[8:9], v[10:11], v[52:53], v[8:9] op_sel:[0,0,1] op_sel_hi:[1,0,0]
	s_waitcnt vmcnt(1)
	v_mov_b32_e32 v8, v67
	v_mov_b32_e32 v17, v9
	v_pk_mul_f32 v[8:9], v[12:13], v[8:9] op_sel_hi:[1,0]
	s_waitcnt vmcnt(0)
	v_pk_fma_f32 v[10:11], v[12:13], v[66:67], v[8:9] op_sel:[0,0,1] op_sel_hi:[1,1,0] neg_lo:[0,0,1] neg_hi:[0,0,1]
	v_pk_fma_f32 v[8:9], v[12:13], v[66:67], v[8:9] op_sel:[0,0,1] op_sel_hi:[1,0,0]
	v_pk_add_f32 v[6:7], v[6:7], v[18:19]
	v_mov_b32_e32 v8, v65
	v_pk_add_f32 v[6:7], v[6:7], v[16:17]
	v_mov_b32_e32 v11, v9
	s_waitcnt lgkmcnt(0)
	v_pk_mul_f32 v[8:9], v[14:15], v[8:9] op_sel_hi:[1,0]
	v_pk_add_f32 v[6:7], v[6:7], v[10:11]
	v_pk_fma_f32 v[10:11], v[14:15], v[64:65], v[8:9] op_sel:[0,0,1] op_sel_hi:[1,1,0] neg_lo:[0,0,1] neg_hi:[0,0,1]
	v_pk_fma_f32 v[8:9], v[14:15], v[64:65], v[8:9] op_sel:[0,0,1] op_sel_hi:[1,0,0]
	v_mov_b32_e32 v11, v9
	v_pk_add_f32 v[6:7], v[6:7], v[10:11]
	v_pk_add_f32 v[2:3], v[2:3], v[6:7] neg_lo:[0,1] neg_hi:[0,1]
	buffer_store_dword v3, off, s[0:3], 0 offset:228
	buffer_store_dword v2, off, s[0:3], 0 offset:224
	s_and_saveexec_b64 s[4:5], vcc
	s_cbranch_execz .LBB53_283
; %bb.282:
	buffer_load_dword v2, off, s[0:3], 0 offset:216
	buffer_load_dword v3, off, s[0:3], 0 offset:220
	s_waitcnt vmcnt(0)
	ds_write_b64 v143, v[2:3]
	buffer_store_dword v4, off, s[0:3], 0 offset:216
	buffer_store_dword v4, off, s[0:3], 0 offset:220
.LBB53_283:
	s_or_b64 exec, exec, s[4:5]
	s_waitcnt lgkmcnt(0)
	; wave barrier
	s_waitcnt lgkmcnt(0)
	buffer_load_dword v2, off, s[0:3], 0 offset:228
	buffer_load_dword v3, off, s[0:3], 0 offset:236
	;; [unrolled: 1-line block ×38, first 2 shown]
	ds_read_b128 v[6:9], v4 offset:656
	ds_read_b128 v[10:13], v4 offset:672
	;; [unrolled: 1-line block ×8, first 2 shown]
	buffer_load_dword v49, off, s[0:3], 0 offset:372
	buffer_load_dword v48, off, s[0:3], 0 offset:368
	;; [unrolled: 1-line block ×4, first 2 shown]
	v_cmp_lt_u32_e32 vcc, 26, v0
	s_waitcnt vmcnt(41) lgkmcnt(7)
	v_mul_f32_e32 v38, v6, v2
	s_waitcnt vmcnt(40)
	v_mul_f32_e32 v39, v8, v3
	s_waitcnt vmcnt(39) lgkmcnt(6)
	v_mul_f32_e32 v40, v10, v5
	s_waitcnt vmcnt(38)
	v_mul_f32_e32 v41, v12, v58
	;; [unrolled: 4-line block ×7, first 2 shown]
	s_waitcnt vmcnt(27) lgkmcnt(0)
	v_mul_f32_e32 v59, v34, v78
	s_waitcnt vmcnt(26)
	v_fmac_f32_e32 v38, v7, v79
	s_waitcnt vmcnt(25)
	v_fmac_f32_e32 v39, v9, v80
	v_add_f32_e32 v38, 0, v38
	s_waitcnt vmcnt(24)
	v_fmac_f32_e32 v40, v11, v81
	v_add_f32_e32 v38, v38, v39
	s_waitcnt vmcnt(23)
	v_fmac_f32_e32 v41, v13, v82
	v_add_f32_e32 v38, v38, v40
	s_waitcnt vmcnt(22)
	v_fmac_f32_e32 v42, v15, v83
	v_add_f32_e32 v38, v38, v41
	s_waitcnt vmcnt(21)
	v_fmac_f32_e32 v43, v17, v84
	v_add_f32_e32 v38, v38, v42
	s_waitcnt vmcnt(20)
	v_fmac_f32_e32 v44, v19, v85
	v_add_f32_e32 v38, v38, v43
	s_waitcnt vmcnt(19)
	v_fmac_f32_e32 v45, v21, v86
	v_add_f32_e32 v38, v38, v44
	s_waitcnt vmcnt(18)
	v_fmac_f32_e32 v52, v23, v87
	v_add_f32_e32 v38, v38, v45
	s_waitcnt vmcnt(17)
	v_fmac_f32_e32 v53, v25, v88
	v_add_f32_e32 v38, v38, v52
	s_waitcnt vmcnt(16)
	v_fmac_f32_e32 v54, v27, v89
	v_add_f32_e32 v38, v38, v53
	s_waitcnt vmcnt(15)
	v_fmac_f32_e32 v55, v29, v90
	v_add_f32_e32 v38, v38, v54
	s_waitcnt vmcnt(14)
	v_fmac_f32_e32 v56, v31, v91
	v_add_f32_e32 v38, v38, v55
	s_waitcnt vmcnt(13)
	v_fmac_f32_e32 v57, v33, v92
	v_add_f32_e32 v38, v38, v56
	v_add_f32_e32 v38, v38, v57
	buffer_load_dword v53, off, s[0:3], 0 offset:396
	buffer_load_dword v52, off, s[0:3], 0 offset:392
	;; [unrolled: 1-line block ×6, first 2 shown]
	s_waitcnt vmcnt(18)
	v_fmac_f32_e32 v59, v35, v93
	s_waitcnt vmcnt(17)
	v_mul_f32_e32 v43, v36, v94
	v_add_f32_e32 v42, v38, v59
	s_waitcnt vmcnt(16)
	v_fmac_f32_e32 v43, v37, v95
	ds_read_b128 v[38:41], v4 offset:784
	v_add_f32_e32 v59, v42, v43
	ds_read_b128 v[42:45], v4 offset:800
	buffer_load_dword v65, off, s[0:3], 0 offset:428
	buffer_load_dword v64, off, s[0:3], 0 offset:424
	;; [unrolled: 1-line block ×6, first 2 shown]
	v_mul_f32_e32 v2, v7, v2
	v_fma_f32 v2, v6, v79, -v2
	v_mul_f32_e32 v3, v9, v3
	v_add_f32_e32 v2, 0, v2
	v_fma_f32 v3, v8, v80, -v3
	v_add_f32_e32 v2, v2, v3
	v_mul_f32_e32 v3, v11, v5
	v_fma_f32 v3, v10, v81, -v3
	v_add_f32_e32 v2, v2, v3
	v_mul_f32_e32 v3, v13, v58
	;; [unrolled: 3-line block ×14, first 2 shown]
	v_fma_f32 v3, v36, v95, -v3
	s_waitcnt vmcnt(15)
	v_mov_b32_e32 v16, v49
	s_waitcnt lgkmcnt(1)
	v_mul_f32_e32 v61, v38, v96
	v_add_f32_e32 v58, v2, v3
	v_mul_f32_e32 v2, v39, v96
	s_waitcnt lgkmcnt(0)
	v_pk_mul_f32 v[16:17], v[42:43], v[16:17] op_sel_hi:[1,0]
	v_fmac_f32_e32 v61, v39, v97
	v_mul_f32_e32 v63, v40, v98
	v_fma_f32 v60, v38, v97, -v2
	v_mul_f32_e32 v2, v41, v98
	s_waitcnt vmcnt(14)
	v_pk_fma_f32 v[18:19], v[42:43], v[48:49], v[16:17] op_sel:[0,0,1] op_sel_hi:[1,1,0] neg_lo:[0,0,1] neg_hi:[0,0,1]
	v_pk_fma_f32 v[16:17], v[42:43], v[48:49], v[16:17] op_sel:[0,0,1] op_sel_hi:[1,0,0]
	v_fmac_f32_e32 v63, v41, v99
	v_fma_f32 v62, v40, v99, -v2
	v_pk_add_f32 v[14:15], v[58:59], v[60:61]
	ds_read_b128 v[6:9], v4 offset:816
	ds_read_b128 v[10:13], v4 offset:832
	;; [unrolled: 1-line block ×3, first 2 shown]
	v_pk_add_f32 v[14:15], v[14:15], v[62:63]
	v_mov_b32_e32 v19, v17
	v_pk_add_f32 v[14:15], v[14:15], v[18:19]
	s_waitcnt vmcnt(7)
	v_mov_b32_e32 v16, v57
	v_pk_mul_f32 v[16:17], v[44:45], v[16:17] op_sel_hi:[1,0]
	s_waitcnt vmcnt(6)
	v_pk_fma_f32 v[18:19], v[44:45], v[56:57], v[16:17] op_sel:[0,0,1] op_sel_hi:[1,1,0] neg_lo:[0,0,1] neg_hi:[0,0,1]
	v_pk_fma_f32 v[16:17], v[44:45], v[56:57], v[16:17] op_sel:[0,0,1] op_sel_hi:[1,0,0]
	v_mov_b32_e32 v16, v55
	v_mov_b32_e32 v19, v17
	s_waitcnt lgkmcnt(2)
	v_pk_mul_f32 v[16:17], v[6:7], v[16:17] op_sel_hi:[1,0]
	v_pk_add_f32 v[14:15], v[14:15], v[18:19]
	v_pk_fma_f32 v[18:19], v[6:7], v[54:55], v[16:17] op_sel:[0,0,1] op_sel_hi:[1,1,0] neg_lo:[0,0,1] neg_hi:[0,0,1]
	v_pk_fma_f32 v[6:7], v[6:7], v[54:55], v[16:17] op_sel:[0,0,1] op_sel_hi:[1,0,0]
	v_mov_b32_e32 v19, v7
	v_pk_add_f32 v[6:7], v[14:15], v[18:19]
	v_mov_b32_e32 v14, v53
	v_pk_mul_f32 v[14:15], v[8:9], v[14:15] op_sel_hi:[1,0]
	v_pk_fma_f32 v[16:17], v[8:9], v[52:53], v[14:15] op_sel:[0,0,1] op_sel_hi:[1,1,0] neg_lo:[0,0,1] neg_hi:[0,0,1]
	v_pk_fma_f32 v[8:9], v[8:9], v[52:53], v[14:15] op_sel:[0,0,1] op_sel_hi:[1,0,0]
	v_mov_b32_e32 v8, v51
	v_mov_b32_e32 v17, v9
	s_waitcnt lgkmcnt(1)
	v_pk_mul_f32 v[8:9], v[10:11], v[8:9] op_sel_hi:[1,0]
	v_pk_fma_f32 v[14:15], v[10:11], v[50:51], v[8:9] op_sel:[0,0,1] op_sel_hi:[1,1,0] neg_lo:[0,0,1] neg_hi:[0,0,1]
	v_pk_fma_f32 v[8:9], v[10:11], v[50:51], v[8:9] op_sel:[0,0,1] op_sel_hi:[1,0,0]
	s_waitcnt vmcnt(1)
	v_mov_b32_e32 v8, v69
	v_mov_b32_e32 v15, v9
	v_pk_mul_f32 v[8:9], v[12:13], v[8:9] op_sel_hi:[1,0]
	s_waitcnt vmcnt(0)
	v_pk_fma_f32 v[10:11], v[12:13], v[68:69], v[8:9] op_sel:[0,0,1] op_sel_hi:[1,1,0] neg_lo:[0,0,1] neg_hi:[0,0,1]
	v_pk_fma_f32 v[8:9], v[12:13], v[68:69], v[8:9] op_sel:[0,0,1] op_sel_hi:[1,0,0]
	v_pk_add_f32 v[6:7], v[6:7], v[16:17]
	v_mov_b32_e32 v8, v67
	v_pk_add_f32 v[6:7], v[6:7], v[14:15]
	v_mov_b32_e32 v11, v9
	s_waitcnt lgkmcnt(0)
	v_pk_mul_f32 v[8:9], v[2:3], v[8:9] op_sel_hi:[1,0]
	v_pk_add_f32 v[6:7], v[6:7], v[10:11]
	v_pk_fma_f32 v[10:11], v[2:3], v[66:67], v[8:9] op_sel:[0,0,1] op_sel_hi:[1,1,0] neg_lo:[0,0,1] neg_hi:[0,0,1]
	v_pk_fma_f32 v[2:3], v[2:3], v[66:67], v[8:9] op_sel:[0,0,1] op_sel_hi:[1,0,0]
	v_mov_b32_e32 v11, v3
	v_pk_add_f32 v[2:3], v[6:7], v[10:11]
	v_mov_b32_e32 v6, v65
	v_pk_mul_f32 v[6:7], v[4:5], v[6:7] op_sel_hi:[1,0]
	v_pk_fma_f32 v[8:9], v[4:5], v[64:65], v[6:7] op_sel:[0,0,1] op_sel_hi:[1,1,0] neg_lo:[0,0,1] neg_hi:[0,0,1]
	v_pk_fma_f32 v[4:5], v[4:5], v[64:65], v[6:7] op_sel:[0,0,1] op_sel_hi:[1,0,0]
	v_mov_b32_e32 v9, v5
	v_pk_add_f32 v[2:3], v[2:3], v[8:9]
	v_pk_add_f32 v[2:3], v[46:47], v[2:3] neg_lo:[0,1] neg_hi:[0,1]
	buffer_store_dword v3, off, s[0:3], 0 offset:220
	buffer_store_dword v2, off, s[0:3], 0 offset:216
	s_and_saveexec_b64 s[4:5], vcc
	s_cbranch_execz .LBB53_285
; %bb.284:
	buffer_load_dword v2, off, s[0:3], 0 offset:208
	buffer_load_dword v3, off, s[0:3], 0 offset:212
	v_mov_b32_e32 v4, 0
	buffer_store_dword v4, off, s[0:3], 0 offset:208
	buffer_store_dword v4, off, s[0:3], 0 offset:212
	s_waitcnt vmcnt(2)
	ds_write_b64 v143, v[2:3]
.LBB53_285:
	s_or_b64 exec, exec, s[4:5]
	s_waitcnt lgkmcnt(0)
	; wave barrier
	s_waitcnt lgkmcnt(0)
	buffer_load_dword v5, off, s[0:3], 0 offset:220
	buffer_load_dword v54, off, s[0:3], 0 offset:228
	;; [unrolled: 1-line block ×40, first 2 shown]
	v_mov_b32_e32 v4, 0
	ds_read2_b64 v[6:9], v4 offset0:81 offset1:82
	ds_read2_b64 v[10:13], v4 offset0:83 offset1:84
	;; [unrolled: 1-line block ×8, first 2 shown]
	v_cmp_lt_u32_e32 vcc, 25, v0
	s_waitcnt vmcnt(39) lgkmcnt(7)
	v_mul_f32_e32 v38, v6, v5
	s_waitcnt vmcnt(38)
	v_mul_f32_e32 v39, v8, v54
	s_waitcnt vmcnt(37) lgkmcnt(6)
	v_mul_f32_e32 v40, v10, v56
	s_waitcnt vmcnt(36)
	v_mul_f32_e32 v41, v12, v58
	;; [unrolled: 4-line block ×8, first 2 shown]
	s_waitcnt vmcnt(23)
	v_fmac_f32_e32 v38, v7, v80
	s_waitcnt vmcnt(22)
	v_fmac_f32_e32 v39, v9, v81
	v_add_f32_e32 v38, 0, v38
	s_waitcnt vmcnt(21)
	v_fmac_f32_e32 v40, v11, v82
	v_add_f32_e32 v38, v38, v39
	;; [unrolled: 3-line block ×14, first 2 shown]
	v_add_f32_e32 v38, v38, v52
	s_waitcnt vmcnt(8)
	v_fmac_f32_e32 v53, v37, v95
	v_add_f32_e32 v55, v38, v53
	ds_read2_b64 v[38:41], v4 offset0:97 offset1:98
	buffer_load_dword v47, off, s[0:3], 0 offset:372
	buffer_load_dword v49, off, s[0:3], 0 offset:396
	;; [unrolled: 1-line block ×8, first 2 shown]
	ds_read2_b64 v[42:45], v4 offset0:99 offset1:100
	buffer_load_dword v61, off, s[0:3], 0 offset:428
	buffer_load_dword v60, off, s[0:3], 0 offset:424
	;; [unrolled: 1-line block ×8, first 2 shown]
	v_mul_f32_e32 v5, v7, v5
	v_fma_f32 v5, v6, v80, -v5
	v_mul_f32_e32 v6, v9, v54
	v_add_f32_e32 v5, 0, v5
	v_fma_f32 v6, v8, v81, -v6
	v_add_f32_e32 v5, v5, v6
	v_mul_f32_e32 v6, v11, v56
	v_fma_f32 v6, v10, v82, -v6
	v_add_f32_e32 v5, v5, v6
	v_mul_f32_e32 v6, v13, v58
	;; [unrolled: 3-line block ×14, first 2 shown]
	v_fma_f32 v6, v36, v95, -v6
	s_waitcnt vmcnt(23) lgkmcnt(1)
	v_mul_f32_e32 v57, v38, v96
	v_add_f32_e32 v5, v5, v6
	v_mul_f32_e32 v6, v39, v96
	s_waitcnt vmcnt(22)
	v_fmac_f32_e32 v57, v39, v97
	v_fma_f32 v6, v38, v97, -v6
	v_add_f32_e32 v55, v55, v57
	s_waitcnt vmcnt(21)
	v_mul_f32_e32 v57, v40, v98
	v_add_f32_e32 v54, v5, v6
	v_mul_f32_e32 v5, v41, v98
	s_waitcnt vmcnt(20)
	v_fmac_f32_e32 v57, v41, v99
	s_waitcnt vmcnt(19) lgkmcnt(0)
	v_mul_f32_e32 v59, v42, v100
	v_fma_f32 v56, v40, v99, -v5
	v_mul_f32_e32 v5, v43, v100
	ds_read2_b64 v[6:9], v4 offset0:101 offset1:102
	ds_read2_b64 v[10:13], v4 offset0:103 offset1:104
	;; [unrolled: 1-line block ×3, first 2 shown]
	ds_read_b64 v[18:19], v4 offset:856
	s_waitcnt vmcnt(18)
	v_fmac_f32_e32 v59, v43, v101
	v_fma_f32 v58, v42, v101, -v5
	v_pk_add_f32 v[20:21], v[54:55], v[56:57]
	v_pk_add_f32 v[20:21], v[20:21], v[58:59]
	s_waitcnt vmcnt(15)
	v_mov_b32_e32 v22, v47
	v_pk_mul_f32 v[22:23], v[44:45], v[22:23] op_sel_hi:[1,0]
	s_waitcnt vmcnt(8)
	v_pk_fma_f32 v[24:25], v[44:45], v[46:47], v[22:23] op_sel:[0,0,1] op_sel_hi:[1,1,0] neg_lo:[0,0,1] neg_hi:[0,0,1]
	v_pk_fma_f32 v[22:23], v[44:45], v[46:47], v[22:23] op_sel:[0,0,1] op_sel_hi:[1,0,0]
	v_mov_b32_e32 v22, v53
	v_mov_b32_e32 v25, v23
	s_waitcnt lgkmcnt(3)
	v_pk_mul_f32 v[22:23], v[6:7], v[22:23] op_sel_hi:[1,0]
	v_pk_add_f32 v[20:21], v[20:21], v[24:25]
	v_pk_fma_f32 v[24:25], v[6:7], v[52:53], v[22:23] op_sel:[0,0,1] op_sel_hi:[1,1,0] neg_lo:[0,0,1] neg_hi:[0,0,1]
	v_pk_fma_f32 v[6:7], v[6:7], v[52:53], v[22:23] op_sel:[0,0,1] op_sel_hi:[1,0,0]
	v_mov_b32_e32 v25, v7
	v_pk_add_f32 v[6:7], v[20:21], v[24:25]
	v_mov_b32_e32 v20, v51
	v_pk_mul_f32 v[20:21], v[8:9], v[20:21] op_sel_hi:[1,0]
	v_pk_fma_f32 v[22:23], v[8:9], v[50:51], v[20:21] op_sel:[0,0,1] op_sel_hi:[1,1,0] neg_lo:[0,0,1] neg_hi:[0,0,1]
	v_pk_fma_f32 v[8:9], v[8:9], v[50:51], v[20:21] op_sel:[0,0,1] op_sel_hi:[1,0,0]
	v_mov_b32_e32 v8, v49
	v_mov_b32_e32 v23, v9
	s_waitcnt lgkmcnt(2)
	v_pk_mul_f32 v[8:9], v[10:11], v[8:9] op_sel_hi:[1,0]
	v_pk_fma_f32 v[20:21], v[10:11], v[48:49], v[8:9] op_sel:[0,0,1] op_sel_hi:[1,1,0] neg_lo:[0,0,1] neg_hi:[0,0,1]
	v_pk_fma_f32 v[8:9], v[10:11], v[48:49], v[8:9] op_sel:[0,0,1] op_sel_hi:[1,0,0]
	s_waitcnt vmcnt(1)
	v_mov_b32_e32 v8, v67
	v_mov_b32_e32 v21, v9
	v_pk_mul_f32 v[8:9], v[12:13], v[8:9] op_sel_hi:[1,0]
	s_waitcnt vmcnt(0)
	v_pk_fma_f32 v[10:11], v[12:13], v[66:67], v[8:9] op_sel:[0,0,1] op_sel_hi:[1,1,0] neg_lo:[0,0,1] neg_hi:[0,0,1]
	v_pk_fma_f32 v[8:9], v[12:13], v[66:67], v[8:9] op_sel:[0,0,1] op_sel_hi:[1,0,0]
	v_pk_add_f32 v[6:7], v[6:7], v[22:23]
	v_mov_b32_e32 v8, v65
	v_pk_add_f32 v[6:7], v[6:7], v[20:21]
	v_mov_b32_e32 v11, v9
	s_waitcnt lgkmcnt(1)
	v_pk_mul_f32 v[8:9], v[14:15], v[8:9] op_sel_hi:[1,0]
	v_pk_add_f32 v[6:7], v[6:7], v[10:11]
	v_pk_fma_f32 v[10:11], v[14:15], v[64:65], v[8:9] op_sel:[0,0,1] op_sel_hi:[1,1,0] neg_lo:[0,0,1] neg_hi:[0,0,1]
	v_pk_fma_f32 v[8:9], v[14:15], v[64:65], v[8:9] op_sel:[0,0,1] op_sel_hi:[1,0,0]
	v_mov_b32_e32 v8, v63
	v_mov_b32_e32 v11, v9
	v_pk_mul_f32 v[8:9], v[16:17], v[8:9] op_sel_hi:[1,0]
	v_pk_add_f32 v[6:7], v[6:7], v[10:11]
	v_pk_fma_f32 v[10:11], v[16:17], v[62:63], v[8:9] op_sel:[0,0,1] op_sel_hi:[1,1,0] neg_lo:[0,0,1] neg_hi:[0,0,1]
	v_pk_fma_f32 v[8:9], v[16:17], v[62:63], v[8:9] op_sel:[0,0,1] op_sel_hi:[1,0,0]
	v_mov_b32_e32 v8, v61
	v_mov_b32_e32 v11, v9
	s_waitcnt lgkmcnt(0)
	v_pk_mul_f32 v[8:9], v[18:19], v[8:9] op_sel_hi:[1,0]
	v_pk_add_f32 v[6:7], v[6:7], v[10:11]
	v_pk_fma_f32 v[10:11], v[18:19], v[60:61], v[8:9] op_sel:[0,0,1] op_sel_hi:[1,1,0] neg_lo:[0,0,1] neg_hi:[0,0,1]
	v_pk_fma_f32 v[8:9], v[18:19], v[60:61], v[8:9] op_sel:[0,0,1] op_sel_hi:[1,0,0]
	v_mov_b32_e32 v11, v9
	v_pk_add_f32 v[6:7], v[6:7], v[10:11]
	v_pk_add_f32 v[2:3], v[2:3], v[6:7] neg_lo:[0,1] neg_hi:[0,1]
	buffer_store_dword v3, off, s[0:3], 0 offset:212
	buffer_store_dword v2, off, s[0:3], 0 offset:208
	s_and_saveexec_b64 s[4:5], vcc
	s_cbranch_execz .LBB53_287
; %bb.286:
	buffer_load_dword v2, off, s[0:3], 0 offset:200
	buffer_load_dword v3, off, s[0:3], 0 offset:204
	s_waitcnt vmcnt(0)
	ds_write_b64 v143, v[2:3]
	buffer_store_dword v4, off, s[0:3], 0 offset:200
	buffer_store_dword v4, off, s[0:3], 0 offset:204
.LBB53_287:
	s_or_b64 exec, exec, s[4:5]
	s_waitcnt lgkmcnt(0)
	; wave barrier
	s_waitcnt lgkmcnt(0)
	buffer_load_dword v5, off, s[0:3], 0 offset:212
	buffer_load_dword v46, off, s[0:3], 0 offset:220
	;; [unrolled: 1-line block ×42, first 2 shown]
	ds_read_b128 v[6:9], v4 offset:640
	ds_read_b128 v[10:13], v4 offset:656
	;; [unrolled: 1-line block ×8, first 2 shown]
	v_cmp_lt_u32_e32 vcc, 24, v0
	s_waitcnt vmcnt(41) lgkmcnt(7)
	v_mul_f32_e32 v38, v6, v5
	s_waitcnt vmcnt(40)
	v_mul_f32_e32 v39, v8, v46
	s_waitcnt vmcnt(39) lgkmcnt(6)
	v_mul_f32_e32 v40, v10, v48
	s_waitcnt vmcnt(38)
	v_mul_f32_e32 v41, v12, v56
	;; [unrolled: 4-line block ×7, first 2 shown]
	s_waitcnt vmcnt(27) lgkmcnt(0)
	v_mul_f32_e32 v54, v34, v78
	s_waitcnt vmcnt(26)
	v_fmac_f32_e32 v38, v7, v79
	s_waitcnt vmcnt(25)
	v_fmac_f32_e32 v39, v9, v80
	v_add_f32_e32 v38, 0, v38
	s_waitcnt vmcnt(24)
	v_fmac_f32_e32 v40, v11, v81
	v_add_f32_e32 v38, v38, v39
	;; [unrolled: 3-line block ×14, first 2 shown]
	s_waitcnt vmcnt(11)
	v_mul_f32_e32 v43, v36, v94
	v_add_f32_e32 v42, v38, v54
	s_waitcnt vmcnt(10)
	v_fmac_f32_e32 v43, v37, v95
	ds_read_b128 v[38:41], v4 offset:768
	v_add_f32_e32 v47, v42, v43
	ds_read_b128 v[42:45], v4 offset:784
	buffer_load_dword v51, off, s[0:3], 0 offset:372
	buffer_load_dword v53, off, s[0:3], 0 offset:388
	;; [unrolled: 1-line block ×16, first 2 shown]
	v_mul_f32_e32 v5, v7, v5
	v_fma_f32 v5, v6, v79, -v5
	v_mul_f32_e32 v6, v9, v46
	v_add_f32_e32 v5, 0, v5
	v_fma_f32 v6, v8, v80, -v6
	v_add_f32_e32 v5, v5, v6
	v_mul_f32_e32 v6, v11, v48
	v_fma_f32 v6, v10, v81, -v6
	v_add_f32_e32 v5, v5, v6
	v_mul_f32_e32 v6, v13, v56
	;; [unrolled: 3-line block ×14, first 2 shown]
	v_fma_f32 v6, v36, v95, -v6
	v_add_f32_e32 v5, v5, v6
	s_waitcnt vmcnt(25) lgkmcnt(1)
	v_mul_f32_e32 v6, v39, v96
	s_waitcnt vmcnt(24)
	v_fma_f32 v6, v38, v97, -v6
	v_add_f32_e32 v5, v5, v6
	s_waitcnt vmcnt(23)
	v_mul_f32_e32 v6, v41, v98
	s_waitcnt vmcnt(22)
	v_fma_f32 v6, v40, v99, -v6
	v_add_f32_e32 v46, v5, v6
	ds_read_b128 v[6:9], v4 offset:800
	ds_read_b128 v[10:13], v4 offset:816
	;; [unrolled: 1-line block ×4, first 2 shown]
	v_mul_f32_e32 v49, v38, v96
	v_fmac_f32_e32 v49, v39, v97
	v_add_f32_e32 v47, v47, v49
	v_mul_f32_e32 v49, v40, v98
	v_fmac_f32_e32 v49, v41, v99
	v_add_f32_e32 v47, v47, v49
	s_waitcnt vmcnt(21) lgkmcnt(4)
	v_mul_f32_e32 v49, v42, v100
	v_mul_f32_e32 v5, v43, v100
	s_waitcnt vmcnt(20)
	v_fmac_f32_e32 v49, v43, v101
	s_waitcnt vmcnt(19)
	v_mul_f32_e32 v57, v44, v102
	v_fma_f32 v48, v42, v101, -v5
	v_mul_f32_e32 v5, v45, v102
	s_waitcnt vmcnt(18)
	v_fmac_f32_e32 v57, v45, v103
	v_fma_f32 v56, v44, v103, -v5
	v_pk_add_f32 v[4:5], v[46:47], v[48:49]
	v_pk_add_f32 v[4:5], v[4:5], v[56:57]
	s_waitcnt vmcnt(15)
	v_mov_b32_e32 v22, v51
	s_waitcnt lgkmcnt(3)
	v_pk_mul_f32 v[22:23], v[6:7], v[22:23] op_sel_hi:[1,0]
	s_waitcnt vmcnt(10)
	v_pk_fma_f32 v[24:25], v[6:7], v[50:51], v[22:23] op_sel:[0,0,1] op_sel_hi:[1,1,0] neg_lo:[0,0,1] neg_hi:[0,0,1]
	v_pk_fma_f32 v[6:7], v[6:7], v[50:51], v[22:23] op_sel:[0,0,1] op_sel_hi:[1,0,0]
	v_mov_b32_e32 v6, v55
	v_mov_b32_e32 v25, v7
	v_pk_mul_f32 v[6:7], v[8:9], v[6:7] op_sel_hi:[1,0]
	v_pk_fma_f32 v[22:23], v[8:9], v[54:55], v[6:7] op_sel:[0,0,1] op_sel_hi:[1,1,0] neg_lo:[0,0,1] neg_hi:[0,0,1]
	v_pk_fma_f32 v[6:7], v[8:9], v[54:55], v[6:7] op_sel:[0,0,1] op_sel_hi:[1,0,0]
	v_mov_b32_e32 v6, v53
	v_mov_b32_e32 v23, v7
	s_waitcnt lgkmcnt(2)
	v_pk_mul_f32 v[6:7], v[10:11], v[6:7] op_sel_hi:[1,0]
	v_pk_fma_f32 v[8:9], v[10:11], v[52:53], v[6:7] op_sel:[0,0,1] op_sel_hi:[1,1,0] neg_lo:[0,0,1] neg_hi:[0,0,1]
	v_pk_fma_f32 v[6:7], v[10:11], v[52:53], v[6:7] op_sel:[0,0,1] op_sel_hi:[1,0,0]
	v_pk_add_f32 v[4:5], v[4:5], v[24:25]
	s_waitcnt vmcnt(3)
	v_mov_b32_e32 v6, v65
	v_pk_add_f32 v[4:5], v[4:5], v[22:23]
	v_mov_b32_e32 v9, v7
	v_pk_mul_f32 v[6:7], v[12:13], v[6:7] op_sel_hi:[1,0]
	v_pk_add_f32 v[4:5], v[4:5], v[8:9]
	s_waitcnt vmcnt(2)
	v_pk_fma_f32 v[8:9], v[12:13], v[64:65], v[6:7] op_sel:[0,0,1] op_sel_hi:[1,1,0] neg_lo:[0,0,1] neg_hi:[0,0,1]
	v_pk_fma_f32 v[6:7], v[12:13], v[64:65], v[6:7] op_sel:[0,0,1] op_sel_hi:[1,0,0]
	v_mov_b32_e32 v6, v63
	v_mov_b32_e32 v9, v7
	s_waitcnt lgkmcnt(1)
	v_pk_mul_f32 v[6:7], v[14:15], v[6:7] op_sel_hi:[1,0]
	v_pk_add_f32 v[4:5], v[4:5], v[8:9]
	v_pk_fma_f32 v[8:9], v[14:15], v[62:63], v[6:7] op_sel:[0,0,1] op_sel_hi:[1,1,0] neg_lo:[0,0,1] neg_hi:[0,0,1]
	v_pk_fma_f32 v[6:7], v[14:15], v[62:63], v[6:7] op_sel:[0,0,1] op_sel_hi:[1,0,0]
	v_mov_b32_e32 v6, v61
	v_mov_b32_e32 v9, v7
	v_pk_mul_f32 v[6:7], v[16:17], v[6:7] op_sel_hi:[1,0]
	v_pk_add_f32 v[4:5], v[4:5], v[8:9]
	v_pk_fma_f32 v[8:9], v[16:17], v[60:61], v[6:7] op_sel:[0,0,1] op_sel_hi:[1,1,0] neg_lo:[0,0,1] neg_hi:[0,0,1]
	v_pk_fma_f32 v[6:7], v[16:17], v[60:61], v[6:7] op_sel:[0,0,1] op_sel_hi:[1,0,0]
	v_mov_b32_e32 v6, v59
	v_mov_b32_e32 v9, v7
	s_waitcnt lgkmcnt(0)
	v_pk_mul_f32 v[6:7], v[18:19], v[6:7] op_sel_hi:[1,0]
	v_pk_add_f32 v[4:5], v[4:5], v[8:9]
	v_pk_fma_f32 v[8:9], v[18:19], v[58:59], v[6:7] op_sel:[0,0,1] op_sel_hi:[1,1,0] neg_lo:[0,0,1] neg_hi:[0,0,1]
	v_pk_fma_f32 v[6:7], v[18:19], v[58:59], v[6:7] op_sel:[0,0,1] op_sel_hi:[1,0,0]
	s_waitcnt vmcnt(1)
	v_mov_b32_e32 v6, v67
	v_mov_b32_e32 v9, v7
	v_pk_mul_f32 v[6:7], v[20:21], v[6:7] op_sel_hi:[1,0]
	v_pk_add_f32 v[4:5], v[4:5], v[8:9]
	s_waitcnt vmcnt(0)
	v_pk_fma_f32 v[8:9], v[20:21], v[66:67], v[6:7] op_sel:[0,0,1] op_sel_hi:[1,1,0] neg_lo:[0,0,1] neg_hi:[0,0,1]
	v_pk_fma_f32 v[6:7], v[20:21], v[66:67], v[6:7] op_sel:[0,0,1] op_sel_hi:[1,0,0]
	v_mov_b32_e32 v9, v7
	v_pk_add_f32 v[4:5], v[4:5], v[8:9]
	v_pk_add_f32 v[2:3], v[2:3], v[4:5] neg_lo:[0,1] neg_hi:[0,1]
	buffer_store_dword v3, off, s[0:3], 0 offset:204
	buffer_store_dword v2, off, s[0:3], 0 offset:200
	s_and_saveexec_b64 s[4:5], vcc
	s_cbranch_execz .LBB53_289
; %bb.288:
	buffer_load_dword v2, off, s[0:3], 0 offset:192
	buffer_load_dword v3, off, s[0:3], 0 offset:196
	v_mov_b32_e32 v4, 0
	buffer_store_dword v4, off, s[0:3], 0 offset:192
	buffer_store_dword v4, off, s[0:3], 0 offset:196
	s_waitcnt vmcnt(2)
	ds_write_b64 v143, v[2:3]
.LBB53_289:
	s_or_b64 exec, exec, s[4:5]
	s_waitcnt lgkmcnt(0)
	; wave barrier
	s_waitcnt lgkmcnt(0)
	buffer_load_dword v5, off, s[0:3], 0 offset:204
	buffer_load_dword v54, off, s[0:3], 0 offset:212
	;; [unrolled: 1-line block ×44, first 2 shown]
	v_mov_b32_e32 v4, 0
	ds_read2_b64 v[6:9], v4 offset0:79 offset1:80
	ds_read2_b64 v[10:13], v4 offset0:81 offset1:82
	;; [unrolled: 1-line block ×8, first 2 shown]
	v_cmp_lt_u32_e32 vcc, 23, v0
	s_waitcnt vmcnt(43) lgkmcnt(7)
	v_mul_f32_e32 v38, v6, v5
	s_waitcnt vmcnt(42)
	v_mul_f32_e32 v39, v8, v54
	s_waitcnt vmcnt(41) lgkmcnt(6)
	v_mul_f32_e32 v40, v10, v60
	s_waitcnt vmcnt(40)
	v_mul_f32_e32 v41, v12, v62
	;; [unrolled: 4-line block ×7, first 2 shown]
	s_waitcnt vmcnt(29)
	v_fmac_f32_e32 v38, v7, v86
	s_waitcnt vmcnt(28)
	v_fmac_f32_e32 v39, v9, v87
	v_add_f32_e32 v38, 0, v38
	s_waitcnt vmcnt(27)
	v_fmac_f32_e32 v40, v11, v88
	v_add_f32_e32 v38, v38, v39
	;; [unrolled: 3-line block ×12, first 2 shown]
	v_add_f32_e32 v38, v38, v50
	s_waitcnt vmcnt(16)
	v_fmac_f32_e32 v51, v33, v99
	s_waitcnt vmcnt(15) lgkmcnt(0)
	v_mul_f32_e32 v39, v34, v100
	v_add_f32_e32 v38, v38, v51
	s_waitcnt vmcnt(14)
	v_fmac_f32_e32 v39, v35, v101
	v_add_f32_e32 v42, v38, v39
	ds_read2_b64 v[38:41], v4 offset0:95 offset1:96
	s_waitcnt vmcnt(13)
	v_mul_f32_e32 v43, v36, v102
	s_waitcnt vmcnt(12)
	v_fmac_f32_e32 v43, v37, v103
	v_add_f32_e32 v46, v42, v43
	ds_read2_b64 v[42:45], v4 offset0:97 offset1:98
	s_waitcnt vmcnt(11) lgkmcnt(1)
	v_mul_f32_e32 v47, v38, v104
	s_waitcnt vmcnt(10)
	v_fmac_f32_e32 v47, v39, v105
	v_add_f32_e32 v46, v46, v47
	s_waitcnt vmcnt(9)
	v_mul_f32_e32 v47, v40, v106
	s_waitcnt vmcnt(8)
	v_fmac_f32_e32 v47, v41, v107
	v_add_f32_e32 v46, v46, v47
	s_waitcnt vmcnt(7) lgkmcnt(0)
	v_mul_f32_e32 v47, v42, v108
	s_waitcnt vmcnt(6)
	v_fmac_f32_e32 v47, v43, v109
	v_add_f32_e32 v55, v46, v47
	ds_read2_b64 v[46:49], v4 offset0:99 offset1:100
	buffer_load_dword v57, off, s[0:3], 0 offset:380
	buffer_load_dword v56, off, s[0:3], 0 offset:376
	;; [unrolled: 1-line block ×4, first 2 shown]
	ds_read2_b64 v[50:53], v4 offset0:101 offset1:102
	buffer_load_dword v65, off, s[0:3], 0 offset:412
	buffer_load_dword v64, off, s[0:3], 0 offset:408
	;; [unrolled: 1-line block ×12, first 2 shown]
	v_mul_f32_e32 v5, v7, v5
	v_fma_f32 v5, v6, v86, -v5
	v_mul_f32_e32 v6, v9, v54
	v_add_f32_e32 v5, 0, v5
	v_fma_f32 v6, v8, v87, -v6
	v_add_f32_e32 v5, v5, v6
	v_mul_f32_e32 v6, v11, v60
	v_fma_f32 v6, v10, v88, -v6
	v_add_f32_e32 v5, v5, v6
	v_mul_f32_e32 v6, v13, v62
	;; [unrolled: 3-line block ×17, first 2 shown]
	v_fma_f32 v6, v42, v109, -v6
	s_waitcnt vmcnt(21)
	v_mul_f32_e32 v61, v44, v110
	v_add_f32_e32 v54, v5, v6
	v_mul_f32_e32 v5, v45, v110
	s_waitcnt vmcnt(20)
	v_fmac_f32_e32 v61, v45, v111
	s_waitcnt vmcnt(19) lgkmcnt(1)
	v_mul_f32_e32 v63, v46, v112
	v_fma_f32 v60, v44, v111, -v5
	v_mul_f32_e32 v5, v47, v112
	s_waitcnt vmcnt(18)
	v_fmac_f32_e32 v63, v47, v113
	v_fma_f32 v62, v46, v113, -v5
	v_pk_add_f32 v[16:17], v[54:55], v[60:61]
	v_pk_add_f32 v[16:17], v[16:17], v[62:63]
	ds_read2_b64 v[6:9], v4 offset0:103 offset1:104
	ds_read2_b64 v[10:13], v4 offset0:105 offset1:106
	ds_read_b64 v[14:15], v4 offset:856
	s_waitcnt vmcnt(13)
	v_mov_b32_e32 v18, v59
	v_pk_mul_f32 v[18:19], v[48:49], v[18:19] op_sel_hi:[1,0]
	s_waitcnt vmcnt(12)
	v_pk_fma_f32 v[20:21], v[48:49], v[58:59], v[18:19] op_sel:[0,0,1] op_sel_hi:[1,1,0] neg_lo:[0,0,1] neg_hi:[0,0,1]
	v_pk_fma_f32 v[18:19], v[48:49], v[58:59], v[18:19] op_sel:[0,0,1] op_sel_hi:[1,0,0]
	v_mov_b32_e32 v18, v57
	v_mov_b32_e32 v21, v19
	s_waitcnt lgkmcnt(3)
	v_pk_mul_f32 v[18:19], v[50:51], v[18:19] op_sel_hi:[1,0]
	v_pk_add_f32 v[16:17], v[16:17], v[20:21]
	v_pk_fma_f32 v[20:21], v[50:51], v[56:57], v[18:19] op_sel:[0,0,1] op_sel_hi:[1,1,0] neg_lo:[0,0,1] neg_hi:[0,0,1]
	v_pk_fma_f32 v[18:19], v[50:51], v[56:57], v[18:19] op_sel:[0,0,1] op_sel_hi:[1,0,0]
	s_waitcnt vmcnt(5)
	v_mov_b32_e32 v18, v71
	v_mov_b32_e32 v21, v19
	v_pk_mul_f32 v[18:19], v[52:53], v[18:19] op_sel_hi:[1,0]
	v_pk_add_f32 v[16:17], v[16:17], v[20:21]
	s_waitcnt vmcnt(4)
	v_pk_fma_f32 v[20:21], v[52:53], v[70:71], v[18:19] op_sel:[0,0,1] op_sel_hi:[1,1,0] neg_lo:[0,0,1] neg_hi:[0,0,1]
	v_pk_fma_f32 v[18:19], v[52:53], v[70:71], v[18:19] op_sel:[0,0,1] op_sel_hi:[1,0,0]
	v_mov_b32_e32 v18, v69
	v_mov_b32_e32 v21, v19
	s_waitcnt lgkmcnt(2)
	v_pk_mul_f32 v[18:19], v[6:7], v[18:19] op_sel_hi:[1,0]
	v_pk_add_f32 v[16:17], v[16:17], v[20:21]
	v_pk_fma_f32 v[20:21], v[6:7], v[68:69], v[18:19] op_sel:[0,0,1] op_sel_hi:[1,1,0] neg_lo:[0,0,1] neg_hi:[0,0,1]
	v_pk_fma_f32 v[6:7], v[6:7], v[68:69], v[18:19] op_sel:[0,0,1] op_sel_hi:[1,0,0]
	v_mov_b32_e32 v21, v7
	v_pk_add_f32 v[6:7], v[16:17], v[20:21]
	v_mov_b32_e32 v16, v67
	v_pk_mul_f32 v[16:17], v[8:9], v[16:17] op_sel_hi:[1,0]
	v_pk_fma_f32 v[18:19], v[8:9], v[66:67], v[16:17] op_sel:[0,0,1] op_sel_hi:[1,1,0] neg_lo:[0,0,1] neg_hi:[0,0,1]
	v_pk_fma_f32 v[8:9], v[8:9], v[66:67], v[16:17] op_sel:[0,0,1] op_sel_hi:[1,0,0]
	v_mov_b32_e32 v8, v65
	v_mov_b32_e32 v19, v9
	s_waitcnt lgkmcnt(1)
	v_pk_mul_f32 v[8:9], v[10:11], v[8:9] op_sel_hi:[1,0]
	v_pk_fma_f32 v[16:17], v[10:11], v[64:65], v[8:9] op_sel:[0,0,1] op_sel_hi:[1,1,0] neg_lo:[0,0,1] neg_hi:[0,0,1]
	v_pk_fma_f32 v[8:9], v[10:11], v[64:65], v[8:9] op_sel:[0,0,1] op_sel_hi:[1,0,0]
	s_waitcnt vmcnt(1)
	v_mov_b32_e32 v8, v75
	v_mov_b32_e32 v17, v9
	v_pk_mul_f32 v[8:9], v[12:13], v[8:9] op_sel_hi:[1,0]
	s_waitcnt vmcnt(0)
	v_pk_fma_f32 v[10:11], v[12:13], v[74:75], v[8:9] op_sel:[0,0,1] op_sel_hi:[1,1,0] neg_lo:[0,0,1] neg_hi:[0,0,1]
	v_pk_fma_f32 v[8:9], v[12:13], v[74:75], v[8:9] op_sel:[0,0,1] op_sel_hi:[1,0,0]
	v_pk_add_f32 v[6:7], v[6:7], v[18:19]
	v_mov_b32_e32 v8, v73
	v_pk_add_f32 v[6:7], v[6:7], v[16:17]
	v_mov_b32_e32 v11, v9
	s_waitcnt lgkmcnt(0)
	v_pk_mul_f32 v[8:9], v[14:15], v[8:9] op_sel_hi:[1,0]
	v_pk_add_f32 v[6:7], v[6:7], v[10:11]
	v_pk_fma_f32 v[10:11], v[14:15], v[72:73], v[8:9] op_sel:[0,0,1] op_sel_hi:[1,1,0] neg_lo:[0,0,1] neg_hi:[0,0,1]
	v_pk_fma_f32 v[8:9], v[14:15], v[72:73], v[8:9] op_sel:[0,0,1] op_sel_hi:[1,0,0]
	v_mov_b32_e32 v11, v9
	v_pk_add_f32 v[6:7], v[6:7], v[10:11]
	v_pk_add_f32 v[2:3], v[2:3], v[6:7] neg_lo:[0,1] neg_hi:[0,1]
	buffer_store_dword v3, off, s[0:3], 0 offset:196
	buffer_store_dword v2, off, s[0:3], 0 offset:192
	s_and_saveexec_b64 s[4:5], vcc
	s_cbranch_execz .LBB53_291
; %bb.290:
	buffer_load_dword v2, off, s[0:3], 0 offset:184
	buffer_load_dword v3, off, s[0:3], 0 offset:188
	s_waitcnt vmcnt(0)
	ds_write_b64 v143, v[2:3]
	buffer_store_dword v4, off, s[0:3], 0 offset:184
	buffer_store_dword v4, off, s[0:3], 0 offset:188
.LBB53_291:
	s_or_b64 exec, exec, s[4:5]
	s_waitcnt lgkmcnt(0)
	; wave barrier
	s_waitcnt lgkmcnt(0)
	buffer_load_dword v5, off, s[0:3], 0 offset:196
	buffer_load_dword v56, off, s[0:3], 0 offset:204
	;; [unrolled: 1-line block ×46, first 2 shown]
	ds_read_b128 v[6:9], v4 offset:624
	ds_read_b128 v[10:13], v4 offset:640
	;; [unrolled: 1-line block ×8, first 2 shown]
	v_cmp_lt_u32_e32 vcc, 22, v0
	s_waitcnt vmcnt(45) lgkmcnt(7)
	v_mul_f32_e32 v38, v6, v5
	s_waitcnt vmcnt(44)
	v_mul_f32_e32 v39, v8, v56
	s_waitcnt vmcnt(43) lgkmcnt(6)
	v_mul_f32_e32 v40, v10, v58
	s_waitcnt vmcnt(42)
	v_mul_f32_e32 v41, v12, v60
	;; [unrolled: 4-line block ×6, first 2 shown]
	s_waitcnt vmcnt(33) lgkmcnt(1)
	v_mul_f32_e32 v50, v30, v84
	s_waitcnt vmcnt(32)
	v_fmac_f32_e32 v38, v7, v85
	s_waitcnt vmcnt(31)
	v_fmac_f32_e32 v39, v9, v86
	v_add_f32_e32 v38, 0, v38
	s_waitcnt vmcnt(30)
	v_fmac_f32_e32 v40, v11, v87
	v_add_f32_e32 v38, v38, v39
	;; [unrolled: 3-line block ×12, first 2 shown]
	s_waitcnt vmcnt(19)
	v_mul_f32_e32 v39, v32, v98
	v_add_f32_e32 v38, v38, v50
	s_waitcnt vmcnt(18)
	v_fmac_f32_e32 v39, v33, v99
	v_add_f32_e32 v38, v38, v39
	s_waitcnt vmcnt(17) lgkmcnt(0)
	v_mul_f32_e32 v39, v34, v100
	s_waitcnt vmcnt(16)
	v_fmac_f32_e32 v39, v35, v101
	v_add_f32_e32 v42, v38, v39
	ds_read_b128 v[38:41], v4 offset:752
	s_waitcnt vmcnt(15)
	v_mul_f32_e32 v43, v36, v102
	s_waitcnt vmcnt(14)
	v_fmac_f32_e32 v43, v37, v103
	v_add_f32_e32 v46, v42, v43
	ds_read_b128 v[42:45], v4 offset:768
	buffer_load_dword v55, off, s[0:3], 0 offset:372
	buffer_load_dword v54, off, s[0:3], 0 offset:368
	s_waitcnt vmcnt(15) lgkmcnt(1)
	v_mul_f32_e32 v47, v38, v104
	s_waitcnt vmcnt(14)
	v_fmac_f32_e32 v47, v39, v105
	v_add_f32_e32 v46, v46, v47
	s_waitcnt vmcnt(13)
	v_mul_f32_e32 v47, v40, v106
	s_waitcnt vmcnt(12)
	v_fmac_f32_e32 v47, v41, v107
	v_add_f32_e32 v46, v46, v47
	s_waitcnt vmcnt(11) lgkmcnt(0)
	v_mul_f32_e32 v47, v42, v108
	s_waitcnt vmcnt(10)
	v_fmac_f32_e32 v47, v43, v109
	s_waitcnt vmcnt(9)
	v_mul_f32_e32 v51, v44, v110
	v_add_f32_e32 v50, v46, v47
	s_waitcnt vmcnt(8)
	v_fmac_f32_e32 v51, v45, v111
	ds_read_b128 v[46:49], v4 offset:784
	v_add_f32_e32 v57, v50, v51
	ds_read_b128 v[50:53], v4 offset:800
	buffer_load_dword v63, off, s[0:3], 0 offset:404
	buffer_load_dword v62, off, s[0:3], 0 offset:400
	;; [unrolled: 1-line block ×14, first 2 shown]
	v_mul_f32_e32 v5, v7, v5
	v_fma_f32 v5, v6, v85, -v5
	v_mul_f32_e32 v6, v9, v56
	v_add_f32_e32 v5, 0, v5
	v_fma_f32 v6, v8, v86, -v6
	v_add_f32_e32 v5, v5, v6
	v_mul_f32_e32 v6, v11, v58
	v_fma_f32 v6, v10, v87, -v6
	v_add_f32_e32 v5, v5, v6
	v_mul_f32_e32 v6, v13, v60
	;; [unrolled: 3-line block ×18, first 2 shown]
	v_fma_f32 v6, v44, v111, -v6
	s_waitcnt vmcnt(21) lgkmcnt(1)
	v_mul_f32_e32 v59, v46, v112
	v_add_f32_e32 v56, v5, v6
	v_mul_f32_e32 v5, v47, v112
	s_waitcnt vmcnt(20)
	v_fmac_f32_e32 v59, v47, v113
	s_waitcnt vmcnt(15)
	v_mov_b32_e32 v18, v55
	s_waitcnt lgkmcnt(0)
	v_pk_mul_f32 v[18:19], v[50:51], v[18:19] op_sel_hi:[1,0]
	v_mul_f32_e32 v61, v48, v114
	v_fma_f32 v58, v46, v113, -v5
	v_mul_f32_e32 v5, v49, v114
	s_waitcnt vmcnt(14)
	v_pk_fma_f32 v[20:21], v[50:51], v[54:55], v[18:19] op_sel:[0,0,1] op_sel_hi:[1,1,0] neg_lo:[0,0,1] neg_hi:[0,0,1]
	v_pk_fma_f32 v[18:19], v[50:51], v[54:55], v[18:19] op_sel:[0,0,1] op_sel_hi:[1,0,0]
	v_fmac_f32_e32 v61, v49, v115
	v_fma_f32 v60, v48, v115, -v5
	ds_read_b128 v[6:9], v4 offset:816
	ds_read_b128 v[10:13], v4 offset:832
	;; [unrolled: 1-line block ×3, first 2 shown]
	v_pk_add_f32 v[4:5], v[56:57], v[58:59]
	s_waitcnt vmcnt(7)
	v_mov_b32_e32 v18, v69
	v_pk_add_f32 v[4:5], v[4:5], v[60:61]
	v_mov_b32_e32 v21, v19
	v_pk_mul_f32 v[18:19], v[52:53], v[18:19] op_sel_hi:[1,0]
	v_pk_add_f32 v[4:5], v[4:5], v[20:21]
	s_waitcnt vmcnt(6)
	v_pk_fma_f32 v[20:21], v[52:53], v[68:69], v[18:19] op_sel:[0,0,1] op_sel_hi:[1,1,0] neg_lo:[0,0,1] neg_hi:[0,0,1]
	v_pk_fma_f32 v[18:19], v[52:53], v[68:69], v[18:19] op_sel:[0,0,1] op_sel_hi:[1,0,0]
	v_mov_b32_e32 v18, v67
	v_mov_b32_e32 v21, v19
	s_waitcnt lgkmcnt(2)
	v_pk_mul_f32 v[18:19], v[6:7], v[18:19] op_sel_hi:[1,0]
	v_pk_add_f32 v[4:5], v[4:5], v[20:21]
	v_pk_fma_f32 v[20:21], v[6:7], v[66:67], v[18:19] op_sel:[0,0,1] op_sel_hi:[1,1,0] neg_lo:[0,0,1] neg_hi:[0,0,1]
	v_pk_fma_f32 v[6:7], v[6:7], v[66:67], v[18:19] op_sel:[0,0,1] op_sel_hi:[1,0,0]
	v_mov_b32_e32 v6, v65
	v_mov_b32_e32 v21, v7
	v_pk_mul_f32 v[6:7], v[8:9], v[6:7] op_sel_hi:[1,0]
	v_pk_fma_f32 v[18:19], v[8:9], v[64:65], v[6:7] op_sel:[0,0,1] op_sel_hi:[1,1,0] neg_lo:[0,0,1] neg_hi:[0,0,1]
	v_pk_fma_f32 v[6:7], v[8:9], v[64:65], v[6:7] op_sel:[0,0,1] op_sel_hi:[1,0,0]
	v_mov_b32_e32 v6, v63
	v_mov_b32_e32 v19, v7
	s_waitcnt lgkmcnt(1)
	v_pk_mul_f32 v[6:7], v[10:11], v[6:7] op_sel_hi:[1,0]
	v_pk_fma_f32 v[8:9], v[10:11], v[62:63], v[6:7] op_sel:[0,0,1] op_sel_hi:[1,1,0] neg_lo:[0,0,1] neg_hi:[0,0,1]
	v_pk_fma_f32 v[6:7], v[10:11], v[62:63], v[6:7] op_sel:[0,0,1] op_sel_hi:[1,0,0]
	v_pk_add_f32 v[4:5], v[4:5], v[20:21]
	s_waitcnt vmcnt(1)
	v_mov_b32_e32 v6, v75
	v_pk_add_f32 v[4:5], v[4:5], v[18:19]
	v_mov_b32_e32 v9, v7
	v_pk_mul_f32 v[6:7], v[12:13], v[6:7] op_sel_hi:[1,0]
	v_pk_add_f32 v[4:5], v[4:5], v[8:9]
	s_waitcnt vmcnt(0)
	v_pk_fma_f32 v[8:9], v[12:13], v[74:75], v[6:7] op_sel:[0,0,1] op_sel_hi:[1,1,0] neg_lo:[0,0,1] neg_hi:[0,0,1]
	v_pk_fma_f32 v[6:7], v[12:13], v[74:75], v[6:7] op_sel:[0,0,1] op_sel_hi:[1,0,0]
	v_mov_b32_e32 v6, v73
	v_mov_b32_e32 v9, v7
	s_waitcnt lgkmcnt(0)
	v_pk_mul_f32 v[6:7], v[14:15], v[6:7] op_sel_hi:[1,0]
	v_pk_add_f32 v[4:5], v[4:5], v[8:9]
	v_pk_fma_f32 v[8:9], v[14:15], v[72:73], v[6:7] op_sel:[0,0,1] op_sel_hi:[1,1,0] neg_lo:[0,0,1] neg_hi:[0,0,1]
	v_pk_fma_f32 v[6:7], v[14:15], v[72:73], v[6:7] op_sel:[0,0,1] op_sel_hi:[1,0,0]
	v_mov_b32_e32 v6, v71
	v_mov_b32_e32 v9, v7
	v_pk_mul_f32 v[6:7], v[16:17], v[6:7] op_sel_hi:[1,0]
	v_pk_add_f32 v[4:5], v[4:5], v[8:9]
	v_pk_fma_f32 v[8:9], v[16:17], v[70:71], v[6:7] op_sel:[0,0,1] op_sel_hi:[1,1,0] neg_lo:[0,0,1] neg_hi:[0,0,1]
	v_pk_fma_f32 v[6:7], v[16:17], v[70:71], v[6:7] op_sel:[0,0,1] op_sel_hi:[1,0,0]
	v_mov_b32_e32 v9, v7
	v_pk_add_f32 v[4:5], v[4:5], v[8:9]
	v_pk_add_f32 v[2:3], v[2:3], v[4:5] neg_lo:[0,1] neg_hi:[0,1]
	buffer_store_dword v3, off, s[0:3], 0 offset:188
	buffer_store_dword v2, off, s[0:3], 0 offset:184
	s_and_saveexec_b64 s[4:5], vcc
	s_cbranch_execz .LBB53_293
; %bb.292:
	buffer_load_dword v2, off, s[0:3], 0 offset:176
	buffer_load_dword v3, off, s[0:3], 0 offset:180
	v_mov_b32_e32 v4, 0
	buffer_store_dword v4, off, s[0:3], 0 offset:176
	buffer_store_dword v4, off, s[0:3], 0 offset:180
	s_waitcnt vmcnt(2)
	ds_write_b64 v143, v[2:3]
.LBB53_293:
	s_or_b64 exec, exec, s[4:5]
	s_waitcnt lgkmcnt(0)
	; wave barrier
	s_waitcnt lgkmcnt(0)
	buffer_load_dword v5, off, s[0:3], 0 offset:188
	buffer_load_dword v54, off, s[0:3], 0 offset:196
	;; [unrolled: 1-line block ×48, first 2 shown]
	v_mov_b32_e32 v4, 0
	ds_read2_b64 v[6:9], v4 offset0:77 offset1:78
	ds_read2_b64 v[10:13], v4 offset0:79 offset1:80
	;; [unrolled: 1-line block ×6, first 2 shown]
	v_cmp_lt_u32_e32 vcc, 21, v0
	s_waitcnt vmcnt(47) lgkmcnt(5)
	v_mul_f32_e32 v30, v6, v5
	s_waitcnt vmcnt(46)
	v_mul_f32_e32 v31, v8, v54
	s_waitcnt vmcnt(45) lgkmcnt(4)
	v_mul_f32_e32 v32, v10, v56
	s_waitcnt vmcnt(44)
	v_mul_f32_e32 v33, v12, v58
	;; [unrolled: 4-line block ×6, first 2 shown]
	s_waitcnt vmcnt(35)
	v_fmac_f32_e32 v30, v7, v84
	s_waitcnt vmcnt(34)
	v_fmac_f32_e32 v31, v9, v85
	v_add_f32_e32 v30, 0, v30
	s_waitcnt vmcnt(33)
	v_fmac_f32_e32 v32, v11, v86
	v_add_f32_e32 v30, v30, v31
	;; [unrolled: 3-line block ×8, first 2 shown]
	v_add_f32_e32 v34, v30, v38
	ds_read2_b64 v[30:33], v4 offset0:89 offset1:90
	s_waitcnt vmcnt(26)
	v_fmac_f32_e32 v39, v25, v93
	s_waitcnt vmcnt(25)
	v_fmac_f32_e32 v40, v27, v94
	v_add_f32_e32 v34, v34, v39
	s_waitcnt vmcnt(24)
	v_fmac_f32_e32 v41, v29, v95
	v_add_f32_e32 v34, v34, v40
	v_add_f32_e32 v38, v34, v41
	ds_read2_b64 v[34:37], v4 offset0:91 offset1:92
	s_waitcnt vmcnt(23) lgkmcnt(1)
	v_mul_f32_e32 v39, v30, v96
	s_waitcnt vmcnt(22)
	v_fmac_f32_e32 v39, v31, v97
	v_add_f32_e32 v38, v38, v39
	s_waitcnt vmcnt(21)
	v_mul_f32_e32 v39, v32, v98
	s_waitcnt vmcnt(20)
	v_fmac_f32_e32 v39, v33, v99
	v_add_f32_e32 v38, v38, v39
	s_waitcnt vmcnt(19) lgkmcnt(0)
	v_mul_f32_e32 v39, v34, v100
	s_waitcnt vmcnt(18)
	v_fmac_f32_e32 v39, v35, v101
	v_add_f32_e32 v42, v38, v39
	ds_read2_b64 v[38:41], v4 offset0:93 offset1:94
	s_waitcnt vmcnt(17)
	v_mul_f32_e32 v43, v36, v102
	s_waitcnt vmcnt(16)
	v_fmac_f32_e32 v43, v37, v103
	v_add_f32_e32 v46, v42, v43
	ds_read2_b64 v[42:45], v4 offset0:95 offset1:96
	s_waitcnt vmcnt(15) lgkmcnt(1)
	v_mul_f32_e32 v47, v38, v104
	s_waitcnt vmcnt(14)
	v_fmac_f32_e32 v47, v39, v105
	v_add_f32_e32 v46, v46, v47
	s_waitcnt vmcnt(13)
	v_mul_f32_e32 v47, v40, v106
	s_waitcnt vmcnt(12)
	v_fmac_f32_e32 v47, v41, v107
	v_add_f32_e32 v46, v46, v47
	s_waitcnt vmcnt(11) lgkmcnt(0)
	v_mul_f32_e32 v47, v42, v108
	s_waitcnt vmcnt(10)
	v_fmac_f32_e32 v47, v43, v109
	s_waitcnt vmcnt(9)
	v_mul_f32_e32 v51, v44, v110
	v_add_f32_e32 v50, v46, v47
	s_waitcnt vmcnt(8)
	v_fmac_f32_e32 v51, v45, v111
	ds_read2_b64 v[46:49], v4 offset0:97 offset1:98
	v_add_f32_e32 v55, v50, v51
	ds_read2_b64 v[50:53], v4 offset0:99 offset1:100
	buffer_load_dword v61, off, s[0:3], 0 offset:396
	buffer_load_dword v60, off, s[0:3], 0 offset:392
	;; [unrolled: 1-line block ×16, first 2 shown]
	v_mul_f32_e32 v5, v7, v5
	v_fma_f32 v5, v6, v84, -v5
	v_mul_f32_e32 v6, v9, v54
	v_add_f32_e32 v5, 0, v5
	v_fma_f32 v6, v8, v85, -v6
	v_add_f32_e32 v5, v5, v6
	v_mul_f32_e32 v6, v11, v56
	v_fma_f32 v6, v10, v86, -v6
	v_add_f32_e32 v5, v5, v6
	v_mul_f32_e32 v6, v13, v58
	;; [unrolled: 3-line block ×18, first 2 shown]
	v_fma_f32 v6, v44, v111, -v6
	s_waitcnt vmcnt(22) lgkmcnt(1)
	v_mul_f32_e32 v57, v46, v113
	v_add_f32_e32 v5, v5, v6
	v_mul_f32_e32 v6, v47, v113
	v_fmac_f32_e32 v57, v47, v112
	v_fma_f32 v6, v46, v112, -v6
	v_add_f32_e32 v55, v55, v57
	s_waitcnt vmcnt(19)
	v_mul_f32_e32 v57, v48, v114
	v_add_f32_e32 v54, v5, v6
	v_mul_f32_e32 v5, v49, v114
	s_waitcnt vmcnt(18)
	v_fmac_f32_e32 v57, v49, v115
	s_waitcnt vmcnt(17) lgkmcnt(0)
	v_mul_f32_e32 v59, v50, v116
	s_waitcnt vmcnt(9)
	v_mov_b32_e32 v22, v67
	v_pk_mul_f32 v[22:23], v[52:53], v[22:23] op_sel_hi:[1,0]
	v_fma_f32 v56, v48, v115, -v5
	v_mul_f32_e32 v5, v51, v116
	ds_read2_b64 v[6:9], v4 offset0:101 offset1:102
	ds_read2_b64 v[10:13], v4 offset0:103 offset1:104
	;; [unrolled: 1-line block ×3, first 2 shown]
	ds_read_b64 v[18:19], v4 offset:856
	s_waitcnt vmcnt(8)
	v_pk_fma_f32 v[24:25], v[52:53], v[66:67], v[22:23] op_sel:[0,0,1] op_sel_hi:[1,1,0] neg_lo:[0,0,1] neg_hi:[0,0,1]
	v_pk_fma_f32 v[22:23], v[52:53], v[66:67], v[22:23] op_sel:[0,0,1] op_sel_hi:[1,0,0]
	v_fmac_f32_e32 v59, v51, v117
	v_fma_f32 v58, v50, v117, -v5
	v_pk_add_f32 v[20:21], v[54:55], v[56:57]
	v_mov_b32_e32 v22, v65
	v_pk_add_f32 v[20:21], v[20:21], v[58:59]
	v_mov_b32_e32 v25, v23
	s_waitcnt lgkmcnt(3)
	v_pk_mul_f32 v[22:23], v[6:7], v[22:23] op_sel_hi:[1,0]
	v_pk_add_f32 v[20:21], v[20:21], v[24:25]
	v_pk_fma_f32 v[24:25], v[6:7], v[64:65], v[22:23] op_sel:[0,0,1] op_sel_hi:[1,1,0] neg_lo:[0,0,1] neg_hi:[0,0,1]
	v_pk_fma_f32 v[6:7], v[6:7], v[64:65], v[22:23] op_sel:[0,0,1] op_sel_hi:[1,0,0]
	v_mov_b32_e32 v25, v7
	v_pk_add_f32 v[6:7], v[20:21], v[24:25]
	v_mov_b32_e32 v20, v63
	v_pk_mul_f32 v[20:21], v[8:9], v[20:21] op_sel_hi:[1,0]
	v_pk_fma_f32 v[22:23], v[8:9], v[62:63], v[20:21] op_sel:[0,0,1] op_sel_hi:[1,1,0] neg_lo:[0,0,1] neg_hi:[0,0,1]
	v_pk_fma_f32 v[8:9], v[8:9], v[62:63], v[20:21] op_sel:[0,0,1] op_sel_hi:[1,0,0]
	v_mov_b32_e32 v8, v61
	v_mov_b32_e32 v23, v9
	s_waitcnt lgkmcnt(2)
	v_pk_mul_f32 v[8:9], v[10:11], v[8:9] op_sel_hi:[1,0]
	v_pk_fma_f32 v[20:21], v[10:11], v[60:61], v[8:9] op_sel:[0,0,1] op_sel_hi:[1,1,0] neg_lo:[0,0,1] neg_hi:[0,0,1]
	v_pk_fma_f32 v[8:9], v[10:11], v[60:61], v[8:9] op_sel:[0,0,1] op_sel_hi:[1,0,0]
	s_waitcnt vmcnt(1)
	v_mov_b32_e32 v8, v75
	v_mov_b32_e32 v21, v9
	v_pk_mul_f32 v[8:9], v[12:13], v[8:9] op_sel_hi:[1,0]
	s_waitcnt vmcnt(0)
	v_pk_fma_f32 v[10:11], v[12:13], v[74:75], v[8:9] op_sel:[0,0,1] op_sel_hi:[1,1,0] neg_lo:[0,0,1] neg_hi:[0,0,1]
	v_pk_fma_f32 v[8:9], v[12:13], v[74:75], v[8:9] op_sel:[0,0,1] op_sel_hi:[1,0,0]
	v_pk_add_f32 v[6:7], v[6:7], v[22:23]
	v_mov_b32_e32 v8, v73
	v_pk_add_f32 v[6:7], v[6:7], v[20:21]
	v_mov_b32_e32 v11, v9
	s_waitcnt lgkmcnt(1)
	v_pk_mul_f32 v[8:9], v[14:15], v[8:9] op_sel_hi:[1,0]
	v_pk_add_f32 v[6:7], v[6:7], v[10:11]
	v_pk_fma_f32 v[10:11], v[14:15], v[72:73], v[8:9] op_sel:[0,0,1] op_sel_hi:[1,1,0] neg_lo:[0,0,1] neg_hi:[0,0,1]
	v_pk_fma_f32 v[8:9], v[14:15], v[72:73], v[8:9] op_sel:[0,0,1] op_sel_hi:[1,0,0]
	v_mov_b32_e32 v8, v71
	v_mov_b32_e32 v11, v9
	v_pk_mul_f32 v[8:9], v[16:17], v[8:9] op_sel_hi:[1,0]
	v_pk_add_f32 v[6:7], v[6:7], v[10:11]
	v_pk_fma_f32 v[10:11], v[16:17], v[70:71], v[8:9] op_sel:[0,0,1] op_sel_hi:[1,1,0] neg_lo:[0,0,1] neg_hi:[0,0,1]
	v_pk_fma_f32 v[8:9], v[16:17], v[70:71], v[8:9] op_sel:[0,0,1] op_sel_hi:[1,0,0]
	v_mov_b32_e32 v8, v69
	v_mov_b32_e32 v11, v9
	s_waitcnt lgkmcnt(0)
	v_pk_mul_f32 v[8:9], v[18:19], v[8:9] op_sel_hi:[1,0]
	v_pk_add_f32 v[6:7], v[6:7], v[10:11]
	v_pk_fma_f32 v[10:11], v[18:19], v[68:69], v[8:9] op_sel:[0,0,1] op_sel_hi:[1,1,0] neg_lo:[0,0,1] neg_hi:[0,0,1]
	v_pk_fma_f32 v[8:9], v[18:19], v[68:69], v[8:9] op_sel:[0,0,1] op_sel_hi:[1,0,0]
	v_mov_b32_e32 v11, v9
	v_pk_add_f32 v[6:7], v[6:7], v[10:11]
	v_pk_add_f32 v[2:3], v[2:3], v[6:7] neg_lo:[0,1] neg_hi:[0,1]
	buffer_store_dword v3, off, s[0:3], 0 offset:180
	buffer_store_dword v2, off, s[0:3], 0 offset:176
	s_and_saveexec_b64 s[4:5], vcc
	s_cbranch_execz .LBB53_295
; %bb.294:
	buffer_load_dword v2, off, s[0:3], 0 offset:168
	buffer_load_dword v3, off, s[0:3], 0 offset:172
	s_waitcnt vmcnt(0)
	ds_write_b64 v143, v[2:3]
	buffer_store_dword v4, off, s[0:3], 0 offset:168
	buffer_store_dword v4, off, s[0:3], 0 offset:172
.LBB53_295:
	s_or_b64 exec, exec, s[4:5]
	s_waitcnt lgkmcnt(0)
	; wave barrier
	s_waitcnt lgkmcnt(0)
	buffer_load_dword v5, off, s[0:3], 0 offset:180
	buffer_load_dword v54, off, s[0:3], 0 offset:188
	;; [unrolled: 1-line block ×48, first 2 shown]
	ds_read_b128 v[6:9], v4 offset:608
	ds_read_b128 v[10:13], v4 offset:624
	;; [unrolled: 1-line block ×6, first 2 shown]
	buffer_load_dword v118, off, s[0:3], 0 offset:360
	buffer_load_dword v119, off, s[0:3], 0 offset:364
	v_cmp_lt_u32_e32 vcc, 20, v0
	s_waitcnt vmcnt(49) lgkmcnt(5)
	v_mul_f32_e32 v30, v6, v5
	s_waitcnt vmcnt(48)
	v_mul_f32_e32 v31, v8, v54
	s_waitcnt vmcnt(47) lgkmcnt(4)
	v_mul_f32_e32 v32, v10, v56
	s_waitcnt vmcnt(46)
	v_mul_f32_e32 v33, v12, v64
	;; [unrolled: 4-line block ×6, first 2 shown]
	s_waitcnt vmcnt(37)
	v_fmac_f32_e32 v30, v7, v84
	s_waitcnt vmcnt(36)
	v_fmac_f32_e32 v31, v9, v85
	v_add_f32_e32 v30, 0, v30
	s_waitcnt vmcnt(35)
	v_fmac_f32_e32 v32, v11, v86
	v_add_f32_e32 v30, v30, v31
	;; [unrolled: 3-line block ×9, first 2 shown]
	v_add_f32_e32 v34, v30, v39
	ds_read_b128 v[30:33], v4 offset:704
	s_waitcnt vmcnt(27)
	v_fmac_f32_e32 v40, v27, v94
	v_add_f32_e32 v34, v34, v40
	s_waitcnt vmcnt(26)
	v_fmac_f32_e32 v41, v29, v95
	v_add_f32_e32 v38, v34, v41
	ds_read_b128 v[34:37], v4 offset:720
	s_waitcnt vmcnt(25) lgkmcnt(1)
	v_mul_f32_e32 v39, v30, v96
	s_waitcnt vmcnt(24)
	v_fmac_f32_e32 v39, v31, v97
	v_add_f32_e32 v38, v38, v39
	s_waitcnt vmcnt(23)
	v_mul_f32_e32 v39, v32, v98
	s_waitcnt vmcnt(22)
	v_fmac_f32_e32 v39, v33, v99
	v_add_f32_e32 v38, v38, v39
	s_waitcnt vmcnt(21) lgkmcnt(0)
	v_mul_f32_e32 v39, v34, v100
	s_waitcnt vmcnt(20)
	v_fmac_f32_e32 v39, v35, v101
	v_add_f32_e32 v42, v38, v39
	ds_read_b128 v[38:41], v4 offset:736
	s_waitcnt vmcnt(19)
	v_mul_f32_e32 v43, v36, v102
	s_waitcnt vmcnt(18)
	v_fmac_f32_e32 v43, v37, v103
	v_add_f32_e32 v46, v42, v43
	ds_read_b128 v[42:45], v4 offset:752
	s_waitcnt vmcnt(17) lgkmcnt(1)
	v_mul_f32_e32 v47, v38, v104
	s_waitcnt vmcnt(16)
	v_fmac_f32_e32 v47, v39, v105
	v_add_f32_e32 v46, v46, v47
	s_waitcnt vmcnt(15)
	v_mul_f32_e32 v47, v40, v106
	s_waitcnt vmcnt(14)
	v_fmac_f32_e32 v47, v41, v107
	v_add_f32_e32 v46, v46, v47
	s_waitcnt vmcnt(13) lgkmcnt(0)
	v_mul_f32_e32 v47, v42, v108
	s_waitcnt vmcnt(12)
	v_fmac_f32_e32 v47, v43, v109
	s_waitcnt vmcnt(11)
	v_mul_f32_e32 v51, v44, v110
	v_add_f32_e32 v50, v46, v47
	s_waitcnt vmcnt(10)
	v_fmac_f32_e32 v51, v45, v111
	ds_read_b128 v[46:49], v4 offset:768
	v_add_f32_e32 v55, v50, v51
	ds_read_b128 v[50:53], v4 offset:784
	buffer_load_dword v59, off, s[0:3], 0 offset:388
	buffer_load_dword v58, off, s[0:3], 0 offset:384
	;; [unrolled: 1-line block ×16, first 2 shown]
	v_mul_f32_e32 v5, v7, v5
	v_fma_f32 v5, v6, v84, -v5
	v_mul_f32_e32 v6, v9, v54
	v_add_f32_e32 v5, 0, v5
	v_fma_f32 v6, v8, v85, -v6
	v_add_f32_e32 v5, v5, v6
	v_mul_f32_e32 v6, v11, v56
	v_fma_f32 v6, v10, v86, -v6
	v_add_f32_e32 v5, v5, v6
	v_mul_f32_e32 v6, v13, v64
	;; [unrolled: 3-line block ×18, first 2 shown]
	v_fma_f32 v6, v44, v111, -v6
	v_add_f32_e32 v5, v5, v6
	s_waitcnt vmcnt(23) lgkmcnt(1)
	v_mul_f32_e32 v6, v47, v112
	s_waitcnt vmcnt(22)
	v_fma_f32 v6, v46, v113, -v6
	v_add_f32_e32 v5, v5, v6
	s_waitcnt vmcnt(20)
	v_mul_f32_e32 v6, v49, v115
	v_fma_f32 v6, v48, v114, -v6
	v_add_f32_e32 v54, v5, v6
	ds_read_b128 v[6:9], v4 offset:800
	ds_read_b128 v[10:13], v4 offset:816
	;; [unrolled: 1-line block ×4, first 2 shown]
	v_mul_f32_e32 v57, v46, v112
	v_fmac_f32_e32 v57, v47, v113
	v_add_f32_e32 v55, v55, v57
	v_mul_f32_e32 v57, v48, v115
	v_fmac_f32_e32 v57, v49, v114
	v_add_f32_e32 v55, v55, v57
	s_waitcnt vmcnt(18) lgkmcnt(4)
	v_mul_f32_e32 v57, v50, v117
	v_mul_f32_e32 v5, v51, v117
	v_fmac_f32_e32 v57, v51, v116
	s_waitcnt vmcnt(16)
	v_mul_f32_e32 v65, v52, v119
	s_waitcnt vmcnt(11)
	v_mov_b32_e32 v22, v63
	s_waitcnt lgkmcnt(3)
	v_pk_mul_f32 v[22:23], v[6:7], v[22:23] op_sel_hi:[1,0]
	s_waitcnt vmcnt(10)
	v_pk_fma_f32 v[24:25], v[6:7], v[62:63], v[22:23] op_sel:[0,0,1] op_sel_hi:[1,1,0] neg_lo:[0,0,1] neg_hi:[0,0,1]
	v_pk_fma_f32 v[6:7], v[6:7], v[62:63], v[22:23] op_sel:[0,0,1] op_sel_hi:[1,0,0]
	v_mov_b32_e32 v6, v61
	v_mov_b32_e32 v25, v7
	v_pk_mul_f32 v[6:7], v[8:9], v[6:7] op_sel_hi:[1,0]
	v_pk_fma_f32 v[22:23], v[8:9], v[60:61], v[6:7] op_sel:[0,0,1] op_sel_hi:[1,1,0] neg_lo:[0,0,1] neg_hi:[0,0,1]
	v_pk_fma_f32 v[6:7], v[8:9], v[60:61], v[6:7] op_sel:[0,0,1] op_sel_hi:[1,0,0]
	v_fma_f32 v56, v50, v116, -v5
	v_mul_f32_e32 v5, v53, v119
	v_mov_b32_e32 v6, v59
	v_fmac_f32_e32 v65, v53, v118
	v_fma_f32 v64, v52, v118, -v5
	v_pk_add_f32 v[4:5], v[54:55], v[56:57]
	v_mov_b32_e32 v23, v7
	s_waitcnt lgkmcnt(2)
	v_pk_mul_f32 v[6:7], v[10:11], v[6:7] op_sel_hi:[1,0]
	v_pk_add_f32 v[4:5], v[4:5], v[64:65]
	v_pk_fma_f32 v[8:9], v[10:11], v[58:59], v[6:7] op_sel:[0,0,1] op_sel_hi:[1,1,0] neg_lo:[0,0,1] neg_hi:[0,0,1]
	v_pk_fma_f32 v[6:7], v[10:11], v[58:59], v[6:7] op_sel:[0,0,1] op_sel_hi:[1,0,0]
	v_pk_add_f32 v[4:5], v[4:5], v[24:25]
	s_waitcnt vmcnt(3)
	v_mov_b32_e32 v6, v73
	v_pk_add_f32 v[4:5], v[4:5], v[22:23]
	v_mov_b32_e32 v9, v7
	v_pk_mul_f32 v[6:7], v[12:13], v[6:7] op_sel_hi:[1,0]
	v_pk_add_f32 v[4:5], v[4:5], v[8:9]
	s_waitcnt vmcnt(2)
	v_pk_fma_f32 v[8:9], v[12:13], v[72:73], v[6:7] op_sel:[0,0,1] op_sel_hi:[1,1,0] neg_lo:[0,0,1] neg_hi:[0,0,1]
	v_pk_fma_f32 v[6:7], v[12:13], v[72:73], v[6:7] op_sel:[0,0,1] op_sel_hi:[1,0,0]
	v_mov_b32_e32 v6, v71
	v_mov_b32_e32 v9, v7
	s_waitcnt lgkmcnt(1)
	v_pk_mul_f32 v[6:7], v[14:15], v[6:7] op_sel_hi:[1,0]
	v_pk_add_f32 v[4:5], v[4:5], v[8:9]
	v_pk_fma_f32 v[8:9], v[14:15], v[70:71], v[6:7] op_sel:[0,0,1] op_sel_hi:[1,1,0] neg_lo:[0,0,1] neg_hi:[0,0,1]
	v_pk_fma_f32 v[6:7], v[14:15], v[70:71], v[6:7] op_sel:[0,0,1] op_sel_hi:[1,0,0]
	v_mov_b32_e32 v6, v69
	v_mov_b32_e32 v9, v7
	v_pk_mul_f32 v[6:7], v[16:17], v[6:7] op_sel_hi:[1,0]
	v_pk_add_f32 v[4:5], v[4:5], v[8:9]
	v_pk_fma_f32 v[8:9], v[16:17], v[68:69], v[6:7] op_sel:[0,0,1] op_sel_hi:[1,1,0] neg_lo:[0,0,1] neg_hi:[0,0,1]
	v_pk_fma_f32 v[6:7], v[16:17], v[68:69], v[6:7] op_sel:[0,0,1] op_sel_hi:[1,0,0]
	v_mov_b32_e32 v6, v67
	v_mov_b32_e32 v9, v7
	s_waitcnt lgkmcnt(0)
	v_pk_mul_f32 v[6:7], v[18:19], v[6:7] op_sel_hi:[1,0]
	v_pk_add_f32 v[4:5], v[4:5], v[8:9]
	v_pk_fma_f32 v[8:9], v[18:19], v[66:67], v[6:7] op_sel:[0,0,1] op_sel_hi:[1,1,0] neg_lo:[0,0,1] neg_hi:[0,0,1]
	v_pk_fma_f32 v[6:7], v[18:19], v[66:67], v[6:7] op_sel:[0,0,1] op_sel_hi:[1,0,0]
	s_waitcnt vmcnt(1)
	v_mov_b32_e32 v6, v75
	v_mov_b32_e32 v9, v7
	v_pk_mul_f32 v[6:7], v[20:21], v[6:7] op_sel_hi:[1,0]
	v_pk_add_f32 v[4:5], v[4:5], v[8:9]
	s_waitcnt vmcnt(0)
	v_pk_fma_f32 v[8:9], v[20:21], v[74:75], v[6:7] op_sel:[0,0,1] op_sel_hi:[1,1,0] neg_lo:[0,0,1] neg_hi:[0,0,1]
	v_pk_fma_f32 v[6:7], v[20:21], v[74:75], v[6:7] op_sel:[0,0,1] op_sel_hi:[1,0,0]
	v_mov_b32_e32 v9, v7
	v_pk_add_f32 v[4:5], v[4:5], v[8:9]
	v_pk_add_f32 v[2:3], v[2:3], v[4:5] neg_lo:[0,1] neg_hi:[0,1]
	buffer_store_dword v3, off, s[0:3], 0 offset:172
	buffer_store_dword v2, off, s[0:3], 0 offset:168
	s_and_saveexec_b64 s[4:5], vcc
	s_cbranch_execz .LBB53_297
; %bb.296:
	buffer_load_dword v2, off, s[0:3], 0 offset:160
	buffer_load_dword v3, off, s[0:3], 0 offset:164
	v_mov_b32_e32 v4, 0
	buffer_store_dword v4, off, s[0:3], 0 offset:160
	buffer_store_dword v4, off, s[0:3], 0 offset:164
	s_waitcnt vmcnt(2)
	ds_write_b64 v143, v[2:3]
.LBB53_297:
	s_or_b64 exec, exec, s[4:5]
	s_waitcnt lgkmcnt(0)
	; wave barrier
	s_waitcnt lgkmcnt(0)
	buffer_load_dword v5, off, s[0:3], 0 offset:172
	buffer_load_dword v62, off, s[0:3], 0 offset:180
	;; [unrolled: 1-line block ×52, first 2 shown]
	v_mov_b32_e32 v4, 0
	ds_read2_b64 v[6:9], v4 offset0:75 offset1:76
	ds_read2_b64 v[10:13], v4 offset0:77 offset1:78
	;; [unrolled: 1-line block ×6, first 2 shown]
	v_cmp_lt_u32_e32 vcc, 19, v0
	s_waitcnt vmcnt(51) lgkmcnt(5)
	v_mul_f32_e32 v30, v6, v5
	s_waitcnt vmcnt(50)
	v_mul_f32_e32 v31, v8, v62
	s_waitcnt vmcnt(49) lgkmcnt(4)
	v_mul_f32_e32 v32, v10, v68
	s_waitcnt vmcnt(48)
	v_mul_f32_e32 v33, v12, v70
	;; [unrolled: 4-line block ×5, first 2 shown]
	s_waitcnt vmcnt(41) lgkmcnt(0)
	v_mul_f32_e32 v40, v26, v90
	s_waitcnt vmcnt(40)
	v_fmac_f32_e32 v30, v7, v91
	s_waitcnt vmcnt(39)
	v_fmac_f32_e32 v31, v9, v92
	v_add_f32_e32 v30, 0, v30
	s_waitcnt vmcnt(38)
	v_fmac_f32_e32 v32, v11, v93
	v_add_f32_e32 v30, v30, v31
	s_waitcnt vmcnt(37)
	v_fmac_f32_e32 v33, v13, v94
	v_add_f32_e32 v30, v30, v32
	s_waitcnt vmcnt(36)
	v_fmac_f32_e32 v34, v15, v95
	v_add_f32_e32 v30, v30, v33
	s_waitcnt vmcnt(35)
	v_fmac_f32_e32 v35, v17, v96
	v_add_f32_e32 v30, v30, v34
	s_waitcnt vmcnt(34)
	v_fmac_f32_e32 v36, v19, v97
	v_add_f32_e32 v30, v30, v35
	s_waitcnt vmcnt(33)
	v_fmac_f32_e32 v37, v21, v98
	v_add_f32_e32 v30, v30, v36
	s_waitcnt vmcnt(32)
	v_fmac_f32_e32 v38, v23, v99
	v_add_f32_e32 v30, v30, v37
	s_waitcnt vmcnt(31)
	v_fmac_f32_e32 v39, v25, v100
	v_add_f32_e32 v30, v30, v38
	v_add_f32_e32 v30, v30, v39
	s_waitcnt vmcnt(30)
	v_fmac_f32_e32 v40, v27, v101
	v_add_f32_e32 v34, v30, v40
	ds_read2_b64 v[30:33], v4 offset0:87 offset1:88
	s_waitcnt vmcnt(29)
	v_mul_f32_e32 v35, v28, v102
	s_waitcnt vmcnt(28)
	v_fmac_f32_e32 v35, v29, v103
	v_add_f32_e32 v38, v34, v35
	ds_read2_b64 v[34:37], v4 offset0:89 offset1:90
	s_waitcnt vmcnt(27) lgkmcnt(1)
	v_mul_f32_e32 v39, v30, v104
	s_waitcnt vmcnt(26)
	v_fmac_f32_e32 v39, v31, v105
	v_add_f32_e32 v38, v38, v39
	s_waitcnt vmcnt(25)
	v_mul_f32_e32 v39, v32, v106
	s_waitcnt vmcnt(24)
	v_fmac_f32_e32 v39, v33, v107
	v_add_f32_e32 v38, v38, v39
	s_waitcnt vmcnt(23) lgkmcnt(0)
	v_mul_f32_e32 v39, v34, v108
	s_waitcnt vmcnt(22)
	v_fmac_f32_e32 v39, v35, v109
	v_add_f32_e32 v42, v38, v39
	ds_read2_b64 v[38:41], v4 offset0:91 offset1:92
	s_waitcnt vmcnt(21)
	v_mul_f32_e32 v43, v36, v110
	s_waitcnt vmcnt(20)
	v_fmac_f32_e32 v43, v37, v111
	v_add_f32_e32 v46, v42, v43
	ds_read2_b64 v[42:45], v4 offset0:93 offset1:94
	s_waitcnt vmcnt(19) lgkmcnt(1)
	v_mul_f32_e32 v47, v38, v112
	s_waitcnt vmcnt(18)
	v_fmac_f32_e32 v47, v39, v113
	v_add_f32_e32 v46, v46, v47
	s_waitcnt vmcnt(17)
	v_mul_f32_e32 v47, v40, v114
	s_waitcnt vmcnt(16)
	v_fmac_f32_e32 v47, v41, v115
	v_add_f32_e32 v46, v46, v47
	s_waitcnt vmcnt(14) lgkmcnt(0)
	v_mul_f32_e32 v47, v42, v117
	v_fmac_f32_e32 v47, v43, v116
	v_add_f32_e32 v50, v46, v47
	ds_read2_b64 v[46:49], v4 offset0:95 offset1:96
	s_waitcnt vmcnt(10)
	v_mul_f32_e32 v51, v44, v119
	v_fmac_f32_e32 v51, v45, v118
	v_add_f32_e32 v54, v50, v51
	ds_read2_b64 v[50:53], v4 offset0:97 offset1:98
	s_waitcnt vmcnt(8) lgkmcnt(1)
	v_mul_f32_e32 v55, v46, v121
	v_fmac_f32_e32 v55, v47, v120
	v_add_f32_e32 v54, v54, v55
	s_waitcnt vmcnt(6)
	v_mul_f32_e32 v55, v48, v123
	v_fmac_f32_e32 v55, v49, v122
	v_add_f32_e32 v54, v54, v55
	s_waitcnt vmcnt(4) lgkmcnt(0)
	v_mul_f32_e32 v55, v50, v125
	v_fmac_f32_e32 v55, v51, v124
	v_add_f32_e32 v63, v54, v55
	ds_read2_b64 v[54:57], v4 offset0:99 offset1:100
	buffer_load_dword v65, off, s[0:3], 0 offset:380
	buffer_load_dword v64, off, s[0:3], 0 offset:376
	;; [unrolled: 1-line block ×4, first 2 shown]
	ds_read2_b64 v[58:61], v4 offset0:101 offset1:102
	buffer_load_dword v73, off, s[0:3], 0 offset:412
	buffer_load_dword v72, off, s[0:3], 0 offset:408
	;; [unrolled: 1-line block ×12, first 2 shown]
	v_mul_f32_e32 v5, v7, v5
	v_fma_f32 v5, v6, v91, -v5
	v_mul_f32_e32 v6, v9, v62
	v_add_f32_e32 v5, 0, v5
	v_fma_f32 v6, v8, v92, -v6
	v_add_f32_e32 v5, v5, v6
	v_mul_f32_e32 v6, v11, v68
	v_fma_f32 v6, v10, v93, -v6
	v_add_f32_e32 v5, v5, v6
	v_mul_f32_e32 v6, v13, v70
	;; [unrolled: 3-line block ×21, first 2 shown]
	v_fma_f32 v6, v50, v124, -v6
	s_waitcnt vmcnt(18)
	v_mul_f32_e32 v69, v52, v127
	v_add_f32_e32 v62, v5, v6
	v_mul_f32_e32 v5, v53, v127
	v_fmac_f32_e32 v69, v53, v126
	s_waitcnt vmcnt(16) lgkmcnt(1)
	v_mul_f32_e32 v71, v54, v129
	v_fma_f32 v68, v52, v126, -v5
	v_mul_f32_e32 v5, v55, v129
	v_fmac_f32_e32 v71, v55, v128
	s_waitcnt vmcnt(13)
	v_mov_b32_e32 v18, v67
	v_pk_mul_f32 v[18:19], v[56:57], v[18:19] op_sel_hi:[1,0]
	s_waitcnt vmcnt(12)
	v_pk_fma_f32 v[20:21], v[56:57], v[66:67], v[18:19] op_sel:[0,0,1] op_sel_hi:[1,1,0] neg_lo:[0,0,1] neg_hi:[0,0,1]
	v_pk_fma_f32 v[18:19], v[56:57], v[66:67], v[18:19] op_sel:[0,0,1] op_sel_hi:[1,0,0]
	v_fma_f32 v70, v54, v128, -v5
	v_pk_add_f32 v[16:17], v[62:63], v[68:69]
	v_mov_b32_e32 v18, v65
	v_pk_add_f32 v[16:17], v[16:17], v[70:71]
	v_mov_b32_e32 v21, v19
	s_waitcnt lgkmcnt(0)
	v_pk_mul_f32 v[18:19], v[58:59], v[18:19] op_sel_hi:[1,0]
	v_pk_add_f32 v[16:17], v[16:17], v[20:21]
	v_pk_fma_f32 v[20:21], v[58:59], v[64:65], v[18:19] op_sel:[0,0,1] op_sel_hi:[1,1,0] neg_lo:[0,0,1] neg_hi:[0,0,1]
	v_pk_fma_f32 v[18:19], v[58:59], v[64:65], v[18:19] op_sel:[0,0,1] op_sel_hi:[1,0,0]
	s_waitcnt vmcnt(5)
	v_mov_b32_e32 v18, v79
	ds_read2_b64 v[6:9], v4 offset0:103 offset1:104
	ds_read2_b64 v[10:13], v4 offset0:105 offset1:106
	ds_read_b64 v[14:15], v4 offset:856
	v_mov_b32_e32 v21, v19
	v_pk_mul_f32 v[18:19], v[60:61], v[18:19] op_sel_hi:[1,0]
	v_pk_add_f32 v[16:17], v[16:17], v[20:21]
	s_waitcnt vmcnt(4)
	v_pk_fma_f32 v[20:21], v[60:61], v[78:79], v[18:19] op_sel:[0,0,1] op_sel_hi:[1,1,0] neg_lo:[0,0,1] neg_hi:[0,0,1]
	v_pk_fma_f32 v[18:19], v[60:61], v[78:79], v[18:19] op_sel:[0,0,1] op_sel_hi:[1,0,0]
	v_mov_b32_e32 v18, v77
	v_mov_b32_e32 v21, v19
	s_waitcnt lgkmcnt(2)
	v_pk_mul_f32 v[18:19], v[6:7], v[18:19] op_sel_hi:[1,0]
	v_pk_add_f32 v[16:17], v[16:17], v[20:21]
	v_pk_fma_f32 v[20:21], v[6:7], v[76:77], v[18:19] op_sel:[0,0,1] op_sel_hi:[1,1,0] neg_lo:[0,0,1] neg_hi:[0,0,1]
	v_pk_fma_f32 v[6:7], v[6:7], v[76:77], v[18:19] op_sel:[0,0,1] op_sel_hi:[1,0,0]
	v_mov_b32_e32 v21, v7
	v_pk_add_f32 v[6:7], v[16:17], v[20:21]
	v_mov_b32_e32 v16, v75
	v_pk_mul_f32 v[16:17], v[8:9], v[16:17] op_sel_hi:[1,0]
	v_pk_fma_f32 v[18:19], v[8:9], v[74:75], v[16:17] op_sel:[0,0,1] op_sel_hi:[1,1,0] neg_lo:[0,0,1] neg_hi:[0,0,1]
	v_pk_fma_f32 v[8:9], v[8:9], v[74:75], v[16:17] op_sel:[0,0,1] op_sel_hi:[1,0,0]
	v_mov_b32_e32 v8, v73
	v_mov_b32_e32 v19, v9
	s_waitcnt lgkmcnt(1)
	v_pk_mul_f32 v[8:9], v[10:11], v[8:9] op_sel_hi:[1,0]
	v_pk_fma_f32 v[16:17], v[10:11], v[72:73], v[8:9] op_sel:[0,0,1] op_sel_hi:[1,1,0] neg_lo:[0,0,1] neg_hi:[0,0,1]
	v_pk_fma_f32 v[8:9], v[10:11], v[72:73], v[8:9] op_sel:[0,0,1] op_sel_hi:[1,0,0]
	s_waitcnt vmcnt(1)
	v_mov_b32_e32 v8, v83
	v_mov_b32_e32 v17, v9
	v_pk_mul_f32 v[8:9], v[12:13], v[8:9] op_sel_hi:[1,0]
	s_waitcnt vmcnt(0)
	v_pk_fma_f32 v[10:11], v[12:13], v[82:83], v[8:9] op_sel:[0,0,1] op_sel_hi:[1,1,0] neg_lo:[0,0,1] neg_hi:[0,0,1]
	v_pk_fma_f32 v[8:9], v[12:13], v[82:83], v[8:9] op_sel:[0,0,1] op_sel_hi:[1,0,0]
	v_pk_add_f32 v[6:7], v[6:7], v[18:19]
	v_mov_b32_e32 v8, v81
	v_pk_add_f32 v[6:7], v[6:7], v[16:17]
	v_mov_b32_e32 v11, v9
	s_waitcnt lgkmcnt(0)
	v_pk_mul_f32 v[8:9], v[14:15], v[8:9] op_sel_hi:[1,0]
	v_pk_add_f32 v[6:7], v[6:7], v[10:11]
	v_pk_fma_f32 v[10:11], v[14:15], v[80:81], v[8:9] op_sel:[0,0,1] op_sel_hi:[1,1,0] neg_lo:[0,0,1] neg_hi:[0,0,1]
	v_pk_fma_f32 v[8:9], v[14:15], v[80:81], v[8:9] op_sel:[0,0,1] op_sel_hi:[1,0,0]
	v_mov_b32_e32 v11, v9
	v_pk_add_f32 v[6:7], v[6:7], v[10:11]
	v_pk_add_f32 v[2:3], v[2:3], v[6:7] neg_lo:[0,1] neg_hi:[0,1]
	buffer_store_dword v3, off, s[0:3], 0 offset:164
	buffer_store_dword v2, off, s[0:3], 0 offset:160
	s_and_saveexec_b64 s[4:5], vcc
	s_cbranch_execz .LBB53_299
; %bb.298:
	buffer_load_dword v2, off, s[0:3], 0 offset:152
	buffer_load_dword v3, off, s[0:3], 0 offset:156
	s_waitcnt vmcnt(0)
	ds_write_b64 v143, v[2:3]
	buffer_store_dword v4, off, s[0:3], 0 offset:152
	buffer_store_dword v4, off, s[0:3], 0 offset:156
.LBB53_299:
	s_or_b64 exec, exec, s[4:5]
	s_waitcnt lgkmcnt(0)
	; wave barrier
	s_waitcnt lgkmcnt(0)
	buffer_load_dword v5, off, s[0:3], 0 offset:164
	buffer_load_dword v64, off, s[0:3], 0 offset:172
	;; [unrolled: 1-line block ×42, first 2 shown]
	ds_read_b128 v[6:9], v4 offset:592
	ds_read_b128 v[10:13], v4 offset:608
	buffer_load_dword v120, off, s[0:3], 0 offset:320
	buffer_load_dword v121, off, s[0:3], 0 offset:324
	ds_read_b128 v[14:17], v4 offset:624
	ds_read_b128 v[18:21], v4 offset:640
	buffer_load_dword v122, off, s[0:3], 0 offset:328
	buffer_load_dword v123, off, s[0:3], 0 offset:332
	;; [unrolled: 1-line block ×4, first 2 shown]
	ds_read_b128 v[22:25], v4 offset:656
	ds_read_b128 v[26:29], v4 offset:672
	buffer_load_dword v126, off, s[0:3], 0 offset:344
	buffer_load_dword v127, off, s[0:3], 0 offset:348
	;; [unrolled: 1-line block ×6, first 2 shown]
	v_cmp_lt_u32_e32 vcc, 18, v0
	s_waitcnt vmcnt(53) lgkmcnt(5)
	v_mul_f32_e32 v30, v6, v5
	s_waitcnt vmcnt(52)
	v_mul_f32_e32 v31, v8, v64
	s_waitcnt vmcnt(51) lgkmcnt(4)
	v_mul_f32_e32 v32, v10, v66
	s_waitcnt vmcnt(50)
	v_mul_f32_e32 v33, v12, v68
	;; [unrolled: 4-line block ×5, first 2 shown]
	s_waitcnt vmcnt(43)
	v_fmac_f32_e32 v30, v7, v90
	s_waitcnt vmcnt(42)
	v_fmac_f32_e32 v31, v9, v91
	v_add_f32_e32 v30, 0, v30
	s_waitcnt vmcnt(41)
	v_fmac_f32_e32 v32, v11, v92
	v_add_f32_e32 v30, v30, v31
	;; [unrolled: 3-line block ×9, first 2 shown]
	s_waitcnt vmcnt(33) lgkmcnt(0)
	v_mul_f32_e32 v31, v26, v100
	v_add_f32_e32 v30, v30, v39
	s_waitcnt vmcnt(32)
	v_fmac_f32_e32 v31, v27, v101
	v_add_f32_e32 v34, v30, v31
	ds_read_b128 v[30:33], v4 offset:688
	s_waitcnt vmcnt(31)
	v_mul_f32_e32 v35, v28, v102
	s_waitcnt vmcnt(30)
	v_fmac_f32_e32 v35, v29, v103
	v_add_f32_e32 v38, v34, v35
	ds_read_b128 v[34:37], v4 offset:704
	s_waitcnt vmcnt(29) lgkmcnt(1)
	v_mul_f32_e32 v39, v30, v104
	s_waitcnt vmcnt(28)
	v_fmac_f32_e32 v39, v31, v105
	v_add_f32_e32 v38, v38, v39
	s_waitcnt vmcnt(27)
	v_mul_f32_e32 v39, v32, v106
	s_waitcnt vmcnt(26)
	v_fmac_f32_e32 v39, v33, v107
	v_add_f32_e32 v38, v38, v39
	s_waitcnt vmcnt(25) lgkmcnt(0)
	v_mul_f32_e32 v39, v34, v108
	s_waitcnt vmcnt(24)
	v_fmac_f32_e32 v39, v35, v109
	v_add_f32_e32 v42, v38, v39
	ds_read_b128 v[38:41], v4 offset:720
	s_waitcnt vmcnt(23)
	v_mul_f32_e32 v43, v36, v110
	s_waitcnt vmcnt(22)
	v_fmac_f32_e32 v43, v37, v111
	v_add_f32_e32 v46, v42, v43
	ds_read_b128 v[42:45], v4 offset:736
	s_waitcnt vmcnt(21) lgkmcnt(1)
	v_mul_f32_e32 v47, v38, v112
	s_waitcnt vmcnt(20)
	v_fmac_f32_e32 v47, v39, v113
	v_add_f32_e32 v46, v46, v47
	s_waitcnt vmcnt(18)
	v_mul_f32_e32 v47, v40, v115
	v_fmac_f32_e32 v47, v41, v114
	v_add_f32_e32 v46, v46, v47
	s_waitcnt vmcnt(15) lgkmcnt(0)
	v_mul_f32_e32 v47, v42, v116
	s_waitcnt vmcnt(14)
	v_fmac_f32_e32 v47, v43, v117
	v_add_f32_e32 v50, v46, v47
	ds_read_b128 v[46:49], v4 offset:752
	s_waitcnt vmcnt(12)
	v_mul_f32_e32 v51, v44, v119
	v_fmac_f32_e32 v51, v45, v118
	v_add_f32_e32 v54, v50, v51
	ds_read_b128 v[50:53], v4 offset:768
	buffer_load_dword v63, off, s[0:3], 0 offset:372
	buffer_load_dword v62, off, s[0:3], 0 offset:368
	s_waitcnt vmcnt(12) lgkmcnt(1)
	v_mul_f32_e32 v55, v46, v121
	v_fmac_f32_e32 v55, v47, v120
	v_add_f32_e32 v54, v54, v55
	s_waitcnt vmcnt(10)
	v_mul_f32_e32 v55, v48, v123
	v_fmac_f32_e32 v55, v49, v122
	v_add_f32_e32 v54, v54, v55
	s_waitcnt vmcnt(8) lgkmcnt(0)
	v_mul_f32_e32 v55, v50, v125
	v_fmac_f32_e32 v55, v51, v124
	s_waitcnt vmcnt(6)
	v_mul_f32_e32 v59, v52, v127
	v_add_f32_e32 v58, v54, v55
	v_fmac_f32_e32 v59, v53, v126
	ds_read_b128 v[54:57], v4 offset:784
	v_add_f32_e32 v65, v58, v59
	ds_read_b128 v[58:61], v4 offset:800
	buffer_load_dword v71, off, s[0:3], 0 offset:404
	buffer_load_dword v70, off, s[0:3], 0 offset:400
	;; [unrolled: 1-line block ×14, first 2 shown]
	v_mul_f32_e32 v5, v7, v5
	v_fma_f32 v5, v6, v90, -v5
	v_mul_f32_e32 v6, v9, v64
	v_add_f32_e32 v5, 0, v5
	v_fma_f32 v6, v8, v91, -v6
	v_add_f32_e32 v5, v5, v6
	v_mul_f32_e32 v6, v11, v66
	v_fma_f32 v6, v10, v92, -v6
	v_add_f32_e32 v5, v5, v6
	v_mul_f32_e32 v6, v13, v68
	;; [unrolled: 3-line block ×22, first 2 shown]
	v_fma_f32 v6, v52, v126, -v6
	s_waitcnt vmcnt(15)
	v_mov_b32_e32 v18, v63
	s_waitcnt lgkmcnt(1)
	v_mul_f32_e32 v67, v54, v129
	v_add_f32_e32 v64, v5, v6
	v_mul_f32_e32 v5, v55, v129
	s_waitcnt lgkmcnt(0)
	v_pk_mul_f32 v[18:19], v[58:59], v[18:19] op_sel_hi:[1,0]
	v_fmac_f32_e32 v67, v55, v128
	v_mul_f32_e32 v69, v56, v131
	v_fma_f32 v66, v54, v128, -v5
	v_mul_f32_e32 v5, v57, v131
	s_waitcnt vmcnt(14)
	v_pk_fma_f32 v[20:21], v[58:59], v[62:63], v[18:19] op_sel:[0,0,1] op_sel_hi:[1,1,0] neg_lo:[0,0,1] neg_hi:[0,0,1]
	v_pk_fma_f32 v[18:19], v[58:59], v[62:63], v[18:19] op_sel:[0,0,1] op_sel_hi:[1,0,0]
	v_fmac_f32_e32 v69, v57, v130
	v_fma_f32 v68, v56, v130, -v5
	ds_read_b128 v[6:9], v4 offset:816
	ds_read_b128 v[10:13], v4 offset:832
	;; [unrolled: 1-line block ×3, first 2 shown]
	v_pk_add_f32 v[4:5], v[64:65], v[66:67]
	s_waitcnt vmcnt(7)
	v_mov_b32_e32 v18, v77
	v_pk_add_f32 v[4:5], v[4:5], v[68:69]
	v_mov_b32_e32 v21, v19
	v_pk_mul_f32 v[18:19], v[60:61], v[18:19] op_sel_hi:[1,0]
	v_pk_add_f32 v[4:5], v[4:5], v[20:21]
	s_waitcnt vmcnt(6)
	v_pk_fma_f32 v[20:21], v[60:61], v[76:77], v[18:19] op_sel:[0,0,1] op_sel_hi:[1,1,0] neg_lo:[0,0,1] neg_hi:[0,0,1]
	v_pk_fma_f32 v[18:19], v[60:61], v[76:77], v[18:19] op_sel:[0,0,1] op_sel_hi:[1,0,0]
	v_mov_b32_e32 v18, v75
	v_mov_b32_e32 v21, v19
	s_waitcnt lgkmcnt(2)
	v_pk_mul_f32 v[18:19], v[6:7], v[18:19] op_sel_hi:[1,0]
	v_pk_add_f32 v[4:5], v[4:5], v[20:21]
	v_pk_fma_f32 v[20:21], v[6:7], v[74:75], v[18:19] op_sel:[0,0,1] op_sel_hi:[1,1,0] neg_lo:[0,0,1] neg_hi:[0,0,1]
	v_pk_fma_f32 v[6:7], v[6:7], v[74:75], v[18:19] op_sel:[0,0,1] op_sel_hi:[1,0,0]
	v_mov_b32_e32 v6, v73
	v_mov_b32_e32 v21, v7
	v_pk_mul_f32 v[6:7], v[8:9], v[6:7] op_sel_hi:[1,0]
	v_pk_fma_f32 v[18:19], v[8:9], v[72:73], v[6:7] op_sel:[0,0,1] op_sel_hi:[1,1,0] neg_lo:[0,0,1] neg_hi:[0,0,1]
	v_pk_fma_f32 v[6:7], v[8:9], v[72:73], v[6:7] op_sel:[0,0,1] op_sel_hi:[1,0,0]
	v_mov_b32_e32 v6, v71
	v_mov_b32_e32 v19, v7
	s_waitcnt lgkmcnt(1)
	v_pk_mul_f32 v[6:7], v[10:11], v[6:7] op_sel_hi:[1,0]
	v_pk_fma_f32 v[8:9], v[10:11], v[70:71], v[6:7] op_sel:[0,0,1] op_sel_hi:[1,1,0] neg_lo:[0,0,1] neg_hi:[0,0,1]
	v_pk_fma_f32 v[6:7], v[10:11], v[70:71], v[6:7] op_sel:[0,0,1] op_sel_hi:[1,0,0]
	v_pk_add_f32 v[4:5], v[4:5], v[20:21]
	s_waitcnt vmcnt(1)
	v_mov_b32_e32 v6, v83
	v_pk_add_f32 v[4:5], v[4:5], v[18:19]
	v_mov_b32_e32 v9, v7
	v_pk_mul_f32 v[6:7], v[12:13], v[6:7] op_sel_hi:[1,0]
	v_pk_add_f32 v[4:5], v[4:5], v[8:9]
	s_waitcnt vmcnt(0)
	v_pk_fma_f32 v[8:9], v[12:13], v[82:83], v[6:7] op_sel:[0,0,1] op_sel_hi:[1,1,0] neg_lo:[0,0,1] neg_hi:[0,0,1]
	v_pk_fma_f32 v[6:7], v[12:13], v[82:83], v[6:7] op_sel:[0,0,1] op_sel_hi:[1,0,0]
	v_mov_b32_e32 v6, v81
	v_mov_b32_e32 v9, v7
	s_waitcnt lgkmcnt(0)
	v_pk_mul_f32 v[6:7], v[14:15], v[6:7] op_sel_hi:[1,0]
	v_pk_add_f32 v[4:5], v[4:5], v[8:9]
	v_pk_fma_f32 v[8:9], v[14:15], v[80:81], v[6:7] op_sel:[0,0,1] op_sel_hi:[1,1,0] neg_lo:[0,0,1] neg_hi:[0,0,1]
	v_pk_fma_f32 v[6:7], v[14:15], v[80:81], v[6:7] op_sel:[0,0,1] op_sel_hi:[1,0,0]
	v_mov_b32_e32 v6, v79
	v_mov_b32_e32 v9, v7
	v_pk_mul_f32 v[6:7], v[16:17], v[6:7] op_sel_hi:[1,0]
	v_pk_add_f32 v[4:5], v[4:5], v[8:9]
	v_pk_fma_f32 v[8:9], v[16:17], v[78:79], v[6:7] op_sel:[0,0,1] op_sel_hi:[1,1,0] neg_lo:[0,0,1] neg_hi:[0,0,1]
	v_pk_fma_f32 v[6:7], v[16:17], v[78:79], v[6:7] op_sel:[0,0,1] op_sel_hi:[1,0,0]
	v_mov_b32_e32 v9, v7
	v_pk_add_f32 v[4:5], v[4:5], v[8:9]
	v_pk_add_f32 v[2:3], v[2:3], v[4:5] neg_lo:[0,1] neg_hi:[0,1]
	buffer_store_dword v3, off, s[0:3], 0 offset:156
	buffer_store_dword v2, off, s[0:3], 0 offset:152
	s_and_saveexec_b64 s[4:5], vcc
	s_cbranch_execz .LBB53_301
; %bb.300:
	buffer_load_dword v2, off, s[0:3], 0 offset:144
	buffer_load_dword v3, off, s[0:3], 0 offset:148
	v_mov_b32_e32 v4, 0
	buffer_store_dword v4, off, s[0:3], 0 offset:144
	buffer_store_dword v4, off, s[0:3], 0 offset:148
	s_waitcnt vmcnt(2)
	ds_write_b64 v143, v[2:3]
.LBB53_301:
	s_or_b64 exec, exec, s[4:5]
	s_waitcnt lgkmcnt(0)
	; wave barrier
	s_waitcnt lgkmcnt(0)
	buffer_load_dword v5, off, s[0:3], 0 offset:156
	buffer_load_dword v62, off, s[0:3], 0 offset:164
	;; [unrolled: 1-line block ×56, first 2 shown]
	v_mov_b32_e32 v4, 0
	ds_read2_b64 v[6:9], v4 offset0:73 offset1:74
	ds_read2_b64 v[10:13], v4 offset0:75 offset1:76
	;; [unrolled: 1-line block ×6, first 2 shown]
	v_cmp_lt_u32_e32 vcc, 17, v0
	s_waitcnt vmcnt(55) lgkmcnt(5)
	v_mul_f32_e32 v30, v6, v5
	s_waitcnt vmcnt(54)
	v_mul_f32_e32 v31, v8, v62
	s_waitcnt vmcnt(53) lgkmcnt(4)
	v_mul_f32_e32 v32, v10, v64
	s_waitcnt vmcnt(52)
	v_mul_f32_e32 v33, v12, v66
	;; [unrolled: 4-line block ×4, first 2 shown]
	s_waitcnt vmcnt(47) lgkmcnt(1)
	v_mul_f32_e32 v38, v22, v88
	s_waitcnt vmcnt(46)
	v_fmac_f32_e32 v30, v7, v89
	s_waitcnt vmcnt(45)
	v_fmac_f32_e32 v31, v9, v90
	v_add_f32_e32 v30, 0, v30
	s_waitcnt vmcnt(44)
	v_fmac_f32_e32 v32, v11, v91
	v_add_f32_e32 v30, v30, v31
	;; [unrolled: 3-line block ×7, first 2 shown]
	v_add_f32_e32 v30, v30, v37
	s_waitcnt vmcnt(38)
	v_fmac_f32_e32 v38, v23, v97
	s_waitcnt vmcnt(37)
	v_mul_f32_e32 v31, v24, v98
	v_add_f32_e32 v30, v30, v38
	s_waitcnt vmcnt(36)
	v_fmac_f32_e32 v31, v25, v99
	v_add_f32_e32 v30, v30, v31
	s_waitcnt vmcnt(35) lgkmcnt(0)
	v_mul_f32_e32 v31, v26, v100
	s_waitcnt vmcnt(34)
	v_fmac_f32_e32 v31, v27, v101
	v_add_f32_e32 v34, v30, v31
	ds_read2_b64 v[30:33], v4 offset0:85 offset1:86
	s_waitcnt vmcnt(33)
	v_mul_f32_e32 v35, v28, v102
	s_waitcnt vmcnt(32)
	v_fmac_f32_e32 v35, v29, v103
	v_add_f32_e32 v38, v34, v35
	ds_read2_b64 v[34:37], v4 offset0:87 offset1:88
	s_waitcnt vmcnt(31) lgkmcnt(1)
	v_mul_f32_e32 v39, v30, v104
	s_waitcnt vmcnt(30)
	v_fmac_f32_e32 v39, v31, v105
	v_add_f32_e32 v38, v38, v39
	s_waitcnt vmcnt(29)
	v_mul_f32_e32 v39, v32, v106
	s_waitcnt vmcnt(28)
	v_fmac_f32_e32 v39, v33, v107
	v_add_f32_e32 v38, v38, v39
	s_waitcnt vmcnt(27) lgkmcnt(0)
	v_mul_f32_e32 v39, v34, v108
	s_waitcnt vmcnt(26)
	v_fmac_f32_e32 v39, v35, v109
	v_add_f32_e32 v42, v38, v39
	ds_read2_b64 v[38:41], v4 offset0:89 offset1:90
	s_waitcnt vmcnt(24)
	v_mul_f32_e32 v43, v36, v111
	v_fmac_f32_e32 v43, v37, v110
	v_add_f32_e32 v46, v42, v43
	ds_read2_b64 v[42:45], v4 offset0:91 offset1:92
	s_waitcnt vmcnt(20) lgkmcnt(1)
	v_mul_f32_e32 v47, v38, v113
	v_fmac_f32_e32 v47, v39, v112
	v_add_f32_e32 v46, v46, v47
	s_waitcnt vmcnt(18)
	v_mul_f32_e32 v47, v40, v115
	v_fmac_f32_e32 v47, v41, v114
	v_add_f32_e32 v46, v46, v47
	s_waitcnt vmcnt(16) lgkmcnt(0)
	v_mul_f32_e32 v47, v42, v117
	v_fmac_f32_e32 v47, v43, v116
	v_add_f32_e32 v50, v46, v47
	ds_read2_b64 v[46:49], v4 offset0:93 offset1:94
	s_waitcnt vmcnt(14)
	v_mul_f32_e32 v51, v44, v119
	v_fmac_f32_e32 v51, v45, v118
	v_add_f32_e32 v54, v50, v51
	ds_read2_b64 v[50:53], v4 offset0:95 offset1:96
	s_waitcnt vmcnt(12) lgkmcnt(1)
	v_mul_f32_e32 v55, v46, v121
	v_fmac_f32_e32 v55, v47, v120
	v_add_f32_e32 v54, v54, v55
	s_waitcnt vmcnt(10)
	v_mul_f32_e32 v55, v48, v123
	v_fmac_f32_e32 v55, v49, v122
	v_add_f32_e32 v54, v54, v55
	s_waitcnt vmcnt(8) lgkmcnt(0)
	v_mul_f32_e32 v55, v50, v125
	v_fmac_f32_e32 v55, v51, v124
	s_waitcnt vmcnt(6)
	v_mul_f32_e32 v59, v52, v127
	v_add_f32_e32 v58, v54, v55
	v_fmac_f32_e32 v59, v53, v126
	ds_read2_b64 v[54:57], v4 offset0:97 offset1:98
	v_add_f32_e32 v63, v58, v59
	ds_read2_b64 v[58:61], v4 offset0:99 offset1:100
	buffer_load_dword v69, off, s[0:3], 0 offset:396
	buffer_load_dword v68, off, s[0:3], 0 offset:392
	buffer_load_dword v71, off, s[0:3], 0 offset:388
	buffer_load_dword v70, off, s[0:3], 0 offset:384
	buffer_load_dword v73, off, s[0:3], 0 offset:380
	buffer_load_dword v72, off, s[0:3], 0 offset:376
	buffer_load_dword v75, off, s[0:3], 0 offset:372
	buffer_load_dword v74, off, s[0:3], 0 offset:368
	buffer_load_dword v77, off, s[0:3], 0 offset:428
	buffer_load_dword v76, off, s[0:3], 0 offset:424
	buffer_load_dword v79, off, s[0:3], 0 offset:420
	buffer_load_dword v78, off, s[0:3], 0 offset:416
	buffer_load_dword v81, off, s[0:3], 0 offset:412
	buffer_load_dword v80, off, s[0:3], 0 offset:408
	buffer_load_dword v83, off, s[0:3], 0 offset:404
	buffer_load_dword v82, off, s[0:3], 0 offset:400
	v_mul_f32_e32 v5, v7, v5
	v_fma_f32 v5, v6, v89, -v5
	v_mul_f32_e32 v6, v9, v62
	v_add_f32_e32 v5, 0, v5
	v_fma_f32 v6, v8, v90, -v6
	v_add_f32_e32 v5, v5, v6
	v_mul_f32_e32 v6, v11, v64
	v_fma_f32 v6, v10, v91, -v6
	v_add_f32_e32 v5, v5, v6
	v_mul_f32_e32 v6, v13, v66
	;; [unrolled: 3-line block ×22, first 2 shown]
	v_fma_f32 v6, v52, v126, -v6
	s_waitcnt vmcnt(20) lgkmcnt(1)
	v_mul_f32_e32 v65, v54, v129
	v_add_f32_e32 v5, v5, v6
	v_mul_f32_e32 v6, v55, v129
	v_fmac_f32_e32 v65, v55, v128
	v_fma_f32 v6, v54, v128, -v6
	s_waitcnt vmcnt(9)
	v_mov_b32_e32 v22, v75
	v_add_f32_e32 v63, v63, v65
	v_mul_f32_e32 v65, v56, v131
	v_add_f32_e32 v62, v5, v6
	v_mul_f32_e32 v5, v57, v131
	s_waitcnt lgkmcnt(0)
	v_pk_mul_f32 v[22:23], v[60:61], v[22:23] op_sel_hi:[1,0]
	v_fmac_f32_e32 v65, v57, v130
	v_mul_f32_e32 v67, v58, v133
	v_fma_f32 v64, v56, v130, -v5
	v_mul_f32_e32 v5, v59, v133
	ds_read2_b64 v[6:9], v4 offset0:101 offset1:102
	ds_read2_b64 v[10:13], v4 offset0:103 offset1:104
	;; [unrolled: 1-line block ×3, first 2 shown]
	ds_read_b64 v[18:19], v4 offset:856
	s_waitcnt vmcnt(8)
	v_pk_fma_f32 v[24:25], v[60:61], v[74:75], v[22:23] op_sel:[0,0,1] op_sel_hi:[1,1,0] neg_lo:[0,0,1] neg_hi:[0,0,1]
	v_pk_fma_f32 v[22:23], v[60:61], v[74:75], v[22:23] op_sel:[0,0,1] op_sel_hi:[1,0,0]
	v_fmac_f32_e32 v67, v59, v132
	v_fma_f32 v66, v58, v132, -v5
	v_pk_add_f32 v[20:21], v[62:63], v[64:65]
	v_mov_b32_e32 v22, v73
	v_pk_add_f32 v[20:21], v[20:21], v[66:67]
	v_mov_b32_e32 v25, v23
	s_waitcnt lgkmcnt(3)
	v_pk_mul_f32 v[22:23], v[6:7], v[22:23] op_sel_hi:[1,0]
	v_pk_add_f32 v[20:21], v[20:21], v[24:25]
	v_pk_fma_f32 v[24:25], v[6:7], v[72:73], v[22:23] op_sel:[0,0,1] op_sel_hi:[1,1,0] neg_lo:[0,0,1] neg_hi:[0,0,1]
	v_pk_fma_f32 v[6:7], v[6:7], v[72:73], v[22:23] op_sel:[0,0,1] op_sel_hi:[1,0,0]
	v_mov_b32_e32 v25, v7
	v_pk_add_f32 v[6:7], v[20:21], v[24:25]
	v_mov_b32_e32 v20, v71
	v_pk_mul_f32 v[20:21], v[8:9], v[20:21] op_sel_hi:[1,0]
	v_pk_fma_f32 v[22:23], v[8:9], v[70:71], v[20:21] op_sel:[0,0,1] op_sel_hi:[1,1,0] neg_lo:[0,0,1] neg_hi:[0,0,1]
	v_pk_fma_f32 v[8:9], v[8:9], v[70:71], v[20:21] op_sel:[0,0,1] op_sel_hi:[1,0,0]
	v_mov_b32_e32 v8, v69
	v_mov_b32_e32 v23, v9
	s_waitcnt lgkmcnt(2)
	v_pk_mul_f32 v[8:9], v[10:11], v[8:9] op_sel_hi:[1,0]
	v_pk_fma_f32 v[20:21], v[10:11], v[68:69], v[8:9] op_sel:[0,0,1] op_sel_hi:[1,1,0] neg_lo:[0,0,1] neg_hi:[0,0,1]
	v_pk_fma_f32 v[8:9], v[10:11], v[68:69], v[8:9] op_sel:[0,0,1] op_sel_hi:[1,0,0]
	s_waitcnt vmcnt(1)
	v_mov_b32_e32 v8, v83
	v_mov_b32_e32 v21, v9
	v_pk_mul_f32 v[8:9], v[12:13], v[8:9] op_sel_hi:[1,0]
	s_waitcnt vmcnt(0)
	v_pk_fma_f32 v[10:11], v[12:13], v[82:83], v[8:9] op_sel:[0,0,1] op_sel_hi:[1,1,0] neg_lo:[0,0,1] neg_hi:[0,0,1]
	v_pk_fma_f32 v[8:9], v[12:13], v[82:83], v[8:9] op_sel:[0,0,1] op_sel_hi:[1,0,0]
	v_pk_add_f32 v[6:7], v[6:7], v[22:23]
	v_mov_b32_e32 v8, v81
	v_pk_add_f32 v[6:7], v[6:7], v[20:21]
	v_mov_b32_e32 v11, v9
	s_waitcnt lgkmcnt(1)
	v_pk_mul_f32 v[8:9], v[14:15], v[8:9] op_sel_hi:[1,0]
	v_pk_add_f32 v[6:7], v[6:7], v[10:11]
	v_pk_fma_f32 v[10:11], v[14:15], v[80:81], v[8:9] op_sel:[0,0,1] op_sel_hi:[1,1,0] neg_lo:[0,0,1] neg_hi:[0,0,1]
	v_pk_fma_f32 v[8:9], v[14:15], v[80:81], v[8:9] op_sel:[0,0,1] op_sel_hi:[1,0,0]
	v_mov_b32_e32 v8, v79
	v_mov_b32_e32 v11, v9
	v_pk_mul_f32 v[8:9], v[16:17], v[8:9] op_sel_hi:[1,0]
	v_pk_add_f32 v[6:7], v[6:7], v[10:11]
	v_pk_fma_f32 v[10:11], v[16:17], v[78:79], v[8:9] op_sel:[0,0,1] op_sel_hi:[1,1,0] neg_lo:[0,0,1] neg_hi:[0,0,1]
	v_pk_fma_f32 v[8:9], v[16:17], v[78:79], v[8:9] op_sel:[0,0,1] op_sel_hi:[1,0,0]
	v_mov_b32_e32 v8, v77
	v_mov_b32_e32 v11, v9
	s_waitcnt lgkmcnt(0)
	v_pk_mul_f32 v[8:9], v[18:19], v[8:9] op_sel_hi:[1,0]
	v_pk_add_f32 v[6:7], v[6:7], v[10:11]
	v_pk_fma_f32 v[10:11], v[18:19], v[76:77], v[8:9] op_sel:[0,0,1] op_sel_hi:[1,1,0] neg_lo:[0,0,1] neg_hi:[0,0,1]
	v_pk_fma_f32 v[8:9], v[18:19], v[76:77], v[8:9] op_sel:[0,0,1] op_sel_hi:[1,0,0]
	v_mov_b32_e32 v11, v9
	v_pk_add_f32 v[6:7], v[6:7], v[10:11]
	v_pk_add_f32 v[2:3], v[2:3], v[6:7] neg_lo:[0,1] neg_hi:[0,1]
	buffer_store_dword v3, off, s[0:3], 0 offset:148
	buffer_store_dword v2, off, s[0:3], 0 offset:144
	s_and_saveexec_b64 s[4:5], vcc
	s_cbranch_execz .LBB53_303
; %bb.302:
	buffer_load_dword v2, off, s[0:3], 0 offset:136
	buffer_load_dword v3, off, s[0:3], 0 offset:140
	s_waitcnt vmcnt(0)
	ds_write_b64 v143, v[2:3]
	buffer_store_dword v4, off, s[0:3], 0 offset:136
	buffer_store_dword v4, off, s[0:3], 0 offset:140
.LBB53_303:
	s_or_b64 exec, exec, s[4:5]
	s_waitcnt lgkmcnt(0)
	; wave barrier
	s_waitcnt lgkmcnt(0)
	buffer_load_dword v5, off, s[0:3], 0 offset:148
	buffer_load_dword v62, off, s[0:3], 0 offset:156
	;; [unrolled: 1-line block ×36, first 2 shown]
	ds_read_b128 v[6:9], v4 offset:576
	ds_read_b128 v[10:13], v4 offset:592
	buffer_load_dword v114, off, s[0:3], 0 offset:280
	buffer_load_dword v115, off, s[0:3], 0 offset:284
	;; [unrolled: 1-line block ×4, first 2 shown]
	ds_read_b128 v[14:17], v4 offset:608
	ds_read_b128 v[18:21], v4 offset:624
	buffer_load_dword v118, off, s[0:3], 0 offset:296
	buffer_load_dword v119, off, s[0:3], 0 offset:300
	ds_read_b128 v[22:25], v4 offset:640
	ds_read_b128 v[26:29], v4 offset:656
	buffer_load_dword v120, off, s[0:3], 0 offset:304
	buffer_load_dword v121, off, s[0:3], 0 offset:308
	buffer_load_dword v122, off, s[0:3], 0 offset:312
	buffer_load_dword v123, off, s[0:3], 0 offset:316
	buffer_load_dword v124, off, s[0:3], 0 offset:320
	buffer_load_dword v125, off, s[0:3], 0 offset:324
	buffer_load_dword v126, off, s[0:3], 0 offset:328
	buffer_load_dword v127, off, s[0:3], 0 offset:332
	buffer_load_dword v128, off, s[0:3], 0 offset:336
	buffer_load_dword v129, off, s[0:3], 0 offset:340
	buffer_load_dword v130, off, s[0:3], 0 offset:344
	buffer_load_dword v131, off, s[0:3], 0 offset:348
	buffer_load_dword v132, off, s[0:3], 0 offset:352
	buffer_load_dword v133, off, s[0:3], 0 offset:356
	buffer_load_dword v134, off, s[0:3], 0 offset:360
	buffer_load_dword v135, off, s[0:3], 0 offset:364
	v_cmp_lt_u32_e32 vcc, 16, v0
	s_waitcnt vmcnt(57) lgkmcnt(5)
	v_mul_f32_e32 v30, v6, v5
	s_waitcnt vmcnt(56)
	v_mul_f32_e32 v31, v8, v62
	s_waitcnt vmcnt(55) lgkmcnt(4)
	v_mul_f32_e32 v32, v10, v64
	s_waitcnt vmcnt(54)
	v_mul_f32_e32 v33, v12, v72
	;; [unrolled: 4-line block ×4, first 2 shown]
	s_waitcnt vmcnt(49)
	v_fmac_f32_e32 v30, v7, v88
	s_waitcnt vmcnt(48)
	v_fmac_f32_e32 v31, v9, v89
	v_add_f32_e32 v30, 0, v30
	s_waitcnt vmcnt(47)
	v_fmac_f32_e32 v32, v11, v90
	v_add_f32_e32 v30, v30, v31
	;; [unrolled: 3-line block ×7, first 2 shown]
	s_waitcnt vmcnt(41) lgkmcnt(1)
	v_mul_f32_e32 v31, v22, v96
	v_add_f32_e32 v30, v30, v37
	s_waitcnt vmcnt(40)
	v_fmac_f32_e32 v31, v23, v97
	v_add_f32_e32 v30, v30, v31
	s_waitcnt vmcnt(39)
	v_mul_f32_e32 v31, v24, v98
	s_waitcnt vmcnt(38)
	v_fmac_f32_e32 v31, v25, v99
	v_add_f32_e32 v30, v30, v31
	s_waitcnt vmcnt(37) lgkmcnt(0)
	v_mul_f32_e32 v31, v26, v100
	s_waitcnt vmcnt(36)
	v_fmac_f32_e32 v31, v27, v101
	v_add_f32_e32 v34, v30, v31
	ds_read_b128 v[30:33], v4 offset:672
	s_waitcnt vmcnt(35)
	v_mul_f32_e32 v35, v28, v102
	s_waitcnt vmcnt(34)
	v_fmac_f32_e32 v35, v29, v103
	v_add_f32_e32 v38, v34, v35
	ds_read_b128 v[34:37], v4 offset:688
	s_waitcnt vmcnt(33) lgkmcnt(1)
	v_mul_f32_e32 v39, v30, v104
	s_waitcnt vmcnt(32)
	v_fmac_f32_e32 v39, v31, v105
	v_add_f32_e32 v38, v38, v39
	s_waitcnt vmcnt(31)
	v_mul_f32_e32 v39, v32, v106
	s_waitcnt vmcnt(30)
	v_fmac_f32_e32 v39, v33, v107
	v_add_f32_e32 v38, v38, v39
	s_waitcnt vmcnt(29) lgkmcnt(0)
	v_mul_f32_e32 v39, v34, v108
	s_waitcnt vmcnt(28)
	v_fmac_f32_e32 v39, v35, v109
	v_add_f32_e32 v42, v38, v39
	ds_read_b128 v[38:41], v4 offset:704
	s_waitcnt vmcnt(25)
	v_mul_f32_e32 v43, v36, v110
	s_waitcnt vmcnt(24)
	v_fmac_f32_e32 v43, v37, v111
	v_add_f32_e32 v46, v42, v43
	ds_read_b128 v[42:45], v4 offset:720
	s_waitcnt vmcnt(22) lgkmcnt(1)
	v_mul_f32_e32 v47, v38, v113
	v_fmac_f32_e32 v47, v39, v112
	v_add_f32_e32 v46, v46, v47
	s_waitcnt vmcnt(20)
	v_mul_f32_e32 v47, v40, v115
	v_fmac_f32_e32 v47, v41, v114
	v_add_f32_e32 v46, v46, v47
	s_waitcnt vmcnt(18) lgkmcnt(0)
	v_mul_f32_e32 v47, v42, v117
	v_fmac_f32_e32 v47, v43, v116
	v_add_f32_e32 v50, v46, v47
	ds_read_b128 v[46:49], v4 offset:736
	s_waitcnt vmcnt(16)
	v_mul_f32_e32 v51, v44, v119
	v_fmac_f32_e32 v51, v45, v118
	v_add_f32_e32 v54, v50, v51
	ds_read_b128 v[50:53], v4 offset:752
	s_waitcnt vmcnt(14) lgkmcnt(1)
	v_mul_f32_e32 v55, v46, v121
	v_fmac_f32_e32 v55, v47, v120
	v_add_f32_e32 v54, v54, v55
	s_waitcnt vmcnt(12)
	v_mul_f32_e32 v55, v48, v123
	v_fmac_f32_e32 v55, v49, v122
	v_add_f32_e32 v54, v54, v55
	s_waitcnt vmcnt(10) lgkmcnt(0)
	v_mul_f32_e32 v55, v50, v125
	v_fmac_f32_e32 v55, v51, v124
	s_waitcnt vmcnt(8)
	v_mul_f32_e32 v59, v52, v127
	v_add_f32_e32 v58, v54, v55
	v_fmac_f32_e32 v59, v53, v126
	ds_read_b128 v[54:57], v4 offset:768
	v_add_f32_e32 v63, v58, v59
	ds_read_b128 v[58:61], v4 offset:784
	buffer_load_dword v67, off, s[0:3], 0 offset:388
	buffer_load_dword v66, off, s[0:3], 0 offset:384
	;; [unrolled: 1-line block ×16, first 2 shown]
	v_mul_f32_e32 v5, v7, v5
	v_fma_f32 v5, v6, v88, -v5
	v_mul_f32_e32 v6, v9, v62
	v_add_f32_e32 v5, 0, v5
	v_fma_f32 v6, v8, v89, -v6
	v_add_f32_e32 v5, v5, v6
	v_mul_f32_e32 v6, v11, v64
	v_fma_f32 v6, v10, v90, -v6
	v_add_f32_e32 v5, v5, v6
	v_mul_f32_e32 v6, v13, v72
	;; [unrolled: 3-line block ×22, first 2 shown]
	v_fma_f32 v6, v52, v126, -v6
	v_add_f32_e32 v5, v5, v6
	s_waitcnt vmcnt(22) lgkmcnt(1)
	v_mul_f32_e32 v6, v55, v129
	v_fma_f32 v6, v54, v128, -v6
	v_add_f32_e32 v5, v5, v6
	s_waitcnt vmcnt(20)
	v_mul_f32_e32 v6, v57, v131
	v_fma_f32 v6, v56, v130, -v6
	v_add_f32_e32 v62, v5, v6
	ds_read_b128 v[6:9], v4 offset:800
	ds_read_b128 v[10:13], v4 offset:816
	;; [unrolled: 1-line block ×4, first 2 shown]
	s_waitcnt vmcnt(11)
	v_mov_b32_e32 v22, v71
	v_mul_f32_e32 v65, v54, v129
	s_waitcnt lgkmcnt(3)
	v_pk_mul_f32 v[22:23], v[6:7], v[22:23] op_sel_hi:[1,0]
	v_fmac_f32_e32 v65, v55, v128
	s_waitcnt vmcnt(10)
	v_pk_fma_f32 v[24:25], v[6:7], v[70:71], v[22:23] op_sel:[0,0,1] op_sel_hi:[1,1,0] neg_lo:[0,0,1] neg_hi:[0,0,1]
	v_pk_fma_f32 v[6:7], v[6:7], v[70:71], v[22:23] op_sel:[0,0,1] op_sel_hi:[1,0,0]
	v_add_f32_e32 v63, v63, v65
	v_mul_f32_e32 v65, v56, v131
	v_mov_b32_e32 v6, v69
	v_fmac_f32_e32 v65, v57, v130
	v_mov_b32_e32 v25, v7
	v_pk_mul_f32 v[6:7], v[8:9], v[6:7] op_sel_hi:[1,0]
	v_add_f32_e32 v63, v63, v65
	v_mul_f32_e32 v65, v58, v133
	v_mul_f32_e32 v5, v59, v133
	v_pk_fma_f32 v[22:23], v[8:9], v[68:69], v[6:7] op_sel:[0,0,1] op_sel_hi:[1,1,0] neg_lo:[0,0,1] neg_hi:[0,0,1]
	v_pk_fma_f32 v[6:7], v[8:9], v[68:69], v[6:7] op_sel:[0,0,1] op_sel_hi:[1,0,0]
	v_fmac_f32_e32 v65, v59, v132
	v_mul_f32_e32 v73, v60, v135
	v_fma_f32 v64, v58, v132, -v5
	v_mul_f32_e32 v5, v61, v135
	v_mov_b32_e32 v6, v67
	v_fmac_f32_e32 v73, v61, v134
	v_fma_f32 v72, v60, v134, -v5
	v_pk_add_f32 v[4:5], v[62:63], v[64:65]
	v_mov_b32_e32 v23, v7
	s_waitcnt lgkmcnt(2)
	v_pk_mul_f32 v[6:7], v[10:11], v[6:7] op_sel_hi:[1,0]
	v_pk_add_f32 v[4:5], v[4:5], v[72:73]
	v_pk_fma_f32 v[8:9], v[10:11], v[66:67], v[6:7] op_sel:[0,0,1] op_sel_hi:[1,1,0] neg_lo:[0,0,1] neg_hi:[0,0,1]
	v_pk_fma_f32 v[6:7], v[10:11], v[66:67], v[6:7] op_sel:[0,0,1] op_sel_hi:[1,0,0]
	v_pk_add_f32 v[4:5], v[4:5], v[24:25]
	s_waitcnt vmcnt(3)
	v_mov_b32_e32 v6, v81
	v_pk_add_f32 v[4:5], v[4:5], v[22:23]
	v_mov_b32_e32 v9, v7
	v_pk_mul_f32 v[6:7], v[12:13], v[6:7] op_sel_hi:[1,0]
	v_pk_add_f32 v[4:5], v[4:5], v[8:9]
	s_waitcnt vmcnt(2)
	v_pk_fma_f32 v[8:9], v[12:13], v[80:81], v[6:7] op_sel:[0,0,1] op_sel_hi:[1,1,0] neg_lo:[0,0,1] neg_hi:[0,0,1]
	v_pk_fma_f32 v[6:7], v[12:13], v[80:81], v[6:7] op_sel:[0,0,1] op_sel_hi:[1,0,0]
	v_mov_b32_e32 v6, v79
	v_mov_b32_e32 v9, v7
	s_waitcnt lgkmcnt(1)
	v_pk_mul_f32 v[6:7], v[14:15], v[6:7] op_sel_hi:[1,0]
	v_pk_add_f32 v[4:5], v[4:5], v[8:9]
	v_pk_fma_f32 v[8:9], v[14:15], v[78:79], v[6:7] op_sel:[0,0,1] op_sel_hi:[1,1,0] neg_lo:[0,0,1] neg_hi:[0,0,1]
	v_pk_fma_f32 v[6:7], v[14:15], v[78:79], v[6:7] op_sel:[0,0,1] op_sel_hi:[1,0,0]
	v_mov_b32_e32 v6, v77
	v_mov_b32_e32 v9, v7
	v_pk_mul_f32 v[6:7], v[16:17], v[6:7] op_sel_hi:[1,0]
	v_pk_add_f32 v[4:5], v[4:5], v[8:9]
	v_pk_fma_f32 v[8:9], v[16:17], v[76:77], v[6:7] op_sel:[0,0,1] op_sel_hi:[1,1,0] neg_lo:[0,0,1] neg_hi:[0,0,1]
	v_pk_fma_f32 v[6:7], v[16:17], v[76:77], v[6:7] op_sel:[0,0,1] op_sel_hi:[1,0,0]
	v_mov_b32_e32 v6, v75
	v_mov_b32_e32 v9, v7
	s_waitcnt lgkmcnt(0)
	v_pk_mul_f32 v[6:7], v[18:19], v[6:7] op_sel_hi:[1,0]
	v_pk_add_f32 v[4:5], v[4:5], v[8:9]
	v_pk_fma_f32 v[8:9], v[18:19], v[74:75], v[6:7] op_sel:[0,0,1] op_sel_hi:[1,1,0] neg_lo:[0,0,1] neg_hi:[0,0,1]
	v_pk_fma_f32 v[6:7], v[18:19], v[74:75], v[6:7] op_sel:[0,0,1] op_sel_hi:[1,0,0]
	s_waitcnt vmcnt(1)
	v_mov_b32_e32 v6, v83
	v_mov_b32_e32 v9, v7
	v_pk_mul_f32 v[6:7], v[20:21], v[6:7] op_sel_hi:[1,0]
	v_pk_add_f32 v[4:5], v[4:5], v[8:9]
	s_waitcnt vmcnt(0)
	v_pk_fma_f32 v[8:9], v[20:21], v[82:83], v[6:7] op_sel:[0,0,1] op_sel_hi:[1,1,0] neg_lo:[0,0,1] neg_hi:[0,0,1]
	v_pk_fma_f32 v[6:7], v[20:21], v[82:83], v[6:7] op_sel:[0,0,1] op_sel_hi:[1,0,0]
	v_mov_b32_e32 v9, v7
	v_pk_add_f32 v[4:5], v[4:5], v[8:9]
	v_pk_add_f32 v[2:3], v[2:3], v[4:5] neg_lo:[0,1] neg_hi:[0,1]
	buffer_store_dword v3, off, s[0:3], 0 offset:140
	buffer_store_dword v2, off, s[0:3], 0 offset:136
	s_and_saveexec_b64 s[4:5], vcc
	s_cbranch_execz .LBB53_305
; %bb.304:
	buffer_load_dword v2, off, s[0:3], 0 offset:128
	buffer_load_dword v3, off, s[0:3], 0 offset:132
	v_mov_b32_e32 v4, 0
	buffer_store_dword v4, off, s[0:3], 0 offset:128
	buffer_store_dword v4, off, s[0:3], 0 offset:132
	s_waitcnt vmcnt(2)
	ds_write_b64 v143, v[2:3]
.LBB53_305:
	s_or_b64 exec, exec, s[4:5]
	s_waitcnt lgkmcnt(0)
	; wave barrier
	s_waitcnt lgkmcnt(0)
	buffer_load_dword v17, off, s[0:3], 0 offset:140
	buffer_load_dword v70, off, s[0:3], 0 offset:148
	;; [unrolled: 1-line block ×56, first 2 shown]
	v_mov_b32_e32 v16, 0
	ds_read2_b64 v[2:5], v16 offset0:71 offset1:72
	buffer_load_dword v206, off, s[0:3], 0 offset:352
	buffer_load_dword v207, off, s[0:3], 0 offset:356
	buffer_load_dword v208, off, s[0:3], 0 offset:360
	buffer_load_dword v209, off, s[0:3], 0 offset:364
	ds_read2_b64 v[8:11], v16 offset0:73 offset1:74
	ds_read2_b64 v[12:15], v16 offset0:75 offset1:76
	;; [unrolled: 1-line block ×3, first 2 shown]
	v_cmp_lt_u32_e32 vcc, 15, v0
	s_waitcnt vmcnt(59) lgkmcnt(3)
	v_mul_f32_e32 v22, v2, v17
	s_waitcnt vmcnt(58)
	v_mul_f32_e32 v23, v4, v70
	s_waitcnt vmcnt(57) lgkmcnt(2)
	v_mul_f32_e32 v24, v8, v76
	s_waitcnt vmcnt(56)
	v_mul_f32_e32 v25, v10, v78
	;; [unrolled: 4-line block ×3, first 2 shown]
	s_waitcnt vmcnt(53) lgkmcnt(0)
	v_mul_f32_e32 v28, v18, v94
	s_waitcnt vmcnt(52)
	v_fmac_f32_e32 v22, v3, v95
	s_waitcnt vmcnt(51)
	v_fmac_f32_e32 v23, v5, v96
	v_add_f32_e32 v22, 0, v22
	s_waitcnt vmcnt(50)
	v_fmac_f32_e32 v24, v9, v97
	v_add_f32_e32 v22, v22, v23
	;; [unrolled: 3-line block ×6, first 2 shown]
	v_add_f32_e32 v26, v22, v28
	ds_read2_b64 v[22:25], v16 offset0:79 offset1:80
	s_waitcnt vmcnt(45)
	v_mul_f32_e32 v27, v20, v102
	s_waitcnt vmcnt(44)
	v_fmac_f32_e32 v27, v21, v103
	v_add_f32_e32 v30, v26, v27
	ds_read2_b64 v[26:29], v16 offset0:81 offset1:82
	s_waitcnt vmcnt(43) lgkmcnt(1)
	v_mul_f32_e32 v31, v22, v104
	s_waitcnt vmcnt(42)
	v_fmac_f32_e32 v31, v23, v105
	v_add_f32_e32 v30, v30, v31
	s_waitcnt vmcnt(41)
	v_mul_f32_e32 v31, v24, v106
	s_waitcnt vmcnt(40)
	v_fmac_f32_e32 v31, v25, v107
	v_add_f32_e32 v30, v30, v31
	s_waitcnt vmcnt(39) lgkmcnt(0)
	v_mul_f32_e32 v31, v26, v108
	s_waitcnt vmcnt(38)
	v_fmac_f32_e32 v31, v27, v109
	v_add_f32_e32 v34, v30, v31
	ds_read2_b64 v[30:33], v16 offset0:83 offset1:84
	s_waitcnt vmcnt(37)
	v_mul_f32_e32 v35, v28, v110
	s_waitcnt vmcnt(36)
	v_fmac_f32_e32 v35, v29, v111
	v_add_f32_e32 v38, v34, v35
	ds_read2_b64 v[34:37], v16 offset0:85 offset1:86
	s_waitcnt vmcnt(34) lgkmcnt(1)
	v_mul_f32_e32 v39, v30, v113
	v_fmac_f32_e32 v39, v31, v112
	v_add_f32_e32 v38, v38, v39
	s_waitcnt vmcnt(31)
	v_mul_f32_e32 v39, v32, v114
	s_waitcnt vmcnt(30)
	v_fmac_f32_e32 v39, v33, v115
	v_add_f32_e32 v38, v38, v39
	s_waitcnt vmcnt(28) lgkmcnt(0)
	v_mul_f32_e32 v39, v34, v117
	v_fmac_f32_e32 v39, v35, v116
	v_add_f32_e32 v42, v38, v39
	ds_read2_b64 v[38:41], v16 offset0:87 offset1:88
	s_waitcnt vmcnt(26)
	v_mul_f32_e32 v43, v36, v119
	v_fmac_f32_e32 v43, v37, v118
	v_add_f32_e32 v46, v42, v43
	ds_read2_b64 v[42:45], v16 offset0:89 offset1:90
	s_waitcnt vmcnt(24) lgkmcnt(1)
	v_mul_f32_e32 v47, v38, v121
	v_fmac_f32_e32 v47, v39, v120
	v_add_f32_e32 v46, v46, v47
	s_waitcnt vmcnt(22)
	v_mul_f32_e32 v47, v40, v123
	v_fmac_f32_e32 v47, v41, v122
	v_add_f32_e32 v46, v46, v47
	s_waitcnt vmcnt(20) lgkmcnt(0)
	v_mul_f32_e32 v47, v42, v125
	v_fmac_f32_e32 v47, v43, v124
	v_add_f32_e32 v50, v46, v47
	ds_read2_b64 v[46:49], v16 offset0:91 offset1:92
	s_waitcnt vmcnt(18)
	v_mul_f32_e32 v51, v44, v127
	v_fmac_f32_e32 v51, v45, v126
	v_add_f32_e32 v54, v50, v51
	ds_read2_b64 v[50:53], v16 offset0:93 offset1:94
	s_waitcnt vmcnt(16) lgkmcnt(1)
	v_mul_f32_e32 v55, v46, v129
	v_fmac_f32_e32 v55, v47, v128
	v_add_f32_e32 v54, v54, v55
	s_waitcnt vmcnt(14)
	v_mul_f32_e32 v55, v48, v131
	;; [unrolled: 18-line block ×3, first 2 shown]
	v_fmac_f32_e32 v63, v57, v202
	v_add_f32_e32 v62, v62, v63
	s_waitcnt vmcnt(4) lgkmcnt(0)
	v_mul_f32_e32 v63, v58, v205
	v_fmac_f32_e32 v63, v59, v204
	v_add_f32_e32 v71, v62, v63
	ds_read2_b64 v[62:65], v16 offset0:99 offset1:100
	buffer_load_dword v73, off, s[0:3], 0 offset:380
	buffer_load_dword v72, off, s[0:3], 0 offset:376
	;; [unrolled: 1-line block ×4, first 2 shown]
	ds_read2_b64 v[66:69], v16 offset0:101 offset1:102
	buffer_load_dword v81, off, s[0:3], 0 offset:412
	buffer_load_dword v80, off, s[0:3], 0 offset:408
	;; [unrolled: 1-line block ×12, first 2 shown]
	v_mul_f32_e32 v3, v3, v17
	v_fma_f32 v2, v2, v95, -v3
	v_mul_f32_e32 v3, v5, v70
	v_add_f32_e32 v2, 0, v2
	v_fma_f32 v3, v4, v96, -v3
	v_add_f32_e32 v2, v2, v3
	v_mul_f32_e32 v3, v9, v76
	v_fma_f32 v3, v8, v97, -v3
	v_add_f32_e32 v2, v2, v3
	v_mul_f32_e32 v3, v11, v78
	;; [unrolled: 3-line block ×25, first 2 shown]
	v_fma_f32 v3, v58, v204, -v3
	s_waitcnt vmcnt(13)
	v_mov_b32_e32 v18, v75
	v_mul_f32_e32 v77, v60, v207
	v_add_f32_e32 v70, v2, v3
	v_mul_f32_e32 v2, v61, v207
	s_waitcnt lgkmcnt(1)
	v_pk_mul_f32 v[18:19], v[64:65], v[18:19] op_sel_hi:[1,0]
	v_fmac_f32_e32 v77, v61, v206
	v_mul_f32_e32 v79, v62, v209
	v_fma_f32 v76, v60, v206, -v2
	v_mul_f32_e32 v2, v63, v209
	s_waitcnt vmcnt(12)
	v_pk_fma_f32 v[20:21], v[64:65], v[74:75], v[18:19] op_sel:[0,0,1] op_sel_hi:[1,1,0] neg_lo:[0,0,1] neg_hi:[0,0,1]
	v_pk_fma_f32 v[18:19], v[64:65], v[74:75], v[18:19] op_sel:[0,0,1] op_sel_hi:[1,0,0]
	v_fmac_f32_e32 v79, v63, v208
	v_fma_f32 v78, v62, v208, -v2
	v_pk_add_f32 v[14:15], v[70:71], v[76:77]
	v_mov_b32_e32 v18, v73
	v_pk_add_f32 v[14:15], v[14:15], v[78:79]
	v_mov_b32_e32 v21, v19
	s_waitcnt lgkmcnt(0)
	v_pk_mul_f32 v[18:19], v[66:67], v[18:19] op_sel_hi:[1,0]
	v_pk_add_f32 v[14:15], v[14:15], v[20:21]
	v_pk_fma_f32 v[20:21], v[66:67], v[72:73], v[18:19] op_sel:[0,0,1] op_sel_hi:[1,1,0] neg_lo:[0,0,1] neg_hi:[0,0,1]
	v_pk_fma_f32 v[18:19], v[66:67], v[72:73], v[18:19] op_sel:[0,0,1] op_sel_hi:[1,0,0]
	s_waitcnt vmcnt(5)
	v_mov_b32_e32 v18, v87
	ds_read2_b64 v[2:5], v16 offset0:103 offset1:104
	ds_read2_b64 v[8:11], v16 offset0:105 offset1:106
	ds_read_b64 v[12:13], v16 offset:856
	v_mov_b32_e32 v21, v19
	v_pk_mul_f32 v[18:19], v[68:69], v[18:19] op_sel_hi:[1,0]
	v_pk_add_f32 v[14:15], v[14:15], v[20:21]
	s_waitcnt vmcnt(4)
	v_pk_fma_f32 v[20:21], v[68:69], v[86:87], v[18:19] op_sel:[0,0,1] op_sel_hi:[1,1,0] neg_lo:[0,0,1] neg_hi:[0,0,1]
	v_pk_fma_f32 v[18:19], v[68:69], v[86:87], v[18:19] op_sel:[0,0,1] op_sel_hi:[1,0,0]
	v_mov_b32_e32 v18, v85
	v_mov_b32_e32 v21, v19
	s_waitcnt lgkmcnt(2)
	v_pk_mul_f32 v[18:19], v[2:3], v[18:19] op_sel_hi:[1,0]
	v_pk_add_f32 v[14:15], v[14:15], v[20:21]
	v_pk_fma_f32 v[20:21], v[2:3], v[84:85], v[18:19] op_sel:[0,0,1] op_sel_hi:[1,1,0] neg_lo:[0,0,1] neg_hi:[0,0,1]
	v_pk_fma_f32 v[2:3], v[2:3], v[84:85], v[18:19] op_sel:[0,0,1] op_sel_hi:[1,0,0]
	v_mov_b32_e32 v21, v3
	v_pk_add_f32 v[2:3], v[14:15], v[20:21]
	v_mov_b32_e32 v14, v83
	v_pk_mul_f32 v[14:15], v[4:5], v[14:15] op_sel_hi:[1,0]
	v_pk_fma_f32 v[18:19], v[4:5], v[82:83], v[14:15] op_sel:[0,0,1] op_sel_hi:[1,1,0] neg_lo:[0,0,1] neg_hi:[0,0,1]
	v_pk_fma_f32 v[4:5], v[4:5], v[82:83], v[14:15] op_sel:[0,0,1] op_sel_hi:[1,0,0]
	v_mov_b32_e32 v4, v81
	v_mov_b32_e32 v19, v5
	s_waitcnt lgkmcnt(1)
	v_pk_mul_f32 v[4:5], v[8:9], v[4:5] op_sel_hi:[1,0]
	v_pk_fma_f32 v[14:15], v[8:9], v[80:81], v[4:5] op_sel:[0,0,1] op_sel_hi:[1,1,0] neg_lo:[0,0,1] neg_hi:[0,0,1]
	v_pk_fma_f32 v[4:5], v[8:9], v[80:81], v[4:5] op_sel:[0,0,1] op_sel_hi:[1,0,0]
	s_waitcnt vmcnt(1)
	v_mov_b32_e32 v4, v91
	v_mov_b32_e32 v15, v5
	v_pk_mul_f32 v[4:5], v[10:11], v[4:5] op_sel_hi:[1,0]
	s_waitcnt vmcnt(0)
	v_pk_fma_f32 v[8:9], v[10:11], v[90:91], v[4:5] op_sel:[0,0,1] op_sel_hi:[1,1,0] neg_lo:[0,0,1] neg_hi:[0,0,1]
	v_pk_fma_f32 v[4:5], v[10:11], v[90:91], v[4:5] op_sel:[0,0,1] op_sel_hi:[1,0,0]
	v_pk_add_f32 v[2:3], v[2:3], v[18:19]
	v_mov_b32_e32 v4, v89
	v_pk_add_f32 v[2:3], v[2:3], v[14:15]
	v_mov_b32_e32 v9, v5
	s_waitcnt lgkmcnt(0)
	v_pk_mul_f32 v[4:5], v[12:13], v[4:5] op_sel_hi:[1,0]
	v_pk_add_f32 v[2:3], v[2:3], v[8:9]
	v_pk_fma_f32 v[8:9], v[12:13], v[88:89], v[4:5] op_sel:[0,0,1] op_sel_hi:[1,1,0] neg_lo:[0,0,1] neg_hi:[0,0,1]
	v_pk_fma_f32 v[4:5], v[12:13], v[88:89], v[4:5] op_sel:[0,0,1] op_sel_hi:[1,0,0]
	v_mov_b32_e32 v9, v5
	v_pk_add_f32 v[2:3], v[2:3], v[8:9]
	v_pk_add_f32 v[2:3], v[6:7], v[2:3] neg_lo:[0,1] neg_hi:[0,1]
	buffer_store_dword v3, off, s[0:3], 0 offset:132
	buffer_store_dword v2, off, s[0:3], 0 offset:128
	s_and_saveexec_b64 s[4:5], vcc
	s_cbranch_execz .LBB53_307
; %bb.306:
	buffer_load_dword v2, off, s[0:3], 0 offset:120
	buffer_load_dword v3, off, s[0:3], 0 offset:124
	s_waitcnt vmcnt(0)
	ds_write_b64 v143, v[2:3]
	buffer_store_dword v16, off, s[0:3], 0 offset:120
	buffer_store_dword v16, off, s[0:3], 0 offset:124
.LBB53_307:
	s_or_b64 exec, exec, s[4:5]
	s_waitcnt lgkmcnt(0)
	; wave barrier
	s_waitcnt lgkmcnt(0)
	buffer_load_dword v17, off, s[0:3], 0 offset:132
	buffer_load_dword v72, off, s[0:3], 0 offset:140
	buffer_load_dword v74, off, s[0:3], 0 offset:156
	buffer_load_dword v76, off, s[0:3], 0 offset:164
	buffer_load_dword v92, off, s[0:3], 0 offset:172
	buffer_load_dword v93, off, s[0:3], 0 offset:148
	buffer_load_dword v94, off, s[0:3], 0 offset:144
	buffer_load_dword v95, off, s[0:3], 0 offset:136
	buffer_load_dword v96, off, s[0:3], 0 offset:128
	buffer_load_dword v97, off, s[0:3], 0 offset:180
	buffer_load_dword v98, off, s[0:3], 0 offset:176
	buffer_load_dword v99, off, s[0:3], 0 offset:168
	buffer_load_dword v100, off, s[0:3], 0 offset:160
	buffer_load_dword v101, off, s[0:3], 0 offset:152
	buffer_load_dword v102, off, s[0:3], 0 offset:208
	buffer_load_dword v103, off, s[0:3], 0 offset:200
	buffer_load_dword v104, off, s[0:3], 0 offset:192
	buffer_load_dword v105, off, s[0:3], 0 offset:188
	buffer_load_dword v106, off, s[0:3], 0 offset:184
	buffer_load_dword v107, off, s[0:3], 0 offset:196
	buffer_load_dword v108, off, s[0:3], 0 offset:204
	buffer_load_dword v109, off, s[0:3], 0 offset:212
	buffer_load_dword v110, off, s[0:3], 0 offset:232
	buffer_load_dword v111, off, s[0:3], 0 offset:236
	buffer_load_dword v112, off, s[0:3], 0 offset:240
	buffer_load_dword v113, off, s[0:3], 0 offset:244
	buffer_load_dword v114, off, s[0:3], 0 offset:224
	buffer_load_dword v115, off, s[0:3], 0 offset:220
	buffer_load_dword v116, off, s[0:3], 0 offset:216
	buffer_load_dword v117, off, s[0:3], 0 offset:228
	buffer_load_dword v14, off, s[0:3], 0 offset:120
	buffer_load_dword v15, off, s[0:3], 0 offset:124
	ds_read_b128 v[18:21], v16 offset:560
	ds_read_b128 v[6:9], v16 offset:576
	buffer_load_dword v118, off, s[0:3], 0 offset:248
	buffer_load_dword v119, off, s[0:3], 0 offset:252
	ds_read_b128 v[10:13], v16 offset:592
	ds_read_b128 v[2:5], v16 offset:608
	buffer_load_dword v120, off, s[0:3], 0 offset:256
	buffer_load_dword v121, off, s[0:3], 0 offset:260
	;; [unrolled: 1-line block ×28, first 2 shown]
	v_cmp_lt_u32_e32 vcc, 14, v0
	s_waitcnt vmcnt(61) lgkmcnt(3)
	v_mul_f32_e32 v22, v18, v17
	s_waitcnt vmcnt(60)
	v_mul_f32_e32 v23, v20, v72
	s_waitcnt vmcnt(59) lgkmcnt(2)
	v_mul_f32_e32 v25, v8, v74
	s_waitcnt vmcnt(58) lgkmcnt(1)
	v_mul_f32_e32 v26, v10, v76
	s_waitcnt vmcnt(57)
	v_mul_f32_e32 v27, v12, v92
	s_waitcnt vmcnt(56)
	;; [unrolled: 2-line block ×3, first 2 shown]
	v_fmac_f32_e32 v24, v7, v94
	s_waitcnt vmcnt(54)
	v_fmac_f32_e32 v23, v21, v95
	s_waitcnt vmcnt(53)
	v_fmac_f32_e32 v22, v19, v96
	v_add_f32_e32 v22, 0, v22
	v_add_f32_e32 v22, v22, v23
	;; [unrolled: 1-line block ×3, first 2 shown]
	s_waitcnt vmcnt(49)
	v_fmac_f32_e32 v26, v11, v100
	s_waitcnt vmcnt(48)
	v_fmac_f32_e32 v25, v9, v101
	v_add_f32_e32 v22, v22, v25
	s_waitcnt lgkmcnt(0)
	v_mul_f32_e32 v28, v2, v97
	v_fmac_f32_e32 v27, v13, v99
	v_add_f32_e32 v22, v22, v26
	v_fmac_f32_e32 v28, v3, v98
	v_add_f32_e32 v22, v22, v27
	v_add_f32_e32 v26, v22, v28
	ds_read_b128 v[22:25], v16 offset:624
	s_waitcnt vmcnt(44)
	v_mul_f32_e32 v27, v4, v105
	s_waitcnt vmcnt(43)
	v_fmac_f32_e32 v27, v5, v106
	v_add_f32_e32 v30, v26, v27
	ds_read_b128 v[26:29], v16 offset:640
	s_waitcnt vmcnt(42) lgkmcnt(1)
	v_mul_f32_e32 v31, v22, v107
	v_fmac_f32_e32 v31, v23, v104
	v_add_f32_e32 v30, v30, v31
	s_waitcnt vmcnt(41)
	v_mul_f32_e32 v31, v24, v108
	v_fmac_f32_e32 v31, v25, v103
	v_add_f32_e32 v30, v30, v31
	s_waitcnt vmcnt(40) lgkmcnt(0)
	v_mul_f32_e32 v31, v26, v109
	v_fmac_f32_e32 v31, v27, v102
	v_add_f32_e32 v34, v30, v31
	ds_read_b128 v[30:33], v16 offset:656
	s_waitcnt vmcnt(34)
	v_mul_f32_e32 v35, v28, v115
	s_waitcnt vmcnt(33)
	v_fmac_f32_e32 v35, v29, v116
	v_add_f32_e32 v38, v34, v35
	ds_read_b128 v[34:37], v16 offset:672
	s_waitcnt vmcnt(32) lgkmcnt(1)
	v_mul_f32_e32 v39, v30, v117
	v_fmac_f32_e32 v39, v31, v114
	v_add_f32_e32 v38, v38, v39
	v_mul_f32_e32 v39, v32, v111
	v_fmac_f32_e32 v39, v33, v110
	v_add_f32_e32 v38, v38, v39
	s_waitcnt lgkmcnt(0)
	v_mul_f32_e32 v39, v34, v113
	v_fmac_f32_e32 v39, v35, v112
	v_add_f32_e32 v42, v38, v39
	ds_read_b128 v[38:41], v16 offset:688
	s_waitcnt vmcnt(28)
	v_mul_f32_e32 v43, v36, v119
	v_fmac_f32_e32 v43, v37, v118
	v_add_f32_e32 v46, v42, v43
	ds_read_b128 v[42:45], v16 offset:704
	s_waitcnt vmcnt(26) lgkmcnt(1)
	v_mul_f32_e32 v47, v38, v121
	v_fmac_f32_e32 v47, v39, v120
	v_add_f32_e32 v46, v46, v47
	s_waitcnt vmcnt(24)
	v_mul_f32_e32 v47, v40, v123
	v_fmac_f32_e32 v47, v41, v122
	v_add_f32_e32 v46, v46, v47
	s_waitcnt vmcnt(22) lgkmcnt(0)
	v_mul_f32_e32 v47, v42, v125
	v_fmac_f32_e32 v47, v43, v124
	v_add_f32_e32 v50, v46, v47
	ds_read_b128 v[46:49], v16 offset:720
	s_waitcnt vmcnt(20)
	v_mul_f32_e32 v51, v44, v127
	v_fmac_f32_e32 v51, v45, v126
	v_add_f32_e32 v54, v50, v51
	ds_read_b128 v[50:53], v16 offset:736
	s_waitcnt vmcnt(18) lgkmcnt(1)
	v_mul_f32_e32 v55, v46, v129
	v_fmac_f32_e32 v55, v47, v128
	v_add_f32_e32 v54, v54, v55
	s_waitcnt vmcnt(16)
	v_mul_f32_e32 v55, v48, v131
	v_fmac_f32_e32 v55, v49, v130
	v_add_f32_e32 v54, v54, v55
	s_waitcnt vmcnt(14) lgkmcnt(0)
	v_mul_f32_e32 v55, v50, v133
	v_fmac_f32_e32 v55, v51, v132
	v_add_f32_e32 v58, v54, v55
	ds_read_b128 v[54:57], v16 offset:752
	s_waitcnt vmcnt(12)
	v_mul_f32_e32 v59, v52, v135
	v_fmac_f32_e32 v59, v53, v134
	v_add_f32_e32 v62, v58, v59
	ds_read_b128 v[58:61], v16 offset:768
	buffer_load_dword v71, off, s[0:3], 0 offset:372
	buffer_load_dword v70, off, s[0:3], 0 offset:368
	s_waitcnt vmcnt(12) lgkmcnt(1)
	v_mul_f32_e32 v63, v54, v201
	v_fmac_f32_e32 v63, v55, v200
	v_add_f32_e32 v62, v62, v63
	s_waitcnt vmcnt(10)
	v_mul_f32_e32 v63, v56, v203
	v_fmac_f32_e32 v63, v57, v202
	v_add_f32_e32 v62, v62, v63
	s_waitcnt vmcnt(8) lgkmcnt(0)
	v_mul_f32_e32 v63, v58, v205
	v_fmac_f32_e32 v63, v59, v204
	s_waitcnt vmcnt(6)
	v_mul_f32_e32 v67, v60, v207
	v_add_f32_e32 v66, v62, v63
	v_fmac_f32_e32 v67, v61, v206
	ds_read_b128 v[62:65], v16 offset:784
	v_add_f32_e32 v73, v66, v67
	ds_read_b128 v[66:69], v16 offset:800
	buffer_load_dword v79, off, s[0:3], 0 offset:404
	buffer_load_dword v78, off, s[0:3], 0 offset:400
	;; [unrolled: 1-line block ×14, first 2 shown]
	v_mul_f32_e32 v17, v19, v17
	v_fma_f32 v17, v18, v96, -v17
	v_mul_f32_e32 v18, v21, v72
	v_add_f32_e32 v17, 0, v17
	v_fma_f32 v18, v20, v95, -v18
	v_mul_f32_e32 v7, v7, v93
	v_add_f32_e32 v17, v17, v18
	;; [unrolled: 3-line block ×3, first 2 shown]
	v_fma_f32 v7, v8, v101, -v7
	v_add_f32_e32 v6, v6, v7
	v_mul_f32_e32 v7, v11, v76
	v_fma_f32 v7, v10, v100, -v7
	v_add_f32_e32 v6, v6, v7
	v_mul_f32_e32 v7, v13, v92
	v_fma_f32 v7, v12, v99, -v7
	v_mul_f32_e32 v3, v3, v97
	v_add_f32_e32 v6, v6, v7
	v_fma_f32 v2, v2, v98, -v3
	v_mul_f32_e32 v3, v5, v105
	v_add_f32_e32 v2, v6, v2
	v_fma_f32 v3, v4, v106, -v3
	v_add_f32_e32 v2, v2, v3
	v_mul_f32_e32 v3, v23, v107
	v_fma_f32 v3, v22, v104, -v3
	v_add_f32_e32 v2, v2, v3
	v_mul_f32_e32 v3, v25, v108
	;; [unrolled: 3-line block ×20, first 2 shown]
	v_fma_f32 v3, v60, v206, -v3
	s_waitcnt vmcnt(15)
	v_mov_b32_e32 v18, v71
	s_waitcnt lgkmcnt(1)
	v_mul_f32_e32 v75, v62, v209
	v_add_f32_e32 v72, v2, v3
	v_mul_f32_e32 v2, v63, v209
	s_waitcnt lgkmcnt(0)
	v_pk_mul_f32 v[18:19], v[66:67], v[18:19] op_sel_hi:[1,0]
	v_fmac_f32_e32 v75, v63, v208
	v_mul_f32_e32 v77, v64, v211
	v_fma_f32 v74, v62, v208, -v2
	v_mul_f32_e32 v2, v65, v211
	s_waitcnt vmcnt(14)
	v_pk_fma_f32 v[20:21], v[66:67], v[70:71], v[18:19] op_sel:[0,0,1] op_sel_hi:[1,1,0] neg_lo:[0,0,1] neg_hi:[0,0,1]
	v_pk_fma_f32 v[18:19], v[66:67], v[70:71], v[18:19] op_sel:[0,0,1] op_sel_hi:[1,0,0]
	v_fmac_f32_e32 v77, v65, v210
	v_fma_f32 v76, v64, v210, -v2
	ds_read_b128 v[2:5], v16 offset:816
	ds_read_b128 v[6:9], v16 offset:832
	;; [unrolled: 1-line block ×3, first 2 shown]
	v_pk_add_f32 v[16:17], v[72:73], v[74:75]
	s_waitcnt vmcnt(7)
	v_mov_b32_e32 v18, v85
	v_pk_add_f32 v[16:17], v[16:17], v[76:77]
	v_mov_b32_e32 v21, v19
	v_pk_mul_f32 v[18:19], v[68:69], v[18:19] op_sel_hi:[1,0]
	v_pk_add_f32 v[16:17], v[16:17], v[20:21]
	s_waitcnt vmcnt(6)
	v_pk_fma_f32 v[20:21], v[68:69], v[84:85], v[18:19] op_sel:[0,0,1] op_sel_hi:[1,1,0] neg_lo:[0,0,1] neg_hi:[0,0,1]
	v_pk_fma_f32 v[18:19], v[68:69], v[84:85], v[18:19] op_sel:[0,0,1] op_sel_hi:[1,0,0]
	v_mov_b32_e32 v18, v83
	v_mov_b32_e32 v21, v19
	s_waitcnt lgkmcnt(2)
	v_pk_mul_f32 v[18:19], v[2:3], v[18:19] op_sel_hi:[1,0]
	v_pk_add_f32 v[16:17], v[16:17], v[20:21]
	v_pk_fma_f32 v[20:21], v[2:3], v[82:83], v[18:19] op_sel:[0,0,1] op_sel_hi:[1,1,0] neg_lo:[0,0,1] neg_hi:[0,0,1]
	v_pk_fma_f32 v[2:3], v[2:3], v[82:83], v[18:19] op_sel:[0,0,1] op_sel_hi:[1,0,0]
	v_mov_b32_e32 v21, v3
	v_pk_add_f32 v[2:3], v[16:17], v[20:21]
	v_mov_b32_e32 v16, v81
	v_pk_mul_f32 v[16:17], v[4:5], v[16:17] op_sel_hi:[1,0]
	v_pk_fma_f32 v[18:19], v[4:5], v[80:81], v[16:17] op_sel:[0,0,1] op_sel_hi:[1,1,0] neg_lo:[0,0,1] neg_hi:[0,0,1]
	v_pk_fma_f32 v[4:5], v[4:5], v[80:81], v[16:17] op_sel:[0,0,1] op_sel_hi:[1,0,0]
	v_mov_b32_e32 v4, v79
	v_mov_b32_e32 v19, v5
	s_waitcnt lgkmcnt(1)
	v_pk_mul_f32 v[4:5], v[6:7], v[4:5] op_sel_hi:[1,0]
	v_pk_fma_f32 v[16:17], v[6:7], v[78:79], v[4:5] op_sel:[0,0,1] op_sel_hi:[1,1,0] neg_lo:[0,0,1] neg_hi:[0,0,1]
	v_pk_fma_f32 v[4:5], v[6:7], v[78:79], v[4:5] op_sel:[0,0,1] op_sel_hi:[1,0,0]
	s_waitcnt vmcnt(1)
	v_mov_b32_e32 v4, v91
	v_mov_b32_e32 v17, v5
	v_pk_mul_f32 v[4:5], v[8:9], v[4:5] op_sel_hi:[1,0]
	s_waitcnt vmcnt(0)
	v_pk_fma_f32 v[6:7], v[8:9], v[90:91], v[4:5] op_sel:[0,0,1] op_sel_hi:[1,1,0] neg_lo:[0,0,1] neg_hi:[0,0,1]
	v_pk_fma_f32 v[4:5], v[8:9], v[90:91], v[4:5] op_sel:[0,0,1] op_sel_hi:[1,0,0]
	v_pk_add_f32 v[2:3], v[2:3], v[18:19]
	v_mov_b32_e32 v4, v89
	v_pk_add_f32 v[2:3], v[2:3], v[16:17]
	v_mov_b32_e32 v7, v5
	s_waitcnt lgkmcnt(0)
	v_pk_mul_f32 v[4:5], v[10:11], v[4:5] op_sel_hi:[1,0]
	v_pk_add_f32 v[2:3], v[2:3], v[6:7]
	v_pk_fma_f32 v[6:7], v[10:11], v[88:89], v[4:5] op_sel:[0,0,1] op_sel_hi:[1,1,0] neg_lo:[0,0,1] neg_hi:[0,0,1]
	v_pk_fma_f32 v[4:5], v[10:11], v[88:89], v[4:5] op_sel:[0,0,1] op_sel_hi:[1,0,0]
	v_mov_b32_e32 v4, v87
	v_mov_b32_e32 v7, v5
	v_pk_mul_f32 v[4:5], v[12:13], v[4:5] op_sel_hi:[1,0]
	v_pk_add_f32 v[2:3], v[2:3], v[6:7]
	v_pk_fma_f32 v[6:7], v[12:13], v[86:87], v[4:5] op_sel:[0,0,1] op_sel_hi:[1,1,0] neg_lo:[0,0,1] neg_hi:[0,0,1]
	v_pk_fma_f32 v[4:5], v[12:13], v[86:87], v[4:5] op_sel:[0,0,1] op_sel_hi:[1,0,0]
	v_mov_b32_e32 v7, v5
	v_pk_add_f32 v[2:3], v[2:3], v[6:7]
	v_pk_add_f32 v[2:3], v[14:15], v[2:3] neg_lo:[0,1] neg_hi:[0,1]
	buffer_store_dword v3, off, s[0:3], 0 offset:124
	buffer_store_dword v2, off, s[0:3], 0 offset:120
	s_and_saveexec_b64 s[4:5], vcc
	s_cbranch_execz .LBB53_309
; %bb.308:
	buffer_load_dword v2, off, s[0:3], 0 offset:112
	buffer_load_dword v3, off, s[0:3], 0 offset:116
	v_mov_b32_e32 v4, 0
	buffer_store_dword v4, off, s[0:3], 0 offset:112
	buffer_store_dword v4, off, s[0:3], 0 offset:116
	s_waitcnt vmcnt(2)
	ds_write_b64 v143, v[2:3]
.LBB53_309:
	s_or_b64 exec, exec, s[4:5]
	s_waitcnt lgkmcnt(0)
	; wave barrier
	s_waitcnt lgkmcnt(0)
	buffer_load_dword v21, off, s[0:3], 0 offset:124
	buffer_load_dword v70, off, s[0:3], 0 offset:132
	;; [unrolled: 1-line block ×48, first 2 shown]
	v_mov_b32_e32 v20, 0
	ds_read2_b64 v[2:5], v20 offset0:69 offset1:70
	buffer_load_dword v134, off, s[0:3], 0 offset:304
	buffer_load_dword v135, off, s[0:3], 0 offset:308
	;; [unrolled: 1-line block ×8, first 2 shown]
	ds_read2_b64 v[8:11], v20 offset0:71 offset1:72
	ds_read2_b64 v[12:15], v20 offset0:73 offset1:74
	;; [unrolled: 1-line block ×3, first 2 shown]
	buffer_load_dword v206, off, s[0:3], 0 offset:336
	buffer_load_dword v207, off, s[0:3], 0 offset:340
	;; [unrolled: 1-line block ×8, first 2 shown]
	v_cmp_lt_u32_e32 vcc, 13, v0
	s_waitcnt vmcnt(62) lgkmcnt(3)
	v_mul_f32_e32 v22, v2, v21
	v_mul_f32_e32 v23, v4, v70
	s_waitcnt vmcnt(61) lgkmcnt(2)
	v_mul_f32_e32 v25, v10, v72
	s_waitcnt vmcnt(60) lgkmcnt(1)
	v_mul_f32_e32 v26, v12, v74
	s_waitcnt vmcnt(59)
	v_mul_f32_e32 v27, v14, v92
	s_waitcnt vmcnt(58)
	;; [unrolled: 2-line block ×3, first 2 shown]
	v_fmac_f32_e32 v24, v9, v94
	s_waitcnt vmcnt(56)
	v_fmac_f32_e32 v23, v5, v95
	s_waitcnt vmcnt(55)
	v_fmac_f32_e32 v22, v3, v96
	v_add_f32_e32 v22, 0, v22
	v_add_f32_e32 v22, v22, v23
	;; [unrolled: 1-line block ×3, first 2 shown]
	s_waitcnt vmcnt(51)
	v_fmac_f32_e32 v26, v13, v100
	s_waitcnt vmcnt(50)
	v_fmac_f32_e32 v25, v11, v101
	v_add_f32_e32 v22, v22, v25
	s_waitcnt lgkmcnt(0)
	v_mul_f32_e32 v28, v16, v97
	v_fmac_f32_e32 v27, v15, v99
	v_add_f32_e32 v22, v22, v26
	v_fmac_f32_e32 v28, v17, v98
	v_add_f32_e32 v22, v22, v27
	v_add_f32_e32 v26, v22, v28
	ds_read2_b64 v[22:25], v20 offset0:77 offset1:78
	s_waitcnt vmcnt(45)
	v_mul_f32_e32 v27, v18, v106
	s_waitcnt vmcnt(44)
	v_fmac_f32_e32 v27, v19, v107
	v_add_f32_e32 v30, v26, v27
	ds_read2_b64 v[26:29], v20 offset0:79 offset1:80
	s_waitcnt vmcnt(43) lgkmcnt(1)
	v_mul_f32_e32 v31, v22, v108
	v_fmac_f32_e32 v31, v23, v105
	v_add_f32_e32 v30, v30, v31
	s_waitcnt vmcnt(42)
	v_mul_f32_e32 v31, v24, v109
	v_fmac_f32_e32 v31, v25, v104
	v_add_f32_e32 v30, v30, v31
	s_waitcnt lgkmcnt(0)
	v_mul_f32_e32 v31, v26, v103
	v_fmac_f32_e32 v31, v27, v102
	v_add_f32_e32 v34, v30, v31
	ds_read2_b64 v[30:33], v20 offset0:81 offset1:82
	s_waitcnt vmcnt(38)
	v_mul_f32_e32 v35, v28, v111
	v_fmac_f32_e32 v35, v29, v110
	v_add_f32_e32 v38, v34, v35
	ds_read2_b64 v[34:37], v20 offset0:83 offset1:84
	s_waitcnt vmcnt(36) lgkmcnt(1)
	v_mul_f32_e32 v39, v30, v113
	v_fmac_f32_e32 v39, v31, v112
	v_add_f32_e32 v38, v38, v39
	s_waitcnt vmcnt(34)
	v_mul_f32_e32 v39, v32, v115
	v_fmac_f32_e32 v39, v33, v114
	v_add_f32_e32 v38, v38, v39
	s_waitcnt vmcnt(32) lgkmcnt(0)
	v_mul_f32_e32 v39, v34, v117
	v_fmac_f32_e32 v39, v35, v116
	v_add_f32_e32 v42, v38, v39
	ds_read2_b64 v[38:41], v20 offset0:85 offset1:86
	s_waitcnt vmcnt(30)
	v_mul_f32_e32 v43, v36, v119
	v_fmac_f32_e32 v43, v37, v118
	v_add_f32_e32 v46, v42, v43
	ds_read2_b64 v[42:45], v20 offset0:87 offset1:88
	s_waitcnt vmcnt(28) lgkmcnt(1)
	v_mul_f32_e32 v47, v38, v121
	v_fmac_f32_e32 v47, v39, v120
	v_add_f32_e32 v46, v46, v47
	s_waitcnt vmcnt(26)
	v_mul_f32_e32 v47, v40, v123
	v_fmac_f32_e32 v47, v41, v122
	v_add_f32_e32 v46, v46, v47
	s_waitcnt vmcnt(24) lgkmcnt(0)
	;; [unrolled: 18-line block ×4, first 2 shown]
	v_mul_f32_e32 v63, v58, v205
	v_fmac_f32_e32 v63, v59, v204
	s_waitcnt vmcnt(6)
	v_mul_f32_e32 v67, v60, v207
	v_add_f32_e32 v66, v62, v63
	v_fmac_f32_e32 v67, v61, v206
	ds_read2_b64 v[62:65], v20 offset0:97 offset1:98
	v_add_f32_e32 v71, v66, v67
	ds_read2_b64 v[66:69], v20 offset0:99 offset1:100
	buffer_load_dword v77, off, s[0:3], 0 offset:396
	buffer_load_dword v76, off, s[0:3], 0 offset:392
	;; [unrolled: 1-line block ×16, first 2 shown]
	v_mul_f32_e32 v3, v3, v21
	v_fma_f32 v2, v2, v96, -v3
	v_mul_f32_e32 v3, v5, v70
	v_add_f32_e32 v2, 0, v2
	v_fma_f32 v3, v4, v95, -v3
	v_add_f32_e32 v2, v2, v3
	v_mul_f32_e32 v3, v9, v93
	v_fma_f32 v3, v8, v94, -v3
	v_add_f32_e32 v2, v2, v3
	v_mul_f32_e32 v3, v11, v72
	;; [unrolled: 3-line block ×26, first 2 shown]
	v_fma_f32 v3, v60, v206, -v3
	v_add_f32_e32 v2, v2, v3
	s_waitcnt vmcnt(20) lgkmcnt(1)
	v_mul_f32_e32 v3, v63, v209
	v_mul_f32_e32 v73, v62, v209
	v_fma_f32 v3, v62, v208, -v3
	v_fmac_f32_e32 v73, v63, v208
	v_add_f32_e32 v70, v2, v3
	s_waitcnt vmcnt(18)
	v_mul_f32_e32 v2, v65, v211
	s_waitcnt vmcnt(9)
	v_mov_b32_e32 v22, v83
	v_add_f32_e32 v71, v71, v73
	v_mul_f32_e32 v73, v64, v211
	v_fma_f32 v72, v64, v210, -v2
	s_waitcnt lgkmcnt(0)
	v_mul_f32_e32 v2, v67, v213
	v_pk_mul_f32 v[22:23], v[68:69], v[22:23] op_sel_hi:[1,0]
	v_fmac_f32_e32 v73, v65, v210
	v_mul_f32_e32 v75, v66, v213
	v_fma_f32 v74, v66, v212, -v2
	ds_read2_b64 v[2:5], v20 offset0:101 offset1:102
	ds_read2_b64 v[8:11], v20 offset0:103 offset1:104
	;; [unrolled: 1-line block ×3, first 2 shown]
	ds_read_b64 v[16:17], v20 offset:856
	s_waitcnt vmcnt(8)
	v_pk_fma_f32 v[24:25], v[68:69], v[82:83], v[22:23] op_sel:[0,0,1] op_sel_hi:[1,1,0] neg_lo:[0,0,1] neg_hi:[0,0,1]
	v_pk_fma_f32 v[22:23], v[68:69], v[82:83], v[22:23] op_sel:[0,0,1] op_sel_hi:[1,0,0]
	v_fmac_f32_e32 v75, v67, v212
	v_pk_add_f32 v[18:19], v[70:71], v[72:73]
	v_mov_b32_e32 v22, v81
	v_pk_add_f32 v[18:19], v[18:19], v[74:75]
	v_mov_b32_e32 v25, v23
	s_waitcnt lgkmcnt(3)
	v_pk_mul_f32 v[22:23], v[2:3], v[22:23] op_sel_hi:[1,0]
	v_pk_add_f32 v[18:19], v[18:19], v[24:25]
	v_pk_fma_f32 v[24:25], v[2:3], v[80:81], v[22:23] op_sel:[0,0,1] op_sel_hi:[1,1,0] neg_lo:[0,0,1] neg_hi:[0,0,1]
	v_pk_fma_f32 v[2:3], v[2:3], v[80:81], v[22:23] op_sel:[0,0,1] op_sel_hi:[1,0,0]
	v_mov_b32_e32 v25, v3
	v_pk_add_f32 v[2:3], v[18:19], v[24:25]
	v_mov_b32_e32 v18, v79
	v_pk_mul_f32 v[18:19], v[4:5], v[18:19] op_sel_hi:[1,0]
	v_pk_fma_f32 v[22:23], v[4:5], v[78:79], v[18:19] op_sel:[0,0,1] op_sel_hi:[1,1,0] neg_lo:[0,0,1] neg_hi:[0,0,1]
	v_pk_fma_f32 v[4:5], v[4:5], v[78:79], v[18:19] op_sel:[0,0,1] op_sel_hi:[1,0,0]
	v_mov_b32_e32 v4, v77
	v_mov_b32_e32 v23, v5
	s_waitcnt lgkmcnt(2)
	v_pk_mul_f32 v[4:5], v[8:9], v[4:5] op_sel_hi:[1,0]
	v_pk_fma_f32 v[18:19], v[8:9], v[76:77], v[4:5] op_sel:[0,0,1] op_sel_hi:[1,1,0] neg_lo:[0,0,1] neg_hi:[0,0,1]
	v_pk_fma_f32 v[4:5], v[8:9], v[76:77], v[4:5] op_sel:[0,0,1] op_sel_hi:[1,0,0]
	s_waitcnt vmcnt(1)
	v_mov_b32_e32 v4, v91
	v_mov_b32_e32 v19, v5
	v_pk_mul_f32 v[4:5], v[10:11], v[4:5] op_sel_hi:[1,0]
	s_waitcnt vmcnt(0)
	v_pk_fma_f32 v[8:9], v[10:11], v[90:91], v[4:5] op_sel:[0,0,1] op_sel_hi:[1,1,0] neg_lo:[0,0,1] neg_hi:[0,0,1]
	v_pk_fma_f32 v[4:5], v[10:11], v[90:91], v[4:5] op_sel:[0,0,1] op_sel_hi:[1,0,0]
	v_pk_add_f32 v[2:3], v[2:3], v[22:23]
	v_mov_b32_e32 v4, v89
	v_pk_add_f32 v[2:3], v[2:3], v[18:19]
	v_mov_b32_e32 v9, v5
	s_waitcnt lgkmcnt(1)
	v_pk_mul_f32 v[4:5], v[12:13], v[4:5] op_sel_hi:[1,0]
	v_pk_add_f32 v[2:3], v[2:3], v[8:9]
	v_pk_fma_f32 v[8:9], v[12:13], v[88:89], v[4:5] op_sel:[0,0,1] op_sel_hi:[1,1,0] neg_lo:[0,0,1] neg_hi:[0,0,1]
	v_pk_fma_f32 v[4:5], v[12:13], v[88:89], v[4:5] op_sel:[0,0,1] op_sel_hi:[1,0,0]
	v_mov_b32_e32 v4, v87
	v_mov_b32_e32 v9, v5
	v_pk_mul_f32 v[4:5], v[14:15], v[4:5] op_sel_hi:[1,0]
	v_pk_add_f32 v[2:3], v[2:3], v[8:9]
	v_pk_fma_f32 v[8:9], v[14:15], v[86:87], v[4:5] op_sel:[0,0,1] op_sel_hi:[1,1,0] neg_lo:[0,0,1] neg_hi:[0,0,1]
	v_pk_fma_f32 v[4:5], v[14:15], v[86:87], v[4:5] op_sel:[0,0,1] op_sel_hi:[1,0,0]
	v_mov_b32_e32 v4, v85
	v_mov_b32_e32 v9, v5
	s_waitcnt lgkmcnt(0)
	v_pk_mul_f32 v[4:5], v[16:17], v[4:5] op_sel_hi:[1,0]
	v_pk_add_f32 v[2:3], v[2:3], v[8:9]
	v_pk_fma_f32 v[8:9], v[16:17], v[84:85], v[4:5] op_sel:[0,0,1] op_sel_hi:[1,1,0] neg_lo:[0,0,1] neg_hi:[0,0,1]
	v_pk_fma_f32 v[4:5], v[16:17], v[84:85], v[4:5] op_sel:[0,0,1] op_sel_hi:[1,0,0]
	v_mov_b32_e32 v9, v5
	v_pk_add_f32 v[2:3], v[2:3], v[8:9]
	v_pk_add_f32 v[2:3], v[6:7], v[2:3] neg_lo:[0,1] neg_hi:[0,1]
	buffer_store_dword v3, off, s[0:3], 0 offset:116
	buffer_store_dword v2, off, s[0:3], 0 offset:112
	s_and_saveexec_b64 s[4:5], vcc
	s_cbranch_execz .LBB53_311
; %bb.310:
	buffer_load_dword v2, off, s[0:3], 0 offset:104
	buffer_load_dword v3, off, s[0:3], 0 offset:108
	s_waitcnt vmcnt(0)
	ds_write_b64 v143, v[2:3]
	buffer_store_dword v20, off, s[0:3], 0 offset:104
	buffer_store_dword v20, off, s[0:3], 0 offset:108
.LBB53_311:
	s_or_b64 exec, exec, s[4:5]
	s_waitcnt lgkmcnt(0)
	; wave barrier
	s_waitcnt lgkmcnt(0)
	buffer_load_dword v21, off, s[0:3], 0 offset:116
	buffer_load_dword v70, off, s[0:3], 0 offset:124
	;; [unrolled: 1-line block ×26, first 2 shown]
	ds_read_b128 v[14:17], v20 offset:544
	ds_read_b128 v[6:9], v20 offset:560
	buffer_load_dword v112, off, s[0:3], 0 offset:208
	buffer_load_dword v113, off, s[0:3], 0 offset:212
	ds_read_b128 v[10:13], v20 offset:576
	ds_read_b128 v[2:5], v20 offset:592
	buffer_load_dword v114, off, s[0:3], 0 offset:216
	buffer_load_dword v115, off, s[0:3], 0 offset:220
	;; [unrolled: 1-line block ×32, first 2 shown]
	v_cmp_lt_u32_e32 vcc, 12, v0
	s_waitcnt vmcnt(59) lgkmcnt(3)
	v_mul_f32_e32 v22, v14, v21
	s_waitcnt vmcnt(58)
	v_mul_f32_e32 v23, v16, v70
	s_waitcnt vmcnt(57) lgkmcnt(2)
	v_mul_f32_e32 v25, v8, v72
	s_waitcnt vmcnt(56) lgkmcnt(1)
	v_mul_f32_e32 v26, v10, v80
	s_waitcnt vmcnt(55)
	v_mul_f32_e32 v27, v12, v92
	s_waitcnt vmcnt(54)
	v_mul_f32_e32 v24, v6, v93
	s_waitcnt vmcnt(53) lgkmcnt(0)
	v_mul_f32_e32 v28, v2, v94
	s_waitcnt vmcnt(52)
	v_mul_f32_e32 v29, v4, v95
	s_waitcnt vmcnt(51)
	v_fmac_f32_e32 v24, v7, v96
	s_waitcnt vmcnt(50)
	v_fmac_f32_e32 v23, v17, v97
	;; [unrolled: 2-line block ×3, first 2 shown]
	v_add_f32_e32 v22, 0, v22
	v_add_f32_e32 v22, v22, v23
	;; [unrolled: 1-line block ×3, first 2 shown]
	s_waitcnt vmcnt(45)
	v_fmac_f32_e32 v25, v9, v102
	v_fmac_f32_e32 v26, v11, v101
	v_add_f32_e32 v22, v22, v25
	v_fmac_f32_e32 v27, v13, v100
	v_add_f32_e32 v22, v22, v26
	;; [unrolled: 2-line block ×3, first 2 shown]
	v_add_f32_e32 v26, v22, v28
	ds_read_b128 v[22:25], v20 offset:608
	s_waitcnt vmcnt(41)
	v_fmac_f32_e32 v29, v5, v106
	buffer_load_dword v210, off, s[0:3], 0 offset:344
	buffer_load_dword v211, off, s[0:3], 0 offset:348
	v_add_f32_e32 v30, v26, v29
	buffer_load_dword v212, off, s[0:3], 0 offset:352
	buffer_load_dword v213, off, s[0:3], 0 offset:356
	ds_read_b128 v[26:29], v20 offset:624
	s_waitcnt vmcnt(44) lgkmcnt(1)
	v_mul_f32_e32 v31, v22, v107
	v_fmac_f32_e32 v31, v23, v105
	v_add_f32_e32 v30, v30, v31
	s_waitcnt vmcnt(43)
	v_mul_f32_e32 v31, v24, v108
	v_fmac_f32_e32 v31, v25, v104
	v_add_f32_e32 v30, v30, v31
	s_waitcnt vmcnt(42) lgkmcnt(0)
	v_mul_f32_e32 v31, v26, v109
	v_fmac_f32_e32 v31, v27, v103
	buffer_load_dword v214, off, s[0:3], 0 offset:360
	buffer_load_dword v215, off, s[0:3], 0 offset:364
	v_add_f32_e32 v34, v30, v31
	ds_read_b128 v[30:33], v20 offset:640
	s_waitcnt vmcnt(40)
	v_mul_f32_e32 v35, v28, v111
	v_fmac_f32_e32 v35, v29, v110
	v_add_f32_e32 v38, v34, v35
	ds_read_b128 v[34:37], v20 offset:656
	s_waitcnt vmcnt(38) lgkmcnt(1)
	v_mul_f32_e32 v39, v30, v113
	v_fmac_f32_e32 v39, v31, v112
	v_add_f32_e32 v38, v38, v39
	s_waitcnt vmcnt(36)
	v_mul_f32_e32 v39, v32, v115
	v_fmac_f32_e32 v39, v33, v114
	v_add_f32_e32 v38, v38, v39
	s_waitcnt vmcnt(34) lgkmcnt(0)
	v_mul_f32_e32 v39, v34, v117
	v_fmac_f32_e32 v39, v35, v116
	v_add_f32_e32 v42, v38, v39
	ds_read_b128 v[38:41], v20 offset:672
	s_waitcnt vmcnt(32)
	v_mul_f32_e32 v43, v36, v119
	v_fmac_f32_e32 v43, v37, v118
	v_add_f32_e32 v46, v42, v43
	ds_read_b128 v[42:45], v20 offset:688
	s_waitcnt vmcnt(30) lgkmcnt(1)
	v_mul_f32_e32 v47, v38, v121
	v_fmac_f32_e32 v47, v39, v120
	v_add_f32_e32 v46, v46, v47
	s_waitcnt vmcnt(28)
	v_mul_f32_e32 v47, v40, v123
	v_fmac_f32_e32 v47, v41, v122
	v_add_f32_e32 v46, v46, v47
	s_waitcnt vmcnt(26) lgkmcnt(0)
	v_mul_f32_e32 v47, v42, v125
	v_fmac_f32_e32 v47, v43, v124
	;; [unrolled: 18-line block ×4, first 2 shown]
	s_waitcnt vmcnt(8)
	v_mul_f32_e32 v67, v60, v207
	v_add_f32_e32 v66, v62, v63
	v_fmac_f32_e32 v67, v61, v206
	ds_read_b128 v[62:65], v20 offset:768
	v_add_f32_e32 v71, v66, v67
	ds_read_b128 v[66:69], v20 offset:784
	buffer_load_dword v75, off, s[0:3], 0 offset:388
	buffer_load_dword v74, off, s[0:3], 0 offset:384
	buffer_load_dword v77, off, s[0:3], 0 offset:380
	buffer_load_dword v76, off, s[0:3], 0 offset:376
	buffer_load_dword v79, off, s[0:3], 0 offset:372
	buffer_load_dword v78, off, s[0:3], 0 offset:368
	buffer_load_dword v83, off, s[0:3], 0 offset:420
	buffer_load_dword v82, off, s[0:3], 0 offset:416
	buffer_load_dword v85, off, s[0:3], 0 offset:412
	buffer_load_dword v84, off, s[0:3], 0 offset:408
	buffer_load_dword v87, off, s[0:3], 0 offset:404
	buffer_load_dword v86, off, s[0:3], 0 offset:400
	buffer_load_dword v89, off, s[0:3], 0 offset:396
	buffer_load_dword v88, off, s[0:3], 0 offset:392
	buffer_load_dword v91, off, s[0:3], 0 offset:428
	buffer_load_dword v90, off, s[0:3], 0 offset:424
	v_mul_f32_e32 v15, v15, v21
	v_fma_f32 v14, v14, v98, -v15
	v_mul_f32_e32 v15, v17, v70
	v_add_f32_e32 v14, 0, v14
	v_fma_f32 v15, v16, v97, -v15
	v_mul_f32_e32 v7, v7, v93
	v_add_f32_e32 v14, v14, v15
	;; [unrolled: 3-line block ×3, first 2 shown]
	v_fma_f32 v7, v8, v102, -v7
	v_add_f32_e32 v6, v6, v7
	v_mul_f32_e32 v7, v11, v80
	v_fma_f32 v7, v10, v101, -v7
	v_add_f32_e32 v6, v6, v7
	v_mul_f32_e32 v7, v13, v92
	v_fma_f32 v7, v12, v100, -v7
	v_mul_f32_e32 v3, v3, v94
	v_add_f32_e32 v6, v6, v7
	v_fma_f32 v2, v2, v99, -v3
	v_mul_f32_e32 v3, v5, v95
	v_add_f32_e32 v2, v6, v2
	v_fma_f32 v3, v4, v106, -v3
	v_add_f32_e32 v2, v2, v3
	v_mul_f32_e32 v3, v23, v107
	v_fma_f32 v3, v22, v105, -v3
	v_add_f32_e32 v2, v2, v3
	v_mul_f32_e32 v3, v25, v108
	;; [unrolled: 3-line block ×20, first 2 shown]
	v_fma_f32 v3, v60, v206, -v3
	v_add_f32_e32 v2, v2, v3
	s_waitcnt vmcnt(22) lgkmcnt(1)
	v_mul_f32_e32 v3, v63, v209
	v_fma_f32 v3, v62, v208, -v3
	v_add_f32_e32 v2, v2, v3
	s_waitcnt vmcnt(20)
	v_mul_f32_e32 v3, v65, v211
	v_mul_f32_e32 v73, v62, v209
	v_fma_f32 v3, v64, v210, -v3
	v_fmac_f32_e32 v73, v63, v208
	v_add_f32_e32 v70, v2, v3
	s_waitcnt vmcnt(18) lgkmcnt(0)
	v_mul_f32_e32 v2, v67, v213
	v_add_f32_e32 v71, v71, v73
	v_mul_f32_e32 v73, v64, v211
	v_fma_f32 v72, v66, v212, -v2
	s_waitcnt vmcnt(16)
	v_mul_f32_e32 v2, v69, v215
	v_fmac_f32_e32 v73, v65, v210
	v_fma_f32 v80, v68, v214, -v2
	ds_read_b128 v[2:5], v20 offset:800
	ds_read_b128 v[6:9], v20 offset:816
	;; [unrolled: 1-line block ×4, first 2 shown]
	v_add_f32_e32 v71, v71, v73
	v_mul_f32_e32 v73, v66, v213
	s_waitcnt vmcnt(11)
	v_mov_b32_e32 v22, v79
	v_fmac_f32_e32 v73, v67, v212
	v_mul_f32_e32 v81, v68, v215
	s_waitcnt lgkmcnt(3)
	v_pk_mul_f32 v[22:23], v[2:3], v[22:23] op_sel_hi:[1,0]
	v_fmac_f32_e32 v81, v69, v214
	v_pk_add_f32 v[20:21], v[70:71], v[72:73]
	s_waitcnt vmcnt(10)
	v_pk_fma_f32 v[24:25], v[2:3], v[78:79], v[22:23] op_sel:[0,0,1] op_sel_hi:[1,1,0] neg_lo:[0,0,1] neg_hi:[0,0,1]
	v_pk_fma_f32 v[2:3], v[2:3], v[78:79], v[22:23] op_sel:[0,0,1] op_sel_hi:[1,0,0]
	v_pk_add_f32 v[20:21], v[20:21], v[80:81]
	v_mov_b32_e32 v25, v3
	v_pk_add_f32 v[2:3], v[20:21], v[24:25]
	v_mov_b32_e32 v20, v77
	v_pk_mul_f32 v[20:21], v[4:5], v[20:21] op_sel_hi:[1,0]
	v_pk_fma_f32 v[22:23], v[4:5], v[76:77], v[20:21] op_sel:[0,0,1] op_sel_hi:[1,1,0] neg_lo:[0,0,1] neg_hi:[0,0,1]
	v_pk_fma_f32 v[4:5], v[4:5], v[76:77], v[20:21] op_sel:[0,0,1] op_sel_hi:[1,0,0]
	v_mov_b32_e32 v4, v75
	v_mov_b32_e32 v23, v5
	s_waitcnt lgkmcnt(2)
	v_pk_mul_f32 v[4:5], v[6:7], v[4:5] op_sel_hi:[1,0]
	v_pk_fma_f32 v[20:21], v[6:7], v[74:75], v[4:5] op_sel:[0,0,1] op_sel_hi:[1,1,0] neg_lo:[0,0,1] neg_hi:[0,0,1]
	v_pk_fma_f32 v[4:5], v[6:7], v[74:75], v[4:5] op_sel:[0,0,1] op_sel_hi:[1,0,0]
	s_waitcnt vmcnt(3)
	v_mov_b32_e32 v4, v89
	v_mov_b32_e32 v21, v5
	v_pk_mul_f32 v[4:5], v[8:9], v[4:5] op_sel_hi:[1,0]
	s_waitcnt vmcnt(2)
	v_pk_fma_f32 v[6:7], v[8:9], v[88:89], v[4:5] op_sel:[0,0,1] op_sel_hi:[1,1,0] neg_lo:[0,0,1] neg_hi:[0,0,1]
	v_pk_fma_f32 v[4:5], v[8:9], v[88:89], v[4:5] op_sel:[0,0,1] op_sel_hi:[1,0,0]
	v_pk_add_f32 v[2:3], v[2:3], v[22:23]
	v_mov_b32_e32 v4, v87
	v_pk_add_f32 v[2:3], v[2:3], v[20:21]
	v_mov_b32_e32 v7, v5
	s_waitcnt lgkmcnt(1)
	v_pk_mul_f32 v[4:5], v[10:11], v[4:5] op_sel_hi:[1,0]
	v_pk_add_f32 v[2:3], v[2:3], v[6:7]
	v_pk_fma_f32 v[6:7], v[10:11], v[86:87], v[4:5] op_sel:[0,0,1] op_sel_hi:[1,1,0] neg_lo:[0,0,1] neg_hi:[0,0,1]
	v_pk_fma_f32 v[4:5], v[10:11], v[86:87], v[4:5] op_sel:[0,0,1] op_sel_hi:[1,0,0]
	v_mov_b32_e32 v4, v85
	v_mov_b32_e32 v7, v5
	v_pk_mul_f32 v[4:5], v[12:13], v[4:5] op_sel_hi:[1,0]
	v_pk_add_f32 v[2:3], v[2:3], v[6:7]
	v_pk_fma_f32 v[6:7], v[12:13], v[84:85], v[4:5] op_sel:[0,0,1] op_sel_hi:[1,1,0] neg_lo:[0,0,1] neg_hi:[0,0,1]
	v_pk_fma_f32 v[4:5], v[12:13], v[84:85], v[4:5] op_sel:[0,0,1] op_sel_hi:[1,0,0]
	v_mov_b32_e32 v4, v83
	v_mov_b32_e32 v7, v5
	s_waitcnt lgkmcnt(0)
	v_pk_mul_f32 v[4:5], v[14:15], v[4:5] op_sel_hi:[1,0]
	v_pk_add_f32 v[2:3], v[2:3], v[6:7]
	v_pk_fma_f32 v[6:7], v[14:15], v[82:83], v[4:5] op_sel:[0,0,1] op_sel_hi:[1,1,0] neg_lo:[0,0,1] neg_hi:[0,0,1]
	v_pk_fma_f32 v[4:5], v[14:15], v[82:83], v[4:5] op_sel:[0,0,1] op_sel_hi:[1,0,0]
	s_waitcnt vmcnt(1)
	v_mov_b32_e32 v4, v91
	v_mov_b32_e32 v7, v5
	v_pk_mul_f32 v[4:5], v[16:17], v[4:5] op_sel_hi:[1,0]
	v_pk_add_f32 v[2:3], v[2:3], v[6:7]
	s_waitcnt vmcnt(0)
	v_pk_fma_f32 v[6:7], v[16:17], v[90:91], v[4:5] op_sel:[0,0,1] op_sel_hi:[1,1,0] neg_lo:[0,0,1] neg_hi:[0,0,1]
	v_pk_fma_f32 v[4:5], v[16:17], v[90:91], v[4:5] op_sel:[0,0,1] op_sel_hi:[1,0,0]
	v_mov_b32_e32 v7, v5
	v_pk_add_f32 v[2:3], v[2:3], v[6:7]
	v_pk_add_f32 v[2:3], v[18:19], v[2:3] neg_lo:[0,1] neg_hi:[0,1]
	buffer_store_dword v3, off, s[0:3], 0 offset:108
	buffer_store_dword v2, off, s[0:3], 0 offset:104
	s_and_saveexec_b64 s[4:5], vcc
	s_cbranch_execz .LBB53_313
; %bb.312:
	buffer_load_dword v2, off, s[0:3], 0 offset:96
	buffer_load_dword v3, off, s[0:3], 0 offset:100
	v_mov_b32_e32 v4, 0
	buffer_store_dword v4, off, s[0:3], 0 offset:96
	buffer_store_dword v4, off, s[0:3], 0 offset:100
	s_waitcnt vmcnt(2)
	ds_write_b64 v143, v[2:3]
.LBB53_313:
	s_or_b64 exec, exec, s[4:5]
	v_mov_b32_e32 v202, 0
	s_waitcnt lgkmcnt(0)
	; wave barrier
	s_waitcnt lgkmcnt(0)
	ds_read2_b64 v[2:5], v202 offset0:67 offset1:68
	buffer_load_dword v70, off, s[0:3], 0 offset:96
	buffer_load_dword v71, off, s[0:3], 0 offset:100
	;; [unrolled: 1-line block ×16, first 2 shown]
	v_cmp_lt_u32_e32 vcc, 11, v0
	s_waitcnt vmcnt(12) lgkmcnt(0)
	v_mul_f32_e32 v6, v2, v92
	v_fmac_f32_e32 v6, v3, v72
	s_waitcnt vmcnt(10)
	v_mul_f32_e32 v7, v4, v94
	v_add_f32_e32 v6, 0, v6
	v_fmac_f32_e32 v7, v5, v74
	v_add_f32_e32 v10, v6, v7
	ds_read2_b64 v[6:9], v202 offset0:69 offset1:70
	v_mul_f32_e32 v3, v3, v92
	v_fma_f32 v2, v2, v72, -v3
	v_mul_f32_e32 v3, v5, v94
	v_add_f32_e32 v2, 0, v2
	s_waitcnt vmcnt(8) lgkmcnt(0)
	v_mul_f32_e32 v11, v6, v96
	v_fmac_f32_e32 v11, v7, v78
	v_add_f32_e32 v10, v10, v11
	s_waitcnt vmcnt(6)
	v_mul_f32_e32 v11, v8, v98
	v_fmac_f32_e32 v11, v9, v93
	v_add_f32_e32 v14, v10, v11
	ds_read2_b64 v[10:13], v202 offset0:71 offset1:72
	v_fma_f32 v3, v4, v74, -v3
	v_add_f32_e32 v2, v2, v3
	v_mul_f32_e32 v3, v7, v96
	v_fma_f32 v3, v6, v78, -v3
	s_waitcnt vmcnt(4) lgkmcnt(0)
	v_mul_f32_e32 v15, v10, v100
	v_fmac_f32_e32 v15, v11, v95
	v_add_f32_e32 v14, v14, v15
	s_waitcnt vmcnt(2)
	v_mul_f32_e32 v15, v12, v101
	v_fmac_f32_e32 v15, v13, v97
	v_add_f32_e32 v18, v14, v15
	ds_read2_b64 v[14:17], v202 offset0:73 offset1:74
	buffer_load_dword v103, off, s[0:3], 0 offset:160
	buffer_load_dword v104, off, s[0:3], 0 offset:164
	v_add_f32_e32 v2, v2, v3
	v_mul_f32_e32 v3, v9, v98
	v_fma_f32 v3, v8, v93, -v3
	s_waitcnt vmcnt(2) lgkmcnt(0)
	v_mul_f32_e32 v19, v14, v102
	v_fmac_f32_e32 v19, v15, v99
	v_add_f32_e32 v18, v18, v19
	v_add_f32_e32 v2, v2, v3
	v_mul_f32_e32 v3, v11, v100
	v_fma_f32 v3, v10, v95, -v3
	v_add_f32_e32 v2, v2, v3
	v_mul_f32_e32 v3, v13, v101
	v_fma_f32 v3, v12, v97, -v3
	;; [unrolled: 3-line block ×3, first 2 shown]
	v_add_f32_e32 v2, v2, v3
	s_waitcnt vmcnt(0)
	v_mul_f32_e32 v19, v16, v104
	v_fmac_f32_e32 v19, v17, v103
	v_add_f32_e32 v22, v18, v19
	ds_read2_b64 v[18:21], v202 offset0:75 offset1:76
	buffer_load_dword v105, off, s[0:3], 0 offset:168
	buffer_load_dword v203, off, s[0:3], 0 offset:172
	buffer_load_dword v204, off, s[0:3], 0 offset:176
	buffer_load_dword v106, off, s[0:3], 0 offset:180
	ds_read2_b64 v[26:29], v202 offset0:77 offset1:78
	buffer_load_dword v107, off, s[0:3], 0 offset:184
	buffer_load_dword v108, off, s[0:3], 0 offset:188
	buffer_load_dword v109, off, s[0:3], 0 offset:192
	buffer_load_dword v110, off, s[0:3], 0 offset:196
	;; [unrolled: 5-line block ×12, first 2 shown]
	v_mul_f32_e32 v3, v17, v104
	v_fma_f32 v3, v16, v103, -v3
	v_add_f32_e32 v2, v2, v3
	s_waitcnt vmcnt(46) lgkmcnt(11)
	v_mul_f32_e32 v23, v18, v203
	v_fmac_f32_e32 v23, v19, v105
	v_add_f32_e32 v22, v22, v23
	s_waitcnt vmcnt(44)
	v_mul_f32_e32 v23, v20, v106
	v_fmac_f32_e32 v23, v21, v204
	v_add_f32_e32 v22, v22, v23
	s_waitcnt vmcnt(42) lgkmcnt(10)
	v_mul_f32_e32 v23, v26, v108
	v_fmac_f32_e32 v23, v27, v107
	v_add_f32_e32 v22, v22, v23
	s_waitcnt vmcnt(40)
	v_mul_f32_e32 v23, v28, v110
	v_fmac_f32_e32 v23, v29, v109
	v_add_f32_e32 v22, v22, v23
	s_waitcnt vmcnt(38) lgkmcnt(9)
	v_mul_f32_e32 v23, v30, v112
	v_fmac_f32_e32 v23, v31, v111
	v_add_f32_e32 v22, v22, v23
	s_waitcnt vmcnt(36)
	v_mul_f32_e32 v23, v32, v205
	v_fmac_f32_e32 v23, v33, v113
	v_add_f32_e32 v22, v22, v23
	s_waitcnt vmcnt(34) lgkmcnt(8)
	v_mul_f32_e32 v23, v34, v115
	v_fmac_f32_e32 v23, v35, v114
	v_add_f32_e32 v22, v22, v23
	s_waitcnt vmcnt(32)
	v_mul_f32_e32 v23, v36, v117
	v_fmac_f32_e32 v23, v37, v116
	v_add_f32_e32 v22, v22, v23
	s_waitcnt vmcnt(30) lgkmcnt(7)
	v_mul_f32_e32 v23, v38, v118
	v_fmac_f32_e32 v23, v39, v206
	v_add_f32_e32 v22, v22, v23
	s_waitcnt vmcnt(28)
	v_mul_f32_e32 v23, v40, v207
	v_fmac_f32_e32 v23, v41, v119
	v_add_f32_e32 v22, v22, v23
	s_waitcnt vmcnt(26) lgkmcnt(6)
	v_mul_f32_e32 v23, v42, v121
	v_fmac_f32_e32 v23, v43, v120
	v_add_f32_e32 v22, v22, v23
	s_waitcnt vmcnt(24)
	v_mul_f32_e32 v23, v44, v209
	v_fmac_f32_e32 v23, v45, v208
	v_add_f32_e32 v22, v22, v23
	s_waitcnt vmcnt(22) lgkmcnt(5)
	v_mul_f32_e32 v23, v46, v123
	v_fmac_f32_e32 v23, v47, v122
	v_add_f32_e32 v22, v22, v23
	s_waitcnt vmcnt(20)
	v_mul_f32_e32 v23, v48, v125
	v_fmac_f32_e32 v23, v49, v124
	v_add_f32_e32 v22, v22, v23
	s_waitcnt vmcnt(18) lgkmcnt(4)
	v_mul_f32_e32 v23, v50, v127
	v_fmac_f32_e32 v23, v51, v126
	v_add_f32_e32 v22, v22, v23
	s_waitcnt vmcnt(16)
	v_mul_f32_e32 v23, v52, v211
	v_fmac_f32_e32 v23, v53, v210
	v_add_f32_e32 v22, v22, v23
	s_waitcnt vmcnt(14) lgkmcnt(3)
	v_mul_f32_e32 v23, v54, v129
	v_fmac_f32_e32 v23, v55, v128
	v_add_f32_e32 v22, v22, v23
	s_waitcnt vmcnt(12)
	v_mul_f32_e32 v23, v56, v130
	v_fmac_f32_e32 v23, v57, v212
	v_add_f32_e32 v22, v22, v23
	s_waitcnt vmcnt(10) lgkmcnt(2)
	v_mul_f32_e32 v23, v58, v213
	v_fmac_f32_e32 v23, v59, v131
	v_add_f32_e32 v22, v22, v23
	s_waitcnt vmcnt(8)
	v_mul_f32_e32 v23, v60, v133
	v_fmac_f32_e32 v23, v61, v132
	v_add_f32_e32 v22, v22, v23
	s_waitcnt vmcnt(6) lgkmcnt(1)
	v_mul_f32_e32 v23, v62, v135
	v_fmac_f32_e32 v23, v63, v134
	v_add_f32_e32 v22, v22, v23
	s_waitcnt vmcnt(4)
	v_mul_f32_e32 v23, v64, v215
	v_fmac_f32_e32 v23, v65, v214
	v_add_f32_e32 v22, v22, v23
	s_waitcnt vmcnt(2) lgkmcnt(0)
	v_mul_f32_e32 v23, v66, v217
	v_fmac_f32_e32 v23, v67, v216
	v_add_f32_e32 v73, v22, v23
	ds_read2_b64 v[22:25], v202 offset0:99 offset1:100
	buffer_load_dword v220, off, s[0:3], 0 offset:360
	buffer_load_dword v221, off, s[0:3], 0 offset:364
	;; [unrolled: 1-line block ×18, first 2 shown]
	v_mul_f32_e32 v3, v19, v203
	v_fma_f32 v3, v18, v105, -v3
	v_add_f32_e32 v2, v2, v3
	v_mul_f32_e32 v3, v21, v106
	v_fma_f32 v3, v20, v204, -v3
	v_add_f32_e32 v2, v2, v3
	;; [unrolled: 3-line block ×23, first 2 shown]
	s_waitcnt vmcnt(18)
	v_mul_f32_e32 v2, v69, v219
	s_waitcnt vmcnt(15)
	v_mov_b32_e32 v18, v77
	v_mul_f32_e32 v75, v68, v219
	v_fma_f32 v74, v68, v218, -v2
	s_waitcnt lgkmcnt(0)
	v_pk_mul_f32 v[18:19], v[24:25], v[18:19] op_sel_hi:[1,0]
	v_fmac_f32_e32 v75, v69, v218
	s_waitcnt vmcnt(14)
	v_pk_fma_f32 v[20:21], v[24:25], v[76:77], v[18:19] op_sel:[0,0,1] op_sel_hi:[1,1,0] neg_lo:[0,0,1] neg_hi:[0,0,1]
	v_pk_fma_f32 v[18:19], v[24:25], v[76:77], v[18:19] op_sel:[0,0,1] op_sel_hi:[1,0,0]
	v_pk_add_f32 v[16:17], v[72:73], v[74:75]
	v_mul_f32_e32 v2, v23, v221
	v_mul_f32_e32 v79, v22, v221
	v_fma_f32 v78, v22, v220, -v2
	ds_read2_b64 v[2:5], v202 offset0:101 offset1:102
	ds_read2_b64 v[6:9], v202 offset0:103 offset1:104
	ds_read2_b64 v[10:13], v202 offset0:105 offset1:106
	ds_read_b64 v[14:15], v202 offset:856
	v_fmac_f32_e32 v79, v23, v220
	s_waitcnt vmcnt(13)
	v_mov_b32_e32 v18, v201
	v_pk_add_f32 v[16:17], v[16:17], v[78:79]
	v_mov_b32_e32 v21, v19
	s_waitcnt lgkmcnt(3)
	v_pk_mul_f32 v[18:19], v[2:3], v[18:19] op_sel_hi:[1,0]
	v_pk_add_f32 v[16:17], v[16:17], v[20:21]
	s_waitcnt vmcnt(12)
	v_pk_fma_f32 v[20:21], v[2:3], v[200:201], v[18:19] op_sel:[0,0,1] op_sel_hi:[1,1,0] neg_lo:[0,0,1] neg_hi:[0,0,1]
	v_pk_fma_f32 v[2:3], v[2:3], v[200:201], v[18:19] op_sel:[0,0,1] op_sel_hi:[1,0,0]
	v_mov_b32_e32 v21, v3
	v_pk_add_f32 v[2:3], v[16:17], v[20:21]
	s_waitcnt vmcnt(11)
	v_mov_b32_e32 v16, v91
	v_pk_mul_f32 v[16:17], v[4:5], v[16:17] op_sel_hi:[1,0]
	s_waitcnt vmcnt(10)
	v_pk_fma_f32 v[18:19], v[4:5], v[90:91], v[16:17] op_sel:[0,0,1] op_sel_hi:[1,1,0] neg_lo:[0,0,1] neg_hi:[0,0,1]
	v_pk_fma_f32 v[4:5], v[4:5], v[90:91], v[16:17] op_sel:[0,0,1] op_sel_hi:[1,0,0]
	s_waitcnt vmcnt(9)
	v_mov_b32_e32 v4, v89
	v_mov_b32_e32 v19, v5
	s_waitcnt lgkmcnt(2)
	v_pk_mul_f32 v[4:5], v[6:7], v[4:5] op_sel_hi:[1,0]
	s_waitcnt vmcnt(8)
	v_pk_fma_f32 v[16:17], v[6:7], v[88:89], v[4:5] op_sel:[0,0,1] op_sel_hi:[1,1,0] neg_lo:[0,0,1] neg_hi:[0,0,1]
	v_pk_fma_f32 v[4:5], v[6:7], v[88:89], v[4:5] op_sel:[0,0,1] op_sel_hi:[1,0,0]
	s_waitcnt vmcnt(7)
	v_mov_b32_e32 v4, v87
	v_mov_b32_e32 v17, v5
	v_pk_mul_f32 v[4:5], v[8:9], v[4:5] op_sel_hi:[1,0]
	s_waitcnt vmcnt(6)
	v_pk_fma_f32 v[6:7], v[8:9], v[86:87], v[4:5] op_sel:[0,0,1] op_sel_hi:[1,1,0] neg_lo:[0,0,1] neg_hi:[0,0,1]
	v_pk_fma_f32 v[4:5], v[8:9], v[86:87], v[4:5] op_sel:[0,0,1] op_sel_hi:[1,0,0]
	v_pk_add_f32 v[2:3], v[2:3], v[18:19]
	s_waitcnt vmcnt(5)
	v_mov_b32_e32 v4, v85
	v_pk_add_f32 v[2:3], v[2:3], v[16:17]
	v_mov_b32_e32 v7, v5
	s_waitcnt lgkmcnt(1)
	v_pk_mul_f32 v[4:5], v[10:11], v[4:5] op_sel_hi:[1,0]
	v_pk_add_f32 v[2:3], v[2:3], v[6:7]
	s_waitcnt vmcnt(4)
	v_pk_fma_f32 v[6:7], v[10:11], v[84:85], v[4:5] op_sel:[0,0,1] op_sel_hi:[1,1,0] neg_lo:[0,0,1] neg_hi:[0,0,1]
	v_pk_fma_f32 v[4:5], v[10:11], v[84:85], v[4:5] op_sel:[0,0,1] op_sel_hi:[1,0,0]
	s_waitcnt vmcnt(3)
	v_mov_b32_e32 v4, v83
	v_mov_b32_e32 v7, v5
	v_pk_mul_f32 v[4:5], v[12:13], v[4:5] op_sel_hi:[1,0]
	v_pk_add_f32 v[2:3], v[2:3], v[6:7]
	s_waitcnt vmcnt(2)
	v_pk_fma_f32 v[6:7], v[12:13], v[82:83], v[4:5] op_sel:[0,0,1] op_sel_hi:[1,1,0] neg_lo:[0,0,1] neg_hi:[0,0,1]
	v_pk_fma_f32 v[4:5], v[12:13], v[82:83], v[4:5] op_sel:[0,0,1] op_sel_hi:[1,0,0]
	s_waitcnt vmcnt(1)
	v_mov_b32_e32 v4, v81
	v_mov_b32_e32 v7, v5
	s_waitcnt lgkmcnt(0)
	v_pk_mul_f32 v[4:5], v[14:15], v[4:5] op_sel_hi:[1,0]
	v_pk_add_f32 v[2:3], v[2:3], v[6:7]
	s_waitcnt vmcnt(0)
	v_pk_fma_f32 v[6:7], v[14:15], v[80:81], v[4:5] op_sel:[0,0,1] op_sel_hi:[1,1,0] neg_lo:[0,0,1] neg_hi:[0,0,1]
	v_pk_fma_f32 v[4:5], v[14:15], v[80:81], v[4:5] op_sel:[0,0,1] op_sel_hi:[1,0,0]
	v_mov_b32_e32 v7, v5
	v_pk_add_f32 v[2:3], v[2:3], v[6:7]
	v_pk_add_f32 v[2:3], v[70:71], v[2:3] neg_lo:[0,1] neg_hi:[0,1]
	buffer_store_dword v3, off, s[0:3], 0 offset:100
	buffer_store_dword v2, off, s[0:3], 0 offset:96
	s_and_saveexec_b64 s[4:5], vcc
	s_cbranch_execz .LBB53_315
; %bb.314:
	buffer_load_dword v2, off, s[0:3], 0 offset:88
	buffer_load_dword v3, off, s[0:3], 0 offset:92
	s_waitcnt vmcnt(0)
	ds_write_b64 v143, v[2:3]
	buffer_store_dword v202, off, s[0:3], 0 offset:88
	buffer_store_dword v202, off, s[0:3], 0 offset:92
.LBB53_315:
	s_or_b64 exec, exec, s[4:5]
	s_waitcnt lgkmcnt(0)
	; wave barrier
	s_waitcnt lgkmcnt(0)
	buffer_load_dword v78, off, s[0:3], 0 offset:100
	buffer_load_dword v80, off, s[0:3], 0 offset:108
	;; [unrolled: 1-line block ×24, first 2 shown]
	ds_read_b128 v[22:25], v202 offset:528
	ds_read_b128 v[18:21], v202 offset:544
	;; [unrolled: 1-line block ×4, first 2 shown]
	buffer_load_dword v117, off, s[0:3], 0 offset:184
	buffer_load_dword v118, off, s[0:3], 0 offset:188
	ds_read_b128 v[10:13], v202 offset:592
	ds_read_b128 v[2:5], v202 offset:608
	buffer_load_dword v119, off, s[0:3], 0 offset:192
	buffer_load_dword v120, off, s[0:3], 0 offset:196
	;; [unrolled: 1-line block ×44, first 2 shown]
	v_cmp_lt_u32_e32 vcc, 10, v0
	s_waitcnt vmcnt(62) lgkmcnt(5)
	v_mul_f32_e32 v28, v22, v78
	v_mul_f32_e32 v29, v24, v80
	s_waitcnt lgkmcnt(4)
	v_mul_f32_e32 v31, v20, v82
	s_waitcnt lgkmcnt(3)
	v_mul_f32_e32 v32, v14, v98
	v_mul_f32_e32 v33, v16, v99
	;; [unrolled: 1-line block ×3, first 2 shown]
	s_waitcnt lgkmcnt(2)
	v_mul_f32_e32 v34, v6, v101
	v_mul_f32_e32 v35, v8, v102
	s_waitcnt vmcnt(61)
	v_fmac_f32_e32 v30, v19, v103
	s_waitcnt vmcnt(60)
	v_fmac_f32_e32 v29, v25, v104
	;; [unrolled: 2-line block ×3, first 2 shown]
	v_add_f32_e32 v28, 0, v28
	v_add_f32_e32 v28, v28, v29
	v_add_f32_e32 v28, v28, v30
	s_waitcnt vmcnt(55)
	v_fmac_f32_e32 v31, v21, v109
	v_fmac_f32_e32 v32, v15, v108
	v_add_f32_e32 v28, v28, v31
	v_fmac_f32_e32 v33, v17, v107
	v_add_f32_e32 v28, v28, v32
	;; [unrolled: 2-line block ×3, first 2 shown]
	s_waitcnt vmcnt(51)
	v_fmac_f32_e32 v35, v9, v113
	v_add_f32_e32 v28, v28, v34
	s_waitcnt vmcnt(50) lgkmcnt(1)
	v_mul_f32_e32 v29, v10, v114
	v_add_f32_e32 v28, v28, v35
	v_fmac_f32_e32 v29, v11, v112
	v_add_f32_e32 v28, v28, v29
	s_waitcnt vmcnt(49)
	v_mul_f32_e32 v29, v12, v115
	v_fmac_f32_e32 v29, v13, v111
	v_add_f32_e32 v28, v28, v29
	s_waitcnt vmcnt(48) lgkmcnt(0)
	v_mul_f32_e32 v29, v2, v116
	v_fmac_f32_e32 v29, v3, v110
	v_add_f32_e32 v32, v28, v29
	ds_read_b128 v[28:31], v202 offset:624
	s_waitcnt vmcnt(44)
	v_mul_f32_e32 v33, v4, v118
	v_fmac_f32_e32 v33, v5, v117
	v_add_f32_e32 v36, v32, v33
	ds_read_b128 v[32:35], v202 offset:640
	s_waitcnt vmcnt(42) lgkmcnt(1)
	v_mul_f32_e32 v37, v28, v120
	v_fmac_f32_e32 v37, v29, v119
	v_add_f32_e32 v36, v36, v37
	s_waitcnt vmcnt(40)
	v_mul_f32_e32 v37, v30, v122
	v_fmac_f32_e32 v37, v31, v121
	v_add_f32_e32 v36, v36, v37
	s_waitcnt vmcnt(38) lgkmcnt(0)
	v_mul_f32_e32 v37, v32, v124
	v_fmac_f32_e32 v37, v33, v123
	v_add_f32_e32 v40, v36, v37
	ds_read_b128 v[36:39], v202 offset:656
	s_waitcnt vmcnt(36)
	v_mul_f32_e32 v41, v34, v126
	v_fmac_f32_e32 v41, v35, v125
	v_add_f32_e32 v44, v40, v41
	ds_read_b128 v[40:43], v202 offset:672
	s_waitcnt vmcnt(34) lgkmcnt(1)
	v_mul_f32_e32 v45, v36, v128
	;; [unrolled: 18-line block ×4, first 2 shown]
	v_fmac_f32_e32 v61, v53, v208
	v_add_f32_e32 v60, v60, v61
	s_waitcnt vmcnt(16)
	v_mul_f32_e32 v61, v54, v211
	v_fmac_f32_e32 v61, v55, v210
	v_add_f32_e32 v60, v60, v61
	s_waitcnt vmcnt(14) lgkmcnt(0)
	v_mul_f32_e32 v61, v56, v213
	v_fmac_f32_e32 v61, v57, v212
	v_add_f32_e32 v64, v60, v61
	ds_read_b128 v[60:63], v202 offset:752
	s_waitcnt vmcnt(12)
	v_mul_f32_e32 v65, v58, v215
	v_fmac_f32_e32 v65, v59, v214
	v_add_f32_e32 v68, v64, v65
	ds_read_b128 v[64:67], v202 offset:768
	buffer_load_dword v77, off, s[0:3], 0 offset:372
	buffer_load_dword v76, off, s[0:3], 0 offset:368
	s_waitcnt vmcnt(12) lgkmcnt(1)
	v_mul_f32_e32 v69, v60, v217
	v_fmac_f32_e32 v69, v61, v216
	v_add_f32_e32 v68, v68, v69
	s_waitcnt vmcnt(10)
	v_mul_f32_e32 v69, v62, v219
	v_fmac_f32_e32 v69, v63, v218
	v_add_f32_e32 v68, v68, v69
	s_waitcnt vmcnt(8) lgkmcnt(0)
	v_mul_f32_e32 v69, v64, v221
	v_fmac_f32_e32 v69, v65, v220
	s_waitcnt vmcnt(6)
	v_mul_f32_e32 v73, v66, v223
	v_add_f32_e32 v72, v68, v69
	v_fmac_f32_e32 v73, v67, v222
	ds_read_b128 v[68:71], v202 offset:784
	v_add_f32_e32 v79, v72, v73
	ds_read_b128 v[72:75], v202 offset:800
	buffer_load_dword v85, off, s[0:3], 0 offset:404
	buffer_load_dword v84, off, s[0:3], 0 offset:400
	;; [unrolled: 1-line block ×14, first 2 shown]
	v_mul_f32_e32 v23, v23, v78
	v_fma_f32 v22, v22, v105, -v23
	v_mul_f32_e32 v23, v25, v80
	v_add_f32_e32 v22, 0, v22
	v_fma_f32 v23, v24, v104, -v23
	v_mul_f32_e32 v19, v19, v100
	v_add_f32_e32 v22, v22, v23
	;; [unrolled: 3-line block ×7, first 2 shown]
	v_fma_f32 v7, v8, v113, -v7
	v_add_f32_e32 v6, v6, v7
	v_mul_f32_e32 v7, v11, v114
	v_fma_f32 v7, v10, v112, -v7
	v_add_f32_e32 v6, v6, v7
	v_mul_f32_e32 v7, v13, v115
	v_fma_f32 v7, v12, v111, -v7
	v_mul_f32_e32 v3, v3, v116
	v_add_f32_e32 v6, v6, v7
	v_fma_f32 v2, v2, v110, -v3
	v_mul_f32_e32 v3, v5, v118
	v_add_f32_e32 v2, v6, v2
	v_fma_f32 v3, v4, v117, -v3
	v_add_f32_e32 v2, v2, v3
	v_mul_f32_e32 v3, v29, v120
	v_fma_f32 v3, v28, v119, -v3
	v_add_f32_e32 v2, v2, v3
	v_mul_f32_e32 v3, v31, v122
	;; [unrolled: 3-line block ×20, first 2 shown]
	v_fma_f32 v3, v66, v222, -v3
	s_waitcnt vmcnt(15)
	v_mov_b32_e32 v16, v77
	s_waitcnt lgkmcnt(1)
	v_mul_f32_e32 v81, v68, v225
	v_add_f32_e32 v78, v2, v3
	v_mul_f32_e32 v2, v69, v225
	s_waitcnt lgkmcnt(0)
	v_pk_mul_f32 v[16:17], v[72:73], v[16:17] op_sel_hi:[1,0]
	v_fmac_f32_e32 v81, v69, v224
	v_mul_f32_e32 v83, v70, v227
	v_fma_f32 v80, v68, v224, -v2
	v_mul_f32_e32 v2, v71, v227
	s_waitcnt vmcnt(14)
	v_pk_fma_f32 v[18:19], v[72:73], v[76:77], v[16:17] op_sel:[0,0,1] op_sel_hi:[1,1,0] neg_lo:[0,0,1] neg_hi:[0,0,1]
	v_pk_fma_f32 v[16:17], v[72:73], v[76:77], v[16:17] op_sel:[0,0,1] op_sel_hi:[1,0,0]
	v_fmac_f32_e32 v83, v71, v226
	v_fma_f32 v82, v70, v226, -v2
	v_pk_add_f32 v[14:15], v[78:79], v[80:81]
	s_waitcnt vmcnt(7)
	v_mov_b32_e32 v16, v91
	ds_read_b128 v[2:5], v202 offset:816
	ds_read_b128 v[6:9], v202 offset:832
	;; [unrolled: 1-line block ×3, first 2 shown]
	v_pk_add_f32 v[14:15], v[14:15], v[82:83]
	v_mov_b32_e32 v19, v17
	v_pk_mul_f32 v[16:17], v[74:75], v[16:17] op_sel_hi:[1,0]
	v_pk_add_f32 v[14:15], v[14:15], v[18:19]
	s_waitcnt vmcnt(6)
	v_pk_fma_f32 v[18:19], v[74:75], v[90:91], v[16:17] op_sel:[0,0,1] op_sel_hi:[1,1,0] neg_lo:[0,0,1] neg_hi:[0,0,1]
	v_pk_fma_f32 v[16:17], v[74:75], v[90:91], v[16:17] op_sel:[0,0,1] op_sel_hi:[1,0,0]
	v_mov_b32_e32 v16, v89
	v_mov_b32_e32 v19, v17
	s_waitcnt lgkmcnt(2)
	v_pk_mul_f32 v[16:17], v[2:3], v[16:17] op_sel_hi:[1,0]
	v_pk_add_f32 v[14:15], v[14:15], v[18:19]
	v_pk_fma_f32 v[18:19], v[2:3], v[88:89], v[16:17] op_sel:[0,0,1] op_sel_hi:[1,1,0] neg_lo:[0,0,1] neg_hi:[0,0,1]
	v_pk_fma_f32 v[2:3], v[2:3], v[88:89], v[16:17] op_sel:[0,0,1] op_sel_hi:[1,0,0]
	v_mov_b32_e32 v19, v3
	v_pk_add_f32 v[2:3], v[14:15], v[18:19]
	v_mov_b32_e32 v14, v87
	v_pk_mul_f32 v[14:15], v[4:5], v[14:15] op_sel_hi:[1,0]
	v_pk_fma_f32 v[16:17], v[4:5], v[86:87], v[14:15] op_sel:[0,0,1] op_sel_hi:[1,1,0] neg_lo:[0,0,1] neg_hi:[0,0,1]
	v_pk_fma_f32 v[4:5], v[4:5], v[86:87], v[14:15] op_sel:[0,0,1] op_sel_hi:[1,0,0]
	v_mov_b32_e32 v4, v85
	v_mov_b32_e32 v17, v5
	s_waitcnt lgkmcnt(1)
	v_pk_mul_f32 v[4:5], v[6:7], v[4:5] op_sel_hi:[1,0]
	v_pk_fma_f32 v[14:15], v[6:7], v[84:85], v[4:5] op_sel:[0,0,1] op_sel_hi:[1,1,0] neg_lo:[0,0,1] neg_hi:[0,0,1]
	v_pk_fma_f32 v[4:5], v[6:7], v[84:85], v[4:5] op_sel:[0,0,1] op_sel_hi:[1,0,0]
	s_waitcnt vmcnt(1)
	v_mov_b32_e32 v4, v97
	v_mov_b32_e32 v15, v5
	v_pk_mul_f32 v[4:5], v[8:9], v[4:5] op_sel_hi:[1,0]
	s_waitcnt vmcnt(0)
	v_pk_fma_f32 v[6:7], v[8:9], v[96:97], v[4:5] op_sel:[0,0,1] op_sel_hi:[1,1,0] neg_lo:[0,0,1] neg_hi:[0,0,1]
	v_pk_fma_f32 v[4:5], v[8:9], v[96:97], v[4:5] op_sel:[0,0,1] op_sel_hi:[1,0,0]
	v_pk_add_f32 v[2:3], v[2:3], v[16:17]
	v_mov_b32_e32 v4, v95
	v_pk_add_f32 v[2:3], v[2:3], v[14:15]
	v_mov_b32_e32 v7, v5
	s_waitcnt lgkmcnt(0)
	v_pk_mul_f32 v[4:5], v[10:11], v[4:5] op_sel_hi:[1,0]
	v_pk_add_f32 v[2:3], v[2:3], v[6:7]
	v_pk_fma_f32 v[6:7], v[10:11], v[94:95], v[4:5] op_sel:[0,0,1] op_sel_hi:[1,1,0] neg_lo:[0,0,1] neg_hi:[0,0,1]
	v_pk_fma_f32 v[4:5], v[10:11], v[94:95], v[4:5] op_sel:[0,0,1] op_sel_hi:[1,0,0]
	v_mov_b32_e32 v4, v93
	v_mov_b32_e32 v7, v5
	v_pk_mul_f32 v[4:5], v[12:13], v[4:5] op_sel_hi:[1,0]
	v_pk_add_f32 v[2:3], v[2:3], v[6:7]
	v_pk_fma_f32 v[6:7], v[12:13], v[92:93], v[4:5] op_sel:[0,0,1] op_sel_hi:[1,1,0] neg_lo:[0,0,1] neg_hi:[0,0,1]
	v_pk_fma_f32 v[4:5], v[12:13], v[92:93], v[4:5] op_sel:[0,0,1] op_sel_hi:[1,0,0]
	v_mov_b32_e32 v7, v5
	v_pk_add_f32 v[2:3], v[2:3], v[6:7]
	v_pk_add_f32 v[2:3], v[26:27], v[2:3] neg_lo:[0,1] neg_hi:[0,1]
	buffer_store_dword v3, off, s[0:3], 0 offset:92
	buffer_store_dword v2, off, s[0:3], 0 offset:88
	s_and_saveexec_b64 s[4:5], vcc
	s_cbranch_execz .LBB53_317
; %bb.316:
	buffer_load_dword v2, off, s[0:3], 0 offset:80
	buffer_load_dword v3, off, s[0:3], 0 offset:84
	v_mov_b32_e32 v4, 0
	buffer_store_dword v4, off, s[0:3], 0 offset:80
	buffer_store_dword v4, off, s[0:3], 0 offset:84
	s_waitcnt vmcnt(2)
	ds_write_b64 v143, v[2:3]
.LBB53_317:
	s_or_b64 exec, exec, s[4:5]
	s_waitcnt lgkmcnt(0)
	; wave barrier
	s_waitcnt lgkmcnt(0)
	buffer_load_dword v29, off, s[0:3], 0 offset:92
	buffer_load_dword v78, off, s[0:3], 0 offset:100
	;; [unrolled: 1-line block ×56, first 2 shown]
	v_mov_b32_e32 v28, 0
	ds_read2_b64 v[4:7], v28 offset0:65 offset1:66
	ds_read2_b64 v[8:11], v28 offset0:67 offset1:68
	;; [unrolled: 1-line block ×6, first 2 shown]
	buffer_load_dword v214, off, s[0:3], 0 offset:304
	buffer_load_dword v215, off, s[0:3], 0 offset:308
	;; [unrolled: 1-line block ×16, first 2 shown]
	v_cmp_lt_u32_e32 vcc, 9, v0
	s_waitcnt vmcnt(62) lgkmcnt(5)
	v_mul_f32_e32 v30, v4, v29
	v_mul_f32_e32 v31, v6, v78
	s_waitcnt lgkmcnt(4)
	v_mul_f32_e32 v33, v10, v80
	s_waitcnt lgkmcnt(3)
	v_mul_f32_e32 v34, v12, v82
	v_mul_f32_e32 v35, v14, v100
	;; [unrolled: 1-line block ×3, first 2 shown]
	s_waitcnt lgkmcnt(2)
	v_mul_f32_e32 v36, v16, v102
	v_mul_f32_e32 v37, v18, v103
	s_waitcnt lgkmcnt(1)
	v_mul_f32_e32 v38, v20, v104
	v_fmac_f32_e32 v32, v9, v105
	s_waitcnt vmcnt(61)
	v_fmac_f32_e32 v31, v7, v106
	s_waitcnt vmcnt(60)
	v_fmac_f32_e32 v30, v5, v107
	v_add_f32_e32 v30, 0, v30
	v_add_f32_e32 v30, v30, v31
	;; [unrolled: 1-line block ×3, first 2 shown]
	s_waitcnt vmcnt(56)
	v_fmac_f32_e32 v33, v11, v111
	v_fmac_f32_e32 v34, v13, v110
	v_add_f32_e32 v30, v30, v33
	v_fmac_f32_e32 v35, v15, v109
	v_add_f32_e32 v30, v30, v34
	;; [unrolled: 2-line block ×3, first 2 shown]
	s_waitcnt vmcnt(52)
	v_fmac_f32_e32 v37, v19, v115
	v_add_f32_e32 v30, v30, v36
	v_add_f32_e32 v30, v30, v37
	v_fmac_f32_e32 v38, v21, v114
	s_waitcnt vmcnt(51)
	v_mul_f32_e32 v31, v22, v116
	v_add_f32_e32 v30, v30, v38
	v_fmac_f32_e32 v31, v23, v113
	v_add_f32_e32 v30, v30, v31
	s_waitcnt vmcnt(50) lgkmcnt(0)
	v_mul_f32_e32 v31, v24, v117
	v_fmac_f32_e32 v31, v25, v112
	v_add_f32_e32 v34, v30, v31
	ds_read2_b64 v[30:33], v28 offset0:77 offset1:78
	s_waitcnt vmcnt(46)
	v_mul_f32_e32 v35, v26, v119
	v_fmac_f32_e32 v35, v27, v118
	v_add_f32_e32 v38, v34, v35
	ds_read2_b64 v[34:37], v28 offset0:79 offset1:80
	s_waitcnt vmcnt(44) lgkmcnt(1)
	v_mul_f32_e32 v39, v30, v121
	v_fmac_f32_e32 v39, v31, v120
	v_add_f32_e32 v38, v38, v39
	s_waitcnt vmcnt(42)
	v_mul_f32_e32 v39, v32, v123
	v_fmac_f32_e32 v39, v33, v122
	v_add_f32_e32 v38, v38, v39
	s_waitcnt vmcnt(40) lgkmcnt(0)
	v_mul_f32_e32 v39, v34, v125
	v_fmac_f32_e32 v39, v35, v124
	v_add_f32_e32 v42, v38, v39
	ds_read2_b64 v[38:41], v28 offset0:81 offset1:82
	s_waitcnt vmcnt(38)
	v_mul_f32_e32 v43, v36, v127
	v_fmac_f32_e32 v43, v37, v126
	v_add_f32_e32 v46, v42, v43
	ds_read2_b64 v[42:45], v28 offset0:83 offset1:84
	s_waitcnt vmcnt(36) lgkmcnt(1)
	v_mul_f32_e32 v47, v38, v129
	v_fmac_f32_e32 v47, v39, v128
	v_add_f32_e32 v46, v46, v47
	s_waitcnt vmcnt(34)
	v_mul_f32_e32 v47, v40, v131
	;; [unrolled: 18-line block ×5, first 2 shown]
	v_fmac_f32_e32 v71, v65, v218
	v_add_f32_e32 v70, v70, v71
	s_waitcnt vmcnt(8) lgkmcnt(0)
	v_mul_f32_e32 v71, v66, v221
	v_fmac_f32_e32 v71, v67, v220
	s_waitcnt vmcnt(6)
	v_mul_f32_e32 v75, v68, v223
	v_add_f32_e32 v74, v70, v71
	v_fmac_f32_e32 v75, v69, v222
	ds_read2_b64 v[70:73], v28 offset0:97 offset1:98
	v_add_f32_e32 v79, v74, v75
	ds_read2_b64 v[74:77], v28 offset0:99 offset1:100
	buffer_load_dword v85, off, s[0:3], 0 offset:396
	buffer_load_dword v84, off, s[0:3], 0 offset:392
	;; [unrolled: 1-line block ×16, first 2 shown]
	v_mul_f32_e32 v5, v5, v29
	v_fma_f32 v4, v4, v107, -v5
	v_mul_f32_e32 v5, v7, v78
	v_add_f32_e32 v4, 0, v4
	v_fma_f32 v5, v6, v106, -v5
	v_add_f32_e32 v4, v4, v5
	v_mul_f32_e32 v5, v9, v101
	v_fma_f32 v5, v8, v105, -v5
	v_add_f32_e32 v4, v4, v5
	v_mul_f32_e32 v5, v11, v80
	;; [unrolled: 3-line block ×30, first 2 shown]
	v_fma_f32 v5, v68, v222, -v5
	v_add_f32_e32 v4, v4, v5
	s_waitcnt vmcnt(20) lgkmcnt(1)
	v_mul_f32_e32 v5, v71, v225
	v_mul_f32_e32 v81, v70, v225
	v_fma_f32 v5, v70, v224, -v5
	v_fmac_f32_e32 v81, v71, v224
	v_add_f32_e32 v78, v4, v5
	s_waitcnt vmcnt(18)
	v_mul_f32_e32 v4, v73, v227
	s_waitcnt vmcnt(9)
	v_mov_b32_e32 v20, v91
	v_add_f32_e32 v79, v79, v81
	v_mul_f32_e32 v81, v72, v227
	v_fma_f32 v80, v72, v226, -v4
	s_waitcnt lgkmcnt(0)
	v_mul_f32_e32 v4, v75, v229
	v_pk_mul_f32 v[20:21], v[76:77], v[20:21] op_sel_hi:[1,0]
	v_fmac_f32_e32 v81, v73, v226
	v_mul_f32_e32 v83, v74, v229
	v_fma_f32 v82, v74, v228, -v4
	ds_read2_b64 v[4:7], v28 offset0:101 offset1:102
	ds_read2_b64 v[8:11], v28 offset0:103 offset1:104
	;; [unrolled: 1-line block ×3, first 2 shown]
	ds_read_b64 v[16:17], v28 offset:856
	s_waitcnt vmcnt(8)
	v_pk_fma_f32 v[22:23], v[76:77], v[90:91], v[20:21] op_sel:[0,0,1] op_sel_hi:[1,1,0] neg_lo:[0,0,1] neg_hi:[0,0,1]
	v_pk_fma_f32 v[20:21], v[76:77], v[90:91], v[20:21] op_sel:[0,0,1] op_sel_hi:[1,0,0]
	v_fmac_f32_e32 v83, v75, v228
	v_pk_add_f32 v[18:19], v[78:79], v[80:81]
	v_mov_b32_e32 v20, v89
	v_pk_add_f32 v[18:19], v[18:19], v[82:83]
	v_mov_b32_e32 v23, v21
	s_waitcnt lgkmcnt(3)
	v_pk_mul_f32 v[20:21], v[4:5], v[20:21] op_sel_hi:[1,0]
	v_pk_add_f32 v[18:19], v[18:19], v[22:23]
	v_pk_fma_f32 v[22:23], v[4:5], v[88:89], v[20:21] op_sel:[0,0,1] op_sel_hi:[1,1,0] neg_lo:[0,0,1] neg_hi:[0,0,1]
	v_pk_fma_f32 v[4:5], v[4:5], v[88:89], v[20:21] op_sel:[0,0,1] op_sel_hi:[1,0,0]
	v_mov_b32_e32 v23, v5
	v_pk_add_f32 v[4:5], v[18:19], v[22:23]
	v_mov_b32_e32 v18, v87
	v_pk_mul_f32 v[18:19], v[6:7], v[18:19] op_sel_hi:[1,0]
	v_pk_fma_f32 v[20:21], v[6:7], v[86:87], v[18:19] op_sel:[0,0,1] op_sel_hi:[1,1,0] neg_lo:[0,0,1] neg_hi:[0,0,1]
	v_pk_fma_f32 v[6:7], v[6:7], v[86:87], v[18:19] op_sel:[0,0,1] op_sel_hi:[1,0,0]
	v_mov_b32_e32 v6, v85
	v_mov_b32_e32 v21, v7
	s_waitcnt lgkmcnt(2)
	v_pk_mul_f32 v[6:7], v[8:9], v[6:7] op_sel_hi:[1,0]
	v_pk_fma_f32 v[18:19], v[8:9], v[84:85], v[6:7] op_sel:[0,0,1] op_sel_hi:[1,1,0] neg_lo:[0,0,1] neg_hi:[0,0,1]
	v_pk_fma_f32 v[6:7], v[8:9], v[84:85], v[6:7] op_sel:[0,0,1] op_sel_hi:[1,0,0]
	s_waitcnt vmcnt(1)
	v_mov_b32_e32 v6, v99
	v_mov_b32_e32 v19, v7
	v_pk_mul_f32 v[6:7], v[10:11], v[6:7] op_sel_hi:[1,0]
	s_waitcnt vmcnt(0)
	v_pk_fma_f32 v[8:9], v[10:11], v[98:99], v[6:7] op_sel:[0,0,1] op_sel_hi:[1,1,0] neg_lo:[0,0,1] neg_hi:[0,0,1]
	v_pk_fma_f32 v[6:7], v[10:11], v[98:99], v[6:7] op_sel:[0,0,1] op_sel_hi:[1,0,0]
	v_pk_add_f32 v[4:5], v[4:5], v[20:21]
	v_mov_b32_e32 v6, v97
	v_pk_add_f32 v[4:5], v[4:5], v[18:19]
	v_mov_b32_e32 v9, v7
	s_waitcnt lgkmcnt(1)
	v_pk_mul_f32 v[6:7], v[12:13], v[6:7] op_sel_hi:[1,0]
	v_pk_add_f32 v[4:5], v[4:5], v[8:9]
	v_pk_fma_f32 v[8:9], v[12:13], v[96:97], v[6:7] op_sel:[0,0,1] op_sel_hi:[1,1,0] neg_lo:[0,0,1] neg_hi:[0,0,1]
	v_pk_fma_f32 v[6:7], v[12:13], v[96:97], v[6:7] op_sel:[0,0,1] op_sel_hi:[1,0,0]
	v_mov_b32_e32 v6, v95
	v_mov_b32_e32 v9, v7
	v_pk_mul_f32 v[6:7], v[14:15], v[6:7] op_sel_hi:[1,0]
	v_pk_add_f32 v[4:5], v[4:5], v[8:9]
	v_pk_fma_f32 v[8:9], v[14:15], v[94:95], v[6:7] op_sel:[0,0,1] op_sel_hi:[1,1,0] neg_lo:[0,0,1] neg_hi:[0,0,1]
	v_pk_fma_f32 v[6:7], v[14:15], v[94:95], v[6:7] op_sel:[0,0,1] op_sel_hi:[1,0,0]
	v_mov_b32_e32 v6, v93
	v_mov_b32_e32 v9, v7
	s_waitcnt lgkmcnt(0)
	v_pk_mul_f32 v[6:7], v[16:17], v[6:7] op_sel_hi:[1,0]
	v_pk_add_f32 v[4:5], v[4:5], v[8:9]
	v_pk_fma_f32 v[8:9], v[16:17], v[92:93], v[6:7] op_sel:[0,0,1] op_sel_hi:[1,1,0] neg_lo:[0,0,1] neg_hi:[0,0,1]
	v_pk_fma_f32 v[6:7], v[16:17], v[92:93], v[6:7] op_sel:[0,0,1] op_sel_hi:[1,0,0]
	v_mov_b32_e32 v9, v7
	v_pk_add_f32 v[4:5], v[4:5], v[8:9]
	v_pk_add_f32 v[2:3], v[2:3], v[4:5] neg_lo:[0,1] neg_hi:[0,1]
	buffer_store_dword v3, off, s[0:3], 0 offset:84
	buffer_store_dword v2, off, s[0:3], 0 offset:80
	s_and_saveexec_b64 s[4:5], vcc
	s_cbranch_execz .LBB53_319
; %bb.318:
	buffer_load_dword v2, off, s[0:3], 0 offset:72
	buffer_load_dword v3, off, s[0:3], 0 offset:76
	s_waitcnt vmcnt(0)
	ds_write_b64 v143, v[2:3]
	buffer_store_dword v28, off, s[0:3], 0 offset:72
	buffer_store_dword v28, off, s[0:3], 0 offset:76
.LBB53_319:
	s_or_b64 exec, exec, s[4:5]
	s_waitcnt lgkmcnt(0)
	; wave barrier
	s_waitcnt lgkmcnt(0)
	buffer_load_dword v29, off, s[0:3], 0 offset:84
	buffer_load_dword v78, off, s[0:3], 0 offset:92
	;; [unrolled: 1-line block ×26, first 2 shown]
	ds_read_b128 v[22:25], v28 offset:512
	ds_read_b128 v[18:21], v28 offset:528
	;; [unrolled: 1-line block ×6, first 2 shown]
	buffer_load_dword v120, off, s[0:3], 0 offset:176
	buffer_load_dword v121, off, s[0:3], 0 offset:180
	;; [unrolled: 1-line block ×42, first 2 shown]
	v_cmp_lt_u32_e32 vcc, 8, v0
	s_waitcnt vmcnt(62) lgkmcnt(5)
	v_mul_f32_e32 v30, v22, v29
	v_mul_f32_e32 v31, v24, v78
	s_waitcnt lgkmcnt(4)
	v_mul_f32_e32 v33, v20, v80
	s_waitcnt lgkmcnt(3)
	v_mul_f32_e32 v34, v14, v88
	v_mul_f32_e32 v35, v16, v100
	;; [unrolled: 1-line block ×3, first 2 shown]
	s_waitcnt vmcnt(61) lgkmcnt(2)
	v_mul_f32_e32 v36, v10, v102
	s_waitcnt vmcnt(60)
	v_mul_f32_e32 v37, v12, v103
	s_waitcnt vmcnt(59) lgkmcnt(1)
	v_mul_f32_e32 v38, v6, v104
	s_waitcnt vmcnt(58)
	v_fmac_f32_e32 v32, v19, v105
	s_waitcnt vmcnt(57)
	v_fmac_f32_e32 v31, v25, v106
	;; [unrolled: 2-line block ×3, first 2 shown]
	v_add_f32_e32 v30, 0, v30
	v_add_f32_e32 v30, v30, v31
	;; [unrolled: 1-line block ×3, first 2 shown]
	s_waitcnt vmcnt(52)
	v_fmac_f32_e32 v33, v21, v111
	v_fmac_f32_e32 v34, v15, v110
	v_add_f32_e32 v30, v30, v33
	v_fmac_f32_e32 v35, v17, v109
	v_add_f32_e32 v30, v30, v34
	;; [unrolled: 2-line block ×3, first 2 shown]
	s_waitcnt vmcnt(48)
	v_fmac_f32_e32 v37, v13, v115
	v_add_f32_e32 v30, v30, v36
	v_fmac_f32_e32 v38, v7, v114
	v_add_f32_e32 v30, v30, v37
	s_waitcnt vmcnt(47)
	v_mul_f32_e32 v31, v8, v116
	v_add_f32_e32 v30, v30, v38
	v_fmac_f32_e32 v31, v9, v113
	v_add_f32_e32 v30, v30, v31
	s_waitcnt vmcnt(46) lgkmcnt(0)
	v_mul_f32_e32 v31, v2, v117
	v_fmac_f32_e32 v31, v3, v112
	v_add_f32_e32 v34, v30, v31
	ds_read_b128 v[30:33], v28 offset:608
	s_waitcnt vmcnt(42)
	v_mul_f32_e32 v35, v4, v119
	v_fmac_f32_e32 v35, v5, v118
	buffer_load_dword v226, off, s[0:3], 0 offset:344
	buffer_load_dword v227, off, s[0:3], 0 offset:348
	v_add_f32_e32 v38, v34, v35
	buffer_load_dword v228, off, s[0:3], 0 offset:352
	buffer_load_dword v229, off, s[0:3], 0 offset:356
	ds_read_b128 v[34:37], v28 offset:624
	s_waitcnt vmcnt(44) lgkmcnt(1)
	v_mul_f32_e32 v39, v30, v121
	v_fmac_f32_e32 v39, v31, v120
	v_add_f32_e32 v38, v38, v39
	s_waitcnt vmcnt(42)
	v_mul_f32_e32 v39, v32, v123
	v_fmac_f32_e32 v39, v33, v122
	v_add_f32_e32 v38, v38, v39
	s_waitcnt vmcnt(40) lgkmcnt(0)
	v_mul_f32_e32 v39, v34, v125
	v_fmac_f32_e32 v39, v35, v124
	buffer_load_dword v230, off, s[0:3], 0 offset:360
	buffer_load_dword v231, off, s[0:3], 0 offset:364
	v_add_f32_e32 v42, v38, v39
	ds_read_b128 v[38:41], v28 offset:640
	s_waitcnt vmcnt(40)
	v_mul_f32_e32 v43, v36, v127
	v_fmac_f32_e32 v43, v37, v126
	v_add_f32_e32 v46, v42, v43
	ds_read_b128 v[42:45], v28 offset:656
	s_waitcnt vmcnt(38) lgkmcnt(1)
	v_mul_f32_e32 v47, v38, v129
	v_fmac_f32_e32 v47, v39, v128
	v_add_f32_e32 v46, v46, v47
	s_waitcnt vmcnt(36)
	v_mul_f32_e32 v47, v40, v131
	v_fmac_f32_e32 v47, v41, v130
	v_add_f32_e32 v46, v46, v47
	s_waitcnt vmcnt(34) lgkmcnt(0)
	v_mul_f32_e32 v47, v42, v133
	v_fmac_f32_e32 v47, v43, v132
	v_add_f32_e32 v50, v46, v47
	ds_read_b128 v[46:49], v28 offset:672
	s_waitcnt vmcnt(32)
	v_mul_f32_e32 v51, v44, v135
	v_fmac_f32_e32 v51, v45, v134
	v_add_f32_e32 v54, v50, v51
	ds_read_b128 v[50:53], v28 offset:688
	s_waitcnt vmcnt(30) lgkmcnt(1)
	v_mul_f32_e32 v55, v46, v201
	v_fmac_f32_e32 v55, v47, v200
	v_add_f32_e32 v54, v54, v55
	s_waitcnt vmcnt(28)
	v_mul_f32_e32 v55, v48, v203
	v_fmac_f32_e32 v55, v49, v202
	v_add_f32_e32 v54, v54, v55
	s_waitcnt vmcnt(26) lgkmcnt(0)
	v_mul_f32_e32 v55, v50, v205
	v_fmac_f32_e32 v55, v51, v204
	;; [unrolled: 18-line block ×4, first 2 shown]
	s_waitcnt vmcnt(8)
	v_mul_f32_e32 v75, v68, v223
	v_add_f32_e32 v74, v70, v71
	v_fmac_f32_e32 v75, v69, v222
	ds_read_b128 v[70:73], v28 offset:768
	v_add_f32_e32 v79, v74, v75
	ds_read_b128 v[74:77], v28 offset:784
	buffer_load_dword v83, off, s[0:3], 0 offset:388
	buffer_load_dword v82, off, s[0:3], 0 offset:384
	;; [unrolled: 1-line block ×16, first 2 shown]
	v_mul_f32_e32 v23, v23, v29
	v_fma_f32 v22, v22, v107, -v23
	v_mul_f32_e32 v23, v25, v78
	v_add_f32_e32 v22, 0, v22
	v_fma_f32 v23, v24, v106, -v23
	v_mul_f32_e32 v19, v19, v101
	v_add_f32_e32 v22, v22, v23
	;; [unrolled: 3-line block ×11, first 2 shown]
	v_fma_f32 v3, v4, v118, -v3
	v_add_f32_e32 v2, v2, v3
	v_mul_f32_e32 v3, v31, v121
	v_fma_f32 v3, v30, v120, -v3
	v_add_f32_e32 v2, v2, v3
	v_mul_f32_e32 v3, v33, v123
	;; [unrolled: 3-line block ×20, first 2 shown]
	v_fma_f32 v3, v68, v222, -v3
	v_add_f32_e32 v2, v2, v3
	s_waitcnt vmcnt(22) lgkmcnt(1)
	v_mul_f32_e32 v3, v71, v225
	v_fma_f32 v3, v70, v224, -v3
	v_add_f32_e32 v2, v2, v3
	s_waitcnt vmcnt(20)
	v_mul_f32_e32 v3, v73, v227
	v_mul_f32_e32 v81, v70, v225
	v_fma_f32 v3, v72, v226, -v3
	v_fmac_f32_e32 v81, v71, v224
	v_add_f32_e32 v78, v2, v3
	s_waitcnt vmcnt(18) lgkmcnt(0)
	v_mul_f32_e32 v2, v75, v229
	v_add_f32_e32 v79, v79, v81
	v_mul_f32_e32 v81, v72, v227
	v_fma_f32 v80, v74, v228, -v2
	s_waitcnt vmcnt(16)
	v_mul_f32_e32 v2, v77, v231
	v_fmac_f32_e32 v81, v73, v226
	v_fma_f32 v88, v76, v230, -v2
	ds_read_b128 v[2:5], v28 offset:800
	ds_read_b128 v[6:9], v28 offset:816
	;; [unrolled: 1-line block ×4, first 2 shown]
	v_add_f32_e32 v79, v79, v81
	v_mul_f32_e32 v81, v74, v229
	s_waitcnt vmcnt(11)
	v_mov_b32_e32 v20, v87
	v_fmac_f32_e32 v81, v75, v228
	v_mul_f32_e32 v89, v76, v231
	s_waitcnt lgkmcnt(3)
	v_pk_mul_f32 v[20:21], v[2:3], v[20:21] op_sel_hi:[1,0]
	v_fmac_f32_e32 v89, v77, v230
	v_pk_add_f32 v[18:19], v[78:79], v[80:81]
	s_waitcnt vmcnt(10)
	v_pk_fma_f32 v[22:23], v[2:3], v[86:87], v[20:21] op_sel:[0,0,1] op_sel_hi:[1,1,0] neg_lo:[0,0,1] neg_hi:[0,0,1]
	v_pk_fma_f32 v[2:3], v[2:3], v[86:87], v[20:21] op_sel:[0,0,1] op_sel_hi:[1,0,0]
	v_pk_add_f32 v[18:19], v[18:19], v[88:89]
	v_mov_b32_e32 v23, v3
	v_pk_add_f32 v[2:3], v[18:19], v[22:23]
	v_mov_b32_e32 v18, v85
	v_pk_mul_f32 v[18:19], v[4:5], v[18:19] op_sel_hi:[1,0]
	v_pk_fma_f32 v[20:21], v[4:5], v[84:85], v[18:19] op_sel:[0,0,1] op_sel_hi:[1,1,0] neg_lo:[0,0,1] neg_hi:[0,0,1]
	v_pk_fma_f32 v[4:5], v[4:5], v[84:85], v[18:19] op_sel:[0,0,1] op_sel_hi:[1,0,0]
	v_mov_b32_e32 v4, v83
	v_mov_b32_e32 v21, v5
	s_waitcnt lgkmcnt(2)
	v_pk_mul_f32 v[4:5], v[6:7], v[4:5] op_sel_hi:[1,0]
	v_pk_fma_f32 v[18:19], v[6:7], v[82:83], v[4:5] op_sel:[0,0,1] op_sel_hi:[1,1,0] neg_lo:[0,0,1] neg_hi:[0,0,1]
	v_pk_fma_f32 v[4:5], v[6:7], v[82:83], v[4:5] op_sel:[0,0,1] op_sel_hi:[1,0,0]
	s_waitcnt vmcnt(3)
	v_mov_b32_e32 v4, v97
	v_mov_b32_e32 v19, v5
	v_pk_mul_f32 v[4:5], v[8:9], v[4:5] op_sel_hi:[1,0]
	s_waitcnt vmcnt(2)
	v_pk_fma_f32 v[6:7], v[8:9], v[96:97], v[4:5] op_sel:[0,0,1] op_sel_hi:[1,1,0] neg_lo:[0,0,1] neg_hi:[0,0,1]
	v_pk_fma_f32 v[4:5], v[8:9], v[96:97], v[4:5] op_sel:[0,0,1] op_sel_hi:[1,0,0]
	v_pk_add_f32 v[2:3], v[2:3], v[20:21]
	v_mov_b32_e32 v4, v95
	v_pk_add_f32 v[2:3], v[2:3], v[18:19]
	v_mov_b32_e32 v7, v5
	s_waitcnt lgkmcnt(1)
	v_pk_mul_f32 v[4:5], v[10:11], v[4:5] op_sel_hi:[1,0]
	v_pk_add_f32 v[2:3], v[2:3], v[6:7]
	v_pk_fma_f32 v[6:7], v[10:11], v[94:95], v[4:5] op_sel:[0,0,1] op_sel_hi:[1,1,0] neg_lo:[0,0,1] neg_hi:[0,0,1]
	v_pk_fma_f32 v[4:5], v[10:11], v[94:95], v[4:5] op_sel:[0,0,1] op_sel_hi:[1,0,0]
	v_mov_b32_e32 v4, v93
	v_mov_b32_e32 v7, v5
	v_pk_mul_f32 v[4:5], v[12:13], v[4:5] op_sel_hi:[1,0]
	v_pk_add_f32 v[2:3], v[2:3], v[6:7]
	v_pk_fma_f32 v[6:7], v[12:13], v[92:93], v[4:5] op_sel:[0,0,1] op_sel_hi:[1,1,0] neg_lo:[0,0,1] neg_hi:[0,0,1]
	v_pk_fma_f32 v[4:5], v[12:13], v[92:93], v[4:5] op_sel:[0,0,1] op_sel_hi:[1,0,0]
	v_mov_b32_e32 v4, v91
	v_mov_b32_e32 v7, v5
	s_waitcnt lgkmcnt(0)
	v_pk_mul_f32 v[4:5], v[14:15], v[4:5] op_sel_hi:[1,0]
	v_pk_add_f32 v[2:3], v[2:3], v[6:7]
	v_pk_fma_f32 v[6:7], v[14:15], v[90:91], v[4:5] op_sel:[0,0,1] op_sel_hi:[1,1,0] neg_lo:[0,0,1] neg_hi:[0,0,1]
	v_pk_fma_f32 v[4:5], v[14:15], v[90:91], v[4:5] op_sel:[0,0,1] op_sel_hi:[1,0,0]
	s_waitcnt vmcnt(1)
	v_mov_b32_e32 v4, v99
	v_mov_b32_e32 v7, v5
	v_pk_mul_f32 v[4:5], v[16:17], v[4:5] op_sel_hi:[1,0]
	v_pk_add_f32 v[2:3], v[2:3], v[6:7]
	s_waitcnt vmcnt(0)
	v_pk_fma_f32 v[6:7], v[16:17], v[98:99], v[4:5] op_sel:[0,0,1] op_sel_hi:[1,1,0] neg_lo:[0,0,1] neg_hi:[0,0,1]
	v_pk_fma_f32 v[4:5], v[16:17], v[98:99], v[4:5] op_sel:[0,0,1] op_sel_hi:[1,0,0]
	v_mov_b32_e32 v7, v5
	v_pk_add_f32 v[2:3], v[2:3], v[6:7]
	v_pk_add_f32 v[2:3], v[26:27], v[2:3] neg_lo:[0,1] neg_hi:[0,1]
	buffer_store_dword v3, off, s[0:3], 0 offset:76
	buffer_store_dword v2, off, s[0:3], 0 offset:72
	s_and_saveexec_b64 s[4:5], vcc
	s_cbranch_execz .LBB53_321
; %bb.320:
	buffer_load_dword v2, off, s[0:3], 0 offset:64
	buffer_load_dword v3, off, s[0:3], 0 offset:68
	v_mov_b32_e32 v4, 0
	buffer_store_dword v4, off, s[0:3], 0 offset:64
	buffer_store_dword v4, off, s[0:3], 0 offset:68
	s_waitcnt vmcnt(2)
	ds_write_b64 v143, v[2:3]
.LBB53_321:
	s_or_b64 exec, exec, s[4:5]
	v_mov_b32_e32 v210, 0
	s_waitcnt lgkmcnt(0)
	; wave barrier
	s_waitcnt lgkmcnt(0)
	ds_read2_b64 v[2:5], v210 offset0:63 offset1:64
	buffer_load_dword v78, off, s[0:3], 0 offset:64
	buffer_load_dword v79, off, s[0:3], 0 offset:68
	buffer_load_dword v80, off, s[0:3], 0 offset:72
	buffer_load_dword v211, off, s[0:3], 0 offset:76
	buffer_load_dword v82, off, s[0:3], 0 offset:80
	buffer_load_dword v213, off, s[0:3], 0 offset:84
	buffer_load_dword v86, off, s[0:3], 0 offset:88
	buffer_load_dword v215, off, s[0:3], 0 offset:92
	buffer_load_dword v212, off, s[0:3], 0 offset:96
	buffer_load_dword v217, off, s[0:3], 0 offset:100
	buffer_load_dword v214, off, s[0:3], 0 offset:104
	buffer_load_dword v219, off, s[0:3], 0 offset:108
	buffer_load_dword v216, off, s[0:3], 0 offset:112
	buffer_load_dword v220, off, s[0:3], 0 offset:116
	buffer_load_dword v218, off, s[0:3], 0 offset:120
	buffer_load_dword v221, off, s[0:3], 0 offset:124
	v_cmp_lt_u32_e32 vcc, 7, v0
	s_waitcnt vmcnt(12) lgkmcnt(0)
	v_mul_f32_e32 v6, v2, v211
	v_fmac_f32_e32 v6, v3, v80
	s_waitcnt vmcnt(10)
	v_mul_f32_e32 v7, v4, v213
	v_add_f32_e32 v6, 0, v6
	v_fmac_f32_e32 v7, v5, v82
	v_add_f32_e32 v10, v6, v7
	ds_read2_b64 v[6:9], v210 offset0:65 offset1:66
	v_mul_f32_e32 v3, v3, v211
	v_fma_f32 v2, v2, v80, -v3
	v_mul_f32_e32 v3, v5, v213
	v_add_f32_e32 v2, 0, v2
	s_waitcnt vmcnt(8) lgkmcnt(0)
	v_mul_f32_e32 v11, v6, v215
	v_fmac_f32_e32 v11, v7, v86
	v_add_f32_e32 v10, v10, v11
	s_waitcnt vmcnt(6)
	v_mul_f32_e32 v11, v8, v217
	v_fmac_f32_e32 v11, v9, v212
	v_add_f32_e32 v14, v10, v11
	ds_read2_b64 v[10:13], v210 offset0:67 offset1:68
	v_fma_f32 v3, v4, v82, -v3
	v_add_f32_e32 v2, v2, v3
	v_mul_f32_e32 v3, v7, v215
	v_fma_f32 v3, v6, v86, -v3
	s_waitcnt vmcnt(4) lgkmcnt(0)
	v_mul_f32_e32 v15, v10, v219
	v_fmac_f32_e32 v15, v11, v214
	v_add_f32_e32 v14, v14, v15
	s_waitcnt vmcnt(2)
	v_mul_f32_e32 v15, v12, v220
	v_fmac_f32_e32 v15, v13, v216
	v_add_f32_e32 v18, v14, v15
	ds_read2_b64 v[14:17], v210 offset0:69 offset1:70
	buffer_load_dword v222, off, s[0:3], 0 offset:128
	buffer_load_dword v92, off, s[0:3], 0 offset:132
	v_add_f32_e32 v2, v2, v3
	v_mul_f32_e32 v3, v9, v217
	v_fma_f32 v3, v8, v212, -v3
	s_waitcnt vmcnt(2) lgkmcnt(0)
	v_mul_f32_e32 v19, v14, v221
	v_fmac_f32_e32 v19, v15, v218
	v_add_f32_e32 v18, v18, v19
	v_add_f32_e32 v2, v2, v3
	v_mul_f32_e32 v3, v11, v219
	v_fma_f32 v3, v10, v214, -v3
	v_add_f32_e32 v2, v2, v3
	v_mul_f32_e32 v3, v13, v220
	v_fma_f32 v3, v12, v216, -v3
	v_add_f32_e32 v2, v2, v3
	v_mul_f32_e32 v3, v15, v221
	v_fma_f32 v3, v14, v218, -v3
	v_add_f32_e32 v2, v2, v3
	s_waitcnt vmcnt(0)
	v_mul_f32_e32 v19, v16, v92
	v_fmac_f32_e32 v19, v17, v222
	v_add_f32_e32 v22, v18, v19
	ds_read2_b64 v[18:21], v210 offset0:71 offset1:72
	buffer_load_dword v93, off, s[0:3], 0 offset:136
	buffer_load_dword v94, off, s[0:3], 0 offset:140
	;; [unrolled: 1-line block ×4, first 2 shown]
	v_mul_f32_e32 v3, v17, v92
	v_fma_f32 v3, v16, v222, -v3
	v_add_f32_e32 v2, v2, v3
	s_waitcnt vmcnt(2) lgkmcnt(0)
	v_mul_f32_e32 v23, v18, v94
	v_fmac_f32_e32 v23, v19, v93
	v_add_f32_e32 v22, v22, v23
	s_waitcnt vmcnt(0)
	v_mul_f32_e32 v23, v20, v96
	v_fmac_f32_e32 v23, v21, v95
	v_add_f32_e32 v26, v22, v23
	ds_read2_b64 v[22:25], v210 offset0:73 offset1:74
	buffer_load_dword v97, off, s[0:3], 0 offset:152
	buffer_load_dword v98, off, s[0:3], 0 offset:156
	buffer_load_dword v99, off, s[0:3], 0 offset:160
	buffer_load_dword v100, off, s[0:3], 0 offset:164
	ds_read2_b64 v[30:33], v210 offset0:75 offset1:76
	buffer_load_dword v101, off, s[0:3], 0 offset:168
	buffer_load_dword v102, off, s[0:3], 0 offset:172
	buffer_load_dword v103, off, s[0:3], 0 offset:176
	buffer_load_dword v104, off, s[0:3], 0 offset:180
	;; [unrolled: 5-line block ×13, first 2 shown]
	v_mul_f32_e32 v3, v19, v94
	v_fma_f32 v3, v18, v93, -v3
	v_add_f32_e32 v2, v2, v3
	v_mul_f32_e32 v3, v21, v96
	v_fma_f32 v3, v20, v95, -v3
	v_add_f32_e32 v2, v2, v3
	s_waitcnt vmcnt(50) lgkmcnt(12)
	v_mul_f32_e32 v27, v22, v98
	v_fmac_f32_e32 v27, v23, v97
	v_add_f32_e32 v26, v26, v27
	s_waitcnt vmcnt(48)
	v_mul_f32_e32 v27, v24, v100
	v_fmac_f32_e32 v27, v25, v99
	v_add_f32_e32 v26, v26, v27
	s_waitcnt vmcnt(46) lgkmcnt(11)
	v_mul_f32_e32 v27, v30, v102
	v_fmac_f32_e32 v27, v31, v101
	v_add_f32_e32 v26, v26, v27
	s_waitcnt vmcnt(44)
	v_mul_f32_e32 v27, v32, v104
	v_fmac_f32_e32 v27, v33, v103
	;; [unrolled: 8-line block ×12, first 2 shown]
	v_add_f32_e32 v26, v26, v27
	s_waitcnt vmcnt(2) lgkmcnt(0)
	v_mul_f32_e32 v27, v74, v233
	v_fmac_f32_e32 v27, v75, v232
	v_add_f32_e32 v81, v26, v27
	ds_read2_b64 v[26:29], v210 offset0:99 offset1:100
	buffer_load_dword v236, off, s[0:3], 0 offset:360
	buffer_load_dword v237, off, s[0:3], 0 offset:364
	;; [unrolled: 1-line block ×18, first 2 shown]
	v_mul_f32_e32 v3, v23, v98
	v_fma_f32 v3, v22, v97, -v3
	v_add_f32_e32 v2, v2, v3
	v_mul_f32_e32 v3, v25, v100
	v_fma_f32 v3, v24, v99, -v3
	v_add_f32_e32 v2, v2, v3
	;; [unrolled: 3-line block ×25, first 2 shown]
	s_waitcnt vmcnt(18)
	v_mul_f32_e32 v2, v77, v235
	s_waitcnt vmcnt(15)
	v_mov_b32_e32 v18, v85
	v_mul_f32_e32 v83, v76, v235
	v_fma_f32 v82, v76, v234, -v2
	s_waitcnt lgkmcnt(0)
	v_mul_f32_e32 v2, v27, v237
	v_pk_mul_f32 v[18:19], v[28:29], v[18:19] op_sel_hi:[1,0]
	v_fmac_f32_e32 v83, v77, v234
	v_mul_f32_e32 v87, v26, v237
	v_fma_f32 v86, v26, v236, -v2
	ds_read2_b64 v[2:5], v210 offset0:101 offset1:102
	ds_read2_b64 v[6:9], v210 offset0:103 offset1:104
	;; [unrolled: 1-line block ×3, first 2 shown]
	ds_read_b64 v[14:15], v210 offset:856
	s_waitcnt vmcnt(14)
	v_pk_fma_f32 v[20:21], v[28:29], v[84:85], v[18:19] op_sel:[0,0,1] op_sel_hi:[1,1,0] neg_lo:[0,0,1] neg_hi:[0,0,1]
	v_pk_fma_f32 v[18:19], v[28:29], v[84:85], v[18:19] op_sel:[0,0,1] op_sel_hi:[1,0,0]
	v_fmac_f32_e32 v87, v27, v236
	v_pk_add_f32 v[16:17], v[80:81], v[82:83]
	s_waitcnt vmcnt(13)
	v_mov_b32_e32 v18, v209
	v_pk_add_f32 v[16:17], v[16:17], v[86:87]
	v_mov_b32_e32 v21, v19
	s_waitcnt lgkmcnt(3)
	v_pk_mul_f32 v[18:19], v[2:3], v[18:19] op_sel_hi:[1,0]
	v_pk_add_f32 v[16:17], v[16:17], v[20:21]
	s_waitcnt vmcnt(12)
	v_pk_fma_f32 v[20:21], v[2:3], v[208:209], v[18:19] op_sel:[0,0,1] op_sel_hi:[1,1,0] neg_lo:[0,0,1] neg_hi:[0,0,1]
	v_pk_fma_f32 v[2:3], v[2:3], v[208:209], v[18:19] op_sel:[0,0,1] op_sel_hi:[1,0,0]
	v_mov_b32_e32 v21, v3
	v_pk_add_f32 v[2:3], v[16:17], v[20:21]
	s_waitcnt vmcnt(11)
	v_mov_b32_e32 v16, v207
	v_pk_mul_f32 v[16:17], v[4:5], v[16:17] op_sel_hi:[1,0]
	s_waitcnt vmcnt(10)
	v_pk_fma_f32 v[18:19], v[4:5], v[206:207], v[16:17] op_sel:[0,0,1] op_sel_hi:[1,1,0] neg_lo:[0,0,1] neg_hi:[0,0,1]
	v_pk_fma_f32 v[4:5], v[4:5], v[206:207], v[16:17] op_sel:[0,0,1] op_sel_hi:[1,0,0]
	s_waitcnt vmcnt(9)
	v_mov_b32_e32 v4, v205
	v_mov_b32_e32 v19, v5
	s_waitcnt lgkmcnt(2)
	v_pk_mul_f32 v[4:5], v[6:7], v[4:5] op_sel_hi:[1,0]
	s_waitcnt vmcnt(8)
	v_pk_fma_f32 v[16:17], v[6:7], v[204:205], v[4:5] op_sel:[0,0,1] op_sel_hi:[1,1,0] neg_lo:[0,0,1] neg_hi:[0,0,1]
	v_pk_fma_f32 v[4:5], v[6:7], v[204:205], v[4:5] op_sel:[0,0,1] op_sel_hi:[1,0,0]
	s_waitcnt vmcnt(7)
	v_mov_b32_e32 v4, v203
	v_mov_b32_e32 v17, v5
	v_pk_mul_f32 v[4:5], v[8:9], v[4:5] op_sel_hi:[1,0]
	s_waitcnt vmcnt(6)
	v_pk_fma_f32 v[6:7], v[8:9], v[202:203], v[4:5] op_sel:[0,0,1] op_sel_hi:[1,1,0] neg_lo:[0,0,1] neg_hi:[0,0,1]
	v_pk_fma_f32 v[4:5], v[8:9], v[202:203], v[4:5] op_sel:[0,0,1] op_sel_hi:[1,0,0]
	v_pk_add_f32 v[2:3], v[2:3], v[18:19]
	s_waitcnt vmcnt(5)
	v_mov_b32_e32 v4, v201
	v_pk_add_f32 v[2:3], v[2:3], v[16:17]
	v_mov_b32_e32 v7, v5
	s_waitcnt lgkmcnt(1)
	v_pk_mul_f32 v[4:5], v[10:11], v[4:5] op_sel_hi:[1,0]
	v_pk_add_f32 v[2:3], v[2:3], v[6:7]
	s_waitcnt vmcnt(4)
	v_pk_fma_f32 v[6:7], v[10:11], v[200:201], v[4:5] op_sel:[0,0,1] op_sel_hi:[1,1,0] neg_lo:[0,0,1] neg_hi:[0,0,1]
	v_pk_fma_f32 v[4:5], v[10:11], v[200:201], v[4:5] op_sel:[0,0,1] op_sel_hi:[1,0,0]
	s_waitcnt vmcnt(3)
	v_mov_b32_e32 v4, v91
	v_mov_b32_e32 v7, v5
	v_pk_mul_f32 v[4:5], v[12:13], v[4:5] op_sel_hi:[1,0]
	v_pk_add_f32 v[2:3], v[2:3], v[6:7]
	s_waitcnt vmcnt(2)
	v_pk_fma_f32 v[6:7], v[12:13], v[90:91], v[4:5] op_sel:[0,0,1] op_sel_hi:[1,1,0] neg_lo:[0,0,1] neg_hi:[0,0,1]
	v_pk_fma_f32 v[4:5], v[12:13], v[90:91], v[4:5] op_sel:[0,0,1] op_sel_hi:[1,0,0]
	s_waitcnt vmcnt(1)
	v_mov_b32_e32 v4, v89
	v_mov_b32_e32 v7, v5
	s_waitcnt lgkmcnt(0)
	v_pk_mul_f32 v[4:5], v[14:15], v[4:5] op_sel_hi:[1,0]
	v_pk_add_f32 v[2:3], v[2:3], v[6:7]
	s_waitcnt vmcnt(0)
	v_pk_fma_f32 v[6:7], v[14:15], v[88:89], v[4:5] op_sel:[0,0,1] op_sel_hi:[1,1,0] neg_lo:[0,0,1] neg_hi:[0,0,1]
	v_pk_fma_f32 v[4:5], v[14:15], v[88:89], v[4:5] op_sel:[0,0,1] op_sel_hi:[1,0,0]
	v_mov_b32_e32 v7, v5
	v_pk_add_f32 v[2:3], v[2:3], v[6:7]
	v_pk_add_f32 v[2:3], v[78:79], v[2:3] neg_lo:[0,1] neg_hi:[0,1]
	buffer_store_dword v3, off, s[0:3], 0 offset:68
	buffer_store_dword v2, off, s[0:3], 0 offset:64
	s_and_saveexec_b64 s[4:5], vcc
	s_cbranch_execz .LBB53_323
; %bb.322:
	buffer_load_dword v2, off, s[0:3], 0 offset:56
	buffer_load_dword v3, off, s[0:3], 0 offset:60
	s_waitcnt vmcnt(0)
	ds_write_b64 v143, v[2:3]
	buffer_store_dword v210, off, s[0:3], 0 offset:56
	buffer_store_dword v210, off, s[0:3], 0 offset:60
.LBB53_323:
	s_or_b64 exec, exec, s[4:5]
	s_waitcnt lgkmcnt(0)
	; wave barrier
	s_waitcnt lgkmcnt(0)
	buffer_load_dword v86, off, s[0:3], 0 offset:68
	buffer_load_dword v88, off, s[0:3], 0 offset:76
	;; [unrolled: 1-line block ×32, first 2 shown]
	ds_read_b128 v[22:25], v210 offset:496
	ds_read_b128 v[18:21], v210 offset:512
	;; [unrolled: 1-line block ×6, first 2 shown]
	buffer_load_dword v133, off, s[0:3], 0 offset:184
	buffer_load_dword v134, off, s[0:3], 0 offset:188
	;; [unrolled: 1-line block ×32, first 2 shown]
	v_cmp_lt_u32_e32 vcc, 6, v0
	s_waitcnt vmcnt(62) lgkmcnt(5)
	v_mul_f32_e32 v28, v22, v86
	v_mul_f32_e32 v29, v24, v88
	s_waitcnt vmcnt(61) lgkmcnt(4)
	v_mul_f32_e32 v31, v20, v90
	s_waitcnt vmcnt(60) lgkmcnt(3)
	v_mul_f32_e32 v32, v14, v106
	s_waitcnt vmcnt(59)
	v_mul_f32_e32 v33, v16, v107
	s_waitcnt vmcnt(58)
	v_mul_f32_e32 v30, v18, v108
	s_waitcnt vmcnt(57) lgkmcnt(2)
	v_mul_f32_e32 v34, v10, v109
	s_waitcnt vmcnt(56)
	v_mul_f32_e32 v35, v12, v110
	s_waitcnt vmcnt(55) lgkmcnt(1)
	v_mul_f32_e32 v36, v6, v111
	s_waitcnt vmcnt(54)
	v_mul_f32_e32 v37, v8, v112
	s_waitcnt vmcnt(53)
	v_fmac_f32_e32 v30, v19, v113
	s_waitcnt vmcnt(52)
	v_fmac_f32_e32 v29, v25, v114
	s_waitcnt vmcnt(51)
	v_fmac_f32_e32 v28, v23, v115
	v_add_f32_e32 v28, 0, v28
	v_add_f32_e32 v28, v28, v29
	;; [unrolled: 1-line block ×3, first 2 shown]
	s_waitcnt vmcnt(47)
	v_fmac_f32_e32 v31, v21, v119
	v_fmac_f32_e32 v32, v15, v118
	v_add_f32_e32 v28, v28, v31
	v_fmac_f32_e32 v33, v17, v117
	v_add_f32_e32 v28, v28, v32
	;; [unrolled: 2-line block ×3, first 2 shown]
	s_waitcnt vmcnt(43)
	v_fmac_f32_e32 v35, v13, v123
	v_add_f32_e32 v28, v28, v34
	v_fmac_f32_e32 v36, v7, v122
	v_add_f32_e32 v28, v28, v35
	;; [unrolled: 2-line block ×3, first 2 shown]
	s_waitcnt vmcnt(42) lgkmcnt(0)
	v_mul_f32_e32 v29, v2, v124
	v_add_f32_e32 v28, v28, v37
	v_fmac_f32_e32 v29, v3, v120
	v_add_f32_e32 v32, v28, v29
	ds_read_b128 v[28:31], v210 offset:592
	buffer_load_dword v230, off, s[0:3], 0 offset:312
	buffer_load_dword v231, off, s[0:3], 0 offset:316
	s_waitcnt vmcnt(43)
	v_mul_f32_e32 v33, v4, v125
	s_waitcnt vmcnt(36)
	v_fmac_f32_e32 v33, v5, v132
	v_add_f32_e32 v36, v32, v33
	ds_read_b128 v[32:35], v210 offset:608
	buffer_load_dword v232, off, s[0:3], 0 offset:320
	buffer_load_dword v233, off, s[0:3], 0 offset:324
	;; [unrolled: 1-line block ×8, first 2 shown]
	s_waitcnt lgkmcnt(1)
	v_mul_f32_e32 v37, v28, v127
	v_fmac_f32_e32 v37, v29, v126
	v_add_f32_e32 v36, v36, v37
	v_mul_f32_e32 v37, v30, v129
	v_fmac_f32_e32 v37, v31, v128
	v_add_f32_e32 v36, v36, v37
	s_waitcnt lgkmcnt(0)
	v_mul_f32_e32 v37, v32, v131
	v_fmac_f32_e32 v37, v33, v130
	v_add_f32_e32 v40, v36, v37
	buffer_load_dword v240, off, s[0:3], 0 offset:352
	buffer_load_dword v241, off, s[0:3], 0 offset:356
	buffer_load_dword v242, off, s[0:3], 0 offset:360
	buffer_load_dword v243, off, s[0:3], 0 offset:364
	ds_read_b128 v[36:39], v210 offset:624
	s_waitcnt vmcnt(44)
	v_mul_f32_e32 v41, v34, v134
	v_fmac_f32_e32 v41, v35, v133
	v_add_f32_e32 v44, v40, v41
	ds_read_b128 v[40:43], v210 offset:640
	s_waitcnt vmcnt(42) lgkmcnt(1)
	v_mul_f32_e32 v45, v36, v200
	v_fmac_f32_e32 v45, v37, v135
	v_add_f32_e32 v44, v44, v45
	s_waitcnt vmcnt(40)
	v_mul_f32_e32 v45, v38, v202
	v_fmac_f32_e32 v45, v39, v201
	v_add_f32_e32 v44, v44, v45
	s_waitcnt vmcnt(38) lgkmcnt(0)
	v_mul_f32_e32 v45, v40, v204
	v_fmac_f32_e32 v45, v41, v203
	v_add_f32_e32 v48, v44, v45
	ds_read_b128 v[44:47], v210 offset:656
	s_waitcnt vmcnt(36)
	v_mul_f32_e32 v49, v42, v206
	v_fmac_f32_e32 v49, v43, v205
	v_add_f32_e32 v52, v48, v49
	ds_read_b128 v[48:51], v210 offset:672
	s_waitcnt vmcnt(34) lgkmcnt(1)
	v_mul_f32_e32 v53, v44, v208
	v_fmac_f32_e32 v53, v45, v207
	v_add_f32_e32 v52, v52, v53
	s_waitcnt vmcnt(32)
	v_mul_f32_e32 v53, v46, v211
	v_fmac_f32_e32 v53, v47, v209
	v_add_f32_e32 v52, v52, v53
	s_waitcnt vmcnt(30) lgkmcnt(0)
	v_mul_f32_e32 v53, v48, v213
	v_fmac_f32_e32 v53, v49, v212
	v_add_f32_e32 v56, v52, v53
	;; [unrolled: 18-line block ×4, first 2 shown]
	ds_read_b128 v[68:71], v210 offset:752
	v_mul_f32_e32 v23, v23, v86
	v_fma_f32 v22, v22, v115, -v23
	v_mul_f32_e32 v23, v25, v88
	v_add_f32_e32 v22, 0, v22
	s_waitcnt vmcnt(12)
	v_mul_f32_e32 v73, v66, v231
	v_fmac_f32_e32 v73, v67, v230
	v_add_f32_e32 v76, v72, v73
	ds_read_b128 v[72:75], v210 offset:768
	buffer_load_dword v85, off, s[0:3], 0 offset:372
	buffer_load_dword v84, off, s[0:3], 0 offset:368
	s_waitcnt vmcnt(12) lgkmcnt(1)
	v_mul_f32_e32 v77, v68, v233
	v_fmac_f32_e32 v77, v69, v232
	v_add_f32_e32 v76, v76, v77
	s_waitcnt vmcnt(10)
	v_mul_f32_e32 v77, v70, v235
	v_fmac_f32_e32 v77, v71, v234
	v_add_f32_e32 v76, v76, v77
	s_waitcnt vmcnt(8) lgkmcnt(0)
	v_mul_f32_e32 v77, v72, v237
	v_fmac_f32_e32 v77, v73, v236
	s_waitcnt vmcnt(6)
	v_mul_f32_e32 v81, v74, v239
	v_add_f32_e32 v80, v76, v77
	v_fmac_f32_e32 v81, v75, v238
	ds_read_b128 v[76:79], v210 offset:784
	v_add_f32_e32 v87, v80, v81
	ds_read_b128 v[80:83], v210 offset:800
	buffer_load_dword v93, off, s[0:3], 0 offset:404
	buffer_load_dword v92, off, s[0:3], 0 offset:400
	;; [unrolled: 1-line block ×14, first 2 shown]
	v_fma_f32 v23, v24, v114, -v23
	v_mul_f32_e32 v19, v19, v108
	v_add_f32_e32 v22, v22, v23
	v_fma_f32 v18, v18, v113, -v19
	v_mul_f32_e32 v19, v21, v90
	v_add_f32_e32 v18, v22, v18
	;; [unrolled: 3-line block ×10, first 2 shown]
	v_fma_f32 v3, v4, v132, -v3
	v_add_f32_e32 v2, v2, v3
	v_mul_f32_e32 v3, v29, v127
	v_fma_f32 v3, v28, v126, -v3
	v_add_f32_e32 v2, v2, v3
	v_mul_f32_e32 v3, v31, v129
	v_fma_f32 v3, v30, v128, -v3
	v_add_f32_e32 v2, v2, v3
	v_mul_f32_e32 v3, v33, v131
	v_fma_f32 v3, v32, v130, -v3
	v_add_f32_e32 v2, v2, v3
	v_mul_f32_e32 v3, v35, v134
	v_fma_f32 v3, v34, v133, -v3
	v_add_f32_e32 v2, v2, v3
	v_mul_f32_e32 v3, v37, v200
	v_fma_f32 v3, v36, v135, -v3
	v_add_f32_e32 v2, v2, v3
	v_mul_f32_e32 v3, v39, v202
	v_fma_f32 v3, v38, v201, -v3
	v_add_f32_e32 v2, v2, v3
	v_mul_f32_e32 v3, v41, v204
	v_fma_f32 v3, v40, v203, -v3
	v_add_f32_e32 v2, v2, v3
	v_mul_f32_e32 v3, v43, v206
	v_fma_f32 v3, v42, v205, -v3
	v_add_f32_e32 v2, v2, v3
	v_mul_f32_e32 v3, v45, v208
	v_fma_f32 v3, v44, v207, -v3
	v_add_f32_e32 v2, v2, v3
	v_mul_f32_e32 v3, v47, v211
	v_fma_f32 v3, v46, v209, -v3
	v_add_f32_e32 v2, v2, v3
	v_mul_f32_e32 v3, v49, v213
	v_fma_f32 v3, v48, v212, -v3
	v_add_f32_e32 v2, v2, v3
	v_mul_f32_e32 v3, v51, v215
	v_fma_f32 v3, v50, v214, -v3
	v_add_f32_e32 v2, v2, v3
	v_mul_f32_e32 v3, v53, v217
	v_fma_f32 v3, v52, v216, -v3
	v_add_f32_e32 v2, v2, v3
	v_mul_f32_e32 v3, v55, v219
	v_fma_f32 v3, v54, v218, -v3
	v_add_f32_e32 v2, v2, v3
	v_mul_f32_e32 v3, v57, v221
	v_fma_f32 v3, v56, v220, -v3
	v_add_f32_e32 v2, v2, v3
	v_mul_f32_e32 v3, v59, v223
	v_fma_f32 v3, v58, v222, -v3
	v_add_f32_e32 v2, v2, v3
	v_mul_f32_e32 v3, v61, v225
	v_fma_f32 v3, v60, v224, -v3
	v_add_f32_e32 v2, v2, v3
	v_mul_f32_e32 v3, v63, v227
	v_fma_f32 v3, v62, v226, -v3
	v_add_f32_e32 v2, v2, v3
	v_mul_f32_e32 v3, v65, v229
	v_fma_f32 v3, v64, v228, -v3
	v_add_f32_e32 v2, v2, v3
	v_mul_f32_e32 v3, v67, v231
	v_fma_f32 v3, v66, v230, -v3
	v_add_f32_e32 v2, v2, v3
	v_mul_f32_e32 v3, v69, v233
	v_fma_f32 v3, v68, v232, -v3
	v_add_f32_e32 v2, v2, v3
	v_mul_f32_e32 v3, v71, v235
	v_fma_f32 v3, v70, v234, -v3
	v_add_f32_e32 v2, v2, v3
	v_mul_f32_e32 v3, v73, v237
	v_fma_f32 v3, v72, v236, -v3
	v_add_f32_e32 v2, v2, v3
	v_mul_f32_e32 v3, v75, v239
	v_fma_f32 v3, v74, v238, -v3
	s_waitcnt vmcnt(15)
	v_mov_b32_e32 v16, v85
	s_waitcnt lgkmcnt(1)
	v_mul_f32_e32 v89, v76, v241
	v_add_f32_e32 v86, v2, v3
	v_mul_f32_e32 v2, v77, v241
	s_waitcnt lgkmcnt(0)
	v_pk_mul_f32 v[16:17], v[80:81], v[16:17] op_sel_hi:[1,0]
	v_fmac_f32_e32 v89, v77, v240
	v_mul_f32_e32 v91, v78, v243
	v_fma_f32 v88, v76, v240, -v2
	v_mul_f32_e32 v2, v79, v243
	s_waitcnt vmcnt(14)
	v_pk_fma_f32 v[18:19], v[80:81], v[84:85], v[16:17] op_sel:[0,0,1] op_sel_hi:[1,1,0] neg_lo:[0,0,1] neg_hi:[0,0,1]
	v_pk_fma_f32 v[16:17], v[80:81], v[84:85], v[16:17] op_sel:[0,0,1] op_sel_hi:[1,0,0]
	v_fmac_f32_e32 v91, v79, v242
	v_fma_f32 v90, v78, v242, -v2
	v_pk_add_f32 v[14:15], v[86:87], v[88:89]
	s_waitcnt vmcnt(7)
	v_mov_b32_e32 v16, v99
	ds_read_b128 v[2:5], v210 offset:816
	ds_read_b128 v[6:9], v210 offset:832
	;; [unrolled: 1-line block ×3, first 2 shown]
	v_pk_add_f32 v[14:15], v[14:15], v[90:91]
	v_mov_b32_e32 v19, v17
	v_pk_mul_f32 v[16:17], v[82:83], v[16:17] op_sel_hi:[1,0]
	v_pk_add_f32 v[14:15], v[14:15], v[18:19]
	s_waitcnt vmcnt(6)
	v_pk_fma_f32 v[18:19], v[82:83], v[98:99], v[16:17] op_sel:[0,0,1] op_sel_hi:[1,1,0] neg_lo:[0,0,1] neg_hi:[0,0,1]
	v_pk_fma_f32 v[16:17], v[82:83], v[98:99], v[16:17] op_sel:[0,0,1] op_sel_hi:[1,0,0]
	v_mov_b32_e32 v16, v97
	v_mov_b32_e32 v19, v17
	s_waitcnt lgkmcnt(2)
	v_pk_mul_f32 v[16:17], v[2:3], v[16:17] op_sel_hi:[1,0]
	v_pk_add_f32 v[14:15], v[14:15], v[18:19]
	v_pk_fma_f32 v[18:19], v[2:3], v[96:97], v[16:17] op_sel:[0,0,1] op_sel_hi:[1,1,0] neg_lo:[0,0,1] neg_hi:[0,0,1]
	v_pk_fma_f32 v[2:3], v[2:3], v[96:97], v[16:17] op_sel:[0,0,1] op_sel_hi:[1,0,0]
	v_mov_b32_e32 v19, v3
	v_pk_add_f32 v[2:3], v[14:15], v[18:19]
	v_mov_b32_e32 v14, v95
	v_pk_mul_f32 v[14:15], v[4:5], v[14:15] op_sel_hi:[1,0]
	v_pk_fma_f32 v[16:17], v[4:5], v[94:95], v[14:15] op_sel:[0,0,1] op_sel_hi:[1,1,0] neg_lo:[0,0,1] neg_hi:[0,0,1]
	v_pk_fma_f32 v[4:5], v[4:5], v[94:95], v[14:15] op_sel:[0,0,1] op_sel_hi:[1,0,0]
	v_mov_b32_e32 v4, v93
	v_mov_b32_e32 v17, v5
	s_waitcnt lgkmcnt(1)
	v_pk_mul_f32 v[4:5], v[6:7], v[4:5] op_sel_hi:[1,0]
	v_pk_fma_f32 v[14:15], v[6:7], v[92:93], v[4:5] op_sel:[0,0,1] op_sel_hi:[1,1,0] neg_lo:[0,0,1] neg_hi:[0,0,1]
	v_pk_fma_f32 v[4:5], v[6:7], v[92:93], v[4:5] op_sel:[0,0,1] op_sel_hi:[1,0,0]
	s_waitcnt vmcnt(1)
	v_mov_b32_e32 v4, v105
	v_mov_b32_e32 v15, v5
	v_pk_mul_f32 v[4:5], v[8:9], v[4:5] op_sel_hi:[1,0]
	s_waitcnt vmcnt(0)
	v_pk_fma_f32 v[6:7], v[8:9], v[104:105], v[4:5] op_sel:[0,0,1] op_sel_hi:[1,1,0] neg_lo:[0,0,1] neg_hi:[0,0,1]
	v_pk_fma_f32 v[4:5], v[8:9], v[104:105], v[4:5] op_sel:[0,0,1] op_sel_hi:[1,0,0]
	v_pk_add_f32 v[2:3], v[2:3], v[16:17]
	v_mov_b32_e32 v4, v103
	v_pk_add_f32 v[2:3], v[2:3], v[14:15]
	v_mov_b32_e32 v7, v5
	s_waitcnt lgkmcnt(0)
	v_pk_mul_f32 v[4:5], v[10:11], v[4:5] op_sel_hi:[1,0]
	v_pk_add_f32 v[2:3], v[2:3], v[6:7]
	v_pk_fma_f32 v[6:7], v[10:11], v[102:103], v[4:5] op_sel:[0,0,1] op_sel_hi:[1,1,0] neg_lo:[0,0,1] neg_hi:[0,0,1]
	v_pk_fma_f32 v[4:5], v[10:11], v[102:103], v[4:5] op_sel:[0,0,1] op_sel_hi:[1,0,0]
	v_mov_b32_e32 v4, v101
	v_mov_b32_e32 v7, v5
	v_pk_mul_f32 v[4:5], v[12:13], v[4:5] op_sel_hi:[1,0]
	v_pk_add_f32 v[2:3], v[2:3], v[6:7]
	v_pk_fma_f32 v[6:7], v[12:13], v[100:101], v[4:5] op_sel:[0,0,1] op_sel_hi:[1,1,0] neg_lo:[0,0,1] neg_hi:[0,0,1]
	v_pk_fma_f32 v[4:5], v[12:13], v[100:101], v[4:5] op_sel:[0,0,1] op_sel_hi:[1,0,0]
	v_mov_b32_e32 v7, v5
	v_pk_add_f32 v[2:3], v[2:3], v[6:7]
	v_pk_add_f32 v[2:3], v[26:27], v[2:3] neg_lo:[0,1] neg_hi:[0,1]
	buffer_store_dword v3, off, s[0:3], 0 offset:60
	buffer_store_dword v2, off, s[0:3], 0 offset:56
	s_and_saveexec_b64 s[4:5], vcc
	s_cbranch_execz .LBB53_325
; %bb.324:
	buffer_load_dword v2, off, s[0:3], 0 offset:48
	buffer_load_dword v3, off, s[0:3], 0 offset:52
	v_mov_b32_e32 v4, 0
	buffer_store_dword v4, off, s[0:3], 0 offset:48
	buffer_store_dword v4, off, s[0:3], 0 offset:52
	s_waitcnt vmcnt(2)
	ds_write_b64 v143, v[2:3]
.LBB53_325:
	s_or_b64 exec, exec, s[4:5]
	s_waitcnt lgkmcnt(0)
	; wave barrier
	s_waitcnt lgkmcnt(0)
	buffer_load_dword v33, off, s[0:3], 0 offset:60
	buffer_load_dword v32, off, s[0:3], 0 offset:68
	;; [unrolled: 1-line block ×48, first 2 shown]
	v_mov_b32_e32 v36, 0
	ds_read2_b64 v[22:25], v36 offset0:61 offset1:62
	ds_read2_b64 v[18:21], v36 offset0:63 offset1:64
	;; [unrolled: 1-line block ×6, first 2 shown]
	buffer_load_dword v214, off, s[0:3], 0 offset:240
	buffer_load_dword v215, off, s[0:3], 0 offset:244
	;; [unrolled: 1-line block ×12, first 2 shown]
	v_cmp_lt_u32_e32 vcc, 5, v0
	s_waitcnt vmcnt(59) lgkmcnt(5)
	v_mul_f32_e32 v35, v22, v33
	s_waitcnt vmcnt(58)
	v_mul_f32_e32 v38, v24, v32
	s_waitcnt vmcnt(57) lgkmcnt(4)
	v_mul_f32_e32 v40, v20, v31
	s_waitcnt vmcnt(56) lgkmcnt(3)
	v_mul_f32_e32 v41, v14, v30
	s_waitcnt vmcnt(55)
	v_mul_f32_e32 v42, v16, v28
	s_waitcnt vmcnt(54)
	v_mul_f32_e32 v39, v18, v34
	s_waitcnt vmcnt(53) lgkmcnt(2)
	v_mul_f32_e32 v43, v10, v29
	s_waitcnt vmcnt(52)
	v_mul_f32_e32 v44, v12, v37
	s_waitcnt vmcnt(51) lgkmcnt(1)
	v_mul_f32_e32 v45, v6, v94
	s_waitcnt vmcnt(50)
	v_mul_f32_e32 v46, v8, v96
	s_waitcnt vmcnt(49)
	v_fmac_f32_e32 v39, v19, v114
	s_waitcnt vmcnt(48)
	v_fmac_f32_e32 v38, v25, v115
	;; [unrolled: 2-line block ×3, first 2 shown]
	v_add_f32_e32 v35, 0, v35
	v_add_f32_e32 v35, v35, v38
	v_add_f32_e32 v35, v35, v39
	s_waitcnt vmcnt(43)
	v_fmac_f32_e32 v40, v21, v120
	v_fmac_f32_e32 v41, v15, v119
	v_add_f32_e32 v35, v35, v40
	v_fmac_f32_e32 v42, v17, v118
	v_add_f32_e32 v35, v35, v41
	;; [unrolled: 2-line block ×3, first 2 shown]
	s_waitcnt vmcnt(39)
	v_fmac_f32_e32 v44, v13, v124
	v_add_f32_e32 v35, v35, v43
	v_fmac_f32_e32 v45, v7, v123
	v_add_f32_e32 v35, v35, v44
	v_fmac_f32_e32 v46, v9, v122
	v_add_f32_e32 v35, v35, v45
	s_waitcnt vmcnt(38) lgkmcnt(0)
	v_mul_f32_e32 v38, v2, v125
	v_add_f32_e32 v35, v35, v46
	v_fmac_f32_e32 v38, v3, v121
	v_add_f32_e32 v35, v35, v38
	ds_read2_b64 v[38:41], v36 offset0:73 offset1:74
	buffer_load_dword v226, off, s[0:3], 0 offset:288
	buffer_load_dword v227, off, s[0:3], 0 offset:292
	buffer_load_dword v228, off, s[0:3], 0 offset:296
	buffer_load_dword v229, off, s[0:3], 0 offset:300
	s_waitcnt vmcnt(35)
	v_mul_f32_e32 v42, v4, v132
	s_waitcnt vmcnt(34)
	v_fmac_f32_e32 v42, v5, v133
	v_add_f32_e32 v35, v35, v42
	ds_read2_b64 v[42:45], v36 offset0:75 offset1:76
	buffer_load_dword v230, off, s[0:3], 0 offset:304
	buffer_load_dword v231, off, s[0:3], 0 offset:308
	;; [unrolled: 1-line block ×10, first 2 shown]
	s_waitcnt lgkmcnt(1)
	v_mul_f32_e32 v46, v38, v127
	v_fmac_f32_e32 v46, v39, v126
	v_add_f32_e32 v35, v35, v46
	v_mul_f32_e32 v46, v40, v129
	v_fmac_f32_e32 v46, v41, v128
	v_add_f32_e32 v35, v35, v46
	s_waitcnt lgkmcnt(0)
	v_mul_f32_e32 v46, v42, v131
	v_fmac_f32_e32 v46, v43, v130
	v_add_f32_e32 v35, v35, v46
	buffer_load_dword v240, off, s[0:3], 0 offset:344
	buffer_load_dword v241, off, s[0:3], 0 offset:348
	;; [unrolled: 1-line block ×6, first 2 shown]
	ds_read2_b64 v[46:49], v36 offset0:77 offset1:78
	s_waitcnt vmcnt(46)
	v_mul_f32_e32 v50, v44, v135
	v_fmac_f32_e32 v50, v45, v134
	v_add_f32_e32 v35, v35, v50
	ds_read2_b64 v[50:53], v36 offset0:79 offset1:80
	s_waitcnt vmcnt(44) lgkmcnt(1)
	v_mul_f32_e32 v54, v46, v201
	v_fmac_f32_e32 v54, v47, v200
	v_add_f32_e32 v35, v35, v54
	s_waitcnt vmcnt(42)
	v_mul_f32_e32 v54, v48, v203
	v_fmac_f32_e32 v54, v49, v202
	v_add_f32_e32 v35, v35, v54
	s_waitcnt vmcnt(40) lgkmcnt(0)
	v_mul_f32_e32 v54, v50, v205
	v_fmac_f32_e32 v54, v51, v204
	v_add_f32_e32 v35, v35, v54
	ds_read2_b64 v[54:57], v36 offset0:81 offset1:82
	s_waitcnt vmcnt(38)
	v_mul_f32_e32 v58, v52, v207
	v_fmac_f32_e32 v58, v53, v206
	v_add_f32_e32 v35, v35, v58
	ds_read2_b64 v[58:61], v36 offset0:83 offset1:84
	s_waitcnt vmcnt(36) lgkmcnt(1)
	v_mul_f32_e32 v62, v54, v209
	v_fmac_f32_e32 v62, v55, v208
	v_add_f32_e32 v35, v35, v62
	s_waitcnt vmcnt(34)
	v_mul_f32_e32 v62, v56, v211
	v_fmac_f32_e32 v62, v57, v210
	v_add_f32_e32 v35, v35, v62
	s_waitcnt vmcnt(32) lgkmcnt(0)
	v_mul_f32_e32 v62, v58, v213
	v_fmac_f32_e32 v62, v59, v212
	v_add_f32_e32 v35, v35, v62
	;; [unrolled: 18-line block ×3, first 2 shown]
	ds_read2_b64 v[70:73], v36 offset0:89 offset1:90
	s_waitcnt vmcnt(22)
	v_mul_f32_e32 v74, v68, v223
	v_fmac_f32_e32 v74, v69, v222
	v_add_f32_e32 v35, v35, v74
	ds_read2_b64 v[74:77], v36 offset0:91 offset1:92
	s_waitcnt vmcnt(20) lgkmcnt(1)
	v_mul_f32_e32 v78, v70, v225
	v_fmac_f32_e32 v78, v71, v224
	v_add_f32_e32 v35, v35, v78
	v_mul_f32_e32 v23, v23, v33
	v_fma_f32 v22, v22, v116, -v23
	v_mul_f32_e32 v23, v25, v32
	v_add_f32_e32 v22, 0, v22
	v_fma_f32 v23, v24, v115, -v23
	v_mul_f32_e32 v19, v19, v34
	v_add_f32_e32 v22, v22, v23
	v_fma_f32 v18, v18, v114, -v19
	v_mul_f32_e32 v19, v21, v31
	s_waitcnt vmcnt(18)
	v_mul_f32_e32 v78, v72, v227
	v_fmac_f32_e32 v78, v73, v226
	v_add_f32_e32 v35, v35, v78
	s_waitcnt vmcnt(16) lgkmcnt(0)
	v_mul_f32_e32 v78, v74, v229
	v_fmac_f32_e32 v78, v75, v228
	v_add_f32_e32 v35, v35, v78
	ds_read2_b64 v[78:81], v36 offset0:93 offset1:94
	s_waitcnt vmcnt(14)
	v_mul_f32_e32 v82, v76, v231
	v_fmac_f32_e32 v82, v77, v230
	v_add_f32_e32 v35, v35, v82
	ds_read2_b64 v[82:85], v36 offset0:95 offset1:96
	s_waitcnt vmcnt(12) lgkmcnt(1)
	v_mul_f32_e32 v86, v78, v233
	v_fmac_f32_e32 v86, v79, v232
	v_add_f32_e32 v35, v35, v86
	s_waitcnt vmcnt(10)
	v_mul_f32_e32 v86, v80, v235
	v_fmac_f32_e32 v86, v81, v234
	v_add_f32_e32 v35, v35, v86
	s_waitcnt vmcnt(8) lgkmcnt(0)
	v_mul_f32_e32 v86, v82, v237
	v_fmac_f32_e32 v86, v83, v236
	s_waitcnt vmcnt(6)
	v_mul_f32_e32 v90, v84, v239
	v_add_f32_e32 v35, v35, v86
	v_fmac_f32_e32 v90, v85, v238
	ds_read2_b64 v[86:89], v36 offset0:97 offset1:98
	v_add_f32_e32 v35, v35, v90
	ds_read2_b64 v[90:93], v36 offset0:99 offset1:100
	buffer_load_dword v99, off, s[0:3], 0 offset:396
	buffer_load_dword v98, off, s[0:3], 0 offset:392
	;; [unrolled: 1-line block ×16, first 2 shown]
	v_add_f32_e32 v18, v22, v18
	v_fma_f32 v19, v20, v120, -v19
	v_mul_f32_e32 v15, v15, v30
	v_add_f32_e32 v18, v18, v19
	v_fma_f32 v14, v14, v119, -v15
	v_mul_f32_e32 v15, v17, v28
	;; [unrolled: 3-line block ×8, first 2 shown]
	v_add_f32_e32 v2, v6, v2
	v_fma_f32 v3, v4, v133, -v3
	v_add_f32_e32 v2, v2, v3
	v_mul_f32_e32 v3, v39, v127
	v_fma_f32 v3, v38, v126, -v3
	v_add_f32_e32 v2, v2, v3
	v_mul_f32_e32 v3, v41, v129
	;; [unrolled: 3-line block ×24, first 2 shown]
	v_fma_f32 v3, v84, v238, -v3
	v_add_f32_e32 v2, v2, v3
	s_waitcnt vmcnt(20) lgkmcnt(1)
	v_mul_f32_e32 v3, v87, v241
	v_mul_f32_e32 v95, v86, v241
	v_fma_f32 v3, v86, v240, -v3
	v_fmac_f32_e32 v95, v87, v240
	v_add_f32_e32 v34, v2, v3
	s_waitcnt vmcnt(18)
	v_mul_f32_e32 v2, v89, v243
	s_waitcnt vmcnt(9)
	v_mov_b32_e32 v18, v105
	v_add_f32_e32 v35, v35, v95
	v_mul_f32_e32 v95, v88, v243
	v_fma_f32 v94, v88, v242, -v2
	s_waitcnt lgkmcnt(0)
	v_mul_f32_e32 v2, v91, v245
	v_pk_mul_f32 v[18:19], v[92:93], v[18:19] op_sel_hi:[1,0]
	v_fmac_f32_e32 v95, v89, v242
	v_mul_f32_e32 v97, v90, v245
	v_fma_f32 v96, v90, v244, -v2
	ds_read2_b64 v[2:5], v36 offset0:101 offset1:102
	ds_read2_b64 v[6:9], v36 offset0:103 offset1:104
	;; [unrolled: 1-line block ×3, first 2 shown]
	ds_read_b64 v[14:15], v36 offset:856
	s_waitcnt vmcnt(8)
	v_pk_fma_f32 v[20:21], v[92:93], v[104:105], v[18:19] op_sel:[0,0,1] op_sel_hi:[1,1,0] neg_lo:[0,0,1] neg_hi:[0,0,1]
	v_pk_fma_f32 v[18:19], v[92:93], v[104:105], v[18:19] op_sel:[0,0,1] op_sel_hi:[1,0,0]
	v_fmac_f32_e32 v97, v91, v244
	v_pk_add_f32 v[16:17], v[34:35], v[94:95]
	v_mov_b32_e32 v18, v103
	v_pk_add_f32 v[16:17], v[16:17], v[96:97]
	v_mov_b32_e32 v21, v19
	s_waitcnt lgkmcnt(3)
	v_pk_mul_f32 v[18:19], v[2:3], v[18:19] op_sel_hi:[1,0]
	v_pk_add_f32 v[16:17], v[16:17], v[20:21]
	v_pk_fma_f32 v[20:21], v[2:3], v[102:103], v[18:19] op_sel:[0,0,1] op_sel_hi:[1,1,0] neg_lo:[0,0,1] neg_hi:[0,0,1]
	v_pk_fma_f32 v[2:3], v[2:3], v[102:103], v[18:19] op_sel:[0,0,1] op_sel_hi:[1,0,0]
	v_mov_b32_e32 v21, v3
	v_pk_add_f32 v[2:3], v[16:17], v[20:21]
	v_mov_b32_e32 v16, v101
	v_pk_mul_f32 v[16:17], v[4:5], v[16:17] op_sel_hi:[1,0]
	v_pk_fma_f32 v[18:19], v[4:5], v[100:101], v[16:17] op_sel:[0,0,1] op_sel_hi:[1,1,0] neg_lo:[0,0,1] neg_hi:[0,0,1]
	v_pk_fma_f32 v[4:5], v[4:5], v[100:101], v[16:17] op_sel:[0,0,1] op_sel_hi:[1,0,0]
	v_mov_b32_e32 v4, v99
	v_mov_b32_e32 v19, v5
	s_waitcnt lgkmcnt(2)
	v_pk_mul_f32 v[4:5], v[6:7], v[4:5] op_sel_hi:[1,0]
	v_pk_fma_f32 v[16:17], v[6:7], v[98:99], v[4:5] op_sel:[0,0,1] op_sel_hi:[1,1,0] neg_lo:[0,0,1] neg_hi:[0,0,1]
	v_pk_fma_f32 v[4:5], v[6:7], v[98:99], v[4:5] op_sel:[0,0,1] op_sel_hi:[1,0,0]
	s_waitcnt vmcnt(1)
	v_mov_b32_e32 v4, v113
	v_mov_b32_e32 v17, v5
	v_pk_mul_f32 v[4:5], v[8:9], v[4:5] op_sel_hi:[1,0]
	s_waitcnt vmcnt(0)
	v_pk_fma_f32 v[6:7], v[8:9], v[112:113], v[4:5] op_sel:[0,0,1] op_sel_hi:[1,1,0] neg_lo:[0,0,1] neg_hi:[0,0,1]
	v_pk_fma_f32 v[4:5], v[8:9], v[112:113], v[4:5] op_sel:[0,0,1] op_sel_hi:[1,0,0]
	v_pk_add_f32 v[2:3], v[2:3], v[18:19]
	v_mov_b32_e32 v4, v111
	v_pk_add_f32 v[2:3], v[2:3], v[16:17]
	v_mov_b32_e32 v7, v5
	s_waitcnt lgkmcnt(1)
	v_pk_mul_f32 v[4:5], v[10:11], v[4:5] op_sel_hi:[1,0]
	v_pk_add_f32 v[2:3], v[2:3], v[6:7]
	v_pk_fma_f32 v[6:7], v[10:11], v[110:111], v[4:5] op_sel:[0,0,1] op_sel_hi:[1,1,0] neg_lo:[0,0,1] neg_hi:[0,0,1]
	v_pk_fma_f32 v[4:5], v[10:11], v[110:111], v[4:5] op_sel:[0,0,1] op_sel_hi:[1,0,0]
	v_mov_b32_e32 v4, v109
	v_mov_b32_e32 v7, v5
	v_pk_mul_f32 v[4:5], v[12:13], v[4:5] op_sel_hi:[1,0]
	v_pk_add_f32 v[2:3], v[2:3], v[6:7]
	v_pk_fma_f32 v[6:7], v[12:13], v[108:109], v[4:5] op_sel:[0,0,1] op_sel_hi:[1,1,0] neg_lo:[0,0,1] neg_hi:[0,0,1]
	v_pk_fma_f32 v[4:5], v[12:13], v[108:109], v[4:5] op_sel:[0,0,1] op_sel_hi:[1,0,0]
	v_mov_b32_e32 v4, v107
	v_mov_b32_e32 v7, v5
	s_waitcnt lgkmcnt(0)
	v_pk_mul_f32 v[4:5], v[14:15], v[4:5] op_sel_hi:[1,0]
	v_pk_add_f32 v[2:3], v[2:3], v[6:7]
	v_pk_fma_f32 v[6:7], v[14:15], v[106:107], v[4:5] op_sel:[0,0,1] op_sel_hi:[1,1,0] neg_lo:[0,0,1] neg_hi:[0,0,1]
	v_pk_fma_f32 v[4:5], v[14:15], v[106:107], v[4:5] op_sel:[0,0,1] op_sel_hi:[1,0,0]
	v_mov_b32_e32 v7, v5
	v_pk_add_f32 v[2:3], v[2:3], v[6:7]
	v_pk_add_f32 v[2:3], v[26:27], v[2:3] neg_lo:[0,1] neg_hi:[0,1]
	buffer_store_dword v3, off, s[0:3], 0 offset:52
	buffer_store_dword v2, off, s[0:3], 0 offset:48
	s_and_saveexec_b64 s[4:5], vcc
	s_cbranch_execz .LBB53_327
; %bb.326:
	buffer_load_dword v2, off, s[0:3], 0 offset:40
	buffer_load_dword v3, off, s[0:3], 0 offset:44
	s_waitcnt vmcnt(0)
	ds_write_b64 v143, v[2:3]
	buffer_store_dword v36, off, s[0:3], 0 offset:40
	buffer_store_dword v36, off, s[0:3], 0 offset:44
.LBB53_327:
	s_or_b64 exec, exec, s[4:5]
	s_waitcnt lgkmcnt(0)
	; wave barrier
	s_waitcnt lgkmcnt(0)
	buffer_load_dword v42, off, s[0:3], 0 offset:52
	buffer_load_dword v41, off, s[0:3], 0 offset:60
	;; [unrolled: 1-line block ×32, first 2 shown]
	ds_read_b128 v[22:25], v36 offset:480
	ds_read_b128 v[18:21], v36 offset:496
	;; [unrolled: 1-line block ×6, first 2 shown]
	buffer_load_dword v134, off, s[0:3], 0 offset:168
	buffer_load_dword v135, off, s[0:3], 0 offset:172
	;; [unrolled: 1-line block ×26, first 2 shown]
	v_cmp_lt_u32_e32 vcc, 4, v0
	s_waitcnt vmcnt(57) lgkmcnt(5)
	v_mul_f32_e32 v26, v22, v42
	s_waitcnt vmcnt(56)
	v_mul_f32_e32 v27, v24, v41
	s_waitcnt vmcnt(55) lgkmcnt(4)
	v_mul_f32_e32 v29, v20, v40
	s_waitcnt vmcnt(54) lgkmcnt(3)
	v_mul_f32_e32 v30, v14, v39
	s_waitcnt vmcnt(53)
	v_mul_f32_e32 v31, v16, v37
	s_waitcnt vmcnt(52)
	v_mul_f32_e32 v28, v18, v43
	s_waitcnt vmcnt(51) lgkmcnt(2)
	v_mul_f32_e32 v32, v10, v38
	s_waitcnt vmcnt(50)
	v_mul_f32_e32 v33, v12, v44
	s_waitcnt vmcnt(49) lgkmcnt(1)
	;; [unrolled: 4-line block ×3, first 2 shown]
	v_mul_f32_e32 v47, v2, v114
	s_waitcnt vmcnt(46)
	v_fmac_f32_e32 v28, v19, v115
	s_waitcnt vmcnt(45)
	v_fmac_f32_e32 v27, v25, v116
	;; [unrolled: 2-line block ×3, first 2 shown]
	v_add_f32_e32 v26, 0, v26
	v_add_f32_e32 v26, v26, v27
	;; [unrolled: 1-line block ×3, first 2 shown]
	s_waitcnt vmcnt(40)
	v_fmac_f32_e32 v29, v21, v121
	v_fmac_f32_e32 v30, v15, v120
	v_add_f32_e32 v26, v26, v29
	v_fmac_f32_e32 v31, v17, v119
	v_add_f32_e32 v26, v26, v30
	;; [unrolled: 2-line block ×3, first 2 shown]
	s_waitcnt vmcnt(36)
	v_fmac_f32_e32 v33, v13, v125
	v_add_f32_e32 v26, v26, v32
	v_fmac_f32_e32 v45, v7, v124
	v_add_f32_e32 v26, v26, v33
	;; [unrolled: 2-line block ×4, first 2 shown]
	s_waitcnt vmcnt(30)
	v_mul_f32_e32 v27, v4, v131
	v_add_f32_e32 v26, v26, v47
	s_waitcnt vmcnt(29)
	v_fmac_f32_e32 v27, v5, v132
	v_add_f32_e32 v45, v26, v27
	ds_read_b128 v[26:29], v36 offset:576
	buffer_load_dword v224, off, s[0:3], 0 offset:272
	buffer_load_dword v225, off, s[0:3], 0 offset:276
	ds_read_b128 v[30:33], v36 offset:592
	buffer_load_dword v226, off, s[0:3], 0 offset:280
	buffer_load_dword v227, off, s[0:3], 0 offset:284
	;; [unrolled: 1-line block ×14, first 2 shown]
	s_waitcnt vmcnt(44) lgkmcnt(1)
	v_mul_f32_e32 v46, v26, v133
	v_fmac_f32_e32 v46, v27, v130
	v_add_f32_e32 v45, v45, v46
	v_mul_f32_e32 v46, v28, v127
	v_fmac_f32_e32 v46, v29, v126
	v_add_f32_e32 v45, v45, v46
	s_waitcnt lgkmcnt(0)
	v_mul_f32_e32 v46, v30, v129
	v_fmac_f32_e32 v46, v31, v128
	v_add_f32_e32 v45, v45, v46
	buffer_load_dword v240, off, s[0:3], 0 offset:336
	buffer_load_dword v241, off, s[0:3], 0 offset:340
	ds_read_b128 v[46:49], v36 offset:608
	s_waitcnt vmcnt(42)
	v_mul_f32_e32 v50, v32, v135
	v_fmac_f32_e32 v50, v33, v134
	buffer_load_dword v242, off, s[0:3], 0 offset:344
	buffer_load_dword v243, off, s[0:3], 0 offset:348
	v_add_f32_e32 v45, v45, v50
	buffer_load_dword v244, off, s[0:3], 0 offset:352
	buffer_load_dword v245, off, s[0:3], 0 offset:356
	ds_read_b128 v[50:53], v36 offset:624
	s_waitcnt vmcnt(44) lgkmcnt(1)
	v_mul_f32_e32 v54, v46, v201
	v_fmac_f32_e32 v54, v47, v200
	v_add_f32_e32 v45, v45, v54
	s_waitcnt vmcnt(42)
	v_mul_f32_e32 v54, v48, v203
	v_fmac_f32_e32 v54, v49, v202
	v_add_f32_e32 v45, v45, v54
	s_waitcnt vmcnt(40) lgkmcnt(0)
	v_mul_f32_e32 v54, v50, v205
	v_fmac_f32_e32 v54, v51, v204
	buffer_load_dword v246, off, s[0:3], 0 offset:360
	buffer_load_dword v247, off, s[0:3], 0 offset:364
	v_add_f32_e32 v45, v45, v54
	ds_read_b128 v[54:57], v36 offset:640
	s_waitcnt vmcnt(40)
	v_mul_f32_e32 v58, v52, v207
	v_fmac_f32_e32 v58, v53, v206
	v_add_f32_e32 v45, v45, v58
	ds_read_b128 v[58:61], v36 offset:656
	s_waitcnt vmcnt(38) lgkmcnt(1)
	v_mul_f32_e32 v62, v54, v209
	v_fmac_f32_e32 v62, v55, v208
	v_add_f32_e32 v45, v45, v62
	s_waitcnt vmcnt(36)
	v_mul_f32_e32 v62, v56, v211
	v_fmac_f32_e32 v62, v57, v210
	v_add_f32_e32 v45, v45, v62
	s_waitcnt vmcnt(34) lgkmcnt(0)
	v_mul_f32_e32 v62, v58, v213
	v_fmac_f32_e32 v62, v59, v212
	v_add_f32_e32 v45, v45, v62
	ds_read_b128 v[62:65], v36 offset:672
	s_waitcnt vmcnt(32)
	v_mul_f32_e32 v66, v60, v215
	v_fmac_f32_e32 v66, v61, v214
	v_add_f32_e32 v45, v45, v66
	ds_read_b128 v[66:69], v36 offset:688
	s_waitcnt vmcnt(30) lgkmcnt(1)
	v_mul_f32_e32 v70, v62, v217
	v_fmac_f32_e32 v70, v63, v216
	v_add_f32_e32 v45, v45, v70
	s_waitcnt vmcnt(28)
	v_mul_f32_e32 v70, v64, v219
	v_fmac_f32_e32 v70, v65, v218
	v_add_f32_e32 v45, v45, v70
	s_waitcnt vmcnt(26) lgkmcnt(0)
	v_mul_f32_e32 v70, v66, v221
	v_fmac_f32_e32 v70, v67, v220
	v_add_f32_e32 v45, v45, v70
	ds_read_b128 v[70:73], v36 offset:704
	s_waitcnt vmcnt(24)
	v_mul_f32_e32 v74, v68, v223
	v_fmac_f32_e32 v74, v69, v222
	v_add_f32_e32 v45, v45, v74
	ds_read_b128 v[74:77], v36 offset:720
	v_mul_f32_e32 v23, v23, v42
	v_fma_f32 v22, v22, v117, -v23
	v_mul_f32_e32 v23, v25, v41
	v_add_f32_e32 v22, 0, v22
	v_fma_f32 v23, v24, v116, -v23
	v_mul_f32_e32 v19, v19, v43
	v_add_f32_e32 v22, v22, v23
	;; [unrolled: 3-line block ×3, first 2 shown]
	v_fma_f32 v19, v20, v121, -v19
	s_waitcnt vmcnt(22) lgkmcnt(1)
	v_mul_f32_e32 v78, v70, v225
	v_fmac_f32_e32 v78, v71, v224
	v_add_f32_e32 v45, v45, v78
	s_waitcnt vmcnt(20)
	v_mul_f32_e32 v78, v72, v227
	v_fmac_f32_e32 v78, v73, v226
	v_add_f32_e32 v45, v45, v78
	s_waitcnt vmcnt(18) lgkmcnt(0)
	v_mul_f32_e32 v78, v74, v229
	v_fmac_f32_e32 v78, v75, v228
	v_add_f32_e32 v45, v45, v78
	ds_read_b128 v[78:81], v36 offset:736
	s_waitcnt vmcnt(16)
	v_mul_f32_e32 v82, v76, v231
	v_fmac_f32_e32 v82, v77, v230
	v_add_f32_e32 v45, v45, v82
	ds_read_b128 v[82:85], v36 offset:752
	s_waitcnt vmcnt(14) lgkmcnt(1)
	v_mul_f32_e32 v86, v78, v233
	v_fmac_f32_e32 v86, v79, v232
	v_add_f32_e32 v45, v45, v86
	s_waitcnt vmcnt(12)
	v_mul_f32_e32 v86, v80, v235
	v_fmac_f32_e32 v86, v81, v234
	v_add_f32_e32 v45, v45, v86
	s_waitcnt vmcnt(10) lgkmcnt(0)
	v_mul_f32_e32 v86, v82, v237
	v_fmac_f32_e32 v86, v83, v236
	s_waitcnt vmcnt(8)
	v_mul_f32_e32 v90, v84, v239
	v_add_f32_e32 v45, v45, v86
	v_fmac_f32_e32 v90, v85, v238
	ds_read_b128 v[86:89], v36 offset:768
	v_add_f32_e32 v45, v45, v90
	ds_read_b128 v[90:93], v36 offset:784
	buffer_load_dword v97, off, s[0:3], 0 offset:388
	buffer_load_dword v96, off, s[0:3], 0 offset:384
	;; [unrolled: 1-line block ×16, first 2 shown]
	v_mul_f32_e32 v15, v15, v39
	v_add_f32_e32 v18, v18, v19
	v_fma_f32 v14, v14, v120, -v15
	v_mul_f32_e32 v15, v17, v37
	v_add_f32_e32 v14, v18, v14
	v_fma_f32 v15, v16, v119, -v15
	;; [unrolled: 3-line block ×8, first 2 shown]
	v_add_f32_e32 v2, v2, v3
	v_mul_f32_e32 v3, v27, v133
	v_fma_f32 v3, v26, v130, -v3
	v_add_f32_e32 v2, v2, v3
	v_mul_f32_e32 v3, v29, v127
	v_fma_f32 v3, v28, v126, -v3
	;; [unrolled: 3-line block ×24, first 2 shown]
	v_add_f32_e32 v2, v2, v3
	s_waitcnt vmcnt(22) lgkmcnt(1)
	v_mul_f32_e32 v3, v87, v241
	v_fma_f32 v3, v86, v240, -v3
	v_add_f32_e32 v2, v2, v3
	s_waitcnt vmcnt(20)
	v_mul_f32_e32 v3, v89, v243
	v_mul_f32_e32 v95, v86, v241
	v_fma_f32 v3, v88, v242, -v3
	v_fmac_f32_e32 v95, v87, v240
	v_add_f32_e32 v44, v2, v3
	s_waitcnt vmcnt(18) lgkmcnt(0)
	v_mul_f32_e32 v2, v91, v245
	v_add_f32_e32 v45, v45, v95
	v_mul_f32_e32 v95, v88, v243
	v_fma_f32 v94, v90, v244, -v2
	s_waitcnt vmcnt(16)
	v_mul_f32_e32 v2, v93, v247
	v_fmac_f32_e32 v95, v89, v242
	v_fma_f32 v102, v92, v246, -v2
	ds_read_b128 v[2:5], v36 offset:800
	ds_read_b128 v[6:9], v36 offset:816
	;; [unrolled: 1-line block ×4, first 2 shown]
	v_add_f32_e32 v45, v45, v95
	v_mul_f32_e32 v95, v90, v245
	s_waitcnt vmcnt(11)
	v_mov_b32_e32 v20, v101
	v_fmac_f32_e32 v95, v91, v244
	v_mul_f32_e32 v103, v92, v247
	s_waitcnt lgkmcnt(3)
	v_pk_mul_f32 v[20:21], v[2:3], v[20:21] op_sel_hi:[1,0]
	v_fmac_f32_e32 v103, v93, v246
	v_pk_add_f32 v[18:19], v[44:45], v[94:95]
	s_waitcnt vmcnt(10)
	v_pk_fma_f32 v[22:23], v[2:3], v[100:101], v[20:21] op_sel:[0,0,1] op_sel_hi:[1,1,0] neg_lo:[0,0,1] neg_hi:[0,0,1]
	v_pk_fma_f32 v[2:3], v[2:3], v[100:101], v[20:21] op_sel:[0,0,1] op_sel_hi:[1,0,0]
	v_pk_add_f32 v[18:19], v[18:19], v[102:103]
	v_mov_b32_e32 v23, v3
	v_pk_add_f32 v[2:3], v[18:19], v[22:23]
	v_mov_b32_e32 v18, v99
	v_pk_mul_f32 v[18:19], v[4:5], v[18:19] op_sel_hi:[1,0]
	v_pk_fma_f32 v[20:21], v[4:5], v[98:99], v[18:19] op_sel:[0,0,1] op_sel_hi:[1,1,0] neg_lo:[0,0,1] neg_hi:[0,0,1]
	v_pk_fma_f32 v[4:5], v[4:5], v[98:99], v[18:19] op_sel:[0,0,1] op_sel_hi:[1,0,0]
	v_mov_b32_e32 v4, v97
	v_mov_b32_e32 v21, v5
	s_waitcnt lgkmcnt(2)
	v_pk_mul_f32 v[4:5], v[6:7], v[4:5] op_sel_hi:[1,0]
	v_pk_fma_f32 v[18:19], v[6:7], v[96:97], v[4:5] op_sel:[0,0,1] op_sel_hi:[1,1,0] neg_lo:[0,0,1] neg_hi:[0,0,1]
	v_pk_fma_f32 v[4:5], v[6:7], v[96:97], v[4:5] op_sel:[0,0,1] op_sel_hi:[1,0,0]
	s_waitcnt vmcnt(3)
	v_mov_b32_e32 v4, v111
	v_mov_b32_e32 v19, v5
	v_pk_mul_f32 v[4:5], v[8:9], v[4:5] op_sel_hi:[1,0]
	s_waitcnt vmcnt(2)
	v_pk_fma_f32 v[6:7], v[8:9], v[110:111], v[4:5] op_sel:[0,0,1] op_sel_hi:[1,1,0] neg_lo:[0,0,1] neg_hi:[0,0,1]
	v_pk_fma_f32 v[4:5], v[8:9], v[110:111], v[4:5] op_sel:[0,0,1] op_sel_hi:[1,0,0]
	v_pk_add_f32 v[2:3], v[2:3], v[20:21]
	v_mov_b32_e32 v4, v109
	v_pk_add_f32 v[2:3], v[2:3], v[18:19]
	v_mov_b32_e32 v7, v5
	s_waitcnt lgkmcnt(1)
	v_pk_mul_f32 v[4:5], v[10:11], v[4:5] op_sel_hi:[1,0]
	v_pk_add_f32 v[2:3], v[2:3], v[6:7]
	v_pk_fma_f32 v[6:7], v[10:11], v[108:109], v[4:5] op_sel:[0,0,1] op_sel_hi:[1,1,0] neg_lo:[0,0,1] neg_hi:[0,0,1]
	v_pk_fma_f32 v[4:5], v[10:11], v[108:109], v[4:5] op_sel:[0,0,1] op_sel_hi:[1,0,0]
	v_mov_b32_e32 v4, v107
	v_mov_b32_e32 v7, v5
	v_pk_mul_f32 v[4:5], v[12:13], v[4:5] op_sel_hi:[1,0]
	v_pk_add_f32 v[2:3], v[2:3], v[6:7]
	v_pk_fma_f32 v[6:7], v[12:13], v[106:107], v[4:5] op_sel:[0,0,1] op_sel_hi:[1,1,0] neg_lo:[0,0,1] neg_hi:[0,0,1]
	v_pk_fma_f32 v[4:5], v[12:13], v[106:107], v[4:5] op_sel:[0,0,1] op_sel_hi:[1,0,0]
	v_mov_b32_e32 v4, v105
	v_mov_b32_e32 v7, v5
	s_waitcnt lgkmcnt(0)
	v_pk_mul_f32 v[4:5], v[14:15], v[4:5] op_sel_hi:[1,0]
	v_pk_add_f32 v[2:3], v[2:3], v[6:7]
	v_pk_fma_f32 v[6:7], v[14:15], v[104:105], v[4:5] op_sel:[0,0,1] op_sel_hi:[1,1,0] neg_lo:[0,0,1] neg_hi:[0,0,1]
	v_pk_fma_f32 v[4:5], v[14:15], v[104:105], v[4:5] op_sel:[0,0,1] op_sel_hi:[1,0,0]
	s_waitcnt vmcnt(1)
	v_mov_b32_e32 v4, v113
	v_mov_b32_e32 v7, v5
	v_pk_mul_f32 v[4:5], v[16:17], v[4:5] op_sel_hi:[1,0]
	v_pk_add_f32 v[2:3], v[2:3], v[6:7]
	s_waitcnt vmcnt(0)
	v_pk_fma_f32 v[6:7], v[16:17], v[112:113], v[4:5] op_sel:[0,0,1] op_sel_hi:[1,1,0] neg_lo:[0,0,1] neg_hi:[0,0,1]
	v_pk_fma_f32 v[4:5], v[16:17], v[112:113], v[4:5] op_sel:[0,0,1] op_sel_hi:[1,0,0]
	v_mov_b32_e32 v7, v5
	v_pk_add_f32 v[2:3], v[2:3], v[6:7]
	v_pk_add_f32 v[2:3], v[34:35], v[2:3] neg_lo:[0,1] neg_hi:[0,1]
	buffer_store_dword v3, off, s[0:3], 0 offset:44
	buffer_store_dword v2, off, s[0:3], 0 offset:40
	s_and_saveexec_b64 s[4:5], vcc
	s_cbranch_execz .LBB53_329
; %bb.328:
	buffer_load_dword v2, off, s[0:3], 0 offset:32
	buffer_load_dword v3, off, s[0:3], 0 offset:36
	v_mov_b32_e32 v4, 0
	buffer_store_dword v4, off, s[0:3], 0 offset:32
	buffer_store_dword v4, off, s[0:3], 0 offset:36
	s_waitcnt vmcnt(2)
	ds_write_b64 v143, v[2:3]
.LBB53_329:
	s_or_b64 exec, exec, s[4:5]
	v_mov_b32_e32 v218, 0
	s_waitcnt lgkmcnt(0)
	; wave barrier
	s_waitcnt lgkmcnt(0)
	ds_read2_b64 v[2:5], v218 offset0:59 offset1:60
	buffer_load_dword v86, off, s[0:3], 0 offset:32
	buffer_load_dword v87, off, s[0:3], 0 offset:36
	;; [unrolled: 1-line block ×16, first 2 shown]
	v_cmp_lt_u32_e32 vcc, 3, v0
	s_waitcnt vmcnt(12) lgkmcnt(0)
	v_mul_f32_e32 v6, v2, v219
	v_fmac_f32_e32 v6, v3, v88
	s_waitcnt vmcnt(10)
	v_mul_f32_e32 v7, v4, v221
	v_add_f32_e32 v6, 0, v6
	v_fmac_f32_e32 v7, v5, v90
	v_add_f32_e32 v10, v6, v7
	ds_read2_b64 v[6:9], v218 offset0:61 offset1:62
	v_mul_f32_e32 v3, v3, v219
	v_fma_f32 v2, v2, v88, -v3
	v_mul_f32_e32 v3, v5, v221
	v_add_f32_e32 v2, 0, v2
	s_waitcnt vmcnt(8) lgkmcnt(0)
	v_mul_f32_e32 v11, v6, v223
	v_fmac_f32_e32 v11, v7, v202
	v_add_f32_e32 v10, v10, v11
	s_waitcnt vmcnt(6)
	v_mul_f32_e32 v11, v8, v225
	v_fmac_f32_e32 v11, v9, v220
	v_add_f32_e32 v14, v10, v11
	ds_read2_b64 v[10:13], v218 offset0:63 offset1:64
	v_fma_f32 v3, v4, v90, -v3
	v_add_f32_e32 v2, v2, v3
	v_mul_f32_e32 v3, v7, v223
	v_fma_f32 v3, v6, v202, -v3
	s_waitcnt vmcnt(4) lgkmcnt(0)
	v_mul_f32_e32 v15, v10, v227
	v_fmac_f32_e32 v15, v11, v222
	v_add_f32_e32 v14, v14, v15
	s_waitcnt vmcnt(2)
	v_mul_f32_e32 v15, v12, v228
	v_fmac_f32_e32 v15, v13, v224
	v_add_f32_e32 v18, v14, v15
	ds_read2_b64 v[14:17], v218 offset0:65 offset1:66
	buffer_load_dword v230, off, s[0:3], 0 offset:96
	buffer_load_dword v231, off, s[0:3], 0 offset:100
	v_add_f32_e32 v2, v2, v3
	v_mul_f32_e32 v3, v9, v225
	v_fma_f32 v3, v8, v220, -v3
	s_waitcnt vmcnt(2) lgkmcnt(0)
	v_mul_f32_e32 v19, v14, v229
	v_fmac_f32_e32 v19, v15, v226
	v_add_f32_e32 v18, v18, v19
	v_add_f32_e32 v2, v2, v3
	v_mul_f32_e32 v3, v11, v227
	v_fma_f32 v3, v10, v222, -v3
	v_add_f32_e32 v2, v2, v3
	v_mul_f32_e32 v3, v13, v228
	v_fma_f32 v3, v12, v224, -v3
	;; [unrolled: 3-line block ×3, first 2 shown]
	v_add_f32_e32 v2, v2, v3
	s_waitcnt vmcnt(0)
	v_mul_f32_e32 v19, v16, v231
	v_fmac_f32_e32 v19, v17, v230
	v_add_f32_e32 v22, v18, v19
	ds_read2_b64 v[18:21], v218 offset0:67 offset1:68
	buffer_load_dword v232, off, s[0:3], 0 offset:104
	buffer_load_dword v233, off, s[0:3], 0 offset:108
	;; [unrolled: 1-line block ×4, first 2 shown]
	v_mul_f32_e32 v3, v17, v231
	v_fma_f32 v3, v16, v230, -v3
	v_add_f32_e32 v2, v2, v3
	s_waitcnt vmcnt(2) lgkmcnt(0)
	v_mul_f32_e32 v23, v18, v233
	v_fmac_f32_e32 v23, v19, v232
	v_add_f32_e32 v22, v22, v23
	s_waitcnt vmcnt(0)
	v_mul_f32_e32 v23, v20, v235
	v_fmac_f32_e32 v23, v21, v234
	v_add_f32_e32 v26, v22, v23
	ds_read2_b64 v[22:25], v218 offset0:69 offset1:70
	buffer_load_dword v236, off, s[0:3], 0 offset:120
	buffer_load_dword v237, off, s[0:3], 0 offset:124
	;; [unrolled: 1-line block ×4, first 2 shown]
	v_mul_f32_e32 v3, v19, v233
	v_fma_f32 v3, v18, v232, -v3
	v_add_f32_e32 v2, v2, v3
	v_mul_f32_e32 v3, v21, v235
	v_fma_f32 v3, v20, v234, -v3
	v_add_f32_e32 v2, v2, v3
	s_waitcnt vmcnt(2) lgkmcnt(0)
	v_mul_f32_e32 v27, v22, v237
	v_fmac_f32_e32 v27, v23, v236
	v_add_f32_e32 v26, v26, v27
	s_waitcnt vmcnt(0)
	v_mul_f32_e32 v27, v24, v92
	v_fmac_f32_e32 v27, v25, v238
	v_add_f32_e32 v30, v26, v27
	ds_read2_b64 v[26:29], v218 offset0:71 offset1:72
	buffer_load_dword v93, off, s[0:3], 0 offset:136
	buffer_load_dword v94, off, s[0:3], 0 offset:140
	;; [unrolled: 1-line block ×4, first 2 shown]
	v_mul_f32_e32 v3, v23, v237
	v_fma_f32 v3, v22, v236, -v3
	v_add_f32_e32 v2, v2, v3
	v_mul_f32_e32 v3, v25, v92
	v_fma_f32 v3, v24, v238, -v3
	v_add_f32_e32 v2, v2, v3
	s_waitcnt vmcnt(2) lgkmcnt(0)
	v_mul_f32_e32 v31, v26, v94
	v_fmac_f32_e32 v31, v27, v93
	v_add_f32_e32 v30, v30, v31
	s_waitcnt vmcnt(0)
	v_mul_f32_e32 v31, v28, v96
	v_fmac_f32_e32 v31, v29, v95
	v_add_f32_e32 v34, v30, v31
	ds_read2_b64 v[30:33], v218 offset0:73 offset1:74
	buffer_load_dword v97, off, s[0:3], 0 offset:152
	buffer_load_dword v98, off, s[0:3], 0 offset:156
	buffer_load_dword v99, off, s[0:3], 0 offset:160
	buffer_load_dword v100, off, s[0:3], 0 offset:164
	ds_read2_b64 v[38:41], v218 offset0:75 offset1:76
	buffer_load_dword v101, off, s[0:3], 0 offset:168
	buffer_load_dword v102, off, s[0:3], 0 offset:172
	buffer_load_dword v103, off, s[0:3], 0 offset:176
	buffer_load_dword v104, off, s[0:3], 0 offset:180
	;; [unrolled: 5-line block ×13, first 2 shown]
	v_mul_f32_e32 v3, v27, v94
	v_fma_f32 v3, v26, v93, -v3
	v_add_f32_e32 v2, v2, v3
	v_mul_f32_e32 v3, v29, v96
	v_fma_f32 v3, v28, v95, -v3
	v_add_f32_e32 v2, v2, v3
	s_waitcnt vmcnt(50) lgkmcnt(12)
	v_mul_f32_e32 v35, v30, v98
	v_fmac_f32_e32 v35, v31, v97
	v_add_f32_e32 v34, v34, v35
	s_waitcnt vmcnt(48)
	v_mul_f32_e32 v35, v32, v100
	v_fmac_f32_e32 v35, v33, v99
	v_add_f32_e32 v34, v34, v35
	s_waitcnt vmcnt(46) lgkmcnt(11)
	v_mul_f32_e32 v35, v38, v102
	v_fmac_f32_e32 v35, v39, v101
	v_add_f32_e32 v34, v34, v35
	s_waitcnt vmcnt(44)
	v_mul_f32_e32 v35, v40, v104
	v_fmac_f32_e32 v35, v41, v103
	;; [unrolled: 8-line block ×12, first 2 shown]
	v_add_f32_e32 v34, v34, v35
	s_waitcnt vmcnt(2) lgkmcnt(0)
	v_mul_f32_e32 v35, v82, v249
	v_fmac_f32_e32 v35, v83, v248
	v_add_f32_e32 v89, v34, v35
	ds_read2_b64 v[34:37], v218 offset0:99 offset1:100
	buffer_load_dword v252, off, s[0:3], 0 offset:360
	buffer_load_dword v253, off, s[0:3], 0 offset:364
	;; [unrolled: 1-line block ×18, first 2 shown]
	v_mul_f32_e32 v3, v31, v98
	v_fma_f32 v3, v30, v97, -v3
	v_add_f32_e32 v2, v2, v3
	v_mul_f32_e32 v3, v33, v100
	v_fma_f32 v3, v32, v99, -v3
	v_add_f32_e32 v2, v2, v3
	;; [unrolled: 3-line block ×25, first 2 shown]
	s_waitcnt vmcnt(18)
	v_mul_f32_e32 v2, v85, v251
	s_waitcnt vmcnt(15)
	v_mov_b32_e32 v18, v201
	v_mul_f32_e32 v91, v84, v251
	v_fma_f32 v90, v84, v250, -v2
	s_waitcnt lgkmcnt(0)
	v_mul_f32_e32 v2, v35, v253
	v_pk_mul_f32 v[18:19], v[36:37], v[18:19] op_sel_hi:[1,0]
	v_fmac_f32_e32 v91, v85, v250
	v_mul_f32_e32 v203, v34, v253
	v_fma_f32 v202, v34, v252, -v2
	ds_read2_b64 v[2:5], v218 offset0:101 offset1:102
	ds_read2_b64 v[6:9], v218 offset0:103 offset1:104
	;; [unrolled: 1-line block ×3, first 2 shown]
	ds_read_b64 v[14:15], v218 offset:856
	s_waitcnt vmcnt(14)
	v_pk_fma_f32 v[20:21], v[36:37], v[200:201], v[18:19] op_sel:[0,0,1] op_sel_hi:[1,1,0] neg_lo:[0,0,1] neg_hi:[0,0,1]
	v_pk_fma_f32 v[18:19], v[36:37], v[200:201], v[18:19] op_sel:[0,0,1] op_sel_hi:[1,0,0]
	v_fmac_f32_e32 v203, v35, v252
	v_pk_add_f32 v[16:17], v[88:89], v[90:91]
	s_waitcnt vmcnt(13)
	v_mov_b32_e32 v18, v217
	v_pk_add_f32 v[16:17], v[16:17], v[202:203]
	v_mov_b32_e32 v21, v19
	s_waitcnt lgkmcnt(3)
	v_pk_mul_f32 v[18:19], v[2:3], v[18:19] op_sel_hi:[1,0]
	v_pk_add_f32 v[16:17], v[16:17], v[20:21]
	s_waitcnt vmcnt(12)
	v_pk_fma_f32 v[20:21], v[2:3], v[216:217], v[18:19] op_sel:[0,0,1] op_sel_hi:[1,1,0] neg_lo:[0,0,1] neg_hi:[0,0,1]
	v_pk_fma_f32 v[2:3], v[2:3], v[216:217], v[18:19] op_sel:[0,0,1] op_sel_hi:[1,0,0]
	v_mov_b32_e32 v21, v3
	v_pk_add_f32 v[2:3], v[16:17], v[20:21]
	s_waitcnt vmcnt(11)
	v_mov_b32_e32 v16, v215
	v_pk_mul_f32 v[16:17], v[4:5], v[16:17] op_sel_hi:[1,0]
	s_waitcnt vmcnt(10)
	v_pk_fma_f32 v[18:19], v[4:5], v[214:215], v[16:17] op_sel:[0,0,1] op_sel_hi:[1,1,0] neg_lo:[0,0,1] neg_hi:[0,0,1]
	v_pk_fma_f32 v[4:5], v[4:5], v[214:215], v[16:17] op_sel:[0,0,1] op_sel_hi:[1,0,0]
	s_waitcnt vmcnt(9)
	v_mov_b32_e32 v4, v213
	v_mov_b32_e32 v19, v5
	s_waitcnt lgkmcnt(2)
	v_pk_mul_f32 v[4:5], v[6:7], v[4:5] op_sel_hi:[1,0]
	s_waitcnt vmcnt(8)
	v_pk_fma_f32 v[16:17], v[6:7], v[212:213], v[4:5] op_sel:[0,0,1] op_sel_hi:[1,1,0] neg_lo:[0,0,1] neg_hi:[0,0,1]
	v_pk_fma_f32 v[4:5], v[6:7], v[212:213], v[4:5] op_sel:[0,0,1] op_sel_hi:[1,0,0]
	s_waitcnt vmcnt(7)
	v_mov_b32_e32 v4, v211
	v_mov_b32_e32 v17, v5
	v_pk_mul_f32 v[4:5], v[8:9], v[4:5] op_sel_hi:[1,0]
	s_waitcnt vmcnt(6)
	v_pk_fma_f32 v[6:7], v[8:9], v[210:211], v[4:5] op_sel:[0,0,1] op_sel_hi:[1,1,0] neg_lo:[0,0,1] neg_hi:[0,0,1]
	v_pk_fma_f32 v[4:5], v[8:9], v[210:211], v[4:5] op_sel:[0,0,1] op_sel_hi:[1,0,0]
	v_pk_add_f32 v[2:3], v[2:3], v[18:19]
	s_waitcnt vmcnt(5)
	v_mov_b32_e32 v4, v209
	v_pk_add_f32 v[2:3], v[2:3], v[16:17]
	v_mov_b32_e32 v7, v5
	s_waitcnt lgkmcnt(1)
	v_pk_mul_f32 v[4:5], v[10:11], v[4:5] op_sel_hi:[1,0]
	v_pk_add_f32 v[2:3], v[2:3], v[6:7]
	s_waitcnt vmcnt(4)
	v_pk_fma_f32 v[6:7], v[10:11], v[208:209], v[4:5] op_sel:[0,0,1] op_sel_hi:[1,1,0] neg_lo:[0,0,1] neg_hi:[0,0,1]
	v_pk_fma_f32 v[4:5], v[10:11], v[208:209], v[4:5] op_sel:[0,0,1] op_sel_hi:[1,0,0]
	s_waitcnt vmcnt(3)
	v_mov_b32_e32 v4, v207
	v_mov_b32_e32 v7, v5
	v_pk_mul_f32 v[4:5], v[12:13], v[4:5] op_sel_hi:[1,0]
	v_pk_add_f32 v[2:3], v[2:3], v[6:7]
	s_waitcnt vmcnt(2)
	v_pk_fma_f32 v[6:7], v[12:13], v[206:207], v[4:5] op_sel:[0,0,1] op_sel_hi:[1,1,0] neg_lo:[0,0,1] neg_hi:[0,0,1]
	v_pk_fma_f32 v[4:5], v[12:13], v[206:207], v[4:5] op_sel:[0,0,1] op_sel_hi:[1,0,0]
	s_waitcnt vmcnt(1)
	v_mov_b32_e32 v4, v205
	v_mov_b32_e32 v7, v5
	s_waitcnt lgkmcnt(0)
	v_pk_mul_f32 v[4:5], v[14:15], v[4:5] op_sel_hi:[1,0]
	v_pk_add_f32 v[2:3], v[2:3], v[6:7]
	s_waitcnt vmcnt(0)
	v_pk_fma_f32 v[6:7], v[14:15], v[204:205], v[4:5] op_sel:[0,0,1] op_sel_hi:[1,1,0] neg_lo:[0,0,1] neg_hi:[0,0,1]
	v_pk_fma_f32 v[4:5], v[14:15], v[204:205], v[4:5] op_sel:[0,0,1] op_sel_hi:[1,0,0]
	v_mov_b32_e32 v7, v5
	v_pk_add_f32 v[2:3], v[2:3], v[6:7]
	v_pk_add_f32 v[2:3], v[86:87], v[2:3] neg_lo:[0,1] neg_hi:[0,1]
	buffer_store_dword v3, off, s[0:3], 0 offset:36
	buffer_store_dword v2, off, s[0:3], 0 offset:32
	s_and_saveexec_b64 s[4:5], vcc
	s_cbranch_execz .LBB53_331
; %bb.330:
	buffer_load_dword v2, off, s[0:3], 0 offset:24
	buffer_load_dword v3, off, s[0:3], 0 offset:28
	s_waitcnt vmcnt(0)
	ds_write_b64 v143, v[2:3]
	buffer_store_dword v218, off, s[0:3], 0 offset:24
	buffer_store_dword v218, off, s[0:3], 0 offset:28
.LBB53_331:
	s_or_b64 exec, exec, s[4:5]
	s_waitcnt lgkmcnt(0)
	; wave barrier
	s_waitcnt lgkmcnt(0)
	buffer_load_dword v41, off, s[0:3], 0 offset:36
	buffer_load_dword v40, off, s[0:3], 0 offset:44
	;; [unrolled: 1-line block ×32, first 2 shown]
	ds_read_b128 v[22:25], v218 offset:464
	ds_read_b128 v[18:21], v218 offset:480
	;; [unrolled: 1-line block ×6, first 2 shown]
	buffer_load_dword v205, off, s[0:3], 0 offset:152
	buffer_load_dword v206, off, s[0:3], 0 offset:156
	;; [unrolled: 1-line block ×20, first 2 shown]
	v_cmp_lt_u32_e32 vcc, 2, v0
	s_waitcnt vmcnt(51) lgkmcnt(5)
	v_mul_f32_e32 v26, v22, v41
	s_waitcnt vmcnt(50)
	v_mul_f32_e32 v27, v24, v40
	s_waitcnt vmcnt(49) lgkmcnt(4)
	v_mul_f32_e32 v29, v20, v39
	s_waitcnt vmcnt(48) lgkmcnt(3)
	v_mul_f32_e32 v30, v14, v38
	s_waitcnt vmcnt(47)
	v_mul_f32_e32 v31, v16, v37
	s_waitcnt vmcnt(46) lgkmcnt(2)
	v_mul_f32_e32 v32, v10, v36
	s_waitcnt vmcnt(45)
	v_mul_f32_e32 v28, v18, v42
	s_waitcnt vmcnt(44)
	v_mul_f32_e32 v33, v12, v43
	s_waitcnt vmcnt(43) lgkmcnt(1)
	v_mul_f32_e32 v48, v6, v44
	s_waitcnt vmcnt(42)
	v_mul_f32_e32 v49, v8, v45
	s_waitcnt vmcnt(41) lgkmcnt(0)
	v_mul_f32_e32 v50, v2, v46
	s_waitcnt vmcnt(40)
	v_mul_f32_e32 v51, v4, v47
	s_waitcnt vmcnt(39)
	v_fmac_f32_e32 v28, v19, v106
	s_waitcnt vmcnt(38)
	v_fmac_f32_e32 v27, v25, v108
	;; [unrolled: 2-line block ×3, first 2 shown]
	v_add_f32_e32 v26, 0, v26
	v_add_f32_e32 v26, v26, v27
	;; [unrolled: 1-line block ×3, first 2 shown]
	s_waitcnt vmcnt(33)
	v_fmac_f32_e32 v29, v21, v129
	v_fmac_f32_e32 v30, v15, v128
	v_add_f32_e32 v26, v26, v29
	v_fmac_f32_e32 v31, v17, v127
	v_add_f32_e32 v26, v26, v30
	;; [unrolled: 2-line block ×3, first 2 shown]
	s_waitcnt vmcnt(29)
	v_fmac_f32_e32 v33, v13, v133
	v_add_f32_e32 v26, v26, v32
	v_fmac_f32_e32 v48, v7, v132
	v_add_f32_e32 v26, v26, v33
	;; [unrolled: 2-line block ×4, first 2 shown]
	v_add_f32_e32 v30, v26, v50
	ds_read_b128 v[26:29], v218 offset:560
	buffer_load_dword v226, off, s[0:3], 0 offset:232
	buffer_load_dword v227, off, s[0:3], 0 offset:236
	;; [unrolled: 1-line block ×4, first 2 shown]
	s_waitcnt vmcnt(28)
	v_fmac_f32_e32 v51, v5, v202
	v_add_f32_e32 v48, v30, v51
	ds_read_b128 v[30:33], v218 offset:576
	buffer_load_dword v230, off, s[0:3], 0 offset:248
	buffer_load_dword v231, off, s[0:3], 0 offset:252
	;; [unrolled: 1-line block ×12, first 2 shown]
	s_waitcnt vmcnt(39) lgkmcnt(1)
	v_mul_f32_e32 v49, v26, v203
	v_fmac_f32_e32 v49, v27, v201
	buffer_load_dword v242, off, s[0:3], 0 offset:296
	buffer_load_dword v243, off, s[0:3], 0 offset:300
	v_add_f32_e32 v48, v48, v49
	s_waitcnt vmcnt(40)
	v_mul_f32_e32 v49, v28, v204
	v_fmac_f32_e32 v49, v29, v200
	buffer_load_dword v244, off, s[0:3], 0 offset:304
	buffer_load_dword v245, off, s[0:3], 0 offset:308
	v_add_f32_e32 v48, v48, v49
	s_waitcnt lgkmcnt(0)
	v_mul_f32_e32 v49, v30, v135
	v_fmac_f32_e32 v49, v31, v134
	v_add_f32_e32 v52, v48, v49
	ds_read_b128 v[48:51], v218 offset:592
	buffer_load_dword v246, off, s[0:3], 0 offset:312
	buffer_load_dword v247, off, s[0:3], 0 offset:316
	s_waitcnt vmcnt(40)
	v_mul_f32_e32 v53, v32, v206
	v_fmac_f32_e32 v53, v33, v205
	v_add_f32_e32 v56, v52, v53
	ds_read_b128 v[52:55], v218 offset:608
	buffer_load_dword v248, off, s[0:3], 0 offset:320
	buffer_load_dword v249, off, s[0:3], 0 offset:324
	;; [unrolled: 1-line block ×8, first 2 shown]
	s_waitcnt vmcnt(46) lgkmcnt(1)
	v_mul_f32_e32 v57, v48, v208
	v_fmac_f32_e32 v57, v49, v207
	v_add_f32_e32 v56, v56, v57
	s_waitcnt vmcnt(44)
	v_mul_f32_e32 v57, v50, v210
	v_fmac_f32_e32 v57, v51, v209
	v_add_f32_e32 v56, v56, v57
	s_waitcnt vmcnt(42) lgkmcnt(0)
	v_mul_f32_e32 v57, v52, v212
	v_fmac_f32_e32 v57, v53, v211
	v_add_f32_e32 v60, v56, v57
	buffer_load_dword v1, off, s[0:3], 0 offset:352
	buffer_load_dword v136, off, s[0:3], 0 offset:356
	;; [unrolled: 1-line block ×4, first 2 shown]
	ds_read_b128 v[56:59], v218 offset:624
	s_waitcnt vmcnt(44)
	v_mul_f32_e32 v61, v54, v214
	v_fmac_f32_e32 v61, v55, v213
	v_add_f32_e32 v64, v60, v61
	ds_read_b128 v[60:63], v218 offset:640
	s_waitcnt vmcnt(42) lgkmcnt(1)
	v_mul_f32_e32 v65, v56, v216
	v_fmac_f32_e32 v65, v57, v215
	v_add_f32_e32 v64, v64, v65
	s_waitcnt vmcnt(40)
	v_mul_f32_e32 v65, v58, v219
	v_fmac_f32_e32 v65, v59, v217
	v_add_f32_e32 v64, v64, v65
	s_waitcnt vmcnt(38) lgkmcnt(0)
	v_mul_f32_e32 v65, v60, v221
	v_fmac_f32_e32 v65, v61, v220
	v_add_f32_e32 v68, v64, v65
	ds_read_b128 v[64:67], v218 offset:656
	s_waitcnt vmcnt(36)
	v_mul_f32_e32 v69, v62, v223
	v_fmac_f32_e32 v69, v63, v222
	v_add_f32_e32 v72, v68, v69
	ds_read_b128 v[68:71], v218 offset:672
	s_waitcnt vmcnt(34) lgkmcnt(1)
	v_mul_f32_e32 v73, v64, v225
	v_fmac_f32_e32 v73, v65, v224
	v_add_f32_e32 v72, v72, v73
	v_mul_f32_e32 v23, v23, v41
	v_fma_f32 v22, v22, v110, -v23
	v_mul_f32_e32 v23, v25, v40
	v_add_f32_e32 v22, 0, v22
	v_fma_f32 v23, v24, v108, -v23
	v_mul_f32_e32 v19, v19, v42
	v_add_f32_e32 v22, v22, v23
	;; [unrolled: 3-line block ×5, first 2 shown]
	s_waitcnt vmcnt(32)
	v_mul_f32_e32 v73, v66, v227
	v_fmac_f32_e32 v73, v67, v226
	v_add_f32_e32 v72, v72, v73
	s_waitcnt vmcnt(30) lgkmcnt(0)
	v_mul_f32_e32 v73, v68, v229
	v_fmac_f32_e32 v73, v69, v228
	v_add_f32_e32 v76, v72, v73
	ds_read_b128 v[72:75], v218 offset:688
	s_waitcnt vmcnt(28)
	v_mul_f32_e32 v77, v70, v231
	v_fmac_f32_e32 v77, v71, v230
	v_add_f32_e32 v80, v76, v77
	ds_read_b128 v[76:79], v218 offset:704
	s_waitcnt vmcnt(26) lgkmcnt(1)
	v_mul_f32_e32 v81, v72, v233
	v_fmac_f32_e32 v81, v73, v232
	v_add_f32_e32 v80, v80, v81
	s_waitcnt vmcnt(24)
	v_mul_f32_e32 v81, v74, v235
	v_fmac_f32_e32 v81, v75, v234
	v_add_f32_e32 v80, v80, v81
	s_waitcnt vmcnt(22) lgkmcnt(0)
	v_mul_f32_e32 v81, v76, v237
	v_fmac_f32_e32 v81, v77, v236
	v_add_f32_e32 v84, v80, v81
	ds_read_b128 v[80:83], v218 offset:720
	s_waitcnt vmcnt(20)
	v_mul_f32_e32 v85, v78, v239
	v_fmac_f32_e32 v85, v79, v238
	v_add_f32_e32 v88, v84, v85
	ds_read_b128 v[84:87], v218 offset:736
	s_waitcnt vmcnt(18) lgkmcnt(1)
	v_mul_f32_e32 v89, v80, v241
	v_fmac_f32_e32 v89, v81, v240
	v_add_f32_e32 v88, v88, v89
	s_waitcnt vmcnt(16)
	v_mul_f32_e32 v89, v82, v243
	v_fmac_f32_e32 v89, v83, v242
	v_add_f32_e32 v88, v88, v89
	s_waitcnt vmcnt(14) lgkmcnt(0)
	v_mul_f32_e32 v89, v84, v245
	v_fmac_f32_e32 v89, v85, v244
	v_add_f32_e32 v92, v88, v89
	ds_read_b128 v[88:91], v218 offset:752
	s_waitcnt vmcnt(12)
	v_mul_f32_e32 v93, v86, v247
	v_fmac_f32_e32 v93, v87, v246
	v_add_f32_e32 v96, v92, v93
	ds_read_b128 v[92:95], v218 offset:768
	buffer_load_dword v105, off, s[0:3], 0 offset:372
	buffer_load_dword v104, off, s[0:3], 0 offset:368
	s_waitcnt vmcnt(12) lgkmcnt(1)
	v_mul_f32_e32 v97, v88, v249
	v_fmac_f32_e32 v97, v89, v248
	v_add_f32_e32 v96, v96, v97
	s_waitcnt vmcnt(10)
	v_mul_f32_e32 v97, v90, v251
	v_fmac_f32_e32 v97, v91, v250
	v_add_f32_e32 v96, v96, v97
	s_waitcnt vmcnt(8) lgkmcnt(0)
	v_mul_f32_e32 v97, v92, v253
	v_fmac_f32_e32 v97, v93, v252
	s_waitcnt vmcnt(6)
	v_mul_f32_e32 v101, v94, v255
	v_add_f32_e32 v100, v96, v97
	v_fmac_f32_e32 v101, v95, v254
	ds_read_b128 v[96:99], v218 offset:784
	v_add_f32_e32 v107, v100, v101
	ds_read_b128 v[100:103], v218 offset:800
	buffer_load_dword v113, off, s[0:3], 0 offset:404
	buffer_load_dword v112, off, s[0:3], 0 offset:400
	;; [unrolled: 1-line block ×14, first 2 shown]
	v_fma_f32 v15, v16, v127, -v15
	v_mul_f32_e32 v11, v11, v36
	v_add_f32_e32 v14, v14, v15
	v_fma_f32 v10, v10, v126, -v11
	v_mul_f32_e32 v11, v13, v43
	v_add_f32_e32 v10, v14, v10
	;; [unrolled: 3-line block ×6, first 2 shown]
	v_fma_f32 v3, v4, v202, -v3
	v_add_f32_e32 v2, v2, v3
	v_mul_f32_e32 v3, v27, v203
	v_fma_f32 v3, v26, v201, -v3
	v_add_f32_e32 v2, v2, v3
	v_mul_f32_e32 v3, v29, v204
	;; [unrolled: 3-line block ×28, first 2 shown]
	v_fma_f32 v3, v94, v254, -v3
	s_waitcnt vmcnt(15)
	v_mov_b32_e32 v16, v105
	s_waitcnt lgkmcnt(1)
	v_mul_f32_e32 v109, v96, v136
	v_add_f32_e32 v106, v2, v3
	v_mul_f32_e32 v2, v97, v136
	s_waitcnt lgkmcnt(0)
	v_pk_mul_f32 v[16:17], v[100:101], v[16:17] op_sel_hi:[1,0]
	v_fmac_f32_e32 v109, v97, v1
	v_mul_f32_e32 v111, v98, v138
	v_fma_f32 v108, v96, v1, -v2
	v_mul_f32_e32 v1, v99, v138
	s_waitcnt vmcnt(14)
	v_pk_fma_f32 v[18:19], v[100:101], v[104:105], v[16:17] op_sel:[0,0,1] op_sel_hi:[1,1,0] neg_lo:[0,0,1] neg_hi:[0,0,1]
	v_pk_fma_f32 v[16:17], v[100:101], v[104:105], v[16:17] op_sel:[0,0,1] op_sel_hi:[1,0,0]
	v_fmac_f32_e32 v111, v99, v137
	v_fma_f32 v110, v98, v137, -v1
	v_pk_add_f32 v[14:15], v[106:107], v[108:109]
	s_waitcnt vmcnt(7)
	v_mov_b32_e32 v16, v119
	ds_read_b128 v[2:5], v218 offset:816
	ds_read_b128 v[6:9], v218 offset:832
	;; [unrolled: 1-line block ×3, first 2 shown]
	v_pk_add_f32 v[14:15], v[14:15], v[110:111]
	v_mov_b32_e32 v19, v17
	v_pk_mul_f32 v[16:17], v[102:103], v[16:17] op_sel_hi:[1,0]
	v_pk_add_f32 v[14:15], v[14:15], v[18:19]
	s_waitcnt vmcnt(6)
	v_pk_fma_f32 v[18:19], v[102:103], v[118:119], v[16:17] op_sel:[0,0,1] op_sel_hi:[1,1,0] neg_lo:[0,0,1] neg_hi:[0,0,1]
	v_pk_fma_f32 v[16:17], v[102:103], v[118:119], v[16:17] op_sel:[0,0,1] op_sel_hi:[1,0,0]
	v_mov_b32_e32 v16, v117
	v_mov_b32_e32 v19, v17
	s_waitcnt lgkmcnt(2)
	v_pk_mul_f32 v[16:17], v[2:3], v[16:17] op_sel_hi:[1,0]
	v_pk_add_f32 v[14:15], v[14:15], v[18:19]
	v_pk_fma_f32 v[18:19], v[2:3], v[116:117], v[16:17] op_sel:[0,0,1] op_sel_hi:[1,1,0] neg_lo:[0,0,1] neg_hi:[0,0,1]
	v_pk_fma_f32 v[2:3], v[2:3], v[116:117], v[16:17] op_sel:[0,0,1] op_sel_hi:[1,0,0]
	v_mov_b32_e32 v19, v3
	v_pk_add_f32 v[2:3], v[14:15], v[18:19]
	v_mov_b32_e32 v14, v115
	v_pk_mul_f32 v[14:15], v[4:5], v[14:15] op_sel_hi:[1,0]
	v_pk_fma_f32 v[16:17], v[4:5], v[114:115], v[14:15] op_sel:[0,0,1] op_sel_hi:[1,1,0] neg_lo:[0,0,1] neg_hi:[0,0,1]
	v_pk_fma_f32 v[4:5], v[4:5], v[114:115], v[14:15] op_sel:[0,0,1] op_sel_hi:[1,0,0]
	v_mov_b32_e32 v4, v113
	v_mov_b32_e32 v17, v5
	s_waitcnt lgkmcnt(1)
	v_pk_mul_f32 v[4:5], v[6:7], v[4:5] op_sel_hi:[1,0]
	v_pk_fma_f32 v[14:15], v[6:7], v[112:113], v[4:5] op_sel:[0,0,1] op_sel_hi:[1,1,0] neg_lo:[0,0,1] neg_hi:[0,0,1]
	v_pk_fma_f32 v[4:5], v[6:7], v[112:113], v[4:5] op_sel:[0,0,1] op_sel_hi:[1,0,0]
	s_waitcnt vmcnt(1)
	v_mov_b32_e32 v4, v125
	v_mov_b32_e32 v15, v5
	v_pk_mul_f32 v[4:5], v[8:9], v[4:5] op_sel_hi:[1,0]
	s_waitcnt vmcnt(0)
	v_pk_fma_f32 v[6:7], v[8:9], v[124:125], v[4:5] op_sel:[0,0,1] op_sel_hi:[1,1,0] neg_lo:[0,0,1] neg_hi:[0,0,1]
	v_pk_fma_f32 v[4:5], v[8:9], v[124:125], v[4:5] op_sel:[0,0,1] op_sel_hi:[1,0,0]
	v_pk_add_f32 v[2:3], v[2:3], v[16:17]
	v_mov_b32_e32 v4, v123
	v_pk_add_f32 v[2:3], v[2:3], v[14:15]
	v_mov_b32_e32 v7, v5
	s_waitcnt lgkmcnt(0)
	v_pk_mul_f32 v[4:5], v[10:11], v[4:5] op_sel_hi:[1,0]
	v_pk_add_f32 v[2:3], v[2:3], v[6:7]
	v_pk_fma_f32 v[6:7], v[10:11], v[122:123], v[4:5] op_sel:[0,0,1] op_sel_hi:[1,1,0] neg_lo:[0,0,1] neg_hi:[0,0,1]
	v_pk_fma_f32 v[4:5], v[10:11], v[122:123], v[4:5] op_sel:[0,0,1] op_sel_hi:[1,0,0]
	v_mov_b32_e32 v4, v121
	v_mov_b32_e32 v7, v5
	v_pk_mul_f32 v[4:5], v[12:13], v[4:5] op_sel_hi:[1,0]
	v_pk_add_f32 v[2:3], v[2:3], v[6:7]
	v_pk_fma_f32 v[6:7], v[12:13], v[120:121], v[4:5] op_sel:[0,0,1] op_sel_hi:[1,1,0] neg_lo:[0,0,1] neg_hi:[0,0,1]
	v_pk_fma_f32 v[4:5], v[12:13], v[120:121], v[4:5] op_sel:[0,0,1] op_sel_hi:[1,0,0]
	v_mov_b32_e32 v7, v5
	v_pk_add_f32 v[2:3], v[2:3], v[6:7]
	v_pk_add_f32 v[2:3], v[34:35], v[2:3] neg_lo:[0,1] neg_hi:[0,1]
	buffer_store_dword v3, off, s[0:3], 0 offset:28
	buffer_store_dword v2, off, s[0:3], 0 offset:24
	s_and_saveexec_b64 s[4:5], vcc
	s_cbranch_execz .LBB53_333
; %bb.332:
	buffer_load_dword v2, off, s[0:3], 0 offset:16
	buffer_load_dword v3, off, s[0:3], 0 offset:20
	v_mov_b32_e32 v1, 0
	buffer_store_dword v1, off, s[0:3], 0 offset:16
	buffer_store_dword v1, off, s[0:3], 0 offset:20
	s_waitcnt vmcnt(2)
	ds_write_b64 v143, v[2:3]
.LBB53_333:
	s_or_b64 exec, exec, s[4:5]
	s_waitcnt lgkmcnt(0)
	; wave barrier
	s_waitcnt lgkmcnt(0)
	buffer_load_dword v46, off, s[0:3], 0 offset:28
	buffer_load_dword v45, off, s[0:3], 0 offset:36
	;; [unrolled: 1-line block ×48, first 2 shown]
	v_mov_b32_e32 v44, 0
	ds_read2_b64 v[22:25], v44 offset0:57 offset1:58
	ds_read2_b64 v[18:21], v44 offset0:59 offset1:60
	;; [unrolled: 1-line block ×6, first 2 shown]
	buffer_load_dword v217, off, s[0:3], 0 offset:208
	buffer_load_dword v218, off, s[0:3], 0 offset:212
	v_cmp_lt_u32_e32 vcc, 1, v0
	s_waitcnt vmcnt(49) lgkmcnt(5)
	v_mul_f32_e32 v26, v22, v46
	s_waitcnt vmcnt(48)
	v_mul_f32_e32 v27, v24, v45
	s_waitcnt vmcnt(47) lgkmcnt(4)
	v_mul_f32_e32 v29, v20, v43
	s_waitcnt vmcnt(46) lgkmcnt(3)
	v_mul_f32_e32 v30, v14, v42
	s_waitcnt vmcnt(45)
	v_mul_f32_e32 v31, v16, v41
	s_waitcnt vmcnt(44) lgkmcnt(2)
	v_mul_f32_e32 v32, v10, v40
	s_waitcnt vmcnt(43)
	v_mul_f32_e32 v28, v18, v47
	s_waitcnt vmcnt(42)
	v_mul_f32_e32 v33, v12, v48
	s_waitcnt vmcnt(41) lgkmcnt(1)
	v_mul_f32_e32 v34, v6, v49
	s_waitcnt vmcnt(40)
	v_mul_f32_e32 v35, v8, v50
	s_waitcnt vmcnt(39) lgkmcnt(0)
	v_mul_f32_e32 v36, v2, v51
	s_waitcnt vmcnt(38)
	v_mul_f32_e32 v37, v4, v52
	s_waitcnt vmcnt(37)
	v_fmac_f32_e32 v28, v19, v58
	s_waitcnt vmcnt(36)
	v_fmac_f32_e32 v27, v25, v61
	;; [unrolled: 2-line block ×3, first 2 shown]
	v_add_f32_e32 v26, 0, v26
	v_add_f32_e32 v26, v26, v27
	;; [unrolled: 1-line block ×3, first 2 shown]
	s_waitcnt vmcnt(31)
	v_fmac_f32_e32 v29, v21, v63
	v_fmac_f32_e32 v30, v15, v60
	v_add_f32_e32 v26, v26, v29
	v_fmac_f32_e32 v31, v17, v57
	v_add_f32_e32 v26, v26, v30
	;; [unrolled: 2-line block ×3, first 2 shown]
	s_waitcnt vmcnt(27)
	v_fmac_f32_e32 v33, v13, v59
	v_add_f32_e32 v26, v26, v32
	v_fmac_f32_e32 v34, v7, v56
	v_add_f32_e32 v26, v26, v33
	;; [unrolled: 2-line block ×4, first 2 shown]
	s_waitcnt vmcnt(22)
	v_fmac_f32_e32 v37, v5, v136
	v_add_f32_e32 v26, v26, v36
	v_add_f32_e32 v34, v26, v37
	ds_read2_b64 v[26:29], v44 offset0:69 offset1:70
	buffer_load_dword v219, off, s[0:3], 0 offset:216
	buffer_load_dword v220, off, s[0:3], 0 offset:220
	ds_read2_b64 v[30:33], v44 offset0:71 offset1:72
	buffer_load_dword v221, off, s[0:3], 0 offset:224
	buffer_load_dword v222, off, s[0:3], 0 offset:228
	;; [unrolled: 1-line block ×12, first 2 shown]
	s_waitcnt vmcnt(35) lgkmcnt(1)
	v_mul_f32_e32 v35, v26, v137
	v_fmac_f32_e32 v35, v27, v120
	buffer_load_dword v233, off, s[0:3], 0 offset:272
	buffer_load_dword v234, off, s[0:3], 0 offset:276
	v_add_f32_e32 v34, v34, v35
	s_waitcnt vmcnt(36)
	v_mul_f32_e32 v35, v28, v138
	v_fmac_f32_e32 v35, v29, v118
	v_add_f32_e32 v34, v34, v35
	s_waitcnt lgkmcnt(0)
	v_mul_f32_e32 v35, v30, v116
	buffer_load_dword v235, off, s[0:3], 0 offset:280
	buffer_load_dword v236, off, s[0:3], 0 offset:284
	v_fmac_f32_e32 v35, v31, v62
	v_add_f32_e32 v64, v34, v35
	ds_read2_b64 v[34:37], v44 offset0:73 offset1:74
	buffer_load_dword v237, off, s[0:3], 0 offset:288
	buffer_load_dword v238, off, s[0:3], 0 offset:292
	;; [unrolled: 1-line block ×4, first 2 shown]
	s_waitcnt vmcnt(38)
	v_mul_f32_e32 v65, v32, v202
	v_fmac_f32_e32 v65, v33, v139
	v_add_f32_e32 v68, v64, v65
	ds_read2_b64 v[64:67], v44 offset0:75 offset1:76
	buffer_load_dword v241, off, s[0:3], 0 offset:304
	buffer_load_dword v242, off, s[0:3], 0 offset:308
	;; [unrolled: 1-line block ×10, first 2 shown]
	s_waitcnt vmcnt(46) lgkmcnt(1)
	v_mul_f32_e32 v69, v34, v204
	v_fmac_f32_e32 v69, v35, v203
	v_add_f32_e32 v68, v68, v69
	s_waitcnt vmcnt(44)
	v_mul_f32_e32 v69, v36, v206
	v_fmac_f32_e32 v69, v37, v205
	v_add_f32_e32 v68, v68, v69
	s_waitcnt vmcnt(42) lgkmcnt(0)
	v_mul_f32_e32 v69, v64, v208
	v_fmac_f32_e32 v69, v65, v207
	v_add_f32_e32 v72, v68, v69
	buffer_load_dword v251, off, s[0:3], 0 offset:344
	buffer_load_dword v252, off, s[0:3], 0 offset:348
	;; [unrolled: 1-line block ×6, first 2 shown]
	ds_read2_b64 v[68:71], v44 offset0:77 offset1:78
	s_waitcnt vmcnt(46)
	v_mul_f32_e32 v73, v66, v210
	v_fmac_f32_e32 v73, v67, v209
	v_add_f32_e32 v76, v72, v73
	ds_read2_b64 v[72:75], v44 offset0:79 offset1:80
	s_waitcnt vmcnt(44) lgkmcnt(1)
	v_mul_f32_e32 v77, v68, v212
	v_fmac_f32_e32 v77, v69, v211
	v_add_f32_e32 v76, v76, v77
	s_waitcnt vmcnt(42)
	v_mul_f32_e32 v77, v70, v214
	v_fmac_f32_e32 v77, v71, v213
	v_add_f32_e32 v76, v76, v77
	s_waitcnt vmcnt(40) lgkmcnt(0)
	v_mul_f32_e32 v77, v72, v216
	v_fmac_f32_e32 v77, v73, v215
	v_add_f32_e32 v80, v76, v77
	ds_read2_b64 v[76:79], v44 offset0:81 offset1:82
	s_waitcnt vmcnt(38)
	v_mul_f32_e32 v81, v74, v218
	v_fmac_f32_e32 v81, v75, v217
	v_add_f32_e32 v84, v80, v81
	ds_read2_b64 v[80:83], v44 offset0:83 offset1:84
	v_mul_f32_e32 v23, v23, v46
	v_fma_f32 v1, v22, v1, -v23
	v_mul_f32_e32 v22, v25, v45
	v_add_f32_e32 v1, 0, v1
	v_fma_f32 v22, v24, v61, -v22
	v_mul_f32_e32 v19, v19, v47
	v_add_f32_e32 v1, v1, v22
	v_fma_f32 v18, v18, v58, -v19
	v_add_f32_e32 v1, v1, v18
	v_mul_f32_e32 v18, v21, v43
	v_fma_f32 v18, v20, v63, -v18
	v_mul_f32_e32 v15, v15, v42
	v_add_f32_e32 v1, v1, v18
	v_fma_f32 v14, v14, v60, -v15
	v_add_f32_e32 v1, v1, v14
	v_mul_f32_e32 v14, v17, v41
	v_fma_f32 v14, v16, v57, -v14
	v_mul_f32_e32 v11, v11, v40
	v_add_f32_e32 v1, v1, v14
	v_fma_f32 v10, v10, v55, -v11
	s_waitcnt vmcnt(36) lgkmcnt(1)
	v_mul_f32_e32 v85, v76, v220
	v_fmac_f32_e32 v85, v77, v219
	v_add_f32_e32 v84, v84, v85
	s_waitcnt vmcnt(34)
	v_mul_f32_e32 v85, v78, v222
	v_fmac_f32_e32 v85, v79, v221
	v_add_f32_e32 v84, v84, v85
	s_waitcnt vmcnt(32) lgkmcnt(0)
	v_mul_f32_e32 v85, v80, v224
	v_fmac_f32_e32 v85, v81, v223
	v_add_f32_e32 v88, v84, v85
	ds_read2_b64 v[84:87], v44 offset0:85 offset1:86
	s_waitcnt vmcnt(30)
	v_mul_f32_e32 v89, v82, v226
	v_fmac_f32_e32 v89, v83, v225
	v_add_f32_e32 v92, v88, v89
	ds_read2_b64 v[88:91], v44 offset0:87 offset1:88
	s_waitcnt vmcnt(28) lgkmcnt(1)
	v_mul_f32_e32 v93, v84, v228
	v_fmac_f32_e32 v93, v85, v227
	v_add_f32_e32 v92, v92, v93
	s_waitcnt vmcnt(26)
	v_mul_f32_e32 v93, v86, v230
	v_fmac_f32_e32 v93, v87, v229
	v_add_f32_e32 v92, v92, v93
	s_waitcnt vmcnt(24) lgkmcnt(0)
	v_mul_f32_e32 v93, v88, v232
	v_fmac_f32_e32 v93, v89, v231
	v_add_f32_e32 v96, v92, v93
	ds_read2_b64 v[92:95], v44 offset0:89 offset1:90
	s_waitcnt vmcnt(22)
	v_mul_f32_e32 v97, v90, v234
	v_fmac_f32_e32 v97, v91, v233
	v_add_f32_e32 v100, v96, v97
	ds_read2_b64 v[96:99], v44 offset0:91 offset1:92
	;; [unrolled: 18-line block ×3, first 2 shown]
	s_waitcnt vmcnt(12) lgkmcnt(1)
	v_mul_f32_e32 v109, v100, v244
	v_fmac_f32_e32 v109, v101, v243
	v_add_f32_e32 v108, v108, v109
	s_waitcnt vmcnt(10)
	v_mul_f32_e32 v109, v102, v246
	v_fmac_f32_e32 v109, v103, v245
	v_add_f32_e32 v108, v108, v109
	s_waitcnt vmcnt(8) lgkmcnt(0)
	v_mul_f32_e32 v109, v104, v248
	v_fmac_f32_e32 v109, v105, v247
	s_waitcnt vmcnt(6)
	v_mul_f32_e32 v113, v106, v250
	v_add_f32_e32 v112, v108, v109
	v_fmac_f32_e32 v113, v107, v249
	ds_read2_b64 v[108:111], v44 offset0:97 offset1:98
	v_add_f32_e32 v117, v112, v113
	ds_read2_b64 v[112:115], v44 offset0:99 offset1:100
	buffer_load_dword v123, off, s[0:3], 0 offset:396
	buffer_load_dword v122, off, s[0:3], 0 offset:392
	buffer_load_dword v125, off, s[0:3], 0 offset:388
	buffer_load_dword v124, off, s[0:3], 0 offset:384
	buffer_load_dword v127, off, s[0:3], 0 offset:380
	buffer_load_dword v126, off, s[0:3], 0 offset:376
	buffer_load_dword v129, off, s[0:3], 0 offset:372
	buffer_load_dword v128, off, s[0:3], 0 offset:368
	buffer_load_dword v131, off, s[0:3], 0 offset:428
	buffer_load_dword v130, off, s[0:3], 0 offset:424
	buffer_load_dword v133, off, s[0:3], 0 offset:420
	buffer_load_dword v132, off, s[0:3], 0 offset:416
	buffer_load_dword v135, off, s[0:3], 0 offset:412
	buffer_load_dword v134, off, s[0:3], 0 offset:408
	buffer_load_dword v201, off, s[0:3], 0 offset:404
	buffer_load_dword v200, off, s[0:3], 0 offset:400
	v_add_f32_e32 v1, v1, v10
	v_mul_f32_e32 v10, v13, v48
	v_fma_f32 v10, v12, v59, -v10
	v_mul_f32_e32 v7, v7, v49
	v_add_f32_e32 v1, v1, v10
	v_fma_f32 v6, v6, v56, -v7
	v_add_f32_e32 v1, v1, v6
	v_mul_f32_e32 v6, v9, v50
	v_fma_f32 v6, v8, v54, -v6
	v_mul_f32_e32 v3, v3, v51
	v_add_f32_e32 v1, v1, v6
	v_fma_f32 v2, v2, v53, -v3
	v_add_f32_e32 v1, v1, v2
	v_mul_f32_e32 v2, v5, v52
	v_fma_f32 v2, v4, v136, -v2
	v_add_f32_e32 v1, v1, v2
	v_mul_f32_e32 v2, v27, v137
	;; [unrolled: 3-line block ×29, first 2 shown]
	v_fma_f32 v2, v106, v249, -v2
	s_waitcnt vmcnt(20) lgkmcnt(1)
	v_mul_f32_e32 v119, v108, v252
	v_add_f32_e32 v1, v1, v2
	v_mul_f32_e32 v2, v109, v252
	v_fmac_f32_e32 v119, v109, v251
	v_fma_f32 v2, v108, v251, -v2
	s_waitcnt vmcnt(9)
	v_mov_b32_e32 v18, v129
	v_add_f32_e32 v117, v117, v119
	v_mul_f32_e32 v119, v110, v254
	v_add_f32_e32 v116, v1, v2
	v_mul_f32_e32 v1, v111, v254
	s_waitcnt lgkmcnt(0)
	v_pk_mul_f32 v[18:19], v[114:115], v[18:19] op_sel_hi:[1,0]
	v_fmac_f32_e32 v119, v111, v253
	v_mul_f32_e32 v121, v112, v140
	v_fma_f32 v118, v110, v253, -v1
	v_mul_f32_e32 v1, v113, v140
	ds_read2_b64 v[2:5], v44 offset0:101 offset1:102
	ds_read2_b64 v[6:9], v44 offset0:103 offset1:104
	;; [unrolled: 1-line block ×3, first 2 shown]
	ds_read_b64 v[14:15], v44 offset:856
	s_waitcnt vmcnt(8)
	v_pk_fma_f32 v[20:21], v[114:115], v[128:129], v[18:19] op_sel:[0,0,1] op_sel_hi:[1,1,0] neg_lo:[0,0,1] neg_hi:[0,0,1]
	v_pk_fma_f32 v[18:19], v[114:115], v[128:129], v[18:19] op_sel:[0,0,1] op_sel_hi:[1,0,0]
	v_fmac_f32_e32 v121, v113, v255
	v_fma_f32 v120, v112, v255, -v1
	v_pk_add_f32 v[16:17], v[116:117], v[118:119]
	v_mov_b32_e32 v18, v127
	v_pk_add_f32 v[16:17], v[16:17], v[120:121]
	v_mov_b32_e32 v21, v19
	s_waitcnt lgkmcnt(3)
	v_pk_mul_f32 v[18:19], v[2:3], v[18:19] op_sel_hi:[1,0]
	v_pk_add_f32 v[16:17], v[16:17], v[20:21]
	v_pk_fma_f32 v[20:21], v[2:3], v[126:127], v[18:19] op_sel:[0,0,1] op_sel_hi:[1,1,0] neg_lo:[0,0,1] neg_hi:[0,0,1]
	v_pk_fma_f32 v[2:3], v[2:3], v[126:127], v[18:19] op_sel:[0,0,1] op_sel_hi:[1,0,0]
	v_mov_b32_e32 v21, v3
	v_pk_add_f32 v[2:3], v[16:17], v[20:21]
	v_mov_b32_e32 v16, v125
	v_pk_mul_f32 v[16:17], v[4:5], v[16:17] op_sel_hi:[1,0]
	v_pk_fma_f32 v[18:19], v[4:5], v[124:125], v[16:17] op_sel:[0,0,1] op_sel_hi:[1,1,0] neg_lo:[0,0,1] neg_hi:[0,0,1]
	v_pk_fma_f32 v[4:5], v[4:5], v[124:125], v[16:17] op_sel:[0,0,1] op_sel_hi:[1,0,0]
	v_mov_b32_e32 v4, v123
	v_mov_b32_e32 v19, v5
	s_waitcnt lgkmcnt(2)
	v_pk_mul_f32 v[4:5], v[6:7], v[4:5] op_sel_hi:[1,0]
	v_pk_fma_f32 v[16:17], v[6:7], v[122:123], v[4:5] op_sel:[0,0,1] op_sel_hi:[1,1,0] neg_lo:[0,0,1] neg_hi:[0,0,1]
	v_pk_fma_f32 v[4:5], v[6:7], v[122:123], v[4:5] op_sel:[0,0,1] op_sel_hi:[1,0,0]
	s_waitcnt vmcnt(1)
	v_mov_b32_e32 v4, v201
	v_mov_b32_e32 v17, v5
	v_pk_mul_f32 v[4:5], v[8:9], v[4:5] op_sel_hi:[1,0]
	s_waitcnt vmcnt(0)
	v_pk_fma_f32 v[6:7], v[8:9], v[200:201], v[4:5] op_sel:[0,0,1] op_sel_hi:[1,1,0] neg_lo:[0,0,1] neg_hi:[0,0,1]
	v_pk_fma_f32 v[4:5], v[8:9], v[200:201], v[4:5] op_sel:[0,0,1] op_sel_hi:[1,0,0]
	v_pk_add_f32 v[2:3], v[2:3], v[18:19]
	v_mov_b32_e32 v4, v135
	v_pk_add_f32 v[2:3], v[2:3], v[16:17]
	v_mov_b32_e32 v7, v5
	s_waitcnt lgkmcnt(1)
	v_pk_mul_f32 v[4:5], v[10:11], v[4:5] op_sel_hi:[1,0]
	v_pk_add_f32 v[2:3], v[2:3], v[6:7]
	v_pk_fma_f32 v[6:7], v[10:11], v[134:135], v[4:5] op_sel:[0,0,1] op_sel_hi:[1,1,0] neg_lo:[0,0,1] neg_hi:[0,0,1]
	v_pk_fma_f32 v[4:5], v[10:11], v[134:135], v[4:5] op_sel:[0,0,1] op_sel_hi:[1,0,0]
	v_mov_b32_e32 v4, v133
	v_mov_b32_e32 v7, v5
	v_pk_mul_f32 v[4:5], v[12:13], v[4:5] op_sel_hi:[1,0]
	v_pk_add_f32 v[2:3], v[2:3], v[6:7]
	v_pk_fma_f32 v[6:7], v[12:13], v[132:133], v[4:5] op_sel:[0,0,1] op_sel_hi:[1,1,0] neg_lo:[0,0,1] neg_hi:[0,0,1]
	v_pk_fma_f32 v[4:5], v[12:13], v[132:133], v[4:5] op_sel:[0,0,1] op_sel_hi:[1,0,0]
	v_mov_b32_e32 v4, v131
	v_mov_b32_e32 v7, v5
	s_waitcnt lgkmcnt(0)
	v_pk_mul_f32 v[4:5], v[14:15], v[4:5] op_sel_hi:[1,0]
	v_pk_add_f32 v[2:3], v[2:3], v[6:7]
	v_pk_fma_f32 v[6:7], v[14:15], v[130:131], v[4:5] op_sel:[0,0,1] op_sel_hi:[1,1,0] neg_lo:[0,0,1] neg_hi:[0,0,1]
	v_pk_fma_f32 v[4:5], v[14:15], v[130:131], v[4:5] op_sel:[0,0,1] op_sel_hi:[1,0,0]
	v_mov_b32_e32 v7, v5
	v_pk_add_f32 v[2:3], v[2:3], v[6:7]
	v_pk_add_f32 v[2:3], v[38:39], v[2:3] neg_lo:[0,1] neg_hi:[0,1]
	buffer_store_dword v3, off, s[0:3], 0 offset:20
	buffer_store_dword v2, off, s[0:3], 0 offset:16
	s_and_saveexec_b64 s[4:5], vcc
	s_cbranch_execz .LBB53_335
; %bb.334:
	buffer_load_dword v2, off, s[0:3], 0 offset:8
	buffer_load_dword v3, off, s[0:3], 0 offset:12
	s_waitcnt vmcnt(0)
	ds_write_b64 v143, v[2:3]
	buffer_store_dword v44, off, s[0:3], 0 offset:8
	buffer_store_dword v44, off, s[0:3], 0 offset:12
.LBB53_335:
	s_or_b64 exec, exec, s[4:5]
	s_waitcnt lgkmcnt(0)
	; wave barrier
	s_waitcnt lgkmcnt(0)
	buffer_load_dword v50, off, s[0:3], 0 offset:20
	buffer_load_dword v49, off, s[0:3], 0 offset:28
	;; [unrolled: 1-line block ×32, first 2 shown]
	ds_read_b128 v[26:29], v44 offset:448
	ds_read_b128 v[22:25], v44 offset:464
	ds_read_b128 v[18:21], v44 offset:480
	ds_read_b128 v[10:13], v44 offset:496
	buffer_load_dword v139, off, s[0:3], 0 offset:136
	buffer_load_dword v140, off, s[0:3], 0 offset:140
	ds_read_b128 v[14:17], v44 offset:512
	ds_read_b128 v[6:9], v44 offset:528
	ds_read_b128 v[2:5], v44 offset:544
	buffer_load_dword v141, off, s[0:3], 0 offset:144
	buffer_load_dword v202, off, s[0:3], 0 offset:148
	;; [unrolled: 1-line block ×16, first 2 shown]
	v_cmp_ne_u32_e32 vcc, 0, v0
	s_waitcnt vmcnt(49) lgkmcnt(6)
	v_mul_f32_e32 v30, v26, v50
	s_waitcnt vmcnt(48)
	v_mul_f32_e32 v31, v28, v49
	s_waitcnt vmcnt(47) lgkmcnt(5)
	v_mul_f32_e32 v33, v24, v48
	s_waitcnt vmcnt(46) lgkmcnt(4)
	v_mul_f32_e32 v34, v18, v47
	s_waitcnt vmcnt(45)
	v_mul_f32_e32 v35, v20, v45
	s_waitcnt vmcnt(44)
	v_mul_f32_e32 v32, v22, v51
	s_waitcnt vmcnt(43) lgkmcnt(3)
	v_mul_f32_e32 v36, v10, v46
	s_waitcnt vmcnt(42)
	v_mul_f32_e32 v37, v12, v52
	s_waitcnt vmcnt(41) lgkmcnt(2)
	;; [unrolled: 4-line block ×3, first 2 shown]
	v_mul_f32_e32 v40, v6, v55
	s_waitcnt vmcnt(38)
	v_mul_f32_e32 v41, v8, v56
	s_waitcnt vmcnt(37)
	v_fmac_f32_e32 v32, v23, v62
	s_waitcnt vmcnt(36)
	v_fmac_f32_e32 v31, v29, v65
	;; [unrolled: 2-line block ×3, first 2 shown]
	v_add_f32_e32 v30, 0, v30
	v_add_f32_e32 v30, v30, v31
	;; [unrolled: 1-line block ×3, first 2 shown]
	s_waitcnt vmcnt(31)
	v_fmac_f32_e32 v33, v25, v66
	v_fmac_f32_e32 v34, v19, v64
	v_add_f32_e32 v30, v30, v33
	v_fmac_f32_e32 v35, v21, v61
	v_add_f32_e32 v30, v30, v34
	;; [unrolled: 2-line block ×3, first 2 shown]
	s_waitcnt vmcnt(27)
	v_fmac_f32_e32 v37, v13, v63
	v_add_f32_e32 v30, v30, v36
	v_fmac_f32_e32 v38, v15, v60
	v_add_f32_e32 v30, v30, v37
	;; [unrolled: 2-line block ×4, first 2 shown]
	s_waitcnt vmcnt(23)
	v_fmac_f32_e32 v41, v9, v126
	v_add_f32_e32 v30, v30, v40
	v_add_f32_e32 v34, v30, v41
	ds_read_b128 v[30:33], v44 offset:560
	buffer_load_dword v217, off, s[0:3], 0 offset:208
	buffer_load_dword v218, off, s[0:3], 0 offset:212
	;; [unrolled: 1-line block ×12, first 2 shown]
	s_waitcnt vmcnt(34) lgkmcnt(1)
	v_mul_f32_e32 v35, v2, v136
	v_fmac_f32_e32 v35, v3, v118
	buffer_load_dword v229, off, s[0:3], 0 offset:256
	buffer_load_dword v230, off, s[0:3], 0 offset:260
	v_add_f32_e32 v34, v34, v35
	s_waitcnt vmcnt(35)
	v_mul_f32_e32 v35, v4, v137
	v_fmac_f32_e32 v35, v5, v116
	v_add_f32_e32 v34, v34, v35
	s_waitcnt vmcnt(34) lgkmcnt(0)
	v_mul_f32_e32 v35, v30, v138
	v_fmac_f32_e32 v35, v31, v67
	buffer_load_dword v231, off, s[0:3], 0 offset:264
	buffer_load_dword v232, off, s[0:3], 0 offset:268
	v_add_f32_e32 v34, v34, v35
	s_waitcnt vmcnt(32)
	v_mul_f32_e32 v35, v32, v140
	v_fmac_f32_e32 v35, v33, v139
	v_add_f32_e32 v68, v34, v35
	ds_read_b128 v[34:37], v44 offset:576
	buffer_load_dword v233, off, s[0:3], 0 offset:272
	buffer_load_dword v234, off, s[0:3], 0 offset:276
	ds_read_b128 v[38:41], v44 offset:592
	buffer_load_dword v235, off, s[0:3], 0 offset:280
	buffer_load_dword v236, off, s[0:3], 0 offset:284
	;; [unrolled: 1-line block ×14, first 2 shown]
	s_waitcnt vmcnt(46) lgkmcnt(1)
	v_mul_f32_e32 v69, v34, v202
	v_fmac_f32_e32 v69, v35, v141
	v_add_f32_e32 v68, v68, v69
	s_waitcnt vmcnt(44)
	v_mul_f32_e32 v69, v36, v204
	v_fmac_f32_e32 v69, v37, v203
	v_add_f32_e32 v68, v68, v69
	s_waitcnt vmcnt(42) lgkmcnt(0)
	v_mul_f32_e32 v69, v38, v206
	v_fmac_f32_e32 v69, v39, v205
	v_add_f32_e32 v72, v68, v69
	buffer_load_dword v249, off, s[0:3], 0 offset:336
	buffer_load_dword v250, off, s[0:3], 0 offset:340
	ds_read_b128 v[68:71], v44 offset:608
	s_waitcnt vmcnt(42)
	v_mul_f32_e32 v73, v40, v208
	v_fmac_f32_e32 v73, v41, v207
	buffer_load_dword v251, off, s[0:3], 0 offset:344
	buffer_load_dword v252, off, s[0:3], 0 offset:348
	v_add_f32_e32 v76, v72, v73
	buffer_load_dword v253, off, s[0:3], 0 offset:352
	buffer_load_dword v254, off, s[0:3], 0 offset:356
	ds_read_b128 v[72:75], v44 offset:624
	s_waitcnt vmcnt(44) lgkmcnt(1)
	v_mul_f32_e32 v77, v68, v210
	v_fmac_f32_e32 v77, v69, v209
	v_add_f32_e32 v76, v76, v77
	s_waitcnt vmcnt(42)
	v_mul_f32_e32 v77, v70, v212
	v_fmac_f32_e32 v77, v71, v211
	v_add_f32_e32 v76, v76, v77
	s_waitcnt vmcnt(40) lgkmcnt(0)
	v_mul_f32_e32 v77, v72, v214
	v_fmac_f32_e32 v77, v73, v213
	buffer_load_dword v255, off, s[0:3], 0 offset:360
	buffer_load_dword v142, off, s[0:3], 0 offset:364
	v_add_f32_e32 v80, v76, v77
	ds_read_b128 v[76:79], v44 offset:640
	s_waitcnt vmcnt(40)
	v_mul_f32_e32 v81, v74, v216
	v_fmac_f32_e32 v81, v75, v215
	v_add_f32_e32 v84, v80, v81
	ds_read_b128 v[80:83], v44 offset:656
	v_mul_f32_e32 v27, v27, v50
	v_fma_f32 v1, v26, v1, -v27
	v_mul_f32_e32 v26, v29, v49
	v_add_f32_e32 v1, 0, v1
	v_fma_f32 v26, v28, v65, -v26
	v_mul_f32_e32 v23, v23, v51
	v_add_f32_e32 v1, v1, v26
	v_fma_f32 v22, v22, v62, -v23
	v_add_f32_e32 v1, v1, v22
	v_mul_f32_e32 v22, v25, v48
	v_fma_f32 v22, v24, v66, -v22
	v_mul_f32_e32 v19, v19, v47
	v_add_f32_e32 v1, v1, v22
	v_fma_f32 v18, v18, v64, -v19
	v_add_f32_e32 v1, v1, v18
	v_mul_f32_e32 v18, v21, v45
	v_fma_f32 v18, v20, v61, -v18
	v_mul_f32_e32 v11, v11, v46
	s_waitcnt vmcnt(38) lgkmcnt(1)
	v_mul_f32_e32 v85, v76, v218
	v_fmac_f32_e32 v85, v77, v217
	v_add_f32_e32 v84, v84, v85
	s_waitcnt vmcnt(36)
	v_mul_f32_e32 v85, v78, v220
	v_fmac_f32_e32 v85, v79, v219
	v_add_f32_e32 v84, v84, v85
	s_waitcnt vmcnt(34) lgkmcnt(0)
	v_mul_f32_e32 v85, v80, v222
	v_fmac_f32_e32 v85, v81, v221
	v_add_f32_e32 v88, v84, v85
	ds_read_b128 v[84:87], v44 offset:672
	s_waitcnt vmcnt(32)
	v_mul_f32_e32 v89, v82, v224
	v_fmac_f32_e32 v89, v83, v223
	v_add_f32_e32 v92, v88, v89
	ds_read_b128 v[88:91], v44 offset:688
	s_waitcnt vmcnt(30) lgkmcnt(1)
	v_mul_f32_e32 v93, v84, v226
	v_fmac_f32_e32 v93, v85, v225
	v_add_f32_e32 v92, v92, v93
	s_waitcnt vmcnt(28)
	v_mul_f32_e32 v93, v86, v228
	v_fmac_f32_e32 v93, v87, v227
	v_add_f32_e32 v92, v92, v93
	s_waitcnt vmcnt(26) lgkmcnt(0)
	v_mul_f32_e32 v93, v88, v230
	v_fmac_f32_e32 v93, v89, v229
	v_add_f32_e32 v96, v92, v93
	ds_read_b128 v[92:95], v44 offset:704
	s_waitcnt vmcnt(24)
	v_mul_f32_e32 v97, v90, v232
	v_fmac_f32_e32 v97, v91, v231
	v_add_f32_e32 v100, v96, v97
	ds_read_b128 v[96:99], v44 offset:720
	;; [unrolled: 18-line block ×3, first 2 shown]
	s_waitcnt vmcnt(14) lgkmcnt(1)
	v_mul_f32_e32 v109, v100, v242
	v_fmac_f32_e32 v109, v101, v241
	v_add_f32_e32 v108, v108, v109
	s_waitcnt vmcnt(12)
	v_mul_f32_e32 v109, v102, v244
	v_fmac_f32_e32 v109, v103, v243
	v_add_f32_e32 v108, v108, v109
	s_waitcnt vmcnt(10) lgkmcnt(0)
	v_mul_f32_e32 v109, v104, v246
	v_fmac_f32_e32 v109, v105, v245
	s_waitcnt vmcnt(8)
	v_mul_f32_e32 v113, v106, v248
	v_add_f32_e32 v112, v108, v109
	v_fmac_f32_e32 v113, v107, v247
	ds_read_b128 v[108:111], v44 offset:768
	v_add_f32_e32 v117, v112, v113
	ds_read_b128 v[112:115], v44 offset:784
	buffer_load_dword v121, off, s[0:3], 0 offset:388
	buffer_load_dword v120, off, s[0:3], 0 offset:384
	;; [unrolled: 1-line block ×6, first 2 shown]
	v_add_f32_e32 v1, v1, v18
	v_fma_f32 v10, v10, v59, -v11
	v_add_f32_e32 v1, v1, v10
	v_mul_f32_e32 v10, v13, v52
	v_fma_f32 v10, v12, v63, -v10
	buffer_load_dword v129, off, s[0:3], 0 offset:420
	buffer_load_dword v128, off, s[0:3], 0 offset:416
	buffer_load_dword v131, off, s[0:3], 0 offset:412
	buffer_load_dword v130, off, s[0:3], 0 offset:408
	buffer_load_dword v133, off, s[0:3], 0 offset:404
	buffer_load_dword v132, off, s[0:3], 0 offset:400
	buffer_load_dword v135, off, s[0:3], 0 offset:396
	buffer_load_dword v134, off, s[0:3], 0 offset:392
	buffer_load_dword v201, off, s[0:3], 0 offset:428
	buffer_load_dword v200, off, s[0:3], 0 offset:424
	v_add_f32_e32 v1, v1, v10
	v_mul_f32_e32 v10, v15, v53
	v_fma_f32 v10, v14, v60, -v10
	v_add_f32_e32 v1, v1, v10
	v_mul_f32_e32 v10, v17, v54
	v_fma_f32 v10, v16, v58, -v10
	v_mul_f32_e32 v7, v7, v55
	v_add_f32_e32 v1, v1, v10
	v_fma_f32 v6, v6, v57, -v7
	v_add_f32_e32 v1, v1, v6
	v_mul_f32_e32 v6, v9, v56
	v_fma_f32 v6, v8, v126, -v6
	v_mul_f32_e32 v3, v3, v136
	v_add_f32_e32 v1, v1, v6
	v_fma_f32 v2, v2, v118, -v3
	v_add_f32_e32 v1, v1, v2
	v_mul_f32_e32 v2, v5, v137
	v_fma_f32 v2, v4, v116, -v2
	v_add_f32_e32 v1, v1, v2
	v_mul_f32_e32 v2, v31, v138
	;; [unrolled: 3-line block ×27, first 2 shown]
	v_fma_f32 v2, v106, v247, -v2
	v_add_f32_e32 v1, v1, v2
	s_waitcnt vmcnt(22) lgkmcnt(1)
	v_mul_f32_e32 v2, v109, v250
	v_mul_f32_e32 v119, v108, v250
	v_fma_f32 v2, v108, v249, -v2
	v_fmac_f32_e32 v119, v109, v249
	v_add_f32_e32 v1, v1, v2
	s_waitcnt vmcnt(20)
	v_mul_f32_e32 v2, v111, v252
	v_add_f32_e32 v117, v117, v119
	v_mul_f32_e32 v119, v110, v252
	v_fma_f32 v2, v110, v251, -v2
	v_fmac_f32_e32 v119, v111, v251
	v_add_f32_e32 v116, v1, v2
	ds_read_b128 v[2:5], v44 offset:800
	ds_read_b128 v[6:9], v44 offset:816
	ds_read_b128 v[10:13], v44 offset:832
	ds_read_b128 v[14:17], v44 offset:848
	v_add_f32_e32 v117, v117, v119
	s_waitcnt vmcnt(18) lgkmcnt(4)
	v_mul_f32_e32 v119, v112, v254
	v_mul_f32_e32 v1, v113, v254
	s_waitcnt vmcnt(11)
	v_mov_b32_e32 v20, v125
	v_fmac_f32_e32 v119, v113, v253
	v_mul_f32_e32 v127, v114, v142
	v_fma_f32 v118, v112, v253, -v1
	v_mul_f32_e32 v1, v115, v142
	s_waitcnt lgkmcnt(3)
	v_pk_mul_f32 v[20:21], v[2:3], v[20:21] op_sel_hi:[1,0]
	v_fmac_f32_e32 v127, v115, v255
	v_fma_f32 v126, v114, v255, -v1
	v_pk_add_f32 v[18:19], v[116:117], v[118:119]
	s_waitcnt vmcnt(10)
	v_pk_fma_f32 v[22:23], v[2:3], v[124:125], v[20:21] op_sel:[0,0,1] op_sel_hi:[1,1,0] neg_lo:[0,0,1] neg_hi:[0,0,1]
	v_pk_fma_f32 v[2:3], v[2:3], v[124:125], v[20:21] op_sel:[0,0,1] op_sel_hi:[1,0,0]
	v_pk_add_f32 v[18:19], v[18:19], v[126:127]
	v_mov_b32_e32 v23, v3
	v_pk_add_f32 v[2:3], v[18:19], v[22:23]
	v_mov_b32_e32 v18, v123
	v_pk_mul_f32 v[18:19], v[4:5], v[18:19] op_sel_hi:[1,0]
	v_pk_fma_f32 v[20:21], v[4:5], v[122:123], v[18:19] op_sel:[0,0,1] op_sel_hi:[1,1,0] neg_lo:[0,0,1] neg_hi:[0,0,1]
	v_pk_fma_f32 v[4:5], v[4:5], v[122:123], v[18:19] op_sel:[0,0,1] op_sel_hi:[1,0,0]
	v_mov_b32_e32 v4, v121
	v_mov_b32_e32 v21, v5
	s_waitcnt lgkmcnt(2)
	v_pk_mul_f32 v[4:5], v[6:7], v[4:5] op_sel_hi:[1,0]
	v_pk_fma_f32 v[18:19], v[6:7], v[120:121], v[4:5] op_sel:[0,0,1] op_sel_hi:[1,1,0] neg_lo:[0,0,1] neg_hi:[0,0,1]
	v_pk_fma_f32 v[4:5], v[6:7], v[120:121], v[4:5] op_sel:[0,0,1] op_sel_hi:[1,0,0]
	s_waitcnt vmcnt(3)
	v_mov_b32_e32 v4, v135
	v_mov_b32_e32 v19, v5
	v_pk_mul_f32 v[4:5], v[8:9], v[4:5] op_sel_hi:[1,0]
	s_waitcnt vmcnt(2)
	v_pk_fma_f32 v[6:7], v[8:9], v[134:135], v[4:5] op_sel:[0,0,1] op_sel_hi:[1,1,0] neg_lo:[0,0,1] neg_hi:[0,0,1]
	v_pk_fma_f32 v[4:5], v[8:9], v[134:135], v[4:5] op_sel:[0,0,1] op_sel_hi:[1,0,0]
	v_pk_add_f32 v[2:3], v[2:3], v[20:21]
	v_mov_b32_e32 v4, v133
	v_pk_add_f32 v[2:3], v[2:3], v[18:19]
	v_mov_b32_e32 v7, v5
	s_waitcnt lgkmcnt(1)
	v_pk_mul_f32 v[4:5], v[10:11], v[4:5] op_sel_hi:[1,0]
	v_pk_add_f32 v[2:3], v[2:3], v[6:7]
	v_pk_fma_f32 v[6:7], v[10:11], v[132:133], v[4:5] op_sel:[0,0,1] op_sel_hi:[1,1,0] neg_lo:[0,0,1] neg_hi:[0,0,1]
	v_pk_fma_f32 v[4:5], v[10:11], v[132:133], v[4:5] op_sel:[0,0,1] op_sel_hi:[1,0,0]
	v_mov_b32_e32 v4, v131
	v_mov_b32_e32 v7, v5
	v_pk_mul_f32 v[4:5], v[12:13], v[4:5] op_sel_hi:[1,0]
	v_pk_add_f32 v[2:3], v[2:3], v[6:7]
	v_pk_fma_f32 v[6:7], v[12:13], v[130:131], v[4:5] op_sel:[0,0,1] op_sel_hi:[1,1,0] neg_lo:[0,0,1] neg_hi:[0,0,1]
	v_pk_fma_f32 v[4:5], v[12:13], v[130:131], v[4:5] op_sel:[0,0,1] op_sel_hi:[1,0,0]
	v_mov_b32_e32 v4, v129
	v_mov_b32_e32 v7, v5
	s_waitcnt lgkmcnt(0)
	v_pk_mul_f32 v[4:5], v[14:15], v[4:5] op_sel_hi:[1,0]
	v_pk_add_f32 v[2:3], v[2:3], v[6:7]
	v_pk_fma_f32 v[6:7], v[14:15], v[128:129], v[4:5] op_sel:[0,0,1] op_sel_hi:[1,1,0] neg_lo:[0,0,1] neg_hi:[0,0,1]
	v_pk_fma_f32 v[4:5], v[14:15], v[128:129], v[4:5] op_sel:[0,0,1] op_sel_hi:[1,0,0]
	s_waitcnt vmcnt(1)
	v_mov_b32_e32 v4, v201
	v_mov_b32_e32 v7, v5
	v_pk_mul_f32 v[4:5], v[16:17], v[4:5] op_sel_hi:[1,0]
	v_pk_add_f32 v[2:3], v[2:3], v[6:7]
	s_waitcnt vmcnt(0)
	v_pk_fma_f32 v[6:7], v[16:17], v[200:201], v[4:5] op_sel:[0,0,1] op_sel_hi:[1,1,0] neg_lo:[0,0,1] neg_hi:[0,0,1]
	v_pk_fma_f32 v[4:5], v[16:17], v[200:201], v[4:5] op_sel:[0,0,1] op_sel_hi:[1,0,0]
	v_mov_b32_e32 v7, v5
	v_pk_add_f32 v[2:3], v[2:3], v[6:7]
	v_pk_add_f32 v[2:3], v[42:43], v[2:3] neg_lo:[0,1] neg_hi:[0,1]
	buffer_store_dword v3, off, s[0:3], 0 offset:12
	buffer_store_dword v2, off, s[0:3], 0 offset:8
	s_and_saveexec_b64 s[4:5], vcc
	s_cbranch_execz .LBB53_337
; %bb.336:
	buffer_load_dword v2, off, s[0:3], 0
	buffer_load_dword v3, off, s[0:3], 0 offset:4
	v_mov_b32_e32 v0, 0
	buffer_store_dword v0, off, s[0:3], 0
	buffer_store_dword v0, off, s[0:3], 0 offset:4
	s_waitcnt vmcnt(2)
	ds_write_b64 v143, v[2:3]
.LBB53_337:
	s_or_b64 exec, exec, s[4:5]
	v_mov_b32_e32 v224, 0
	s_waitcnt lgkmcnt(0)
	; wave barrier
	s_waitcnt lgkmcnt(0)
	ds_read2_b64 v[0:3], v224 offset0:55 offset1:56
	buffer_load_dword v200, off, s[0:3], 0
	buffer_load_dword v201, off, s[0:3], 0 offset:4
	buffer_load_dword v202, off, s[0:3], 0 offset:8
	;; [unrolled: 1-line block ×15, first 2 shown]
	s_and_b64 vcc, exec, s[20:21]
	s_waitcnt vmcnt(12) lgkmcnt(0)
	v_mul_f32_e32 v4, v0, v225
	v_fmac_f32_e32 v4, v1, v202
	s_waitcnt vmcnt(10)
	v_mul_f32_e32 v5, v2, v227
	v_add_f32_e32 v4, 0, v4
	v_fmac_f32_e32 v5, v3, v204
	v_add_f32_e32 v8, v4, v5
	ds_read2_b64 v[4:7], v224 offset0:57 offset1:58
	v_mul_f32_e32 v1, v1, v225
	v_fma_f32 v0, v0, v202, -v1
	v_mul_f32_e32 v1, v3, v227
	v_add_f32_e32 v0, 0, v0
	s_waitcnt vmcnt(8) lgkmcnt(0)
	v_mul_f32_e32 v9, v4, v229
	v_fmac_f32_e32 v9, v5, v208
	v_add_f32_e32 v8, v8, v9
	s_waitcnt vmcnt(6)
	v_mul_f32_e32 v9, v6, v231
	v_fmac_f32_e32 v9, v7, v226
	v_add_f32_e32 v12, v8, v9
	ds_read2_b64 v[8:11], v224 offset0:59 offset1:60
	v_fma_f32 v1, v2, v204, -v1
	v_add_f32_e32 v0, v0, v1
	v_mul_f32_e32 v1, v5, v229
	v_fma_f32 v1, v4, v208, -v1
	s_waitcnt vmcnt(4) lgkmcnt(0)
	v_mul_f32_e32 v13, v8, v233
	v_fmac_f32_e32 v13, v9, v228
	v_add_f32_e32 v12, v12, v13
	s_waitcnt vmcnt(2)
	v_mul_f32_e32 v13, v10, v234
	v_fmac_f32_e32 v13, v11, v230
	v_add_f32_e32 v16, v12, v13
	ds_read2_b64 v[12:15], v224 offset0:61 offset1:62
	buffer_load_dword v236, off, s[0:3], 0 offset:64
	buffer_load_dword v237, off, s[0:3], 0 offset:68
	v_add_f32_e32 v0, v0, v1
	v_mul_f32_e32 v1, v7, v231
	v_fma_f32 v1, v6, v226, -v1
	s_waitcnt vmcnt(2) lgkmcnt(0)
	v_mul_f32_e32 v17, v12, v235
	v_fmac_f32_e32 v17, v13, v232
	v_add_f32_e32 v16, v16, v17
	v_add_f32_e32 v0, v0, v1
	v_mul_f32_e32 v1, v9, v233
	v_fma_f32 v1, v8, v228, -v1
	v_add_f32_e32 v0, v0, v1
	v_mul_f32_e32 v1, v11, v234
	v_fma_f32 v1, v10, v230, -v1
	;; [unrolled: 3-line block ×3, first 2 shown]
	v_add_f32_e32 v0, v0, v1
	s_waitcnt vmcnt(0)
	v_mul_f32_e32 v17, v14, v237
	v_fmac_f32_e32 v17, v15, v236
	v_add_f32_e32 v20, v16, v17
	ds_read2_b64 v[16:19], v224 offset0:63 offset1:64
	buffer_load_dword v238, off, s[0:3], 0 offset:72
	buffer_load_dword v239, off, s[0:3], 0 offset:76
	buffer_load_dword v240, off, s[0:3], 0 offset:80
	buffer_load_dword v241, off, s[0:3], 0 offset:84
	v_mul_f32_e32 v1, v15, v237
	v_fma_f32 v1, v14, v236, -v1
	v_add_f32_e32 v0, v0, v1
	s_waitcnt vmcnt(2) lgkmcnt(0)
	v_mul_f32_e32 v21, v16, v239
	v_fmac_f32_e32 v21, v17, v238
	v_add_f32_e32 v20, v20, v21
	s_waitcnt vmcnt(0)
	v_mul_f32_e32 v21, v18, v241
	v_fmac_f32_e32 v21, v19, v240
	v_add_f32_e32 v24, v20, v21
	ds_read2_b64 v[20:23], v224 offset0:65 offset1:66
	buffer_load_dword v242, off, s[0:3], 0 offset:88
	buffer_load_dword v243, off, s[0:3], 0 offset:92
	buffer_load_dword v244, off, s[0:3], 0 offset:96
	buffer_load_dword v245, off, s[0:3], 0 offset:100
	v_mul_f32_e32 v1, v17, v239
	v_fma_f32 v1, v16, v238, -v1
	v_add_f32_e32 v0, v0, v1
	v_mul_f32_e32 v1, v19, v241
	v_fma_f32 v1, v18, v240, -v1
	v_add_f32_e32 v0, v0, v1
	s_waitcnt vmcnt(2) lgkmcnt(0)
	v_mul_f32_e32 v25, v20, v243
	v_fmac_f32_e32 v25, v21, v242
	v_add_f32_e32 v24, v24, v25
	s_waitcnt vmcnt(0)
	v_mul_f32_e32 v25, v22, v245
	v_fmac_f32_e32 v25, v23, v244
	v_add_f32_e32 v28, v24, v25
	ds_read2_b64 v[24:27], v224 offset0:67 offset1:68
	buffer_load_dword v246, off, s[0:3], 0 offset:104
	buffer_load_dword v247, off, s[0:3], 0 offset:108
	buffer_load_dword v248, off, s[0:3], 0 offset:112
	buffer_load_dword v249, off, s[0:3], 0 offset:116
	v_mul_f32_e32 v1, v21, v243
	v_fma_f32 v1, v20, v242, -v1
	v_add_f32_e32 v0, v0, v1
	;; [unrolled: 19-line block ×4, first 2 shown]
	v_mul_f32_e32 v1, v31, v253
	v_fma_f32 v1, v30, v252, -v1
	v_add_f32_e32 v0, v0, v1
	s_waitcnt vmcnt(2) lgkmcnt(0)
	v_mul_f32_e32 v37, v32, v255
	v_fmac_f32_e32 v37, v33, v254
	v_add_f32_e32 v36, v36, v37
	s_waitcnt vmcnt(0)
	v_mul_f32_e32 v37, v34, v93
	v_fmac_f32_e32 v37, v35, v92
	v_add_f32_e32 v40, v36, v37
	ds_read2_b64 v[36:39], v224 offset0:73 offset1:74
	buffer_load_dword v94, off, s[0:3], 0 offset:152
	buffer_load_dword v95, off, s[0:3], 0 offset:156
	buffer_load_dword v96, off, s[0:3], 0 offset:160
	buffer_load_dword v97, off, s[0:3], 0 offset:164
	ds_read2_b64 v[44:47], v224 offset0:75 offset1:76
	buffer_load_dword v98, off, s[0:3], 0 offset:168
	buffer_load_dword v99, off, s[0:3], 0 offset:172
	buffer_load_dword v100, off, s[0:3], 0 offset:176
	buffer_load_dword v101, off, s[0:3], 0 offset:180
	;; [unrolled: 5-line block ×13, first 2 shown]
	v_mul_f32_e32 v1, v33, v255
	v_fma_f32 v1, v32, v254, -v1
	v_add_f32_e32 v0, v0, v1
	v_mul_f32_e32 v1, v35, v93
	v_fma_f32 v1, v34, v92, -v1
	v_add_f32_e32 v0, v0, v1
	s_waitcnt vmcnt(50) lgkmcnt(12)
	v_mul_f32_e32 v41, v36, v95
	v_fmac_f32_e32 v41, v37, v94
	v_add_f32_e32 v40, v40, v41
	s_waitcnt vmcnt(48)
	v_mul_f32_e32 v41, v38, v97
	v_fmac_f32_e32 v41, v39, v96
	v_add_f32_e32 v40, v40, v41
	s_waitcnt vmcnt(46) lgkmcnt(11)
	v_mul_f32_e32 v41, v44, v99
	v_fmac_f32_e32 v41, v45, v98
	v_add_f32_e32 v40, v40, v41
	s_waitcnt vmcnt(44)
	v_mul_f32_e32 v41, v46, v101
	v_fmac_f32_e32 v41, v47, v100
	;; [unrolled: 8-line block ×12, first 2 shown]
	v_add_f32_e32 v40, v40, v41
	s_waitcnt vmcnt(2) lgkmcnt(0)
	v_mul_f32_e32 v41, v88, v143
	v_fmac_f32_e32 v41, v89, v142
	v_add_f32_e32 v203, v40, v41
	ds_read2_b64 v[40:43], v224 offset0:99 offset1:100
	buffer_load_dword v146, off, s[0:3], 0 offset:360
	buffer_load_dword v147, off, s[0:3], 0 offset:364
	;; [unrolled: 1-line block ×18, first 2 shown]
	v_mul_f32_e32 v1, v37, v95
	v_fma_f32 v1, v36, v94, -v1
	v_add_f32_e32 v0, v0, v1
	v_mul_f32_e32 v1, v39, v97
	v_fma_f32 v1, v38, v96, -v1
	v_add_f32_e32 v0, v0, v1
	;; [unrolled: 3-line block ×25, first 2 shown]
	s_waitcnt vmcnt(18)
	v_mul_f32_e32 v0, v91, v145
	s_waitcnt vmcnt(15)
	v_mov_b32_e32 v16, v207
	v_mul_f32_e32 v205, v90, v145
	v_fma_f32 v204, v90, v144, -v0
	s_waitcnt lgkmcnt(0)
	v_mul_f32_e32 v0, v41, v147
	v_pk_mul_f32 v[16:17], v[42:43], v[16:17] op_sel_hi:[1,0]
	v_fmac_f32_e32 v205, v91, v144
	v_mul_f32_e32 v209, v40, v147
	v_fma_f32 v208, v40, v146, -v0
	ds_read2_b64 v[0:3], v224 offset0:101 offset1:102
	ds_read2_b64 v[4:7], v224 offset0:103 offset1:104
	;; [unrolled: 1-line block ×3, first 2 shown]
	ds_read_b64 v[12:13], v224 offset:856
	s_waitcnt vmcnt(14)
	v_pk_fma_f32 v[18:19], v[42:43], v[206:207], v[16:17] op_sel:[0,0,1] op_sel_hi:[1,1,0] neg_lo:[0,0,1] neg_hi:[0,0,1]
	v_pk_fma_f32 v[16:17], v[42:43], v[206:207], v[16:17] op_sel:[0,0,1] op_sel_hi:[1,0,0]
	v_fmac_f32_e32 v209, v41, v146
	v_pk_add_f32 v[14:15], v[202:203], v[204:205]
	s_waitcnt vmcnt(13)
	v_mov_b32_e32 v16, v223
	v_pk_add_f32 v[14:15], v[14:15], v[208:209]
	v_mov_b32_e32 v19, v17
	s_waitcnt lgkmcnt(3)
	v_pk_mul_f32 v[16:17], v[0:1], v[16:17] op_sel_hi:[1,0]
	v_pk_add_f32 v[14:15], v[14:15], v[18:19]
	s_waitcnt vmcnt(12)
	v_pk_fma_f32 v[18:19], v[0:1], v[222:223], v[16:17] op_sel:[0,0,1] op_sel_hi:[1,1,0] neg_lo:[0,0,1] neg_hi:[0,0,1]
	v_pk_fma_f32 v[0:1], v[0:1], v[222:223], v[16:17] op_sel:[0,0,1] op_sel_hi:[1,0,0]
	v_mov_b32_e32 v19, v1
	v_pk_add_f32 v[0:1], v[14:15], v[18:19]
	s_waitcnt vmcnt(11)
	v_mov_b32_e32 v14, v221
	v_pk_mul_f32 v[14:15], v[2:3], v[14:15] op_sel_hi:[1,0]
	s_waitcnt vmcnt(10)
	v_pk_fma_f32 v[16:17], v[2:3], v[220:221], v[14:15] op_sel:[0,0,1] op_sel_hi:[1,1,0] neg_lo:[0,0,1] neg_hi:[0,0,1]
	v_pk_fma_f32 v[2:3], v[2:3], v[220:221], v[14:15] op_sel:[0,0,1] op_sel_hi:[1,0,0]
	s_waitcnt vmcnt(9)
	v_mov_b32_e32 v2, v219
	v_mov_b32_e32 v17, v3
	s_waitcnt lgkmcnt(2)
	v_pk_mul_f32 v[2:3], v[4:5], v[2:3] op_sel_hi:[1,0]
	s_waitcnt vmcnt(8)
	v_pk_fma_f32 v[14:15], v[4:5], v[218:219], v[2:3] op_sel:[0,0,1] op_sel_hi:[1,1,0] neg_lo:[0,0,1] neg_hi:[0,0,1]
	v_pk_fma_f32 v[2:3], v[4:5], v[218:219], v[2:3] op_sel:[0,0,1] op_sel_hi:[1,0,0]
	s_waitcnt vmcnt(7)
	v_mov_b32_e32 v2, v217
	v_mov_b32_e32 v15, v3
	v_pk_mul_f32 v[2:3], v[6:7], v[2:3] op_sel_hi:[1,0]
	s_waitcnt vmcnt(6)
	v_pk_fma_f32 v[4:5], v[6:7], v[216:217], v[2:3] op_sel:[0,0,1] op_sel_hi:[1,1,0] neg_lo:[0,0,1] neg_hi:[0,0,1]
	v_pk_fma_f32 v[2:3], v[6:7], v[216:217], v[2:3] op_sel:[0,0,1] op_sel_hi:[1,0,0]
	v_pk_add_f32 v[0:1], v[0:1], v[16:17]
	s_waitcnt vmcnt(5)
	v_mov_b32_e32 v2, v215
	v_pk_add_f32 v[0:1], v[0:1], v[14:15]
	v_mov_b32_e32 v5, v3
	s_waitcnt lgkmcnt(1)
	v_pk_mul_f32 v[2:3], v[8:9], v[2:3] op_sel_hi:[1,0]
	v_pk_add_f32 v[0:1], v[0:1], v[4:5]
	s_waitcnt vmcnt(4)
	v_pk_fma_f32 v[4:5], v[8:9], v[214:215], v[2:3] op_sel:[0,0,1] op_sel_hi:[1,1,0] neg_lo:[0,0,1] neg_hi:[0,0,1]
	v_pk_fma_f32 v[2:3], v[8:9], v[214:215], v[2:3] op_sel:[0,0,1] op_sel_hi:[1,0,0]
	s_waitcnt vmcnt(3)
	v_mov_b32_e32 v2, v213
	v_mov_b32_e32 v5, v3
	v_pk_mul_f32 v[2:3], v[10:11], v[2:3] op_sel_hi:[1,0]
	v_pk_add_f32 v[0:1], v[0:1], v[4:5]
	s_waitcnt vmcnt(2)
	v_pk_fma_f32 v[4:5], v[10:11], v[212:213], v[2:3] op_sel:[0,0,1] op_sel_hi:[1,1,0] neg_lo:[0,0,1] neg_hi:[0,0,1]
	v_pk_fma_f32 v[2:3], v[10:11], v[212:213], v[2:3] op_sel:[0,0,1] op_sel_hi:[1,0,0]
	s_waitcnt vmcnt(1)
	v_mov_b32_e32 v2, v211
	v_mov_b32_e32 v5, v3
	s_waitcnt lgkmcnt(0)
	v_pk_mul_f32 v[2:3], v[12:13], v[2:3] op_sel_hi:[1,0]
	v_pk_add_f32 v[0:1], v[0:1], v[4:5]
	s_waitcnt vmcnt(0)
	v_pk_fma_f32 v[4:5], v[12:13], v[210:211], v[2:3] op_sel:[0,0,1] op_sel_hi:[1,1,0] neg_lo:[0,0,1] neg_hi:[0,0,1]
	v_pk_fma_f32 v[2:3], v[12:13], v[210:211], v[2:3] op_sel:[0,0,1] op_sel_hi:[1,0,0]
	v_mov_b32_e32 v5, v3
	v_pk_add_f32 v[0:1], v[0:1], v[4:5]
	v_pk_add_f32 v[0:1], v[200:201], v[0:1] neg_lo:[0,1] neg_hi:[0,1]
	buffer_store_dword v1, off, s[0:3], 0 offset:4
	buffer_store_dword v0, off, s[0:3], 0
	s_cbranch_vccz .LBB53_445
; %bb.338:
	v_pk_mov_b32 v[0:1], s[10:11], s[10:11] op_sel:[0,1]
	flat_load_dword v0, v[0:1] offset:208
	s_waitcnt vmcnt(0) lgkmcnt(0)
	v_add_u32_e32 v0, -1, v0
	v_cmp_ne_u32_e32 vcc, 52, v0
	s_and_saveexec_b64 s[4:5], vcc
	s_cbranch_execz .LBB53_340
; %bb.339:
	v_mov_b32_e32 v1, 0
	v_lshl_add_u32 v0, v0, 3, v1
	buffer_load_dword v1, v0, s[0:3], 0 offen
	buffer_load_dword v2, v0, s[0:3], 0 offen offset:4
	buffer_load_dword v3, off, s[0:3], 0 offset:420
	buffer_load_dword v4, off, s[0:3], 0 offset:416
	s_waitcnt vmcnt(3)
	buffer_store_dword v1, off, s[0:3], 0 offset:416
	s_waitcnt vmcnt(3)
	buffer_store_dword v2, off, s[0:3], 0 offset:420
	s_waitcnt vmcnt(3)
	buffer_store_dword v3, v0, s[0:3], 0 offen offset:4
	s_waitcnt vmcnt(3)
	buffer_store_dword v4, v0, s[0:3], 0 offen
.LBB53_340:
	s_or_b64 exec, exec, s[4:5]
	v_pk_mov_b32 v[0:1], s[10:11], s[10:11] op_sel:[0,1]
	flat_load_dword v0, v[0:1] offset:204
	s_waitcnt vmcnt(0) lgkmcnt(0)
	v_add_u32_e32 v0, -1, v0
	v_cmp_ne_u32_e32 vcc, 51, v0
	s_and_saveexec_b64 s[4:5], vcc
	s_cbranch_execz .LBB53_342
; %bb.341:
	v_mov_b32_e32 v1, 0
	v_lshl_add_u32 v0, v0, 3, v1
	buffer_load_dword v1, v0, s[0:3], 0 offen
	buffer_load_dword v2, v0, s[0:3], 0 offen offset:4
	buffer_load_dword v3, off, s[0:3], 0 offset:408
	buffer_load_dword v4, off, s[0:3], 0 offset:412
	s_waitcnt vmcnt(3)
	buffer_store_dword v1, off, s[0:3], 0 offset:408
	s_waitcnt vmcnt(3)
	buffer_store_dword v2, off, s[0:3], 0 offset:412
	s_waitcnt vmcnt(3)
	buffer_store_dword v3, v0, s[0:3], 0 offen
	s_waitcnt vmcnt(3)
	buffer_store_dword v4, v0, s[0:3], 0 offen offset:4
.LBB53_342:
	s_or_b64 exec, exec, s[4:5]
	v_pk_mov_b32 v[0:1], s[10:11], s[10:11] op_sel:[0,1]
	flat_load_dword v0, v[0:1] offset:200
	s_waitcnt vmcnt(0) lgkmcnt(0)
	v_add_u32_e32 v0, -1, v0
	v_cmp_ne_u32_e32 vcc, 50, v0
	s_and_saveexec_b64 s[4:5], vcc
	s_cbranch_execz .LBB53_344
; %bb.343:
	v_mov_b32_e32 v1, 0
	v_lshl_add_u32 v0, v0, 3, v1
	buffer_load_dword v1, v0, s[0:3], 0 offen
	buffer_load_dword v2, v0, s[0:3], 0 offen offset:4
	buffer_load_dword v3, off, s[0:3], 0 offset:404
	buffer_load_dword v4, off, s[0:3], 0 offset:400
	s_waitcnt vmcnt(3)
	buffer_store_dword v1, off, s[0:3], 0 offset:400
	s_waitcnt vmcnt(3)
	buffer_store_dword v2, off, s[0:3], 0 offset:404
	s_waitcnt vmcnt(3)
	buffer_store_dword v3, v0, s[0:3], 0 offen offset:4
	s_waitcnt vmcnt(3)
	buffer_store_dword v4, v0, s[0:3], 0 offen
.LBB53_344:
	s_or_b64 exec, exec, s[4:5]
	v_pk_mov_b32 v[0:1], s[10:11], s[10:11] op_sel:[0,1]
	flat_load_dword v0, v[0:1] offset:196
	s_waitcnt vmcnt(0) lgkmcnt(0)
	v_add_u32_e32 v0, -1, v0
	v_cmp_ne_u32_e32 vcc, 49, v0
	s_and_saveexec_b64 s[4:5], vcc
	s_cbranch_execz .LBB53_346
; %bb.345:
	v_mov_b32_e32 v1, 0
	v_lshl_add_u32 v0, v0, 3, v1
	buffer_load_dword v1, v0, s[0:3], 0 offen
	buffer_load_dword v2, v0, s[0:3], 0 offen offset:4
	buffer_load_dword v3, off, s[0:3], 0 offset:392
	buffer_load_dword v4, off, s[0:3], 0 offset:396
	s_waitcnt vmcnt(3)
	buffer_store_dword v1, off, s[0:3], 0 offset:392
	s_waitcnt vmcnt(3)
	buffer_store_dword v2, off, s[0:3], 0 offset:396
	s_waitcnt vmcnt(3)
	buffer_store_dword v3, v0, s[0:3], 0 offen
	s_waitcnt vmcnt(3)
	buffer_store_dword v4, v0, s[0:3], 0 offen offset:4
.LBB53_346:
	s_or_b64 exec, exec, s[4:5]
	;; [unrolled: 48-line block ×26, first 2 shown]
	v_pk_mov_b32 v[0:1], s[10:11], s[10:11] op_sel:[0,1]
	flat_load_dword v2, v[0:1]
	s_nop 0
	buffer_load_dword v0, off, s[0:3], 0
	buffer_load_dword v1, off, s[0:3], 0 offset:4
	s_waitcnt vmcnt(0) lgkmcnt(0)
	v_add_u32_e32 v2, -1, v2
	v_cmp_ne_u32_e32 vcc, 0, v2
	s_and_saveexec_b64 s[4:5], vcc
	s_cbranch_execz .LBB53_444
; %bb.443:
	v_mov_b32_e32 v3, 0
	v_lshl_add_u32 v2, v2, 3, v3
	buffer_load_dword v3, v2, s[0:3], 0 offen offset:4
	buffer_load_dword v4, v2, s[0:3], 0 offen
	s_waitcnt vmcnt(1)
	buffer_store_dword v3, off, s[0:3], 0 offset:4
	s_waitcnt vmcnt(1)
	buffer_store_dword v4, off, s[0:3], 0
	buffer_store_dword v1, v2, s[0:3], 0 offen offset:4
	buffer_store_dword v0, v2, s[0:3], 0 offen
	buffer_load_dword v0, off, s[0:3], 0
	s_nop 0
	buffer_load_dword v1, off, s[0:3], 0 offset:4
.LBB53_444:
	s_or_b64 exec, exec, s[4:5]
.LBB53_445:
	buffer_load_dword v2, off, s[0:3], 0 offset:8
	buffer_load_dword v3, off, s[0:3], 0 offset:12
	;; [unrolled: 1-line block ×106, first 2 shown]
	s_waitcnt vmcnt(62)
	global_store_dwordx2 v[190:191], v[0:1], off
	global_store_dwordx2 v[192:193], v[2:3], off
	v_accvgpr_read_b32 v0, a0
	v_accvgpr_read_b32 v1, a1
	global_store_dwordx2 v[0:1], v[4:5], off
	v_accvgpr_read_b32 v0, a2
	v_accvgpr_read_b32 v1, a3
	;; [unrolled: 3-line block ×22, first 2 shown]
	s_waitcnt vmcnt(62)
	global_store_dwordx2 v[0:1], v[46:47], off
	v_accvgpr_read_b32 v0, a44
	v_accvgpr_read_b32 v1, a45
	global_store_dwordx2 v[0:1], v[48:49], off
	v_accvgpr_read_b32 v0, a46
	v_accvgpr_read_b32 v1, a47
	global_store_dwordx2 v[0:1], v[50:51], off
	v_accvgpr_read_b32 v0, a48
	v_accvgpr_read_b32 v1, a49
	global_store_dwordx2 v[0:1], v[52:53], off
	v_accvgpr_read_b32 v0, a50
	v_accvgpr_read_b32 v1, a51
	global_store_dwordx2 v[0:1], v[54:55], off
	v_accvgpr_read_b32 v0, a52
	v_accvgpr_read_b32 v1, a53
	global_store_dwordx2 v[0:1], v[56:57], off
	v_accvgpr_read_b32 v0, a54
	v_accvgpr_read_b32 v1, a55
	global_store_dwordx2 v[0:1], v[58:59], off
	global_store_dwordx2 v[148:149], v[60:61], off
	;; [unrolled: 1-line block ×5, first 2 shown]
	s_waitcnt vmcnt(62)
	global_store_dwordx2 v[156:157], v[68:69], off
	global_store_dwordx2 v[158:159], v[70:71], off
	;; [unrolled: 1-line block ×6, first 2 shown]
	s_waitcnt vmcnt(62)
	global_store_dwordx2 v[168:169], v[80:81], off
	global_store_dwordx2 v[170:171], v[82:83], off
	global_store_dwordx2 v[172:173], v[84:85], off
	s_waitcnt vmcnt(62)
	global_store_dwordx2 v[174:175], v[86:87], off
	s_waitcnt vmcnt(62)
	global_store_dwordx2 v[176:177], v[88:89], off
	;; [unrolled: 2-line block ×11, first 2 shown]
	s_endpgm
	.section	.rodata,"a",@progbits
	.p2align	6, 0x0
	.amdhsa_kernel _ZN9rocsolver6v33100L18getri_kernel_smallILi54E19rocblas_complex_numIfEPS3_EEvT1_iilPiilS6_bb
		.amdhsa_group_segment_fixed_size 868
		.amdhsa_private_segment_fixed_size 448
		.amdhsa_kernarg_size 60
		.amdhsa_user_sgpr_count 8
		.amdhsa_user_sgpr_private_segment_buffer 1
		.amdhsa_user_sgpr_dispatch_ptr 0
		.amdhsa_user_sgpr_queue_ptr 0
		.amdhsa_user_sgpr_kernarg_segment_ptr 1
		.amdhsa_user_sgpr_dispatch_id 0
		.amdhsa_user_sgpr_flat_scratch_init 1
		.amdhsa_user_sgpr_kernarg_preload_length 0
		.amdhsa_user_sgpr_kernarg_preload_offset 0
		.amdhsa_user_sgpr_private_segment_size 0
		.amdhsa_uses_dynamic_stack 0
		.amdhsa_system_sgpr_private_segment_wavefront_offset 1
		.amdhsa_system_sgpr_workgroup_id_x 1
		.amdhsa_system_sgpr_workgroup_id_y 0
		.amdhsa_system_sgpr_workgroup_id_z 0
		.amdhsa_system_sgpr_workgroup_info 0
		.amdhsa_system_vgpr_workitem_id 0
		.amdhsa_next_free_vgpr 312
		.amdhsa_next_free_sgpr 23
		.amdhsa_accum_offset 256
		.amdhsa_reserve_vcc 1
		.amdhsa_reserve_flat_scratch 1
		.amdhsa_float_round_mode_32 0
		.amdhsa_float_round_mode_16_64 0
		.amdhsa_float_denorm_mode_32 3
		.amdhsa_float_denorm_mode_16_64 3
		.amdhsa_dx10_clamp 1
		.amdhsa_ieee_mode 1
		.amdhsa_fp16_overflow 0
		.amdhsa_tg_split 0
		.amdhsa_exception_fp_ieee_invalid_op 0
		.amdhsa_exception_fp_denorm_src 0
		.amdhsa_exception_fp_ieee_div_zero 0
		.amdhsa_exception_fp_ieee_overflow 0
		.amdhsa_exception_fp_ieee_underflow 0
		.amdhsa_exception_fp_ieee_inexact 0
		.amdhsa_exception_int_div_zero 0
	.end_amdhsa_kernel
	.section	.text._ZN9rocsolver6v33100L18getri_kernel_smallILi54E19rocblas_complex_numIfEPS3_EEvT1_iilPiilS6_bb,"axG",@progbits,_ZN9rocsolver6v33100L18getri_kernel_smallILi54E19rocblas_complex_numIfEPS3_EEvT1_iilPiilS6_bb,comdat
.Lfunc_end53:
	.size	_ZN9rocsolver6v33100L18getri_kernel_smallILi54E19rocblas_complex_numIfEPS3_EEvT1_iilPiilS6_bb, .Lfunc_end53-_ZN9rocsolver6v33100L18getri_kernel_smallILi54E19rocblas_complex_numIfEPS3_EEvT1_iilPiilS6_bb
                                        ; -- End function
	.section	.AMDGPU.csdata,"",@progbits
; Kernel info:
; codeLenInByte = 112472
; NumSgprs: 29
; NumVgprs: 256
; NumAgprs: 56
; TotalNumVgprs: 312
; ScratchSize: 448
; MemoryBound: 0
; FloatMode: 240
; IeeeMode: 1
; LDSByteSize: 868 bytes/workgroup (compile time only)
; SGPRBlocks: 3
; VGPRBlocks: 38
; NumSGPRsForWavesPerEU: 29
; NumVGPRsForWavesPerEU: 312
; AccumOffset: 256
; Occupancy: 1
; WaveLimiterHint : 1
; COMPUTE_PGM_RSRC2:SCRATCH_EN: 1
; COMPUTE_PGM_RSRC2:USER_SGPR: 8
; COMPUTE_PGM_RSRC2:TRAP_HANDLER: 0
; COMPUTE_PGM_RSRC2:TGID_X_EN: 1
; COMPUTE_PGM_RSRC2:TGID_Y_EN: 0
; COMPUTE_PGM_RSRC2:TGID_Z_EN: 0
; COMPUTE_PGM_RSRC2:TIDIG_COMP_CNT: 0
; COMPUTE_PGM_RSRC3_GFX90A:ACCUM_OFFSET: 63
; COMPUTE_PGM_RSRC3_GFX90A:TG_SPLIT: 0
	.section	.text._ZN9rocsolver6v33100L18getri_kernel_smallILi55E19rocblas_complex_numIfEPS3_EEvT1_iilPiilS6_bb,"axG",@progbits,_ZN9rocsolver6v33100L18getri_kernel_smallILi55E19rocblas_complex_numIfEPS3_EEvT1_iilPiilS6_bb,comdat
	.globl	_ZN9rocsolver6v33100L18getri_kernel_smallILi55E19rocblas_complex_numIfEPS3_EEvT1_iilPiilS6_bb ; -- Begin function _ZN9rocsolver6v33100L18getri_kernel_smallILi55E19rocblas_complex_numIfEPS3_EEvT1_iilPiilS6_bb
	.p2align	8
	.type	_ZN9rocsolver6v33100L18getri_kernel_smallILi55E19rocblas_complex_numIfEPS3_EEvT1_iilPiilS6_bb,@function
_ZN9rocsolver6v33100L18getri_kernel_smallILi55E19rocblas_complex_numIfEPS3_EEvT1_iilPiilS6_bb: ; @_ZN9rocsolver6v33100L18getri_kernel_smallILi55E19rocblas_complex_numIfEPS3_EEvT1_iilPiilS6_bb
; %bb.0:
	s_add_u32 flat_scratch_lo, s6, s9
	s_addc_u32 flat_scratch_hi, s7, 0
	s_add_u32 s0, s0, s9
	s_addc_u32 s1, s1, 0
	v_cmp_gt_u32_e32 vcc, 55, v0
	s_and_saveexec_b64 s[6:7], vcc
	s_cbranch_execz .LBB54_234
; %bb.1:
	s_load_dword s22, s[4:5], 0x38
	s_load_dwordx4 s[16:19], s[4:5], 0x10
	s_load_dwordx4 s[12:15], s[4:5], 0x28
                                        ; implicit-def: $sgpr10_sgpr11
	s_waitcnt lgkmcnt(0)
	s_bitcmp1_b32 s22, 8
	s_cselect_b64 s[20:21], -1, 0
	s_ashr_i32 s9, s8, 31
	s_bfe_u32 s6, s22, 0x10008
	s_cmp_eq_u32 s6, 0
	s_cbranch_scc1 .LBB54_3
; %bb.2:
	s_load_dword s6, s[4:5], 0x20
	s_mul_i32 s7, s8, s13
	s_mul_hi_u32 s10, s8, s12
	s_mul_i32 s11, s9, s12
	s_add_i32 s10, s10, s7
	s_add_i32 s11, s10, s11
	s_mul_i32 s10, s8, s12
	s_waitcnt lgkmcnt(0)
	s_ashr_i32 s7, s6, 31
	s_lshl_b64 s[10:11], s[10:11], 2
	s_add_u32 s10, s18, s10
	s_addc_u32 s11, s19, s11
	s_lshl_b64 s[6:7], s[6:7], 2
	s_add_u32 s10, s10, s6
	s_addc_u32 s11, s11, s7
.LBB54_3:
	s_load_dwordx4 s[4:7], s[4:5], 0x0
	s_mul_i32 s12, s8, s17
	s_mul_hi_u32 s13, s8, s16
	s_add_i32 s17, s13, s12
	v_lshlrev_b32_e32 v6, 3, v0
	s_waitcnt lgkmcnt(0)
	s_ashr_i32 s13, s6, 31
	s_mov_b32 s12, s6
	s_mul_i32 s6, s9, s16
	s_add_i32 s17, s17, s6
	s_mul_i32 s16, s8, s16
	s_lshl_b64 s[16:17], s[16:17], 3
	s_add_u32 s6, s4, s16
	s_addc_u32 s16, s5, s17
	s_lshl_b64 s[4:5], s[12:13], 3
	s_add_u32 s4, s6, s4
	s_addc_u32 s5, s16, s5
	s_add_i32 s6, s7, s7
	v_add_u32_e32 v2, s6, v0
	v_ashrrev_i32_e32 v3, 31, v2
	v_lshlrev_b64 v[4:5], 3, v[2:3]
	v_add_u32_e32 v2, s7, v2
	v_mov_b32_e32 v1, s5
	v_add_co_u32_e32 v12, vcc, s4, v4
	v_ashrrev_i32_e32 v3, 31, v2
	v_addc_co_u32_e32 v13, vcc, v1, v5, vcc
	v_lshlrev_b64 v[4:5], 3, v[2:3]
	v_add_u32_e32 v2, s7, v2
	v_add_co_u32_e32 v14, vcc, s4, v4
	v_ashrrev_i32_e32 v3, 31, v2
	v_addc_co_u32_e32 v15, vcc, v1, v5, vcc
	v_lshlrev_b64 v[4:5], 3, v[2:3]
	v_add_u32_e32 v2, s7, v2
	;; [unrolled: 5-line block ×44, first 2 shown]
	v_add_co_u32_e32 v182, vcc, s4, v4
	v_ashrrev_i32_e32 v3, 31, v2
	v_addc_co_u32_e32 v183, vcc, v1, v5, vcc
	v_lshlrev_b64 v[4:5], 3, v[2:3]
	v_add_co_u32_e32 v184, vcc, s4, v4
	v_add_u32_e32 v2, s7, v2
	v_addc_co_u32_e32 v185, vcc, v1, v5, vcc
	v_ashrrev_i32_e32 v3, 31, v2
	v_lshlrev_b64 v[4:5], 3, v[2:3]
	v_mov_b32_e32 v3, s5
	v_add_co_u32_e32 v192, vcc, s4, v6
	s_ashr_i32 s13, s7, 31
	s_mov_b32 s12, s7
	v_addc_co_u32_e32 v193, vcc, 0, v3, vcc
	s_lshl_b64 s[12:13], s[12:13], 3
	v_mov_b32_e32 v3, s13
	v_add_co_u32_e32 v196, vcc, s12, v192
	v_addc_co_u32_e32 v197, vcc, v193, v3, vcc
	v_add_u32_e32 v2, s7, v2
	v_add_co_u32_e32 v186, vcc, s4, v4
	v_ashrrev_i32_e32 v3, 31, v2
	v_accvgpr_write_b32 a0, v12
	v_accvgpr_write_b32 a2, v14
	;; [unrolled: 1-line block ×3, first 2 shown]
	global_load_dwordx2 v[8:9], v6, s[4:5]
	v_addc_co_u32_e32 v187, vcc, v1, v5, vcc
	global_load_dwordx2 v[4:5], v[12:13], off
	v_accvgpr_write_b32 a1, v13
	v_accvgpr_write_b32 a3, v15
	global_load_dwordx2 v[14:15], v[14:15], off
	v_accvgpr_write_b32 a9, v21
	global_load_dwordx2 v[20:21], v[20:21], off
	v_lshlrev_b64 v[12:13], 3, v[2:3]
	v_add_co_u32_e32 v188, vcc, s4, v12
	v_addc_co_u32_e32 v189, vcc, v1, v13, vcc
	global_load_dwordx2 v[12:13], v[16:17], off
	v_accvgpr_write_b32 a4, v16
	v_accvgpr_write_b32 a12, v24
	;; [unrolled: 1-line block ×3, first 2 shown]
	global_load_dwordx2 v[10:11], v[196:197], off
	v_accvgpr_write_b32 a5, v17
	v_accvgpr_write_b32 a13, v25
	global_load_dwordx2 v[24:25], v[24:25], off
	v_accvgpr_write_b32 a25, v37
	global_load_dwordx2 v[36:37], v[36:37], off
	v_add_u32_e32 v2, s7, v2
	global_load_dwordx2 v[16:17], v[18:19], off
	v_ashrrev_i32_e32 v3, 31, v2
	v_accvgpr_write_b32 a6, v18
	v_accvgpr_write_b32 a14, v26
	;; [unrolled: 1-line block ×5, first 2 shown]
	global_load_dwordx2 v[26:27], v[26:27], off
	v_accvgpr_write_b32 a27, v39
	global_load_dwordx2 v[38:39], v[38:39], off
	v_lshlrev_b64 v[18:19], 3, v[2:3]
	v_add_co_u32_e32 v190, vcc, s4, v18
	v_addc_co_u32_e32 v191, vcc, v1, v19, vcc
	global_load_dwordx2 v[18:19], v[22:23], off
	v_add_u32_e32 v2, s7, v2
	v_accvgpr_write_b32 a10, v22
	v_ashrrev_i32_e32 v3, 31, v2
	v_accvgpr_write_b32 a18, v30
	v_accvgpr_write_b32 a11, v23
	;; [unrolled: 1-line block ×3, first 2 shown]
	global_load_dwordx2 v[30:31], v[30:31], off
	v_lshlrev_b64 v[22:23], 3, v[2:3]
	v_add_co_u32_e32 v194, vcc, s4, v22
	v_addc_co_u32_e32 v195, vcc, v1, v23, vcc
	global_load_dwordx2 v[22:23], v[28:29], off
	v_add_u32_e32 v2, s7, v2
	v_ashrrev_i32_e32 v3, 31, v2
	v_accvgpr_write_b32 a16, v28
	v_accvgpr_write_b32 a28, v40
	;; [unrolled: 1-line block ×4, first 2 shown]
	global_load_dwordx2 v[40:41], v[40:41], off
	v_lshlrev_b64 v[28:29], 3, v[2:3]
	v_add_u32_e32 v2, s7, v2
	v_add_co_u32_e32 v198, vcc, s4, v28
	v_accvgpr_write_b32 a20, v32
	v_ashrrev_i32_e32 v3, 31, v2
	v_accvgpr_write_b32 a22, v34
	v_addc_co_u32_e32 v199, vcc, v1, v29, vcc
	v_accvgpr_write_b32 a21, v33
	global_load_dwordx2 v[28:29], v[32:33], off
	v_accvgpr_write_b32 a23, v35
	global_load_dwordx2 v[32:33], v[34:35], off
	v_lshlrev_b64 v[34:35], 3, v[2:3]
	v_add_u32_e32 v2, s7, v2
	v_add_co_u32_e32 v200, vcc, s4, v34
	v_ashrrev_i32_e32 v3, 31, v2
	v_addc_co_u32_e32 v201, vcc, v1, v35, vcc
	v_lshlrev_b64 v[2:3], 3, v[2:3]
	v_accvgpr_write_b32 a30, v42
	v_accvgpr_write_b32 a32, v44
	;; [unrolled: 1-line block ×8, first 2 shown]
	v_add_co_u32_e32 v202, vcc, s4, v2
	v_accvgpr_write_b32 a31, v43
	global_load_dwordx2 v[34:35], v[42:43], off
	v_accvgpr_write_b32 a33, v45
	global_load_dwordx2 v[42:43], v[44:45], off
	;; [unrolled: 2-line block ×8, first 2 shown]
	v_addc_co_u32_e32 v203, vcc, v1, v3, vcc
	global_load_dwordx2 v[2:3], v[58:59], off
	global_load_dwordx2 v[56:57], v[202:203], off
	v_accvgpr_write_b32 a46, v58
	v_accvgpr_write_b32 a47, v59
	global_load_dwordx2 v[58:59], v[60:61], off
	v_accvgpr_write_b32 a48, v60
	v_accvgpr_write_b32 a49, v61
	s_waitcnt vmcnt(27)
	buffer_store_dword v9, off, s[0:3], 0 offset:4
	buffer_store_dword v8, off, s[0:3], 0
	global_load_dwordx2 v[8:9], v[64:65], off
	v_accvgpr_write_b32 a50, v62
	s_waitcnt vmcnt(29)
	buffer_store_dword v5, off, s[0:3], 0 offset:20
	buffer_store_dword v4, off, s[0:3], 0 offset:16
	global_load_dwordx2 v[4:5], v[72:73], off
	v_accvgpr_write_b32 a51, v63
	s_waitcnt vmcnt(29)
	buffer_store_dword v13, off, s[0:3], 0 offset:36
	buffer_store_dword v12, off, s[0:3], 0 offset:32
	global_load_dwordx2 v[12:13], v[162:163], off
	v_accvgpr_write_b32 a52, v64
	global_load_dwordx2 v[60:61], v[62:63], off
	v_accvgpr_write_b32 a53, v65
	s_waitcnt vmcnt(32)
	buffer_store_dword v11, off, s[0:3], 0 offset:12
	buffer_store_dword v10, off, s[0:3], 0 offset:8
	global_load_dwordx2 v[10:11], v[68:69], off
	v_accvgpr_write_b32 a54, v66
	buffer_store_dword v15, off, s[0:3], 0 offset:28
	buffer_store_dword v14, off, s[0:3], 0 offset:24
	global_load_dwordx2 v[14:15], v[158:159], off
	v_accvgpr_write_b32 a56, v68
	s_waitcnt vmcnt(35)
	buffer_store_dword v17, off, s[0:3], 0 offset:44
	buffer_store_dword v16, off, s[0:3], 0 offset:40
	global_load_dwordx2 v[16:17], v[166:167], off
	v_accvgpr_write_b32 a60, v72
	global_load_dwordx2 v[62:63], v[66:67], off
	global_load_dwordx2 v[64:65], v[70:71], off
	v_accvgpr_write_b32 a55, v67
	v_accvgpr_write_b32 a57, v69
	global_load_dwordx2 v[68:69], v[160:161], off
	v_accvgpr_write_b32 a61, v73
	global_load_dwordx2 v[72:73], v[168:169], off
	global_load_dwordx2 v[66:67], v[74:75], off
	v_accvgpr_write_b32 a58, v70
	v_accvgpr_write_b32 a59, v71
	global_load_dwordx2 v[70:71], v[164:165], off
	v_accvgpr_write_b32 a62, v74
	buffer_store_dword v21, off, s[0:3], 0 offset:52
	buffer_store_dword v20, off, s[0:3], 0 offset:48
	global_load_dwordx2 v[20:21], v[170:171], off
	v_accvgpr_write_b32 a63, v75
	s_waitcnt vmcnt(44)
	buffer_store_dword v19, off, s[0:3], 0 offset:60
	buffer_store_dword v18, off, s[0:3], 0 offset:56
	global_load_dwordx2 v[18:19], v[174:175], off
	s_bitcmp0_b32 s22, 0
	global_load_dwordx2 v[74:75], v[172:173], off
	global_load_dwordx2 v[76:77], v[176:177], off
	;; [unrolled: 1-line block ×7, first 2 shown]
	s_mov_b64 s[6:7], -1
	buffer_store_dword v25, off, s[0:3], 0 offset:68
	buffer_store_dword v24, off, s[0:3], 0 offset:64
	global_load_dwordx2 v[24:25], v[178:179], off
	s_nop 0
	buffer_store_dword v26, off, s[0:3], 0 offset:72
	buffer_store_dword v27, off, s[0:3], 0 offset:76
	global_load_dwordx2 v[26:27], v[182:183], off
	s_waitcnt vmcnt(58)
	buffer_store_dword v22, off, s[0:3], 0 offset:80
	buffer_store_dword v23, off, s[0:3], 0 offset:84
	global_load_dwordx2 v[22:23], v[186:187], off
	s_nop 0
	buffer_store_dword v30, off, s[0:3], 0 offset:88
	buffer_store_dword v31, off, s[0:3], 0 offset:92
	global_load_dwordx2 v[30:31], v[190:191], off
	s_waitcnt vmcnt(62)
	buffer_store_dword v28, off, s[0:3], 0 offset:96
	buffer_store_dword v29, off, s[0:3], 0 offset:100
	global_load_dwordx2 v[28:29], v[198:199], off
	s_waitcnt vmcnt(62)
	buffer_store_dword v32, off, s[0:3], 0 offset:104
	buffer_store_dword v33, off, s[0:3], 0 offset:108
	buffer_store_dword v37, off, s[0:3], 0 offset:116
	buffer_store_dword v36, off, s[0:3], 0 offset:112
	buffer_store_dword v38, off, s[0:3], 0 offset:120
	buffer_store_dword v39, off, s[0:3], 0 offset:124
	buffer_store_dword v40, off, s[0:3], 0 offset:128
	buffer_store_dword v41, off, s[0:3], 0 offset:132
	buffer_store_dword v34, off, s[0:3], 0 offset:136
	buffer_store_dword v35, off, s[0:3], 0 offset:140
	buffer_store_dword v42, off, s[0:3], 0 offset:144
	buffer_store_dword v43, off, s[0:3], 0 offset:148
	s_waitcnt vmcnt(62)
	buffer_store_dword v45, off, s[0:3], 0 offset:156
	buffer_store_dword v44, off, s[0:3], 0 offset:152
	;; [unrolled: 1-line block ×16, first 2 shown]
	s_waitcnt vmcnt(62)
	buffer_store_dword v60, off, s[0:3], 0 offset:216
	buffer_store_dword v61, off, s[0:3], 0 offset:220
	;; [unrolled: 1-line block ×4, first 2 shown]
	s_waitcnt vmcnt(62)
	buffer_store_dword v62, off, s[0:3], 0 offset:232
	buffer_store_dword v63, off, s[0:3], 0 offset:236
	;; [unrolled: 1-line block ×8, first 2 shown]
	s_waitcnt vmcnt(62)
	buffer_store_dword v66, off, s[0:3], 0 offset:264
	buffer_store_dword v67, off, s[0:3], 0 offset:268
	;; [unrolled: 1-line block ×16, first 2 shown]
	s_waitcnt vmcnt(62)
	buffer_store_dword v74, off, s[0:3], 0 offset:328
	buffer_store_dword v75, off, s[0:3], 0 offset:332
	buffer_store_dword v18, off, s[0:3], 0 offset:336
	buffer_store_dword v19, off, s[0:3], 0 offset:340
	buffer_store_dword v77, off, s[0:3], 0 offset:348
	buffer_store_dword v76, off, s[0:3], 0 offset:344
	buffer_store_dword v25, off, s[0:3], 0 offset:356
	buffer_store_dword v24, off, s[0:3], 0 offset:352
	buffer_store_dword v78, off, s[0:3], 0 offset:360
	buffer_store_dword v79, off, s[0:3], 0 offset:364
	buffer_store_dword v26, off, s[0:3], 0 offset:368
	buffer_store_dword v27, off, s[0:3], 0 offset:372
	buffer_store_dword v80, off, s[0:3], 0 offset:376
	buffer_store_dword v81, off, s[0:3], 0 offset:380
	buffer_store_dword v22, off, s[0:3], 0 offset:384
	buffer_store_dword v23, off, s[0:3], 0 offset:388
	buffer_store_dword v83, off, s[0:3], 0 offset:396
	buffer_store_dword v82, off, s[0:3], 0 offset:392
	s_waitcnt vmcnt(62)
	buffer_store_dword v31, off, s[0:3], 0 offset:404
	buffer_store_dword v30, off, s[0:3], 0 offset:400
	;; [unrolled: 1-line block ×10, first 2 shown]
	s_cbranch_scc1 .LBB54_232
; %bb.4:
	v_cmp_eq_u32_e64 s[4:5], 0, v0
	s_and_saveexec_b64 s[6:7], s[4:5]
	s_cbranch_execz .LBB54_6
; %bb.5:
	v_mov_b32_e32 v1, 0
	ds_write_b32 v1, v1 offset:440
.LBB54_6:
	s_or_b64 exec, exec, s[6:7]
	v_mov_b32_e32 v1, 0
	v_lshl_add_u32 v7, v0, 3, v1
	s_waitcnt lgkmcnt(0)
	; wave barrier
	s_waitcnt lgkmcnt(0)
	buffer_load_dword v1, v7, s[0:3], 0 offen
	buffer_load_dword v2, v7, s[0:3], 0 offen offset:4
	s_waitcnt vmcnt(1)
	v_cmp_eq_f32_e32 vcc, 0, v1
	s_waitcnt vmcnt(0)
	v_cmp_eq_f32_e64 s[6:7], 0, v2
	s_and_b64 s[6:7], vcc, s[6:7]
	s_and_saveexec_b64 s[12:13], s[6:7]
	s_cbranch_execz .LBB54_10
; %bb.7:
	v_mov_b32_e32 v1, 0
	ds_read_b32 v3, v1 offset:440
	v_add_u32_e32 v2, 1, v0
	s_waitcnt lgkmcnt(0)
	v_readfirstlane_b32 s6, v3
	s_cmp_eq_u32 s6, 0
	s_cselect_b64 s[16:17], -1, 0
	v_cmp_gt_i32_e32 vcc, s6, v2
	s_or_b64 s[16:17], s[16:17], vcc
	s_and_b64 exec, exec, s[16:17]
	s_cbranch_execz .LBB54_10
; %bb.8:
	s_mov_b64 s[16:17], 0
	v_mov_b32_e32 v3, s6
.LBB54_9:                               ; =>This Inner Loop Header: Depth=1
	ds_cmpst_rtn_b32 v3, v1, v3, v2 offset:440
	s_waitcnt lgkmcnt(0)
	v_cmp_ne_u32_e32 vcc, 0, v3
	v_cmp_le_i32_e64 s[6:7], v3, v2
	s_and_b64 s[6:7], vcc, s[6:7]
	s_and_b64 s[6:7], exec, s[6:7]
	s_or_b64 s[16:17], s[6:7], s[16:17]
	s_andn2_b64 exec, exec, s[16:17]
	s_cbranch_execnz .LBB54_9
.LBB54_10:
	s_or_b64 exec, exec, s[12:13]
	v_mov_b32_e32 v2, 0
	s_waitcnt lgkmcnt(0)
	; wave barrier
	ds_read_b32 v1, v2 offset:440
	s_and_saveexec_b64 s[6:7], s[4:5]
	s_cbranch_execz .LBB54_12
; %bb.11:
	s_lshl_b64 s[12:13], s[8:9], 2
	s_add_u32 s12, s14, s12
	s_addc_u32 s13, s15, s13
	s_waitcnt lgkmcnt(0)
	global_store_dword v2, v1, s[12:13]
.LBB54_12:
	s_or_b64 exec, exec, s[6:7]
	s_waitcnt lgkmcnt(0)
	v_cmp_ne_u32_e32 vcc, 0, v1
	s_mov_b64 s[6:7], 0
	s_cbranch_vccnz .LBB54_232
; %bb.13:
	buffer_load_dword v8, v7, s[0:3], 0 offen offset:4
	buffer_load_dword v3, v7, s[0:3], 0 offen
	s_waitcnt vmcnt(1)
	v_cmp_gt_f32_e32 vcc, 0, v8
	v_cndmask_b32_e64 v1, v8, -v8, vcc
	s_waitcnt vmcnt(0)
	v_cmp_gt_f32_e32 vcc, 0, v3
	v_cndmask_b32_e64 v2, v3, -v3, vcc
	v_cmp_ngt_f32_e32 vcc, v2, v1
                                        ; implicit-def: $vgpr1
                                        ; implicit-def: $vgpr2
	s_and_saveexec_b64 s[6:7], vcc
	s_xor_b64 s[6:7], exec, s[6:7]
                                        ; implicit-def: $vgpr4_vgpr5
	s_cbranch_execz .LBB54_15
; %bb.14:
	v_div_scale_f32 v1, s[12:13], v8, v8, v3
	v_rcp_f32_e32 v2, v1
	v_div_scale_f32 v4, vcc, v3, v8, v3
	v_fma_f32 v5, -v1, v2, 1.0
	v_fmac_f32_e32 v2, v5, v2
	v_mul_f32_e32 v5, v4, v2
	v_fma_f32 v9, -v1, v5, v4
	v_fmac_f32_e32 v5, v9, v2
	v_fma_f32 v1, -v1, v5, v4
	v_div_fmas_f32 v1, v1, v2, v5
	v_div_fixup_f32 v2, v1, v8, v3
	v_fmac_f32_e32 v8, v3, v2
	v_div_scale_f32 v1, s[12:13], v8, v8, -1.0
	v_rcp_f32_e32 v3, v1
	v_fma_f32 v4, -v1, v3, 1.0
	v_fmac_f32_e32 v3, v4, v3
	v_div_scale_f32 v4, vcc, -1.0, v8, -1.0
	v_mul_f32_e32 v5, v4, v3
	v_fma_f32 v9, -v1, v5, v4
	v_fmac_f32_e32 v5, v9, v3
	v_fma_f32 v1, -v1, v5, v4
	v_div_fmas_f32 v1, v1, v3, v5
	v_div_fixup_f32 v1, v1, v8, -1.0
	v_mul_f32_e32 v2, v2, v1
	v_xor_b32_e32 v4, 0x80000000, v2
                                        ; implicit-def: $vgpr3
                                        ; implicit-def: $vgpr8
.LBB54_15:
	s_andn2_saveexec_b64 s[6:7], s[6:7]
	s_cbranch_execz .LBB54_17
; %bb.16:
	v_div_scale_f32 v1, s[12:13], v3, v3, v8
	v_rcp_f32_e32 v2, v1
	v_div_scale_f32 v4, vcc, v8, v3, v8
	v_fma_f32 v5, -v1, v2, 1.0
	v_fmac_f32_e32 v2, v5, v2
	v_mul_f32_e32 v5, v4, v2
	v_fma_f32 v9, -v1, v5, v4
	v_fmac_f32_e32 v5, v9, v2
	v_fma_f32 v1, -v1, v5, v4
	v_div_fmas_f32 v1, v1, v2, v5
	v_div_fixup_f32 v1, v1, v3, v8
	v_fmac_f32_e32 v3, v8, v1
	v_div_scale_f32 v2, s[12:13], v3, v3, 1.0
	v_rcp_f32_e32 v4, v2
	v_fma_f32 v5, -v2, v4, 1.0
	v_fmac_f32_e32 v4, v5, v4
	v_div_scale_f32 v5, vcc, 1.0, v3, 1.0
	v_mul_f32_e32 v8, v5, v4
	v_fma_f32 v9, -v2, v8, v5
	v_fmac_f32_e32 v8, v9, v4
	v_fma_f32 v2, -v2, v8, v5
	v_div_fmas_f32 v2, v2, v4, v8
	v_div_fixup_f32 v4, v2, v3, 1.0
	v_xor_b32_e32 v2, 0x80000000, v4
	v_mul_f32_e64 v1, v1, -v4
.LBB54_17:
	s_or_b64 exec, exec, s[6:7]
	buffer_store_dword v1, v7, s[0:3], 0 offen offset:4
	buffer_store_dword v4, v7, s[0:3], 0 offen
	buffer_load_dword v5, off, s[0:3], 0 offset:12
	s_nop 0
	buffer_load_dword v4, off, s[0:3], 0 offset:8
	v_xor_b32_e32 v3, 0x80000000, v1
	v_add_u32_e32 v1, 0x1c0, v6
	s_waitcnt vmcnt(0)
	ds_write2_b64 v6, v[2:3], v[4:5] offset1:56
	s_waitcnt lgkmcnt(0)
	; wave barrier
	s_waitcnt lgkmcnt(0)
	s_and_saveexec_b64 s[6:7], s[4:5]
	s_cbranch_execz .LBB54_19
; %bb.18:
	buffer_load_dword v8, v7, s[0:3], 0 offen offset:4
	buffer_load_dword v9, v7, s[0:3], 0 offen
	ds_read_b64 v[2:3], v1
	v_mov_b32_e32 v4, 0
	ds_read_b64 v[4:5], v4 offset:8
	s_waitcnt vmcnt(1) lgkmcnt(1)
	v_mul_f32_e32 v10, v3, v8
	v_mul_f32_e32 v8, v2, v8
	s_waitcnt vmcnt(0)
	v_fmac_f32_e32 v8, v3, v9
	v_fma_f32 v2, v2, v9, -v10
	v_add_f32_e32 v3, 0, v8
	v_add_f32_e32 v2, 0, v2
	s_waitcnt lgkmcnt(0)
	v_mul_f32_e32 v8, v3, v5
	v_mul_f32_e32 v5, v2, v5
	v_fma_f32 v2, v2, v4, -v8
	v_fmac_f32_e32 v5, v3, v4
	buffer_store_dword v2, off, s[0:3], 0 offset:8
	buffer_store_dword v5, off, s[0:3], 0 offset:12
.LBB54_19:
	s_or_b64 exec, exec, s[6:7]
	s_waitcnt lgkmcnt(0)
	; wave barrier
	buffer_load_dword v2, off, s[0:3], 0 offset:16
	buffer_load_dword v3, off, s[0:3], 0 offset:20
	v_cmp_gt_u32_e32 vcc, 2, v0
	s_waitcnt vmcnt(0)
	ds_write_b64 v1, v[2:3]
	s_waitcnt lgkmcnt(0)
	; wave barrier
	s_waitcnt lgkmcnt(0)
	s_and_saveexec_b64 s[6:7], vcc
	s_cbranch_execz .LBB54_23
; %bb.20:
	buffer_load_dword v4, v7, s[0:3], 0 offen offset:4
	buffer_load_dword v5, v7, s[0:3], 0 offen
	ds_read_b64 v[2:3], v1
	s_waitcnt vmcnt(1) lgkmcnt(0)
	v_mul_f32_e32 v7, v3, v4
	v_mul_f32_e32 v4, v2, v4
	s_waitcnt vmcnt(0)
	v_fma_f32 v2, v2, v5, -v7
	v_fmac_f32_e32 v4, v3, v5
	v_add_f32_e32 v3, 0, v2
	v_add_f32_e32 v2, 0, v4
	s_and_saveexec_b64 s[12:13], s[4:5]
	s_cbranch_execz .LBB54_22
; %bb.21:
	buffer_load_dword v7, off, s[0:3], 0 offset:12
	buffer_load_dword v8, off, s[0:3], 0 offset:8
	v_mov_b32_e32 v4, 0
	ds_read_b64 v[4:5], v4 offset:456
	s_waitcnt vmcnt(1) lgkmcnt(0)
	v_mul_f32_e32 v9, v4, v7
	v_mul_f32_e32 v7, v5, v7
	s_waitcnt vmcnt(0)
	v_fmac_f32_e32 v9, v5, v8
	v_fma_f32 v4, v4, v8, -v7
	v_add_f32_e32 v2, v2, v9
	v_add_f32_e32 v3, v3, v4
.LBB54_22:
	s_or_b64 exec, exec, s[12:13]
	v_mov_b32_e32 v4, 0
	ds_read_b64 v[4:5], v4 offset:16
	s_waitcnt lgkmcnt(0)
	v_mul_f32_e32 v7, v2, v5
	v_mul_f32_e32 v5, v3, v5
	v_fma_f32 v3, v3, v4, -v7
	v_fmac_f32_e32 v5, v2, v4
	buffer_store_dword v3, off, s[0:3], 0 offset:16
	buffer_store_dword v5, off, s[0:3], 0 offset:20
.LBB54_23:
	s_or_b64 exec, exec, s[6:7]
	s_waitcnt lgkmcnt(0)
	; wave barrier
	buffer_load_dword v2, off, s[0:3], 0 offset:24
	buffer_load_dword v3, off, s[0:3], 0 offset:28
	v_cmp_gt_u32_e32 vcc, 3, v0
	s_waitcnt vmcnt(0)
	ds_write_b64 v1, v[2:3]
	v_add_u32_e32 v2, -1, v0
	s_waitcnt lgkmcnt(0)
	; wave barrier
	s_waitcnt lgkmcnt(0)
	s_and_saveexec_b64 s[4:5], vcc
	s_cbranch_execz .LBB54_27
; %bb.24:
	v_add_u32_e32 v4, -1, v0
	v_add_u32_e32 v5, 0x1c0, v6
	v_add_u32_e32 v7, 0, v6
	s_mov_b64 s[6:7], 0
	v_mov_b32_e32 v3, 0
	v_mov_b32_e32 v8, 0
.LBB54_25:                              ; =>This Inner Loop Header: Depth=1
	buffer_load_dword v9, v7, s[0:3], 0 offen offset:4
	buffer_load_dword v12, v7, s[0:3], 0 offen
	ds_read_b64 v[10:11], v5
	v_add_u32_e32 v4, 1, v4
	v_cmp_lt_u32_e32 vcc, 1, v4
	v_add_u32_e32 v5, 8, v5
	v_add_u32_e32 v7, 8, v7
	s_or_b64 s[6:7], vcc, s[6:7]
	s_waitcnt vmcnt(1) lgkmcnt(0)
	v_mul_f32_e32 v13, v11, v9
	v_mul_f32_e32 v9, v10, v9
	s_waitcnt vmcnt(0)
	v_fma_f32 v10, v10, v12, -v13
	v_fmac_f32_e32 v9, v11, v12
	v_add_f32_e32 v8, v8, v10
	v_add_f32_e32 v3, v3, v9
	s_andn2_b64 exec, exec, s[6:7]
	s_cbranch_execnz .LBB54_25
; %bb.26:
	s_or_b64 exec, exec, s[6:7]
	v_mov_b32_e32 v4, 0
	ds_read_b64 v[4:5], v4 offset:24
	s_waitcnt lgkmcnt(0)
	v_mul_f32_e32 v7, v3, v5
	v_mul_f32_e32 v5, v8, v5
	v_fma_f32 v7, v8, v4, -v7
	v_fmac_f32_e32 v5, v3, v4
	buffer_store_dword v7, off, s[0:3], 0 offset:24
	buffer_store_dword v5, off, s[0:3], 0 offset:28
.LBB54_27:
	s_or_b64 exec, exec, s[4:5]
	s_waitcnt lgkmcnt(0)
	; wave barrier
	buffer_load_dword v4, off, s[0:3], 0 offset:32
	buffer_load_dword v5, off, s[0:3], 0 offset:36
	v_cmp_gt_u32_e32 vcc, 4, v0
	s_waitcnt vmcnt(0)
	ds_write_b64 v1, v[4:5]
	s_waitcnt lgkmcnt(0)
	; wave barrier
	s_waitcnt lgkmcnt(0)
	s_and_saveexec_b64 s[4:5], vcc
	s_cbranch_execz .LBB54_31
; %bb.28:
	v_add_u32_e32 v4, -1, v0
	v_add_u32_e32 v5, 0x1c0, v6
	v_add_u32_e32 v7, 0, v6
	s_mov_b64 s[6:7], 0
	v_mov_b32_e32 v3, 0
	v_mov_b32_e32 v8, 0
.LBB54_29:                              ; =>This Inner Loop Header: Depth=1
	buffer_load_dword v9, v7, s[0:3], 0 offen offset:4
	buffer_load_dword v12, v7, s[0:3], 0 offen
	ds_read_b64 v[10:11], v5
	v_add_u32_e32 v4, 1, v4
	v_cmp_lt_u32_e32 vcc, 2, v4
	v_add_u32_e32 v5, 8, v5
	v_add_u32_e32 v7, 8, v7
	s_or_b64 s[6:7], vcc, s[6:7]
	s_waitcnt vmcnt(1) lgkmcnt(0)
	v_mul_f32_e32 v13, v11, v9
	v_mul_f32_e32 v9, v10, v9
	s_waitcnt vmcnt(0)
	v_fma_f32 v10, v10, v12, -v13
	v_fmac_f32_e32 v9, v11, v12
	v_add_f32_e32 v8, v8, v10
	v_add_f32_e32 v3, v3, v9
	s_andn2_b64 exec, exec, s[6:7]
	s_cbranch_execnz .LBB54_29
; %bb.30:
	s_or_b64 exec, exec, s[6:7]
	v_mov_b32_e32 v4, 0
	ds_read_b64 v[4:5], v4 offset:32
	s_waitcnt lgkmcnt(0)
	v_mul_f32_e32 v7, v3, v5
	v_mul_f32_e32 v5, v8, v5
	v_fma_f32 v7, v8, v4, -v7
	v_fmac_f32_e32 v5, v3, v4
	buffer_store_dword v7, off, s[0:3], 0 offset:32
	buffer_store_dword v5, off, s[0:3], 0 offset:36
.LBB54_31:
	s_or_b64 exec, exec, s[4:5]
	s_waitcnt lgkmcnt(0)
	; wave barrier
	buffer_load_dword v4, off, s[0:3], 0 offset:40
	buffer_load_dword v5, off, s[0:3], 0 offset:44
	v_cmp_gt_u32_e32 vcc, 5, v0
	s_waitcnt vmcnt(0)
	ds_write_b64 v1, v[4:5]
	;; [unrolled: 51-line block ×19, first 2 shown]
	s_waitcnt lgkmcnt(0)
	; wave barrier
	s_waitcnt lgkmcnt(0)
	s_and_saveexec_b64 s[4:5], vcc
	s_cbranch_execz .LBB54_103
; %bb.100:
	v_add_u32_e32 v4, -1, v0
	v_add_u32_e32 v5, 0x1c0, v6
	v_add_u32_e32 v7, 0, v6
	s_mov_b64 s[6:7], 0
	v_mov_b32_e32 v3, 0
	v_mov_b32_e32 v8, 0
.LBB54_101:                             ; =>This Inner Loop Header: Depth=1
	buffer_load_dword v9, v7, s[0:3], 0 offen offset:4
	buffer_load_dword v12, v7, s[0:3], 0 offen
	ds_read_b64 v[10:11], v5
	v_add_u32_e32 v4, 1, v4
	v_cmp_lt_u32_e32 vcc, 20, v4
	v_add_u32_e32 v5, 8, v5
	v_add_u32_e32 v7, 8, v7
	s_or_b64 s[6:7], vcc, s[6:7]
	s_waitcnt vmcnt(1) lgkmcnt(0)
	v_mul_f32_e32 v13, v11, v9
	v_mul_f32_e32 v9, v10, v9
	s_waitcnt vmcnt(0)
	v_fma_f32 v10, v10, v12, -v13
	v_fmac_f32_e32 v9, v11, v12
	v_add_f32_e32 v8, v8, v10
	v_add_f32_e32 v3, v3, v9
	s_andn2_b64 exec, exec, s[6:7]
	s_cbranch_execnz .LBB54_101
; %bb.102:
	s_or_b64 exec, exec, s[6:7]
	v_mov_b32_e32 v4, 0
	ds_read_b64 v[4:5], v4 offset:176
	s_waitcnt lgkmcnt(0)
	v_mul_f32_e32 v7, v3, v5
	v_mul_f32_e32 v5, v8, v5
	v_fma_f32 v7, v8, v4, -v7
	v_fmac_f32_e32 v5, v3, v4
	buffer_store_dword v7, off, s[0:3], 0 offset:176
	buffer_store_dword v5, off, s[0:3], 0 offset:180
.LBB54_103:
	s_or_b64 exec, exec, s[4:5]
	s_waitcnt lgkmcnt(0)
	; wave barrier
	buffer_load_dword v4, off, s[0:3], 0 offset:184
	buffer_load_dword v5, off, s[0:3], 0 offset:188
	v_cmp_gt_u32_e32 vcc, 23, v0
	s_waitcnt vmcnt(0)
	ds_write_b64 v1, v[4:5]
	s_waitcnt lgkmcnt(0)
	; wave barrier
	s_waitcnt lgkmcnt(0)
	s_and_saveexec_b64 s[4:5], vcc
	s_cbranch_execz .LBB54_107
; %bb.104:
	v_add_u32_e32 v4, -1, v0
	v_add_u32_e32 v5, 0x1c0, v6
	v_add_u32_e32 v7, 0, v6
	s_mov_b64 s[6:7], 0
	v_mov_b32_e32 v3, 0
	v_mov_b32_e32 v8, 0
.LBB54_105:                             ; =>This Inner Loop Header: Depth=1
	buffer_load_dword v9, v7, s[0:3], 0 offen offset:4
	buffer_load_dword v12, v7, s[0:3], 0 offen
	ds_read_b64 v[10:11], v5
	v_add_u32_e32 v4, 1, v4
	v_cmp_lt_u32_e32 vcc, 21, v4
	v_add_u32_e32 v5, 8, v5
	v_add_u32_e32 v7, 8, v7
	s_or_b64 s[6:7], vcc, s[6:7]
	s_waitcnt vmcnt(1) lgkmcnt(0)
	v_mul_f32_e32 v13, v11, v9
	v_mul_f32_e32 v9, v10, v9
	s_waitcnt vmcnt(0)
	v_fma_f32 v10, v10, v12, -v13
	v_fmac_f32_e32 v9, v11, v12
	v_add_f32_e32 v8, v8, v10
	v_add_f32_e32 v3, v3, v9
	s_andn2_b64 exec, exec, s[6:7]
	s_cbranch_execnz .LBB54_105
; %bb.106:
	s_or_b64 exec, exec, s[6:7]
	v_mov_b32_e32 v4, 0
	ds_read_b64 v[4:5], v4 offset:184
	s_waitcnt lgkmcnt(0)
	v_mul_f32_e32 v7, v3, v5
	v_mul_f32_e32 v5, v8, v5
	v_fma_f32 v7, v8, v4, -v7
	v_fmac_f32_e32 v5, v3, v4
	buffer_store_dword v7, off, s[0:3], 0 offset:184
	buffer_store_dword v5, off, s[0:3], 0 offset:188
.LBB54_107:
	s_or_b64 exec, exec, s[4:5]
	s_waitcnt lgkmcnt(0)
	; wave barrier
	buffer_load_dword v4, off, s[0:3], 0 offset:192
	buffer_load_dword v5, off, s[0:3], 0 offset:196
	v_cmp_gt_u32_e32 vcc, 24, v0
	s_waitcnt vmcnt(0)
	ds_write_b64 v1, v[4:5]
	;; [unrolled: 51-line block ×31, first 2 shown]
	s_waitcnt lgkmcnt(0)
	; wave barrier
	s_waitcnt lgkmcnt(0)
	s_and_saveexec_b64 s[4:5], vcc
	s_cbranch_execz .LBB54_227
; %bb.224:
	v_add_u32_e32 v4, -1, v0
	v_add_u32_e32 v5, 0x1c0, v6
	v_add_u32_e32 v7, 0, v6
	s_mov_b64 s[6:7], 0
	v_mov_b32_e32 v3, 0
	v_mov_b32_e32 v8, 0
.LBB54_225:                             ; =>This Inner Loop Header: Depth=1
	buffer_load_dword v9, v7, s[0:3], 0 offen offset:4
	buffer_load_dword v12, v7, s[0:3], 0 offen
	ds_read_b64 v[10:11], v5
	v_add_u32_e32 v4, 1, v4
	v_cmp_lt_u32_e32 vcc, 51, v4
	v_add_u32_e32 v5, 8, v5
	v_add_u32_e32 v7, 8, v7
	s_or_b64 s[6:7], vcc, s[6:7]
	s_waitcnt vmcnt(1) lgkmcnt(0)
	v_mul_f32_e32 v13, v11, v9
	v_mul_f32_e32 v9, v10, v9
	s_waitcnt vmcnt(0)
	v_fma_f32 v10, v10, v12, -v13
	v_fmac_f32_e32 v9, v11, v12
	v_add_f32_e32 v8, v8, v10
	v_add_f32_e32 v3, v3, v9
	s_andn2_b64 exec, exec, s[6:7]
	s_cbranch_execnz .LBB54_225
; %bb.226:
	s_or_b64 exec, exec, s[6:7]
	v_mov_b32_e32 v4, 0
	ds_read_b64 v[4:5], v4 offset:424
	s_waitcnt lgkmcnt(0)
	v_mul_f32_e32 v7, v3, v5
	v_mul_f32_e32 v5, v8, v5
	v_fma_f32 v7, v8, v4, -v7
	v_fmac_f32_e32 v5, v3, v4
	buffer_store_dword v7, off, s[0:3], 0 offset:424
	buffer_store_dword v5, off, s[0:3], 0 offset:428
.LBB54_227:
	s_or_b64 exec, exec, s[4:5]
	s_waitcnt lgkmcnt(0)
	; wave barrier
	buffer_load_dword v4, off, s[0:3], 0 offset:432
	buffer_load_dword v5, off, s[0:3], 0 offset:436
	v_cmp_ne_u32_e32 vcc, 54, v0
	s_waitcnt vmcnt(0)
	ds_write_b64 v1, v[4:5]
	s_waitcnt lgkmcnt(0)
	; wave barrier
	s_waitcnt lgkmcnt(0)
	s_and_saveexec_b64 s[4:5], vcc
	s_cbranch_execz .LBB54_231
; %bb.228:
	v_add_u32_e32 v3, 0x1c0, v6
	v_add_u32_e32 v4, 0, v6
	s_mov_b64 s[6:7], 0
	v_mov_b32_e32 v1, 0
	v_mov_b32_e32 v5, 0
.LBB54_229:                             ; =>This Inner Loop Header: Depth=1
	buffer_load_dword v8, v4, s[0:3], 0 offen offset:4
	buffer_load_dword v9, v4, s[0:3], 0 offen
	ds_read_b64 v[6:7], v3
	v_add_u32_e32 v2, 1, v2
	v_cmp_lt_u32_e32 vcc, 52, v2
	v_add_u32_e32 v3, 8, v3
	v_add_u32_e32 v4, 8, v4
	s_or_b64 s[6:7], vcc, s[6:7]
	s_waitcnt vmcnt(1) lgkmcnt(0)
	v_mul_f32_e32 v10, v7, v8
	v_mul_f32_e32 v8, v6, v8
	s_waitcnt vmcnt(0)
	v_fma_f32 v6, v6, v9, -v10
	v_fmac_f32_e32 v8, v7, v9
	v_add_f32_e32 v5, v5, v6
	v_add_f32_e32 v1, v1, v8
	s_andn2_b64 exec, exec, s[6:7]
	s_cbranch_execnz .LBB54_229
; %bb.230:
	s_or_b64 exec, exec, s[6:7]
	v_mov_b32_e32 v2, 0
	ds_read_b64 v[2:3], v2 offset:432
	s_waitcnt lgkmcnt(0)
	v_mul_f32_e32 v4, v1, v3
	v_mul_f32_e32 v3, v5, v3
	v_fma_f32 v4, v5, v2, -v4
	v_fmac_f32_e32 v3, v1, v2
	buffer_store_dword v4, off, s[0:3], 0 offset:432
	buffer_store_dword v3, off, s[0:3], 0 offset:436
.LBB54_231:
	s_or_b64 exec, exec, s[4:5]
	s_mov_b64 s[6:7], -1
	s_waitcnt lgkmcnt(0)
	; wave barrier
.LBB54_232:
	s_and_b64 vcc, exec, s[6:7]
	s_cbranch_vccz .LBB54_234
; %bb.233:
	s_lshl_b64 s[4:5], s[8:9], 2
	s_add_u32 s4, s14, s4
	s_addc_u32 s5, s15, s5
	v_mov_b32_e32 v1, 0
	global_load_dword v1, v1, s[4:5]
	s_waitcnt vmcnt(0)
	v_cmp_ne_u32_e32 vcc, 0, v1
	s_cbranch_vccz .LBB54_235
.LBB54_234:
	s_endpgm
.LBB54_235:
	v_mov_b32_e32 v1, 0x1c0
	v_lshl_add_u32 v153, v0, 3, v1
	v_cmp_eq_u32_e32 vcc, 54, v0
	s_and_saveexec_b64 s[4:5], vcc
	s_cbranch_execz .LBB54_237
; %bb.236:
	buffer_load_dword v2, off, s[0:3], 0 offset:424
	buffer_load_dword v3, off, s[0:3], 0 offset:428
	v_mov_b32_e32 v1, 0
	buffer_store_dword v1, off, s[0:3], 0 offset:424
	buffer_store_dword v1, off, s[0:3], 0 offset:428
	s_waitcnt vmcnt(2)
	ds_write_b64 v153, v[2:3]
.LBB54_237:
	s_or_b64 exec, exec, s[4:5]
	s_waitcnt lgkmcnt(0)
	; wave barrier
	s_waitcnt lgkmcnt(0)
	buffer_load_dword v3, off, s[0:3], 0 offset:436
	buffer_load_dword v2, off, s[0:3], 0 offset:432
	;; [unrolled: 1-line block ×4, first 2 shown]
	v_mov_b32_e32 v1, 0
	ds_read_b64 v[6:7], v1 offset:880
	v_cmp_lt_u32_e32 vcc, 52, v0
	s_waitcnt vmcnt(3)
	v_mov_b32_e32 v8, v3
	s_waitcnt lgkmcnt(0)
	v_pk_mul_f32 v[8:9], v[6:7], v[8:9] op_sel_hi:[1,0]
	s_waitcnt vmcnt(2)
	v_pk_fma_f32 v[10:11], v[6:7], v[2:3], v[8:9] op_sel:[0,0,1] op_sel_hi:[1,1,0] neg_lo:[0,0,1] neg_hi:[0,0,1]
	v_pk_fma_f32 v[2:3], v[6:7], v[2:3], v[8:9] op_sel:[0,0,1] op_sel_hi:[1,0,0]
	v_mov_b32_e32 v11, v3
	v_pk_add_f32 v[2:3], v[10:11], 0 op_sel_hi:[1,0]
	s_waitcnt vmcnt(0)
	v_pk_add_f32 v[2:3], v[4:5], v[2:3] neg_lo:[0,1] neg_hi:[0,1]
	buffer_store_dword v2, off, s[0:3], 0 offset:424
	buffer_store_dword v3, off, s[0:3], 0 offset:428
	s_and_saveexec_b64 s[4:5], vcc
	s_cbranch_execz .LBB54_239
; %bb.238:
	buffer_load_dword v2, off, s[0:3], 0 offset:416
	buffer_load_dword v3, off, s[0:3], 0 offset:420
	s_waitcnt vmcnt(0)
	ds_write_b64 v153, v[2:3]
	buffer_store_dword v1, off, s[0:3], 0 offset:416
	buffer_store_dword v1, off, s[0:3], 0 offset:420
.LBB54_239:
	s_or_b64 exec, exec, s[4:5]
	s_waitcnt lgkmcnt(0)
	; wave barrier
	s_waitcnt lgkmcnt(0)
	buffer_load_dword v7, off, s[0:3], 0 offset:428
	buffer_load_dword v9, off, s[0:3], 0 offset:436
	;; [unrolled: 1-line block ×6, first 2 shown]
	ds_read2_b64 v[2:5], v1 offset0:109 offset1:110
	v_cmp_lt_u32_e32 vcc, 51, v0
	s_waitcnt vmcnt(5)
	v_mov_b32_e32 v12, v7
	s_waitcnt vmcnt(4)
	v_mov_b32_e32 v14, v9
	s_waitcnt lgkmcnt(0)
	v_pk_mul_f32 v[12:13], v[2:3], v[12:13] op_sel_hi:[1,0]
	v_pk_mul_f32 v[14:15], v[4:5], v[14:15] op_sel_hi:[1,0]
	s_waitcnt vmcnt(3)
	v_pk_fma_f32 v[16:17], v[2:3], v[6:7], v[12:13] op_sel:[0,0,1] op_sel_hi:[1,1,0] neg_lo:[0,0,1] neg_hi:[0,0,1]
	v_pk_fma_f32 v[2:3], v[2:3], v[6:7], v[12:13] op_sel:[0,0,1] op_sel_hi:[1,0,0]
	s_waitcnt vmcnt(2)
	v_pk_fma_f32 v[6:7], v[4:5], v[8:9], v[14:15] op_sel:[0,0,1] op_sel_hi:[1,1,0] neg_lo:[0,0,1] neg_hi:[0,0,1]
	v_pk_fma_f32 v[4:5], v[4:5], v[8:9], v[14:15] op_sel:[0,0,1] op_sel_hi:[1,0,0]
	v_mov_b32_e32 v17, v3
	v_mov_b32_e32 v7, v5
	v_pk_add_f32 v[2:3], v[16:17], 0 op_sel_hi:[1,0]
	v_pk_add_f32 v[2:3], v[2:3], v[6:7]
	s_waitcnt vmcnt(0)
	v_pk_add_f32 v[2:3], v[10:11], v[2:3] neg_lo:[0,1] neg_hi:[0,1]
	buffer_store_dword v2, off, s[0:3], 0 offset:416
	buffer_store_dword v3, off, s[0:3], 0 offset:420
	s_and_saveexec_b64 s[4:5], vcc
	s_cbranch_execz .LBB54_241
; %bb.240:
	buffer_load_dword v2, off, s[0:3], 0 offset:408
	buffer_load_dword v3, off, s[0:3], 0 offset:412
	v_mov_b32_e32 v1, 0
	buffer_store_dword v1, off, s[0:3], 0 offset:408
	buffer_store_dword v1, off, s[0:3], 0 offset:412
	s_waitcnt vmcnt(2)
	ds_write_b64 v153, v[2:3]
.LBB54_241:
	s_or_b64 exec, exec, s[4:5]
	s_waitcnt lgkmcnt(0)
	; wave barrier
	s_waitcnt lgkmcnt(0)
	buffer_load_dword v7, off, s[0:3], 0 offset:420
	buffer_load_dword v9, off, s[0:3], 0 offset:428
	;; [unrolled: 1-line block ×8, first 2 shown]
	v_mov_b32_e32 v1, 0
	ds_read_b128 v[2:5], v1 offset:864
	ds_read_b64 v[14:15], v1 offset:880
	v_cmp_lt_u32_e32 vcc, 50, v0
	s_waitcnt vmcnt(7)
	v_mov_b32_e32 v16, v7
	s_waitcnt vmcnt(6)
	v_mov_b32_e32 v18, v9
	s_waitcnt lgkmcnt(1)
	v_pk_mul_f32 v[16:17], v[2:3], v[16:17] op_sel_hi:[1,0]
	s_waitcnt vmcnt(5)
	v_mov_b32_e32 v20, v11
	v_pk_mul_f32 v[18:19], v[4:5], v[18:19] op_sel_hi:[1,0]
	s_waitcnt vmcnt(4)
	v_pk_fma_f32 v[22:23], v[2:3], v[6:7], v[16:17] op_sel:[0,0,1] op_sel_hi:[1,1,0] neg_lo:[0,0,1] neg_hi:[0,0,1]
	v_pk_fma_f32 v[2:3], v[2:3], v[6:7], v[16:17] op_sel:[0,0,1] op_sel_hi:[1,0,0]
	s_waitcnt lgkmcnt(0)
	v_pk_mul_f32 v[20:21], v[14:15], v[20:21] op_sel_hi:[1,0]
	s_waitcnt vmcnt(3)
	v_pk_fma_f32 v[6:7], v[4:5], v[8:9], v[18:19] op_sel:[0,0,1] op_sel_hi:[1,1,0] neg_lo:[0,0,1] neg_hi:[0,0,1]
	v_pk_fma_f32 v[4:5], v[4:5], v[8:9], v[18:19] op_sel:[0,0,1] op_sel_hi:[1,0,0]
	v_mov_b32_e32 v23, v3
	s_waitcnt vmcnt(2)
	v_pk_fma_f32 v[8:9], v[14:15], v[10:11], v[20:21] op_sel:[0,0,1] op_sel_hi:[1,1,0] neg_lo:[0,0,1] neg_hi:[0,0,1]
	v_pk_fma_f32 v[10:11], v[14:15], v[10:11], v[20:21] op_sel:[0,0,1] op_sel_hi:[1,0,0]
	v_mov_b32_e32 v7, v5
	v_pk_add_f32 v[2:3], v[22:23], 0 op_sel_hi:[1,0]
	v_mov_b32_e32 v9, v11
	v_pk_add_f32 v[2:3], v[2:3], v[6:7]
	v_pk_add_f32 v[2:3], v[2:3], v[8:9]
	s_waitcnt vmcnt(0)
	v_pk_add_f32 v[2:3], v[12:13], v[2:3] neg_lo:[0,1] neg_hi:[0,1]
	buffer_store_dword v2, off, s[0:3], 0 offset:408
	buffer_store_dword v3, off, s[0:3], 0 offset:412
	s_and_saveexec_b64 s[4:5], vcc
	s_cbranch_execz .LBB54_243
; %bb.242:
	buffer_load_dword v2, off, s[0:3], 0 offset:400
	buffer_load_dword v3, off, s[0:3], 0 offset:404
	s_waitcnt vmcnt(0)
	ds_write_b64 v153, v[2:3]
	buffer_store_dword v1, off, s[0:3], 0 offset:400
	buffer_store_dword v1, off, s[0:3], 0 offset:404
.LBB54_243:
	s_or_b64 exec, exec, s[4:5]
	s_waitcnt lgkmcnt(0)
	; wave barrier
	s_waitcnt lgkmcnt(0)
	buffer_load_dword v11, off, s[0:3], 0 offset:412
	buffer_load_dword v13, off, s[0:3], 0 offset:420
	buffer_load_dword v15, off, s[0:3], 0 offset:428
	buffer_load_dword v17, off, s[0:3], 0 offset:436
	buffer_load_dword v10, off, s[0:3], 0 offset:408
	buffer_load_dword v12, off, s[0:3], 0 offset:416
	buffer_load_dword v14, off, s[0:3], 0 offset:424
	buffer_load_dword v16, off, s[0:3], 0 offset:432
	buffer_load_dword v18, off, s[0:3], 0 offset:400
	buffer_load_dword v19, off, s[0:3], 0 offset:404
	ds_read2_b64 v[2:5], v1 offset0:107 offset1:108
	ds_read2_b64 v[6:9], v1 offset0:109 offset1:110
	v_cmp_lt_u32_e32 vcc, 49, v0
	s_waitcnt vmcnt(9)
	v_mov_b32_e32 v20, v11
	s_waitcnt vmcnt(8)
	v_mov_b32_e32 v22, v13
	s_waitcnt lgkmcnt(1)
	v_pk_mul_f32 v[20:21], v[2:3], v[20:21] op_sel_hi:[1,0]
	s_waitcnt vmcnt(7)
	v_mov_b32_e32 v24, v15
	v_pk_mul_f32 v[22:23], v[4:5], v[22:23] op_sel_hi:[1,0]
	s_waitcnt vmcnt(5)
	v_pk_fma_f32 v[28:29], v[2:3], v[10:11], v[20:21] op_sel:[0,0,1] op_sel_hi:[1,1,0] neg_lo:[0,0,1] neg_hi:[0,0,1]
	v_pk_fma_f32 v[2:3], v[2:3], v[10:11], v[20:21] op_sel:[0,0,1] op_sel_hi:[1,0,0]
	v_mov_b32_e32 v26, v17
	s_waitcnt lgkmcnt(0)
	v_pk_mul_f32 v[24:25], v[6:7], v[24:25] op_sel_hi:[1,0]
	s_waitcnt vmcnt(4)
	v_pk_fma_f32 v[10:11], v[4:5], v[12:13], v[22:23] op_sel:[0,0,1] op_sel_hi:[1,1,0] neg_lo:[0,0,1] neg_hi:[0,0,1]
	v_pk_fma_f32 v[4:5], v[4:5], v[12:13], v[22:23] op_sel:[0,0,1] op_sel_hi:[1,0,0]
	v_mov_b32_e32 v29, v3
	v_pk_mul_f32 v[26:27], v[8:9], v[26:27] op_sel_hi:[1,0]
	s_waitcnt vmcnt(3)
	v_pk_fma_f32 v[12:13], v[6:7], v[14:15], v[24:25] op_sel:[0,0,1] op_sel_hi:[1,1,0] neg_lo:[0,0,1] neg_hi:[0,0,1]
	v_pk_fma_f32 v[6:7], v[6:7], v[14:15], v[24:25] op_sel:[0,0,1] op_sel_hi:[1,0,0]
	v_mov_b32_e32 v11, v5
	v_pk_add_f32 v[2:3], v[28:29], 0 op_sel_hi:[1,0]
	s_waitcnt vmcnt(2)
	v_pk_fma_f32 v[14:15], v[8:9], v[16:17], v[26:27] op_sel:[0,0,1] op_sel_hi:[1,1,0] neg_lo:[0,0,1] neg_hi:[0,0,1]
	v_pk_fma_f32 v[8:9], v[8:9], v[16:17], v[26:27] op_sel:[0,0,1] op_sel_hi:[1,0,0]
	v_mov_b32_e32 v13, v7
	v_pk_add_f32 v[2:3], v[2:3], v[10:11]
	v_mov_b32_e32 v15, v9
	v_pk_add_f32 v[2:3], v[2:3], v[12:13]
	v_pk_add_f32 v[2:3], v[2:3], v[14:15]
	s_waitcnt vmcnt(0)
	v_pk_add_f32 v[2:3], v[18:19], v[2:3] neg_lo:[0,1] neg_hi:[0,1]
	buffer_store_dword v2, off, s[0:3], 0 offset:400
	buffer_store_dword v3, off, s[0:3], 0 offset:404
	s_and_saveexec_b64 s[4:5], vcc
	s_cbranch_execz .LBB54_245
; %bb.244:
	buffer_load_dword v2, off, s[0:3], 0 offset:392
	buffer_load_dword v3, off, s[0:3], 0 offset:396
	v_mov_b32_e32 v1, 0
	buffer_store_dword v1, off, s[0:3], 0 offset:392
	buffer_store_dword v1, off, s[0:3], 0 offset:396
	s_waitcnt vmcnt(2)
	ds_write_b64 v153, v[2:3]
.LBB54_245:
	s_or_b64 exec, exec, s[4:5]
	s_waitcnt lgkmcnt(0)
	; wave barrier
	s_waitcnt lgkmcnt(0)
	buffer_load_dword v11, off, s[0:3], 0 offset:404
	buffer_load_dword v13, off, s[0:3], 0 offset:412
	;; [unrolled: 1-line block ×12, first 2 shown]
	v_mov_b32_e32 v1, 0
	ds_read_b128 v[2:5], v1 offset:848
	ds_read_b128 v[6:9], v1 offset:864
	ds_read_b64 v[22:23], v1 offset:880
	v_cmp_lt_u32_e32 vcc, 48, v0
	s_waitcnt vmcnt(11)
	v_mov_b32_e32 v24, v11
	s_waitcnt vmcnt(10)
	v_mov_b32_e32 v26, v13
	s_waitcnt lgkmcnt(2)
	v_pk_mul_f32 v[24:25], v[2:3], v[24:25] op_sel_hi:[1,0]
	s_waitcnt vmcnt(9)
	v_mov_b32_e32 v28, v15
	v_pk_mul_f32 v[26:27], v[4:5], v[26:27] op_sel_hi:[1,0]
	s_waitcnt vmcnt(6)
	v_pk_fma_f32 v[34:35], v[2:3], v[10:11], v[24:25] op_sel:[0,0,1] op_sel_hi:[1,1,0] neg_lo:[0,0,1] neg_hi:[0,0,1]
	v_pk_fma_f32 v[2:3], v[2:3], v[10:11], v[24:25] op_sel:[0,0,1] op_sel_hi:[1,0,0]
	v_mov_b32_e32 v30, v17
	s_waitcnt lgkmcnt(1)
	v_pk_mul_f32 v[28:29], v[6:7], v[28:29] op_sel_hi:[1,0]
	s_waitcnt vmcnt(5)
	v_pk_fma_f32 v[10:11], v[4:5], v[12:13], v[26:27] op_sel:[0,0,1] op_sel_hi:[1,1,0] neg_lo:[0,0,1] neg_hi:[0,0,1]
	v_pk_fma_f32 v[4:5], v[4:5], v[12:13], v[26:27] op_sel:[0,0,1] op_sel_hi:[1,0,0]
	v_mov_b32_e32 v35, v3
	v_mov_b32_e32 v32, v19
	v_pk_mul_f32 v[30:31], v[8:9], v[30:31] op_sel_hi:[1,0]
	s_waitcnt vmcnt(4)
	v_pk_fma_f32 v[12:13], v[6:7], v[14:15], v[28:29] op_sel:[0,0,1] op_sel_hi:[1,1,0] neg_lo:[0,0,1] neg_hi:[0,0,1]
	v_pk_fma_f32 v[6:7], v[6:7], v[14:15], v[28:29] op_sel:[0,0,1] op_sel_hi:[1,0,0]
	v_mov_b32_e32 v11, v5
	v_pk_add_f32 v[2:3], v[34:35], 0 op_sel_hi:[1,0]
	s_waitcnt lgkmcnt(0)
	v_pk_mul_f32 v[32:33], v[22:23], v[32:33] op_sel_hi:[1,0]
	s_waitcnt vmcnt(3)
	v_pk_fma_f32 v[14:15], v[8:9], v[16:17], v[30:31] op_sel:[0,0,1] op_sel_hi:[1,1,0] neg_lo:[0,0,1] neg_hi:[0,0,1]
	v_pk_fma_f32 v[8:9], v[8:9], v[16:17], v[30:31] op_sel:[0,0,1] op_sel_hi:[1,0,0]
	v_mov_b32_e32 v13, v7
	v_pk_add_f32 v[2:3], v[2:3], v[10:11]
	s_waitcnt vmcnt(2)
	v_pk_fma_f32 v[16:17], v[22:23], v[18:19], v[32:33] op_sel:[0,0,1] op_sel_hi:[1,1,0] neg_lo:[0,0,1] neg_hi:[0,0,1]
	v_pk_fma_f32 v[18:19], v[22:23], v[18:19], v[32:33] op_sel:[0,0,1] op_sel_hi:[1,0,0]
	v_mov_b32_e32 v15, v9
	v_pk_add_f32 v[2:3], v[2:3], v[12:13]
	v_mov_b32_e32 v17, v19
	v_pk_add_f32 v[2:3], v[2:3], v[14:15]
	v_pk_add_f32 v[2:3], v[2:3], v[16:17]
	s_waitcnt vmcnt(0)
	v_pk_add_f32 v[2:3], v[20:21], v[2:3] neg_lo:[0,1] neg_hi:[0,1]
	buffer_store_dword v2, off, s[0:3], 0 offset:392
	buffer_store_dword v3, off, s[0:3], 0 offset:396
	s_and_saveexec_b64 s[4:5], vcc
	s_cbranch_execz .LBB54_247
; %bb.246:
	buffer_load_dword v2, off, s[0:3], 0 offset:384
	buffer_load_dword v3, off, s[0:3], 0 offset:388
	s_waitcnt vmcnt(0)
	ds_write_b64 v153, v[2:3]
	buffer_store_dword v1, off, s[0:3], 0 offset:384
	buffer_store_dword v1, off, s[0:3], 0 offset:388
.LBB54_247:
	s_or_b64 exec, exec, s[4:5]
	s_waitcnt lgkmcnt(0)
	; wave barrier
	s_waitcnt lgkmcnt(0)
	buffer_load_dword v15, off, s[0:3], 0 offset:396
	buffer_load_dword v17, off, s[0:3], 0 offset:404
	;; [unrolled: 1-line block ×14, first 2 shown]
	ds_read2_b64 v[2:5], v1 offset0:105 offset1:106
	ds_read2_b64 v[6:9], v1 offset0:107 offset1:108
	;; [unrolled: 1-line block ×3, first 2 shown]
	v_cmp_lt_u32_e32 vcc, 47, v0
	s_waitcnt vmcnt(13)
	v_mov_b32_e32 v28, v15
	s_waitcnt vmcnt(12)
	v_mov_b32_e32 v30, v17
	s_waitcnt lgkmcnt(2)
	v_pk_mul_f32 v[28:29], v[2:3], v[28:29] op_sel_hi:[1,0]
	s_waitcnt vmcnt(11)
	v_mov_b32_e32 v32, v19
	v_pk_mul_f32 v[30:31], v[4:5], v[30:31] op_sel_hi:[1,0]
	s_waitcnt vmcnt(10)
	v_mov_b32_e32 v34, v21
	s_waitcnt vmcnt(7)
	v_pk_fma_f32 v[40:41], v[2:3], v[14:15], v[28:29] op_sel:[0,0,1] op_sel_hi:[1,1,0] neg_lo:[0,0,1] neg_hi:[0,0,1]
	v_pk_fma_f32 v[2:3], v[2:3], v[14:15], v[28:29] op_sel:[0,0,1] op_sel_hi:[1,0,0]
	s_waitcnt lgkmcnt(1)
	v_pk_mul_f32 v[32:33], v[6:7], v[32:33] op_sel_hi:[1,0]
	s_waitcnt vmcnt(6)
	v_pk_fma_f32 v[14:15], v[4:5], v[16:17], v[30:31] op_sel:[0,0,1] op_sel_hi:[1,1,0] neg_lo:[0,0,1] neg_hi:[0,0,1]
	v_pk_fma_f32 v[4:5], v[4:5], v[16:17], v[30:31] op_sel:[0,0,1] op_sel_hi:[1,0,0]
	v_mov_b32_e32 v41, v3
	v_mov_b32_e32 v36, v23
	v_pk_mul_f32 v[34:35], v[8:9], v[34:35] op_sel_hi:[1,0]
	s_waitcnt vmcnt(5)
	v_pk_fma_f32 v[16:17], v[6:7], v[18:19], v[32:33] op_sel:[0,0,1] op_sel_hi:[1,1,0] neg_lo:[0,0,1] neg_hi:[0,0,1]
	v_pk_fma_f32 v[6:7], v[6:7], v[18:19], v[32:33] op_sel:[0,0,1] op_sel_hi:[1,0,0]
	v_mov_b32_e32 v15, v5
	v_pk_add_f32 v[2:3], v[40:41], 0 op_sel_hi:[1,0]
	v_mov_b32_e32 v38, v25
	s_waitcnt lgkmcnt(0)
	v_pk_mul_f32 v[36:37], v[10:11], v[36:37] op_sel_hi:[1,0]
	s_waitcnt vmcnt(4)
	v_pk_fma_f32 v[18:19], v[8:9], v[20:21], v[34:35] op_sel:[0,0,1] op_sel_hi:[1,1,0] neg_lo:[0,0,1] neg_hi:[0,0,1]
	v_pk_fma_f32 v[8:9], v[8:9], v[20:21], v[34:35] op_sel:[0,0,1] op_sel_hi:[1,0,0]
	v_mov_b32_e32 v17, v7
	v_pk_add_f32 v[2:3], v[2:3], v[14:15]
	v_pk_mul_f32 v[38:39], v[12:13], v[38:39] op_sel_hi:[1,0]
	s_waitcnt vmcnt(3)
	v_pk_fma_f32 v[20:21], v[10:11], v[22:23], v[36:37] op_sel:[0,0,1] op_sel_hi:[1,1,0] neg_lo:[0,0,1] neg_hi:[0,0,1]
	v_pk_fma_f32 v[10:11], v[10:11], v[22:23], v[36:37] op_sel:[0,0,1] op_sel_hi:[1,0,0]
	v_mov_b32_e32 v19, v9
	v_pk_add_f32 v[2:3], v[2:3], v[16:17]
	s_waitcnt vmcnt(2)
	v_pk_fma_f32 v[22:23], v[12:13], v[24:25], v[38:39] op_sel:[0,0,1] op_sel_hi:[1,1,0] neg_lo:[0,0,1] neg_hi:[0,0,1]
	v_pk_fma_f32 v[12:13], v[12:13], v[24:25], v[38:39] op_sel:[0,0,1] op_sel_hi:[1,0,0]
	v_mov_b32_e32 v21, v11
	v_pk_add_f32 v[2:3], v[2:3], v[18:19]
	v_mov_b32_e32 v23, v13
	v_pk_add_f32 v[2:3], v[2:3], v[20:21]
	v_pk_add_f32 v[2:3], v[2:3], v[22:23]
	s_waitcnt vmcnt(0)
	v_pk_add_f32 v[2:3], v[26:27], v[2:3] neg_lo:[0,1] neg_hi:[0,1]
	buffer_store_dword v2, off, s[0:3], 0 offset:384
	buffer_store_dword v3, off, s[0:3], 0 offset:388
	s_and_saveexec_b64 s[4:5], vcc
	s_cbranch_execz .LBB54_249
; %bb.248:
	buffer_load_dword v2, off, s[0:3], 0 offset:376
	buffer_load_dword v3, off, s[0:3], 0 offset:380
	v_mov_b32_e32 v1, 0
	buffer_store_dword v1, off, s[0:3], 0 offset:376
	buffer_store_dword v1, off, s[0:3], 0 offset:380
	s_waitcnt vmcnt(2)
	ds_write_b64 v153, v[2:3]
.LBB54_249:
	s_or_b64 exec, exec, s[4:5]
	s_waitcnt lgkmcnt(0)
	; wave barrier
	s_waitcnt lgkmcnt(0)
	buffer_load_dword v15, off, s[0:3], 0 offset:388
	buffer_load_dword v17, off, s[0:3], 0 offset:396
	;; [unrolled: 1-line block ×16, first 2 shown]
	v_mov_b32_e32 v1, 0
	ds_read_b128 v[2:5], v1 offset:832
	ds_read_b128 v[6:9], v1 offset:848
	;; [unrolled: 1-line block ×3, first 2 shown]
	ds_read_b64 v[30:31], v1 offset:880
	v_cmp_lt_u32_e32 vcc, 46, v0
	s_waitcnt vmcnt(15)
	v_mov_b32_e32 v32, v15
	s_waitcnt vmcnt(14)
	v_mov_b32_e32 v34, v17
	s_waitcnt lgkmcnt(3)
	v_pk_mul_f32 v[32:33], v[2:3], v[32:33] op_sel_hi:[1,0]
	s_waitcnt vmcnt(13)
	v_mov_b32_e32 v36, v19
	v_pk_mul_f32 v[34:35], v[4:5], v[34:35] op_sel_hi:[1,0]
	s_waitcnt vmcnt(12)
	v_mov_b32_e32 v38, v21
	s_waitcnt lgkmcnt(2)
	v_pk_mul_f32 v[36:37], v[6:7], v[36:37] op_sel_hi:[1,0]
	s_waitcnt vmcnt(8)
	v_pk_fma_f32 v[46:47], v[2:3], v[14:15], v[32:33] op_sel:[0,0,1] op_sel_hi:[1,1,0] neg_lo:[0,0,1] neg_hi:[0,0,1]
	v_pk_fma_f32 v[2:3], v[2:3], v[14:15], v[32:33] op_sel:[0,0,1] op_sel_hi:[1,0,0]
	s_waitcnt vmcnt(7)
	v_pk_fma_f32 v[14:15], v[4:5], v[16:17], v[34:35] op_sel:[0,0,1] op_sel_hi:[1,1,0] neg_lo:[0,0,1] neg_hi:[0,0,1]
	v_pk_fma_f32 v[4:5], v[4:5], v[16:17], v[34:35] op_sel:[0,0,1] op_sel_hi:[1,0,0]
	v_mov_b32_e32 v47, v3
	v_mov_b32_e32 v40, v23
	v_pk_mul_f32 v[38:39], v[8:9], v[38:39] op_sel_hi:[1,0]
	s_waitcnt vmcnt(6)
	v_pk_fma_f32 v[16:17], v[6:7], v[18:19], v[36:37] op_sel:[0,0,1] op_sel_hi:[1,1,0] neg_lo:[0,0,1] neg_hi:[0,0,1]
	v_pk_fma_f32 v[6:7], v[6:7], v[18:19], v[36:37] op_sel:[0,0,1] op_sel_hi:[1,0,0]
	v_mov_b32_e32 v15, v5
	v_pk_add_f32 v[2:3], v[46:47], 0 op_sel_hi:[1,0]
	v_mov_b32_e32 v42, v25
	s_waitcnt lgkmcnt(1)
	v_pk_mul_f32 v[40:41], v[10:11], v[40:41] op_sel_hi:[1,0]
	s_waitcnt vmcnt(5)
	v_pk_fma_f32 v[18:19], v[8:9], v[20:21], v[38:39] op_sel:[0,0,1] op_sel_hi:[1,1,0] neg_lo:[0,0,1] neg_hi:[0,0,1]
	v_pk_fma_f32 v[8:9], v[8:9], v[20:21], v[38:39] op_sel:[0,0,1] op_sel_hi:[1,0,0]
	v_mov_b32_e32 v17, v7
	v_pk_add_f32 v[2:3], v[2:3], v[14:15]
	v_mov_b32_e32 v44, v27
	v_pk_mul_f32 v[42:43], v[12:13], v[42:43] op_sel_hi:[1,0]
	s_waitcnt vmcnt(4)
	v_pk_fma_f32 v[20:21], v[10:11], v[22:23], v[40:41] op_sel:[0,0,1] op_sel_hi:[1,1,0] neg_lo:[0,0,1] neg_hi:[0,0,1]
	v_pk_fma_f32 v[10:11], v[10:11], v[22:23], v[40:41] op_sel:[0,0,1] op_sel_hi:[1,0,0]
	v_mov_b32_e32 v19, v9
	v_pk_add_f32 v[2:3], v[2:3], v[16:17]
	s_waitcnt lgkmcnt(0)
	v_pk_mul_f32 v[44:45], v[30:31], v[44:45] op_sel_hi:[1,0]
	s_waitcnt vmcnt(3)
	v_pk_fma_f32 v[22:23], v[12:13], v[24:25], v[42:43] op_sel:[0,0,1] op_sel_hi:[1,1,0] neg_lo:[0,0,1] neg_hi:[0,0,1]
	v_pk_fma_f32 v[12:13], v[12:13], v[24:25], v[42:43] op_sel:[0,0,1] op_sel_hi:[1,0,0]
	v_mov_b32_e32 v21, v11
	v_pk_add_f32 v[2:3], v[2:3], v[18:19]
	s_waitcnt vmcnt(2)
	v_pk_fma_f32 v[24:25], v[30:31], v[26:27], v[44:45] op_sel:[0,0,1] op_sel_hi:[1,1,0] neg_lo:[0,0,1] neg_hi:[0,0,1]
	v_pk_fma_f32 v[26:27], v[30:31], v[26:27], v[44:45] op_sel:[0,0,1] op_sel_hi:[1,0,0]
	v_mov_b32_e32 v23, v13
	v_pk_add_f32 v[2:3], v[2:3], v[20:21]
	v_mov_b32_e32 v25, v27
	v_pk_add_f32 v[2:3], v[2:3], v[22:23]
	v_pk_add_f32 v[2:3], v[2:3], v[24:25]
	s_waitcnt vmcnt(0)
	v_pk_add_f32 v[2:3], v[28:29], v[2:3] neg_lo:[0,1] neg_hi:[0,1]
	buffer_store_dword v2, off, s[0:3], 0 offset:376
	buffer_store_dword v3, off, s[0:3], 0 offset:380
	s_and_saveexec_b64 s[4:5], vcc
	s_cbranch_execz .LBB54_251
; %bb.250:
	buffer_load_dword v2, off, s[0:3], 0 offset:368
	buffer_load_dword v3, off, s[0:3], 0 offset:372
	s_waitcnt vmcnt(0)
	ds_write_b64 v153, v[2:3]
	buffer_store_dword v1, off, s[0:3], 0 offset:368
	buffer_store_dword v1, off, s[0:3], 0 offset:372
.LBB54_251:
	s_or_b64 exec, exec, s[4:5]
	s_waitcnt lgkmcnt(0)
	; wave barrier
	s_waitcnt lgkmcnt(0)
	buffer_load_dword v19, off, s[0:3], 0 offset:380
	buffer_load_dword v21, off, s[0:3], 0 offset:388
	;; [unrolled: 1-line block ×18, first 2 shown]
	ds_read2_b64 v[2:5], v1 offset0:103 offset1:104
	ds_read2_b64 v[6:9], v1 offset0:105 offset1:106
	;; [unrolled: 1-line block ×4, first 2 shown]
	v_cmp_lt_u32_e32 vcc, 45, v0
	s_waitcnt vmcnt(17)
	v_mov_b32_e32 v36, v19
	s_waitcnt vmcnt(16)
	v_mov_b32_e32 v38, v21
	s_waitcnt lgkmcnt(3)
	v_pk_mul_f32 v[36:37], v[2:3], v[36:37] op_sel_hi:[1,0]
	s_waitcnt vmcnt(15)
	v_mov_b32_e32 v40, v23
	v_pk_mul_f32 v[38:39], v[4:5], v[38:39] op_sel_hi:[1,0]
	s_waitcnt vmcnt(14)
	v_mov_b32_e32 v42, v25
	s_waitcnt lgkmcnt(2)
	v_pk_mul_f32 v[40:41], v[6:7], v[40:41] op_sel_hi:[1,0]
	s_waitcnt vmcnt(13)
	v_mov_b32_e32 v44, v27
	s_waitcnt vmcnt(9)
	v_pk_fma_f32 v[52:53], v[2:3], v[18:19], v[36:37] op_sel:[0,0,1] op_sel_hi:[1,1,0] neg_lo:[0,0,1] neg_hi:[0,0,1]
	v_pk_fma_f32 v[2:3], v[2:3], v[18:19], v[36:37] op_sel:[0,0,1] op_sel_hi:[1,0,0]
	s_waitcnt vmcnt(8)
	v_pk_fma_f32 v[18:19], v[4:5], v[20:21], v[38:39] op_sel:[0,0,1] op_sel_hi:[1,1,0] neg_lo:[0,0,1] neg_hi:[0,0,1]
	v_pk_fma_f32 v[4:5], v[4:5], v[20:21], v[38:39] op_sel:[0,0,1] op_sel_hi:[1,0,0]
	v_mov_b32_e32 v53, v3
	v_pk_mul_f32 v[42:43], v[8:9], v[42:43] op_sel_hi:[1,0]
	s_waitcnt vmcnt(7)
	v_pk_fma_f32 v[20:21], v[6:7], v[22:23], v[40:41] op_sel:[0,0,1] op_sel_hi:[1,1,0] neg_lo:[0,0,1] neg_hi:[0,0,1]
	v_pk_fma_f32 v[6:7], v[6:7], v[22:23], v[40:41] op_sel:[0,0,1] op_sel_hi:[1,0,0]
	v_mov_b32_e32 v19, v5
	v_pk_add_f32 v[2:3], v[52:53], 0 op_sel_hi:[1,0]
	v_mov_b32_e32 v46, v29
	s_waitcnt lgkmcnt(1)
	v_pk_mul_f32 v[44:45], v[10:11], v[44:45] op_sel_hi:[1,0]
	s_waitcnt vmcnt(6)
	v_pk_fma_f32 v[22:23], v[8:9], v[24:25], v[42:43] op_sel:[0,0,1] op_sel_hi:[1,1,0] neg_lo:[0,0,1] neg_hi:[0,0,1]
	v_pk_fma_f32 v[8:9], v[8:9], v[24:25], v[42:43] op_sel:[0,0,1] op_sel_hi:[1,0,0]
	v_mov_b32_e32 v21, v7
	v_pk_add_f32 v[2:3], v[2:3], v[18:19]
	v_mov_b32_e32 v48, v31
	v_pk_mul_f32 v[46:47], v[12:13], v[46:47] op_sel_hi:[1,0]
	s_waitcnt vmcnt(5)
	v_pk_fma_f32 v[24:25], v[10:11], v[26:27], v[44:45] op_sel:[0,0,1] op_sel_hi:[1,1,0] neg_lo:[0,0,1] neg_hi:[0,0,1]
	v_pk_fma_f32 v[10:11], v[10:11], v[26:27], v[44:45] op_sel:[0,0,1] op_sel_hi:[1,0,0]
	v_mov_b32_e32 v23, v9
	v_pk_add_f32 v[2:3], v[2:3], v[20:21]
	v_mov_b32_e32 v50, v33
	s_waitcnt lgkmcnt(0)
	v_pk_mul_f32 v[48:49], v[14:15], v[48:49] op_sel_hi:[1,0]
	s_waitcnt vmcnt(4)
	v_pk_fma_f32 v[26:27], v[12:13], v[28:29], v[46:47] op_sel:[0,0,1] op_sel_hi:[1,1,0] neg_lo:[0,0,1] neg_hi:[0,0,1]
	v_pk_fma_f32 v[12:13], v[12:13], v[28:29], v[46:47] op_sel:[0,0,1] op_sel_hi:[1,0,0]
	v_mov_b32_e32 v25, v11
	v_pk_add_f32 v[2:3], v[2:3], v[22:23]
	v_pk_mul_f32 v[50:51], v[16:17], v[50:51] op_sel_hi:[1,0]
	s_waitcnt vmcnt(3)
	v_pk_fma_f32 v[28:29], v[14:15], v[30:31], v[48:49] op_sel:[0,0,1] op_sel_hi:[1,1,0] neg_lo:[0,0,1] neg_hi:[0,0,1]
	v_pk_fma_f32 v[14:15], v[14:15], v[30:31], v[48:49] op_sel:[0,0,1] op_sel_hi:[1,0,0]
	v_mov_b32_e32 v27, v13
	v_pk_add_f32 v[2:3], v[2:3], v[24:25]
	s_waitcnt vmcnt(2)
	v_pk_fma_f32 v[30:31], v[16:17], v[32:33], v[50:51] op_sel:[0,0,1] op_sel_hi:[1,1,0] neg_lo:[0,0,1] neg_hi:[0,0,1]
	v_pk_fma_f32 v[16:17], v[16:17], v[32:33], v[50:51] op_sel:[0,0,1] op_sel_hi:[1,0,0]
	v_mov_b32_e32 v29, v15
	v_pk_add_f32 v[2:3], v[2:3], v[26:27]
	v_mov_b32_e32 v31, v17
	v_pk_add_f32 v[2:3], v[2:3], v[28:29]
	v_pk_add_f32 v[2:3], v[2:3], v[30:31]
	s_waitcnt vmcnt(0)
	v_pk_add_f32 v[2:3], v[34:35], v[2:3] neg_lo:[0,1] neg_hi:[0,1]
	buffer_store_dword v2, off, s[0:3], 0 offset:368
	buffer_store_dword v3, off, s[0:3], 0 offset:372
	s_and_saveexec_b64 s[4:5], vcc
	s_cbranch_execz .LBB54_253
; %bb.252:
	buffer_load_dword v2, off, s[0:3], 0 offset:360
	buffer_load_dword v3, off, s[0:3], 0 offset:364
	v_mov_b32_e32 v1, 0
	buffer_store_dword v1, off, s[0:3], 0 offset:360
	buffer_store_dword v1, off, s[0:3], 0 offset:364
	s_waitcnt vmcnt(2)
	ds_write_b64 v153, v[2:3]
.LBB54_253:
	s_or_b64 exec, exec, s[4:5]
	s_waitcnt lgkmcnt(0)
	; wave barrier
	s_waitcnt lgkmcnt(0)
	buffer_load_dword v38, off, s[0:3], 0 offset:372
	buffer_load_dword v19, off, s[0:3], 0 offset:380
	;; [unrolled: 1-line block ×20, first 2 shown]
	v_mov_b32_e32 v1, 0
	ds_read_b128 v[2:5], v1 offset:816
	ds_read_b128 v[6:9], v1 offset:832
	;; [unrolled: 1-line block ×4, first 2 shown]
	ds_read_b64 v[36:37], v1 offset:880
	v_cmp_lt_u32_e32 vcc, 44, v0
	s_waitcnt vmcnt(19) lgkmcnt(4)
	v_mul_f32_e32 v39, v2, v38
	v_mul_f32_e32 v38, v3, v38
	s_waitcnt vmcnt(18)
	v_mov_b32_e32 v40, v19
	s_waitcnt vmcnt(17)
	v_mov_b32_e32 v42, v21
	;; [unrolled: 2-line block ×8, first 2 shown]
	s_waitcnt vmcnt(10)
	v_fmac_f32_e32 v39, v3, v41
	v_fma_f32 v38, v2, v41, -v38
	v_pk_mul_f32 v[2:3], v[4:5], v[40:41] op_sel_hi:[1,0]
	s_waitcnt lgkmcnt(3)
	v_pk_mul_f32 v[40:41], v[6:7], v[42:43] op_sel_hi:[1,0]
	v_pk_mul_f32 v[42:43], v[8:9], v[44:45] op_sel_hi:[1,0]
	s_waitcnt lgkmcnt(2)
	v_pk_mul_f32 v[44:45], v[10:11], v[46:47] op_sel_hi:[1,0]
	;; [unrolled: 3-line block ×4, first 2 shown]
	s_waitcnt vmcnt(9)
	v_pk_fma_f32 v[54:55], v[4:5], v[18:19], v[2:3] op_sel:[0,0,1] op_sel_hi:[1,1,0] neg_lo:[0,0,1] neg_hi:[0,0,1]
	v_pk_fma_f32 v[2:3], v[4:5], v[18:19], v[2:3] op_sel:[0,0,1] op_sel_hi:[1,0,0]
	v_pk_add_f32 v[38:39], v[38:39], 0 op_sel_hi:[1,0]
	s_waitcnt vmcnt(8)
	v_pk_fma_f32 v[4:5], v[6:7], v[20:21], v[40:41] op_sel:[0,0,1] op_sel_hi:[1,1,0] neg_lo:[0,0,1] neg_hi:[0,0,1]
	v_pk_fma_f32 v[6:7], v[6:7], v[20:21], v[40:41] op_sel:[0,0,1] op_sel_hi:[1,0,0]
	v_mov_b32_e32 v55, v3
	s_waitcnt vmcnt(7)
	v_pk_fma_f32 v[18:19], v[8:9], v[22:23], v[42:43] op_sel:[0,0,1] op_sel_hi:[1,1,0] neg_lo:[0,0,1] neg_hi:[0,0,1]
	v_pk_fma_f32 v[8:9], v[8:9], v[22:23], v[42:43] op_sel:[0,0,1] op_sel_hi:[1,0,0]
	v_mov_b32_e32 v5, v7
	v_pk_add_f32 v[2:3], v[38:39], v[54:55]
	s_waitcnt vmcnt(6)
	v_pk_fma_f32 v[20:21], v[10:11], v[24:25], v[44:45] op_sel:[0,0,1] op_sel_hi:[1,1,0] neg_lo:[0,0,1] neg_hi:[0,0,1]
	v_pk_fma_f32 v[10:11], v[10:11], v[24:25], v[44:45] op_sel:[0,0,1] op_sel_hi:[1,0,0]
	v_mov_b32_e32 v19, v9
	v_pk_add_f32 v[2:3], v[2:3], v[4:5]
	;; [unrolled: 5-line block ×5, first 2 shown]
	v_pk_fma_f32 v[28:29], v[36:37], v[32:33], v[52:53] op_sel:[0,0,1] op_sel_hi:[1,1,0] neg_lo:[0,0,1] neg_hi:[0,0,1]
	v_pk_fma_f32 v[30:31], v[36:37], v[32:33], v[52:53] op_sel:[0,0,1] op_sel_hi:[1,0,0]
	v_mov_b32_e32 v27, v17
	v_pk_add_f32 v[2:3], v[2:3], v[24:25]
	v_mov_b32_e32 v29, v31
	v_pk_add_f32 v[2:3], v[2:3], v[26:27]
	v_pk_add_f32 v[2:3], v[2:3], v[28:29]
	s_waitcnt vmcnt(0)
	v_pk_add_f32 v[2:3], v[34:35], v[2:3] neg_lo:[0,1] neg_hi:[0,1]
	buffer_store_dword v2, off, s[0:3], 0 offset:360
	buffer_store_dword v3, off, s[0:3], 0 offset:364
	s_and_saveexec_b64 s[4:5], vcc
	s_cbranch_execz .LBB54_255
; %bb.254:
	buffer_load_dword v2, off, s[0:3], 0 offset:352
	buffer_load_dword v3, off, s[0:3], 0 offset:356
	s_waitcnt vmcnt(0)
	ds_write_b64 v153, v[2:3]
	buffer_store_dword v1, off, s[0:3], 0 offset:352
	buffer_store_dword v1, off, s[0:3], 0 offset:356
.LBB54_255:
	s_or_b64 exec, exec, s[4:5]
	s_waitcnt lgkmcnt(0)
	; wave barrier
	s_waitcnt lgkmcnt(0)
	buffer_load_dword v40, off, s[0:3], 0 offset:364
	buffer_load_dword v42, off, s[0:3], 0 offset:372
	;; [unrolled: 1-line block ×22, first 2 shown]
	ds_read2_b64 v[2:5], v1 offset0:101 offset1:102
	ds_read2_b64 v[6:9], v1 offset0:103 offset1:104
	;; [unrolled: 1-line block ×5, first 2 shown]
	v_cmp_lt_u32_e32 vcc, 43, v0
	s_waitcnt vmcnt(21) lgkmcnt(4)
	v_mul_f32_e32 v41, v2, v40
	v_mul_f32_e32 v1, v3, v40
	s_waitcnt vmcnt(19)
	v_mov_b32_e32 v44, v23
	v_mul_f32_e32 v43, v4, v42
	v_mul_f32_e32 v42, v5, v42
	s_waitcnt vmcnt(18)
	v_mov_b32_e32 v46, v25
	s_waitcnt vmcnt(17)
	v_mov_b32_e32 v48, v27
	;; [unrolled: 2-line block ×6, first 2 shown]
	s_waitcnt vmcnt(11)
	v_fmac_f32_e32 v41, v3, v45
	v_fma_f32 v40, v2, v45, -v1
	s_waitcnt lgkmcnt(3)
	v_pk_mul_f32 v[2:3], v[6:7], v[44:45] op_sel_hi:[1,0]
	s_waitcnt vmcnt(10)
	v_fmac_f32_e32 v43, v5, v47
	v_fma_f32 v42, v4, v47, -v42
	v_pk_mul_f32 v[4:5], v[8:9], v[46:47] op_sel_hi:[1,0]
	s_waitcnt lgkmcnt(2)
	v_pk_mul_f32 v[44:45], v[10:11], v[48:49] op_sel_hi:[1,0]
	v_pk_mul_f32 v[46:47], v[12:13], v[50:51] op_sel_hi:[1,0]
	s_waitcnt lgkmcnt(1)
	v_pk_mul_f32 v[48:49], v[14:15], v[52:53] op_sel_hi:[1,0]
	;; [unrolled: 3-line block ×3, first 2 shown]
	v_pk_add_f32 v[40:41], v[40:41], 0 op_sel_hi:[1,0]
	s_waitcnt vmcnt(9)
	v_pk_fma_f32 v[56:57], v[6:7], v[22:23], v[2:3] op_sel:[0,0,1] op_sel_hi:[1,1,0] neg_lo:[0,0,1] neg_hi:[0,0,1]
	v_pk_fma_f32 v[2:3], v[6:7], v[22:23], v[2:3] op_sel:[0,0,1] op_sel_hi:[1,0,0]
	s_waitcnt vmcnt(8)
	v_pk_fma_f32 v[6:7], v[8:9], v[24:25], v[4:5] op_sel:[0,0,1] op_sel_hi:[1,1,0] neg_lo:[0,0,1] neg_hi:[0,0,1]
	v_pk_fma_f32 v[4:5], v[8:9], v[24:25], v[4:5] op_sel:[0,0,1] op_sel_hi:[1,0,0]
	;; [unrolled: 3-line block ×4, first 2 shown]
	v_pk_add_f32 v[32:33], v[40:41], v[42:43]
	v_mov_b32_e32 v57, v3
	v_mov_b32_e32 v7, v5
	v_pk_add_f32 v[2:3], v[32:33], v[56:57]
	v_pk_fma_f32 v[22:23], v[12:13], v[28:29], v[46:47] op_sel:[0,0,1] op_sel_hi:[1,1,0] neg_lo:[0,0,1] neg_hi:[0,0,1]
	v_pk_fma_f32 v[12:13], v[12:13], v[28:29], v[46:47] op_sel:[0,0,1] op_sel_hi:[1,0,0]
	v_mov_b32_e32 v9, v11
	v_pk_add_f32 v[2:3], v[2:3], v[6:7]
	v_pk_fma_f32 v[24:25], v[14:15], v[30:31], v[48:49] op_sel:[0,0,1] op_sel_hi:[1,1,0] neg_lo:[0,0,1] neg_hi:[0,0,1]
	v_pk_fma_f32 v[14:15], v[14:15], v[30:31], v[48:49] op_sel:[0,0,1] op_sel_hi:[1,0,0]
	v_mov_b32_e32 v23, v13
	v_pk_add_f32 v[2:3], v[2:3], v[8:9]
	v_mov_b32_e32 v58, v37
	v_mov_b32_e32 v25, v15
	v_pk_add_f32 v[2:3], v[2:3], v[22:23]
	v_pk_mul_f32 v[54:55], v[20:21], v[58:59] op_sel_hi:[1,0]
	v_pk_fma_f32 v[28:29], v[18:19], v[34:35], v[52:53] op_sel:[0,0,1] op_sel_hi:[1,1,0] neg_lo:[0,0,1] neg_hi:[0,0,1]
	v_pk_fma_f32 v[18:19], v[18:19], v[34:35], v[52:53] op_sel:[0,0,1] op_sel_hi:[1,0,0]
	v_mov_b32_e32 v27, v17
	v_pk_add_f32 v[2:3], v[2:3], v[24:25]
	v_pk_fma_f32 v[30:31], v[20:21], v[36:37], v[54:55] op_sel:[0,0,1] op_sel_hi:[1,1,0] neg_lo:[0,0,1] neg_hi:[0,0,1]
	v_pk_fma_f32 v[20:21], v[20:21], v[36:37], v[54:55] op_sel:[0,0,1] op_sel_hi:[1,0,0]
	v_mov_b32_e32 v29, v19
	v_pk_add_f32 v[2:3], v[2:3], v[26:27]
	v_mov_b32_e32 v31, v21
	v_pk_add_f32 v[2:3], v[2:3], v[28:29]
	v_pk_add_f32 v[2:3], v[2:3], v[30:31]
	s_waitcnt vmcnt(0)
	v_pk_add_f32 v[2:3], v[38:39], v[2:3] neg_lo:[0,1] neg_hi:[0,1]
	buffer_store_dword v2, off, s[0:3], 0 offset:352
	buffer_store_dword v3, off, s[0:3], 0 offset:356
	s_and_saveexec_b64 s[4:5], vcc
	s_cbranch_execz .LBB54_257
; %bb.256:
	buffer_load_dword v2, off, s[0:3], 0 offset:344
	buffer_load_dword v3, off, s[0:3], 0 offset:348
	v_mov_b32_e32 v1, 0
	buffer_store_dword v1, off, s[0:3], 0 offset:344
	buffer_store_dword v1, off, s[0:3], 0 offset:348
	s_waitcnt vmcnt(2)
	ds_write_b64 v153, v[2:3]
.LBB54_257:
	s_or_b64 exec, exec, s[4:5]
	v_mov_b32_e32 v1, 0
	s_waitcnt lgkmcnt(0)
	; wave barrier
	s_waitcnt lgkmcnt(0)
	ds_read_b128 v[4:7], v1 offset:800
	ds_read_b128 v[8:11], v1 offset:816
	ds_read_b128 v[12:15], v1 offset:832
	ds_read_b128 v[16:19], v1 offset:848
	buffer_load_dword v2, off, s[0:3], 0 offset:344
	buffer_load_dword v3, off, s[0:3], 0 offset:348
	;; [unrolled: 1-line block ×24, first 2 shown]
	v_cmp_lt_u32_e32 vcc, 42, v0
	s_waitcnt vmcnt(20) lgkmcnt(3)
	v_mul_f32_e32 v29, v4, v30
	v_fmac_f32_e32 v29, v5, v28
	v_mul_f32_e32 v5, v5, v30
	v_fma_f32 v4, v4, v28, -v5
	s_waitcnt vmcnt(18)
	v_mul_f32_e32 v31, v6, v42
	v_add_f32_e32 v28, 0, v4
	v_mul_f32_e32 v4, v7, v42
	v_add_f32_e32 v29, 0, v29
	v_fmac_f32_e32 v31, v7, v32
	v_fma_f32 v30, v6, v32, -v4
	s_waitcnt vmcnt(16) lgkmcnt(2)
	v_mul_f32_e32 v33, v8, v44
	v_mul_f32_e32 v4, v9, v44
	v_pk_add_f32 v[28:29], v[28:29], v[30:31]
	s_waitcnt vmcnt(14)
	v_mov_b32_e32 v30, v21
	v_fmac_f32_e32 v33, v9, v43
	v_fma_f32 v32, v8, v43, -v4
	v_pk_mul_f32 v[30:31], v[10:11], v[30:31] op_sel_hi:[1,0]
	v_pk_add_f32 v[28:29], v[28:29], v[32:33]
	v_pk_fma_f32 v[32:33], v[10:11], v[20:21], v[30:31] op_sel:[0,0,1] op_sel_hi:[1,1,0] neg_lo:[0,0,1] neg_hi:[0,0,1]
	v_pk_fma_f32 v[10:11], v[10:11], v[20:21], v[30:31] op_sel:[0,0,1] op_sel_hi:[1,0,0]
	s_waitcnt vmcnt(12)
	v_mov_b32_e32 v20, v23
	v_mov_b32_e32 v33, v11
	s_waitcnt lgkmcnt(1)
	v_pk_mul_f32 v[20:21], v[12:13], v[20:21] op_sel_hi:[1,0]
	v_pk_add_f32 v[10:11], v[28:29], v[32:33]
	v_pk_fma_f32 v[28:29], v[12:13], v[22:23], v[20:21] op_sel:[0,0,1] op_sel_hi:[1,1,0] neg_lo:[0,0,1] neg_hi:[0,0,1]
	v_pk_fma_f32 v[12:13], v[12:13], v[22:23], v[20:21] op_sel:[0,0,1] op_sel_hi:[1,0,0]
	s_waitcnt vmcnt(10)
	v_mov_b32_e32 v12, v25
	v_mov_b32_e32 v29, v13
	v_pk_mul_f32 v[12:13], v[14:15], v[12:13] op_sel_hi:[1,0]
	v_pk_fma_f32 v[20:21], v[14:15], v[24:25], v[12:13] op_sel:[0,0,1] op_sel_hi:[1,1,0] neg_lo:[0,0,1] neg_hi:[0,0,1]
	v_pk_fma_f32 v[12:13], v[14:15], v[24:25], v[12:13] op_sel:[0,0,1] op_sel_hi:[1,0,0]
	s_waitcnt vmcnt(8)
	v_mov_b32_e32 v12, v27
	v_mov_b32_e32 v21, v13
	s_waitcnt lgkmcnt(0)
	v_pk_mul_f32 v[12:13], v[16:17], v[12:13] op_sel_hi:[1,0]
	v_pk_fma_f32 v[14:15], v[16:17], v[26:27], v[12:13] op_sel:[0,0,1] op_sel_hi:[1,1,0] neg_lo:[0,0,1] neg_hi:[0,0,1]
	v_pk_fma_f32 v[12:13], v[16:17], v[26:27], v[12:13] op_sel:[0,0,1] op_sel_hi:[1,0,0]
	ds_read_b128 v[4:7], v1 offset:864
	ds_read_b64 v[8:9], v1 offset:880
	v_pk_add_f32 v[10:11], v[10:11], v[28:29]
	s_waitcnt vmcnt(7)
	v_mov_b32_e32 v12, v35
	v_pk_add_f32 v[10:11], v[10:11], v[20:21]
	v_mov_b32_e32 v15, v13
	v_pk_mul_f32 v[12:13], v[18:19], v[12:13] op_sel_hi:[1,0]
	v_pk_add_f32 v[10:11], v[10:11], v[14:15]
	s_waitcnt vmcnt(6)
	v_pk_fma_f32 v[14:15], v[18:19], v[34:35], v[12:13] op_sel:[0,0,1] op_sel_hi:[1,1,0] neg_lo:[0,0,1] neg_hi:[0,0,1]
	v_pk_fma_f32 v[12:13], v[18:19], v[34:35], v[12:13] op_sel:[0,0,1] op_sel_hi:[1,0,0]
	s_waitcnt vmcnt(5)
	v_mov_b32_e32 v12, v37
	v_mov_b32_e32 v15, v13
	s_waitcnt lgkmcnt(1)
	v_pk_mul_f32 v[12:13], v[4:5], v[12:13] op_sel_hi:[1,0]
	v_pk_add_f32 v[10:11], v[10:11], v[14:15]
	s_waitcnt vmcnt(4)
	v_pk_fma_f32 v[14:15], v[4:5], v[36:37], v[12:13] op_sel:[0,0,1] op_sel_hi:[1,1,0] neg_lo:[0,0,1] neg_hi:[0,0,1]
	v_pk_fma_f32 v[4:5], v[4:5], v[36:37], v[12:13] op_sel:[0,0,1] op_sel_hi:[1,0,0]
	v_mov_b32_e32 v15, v5
	v_pk_add_f32 v[4:5], v[10:11], v[14:15]
	s_waitcnt vmcnt(3)
	v_mov_b32_e32 v10, v39
	v_pk_mul_f32 v[10:11], v[6:7], v[10:11] op_sel_hi:[1,0]
	s_waitcnt vmcnt(2)
	v_pk_fma_f32 v[12:13], v[6:7], v[38:39], v[10:11] op_sel:[0,0,1] op_sel_hi:[1,1,0] neg_lo:[0,0,1] neg_hi:[0,0,1]
	v_pk_fma_f32 v[6:7], v[6:7], v[38:39], v[10:11] op_sel:[0,0,1] op_sel_hi:[1,0,0]
	s_waitcnt vmcnt(1)
	v_mov_b32_e32 v6, v41
	v_mov_b32_e32 v13, v7
	s_waitcnt lgkmcnt(0)
	v_pk_mul_f32 v[6:7], v[8:9], v[6:7] op_sel_hi:[1,0]
	s_waitcnt vmcnt(0)
	v_pk_fma_f32 v[10:11], v[8:9], v[40:41], v[6:7] op_sel:[0,0,1] op_sel_hi:[1,1,0] neg_lo:[0,0,1] neg_hi:[0,0,1]
	v_pk_fma_f32 v[6:7], v[8:9], v[40:41], v[6:7] op_sel:[0,0,1] op_sel_hi:[1,0,0]
	v_pk_add_f32 v[4:5], v[4:5], v[12:13]
	v_mov_b32_e32 v11, v7
	v_pk_add_f32 v[4:5], v[4:5], v[10:11]
	v_pk_add_f32 v[2:3], v[2:3], v[4:5] neg_lo:[0,1] neg_hi:[0,1]
	buffer_store_dword v3, off, s[0:3], 0 offset:348
	buffer_store_dword v2, off, s[0:3], 0 offset:344
	s_and_saveexec_b64 s[4:5], vcc
	s_cbranch_execz .LBB54_259
; %bb.258:
	buffer_load_dword v2, off, s[0:3], 0 offset:336
	buffer_load_dword v3, off, s[0:3], 0 offset:340
	s_waitcnt vmcnt(0)
	ds_write_b64 v153, v[2:3]
	buffer_store_dword v1, off, s[0:3], 0 offset:336
	buffer_store_dword v1, off, s[0:3], 0 offset:340
.LBB54_259:
	s_or_b64 exec, exec, s[4:5]
	s_waitcnt lgkmcnt(0)
	; wave barrier
	s_waitcnt lgkmcnt(0)
	ds_read2_b64 v[4:7], v1 offset0:99 offset1:100
	buffer_load_dword v2, off, s[0:3], 0 offset:336
	buffer_load_dword v3, off, s[0:3], 0 offset:340
	;; [unrolled: 1-line block ×16, first 2 shown]
	v_cmp_lt_u32_e32 vcc, 41, v0
	ds_read2_b64 v[12:15], v1 offset0:103 offset1:104
	s_waitcnt vmcnt(12) lgkmcnt(1)
	v_mul_f32_e32 v8, v4, v17
	v_fmac_f32_e32 v8, v5, v16
	s_waitcnt vmcnt(10)
	v_mul_f32_e32 v9, v6, v19
	v_add_f32_e32 v8, 0, v8
	v_fmac_f32_e32 v9, v7, v18
	v_add_f32_e32 v27, v8, v9
	ds_read2_b64 v[8:11], v1 offset0:101 offset1:102
	buffer_load_dword v33, off, s[0:3], 0 offset:404
	buffer_load_dword v32, off, s[0:3], 0 offset:400
	buffer_load_dword v35, off, s[0:3], 0 offset:412
	buffer_load_dword v34, off, s[0:3], 0 offset:408
	buffer_load_dword v37, off, s[0:3], 0 offset:420
	buffer_load_dword v36, off, s[0:3], 0 offset:416
	buffer_load_dword v39, off, s[0:3], 0 offset:428
	buffer_load_dword v38, off, s[0:3], 0 offset:424
	buffer_load_dword v41, off, s[0:3], 0 offset:436
	buffer_load_dword v40, off, s[0:3], 0 offset:432
	v_mul_f32_e32 v5, v5, v17
	v_fma_f32 v4, v4, v16, -v5
	v_mul_f32_e32 v5, v7, v19
	v_add_f32_e32 v4, 0, v4
	v_fma_f32 v5, v6, v18, -v5
	s_waitcnt vmcnt(18) lgkmcnt(0)
	v_mul_f32_e32 v29, v8, v30
	v_add_f32_e32 v26, v4, v5
	v_mul_f32_e32 v4, v9, v30
	v_fmac_f32_e32 v29, v9, v28
	v_fma_f32 v28, v8, v28, -v4
	s_waitcnt vmcnt(16)
	v_mul_f32_e32 v31, v10, v43
	v_mul_f32_e32 v4, v11, v43
	v_pk_add_f32 v[26:27], v[26:27], v[28:29]
	s_waitcnt vmcnt(14)
	v_mov_b32_e32 v28, v21
	v_fmac_f32_e32 v31, v11, v42
	v_fma_f32 v30, v10, v42, -v4
	v_pk_mul_f32 v[28:29], v[12:13], v[28:29] op_sel_hi:[1,0]
	v_pk_add_f32 v[26:27], v[26:27], v[30:31]
	v_pk_fma_f32 v[30:31], v[12:13], v[20:21], v[28:29] op_sel:[0,0,1] op_sel_hi:[1,1,0] neg_lo:[0,0,1] neg_hi:[0,0,1]
	v_pk_fma_f32 v[12:13], v[12:13], v[20:21], v[28:29] op_sel:[0,0,1] op_sel_hi:[1,0,0]
	s_waitcnt vmcnt(12)
	v_mov_b32_e32 v20, v23
	ds_read2_b64 v[4:7], v1 offset0:105 offset1:106
	ds_read2_b64 v[8:11], v1 offset0:107 offset1:108
	;; [unrolled: 1-line block ×3, first 2 shown]
	v_mov_b32_e32 v31, v13
	v_pk_mul_f32 v[20:21], v[14:15], v[20:21] op_sel_hi:[1,0]
	v_pk_add_f32 v[12:13], v[26:27], v[30:31]
	v_pk_fma_f32 v[26:27], v[14:15], v[22:23], v[20:21] op_sel:[0,0,1] op_sel_hi:[1,1,0] neg_lo:[0,0,1] neg_hi:[0,0,1]
	v_pk_fma_f32 v[14:15], v[14:15], v[22:23], v[20:21] op_sel:[0,0,1] op_sel_hi:[1,0,0]
	s_waitcnt vmcnt(10)
	v_mov_b32_e32 v14, v25
	v_mov_b32_e32 v27, v15
	s_waitcnt lgkmcnt(2)
	v_pk_mul_f32 v[14:15], v[4:5], v[14:15] op_sel_hi:[1,0]
	v_pk_fma_f32 v[20:21], v[4:5], v[24:25], v[14:15] op_sel:[0,0,1] op_sel_hi:[1,1,0] neg_lo:[0,0,1] neg_hi:[0,0,1]
	v_pk_fma_f32 v[4:5], v[4:5], v[24:25], v[14:15] op_sel:[0,0,1] op_sel_hi:[1,0,0]
	v_pk_add_f32 v[12:13], v[12:13], v[26:27]
	v_mov_b32_e32 v21, v5
	v_pk_add_f32 v[4:5], v[12:13], v[20:21]
	s_waitcnt vmcnt(9)
	v_mov_b32_e32 v12, v33
	v_pk_mul_f32 v[12:13], v[6:7], v[12:13] op_sel_hi:[1,0]
	s_waitcnt vmcnt(8)
	v_pk_fma_f32 v[14:15], v[6:7], v[32:33], v[12:13] op_sel:[0,0,1] op_sel_hi:[1,1,0] neg_lo:[0,0,1] neg_hi:[0,0,1]
	v_pk_fma_f32 v[6:7], v[6:7], v[32:33], v[12:13] op_sel:[0,0,1] op_sel_hi:[1,0,0]
	s_waitcnt vmcnt(7)
	v_mov_b32_e32 v6, v35
	v_mov_b32_e32 v15, v7
	s_waitcnt lgkmcnt(1)
	v_pk_mul_f32 v[6:7], v[8:9], v[6:7] op_sel_hi:[1,0]
	s_waitcnt vmcnt(6)
	v_pk_fma_f32 v[12:13], v[8:9], v[34:35], v[6:7] op_sel:[0,0,1] op_sel_hi:[1,1,0] neg_lo:[0,0,1] neg_hi:[0,0,1]
	v_pk_fma_f32 v[6:7], v[8:9], v[34:35], v[6:7] op_sel:[0,0,1] op_sel_hi:[1,0,0]
	s_waitcnt vmcnt(5)
	v_mov_b32_e32 v6, v37
	v_mov_b32_e32 v13, v7
	v_pk_mul_f32 v[6:7], v[10:11], v[6:7] op_sel_hi:[1,0]
	s_waitcnt vmcnt(4)
	v_pk_fma_f32 v[8:9], v[10:11], v[36:37], v[6:7] op_sel:[0,0,1] op_sel_hi:[1,1,0] neg_lo:[0,0,1] neg_hi:[0,0,1]
	v_pk_fma_f32 v[6:7], v[10:11], v[36:37], v[6:7] op_sel:[0,0,1] op_sel_hi:[1,0,0]
	v_pk_add_f32 v[4:5], v[4:5], v[14:15]
	s_waitcnt vmcnt(3)
	v_mov_b32_e32 v6, v39
	v_pk_add_f32 v[4:5], v[4:5], v[12:13]
	v_mov_b32_e32 v9, v7
	s_waitcnt lgkmcnt(0)
	v_pk_mul_f32 v[6:7], v[16:17], v[6:7] op_sel_hi:[1,0]
	v_pk_add_f32 v[4:5], v[4:5], v[8:9]
	s_waitcnt vmcnt(2)
	v_pk_fma_f32 v[8:9], v[16:17], v[38:39], v[6:7] op_sel:[0,0,1] op_sel_hi:[1,1,0] neg_lo:[0,0,1] neg_hi:[0,0,1]
	v_pk_fma_f32 v[6:7], v[16:17], v[38:39], v[6:7] op_sel:[0,0,1] op_sel_hi:[1,0,0]
	s_waitcnt vmcnt(1)
	v_mov_b32_e32 v6, v41
	v_mov_b32_e32 v9, v7
	v_pk_mul_f32 v[6:7], v[18:19], v[6:7] op_sel_hi:[1,0]
	v_pk_add_f32 v[4:5], v[4:5], v[8:9]
	s_waitcnt vmcnt(0)
	v_pk_fma_f32 v[8:9], v[18:19], v[40:41], v[6:7] op_sel:[0,0,1] op_sel_hi:[1,1,0] neg_lo:[0,0,1] neg_hi:[0,0,1]
	v_pk_fma_f32 v[6:7], v[18:19], v[40:41], v[6:7] op_sel:[0,0,1] op_sel_hi:[1,0,0]
	v_mov_b32_e32 v9, v7
	v_pk_add_f32 v[4:5], v[4:5], v[8:9]
	v_pk_add_f32 v[2:3], v[2:3], v[4:5] neg_lo:[0,1] neg_hi:[0,1]
	buffer_store_dword v3, off, s[0:3], 0 offset:340
	buffer_store_dword v2, off, s[0:3], 0 offset:336
	s_and_saveexec_b64 s[4:5], vcc
	s_cbranch_execz .LBB54_261
; %bb.260:
	buffer_load_dword v2, off, s[0:3], 0 offset:328
	buffer_load_dword v3, off, s[0:3], 0 offset:332
	v_mov_b32_e32 v1, 0
	buffer_store_dword v1, off, s[0:3], 0 offset:328
	buffer_store_dword v1, off, s[0:3], 0 offset:332
	s_waitcnt vmcnt(2)
	ds_write_b64 v153, v[2:3]
.LBB54_261:
	s_or_b64 exec, exec, s[4:5]
	v_mov_b32_e32 v1, 0
	s_waitcnt lgkmcnt(0)
	; wave barrier
	s_waitcnt lgkmcnt(0)
	ds_read_b128 v[4:7], v1 offset:784
	ds_read_b128 v[8:11], v1 offset:800
	;; [unrolled: 1-line block ×4, first 2 shown]
	buffer_load_dword v2, off, s[0:3], 0 offset:328
	buffer_load_dword v3, off, s[0:3], 0 offset:332
	;; [unrolled: 1-line block ×28, first 2 shown]
	v_cmp_lt_u32_e32 vcc, 40, v0
	s_waitcnt vmcnt(24) lgkmcnt(3)
	v_mul_f32_e32 v25, v4, v26
	v_fmac_f32_e32 v25, v5, v24
	v_mul_f32_e32 v5, v5, v26
	s_waitcnt vmcnt(22)
	v_mul_f32_e32 v27, v6, v42
	v_fma_f32 v4, v4, v24, -v5
	v_mul_f32_e32 v5, v7, v42
	v_add_f32_e32 v25, 0, v25
	v_fmac_f32_e32 v27, v7, v28
	v_add_f32_e32 v4, 0, v4
	v_fma_f32 v5, v6, v28, -v5
	v_add_f32_e32 v25, v25, v27
	s_waitcnt vmcnt(20) lgkmcnt(2)
	v_mul_f32_e32 v27, v8, v44
	v_add_f32_e32 v4, v4, v5
	v_mul_f32_e32 v5, v9, v44
	v_fmac_f32_e32 v27, v9, v43
	v_fma_f32 v5, v8, v43, -v5
	v_add_f32_e32 v25, v25, v27
	s_waitcnt vmcnt(18)
	v_mul_f32_e32 v27, v10, v46
	v_add_f32_e32 v24, v4, v5
	v_mul_f32_e32 v4, v11, v46
	v_fmac_f32_e32 v27, v11, v45
	v_fma_f32 v26, v10, v45, -v4
	s_waitcnt vmcnt(16) lgkmcnt(1)
	v_mul_f32_e32 v29, v12, v48
	v_mul_f32_e32 v4, v13, v48
	v_pk_add_f32 v[24:25], v[24:25], v[26:27]
	s_waitcnt vmcnt(14)
	v_mov_b32_e32 v26, v21
	v_fmac_f32_e32 v29, v13, v47
	v_fma_f32 v28, v12, v47, -v4
	v_pk_mul_f32 v[26:27], v[14:15], v[26:27] op_sel_hi:[1,0]
	v_pk_add_f32 v[24:25], v[24:25], v[28:29]
	v_pk_fma_f32 v[28:29], v[14:15], v[20:21], v[26:27] op_sel:[0,0,1] op_sel_hi:[1,1,0] neg_lo:[0,0,1] neg_hi:[0,0,1]
	v_pk_fma_f32 v[14:15], v[14:15], v[20:21], v[26:27] op_sel:[0,0,1] op_sel_hi:[1,0,0]
	s_waitcnt vmcnt(12)
	v_mov_b32_e32 v20, v23
	v_mov_b32_e32 v29, v15
	s_waitcnt lgkmcnt(0)
	v_pk_mul_f32 v[20:21], v[16:17], v[20:21] op_sel_hi:[1,0]
	v_pk_add_f32 v[14:15], v[24:25], v[28:29]
	v_pk_fma_f32 v[24:25], v[16:17], v[22:23], v[20:21] op_sel:[0,0,1] op_sel_hi:[1,1,0] neg_lo:[0,0,1] neg_hi:[0,0,1]
	v_pk_fma_f32 v[16:17], v[16:17], v[22:23], v[20:21] op_sel:[0,0,1] op_sel_hi:[1,0,0]
	s_waitcnt vmcnt(11)
	v_mov_b32_e32 v16, v31
	ds_read_b128 v[4:7], v1 offset:848
	ds_read_b128 v[8:11], v1 offset:864
	ds_read_b64 v[12:13], v1 offset:880
	v_mov_b32_e32 v25, v17
	v_pk_mul_f32 v[16:17], v[18:19], v[16:17] op_sel_hi:[1,0]
	s_waitcnt vmcnt(10)
	v_pk_fma_f32 v[20:21], v[18:19], v[30:31], v[16:17] op_sel:[0,0,1] op_sel_hi:[1,1,0] neg_lo:[0,0,1] neg_hi:[0,0,1]
	v_pk_fma_f32 v[16:17], v[18:19], v[30:31], v[16:17] op_sel:[0,0,1] op_sel_hi:[1,0,0]
	s_waitcnt vmcnt(9)
	v_mov_b32_e32 v16, v33
	v_mov_b32_e32 v21, v17
	s_waitcnt lgkmcnt(2)
	v_pk_mul_f32 v[16:17], v[4:5], v[16:17] op_sel_hi:[1,0]
	v_pk_add_f32 v[14:15], v[14:15], v[24:25]
	s_waitcnt vmcnt(8)
	v_pk_fma_f32 v[18:19], v[4:5], v[32:33], v[16:17] op_sel:[0,0,1] op_sel_hi:[1,1,0] neg_lo:[0,0,1] neg_hi:[0,0,1]
	v_pk_fma_f32 v[4:5], v[4:5], v[32:33], v[16:17] op_sel:[0,0,1] op_sel_hi:[1,0,0]
	v_pk_add_f32 v[14:15], v[14:15], v[20:21]
	v_mov_b32_e32 v19, v5
	v_pk_add_f32 v[4:5], v[14:15], v[18:19]
	s_waitcnt vmcnt(7)
	v_mov_b32_e32 v14, v35
	v_pk_mul_f32 v[14:15], v[6:7], v[14:15] op_sel_hi:[1,0]
	s_waitcnt vmcnt(6)
	v_pk_fma_f32 v[16:17], v[6:7], v[34:35], v[14:15] op_sel:[0,0,1] op_sel_hi:[1,1,0] neg_lo:[0,0,1] neg_hi:[0,0,1]
	v_pk_fma_f32 v[6:7], v[6:7], v[34:35], v[14:15] op_sel:[0,0,1] op_sel_hi:[1,0,0]
	s_waitcnt vmcnt(5)
	v_mov_b32_e32 v6, v37
	v_mov_b32_e32 v17, v7
	s_waitcnt lgkmcnt(1)
	v_pk_mul_f32 v[6:7], v[8:9], v[6:7] op_sel_hi:[1,0]
	s_waitcnt vmcnt(4)
	v_pk_fma_f32 v[14:15], v[8:9], v[36:37], v[6:7] op_sel:[0,0,1] op_sel_hi:[1,1,0] neg_lo:[0,0,1] neg_hi:[0,0,1]
	v_pk_fma_f32 v[6:7], v[8:9], v[36:37], v[6:7] op_sel:[0,0,1] op_sel_hi:[1,0,0]
	s_waitcnt vmcnt(3)
	v_mov_b32_e32 v6, v39
	v_mov_b32_e32 v15, v7
	v_pk_mul_f32 v[6:7], v[10:11], v[6:7] op_sel_hi:[1,0]
	s_waitcnt vmcnt(2)
	v_pk_fma_f32 v[8:9], v[10:11], v[38:39], v[6:7] op_sel:[0,0,1] op_sel_hi:[1,1,0] neg_lo:[0,0,1] neg_hi:[0,0,1]
	v_pk_fma_f32 v[6:7], v[10:11], v[38:39], v[6:7] op_sel:[0,0,1] op_sel_hi:[1,0,0]
	v_pk_add_f32 v[4:5], v[4:5], v[16:17]
	s_waitcnt vmcnt(1)
	v_mov_b32_e32 v6, v41
	v_pk_add_f32 v[4:5], v[4:5], v[14:15]
	v_mov_b32_e32 v9, v7
	s_waitcnt lgkmcnt(0)
	v_pk_mul_f32 v[6:7], v[12:13], v[6:7] op_sel_hi:[1,0]
	v_pk_add_f32 v[4:5], v[4:5], v[8:9]
	s_waitcnt vmcnt(0)
	v_pk_fma_f32 v[8:9], v[12:13], v[40:41], v[6:7] op_sel:[0,0,1] op_sel_hi:[1,1,0] neg_lo:[0,0,1] neg_hi:[0,0,1]
	v_pk_fma_f32 v[6:7], v[12:13], v[40:41], v[6:7] op_sel:[0,0,1] op_sel_hi:[1,0,0]
	v_mov_b32_e32 v9, v7
	v_pk_add_f32 v[4:5], v[4:5], v[8:9]
	v_pk_add_f32 v[2:3], v[2:3], v[4:5] neg_lo:[0,1] neg_hi:[0,1]
	buffer_store_dword v3, off, s[0:3], 0 offset:332
	buffer_store_dword v2, off, s[0:3], 0 offset:328
	s_and_saveexec_b64 s[4:5], vcc
	s_cbranch_execz .LBB54_263
; %bb.262:
	buffer_load_dword v2, off, s[0:3], 0 offset:320
	buffer_load_dword v3, off, s[0:3], 0 offset:324
	s_waitcnt vmcnt(0)
	ds_write_b64 v153, v[2:3]
	buffer_store_dword v1, off, s[0:3], 0 offset:320
	buffer_store_dword v1, off, s[0:3], 0 offset:324
.LBB54_263:
	s_or_b64 exec, exec, s[4:5]
	s_waitcnt lgkmcnt(0)
	; wave barrier
	s_waitcnt lgkmcnt(0)
	ds_read2_b64 v[4:7], v1 offset0:97 offset1:98
	buffer_load_dword v2, off, s[0:3], 0 offset:320
	buffer_load_dword v3, off, s[0:3], 0 offset:324
	;; [unrolled: 1-line block ×16, first 2 shown]
	v_cmp_lt_u32_e32 vcc, 39, v0
	ds_read2_b64 v[16:19], v1 offset0:103 offset1:104
	s_waitcnt vmcnt(12) lgkmcnt(1)
	v_mul_f32_e32 v8, v4, v24
	v_fmac_f32_e32 v8, v5, v22
	s_waitcnt vmcnt(10)
	v_mul_f32_e32 v9, v6, v42
	v_add_f32_e32 v8, 0, v8
	v_fmac_f32_e32 v9, v7, v26
	v_add_f32_e32 v12, v8, v9
	ds_read2_b64 v[8:11], v1 offset0:99 offset1:100
	v_mul_f32_e32 v5, v5, v24
	v_fma_f32 v4, v4, v22, -v5
	v_mul_f32_e32 v5, v7, v42
	v_add_f32_e32 v4, 0, v4
	s_waitcnt vmcnt(8) lgkmcnt(0)
	v_mul_f32_e32 v13, v8, v44
	v_fmac_f32_e32 v13, v9, v43
	v_add_f32_e32 v12, v12, v13
	s_waitcnt vmcnt(6)
	v_mul_f32_e32 v13, v10, v46
	v_fmac_f32_e32 v13, v11, v45
	v_add_f32_e32 v23, v12, v13
	ds_read2_b64 v[12:15], v1 offset0:101 offset1:102
	buffer_load_dword v29, off, s[0:3], 0 offset:388
	buffer_load_dword v28, off, s[0:3], 0 offset:384
	;; [unrolled: 1-line block ×14, first 2 shown]
	v_fma_f32 v5, v6, v26, -v5
	v_add_f32_e32 v4, v4, v5
	v_mul_f32_e32 v5, v9, v44
	v_fma_f32 v5, v8, v43, -v5
	v_add_f32_e32 v4, v4, v5
	v_mul_f32_e32 v5, v11, v46
	v_fma_f32 v5, v10, v45, -v5
	s_waitcnt vmcnt(18) lgkmcnt(0)
	v_mul_f32_e32 v25, v12, v48
	v_add_f32_e32 v22, v4, v5
	v_mul_f32_e32 v4, v13, v48
	v_fmac_f32_e32 v25, v13, v47
	v_fma_f32 v24, v12, v47, -v4
	s_waitcnt vmcnt(16)
	v_mul_f32_e32 v27, v14, v50
	v_mul_f32_e32 v4, v15, v50
	v_pk_add_f32 v[22:23], v[22:23], v[24:25]
	s_waitcnt vmcnt(14)
	v_mov_b32_e32 v24, v21
	v_fmac_f32_e32 v27, v15, v49
	v_fma_f32 v26, v14, v49, -v4
	v_pk_mul_f32 v[24:25], v[16:17], v[24:25] op_sel_hi:[1,0]
	v_pk_add_f32 v[22:23], v[22:23], v[26:27]
	v_pk_fma_f32 v[26:27], v[16:17], v[20:21], v[24:25] op_sel:[0,0,1] op_sel_hi:[1,1,0] neg_lo:[0,0,1] neg_hi:[0,0,1]
	v_pk_fma_f32 v[16:17], v[16:17], v[20:21], v[24:25] op_sel:[0,0,1] op_sel_hi:[1,0,0]
	ds_read2_b64 v[4:7], v1 offset0:105 offset1:106
	ds_read2_b64 v[8:11], v1 offset0:107 offset1:108
	;; [unrolled: 1-line block ×3, first 2 shown]
	v_mov_b32_e32 v27, v17
	v_pk_add_f32 v[16:17], v[22:23], v[26:27]
	s_waitcnt vmcnt(13)
	v_mov_b32_e32 v20, v29
	v_pk_mul_f32 v[20:21], v[18:19], v[20:21] op_sel_hi:[1,0]
	s_waitcnt vmcnt(12)
	v_pk_fma_f32 v[22:23], v[18:19], v[28:29], v[20:21] op_sel:[0,0,1] op_sel_hi:[1,1,0] neg_lo:[0,0,1] neg_hi:[0,0,1]
	v_pk_fma_f32 v[18:19], v[18:19], v[28:29], v[20:21] op_sel:[0,0,1] op_sel_hi:[1,0,0]
	s_waitcnt vmcnt(11)
	v_mov_b32_e32 v18, v31
	v_mov_b32_e32 v23, v19
	s_waitcnt lgkmcnt(2)
	v_pk_mul_f32 v[18:19], v[4:5], v[18:19] op_sel_hi:[1,0]
	s_waitcnt vmcnt(10)
	v_pk_fma_f32 v[20:21], v[4:5], v[30:31], v[18:19] op_sel:[0,0,1] op_sel_hi:[1,1,0] neg_lo:[0,0,1] neg_hi:[0,0,1]
	v_pk_fma_f32 v[4:5], v[4:5], v[30:31], v[18:19] op_sel:[0,0,1] op_sel_hi:[1,0,0]
	v_pk_add_f32 v[16:17], v[16:17], v[22:23]
	v_mov_b32_e32 v21, v5
	v_pk_add_f32 v[4:5], v[16:17], v[20:21]
	s_waitcnt vmcnt(9)
	v_mov_b32_e32 v16, v33
	v_pk_mul_f32 v[16:17], v[6:7], v[16:17] op_sel_hi:[1,0]
	s_waitcnt vmcnt(8)
	v_pk_fma_f32 v[18:19], v[6:7], v[32:33], v[16:17] op_sel:[0,0,1] op_sel_hi:[1,1,0] neg_lo:[0,0,1] neg_hi:[0,0,1]
	v_pk_fma_f32 v[6:7], v[6:7], v[32:33], v[16:17] op_sel:[0,0,1] op_sel_hi:[1,0,0]
	s_waitcnt vmcnt(7)
	v_mov_b32_e32 v6, v35
	v_mov_b32_e32 v19, v7
	s_waitcnt lgkmcnt(1)
	v_pk_mul_f32 v[6:7], v[8:9], v[6:7] op_sel_hi:[1,0]
	s_waitcnt vmcnt(6)
	v_pk_fma_f32 v[16:17], v[8:9], v[34:35], v[6:7] op_sel:[0,0,1] op_sel_hi:[1,1,0] neg_lo:[0,0,1] neg_hi:[0,0,1]
	v_pk_fma_f32 v[6:7], v[8:9], v[34:35], v[6:7] op_sel:[0,0,1] op_sel_hi:[1,0,0]
	s_waitcnt vmcnt(5)
	v_mov_b32_e32 v6, v37
	v_mov_b32_e32 v17, v7
	v_pk_mul_f32 v[6:7], v[10:11], v[6:7] op_sel_hi:[1,0]
	s_waitcnt vmcnt(4)
	v_pk_fma_f32 v[8:9], v[10:11], v[36:37], v[6:7] op_sel:[0,0,1] op_sel_hi:[1,1,0] neg_lo:[0,0,1] neg_hi:[0,0,1]
	v_pk_fma_f32 v[6:7], v[10:11], v[36:37], v[6:7] op_sel:[0,0,1] op_sel_hi:[1,0,0]
	v_pk_add_f32 v[4:5], v[4:5], v[18:19]
	s_waitcnt vmcnt(3)
	v_mov_b32_e32 v6, v39
	v_pk_add_f32 v[4:5], v[4:5], v[16:17]
	v_mov_b32_e32 v9, v7
	s_waitcnt lgkmcnt(0)
	v_pk_mul_f32 v[6:7], v[12:13], v[6:7] op_sel_hi:[1,0]
	v_pk_add_f32 v[4:5], v[4:5], v[8:9]
	s_waitcnt vmcnt(2)
	v_pk_fma_f32 v[8:9], v[12:13], v[38:39], v[6:7] op_sel:[0,0,1] op_sel_hi:[1,1,0] neg_lo:[0,0,1] neg_hi:[0,0,1]
	v_pk_fma_f32 v[6:7], v[12:13], v[38:39], v[6:7] op_sel:[0,0,1] op_sel_hi:[1,0,0]
	s_waitcnt vmcnt(1)
	v_mov_b32_e32 v6, v41
	v_mov_b32_e32 v9, v7
	v_pk_mul_f32 v[6:7], v[14:15], v[6:7] op_sel_hi:[1,0]
	v_pk_add_f32 v[4:5], v[4:5], v[8:9]
	s_waitcnt vmcnt(0)
	v_pk_fma_f32 v[8:9], v[14:15], v[40:41], v[6:7] op_sel:[0,0,1] op_sel_hi:[1,1,0] neg_lo:[0,0,1] neg_hi:[0,0,1]
	v_pk_fma_f32 v[6:7], v[14:15], v[40:41], v[6:7] op_sel:[0,0,1] op_sel_hi:[1,0,0]
	v_mov_b32_e32 v9, v7
	v_pk_add_f32 v[4:5], v[4:5], v[8:9]
	v_pk_add_f32 v[2:3], v[2:3], v[4:5] neg_lo:[0,1] neg_hi:[0,1]
	buffer_store_dword v3, off, s[0:3], 0 offset:324
	buffer_store_dword v2, off, s[0:3], 0 offset:320
	s_and_saveexec_b64 s[4:5], vcc
	s_cbranch_execz .LBB54_265
; %bb.264:
	buffer_load_dword v2, off, s[0:3], 0 offset:312
	buffer_load_dword v3, off, s[0:3], 0 offset:316
	v_mov_b32_e32 v1, 0
	buffer_store_dword v1, off, s[0:3], 0 offset:312
	buffer_store_dword v1, off, s[0:3], 0 offset:316
	s_waitcnt vmcnt(2)
	ds_write_b64 v153, v[2:3]
.LBB54_265:
	s_or_b64 exec, exec, s[4:5]
	v_mov_b32_e32 v1, 0
	s_waitcnt lgkmcnt(0)
	; wave barrier
	s_waitcnt lgkmcnt(0)
	ds_read_b128 v[4:7], v1 offset:768
	ds_read_b128 v[8:11], v1 offset:784
	;; [unrolled: 1-line block ×4, first 2 shown]
	buffer_load_dword v2, off, s[0:3], 0 offset:312
	buffer_load_dword v3, off, s[0:3], 0 offset:316
	;; [unrolled: 1-line block ×32, first 2 shown]
	v_cmp_lt_u32_e32 vcc, 38, v0
	s_waitcnt vmcnt(28) lgkmcnt(3)
	v_mul_f32_e32 v21, v4, v22
	v_fmac_f32_e32 v21, v5, v20
	v_mul_f32_e32 v5, v5, v22
	s_waitcnt vmcnt(26)
	v_mul_f32_e32 v23, v6, v42
	v_fma_f32 v4, v4, v20, -v5
	v_mul_f32_e32 v5, v7, v42
	v_add_f32_e32 v21, 0, v21
	v_fmac_f32_e32 v23, v7, v24
	v_add_f32_e32 v4, 0, v4
	v_fma_f32 v5, v6, v24, -v5
	v_add_f32_e32 v21, v21, v23
	s_waitcnt vmcnt(24) lgkmcnt(2)
	v_mul_f32_e32 v23, v8, v44
	v_add_f32_e32 v4, v4, v5
	v_mul_f32_e32 v5, v9, v44
	v_fmac_f32_e32 v23, v9, v43
	v_fma_f32 v5, v8, v43, -v5
	v_add_f32_e32 v21, v21, v23
	s_waitcnt vmcnt(22)
	v_mul_f32_e32 v23, v10, v46
	v_add_f32_e32 v4, v4, v5
	v_mul_f32_e32 v5, v11, v46
	v_fmac_f32_e32 v23, v11, v45
	v_fma_f32 v5, v10, v45, -v5
	v_add_f32_e32 v21, v21, v23
	s_waitcnt vmcnt(20) lgkmcnt(1)
	v_mul_f32_e32 v23, v12, v48
	v_add_f32_e32 v4, v4, v5
	v_mul_f32_e32 v5, v13, v48
	v_fmac_f32_e32 v23, v13, v47
	v_fma_f32 v5, v12, v47, -v5
	v_add_f32_e32 v21, v21, v23
	s_waitcnt vmcnt(18)
	v_mul_f32_e32 v23, v14, v50
	v_add_f32_e32 v20, v4, v5
	v_mul_f32_e32 v4, v15, v50
	v_fmac_f32_e32 v23, v15, v49
	v_fma_f32 v22, v14, v49, -v4
	s_waitcnt vmcnt(16) lgkmcnt(0)
	v_mul_f32_e32 v25, v16, v52
	v_mul_f32_e32 v4, v17, v52
	v_pk_add_f32 v[20:21], v[20:21], v[22:23]
	s_waitcnt vmcnt(15)
	v_mov_b32_e32 v22, v27
	v_fmac_f32_e32 v25, v17, v51
	v_fma_f32 v24, v16, v51, -v4
	v_pk_mul_f32 v[22:23], v[18:19], v[22:23] op_sel_hi:[1,0]
	v_pk_add_f32 v[20:21], v[20:21], v[24:25]
	s_waitcnt vmcnt(14)
	v_pk_fma_f32 v[24:25], v[18:19], v[26:27], v[22:23] op_sel:[0,0,1] op_sel_hi:[1,1,0] neg_lo:[0,0,1] neg_hi:[0,0,1]
	v_pk_fma_f32 v[18:19], v[18:19], v[26:27], v[22:23] op_sel:[0,0,1] op_sel_hi:[1,0,0]
	ds_read_b128 v[4:7], v1 offset:832
	ds_read_b128 v[8:11], v1 offset:848
	;; [unrolled: 1-line block ×3, first 2 shown]
	ds_read_b64 v[16:17], v1 offset:880
	v_mov_b32_e32 v25, v19
	v_pk_add_f32 v[18:19], v[20:21], v[24:25]
	s_waitcnt vmcnt(13)
	v_mov_b32_e32 v20, v29
	s_waitcnt lgkmcnt(3)
	v_pk_mul_f32 v[20:21], v[4:5], v[20:21] op_sel_hi:[1,0]
	s_waitcnt vmcnt(12)
	v_pk_fma_f32 v[22:23], v[4:5], v[28:29], v[20:21] op_sel:[0,0,1] op_sel_hi:[1,1,0] neg_lo:[0,0,1] neg_hi:[0,0,1]
	v_pk_fma_f32 v[4:5], v[4:5], v[28:29], v[20:21] op_sel:[0,0,1] op_sel_hi:[1,0,0]
	v_mov_b32_e32 v23, v5
	v_pk_add_f32 v[4:5], v[18:19], v[22:23]
	s_waitcnt vmcnt(11)
	v_mov_b32_e32 v18, v31
	v_pk_mul_f32 v[18:19], v[6:7], v[18:19] op_sel_hi:[1,0]
	s_waitcnt vmcnt(10)
	v_pk_fma_f32 v[20:21], v[6:7], v[30:31], v[18:19] op_sel:[0,0,1] op_sel_hi:[1,1,0] neg_lo:[0,0,1] neg_hi:[0,0,1]
	v_pk_fma_f32 v[6:7], v[6:7], v[30:31], v[18:19] op_sel:[0,0,1] op_sel_hi:[1,0,0]
	s_waitcnt vmcnt(9)
	v_mov_b32_e32 v6, v33
	v_mov_b32_e32 v21, v7
	s_waitcnt lgkmcnt(2)
	v_pk_mul_f32 v[6:7], v[8:9], v[6:7] op_sel_hi:[1,0]
	s_waitcnt vmcnt(8)
	v_pk_fma_f32 v[18:19], v[8:9], v[32:33], v[6:7] op_sel:[0,0,1] op_sel_hi:[1,1,0] neg_lo:[0,0,1] neg_hi:[0,0,1]
	v_pk_fma_f32 v[6:7], v[8:9], v[32:33], v[6:7] op_sel:[0,0,1] op_sel_hi:[1,0,0]
	s_waitcnt vmcnt(7)
	v_mov_b32_e32 v6, v35
	v_mov_b32_e32 v19, v7
	v_pk_mul_f32 v[6:7], v[10:11], v[6:7] op_sel_hi:[1,0]
	s_waitcnt vmcnt(6)
	v_pk_fma_f32 v[8:9], v[10:11], v[34:35], v[6:7] op_sel:[0,0,1] op_sel_hi:[1,1,0] neg_lo:[0,0,1] neg_hi:[0,0,1]
	v_pk_fma_f32 v[6:7], v[10:11], v[34:35], v[6:7] op_sel:[0,0,1] op_sel_hi:[1,0,0]
	v_pk_add_f32 v[4:5], v[4:5], v[20:21]
	s_waitcnt vmcnt(5)
	v_mov_b32_e32 v6, v37
	v_pk_add_f32 v[4:5], v[4:5], v[18:19]
	v_mov_b32_e32 v9, v7
	s_waitcnt lgkmcnt(1)
	v_pk_mul_f32 v[6:7], v[12:13], v[6:7] op_sel_hi:[1,0]
	v_pk_add_f32 v[4:5], v[4:5], v[8:9]
	s_waitcnt vmcnt(4)
	v_pk_fma_f32 v[8:9], v[12:13], v[36:37], v[6:7] op_sel:[0,0,1] op_sel_hi:[1,1,0] neg_lo:[0,0,1] neg_hi:[0,0,1]
	v_pk_fma_f32 v[6:7], v[12:13], v[36:37], v[6:7] op_sel:[0,0,1] op_sel_hi:[1,0,0]
	s_waitcnt vmcnt(3)
	v_mov_b32_e32 v6, v39
	v_mov_b32_e32 v9, v7
	v_pk_mul_f32 v[6:7], v[14:15], v[6:7] op_sel_hi:[1,0]
	v_pk_add_f32 v[4:5], v[4:5], v[8:9]
	s_waitcnt vmcnt(2)
	v_pk_fma_f32 v[8:9], v[14:15], v[38:39], v[6:7] op_sel:[0,0,1] op_sel_hi:[1,1,0] neg_lo:[0,0,1] neg_hi:[0,0,1]
	v_pk_fma_f32 v[6:7], v[14:15], v[38:39], v[6:7] op_sel:[0,0,1] op_sel_hi:[1,0,0]
	s_waitcnt vmcnt(1)
	v_mov_b32_e32 v6, v41
	v_mov_b32_e32 v9, v7
	s_waitcnt lgkmcnt(0)
	v_pk_mul_f32 v[6:7], v[16:17], v[6:7] op_sel_hi:[1,0]
	v_pk_add_f32 v[4:5], v[4:5], v[8:9]
	s_waitcnt vmcnt(0)
	v_pk_fma_f32 v[8:9], v[16:17], v[40:41], v[6:7] op_sel:[0,0,1] op_sel_hi:[1,1,0] neg_lo:[0,0,1] neg_hi:[0,0,1]
	v_pk_fma_f32 v[6:7], v[16:17], v[40:41], v[6:7] op_sel:[0,0,1] op_sel_hi:[1,0,0]
	v_mov_b32_e32 v9, v7
	v_pk_add_f32 v[4:5], v[4:5], v[8:9]
	v_pk_add_f32 v[2:3], v[2:3], v[4:5] neg_lo:[0,1] neg_hi:[0,1]
	buffer_store_dword v3, off, s[0:3], 0 offset:316
	buffer_store_dword v2, off, s[0:3], 0 offset:312
	s_and_saveexec_b64 s[4:5], vcc
	s_cbranch_execz .LBB54_267
; %bb.266:
	buffer_load_dword v2, off, s[0:3], 0 offset:304
	buffer_load_dword v3, off, s[0:3], 0 offset:308
	s_waitcnt vmcnt(0)
	ds_write_b64 v153, v[2:3]
	buffer_store_dword v1, off, s[0:3], 0 offset:304
	buffer_store_dword v1, off, s[0:3], 0 offset:308
.LBB54_267:
	s_or_b64 exec, exec, s[4:5]
	s_waitcnt lgkmcnt(0)
	; wave barrier
	s_waitcnt lgkmcnt(0)
	buffer_load_dword v52, off, s[0:3], 0 offset:316
	buffer_load_dword v54, off, s[0:3], 0 offset:324
	;; [unrolled: 1-line block ×32, first 2 shown]
	ds_read2_b64 v[2:5], v1 offset0:95 offset1:96
	ds_read2_b64 v[6:9], v1 offset0:97 offset1:98
	;; [unrolled: 1-line block ×4, first 2 shown]
	buffer_load_dword v51, off, s[0:3], 0 offset:436
	buffer_load_dword v50, off, s[0:3], 0 offset:432
	ds_read2_b64 v[18:21], v1 offset0:103 offset1:104
	ds_read2_b64 v[22:25], v1 offset0:105 offset1:106
	;; [unrolled: 1-line block ×4, first 2 shown]
	v_cmp_lt_u32_e32 vcc, 37, v0
	s_waitcnt vmcnt(33) lgkmcnt(7)
	v_mul_f32_e32 v1, v2, v52
	v_mul_f32_e32 v52, v3, v52
	s_waitcnt vmcnt(32)
	v_mul_f32_e32 v70, v4, v54
	v_mul_f32_e32 v54, v5, v54
	s_waitcnt vmcnt(31) lgkmcnt(6)
	v_mul_f32_e32 v71, v6, v56
	v_mul_f32_e32 v56, v7, v56
	s_waitcnt vmcnt(30)
	v_mul_f32_e32 v72, v8, v57
	v_mul_f32_e32 v57, v9, v57
	s_waitcnt vmcnt(25)
	v_fmac_f32_e32 v1, v3, v62
	v_fma_f32 v2, v2, v62, -v52
	s_waitcnt vmcnt(24)
	v_fmac_f32_e32 v70, v5, v63
	v_fma_f32 v3, v4, v63, -v54
	v_add_f32_e32 v1, 0, v1
	v_add_f32_e32 v2, 0, v2
	s_waitcnt vmcnt(23)
	v_fmac_f32_e32 v71, v7, v64
	v_fma_f32 v4, v6, v64, -v56
	v_add_f32_e32 v1, v1, v70
	v_add_f32_e32 v2, v2, v3
	s_waitcnt lgkmcnt(5)
	v_mul_f32_e32 v73, v10, v58
	v_mul_f32_e32 v58, v11, v58
	s_waitcnt vmcnt(22)
	v_fmac_f32_e32 v72, v9, v65
	v_fma_f32 v5, v8, v65, -v57
	v_add_f32_e32 v1, v1, v71
	v_add_f32_e32 v2, v2, v4
	v_mul_f32_e32 v74, v12, v59
	v_mul_f32_e32 v59, v13, v59
	s_waitcnt vmcnt(21)
	v_fmac_f32_e32 v73, v11, v66
	v_fma_f32 v6, v10, v66, -v58
	v_add_f32_e32 v1, v1, v72
	v_add_f32_e32 v2, v2, v5
	s_waitcnt vmcnt(17)
	v_mov_b32_e32 v4, v35
	s_waitcnt lgkmcnt(4)
	v_mul_f32_e32 v53, v14, v60
	v_mul_f32_e32 v60, v15, v60
	v_fmac_f32_e32 v74, v13, v67
	v_fma_f32 v7, v12, v67, -v59
	v_add_f32_e32 v1, v1, v73
	v_add_f32_e32 v2, v2, v6
	s_waitcnt lgkmcnt(3)
	v_pk_mul_f32 v[4:5], v[18:19], v[4:5] op_sel_hi:[1,0]
	v_mul_f32_e32 v55, v16, v61
	v_mul_f32_e32 v61, v17, v61
	v_fmac_f32_e32 v53, v15, v68
	v_fma_f32 v52, v14, v68, -v60
	v_add_f32_e32 v3, v1, v74
	v_add_f32_e32 v2, v2, v7
	s_waitcnt vmcnt(14)
	v_pk_fma_f32 v[6:7], v[18:19], v[34:35], v[4:5] op_sel:[0,0,1] op_sel_hi:[1,1,0] neg_lo:[0,0,1] neg_hi:[0,0,1]
	v_pk_fma_f32 v[4:5], v[18:19], v[34:35], v[4:5] op_sel:[0,0,1] op_sel_hi:[1,0,0]
	v_fmac_f32_e32 v55, v17, v69
	v_fma_f32 v54, v16, v69, -v61
	v_pk_add_f32 v[2:3], v[2:3], v[52:53]
	s_waitcnt vmcnt(13)
	v_mov_b32_e32 v4, v39
	v_pk_add_f32 v[2:3], v[2:3], v[54:55]
	v_mov_b32_e32 v7, v5
	v_pk_mul_f32 v[4:5], v[20:21], v[4:5] op_sel_hi:[1,0]
	v_pk_add_f32 v[2:3], v[2:3], v[6:7]
	v_pk_fma_f32 v[6:7], v[20:21], v[38:39], v[4:5] op_sel:[0,0,1] op_sel_hi:[1,1,0] neg_lo:[0,0,1] neg_hi:[0,0,1]
	v_pk_fma_f32 v[4:5], v[20:21], v[38:39], v[4:5] op_sel:[0,0,1] op_sel_hi:[1,0,0]
	s_waitcnt vmcnt(12)
	v_mov_b32_e32 v4, v37
	v_mov_b32_e32 v7, v5
	s_waitcnt lgkmcnt(2)
	v_pk_mul_f32 v[4:5], v[22:23], v[4:5] op_sel_hi:[1,0]
	v_pk_add_f32 v[2:3], v[2:3], v[6:7]
	v_pk_fma_f32 v[6:7], v[22:23], v[36:37], v[4:5] op_sel:[0,0,1] op_sel_hi:[1,1,0] neg_lo:[0,0,1] neg_hi:[0,0,1]
	v_pk_fma_f32 v[4:5], v[22:23], v[36:37], v[4:5] op_sel:[0,0,1] op_sel_hi:[1,0,0]
	s_waitcnt vmcnt(11)
	v_mov_b32_e32 v4, v41
	v_mov_b32_e32 v7, v5
	v_pk_mul_f32 v[4:5], v[24:25], v[4:5] op_sel_hi:[1,0]
	v_pk_add_f32 v[2:3], v[2:3], v[6:7]
	s_waitcnt vmcnt(5)
	v_pk_fma_f32 v[6:7], v[24:25], v[40:41], v[4:5] op_sel:[0,0,1] op_sel_hi:[1,1,0] neg_lo:[0,0,1] neg_hi:[0,0,1]
	v_pk_fma_f32 v[4:5], v[24:25], v[40:41], v[4:5] op_sel:[0,0,1] op_sel_hi:[1,0,0]
	v_mov_b32_e32 v4, v47
	v_mov_b32_e32 v7, v5
	s_waitcnt lgkmcnt(1)
	v_pk_mul_f32 v[4:5], v[26:27], v[4:5] op_sel_hi:[1,0]
	v_pk_add_f32 v[2:3], v[2:3], v[6:7]
	v_pk_fma_f32 v[6:7], v[26:27], v[46:47], v[4:5] op_sel:[0,0,1] op_sel_hi:[1,1,0] neg_lo:[0,0,1] neg_hi:[0,0,1]
	v_pk_fma_f32 v[4:5], v[26:27], v[46:47], v[4:5] op_sel:[0,0,1] op_sel_hi:[1,0,0]
	v_mov_b32_e32 v4, v45
	v_mov_b32_e32 v7, v5
	v_pk_mul_f32 v[4:5], v[28:29], v[4:5] op_sel_hi:[1,0]
	v_pk_add_f32 v[2:3], v[2:3], v[6:7]
	v_pk_fma_f32 v[6:7], v[28:29], v[44:45], v[4:5] op_sel:[0,0,1] op_sel_hi:[1,1,0] neg_lo:[0,0,1] neg_hi:[0,0,1]
	v_pk_fma_f32 v[4:5], v[28:29], v[44:45], v[4:5] op_sel:[0,0,1] op_sel_hi:[1,0,0]
	s_waitcnt vmcnt(2)
	v_mov_b32_e32 v4, v43
	v_mov_b32_e32 v7, v5
	s_waitcnt lgkmcnt(0)
	v_pk_mul_f32 v[4:5], v[30:31], v[4:5] op_sel_hi:[1,0]
	v_pk_add_f32 v[2:3], v[2:3], v[6:7]
	v_pk_fma_f32 v[6:7], v[30:31], v[42:43], v[4:5] op_sel:[0,0,1] op_sel_hi:[1,1,0] neg_lo:[0,0,1] neg_hi:[0,0,1]
	v_pk_fma_f32 v[4:5], v[30:31], v[42:43], v[4:5] op_sel:[0,0,1] op_sel_hi:[1,0,0]
	s_waitcnt vmcnt(1)
	v_mov_b32_e32 v4, v51
	v_mov_b32_e32 v7, v5
	v_pk_mul_f32 v[4:5], v[32:33], v[4:5] op_sel_hi:[1,0]
	v_pk_add_f32 v[2:3], v[2:3], v[6:7]
	s_waitcnt vmcnt(0)
	v_pk_fma_f32 v[6:7], v[32:33], v[50:51], v[4:5] op_sel:[0,0,1] op_sel_hi:[1,1,0] neg_lo:[0,0,1] neg_hi:[0,0,1]
	v_pk_fma_f32 v[4:5], v[32:33], v[50:51], v[4:5] op_sel:[0,0,1] op_sel_hi:[1,0,0]
	v_mov_b32_e32 v7, v5
	v_pk_add_f32 v[2:3], v[2:3], v[6:7]
	v_pk_add_f32 v[2:3], v[48:49], v[2:3] neg_lo:[0,1] neg_hi:[0,1]
	buffer_store_dword v3, off, s[0:3], 0 offset:308
	buffer_store_dword v2, off, s[0:3], 0 offset:304
	s_and_saveexec_b64 s[4:5], vcc
	s_cbranch_execz .LBB54_269
; %bb.268:
	buffer_load_dword v2, off, s[0:3], 0 offset:296
	buffer_load_dword v3, off, s[0:3], 0 offset:300
	v_mov_b32_e32 v1, 0
	buffer_store_dword v1, off, s[0:3], 0 offset:296
	buffer_store_dword v1, off, s[0:3], 0 offset:300
	s_waitcnt vmcnt(2)
	ds_write_b64 v153, v[2:3]
.LBB54_269:
	s_or_b64 exec, exec, s[4:5]
	s_waitcnt lgkmcnt(0)
	; wave barrier
	s_waitcnt lgkmcnt(0)
	buffer_load_dword v44, off, s[0:3], 0 offset:308
	buffer_load_dword v46, off, s[0:3], 0 offset:316
	;; [unrolled: 1-line block ×36, first 2 shown]
	v_mov_b32_e32 v1, 0
	ds_read_b128 v[2:5], v1 offset:752
	ds_read_b128 v[6:9], v1 offset:768
	;; [unrolled: 1-line block ×6, first 2 shown]
	v_cmp_lt_u32_e32 vcc, 36, v0
	s_waitcnt vmcnt(35) lgkmcnt(5)
	v_mul_f32_e32 v64, v2, v44
	s_waitcnt vmcnt(34)
	v_mul_f32_e32 v65, v4, v46
	v_mul_f32_e32 v44, v3, v44
	s_waitcnt vmcnt(32) lgkmcnt(4)
	v_mul_f32_e32 v67, v8, v49
	v_mul_f32_e32 v49, v9, v49
	;; [unrolled: 1-line block ×5, first 2 shown]
	s_waitcnt vmcnt(31) lgkmcnt(3)
	v_mul_f32_e32 v68, v10, v50
	s_waitcnt vmcnt(26)
	v_fmac_f32_e32 v64, v3, v55
	s_waitcnt vmcnt(25)
	v_fmac_f32_e32 v65, v5, v56
	v_fma_f32 v2, v2, v55, -v44
	s_waitcnt vmcnt(23)
	v_fma_f32 v5, v8, v58, -v49
	v_add_f32_e32 v8, 0, v64
	v_fmac_f32_e32 v66, v7, v57
	v_fma_f32 v3, v4, v56, -v46
	v_add_f32_e32 v2, 0, v2
	v_add_f32_e32 v8, v8, v65
	v_fmac_f32_e32 v67, v9, v58
	v_fma_f32 v4, v6, v57, -v48
	v_add_f32_e32 v2, v2, v3
	v_add_f32_e32 v3, v8, v66
	v_mul_f32_e32 v69, v12, v51
	v_mul_f32_e32 v50, v11, v50
	s_waitcnt vmcnt(22)
	v_fmac_f32_e32 v68, v11, v59
	v_add_f32_e32 v2, v2, v4
	v_add_f32_e32 v3, v3, v67
	s_waitcnt lgkmcnt(2)
	v_mul_f32_e32 v70, v14, v52
	v_mul_f32_e32 v51, v13, v51
	s_waitcnt vmcnt(21)
	v_fmac_f32_e32 v69, v13, v60
	v_fma_f32 v6, v10, v59, -v50
	v_add_f32_e32 v2, v2, v5
	v_add_f32_e32 v3, v3, v68
	v_mul_f32_e32 v52, v15, v52
	s_waitcnt vmcnt(20)
	v_fmac_f32_e32 v70, v15, v61
	v_fma_f32 v7, v12, v60, -v51
	v_add_f32_e32 v2, v2, v6
	v_add_f32_e32 v3, v3, v69
	;; [unrolled: 1-line block ×4, first 2 shown]
	v_fma_f32 v3, v14, v61, -v52
	s_waitcnt vmcnt(17)
	v_mov_b32_e32 v14, v27
	v_mul_f32_e32 v45, v16, v53
	v_add_f32_e32 v10, v2, v3
	v_mul_f32_e32 v2, v17, v53
	s_waitcnt lgkmcnt(1)
	v_pk_mul_f32 v[14:15], v[20:21], v[14:15] op_sel_hi:[1,0]
	v_mul_f32_e32 v47, v18, v54
	v_fmac_f32_e32 v45, v17, v62
	v_fma_f32 v44, v16, v62, -v2
	v_mul_f32_e32 v2, v19, v54
	s_waitcnt vmcnt(15)
	v_pk_fma_f32 v[16:17], v[20:21], v[26:27], v[14:15] op_sel:[0,0,1] op_sel_hi:[1,1,0] neg_lo:[0,0,1] neg_hi:[0,0,1]
	v_pk_fma_f32 v[14:15], v[20:21], v[26:27], v[14:15] op_sel:[0,0,1] op_sel_hi:[1,0,0]
	v_fmac_f32_e32 v47, v19, v63
	v_fma_f32 v46, v18, v63, -v2
	v_pk_add_f32 v[10:11], v[10:11], v[44:45]
	s_waitcnt vmcnt(12)
	v_mov_b32_e32 v14, v29
	v_pk_add_f32 v[10:11], v[10:11], v[46:47]
	v_mov_b32_e32 v17, v15
	s_waitcnt lgkmcnt(0)
	v_pk_mul_f32 v[14:15], v[22:23], v[14:15] op_sel_hi:[1,0]
	v_pk_add_f32 v[10:11], v[10:11], v[16:17]
	v_pk_fma_f32 v[16:17], v[22:23], v[28:29], v[14:15] op_sel:[0,0,1] op_sel_hi:[1,1,0] neg_lo:[0,0,1] neg_hi:[0,0,1]
	v_pk_fma_f32 v[14:15], v[22:23], v[28:29], v[14:15] op_sel:[0,0,1] op_sel_hi:[1,0,0]
	s_waitcnt vmcnt(11)
	v_mov_b32_e32 v14, v33
	ds_read_b128 v[2:5], v1 offset:848
	ds_read_b128 v[6:9], v1 offset:864
	ds_read_b64 v[12:13], v1 offset:880
	v_mov_b32_e32 v17, v15
	v_pk_mul_f32 v[14:15], v[24:25], v[14:15] op_sel_hi:[1,0]
	v_pk_add_f32 v[10:11], v[10:11], v[16:17]
	s_waitcnt vmcnt(4)
	v_pk_fma_f32 v[16:17], v[24:25], v[32:33], v[14:15] op_sel:[0,0,1] op_sel_hi:[1,1,0] neg_lo:[0,0,1] neg_hi:[0,0,1]
	v_pk_fma_f32 v[14:15], v[24:25], v[32:33], v[14:15] op_sel:[0,0,1] op_sel_hi:[1,0,0]
	v_mov_b32_e32 v14, v39
	v_mov_b32_e32 v17, v15
	s_waitcnt lgkmcnt(2)
	v_pk_mul_f32 v[14:15], v[2:3], v[14:15] op_sel_hi:[1,0]
	v_pk_add_f32 v[10:11], v[10:11], v[16:17]
	v_pk_fma_f32 v[16:17], v[2:3], v[38:39], v[14:15] op_sel:[0,0,1] op_sel_hi:[1,1,0] neg_lo:[0,0,1] neg_hi:[0,0,1]
	v_pk_fma_f32 v[2:3], v[2:3], v[38:39], v[14:15] op_sel:[0,0,1] op_sel_hi:[1,0,0]
	v_mov_b32_e32 v17, v3
	v_pk_add_f32 v[2:3], v[10:11], v[16:17]
	v_mov_b32_e32 v10, v37
	v_pk_mul_f32 v[10:11], v[4:5], v[10:11] op_sel_hi:[1,0]
	v_pk_fma_f32 v[14:15], v[4:5], v[36:37], v[10:11] op_sel:[0,0,1] op_sel_hi:[1,1,0] neg_lo:[0,0,1] neg_hi:[0,0,1]
	v_pk_fma_f32 v[4:5], v[4:5], v[36:37], v[10:11] op_sel:[0,0,1] op_sel_hi:[1,0,0]
	v_mov_b32_e32 v4, v35
	v_mov_b32_e32 v15, v5
	s_waitcnt lgkmcnt(1)
	v_pk_mul_f32 v[4:5], v[6:7], v[4:5] op_sel_hi:[1,0]
	v_pk_fma_f32 v[10:11], v[6:7], v[34:35], v[4:5] op_sel:[0,0,1] op_sel_hi:[1,1,0] neg_lo:[0,0,1] neg_hi:[0,0,1]
	v_pk_fma_f32 v[4:5], v[6:7], v[34:35], v[4:5] op_sel:[0,0,1] op_sel_hi:[1,0,0]
	s_waitcnt vmcnt(1)
	v_mov_b32_e32 v4, v43
	v_mov_b32_e32 v11, v5
	v_pk_mul_f32 v[4:5], v[8:9], v[4:5] op_sel_hi:[1,0]
	s_waitcnt vmcnt(0)
	v_pk_fma_f32 v[6:7], v[8:9], v[42:43], v[4:5] op_sel:[0,0,1] op_sel_hi:[1,1,0] neg_lo:[0,0,1] neg_hi:[0,0,1]
	v_pk_fma_f32 v[4:5], v[8:9], v[42:43], v[4:5] op_sel:[0,0,1] op_sel_hi:[1,0,0]
	v_pk_add_f32 v[2:3], v[2:3], v[14:15]
	v_mov_b32_e32 v4, v41
	v_pk_add_f32 v[2:3], v[2:3], v[10:11]
	v_mov_b32_e32 v7, v5
	s_waitcnt lgkmcnt(0)
	v_pk_mul_f32 v[4:5], v[12:13], v[4:5] op_sel_hi:[1,0]
	v_pk_add_f32 v[2:3], v[2:3], v[6:7]
	v_pk_fma_f32 v[6:7], v[12:13], v[40:41], v[4:5] op_sel:[0,0,1] op_sel_hi:[1,1,0] neg_lo:[0,0,1] neg_hi:[0,0,1]
	v_pk_fma_f32 v[4:5], v[12:13], v[40:41], v[4:5] op_sel:[0,0,1] op_sel_hi:[1,0,0]
	v_mov_b32_e32 v7, v5
	v_pk_add_f32 v[2:3], v[2:3], v[6:7]
	v_pk_add_f32 v[2:3], v[30:31], v[2:3] neg_lo:[0,1] neg_hi:[0,1]
	buffer_store_dword v3, off, s[0:3], 0 offset:300
	buffer_store_dword v2, off, s[0:3], 0 offset:296
	s_and_saveexec_b64 s[4:5], vcc
	s_cbranch_execz .LBB54_271
; %bb.270:
	buffer_load_dword v2, off, s[0:3], 0 offset:288
	buffer_load_dword v3, off, s[0:3], 0 offset:292
	s_waitcnt vmcnt(0)
	ds_write_b64 v153, v[2:3]
	buffer_store_dword v1, off, s[0:3], 0 offset:288
	buffer_store_dword v1, off, s[0:3], 0 offset:292
.LBB54_271:
	s_or_b64 exec, exec, s[4:5]
	s_waitcnt lgkmcnt(0)
	; wave barrier
	s_waitcnt lgkmcnt(0)
	buffer_load_dword v44, off, s[0:3], 0 offset:300
	buffer_load_dword v46, off, s[0:3], 0 offset:308
	;; [unrolled: 1-line block ×22, first 2 shown]
	ds_read2_b64 v[2:5], v1 offset0:93 offset1:94
	ds_read2_b64 v[6:9], v1 offset0:95 offset1:96
	buffer_load_dword v29, off, s[0:3], 0 offset:380
	buffer_load_dword v28, off, s[0:3], 0 offset:376
	;; [unrolled: 1-line block ×10, first 2 shown]
	ds_read2_b64 v[10:13], v1 offset0:97 offset1:98
	ds_read2_b64 v[14:17], v1 offset0:99 offset1:100
	;; [unrolled: 1-line block ×4, first 2 shown]
	buffer_load_dword v39, off, s[0:3], 0 offset:436
	buffer_load_dword v38, off, s[0:3], 0 offset:432
	;; [unrolled: 1-line block ×6, first 2 shown]
	v_cmp_lt_u32_e32 vcc, 35, v0
	s_waitcnt vmcnt(37) lgkmcnt(5)
	v_mul_f32_e32 v66, v2, v44
	s_waitcnt vmcnt(36)
	v_mul_f32_e32 v67, v4, v46
	s_waitcnt vmcnt(35) lgkmcnt(4)
	v_mul_f32_e32 v68, v6, v48
	v_mul_f32_e32 v44, v3, v44
	;; [unrolled: 1-line block ×4, first 2 shown]
	s_waitcnt vmcnt(34)
	v_mul_f32_e32 v69, v8, v49
	s_waitcnt vmcnt(33) lgkmcnt(3)
	v_mul_f32_e32 v70, v10, v50
	s_waitcnt vmcnt(32)
	v_mul_f32_e32 v71, v12, v51
	s_waitcnt vmcnt(31) lgkmcnt(2)
	v_mul_f32_e32 v72, v14, v52
	s_waitcnt vmcnt(27)
	v_fmac_f32_e32 v66, v3, v56
	s_waitcnt vmcnt(26)
	v_fmac_f32_e32 v67, v5, v57
	;; [unrolled: 2-line block ×3, first 2 shown]
	v_fma_f32 v2, v2, v56, -v44
	v_add_f32_e32 v7, 0, v66
	v_fma_f32 v3, v4, v57, -v46
	v_add_f32_e32 v2, 0, v2
	v_add_f32_e32 v7, v7, v67
	s_waitcnt vmcnt(24)
	v_fmac_f32_e32 v69, v9, v59
	v_add_f32_e32 v2, v2, v3
	v_add_f32_e32 v3, v7, v68
	s_waitcnt vmcnt(23)
	v_fmac_f32_e32 v70, v11, v60
	v_add_f32_e32 v3, v3, v69
	v_mul_f32_e32 v49, v9, v49
	s_waitcnt vmcnt(22)
	v_fmac_f32_e32 v71, v13, v61
	v_fma_f32 v4, v6, v58, -v48
	v_add_f32_e32 v3, v3, v70
	v_mul_f32_e32 v73, v16, v53
	v_mul_f32_e32 v50, v11, v50
	s_waitcnt vmcnt(21)
	v_fmac_f32_e32 v72, v15, v62
	v_fma_f32 v5, v8, v59, -v49
	v_add_f32_e32 v2, v2, v4
	v_add_f32_e32 v3, v3, v71
	v_mul_f32_e32 v51, v13, v51
	s_waitcnt vmcnt(20)
	v_fmac_f32_e32 v73, v17, v63
	v_fma_f32 v6, v10, v60, -v50
	v_add_f32_e32 v2, v2, v5
	v_add_f32_e32 v3, v3, v72
	;; [unrolled: 1-line block ×4, first 2 shown]
	v_fma_f32 v3, v12, v61, -v51
	v_add_f32_e32 v2, v2, v3
	v_mul_f32_e32 v3, v15, v52
	v_fma_f32 v3, v14, v62, -v3
	v_add_f32_e32 v2, v2, v3
	v_mul_f32_e32 v3, v17, v53
	v_fma_f32 v3, v16, v63, -v3
	s_waitcnt vmcnt(15)
	v_mov_b32_e32 v16, v29
	s_waitcnt lgkmcnt(1)
	v_mul_f32_e32 v45, v18, v54
	v_add_f32_e32 v48, v2, v3
	v_mul_f32_e32 v2, v19, v54
	s_waitcnt lgkmcnt(0)
	v_pk_mul_f32 v[16:17], v[22:23], v[16:17] op_sel_hi:[1,0]
	v_mul_f32_e32 v47, v20, v55
	v_fmac_f32_e32 v45, v19, v64
	v_fma_f32 v44, v18, v64, -v2
	v_mul_f32_e32 v2, v21, v55
	s_waitcnt vmcnt(14)
	v_pk_fma_f32 v[18:19], v[22:23], v[28:29], v[16:17] op_sel:[0,0,1] op_sel_hi:[1,1,0] neg_lo:[0,0,1] neg_hi:[0,0,1]
	v_pk_fma_f32 v[16:17], v[22:23], v[28:29], v[16:17] op_sel:[0,0,1] op_sel_hi:[1,0,0]
	v_fmac_f32_e32 v47, v21, v65
	v_fma_f32 v46, v20, v65, -v2
	v_pk_add_f32 v[14:15], v[48:49], v[44:45]
	s_waitcnt vmcnt(13)
	v_mov_b32_e32 v16, v31
	ds_read2_b64 v[2:5], v1 offset0:105 offset1:106
	ds_read2_b64 v[6:9], v1 offset0:107 offset1:108
	;; [unrolled: 1-line block ×3, first 2 shown]
	v_pk_add_f32 v[14:15], v[14:15], v[46:47]
	v_mov_b32_e32 v19, v17
	v_pk_mul_f32 v[16:17], v[24:25], v[16:17] op_sel_hi:[1,0]
	v_pk_add_f32 v[14:15], v[14:15], v[18:19]
	s_waitcnt vmcnt(6)
	v_pk_fma_f32 v[18:19], v[24:25], v[30:31], v[16:17] op_sel:[0,0,1] op_sel_hi:[1,1,0] neg_lo:[0,0,1] neg_hi:[0,0,1]
	v_pk_fma_f32 v[16:17], v[24:25], v[30:31], v[16:17] op_sel:[0,0,1] op_sel_hi:[1,0,0]
	v_mov_b32_e32 v16, v37
	v_mov_b32_e32 v19, v17
	s_waitcnt lgkmcnt(2)
	v_pk_mul_f32 v[16:17], v[2:3], v[16:17] op_sel_hi:[1,0]
	v_pk_add_f32 v[14:15], v[14:15], v[18:19]
	v_pk_fma_f32 v[18:19], v[2:3], v[36:37], v[16:17] op_sel:[0,0,1] op_sel_hi:[1,1,0] neg_lo:[0,0,1] neg_hi:[0,0,1]
	v_pk_fma_f32 v[2:3], v[2:3], v[36:37], v[16:17] op_sel:[0,0,1] op_sel_hi:[1,0,0]
	v_mov_b32_e32 v19, v3
	v_pk_add_f32 v[2:3], v[14:15], v[18:19]
	v_mov_b32_e32 v14, v35
	v_pk_mul_f32 v[14:15], v[4:5], v[14:15] op_sel_hi:[1,0]
	v_pk_fma_f32 v[16:17], v[4:5], v[34:35], v[14:15] op_sel:[0,0,1] op_sel_hi:[1,1,0] neg_lo:[0,0,1] neg_hi:[0,0,1]
	v_pk_fma_f32 v[4:5], v[4:5], v[34:35], v[14:15] op_sel:[0,0,1] op_sel_hi:[1,0,0]
	v_mov_b32_e32 v4, v33
	v_mov_b32_e32 v17, v5
	s_waitcnt lgkmcnt(1)
	v_pk_mul_f32 v[4:5], v[6:7], v[4:5] op_sel_hi:[1,0]
	v_pk_fma_f32 v[14:15], v[6:7], v[32:33], v[4:5] op_sel:[0,0,1] op_sel_hi:[1,1,0] neg_lo:[0,0,1] neg_hi:[0,0,1]
	v_pk_fma_f32 v[4:5], v[6:7], v[32:33], v[4:5] op_sel:[0,0,1] op_sel_hi:[1,0,0]
	s_waitcnt vmcnt(1)
	v_mov_b32_e32 v4, v43
	v_mov_b32_e32 v15, v5
	v_pk_mul_f32 v[4:5], v[8:9], v[4:5] op_sel_hi:[1,0]
	s_waitcnt vmcnt(0)
	v_pk_fma_f32 v[6:7], v[8:9], v[42:43], v[4:5] op_sel:[0,0,1] op_sel_hi:[1,1,0] neg_lo:[0,0,1] neg_hi:[0,0,1]
	v_pk_fma_f32 v[4:5], v[8:9], v[42:43], v[4:5] op_sel:[0,0,1] op_sel_hi:[1,0,0]
	v_pk_add_f32 v[2:3], v[2:3], v[16:17]
	v_mov_b32_e32 v4, v41
	v_pk_add_f32 v[2:3], v[2:3], v[14:15]
	v_mov_b32_e32 v7, v5
	s_waitcnt lgkmcnt(0)
	v_pk_mul_f32 v[4:5], v[10:11], v[4:5] op_sel_hi:[1,0]
	v_pk_add_f32 v[2:3], v[2:3], v[6:7]
	v_pk_fma_f32 v[6:7], v[10:11], v[40:41], v[4:5] op_sel:[0,0,1] op_sel_hi:[1,1,0] neg_lo:[0,0,1] neg_hi:[0,0,1]
	v_pk_fma_f32 v[4:5], v[10:11], v[40:41], v[4:5] op_sel:[0,0,1] op_sel_hi:[1,0,0]
	v_mov_b32_e32 v4, v39
	v_mov_b32_e32 v7, v5
	v_pk_mul_f32 v[4:5], v[12:13], v[4:5] op_sel_hi:[1,0]
	v_pk_add_f32 v[2:3], v[2:3], v[6:7]
	v_pk_fma_f32 v[6:7], v[12:13], v[38:39], v[4:5] op_sel:[0,0,1] op_sel_hi:[1,1,0] neg_lo:[0,0,1] neg_hi:[0,0,1]
	v_pk_fma_f32 v[4:5], v[12:13], v[38:39], v[4:5] op_sel:[0,0,1] op_sel_hi:[1,0,0]
	v_mov_b32_e32 v7, v5
	v_pk_add_f32 v[2:3], v[2:3], v[6:7]
	v_pk_add_f32 v[2:3], v[26:27], v[2:3] neg_lo:[0,1] neg_hi:[0,1]
	buffer_store_dword v3, off, s[0:3], 0 offset:292
	buffer_store_dword v2, off, s[0:3], 0 offset:288
	s_and_saveexec_b64 s[4:5], vcc
	s_cbranch_execz .LBB54_273
; %bb.272:
	buffer_load_dword v2, off, s[0:3], 0 offset:280
	buffer_load_dword v3, off, s[0:3], 0 offset:284
	v_mov_b32_e32 v1, 0
	buffer_store_dword v1, off, s[0:3], 0 offset:280
	buffer_store_dword v1, off, s[0:3], 0 offset:284
	s_waitcnt vmcnt(2)
	ds_write_b64 v153, v[2:3]
.LBB54_273:
	s_or_b64 exec, exec, s[4:5]
	s_waitcnt lgkmcnt(0)
	; wave barrier
	s_waitcnt lgkmcnt(0)
	buffer_load_dword v44, off, s[0:3], 0 offset:292
	buffer_load_dword v46, off, s[0:3], 0 offset:300
	;; [unrolled: 1-line block ×40, first 2 shown]
	v_mov_b32_e32 v1, 0
	ds_read_b128 v[2:5], v1 offset:736
	ds_read_b128 v[6:9], v1 offset:752
	;; [unrolled: 1-line block ×6, first 2 shown]
	v_cmp_lt_u32_e32 vcc, 34, v0
	s_waitcnt vmcnt(39) lgkmcnt(5)
	v_mul_f32_e32 v68, v2, v44
	s_waitcnt vmcnt(38)
	v_mul_f32_e32 v69, v4, v46
	s_waitcnt vmcnt(37) lgkmcnt(4)
	v_mul_f32_e32 v70, v6, v48
	v_mul_f32_e32 v44, v3, v44
	;; [unrolled: 1-line block ×4, first 2 shown]
	s_waitcnt vmcnt(36)
	v_mul_f32_e32 v71, v8, v49
	s_waitcnt vmcnt(35) lgkmcnt(3)
	v_mul_f32_e32 v72, v10, v50
	s_waitcnt vmcnt(34)
	v_mul_f32_e32 v73, v12, v51
	s_waitcnt vmcnt(33) lgkmcnt(2)
	v_mul_f32_e32 v74, v14, v52
	s_waitcnt vmcnt(32)
	v_mul_f32_e32 v75, v16, v53
	s_waitcnt vmcnt(28)
	v_fmac_f32_e32 v68, v3, v57
	s_waitcnt vmcnt(27)
	v_fmac_f32_e32 v69, v5, v58
	v_fma_f32 v2, v2, v57, -v44
	v_fma_f32 v3, v4, v58, -v46
	s_waitcnt vmcnt(26)
	v_fma_f32 v4, v6, v59, -v48
	v_add_f32_e32 v6, 0, v68
	v_fmac_f32_e32 v70, v7, v59
	v_add_f32_e32 v2, 0, v2
	v_add_f32_e32 v6, v6, v69
	s_waitcnt vmcnt(25)
	v_fmac_f32_e32 v71, v9, v60
	v_add_f32_e32 v2, v2, v3
	v_add_f32_e32 v3, v6, v70
	s_waitcnt vmcnt(24)
	v_fmac_f32_e32 v72, v11, v61
	v_add_f32_e32 v3, v3, v71
	s_waitcnt vmcnt(23)
	v_fmac_f32_e32 v73, v13, v62
	;; [unrolled: 3-line block ×3, first 2 shown]
	v_add_f32_e32 v3, v3, v73
	s_waitcnt lgkmcnt(1)
	v_mul_f32_e32 v76, v18, v54
	s_waitcnt vmcnt(21)
	v_fmac_f32_e32 v75, v17, v64
	v_add_f32_e32 v3, v3, v74
	v_mul_f32_e32 v49, v9, v49
	s_waitcnt vmcnt(20)
	v_fmac_f32_e32 v76, v19, v65
	v_add_f32_e32 v3, v3, v75
	v_fma_f32 v5, v8, v60, -v49
	v_add_f32_e32 v2, v2, v4
	v_add_f32_e32 v49, v3, v76
	v_mul_f32_e32 v3, v11, v50
	v_add_f32_e32 v2, v2, v5
	v_fma_f32 v3, v10, v61, -v3
	v_add_f32_e32 v2, v2, v3
	v_mul_f32_e32 v3, v13, v51
	v_fma_f32 v3, v12, v62, -v3
	v_add_f32_e32 v2, v2, v3
	v_mul_f32_e32 v3, v15, v52
	;; [unrolled: 3-line block ×5, first 2 shown]
	s_waitcnt vmcnt(9)
	v_mov_b32_e32 v18, v35
	v_mul_f32_e32 v45, v20, v55
	v_fma_f32 v44, v20, v66, -v2
	s_waitcnt lgkmcnt(0)
	v_mul_f32_e32 v2, v23, v56
	v_pk_mul_f32 v[18:19], v[24:25], v[18:19] op_sel_hi:[1,0]
	v_mul_f32_e32 v47, v22, v56
	v_fmac_f32_e32 v45, v21, v66
	v_fma_f32 v46, v22, v67, -v2
	ds_read_b128 v[2:5], v1 offset:832
	ds_read_b128 v[6:9], v1 offset:848
	;; [unrolled: 1-line block ×3, first 2 shown]
	ds_read_b64 v[14:15], v1 offset:880
	s_waitcnt vmcnt(8)
	v_pk_fma_f32 v[20:21], v[24:25], v[34:35], v[18:19] op_sel:[0,0,1] op_sel_hi:[1,1,0] neg_lo:[0,0,1] neg_hi:[0,0,1]
	v_pk_fma_f32 v[18:19], v[24:25], v[34:35], v[18:19] op_sel:[0,0,1] op_sel_hi:[1,0,0]
	v_fmac_f32_e32 v47, v23, v67
	v_pk_add_f32 v[16:17], v[48:49], v[44:45]
	v_mov_b32_e32 v18, v33
	v_pk_add_f32 v[16:17], v[16:17], v[46:47]
	v_mov_b32_e32 v21, v19
	s_waitcnt lgkmcnt(3)
	v_pk_mul_f32 v[18:19], v[2:3], v[18:19] op_sel_hi:[1,0]
	v_pk_add_f32 v[16:17], v[16:17], v[20:21]
	v_pk_fma_f32 v[20:21], v[2:3], v[32:33], v[18:19] op_sel:[0,0,1] op_sel_hi:[1,1,0] neg_lo:[0,0,1] neg_hi:[0,0,1]
	v_pk_fma_f32 v[2:3], v[2:3], v[32:33], v[18:19] op_sel:[0,0,1] op_sel_hi:[1,0,0]
	v_mov_b32_e32 v21, v3
	v_pk_add_f32 v[2:3], v[16:17], v[20:21]
	v_mov_b32_e32 v16, v31
	v_pk_mul_f32 v[16:17], v[4:5], v[16:17] op_sel_hi:[1,0]
	v_pk_fma_f32 v[18:19], v[4:5], v[30:31], v[16:17] op_sel:[0,0,1] op_sel_hi:[1,1,0] neg_lo:[0,0,1] neg_hi:[0,0,1]
	v_pk_fma_f32 v[4:5], v[4:5], v[30:31], v[16:17] op_sel:[0,0,1] op_sel_hi:[1,0,0]
	v_mov_b32_e32 v4, v29
	v_mov_b32_e32 v19, v5
	s_waitcnt lgkmcnt(2)
	v_pk_mul_f32 v[4:5], v[6:7], v[4:5] op_sel_hi:[1,0]
	v_pk_fma_f32 v[16:17], v[6:7], v[28:29], v[4:5] op_sel:[0,0,1] op_sel_hi:[1,1,0] neg_lo:[0,0,1] neg_hi:[0,0,1]
	v_pk_fma_f32 v[4:5], v[6:7], v[28:29], v[4:5] op_sel:[0,0,1] op_sel_hi:[1,0,0]
	s_waitcnt vmcnt(1)
	v_mov_b32_e32 v4, v43
	v_mov_b32_e32 v17, v5
	v_pk_mul_f32 v[4:5], v[8:9], v[4:5] op_sel_hi:[1,0]
	s_waitcnt vmcnt(0)
	v_pk_fma_f32 v[6:7], v[8:9], v[42:43], v[4:5] op_sel:[0,0,1] op_sel_hi:[1,1,0] neg_lo:[0,0,1] neg_hi:[0,0,1]
	v_pk_fma_f32 v[4:5], v[8:9], v[42:43], v[4:5] op_sel:[0,0,1] op_sel_hi:[1,0,0]
	v_pk_add_f32 v[2:3], v[2:3], v[18:19]
	v_mov_b32_e32 v4, v41
	v_pk_add_f32 v[2:3], v[2:3], v[16:17]
	v_mov_b32_e32 v7, v5
	s_waitcnt lgkmcnt(1)
	v_pk_mul_f32 v[4:5], v[10:11], v[4:5] op_sel_hi:[1,0]
	v_pk_add_f32 v[2:3], v[2:3], v[6:7]
	v_pk_fma_f32 v[6:7], v[10:11], v[40:41], v[4:5] op_sel:[0,0,1] op_sel_hi:[1,1,0] neg_lo:[0,0,1] neg_hi:[0,0,1]
	v_pk_fma_f32 v[4:5], v[10:11], v[40:41], v[4:5] op_sel:[0,0,1] op_sel_hi:[1,0,0]
	v_mov_b32_e32 v4, v39
	v_mov_b32_e32 v7, v5
	v_pk_mul_f32 v[4:5], v[12:13], v[4:5] op_sel_hi:[1,0]
	v_pk_add_f32 v[2:3], v[2:3], v[6:7]
	v_pk_fma_f32 v[6:7], v[12:13], v[38:39], v[4:5] op_sel:[0,0,1] op_sel_hi:[1,1,0] neg_lo:[0,0,1] neg_hi:[0,0,1]
	v_pk_fma_f32 v[4:5], v[12:13], v[38:39], v[4:5] op_sel:[0,0,1] op_sel_hi:[1,0,0]
	v_mov_b32_e32 v4, v37
	v_mov_b32_e32 v7, v5
	s_waitcnt lgkmcnt(0)
	v_pk_mul_f32 v[4:5], v[14:15], v[4:5] op_sel_hi:[1,0]
	v_pk_add_f32 v[2:3], v[2:3], v[6:7]
	v_pk_fma_f32 v[6:7], v[14:15], v[36:37], v[4:5] op_sel:[0,0,1] op_sel_hi:[1,1,0] neg_lo:[0,0,1] neg_hi:[0,0,1]
	v_pk_fma_f32 v[4:5], v[14:15], v[36:37], v[4:5] op_sel:[0,0,1] op_sel_hi:[1,0,0]
	v_mov_b32_e32 v7, v5
	v_pk_add_f32 v[2:3], v[2:3], v[6:7]
	v_pk_add_f32 v[2:3], v[26:27], v[2:3] neg_lo:[0,1] neg_hi:[0,1]
	buffer_store_dword v3, off, s[0:3], 0 offset:284
	buffer_store_dword v2, off, s[0:3], 0 offset:280
	s_and_saveexec_b64 s[4:5], vcc
	s_cbranch_execz .LBB54_275
; %bb.274:
	buffer_load_dword v2, off, s[0:3], 0 offset:272
	buffer_load_dword v3, off, s[0:3], 0 offset:276
	s_waitcnt vmcnt(0)
	ds_write_b64 v153, v[2:3]
	buffer_store_dword v1, off, s[0:3], 0 offset:272
	buffer_store_dword v1, off, s[0:3], 0 offset:276
.LBB54_275:
	s_or_b64 exec, exec, s[4:5]
	s_waitcnt lgkmcnt(0)
	; wave barrier
	s_waitcnt lgkmcnt(0)
	buffer_load_dword v44, off, s[0:3], 0 offset:284
	buffer_load_dword v46, off, s[0:3], 0 offset:292
	;; [unrolled: 1-line block ×26, first 2 shown]
	ds_read2_b64 v[2:5], v1 offset0:91 offset1:92
	ds_read2_b64 v[6:9], v1 offset0:93 offset1:94
	ds_read2_b64 v[10:13], v1 offset0:95 offset1:96
	ds_read2_b64 v[14:17], v1 offset0:97 offset1:98
	ds_read2_b64 v[18:21], v1 offset0:99 offset1:100
	ds_read2_b64 v[22:25], v1 offset0:101 offset1:102
	buffer_load_dword v29, off, s[0:3], 0 offset:396
	buffer_load_dword v28, off, s[0:3], 0 offset:392
	;; [unrolled: 1-line block ×16, first 2 shown]
	v_cmp_lt_u32_e32 vcc, 33, v0
	s_waitcnt vmcnt(41) lgkmcnt(5)
	v_mul_f32_e32 v70, v2, v44
	s_waitcnt vmcnt(40)
	v_mul_f32_e32 v71, v4, v46
	v_mul_f32_e32 v44, v3, v44
	s_waitcnt vmcnt(39) lgkmcnt(4)
	v_mul_f32_e32 v72, v6, v48
	v_mul_f32_e32 v46, v5, v46
	s_waitcnt vmcnt(38)
	v_mul_f32_e32 v73, v8, v50
	s_waitcnt vmcnt(37) lgkmcnt(3)
	v_mul_f32_e32 v74, v10, v51
	s_waitcnt vmcnt(36)
	v_mul_f32_e32 v75, v12, v52
	s_waitcnt vmcnt(35) lgkmcnt(2)
	;; [unrolled: 4-line block ×3, first 2 shown]
	v_mul_f32_e32 v78, v18, v55
	s_waitcnt vmcnt(32)
	v_mul_f32_e32 v79, v20, v56
	s_waitcnt vmcnt(29)
	v_fmac_f32_e32 v70, v3, v49
	s_waitcnt vmcnt(28)
	v_fmac_f32_e32 v71, v5, v59
	v_fma_f32 v2, v2, v49, -v44
	v_add_f32_e32 v5, 0, v70
	s_waitcnt vmcnt(27)
	v_fmac_f32_e32 v72, v7, v60
	v_fma_f32 v3, v4, v59, -v46
	v_add_f32_e32 v2, 0, v2
	v_add_f32_e32 v5, v5, v71
	s_waitcnt vmcnt(26)
	v_fmac_f32_e32 v73, v9, v61
	v_add_f32_e32 v2, v2, v3
	v_add_f32_e32 v3, v5, v72
	s_waitcnt vmcnt(25)
	v_fmac_f32_e32 v74, v11, v62
	v_add_f32_e32 v3, v3, v73
	s_waitcnt vmcnt(24)
	v_fmac_f32_e32 v75, v13, v63
	;; [unrolled: 3-line block ×5, first 2 shown]
	v_add_f32_e32 v3, v3, v77
	v_mul_f32_e32 v48, v7, v48
	s_waitcnt vmcnt(20)
	v_fmac_f32_e32 v79, v21, v67
	v_add_f32_e32 v3, v3, v78
	v_fma_f32 v4, v6, v60, -v48
	v_add_f32_e32 v49, v3, v79
	v_mul_f32_e32 v3, v9, v50
	v_add_f32_e32 v2, v2, v4
	v_fma_f32 v3, v8, v61, -v3
	v_add_f32_e32 v2, v2, v3
	v_mul_f32_e32 v3, v11, v51
	v_fma_f32 v3, v10, v62, -v3
	v_add_f32_e32 v2, v2, v3
	v_mul_f32_e32 v3, v13, v52
	;; [unrolled: 3-line block ×6, first 2 shown]
	v_fma_f32 v3, v20, v67, -v3
	v_add_f32_e32 v48, v2, v3
	s_waitcnt lgkmcnt(0)
	v_mul_f32_e32 v2, v23, v57
	s_waitcnt vmcnt(19)
	v_fma_f32 v44, v22, v68, -v2
	v_mul_f32_e32 v2, v25, v58
	s_waitcnt vmcnt(18)
	v_fma_f32 v46, v24, v69, -v2
	ds_read2_b64 v[2:5], v1 offset0:103 offset1:104
	ds_read2_b64 v[6:9], v1 offset0:105 offset1:106
	;; [unrolled: 1-line block ×4, first 2 shown]
	v_mul_f32_e32 v45, v22, v57
	s_waitcnt vmcnt(11)
	v_mov_b32_e32 v20, v33
	v_mul_f32_e32 v47, v24, v58
	v_fmac_f32_e32 v45, v23, v68
	s_waitcnt lgkmcnt(3)
	v_pk_mul_f32 v[20:21], v[2:3], v[20:21] op_sel_hi:[1,0]
	v_fmac_f32_e32 v47, v25, v69
	v_pk_add_f32 v[18:19], v[48:49], v[44:45]
	s_waitcnt vmcnt(10)
	v_pk_fma_f32 v[22:23], v[2:3], v[32:33], v[20:21] op_sel:[0,0,1] op_sel_hi:[1,1,0] neg_lo:[0,0,1] neg_hi:[0,0,1]
	v_pk_fma_f32 v[2:3], v[2:3], v[32:33], v[20:21] op_sel:[0,0,1] op_sel_hi:[1,0,0]
	v_pk_add_f32 v[18:19], v[18:19], v[46:47]
	v_mov_b32_e32 v23, v3
	v_pk_add_f32 v[2:3], v[18:19], v[22:23]
	v_mov_b32_e32 v18, v31
	v_pk_mul_f32 v[18:19], v[4:5], v[18:19] op_sel_hi:[1,0]
	v_pk_fma_f32 v[20:21], v[4:5], v[30:31], v[18:19] op_sel:[0,0,1] op_sel_hi:[1,1,0] neg_lo:[0,0,1] neg_hi:[0,0,1]
	v_pk_fma_f32 v[4:5], v[4:5], v[30:31], v[18:19] op_sel:[0,0,1] op_sel_hi:[1,0,0]
	v_mov_b32_e32 v4, v29
	v_mov_b32_e32 v21, v5
	s_waitcnt lgkmcnt(2)
	v_pk_mul_f32 v[4:5], v[6:7], v[4:5] op_sel_hi:[1,0]
	v_pk_fma_f32 v[18:19], v[6:7], v[28:29], v[4:5] op_sel:[0,0,1] op_sel_hi:[1,1,0] neg_lo:[0,0,1] neg_hi:[0,0,1]
	v_pk_fma_f32 v[4:5], v[6:7], v[28:29], v[4:5] op_sel:[0,0,1] op_sel_hi:[1,0,0]
	s_waitcnt vmcnt(3)
	v_mov_b32_e32 v4, v41
	v_mov_b32_e32 v19, v5
	v_pk_mul_f32 v[4:5], v[8:9], v[4:5] op_sel_hi:[1,0]
	s_waitcnt vmcnt(2)
	v_pk_fma_f32 v[6:7], v[8:9], v[40:41], v[4:5] op_sel:[0,0,1] op_sel_hi:[1,1,0] neg_lo:[0,0,1] neg_hi:[0,0,1]
	v_pk_fma_f32 v[4:5], v[8:9], v[40:41], v[4:5] op_sel:[0,0,1] op_sel_hi:[1,0,0]
	v_pk_add_f32 v[2:3], v[2:3], v[20:21]
	v_mov_b32_e32 v4, v39
	v_pk_add_f32 v[2:3], v[2:3], v[18:19]
	v_mov_b32_e32 v7, v5
	s_waitcnt lgkmcnt(1)
	v_pk_mul_f32 v[4:5], v[10:11], v[4:5] op_sel_hi:[1,0]
	v_pk_add_f32 v[2:3], v[2:3], v[6:7]
	v_pk_fma_f32 v[6:7], v[10:11], v[38:39], v[4:5] op_sel:[0,0,1] op_sel_hi:[1,1,0] neg_lo:[0,0,1] neg_hi:[0,0,1]
	v_pk_fma_f32 v[4:5], v[10:11], v[38:39], v[4:5] op_sel:[0,0,1] op_sel_hi:[1,0,0]
	v_mov_b32_e32 v4, v37
	v_mov_b32_e32 v7, v5
	v_pk_mul_f32 v[4:5], v[12:13], v[4:5] op_sel_hi:[1,0]
	v_pk_add_f32 v[2:3], v[2:3], v[6:7]
	v_pk_fma_f32 v[6:7], v[12:13], v[36:37], v[4:5] op_sel:[0,0,1] op_sel_hi:[1,1,0] neg_lo:[0,0,1] neg_hi:[0,0,1]
	v_pk_fma_f32 v[4:5], v[12:13], v[36:37], v[4:5] op_sel:[0,0,1] op_sel_hi:[1,0,0]
	v_mov_b32_e32 v4, v35
	v_mov_b32_e32 v7, v5
	s_waitcnt lgkmcnt(0)
	v_pk_mul_f32 v[4:5], v[14:15], v[4:5] op_sel_hi:[1,0]
	v_pk_add_f32 v[2:3], v[2:3], v[6:7]
	v_pk_fma_f32 v[6:7], v[14:15], v[34:35], v[4:5] op_sel:[0,0,1] op_sel_hi:[1,1,0] neg_lo:[0,0,1] neg_hi:[0,0,1]
	v_pk_fma_f32 v[4:5], v[14:15], v[34:35], v[4:5] op_sel:[0,0,1] op_sel_hi:[1,0,0]
	s_waitcnt vmcnt(1)
	v_mov_b32_e32 v4, v43
	v_mov_b32_e32 v7, v5
	v_pk_mul_f32 v[4:5], v[16:17], v[4:5] op_sel_hi:[1,0]
	v_pk_add_f32 v[2:3], v[2:3], v[6:7]
	s_waitcnt vmcnt(0)
	v_pk_fma_f32 v[6:7], v[16:17], v[42:43], v[4:5] op_sel:[0,0,1] op_sel_hi:[1,1,0] neg_lo:[0,0,1] neg_hi:[0,0,1]
	v_pk_fma_f32 v[4:5], v[16:17], v[42:43], v[4:5] op_sel:[0,0,1] op_sel_hi:[1,0,0]
	v_mov_b32_e32 v7, v5
	v_pk_add_f32 v[2:3], v[2:3], v[6:7]
	v_pk_add_f32 v[2:3], v[26:27], v[2:3] neg_lo:[0,1] neg_hi:[0,1]
	buffer_store_dword v3, off, s[0:3], 0 offset:276
	buffer_store_dword v2, off, s[0:3], 0 offset:272
	s_and_saveexec_b64 s[4:5], vcc
	s_cbranch_execz .LBB54_277
; %bb.276:
	buffer_load_dword v2, off, s[0:3], 0 offset:264
	buffer_load_dword v3, off, s[0:3], 0 offset:268
	v_mov_b32_e32 v1, 0
	buffer_store_dword v1, off, s[0:3], 0 offset:264
	buffer_store_dword v1, off, s[0:3], 0 offset:268
	s_waitcnt vmcnt(2)
	ds_write_b64 v153, v[2:3]
.LBB54_277:
	s_or_b64 exec, exec, s[4:5]
	s_waitcnt lgkmcnt(0)
	; wave barrier
	s_waitcnt lgkmcnt(0)
	buffer_load_dword v52, off, s[0:3], 0 offset:276
	buffer_load_dword v54, off, s[0:3], 0 offset:284
	buffer_load_dword v56, off, s[0:3], 0 offset:292
	buffer_load_dword v58, off, s[0:3], 0 offset:300
	buffer_load_dword v59, off, s[0:3], 0 offset:308
	buffer_load_dword v60, off, s[0:3], 0 offset:316
	buffer_load_dword v61, off, s[0:3], 0 offset:324
	buffer_load_dword v62, off, s[0:3], 0 offset:332
	buffer_load_dword v63, off, s[0:3], 0 offset:340
	buffer_load_dword v64, off, s[0:3], 0 offset:348
	buffer_load_dword v65, off, s[0:3], 0 offset:356
	buffer_load_dword v66, off, s[0:3], 0 offset:364
	buffer_load_dword v67, off, s[0:3], 0 offset:372
	buffer_load_dword v68, off, s[0:3], 0 offset:272
	buffer_load_dword v69, off, s[0:3], 0 offset:280
	buffer_load_dword v70, off, s[0:3], 0 offset:288
	buffer_load_dword v71, off, s[0:3], 0 offset:296
	buffer_load_dword v72, off, s[0:3], 0 offset:304
	buffer_load_dword v73, off, s[0:3], 0 offset:312
	buffer_load_dword v74, off, s[0:3], 0 offset:320
	buffer_load_dword v75, off, s[0:3], 0 offset:328
	buffer_load_dword v76, off, s[0:3], 0 offset:336
	buffer_load_dword v77, off, s[0:3], 0 offset:344
	buffer_load_dword v78, off, s[0:3], 0 offset:352
	buffer_load_dword v79, off, s[0:3], 0 offset:360
	buffer_load_dword v80, off, s[0:3], 0 offset:368
	buffer_load_dword v34, off, s[0:3], 0 offset:264
	buffer_load_dword v35, off, s[0:3], 0 offset:268
	buffer_load_dword v37, off, s[0:3], 0 offset:388
	buffer_load_dword v36, off, s[0:3], 0 offset:384
	buffer_load_dword v39, off, s[0:3], 0 offset:380
	buffer_load_dword v38, off, s[0:3], 0 offset:376
	buffer_load_dword v41, off, s[0:3], 0 offset:420
	buffer_load_dword v40, off, s[0:3], 0 offset:416
	buffer_load_dword v43, off, s[0:3], 0 offset:412
	buffer_load_dword v42, off, s[0:3], 0 offset:408
	buffer_load_dword v45, off, s[0:3], 0 offset:404
	buffer_load_dword v44, off, s[0:3], 0 offset:400
	buffer_load_dword v47, off, s[0:3], 0 offset:396
	buffer_load_dword v46, off, s[0:3], 0 offset:392
	buffer_load_dword v49, off, s[0:3], 0 offset:436
	buffer_load_dword v48, off, s[0:3], 0 offset:432
	buffer_load_dword v51, off, s[0:3], 0 offset:428
	buffer_load_dword v50, off, s[0:3], 0 offset:424
	v_mov_b32_e32 v1, 0
	ds_read_b128 v[2:5], v1 offset:720
	ds_read_b128 v[6:9], v1 offset:736
	;; [unrolled: 1-line block ×8, first 2 shown]
	v_cmp_lt_u32_e32 vcc, 32, v0
	s_waitcnt vmcnt(43) lgkmcnt(7)
	v_mul_f32_e32 v57, v2, v52
	s_waitcnt vmcnt(42)
	v_mul_f32_e32 v81, v4, v54
	s_waitcnt vmcnt(41) lgkmcnt(6)
	v_mul_f32_e32 v82, v6, v56
	v_mul_f32_e32 v52, v3, v52
	s_waitcnt vmcnt(40)
	v_mul_f32_e32 v83, v8, v58
	s_waitcnt vmcnt(39) lgkmcnt(5)
	v_mul_f32_e32 v84, v10, v59
	s_waitcnt vmcnt(38)
	v_mul_f32_e32 v85, v12, v60
	s_waitcnt vmcnt(37) lgkmcnt(4)
	v_mul_f32_e32 v86, v14, v61
	s_waitcnt vmcnt(36)
	v_mul_f32_e32 v87, v16, v62
	s_waitcnt vmcnt(35) lgkmcnt(3)
	v_mul_f32_e32 v88, v18, v63
	s_waitcnt vmcnt(34)
	v_mul_f32_e32 v89, v20, v64
	s_waitcnt vmcnt(33) lgkmcnt(2)
	v_mul_f32_e32 v90, v22, v65
	s_waitcnt vmcnt(32)
	v_mul_f32_e32 v53, v24, v66
	s_waitcnt vmcnt(30)
	v_fmac_f32_e32 v57, v3, v68
	s_waitcnt vmcnt(29)
	v_fmac_f32_e32 v81, v5, v69
	v_add_f32_e32 v3, 0, v57
	s_waitcnt vmcnt(28)
	v_fmac_f32_e32 v82, v7, v70
	v_add_f32_e32 v3, v3, v81
	;; [unrolled: 3-line block ×10, first 2 shown]
	v_add_f32_e32 v57, v3, v90
	v_fma_f32 v2, v2, v68, -v52
	v_mul_f32_e32 v3, v5, v54
	v_add_f32_e32 v2, 0, v2
	v_fma_f32 v3, v4, v69, -v3
	v_add_f32_e32 v2, v2, v3
	v_mul_f32_e32 v3, v7, v56
	v_fma_f32 v3, v6, v70, -v3
	v_add_f32_e32 v2, v2, v3
	v_mul_f32_e32 v3, v9, v58
	;; [unrolled: 3-line block ×9, first 2 shown]
	v_fma_f32 v3, v22, v78, -v3
	s_waitcnt vmcnt(13)
	v_mov_b32_e32 v14, v39
	v_add_f32_e32 v56, v2, v3
	v_mul_f32_e32 v2, v25, v66
	s_waitcnt lgkmcnt(1)
	v_pk_mul_f32 v[14:15], v[28:29], v[14:15] op_sel_hi:[1,0]
	v_mul_f32_e32 v55, v26, v67
	v_fmac_f32_e32 v53, v25, v79
	v_fma_f32 v52, v24, v79, -v2
	v_mul_f32_e32 v2, v27, v67
	s_waitcnt vmcnt(12)
	v_pk_fma_f32 v[16:17], v[28:29], v[38:39], v[14:15] op_sel:[0,0,1] op_sel_hi:[1,1,0] neg_lo:[0,0,1] neg_hi:[0,0,1]
	v_pk_fma_f32 v[14:15], v[28:29], v[38:39], v[14:15] op_sel:[0,0,1] op_sel_hi:[1,0,0]
	v_fmac_f32_e32 v55, v27, v80
	v_fma_f32 v54, v26, v80, -v2
	v_pk_add_f32 v[12:13], v[56:57], v[52:53]
	v_mov_b32_e32 v14, v37
	v_pk_add_f32 v[12:13], v[12:13], v[54:55]
	v_mov_b32_e32 v17, v15
	s_waitcnt lgkmcnt(0)
	v_pk_mul_f32 v[14:15], v[30:31], v[14:15] op_sel_hi:[1,0]
	v_pk_add_f32 v[12:13], v[12:13], v[16:17]
	v_pk_fma_f32 v[16:17], v[30:31], v[36:37], v[14:15] op_sel:[0,0,1] op_sel_hi:[1,1,0] neg_lo:[0,0,1] neg_hi:[0,0,1]
	v_pk_fma_f32 v[14:15], v[30:31], v[36:37], v[14:15] op_sel:[0,0,1] op_sel_hi:[1,0,0]
	s_waitcnt vmcnt(5)
	v_mov_b32_e32 v14, v47
	ds_read_b128 v[2:5], v1 offset:848
	ds_read_b128 v[6:9], v1 offset:864
	ds_read_b64 v[10:11], v1 offset:880
	v_mov_b32_e32 v17, v15
	v_pk_mul_f32 v[14:15], v[32:33], v[14:15] op_sel_hi:[1,0]
	v_pk_add_f32 v[12:13], v[12:13], v[16:17]
	s_waitcnt vmcnt(4)
	v_pk_fma_f32 v[16:17], v[32:33], v[46:47], v[14:15] op_sel:[0,0,1] op_sel_hi:[1,1,0] neg_lo:[0,0,1] neg_hi:[0,0,1]
	v_pk_fma_f32 v[14:15], v[32:33], v[46:47], v[14:15] op_sel:[0,0,1] op_sel_hi:[1,0,0]
	v_mov_b32_e32 v14, v45
	v_mov_b32_e32 v17, v15
	s_waitcnt lgkmcnt(2)
	v_pk_mul_f32 v[14:15], v[2:3], v[14:15] op_sel_hi:[1,0]
	v_pk_add_f32 v[12:13], v[12:13], v[16:17]
	v_pk_fma_f32 v[16:17], v[2:3], v[44:45], v[14:15] op_sel:[0,0,1] op_sel_hi:[1,1,0] neg_lo:[0,0,1] neg_hi:[0,0,1]
	v_pk_fma_f32 v[2:3], v[2:3], v[44:45], v[14:15] op_sel:[0,0,1] op_sel_hi:[1,0,0]
	v_mov_b32_e32 v17, v3
	v_pk_add_f32 v[2:3], v[12:13], v[16:17]
	v_mov_b32_e32 v12, v43
	v_pk_mul_f32 v[12:13], v[4:5], v[12:13] op_sel_hi:[1,0]
	v_pk_fma_f32 v[14:15], v[4:5], v[42:43], v[12:13] op_sel:[0,0,1] op_sel_hi:[1,1,0] neg_lo:[0,0,1] neg_hi:[0,0,1]
	v_pk_fma_f32 v[4:5], v[4:5], v[42:43], v[12:13] op_sel:[0,0,1] op_sel_hi:[1,0,0]
	v_mov_b32_e32 v4, v41
	v_mov_b32_e32 v15, v5
	s_waitcnt lgkmcnt(1)
	v_pk_mul_f32 v[4:5], v[6:7], v[4:5] op_sel_hi:[1,0]
	v_pk_fma_f32 v[12:13], v[6:7], v[40:41], v[4:5] op_sel:[0,0,1] op_sel_hi:[1,1,0] neg_lo:[0,0,1] neg_hi:[0,0,1]
	v_pk_fma_f32 v[4:5], v[6:7], v[40:41], v[4:5] op_sel:[0,0,1] op_sel_hi:[1,0,0]
	s_waitcnt vmcnt(1)
	v_mov_b32_e32 v4, v51
	v_mov_b32_e32 v13, v5
	v_pk_mul_f32 v[4:5], v[8:9], v[4:5] op_sel_hi:[1,0]
	s_waitcnt vmcnt(0)
	v_pk_fma_f32 v[6:7], v[8:9], v[50:51], v[4:5] op_sel:[0,0,1] op_sel_hi:[1,1,0] neg_lo:[0,0,1] neg_hi:[0,0,1]
	v_pk_fma_f32 v[4:5], v[8:9], v[50:51], v[4:5] op_sel:[0,0,1] op_sel_hi:[1,0,0]
	v_pk_add_f32 v[2:3], v[2:3], v[14:15]
	v_mov_b32_e32 v4, v49
	v_pk_add_f32 v[2:3], v[2:3], v[12:13]
	v_mov_b32_e32 v7, v5
	s_waitcnt lgkmcnt(0)
	v_pk_mul_f32 v[4:5], v[10:11], v[4:5] op_sel_hi:[1,0]
	v_pk_add_f32 v[2:3], v[2:3], v[6:7]
	v_pk_fma_f32 v[6:7], v[10:11], v[48:49], v[4:5] op_sel:[0,0,1] op_sel_hi:[1,1,0] neg_lo:[0,0,1] neg_hi:[0,0,1]
	v_pk_fma_f32 v[4:5], v[10:11], v[48:49], v[4:5] op_sel:[0,0,1] op_sel_hi:[1,0,0]
	v_mov_b32_e32 v7, v5
	v_pk_add_f32 v[2:3], v[2:3], v[6:7]
	v_pk_add_f32 v[2:3], v[34:35], v[2:3] neg_lo:[0,1] neg_hi:[0,1]
	buffer_store_dword v3, off, s[0:3], 0 offset:268
	buffer_store_dword v2, off, s[0:3], 0 offset:264
	s_and_saveexec_b64 s[4:5], vcc
	s_cbranch_execz .LBB54_279
; %bb.278:
	buffer_load_dword v2, off, s[0:3], 0 offset:256
	buffer_load_dword v3, off, s[0:3], 0 offset:260
	s_waitcnt vmcnt(0)
	ds_write_b64 v153, v[2:3]
	buffer_store_dword v1, off, s[0:3], 0 offset:256
	buffer_store_dword v1, off, s[0:3], 0 offset:260
.LBB54_279:
	s_or_b64 exec, exec, s[4:5]
	s_waitcnt lgkmcnt(0)
	; wave barrier
	s_waitcnt lgkmcnt(0)
	buffer_load_dword v52, off, s[0:3], 0 offset:268
	buffer_load_dword v54, off, s[0:3], 0 offset:276
	;; [unrolled: 1-line block ×30, first 2 shown]
	ds_read2_b64 v[2:5], v1 offset0:89 offset1:90
	ds_read2_b64 v[6:9], v1 offset0:91 offset1:92
	ds_read2_b64 v[10:13], v1 offset0:93 offset1:94
	ds_read2_b64 v[14:17], v1 offset0:95 offset1:96
	ds_read2_b64 v[18:21], v1 offset0:97 offset1:98
	ds_read2_b64 v[22:25], v1 offset0:99 offset1:100
	buffer_load_dword v37, off, s[0:3], 0 offset:380
	buffer_load_dword v36, off, s[0:3], 0 offset:376
	ds_read2_b64 v[26:29], v1 offset0:101 offset1:102
	ds_read2_b64 v[30:33], v1 offset0:103 offset1:104
	buffer_load_dword v39, off, s[0:3], 0 offset:412
	buffer_load_dword v38, off, s[0:3], 0 offset:408
	;; [unrolled: 1-line block ×14, first 2 shown]
	v_cmp_lt_u32_e32 vcc, 31, v0
	s_waitcnt vmcnt(45) lgkmcnt(7)
	v_mul_f32_e32 v55, v2, v52
	s_waitcnt vmcnt(44)
	v_mul_f32_e32 v57, v4, v54
	s_waitcnt vmcnt(43) lgkmcnt(6)
	v_mul_f32_e32 v83, v6, v56
	s_waitcnt vmcnt(42)
	v_mul_f32_e32 v84, v8, v58
	;; [unrolled: 4-line block ×6, first 2 shown]
	s_waitcnt vmcnt(33) lgkmcnt(1)
	v_mul_f32_e32 v53, v26, v67
	s_waitcnt vmcnt(32)
	v_fmac_f32_e32 v55, v3, v68
	v_mul_f32_e32 v3, v3, v52
	v_fma_f32 v2, v2, v68, -v3
	v_mul_f32_e32 v3, v5, v54
	v_add_f32_e32 v2, 0, v2
	s_waitcnt vmcnt(31)
	v_fma_f32 v3, v4, v69, -v3
	v_add_f32_e32 v2, v2, v3
	v_mul_f32_e32 v3, v7, v56
	s_waitcnt vmcnt(30)
	v_fma_f32 v3, v6, v70, -v3
	v_add_f32_e32 v2, v2, v3
	v_mul_f32_e32 v3, v9, v58
	;; [unrolled: 4-line block ×5, first 2 shown]
	s_waitcnt vmcnt(26)
	v_fma_f32 v3, v14, v74, -v3
	v_fmac_f32_e32 v57, v5, v69
	v_add_f32_e32 v55, 0, v55
	v_add_f32_e32 v2, v2, v3
	v_mul_f32_e32 v3, v17, v62
	v_fmac_f32_e32 v83, v7, v70
	v_add_f32_e32 v55, v55, v57
	s_waitcnt vmcnt(25)
	v_fma_f32 v3, v16, v75, -v3
	v_fmac_f32_e32 v84, v9, v71
	v_add_f32_e32 v55, v55, v83
	v_add_f32_e32 v2, v2, v3
	v_mul_f32_e32 v3, v19, v63
	v_fmac_f32_e32 v85, v11, v72
	v_add_f32_e32 v55, v55, v84
	;; [unrolled: 8-line block ×5, first 2 shown]
	s_waitcnt vmcnt(21)
	v_fma_f32 v3, v24, v79, -v3
	s_waitcnt vmcnt(15)
	v_mov_b32_e32 v16, v37
	v_fmac_f32_e32 v92, v25, v79
	v_add_f32_e32 v55, v55, v91
	v_add_f32_e32 v54, v2, v3
	v_mul_f32_e32 v2, v27, v67
	s_waitcnt lgkmcnt(0)
	v_pk_mul_f32 v[16:17], v[30:31], v[16:17] op_sel_hi:[1,0]
	v_fmac_f32_e32 v53, v27, v80
	v_add_f32_e32 v55, v55, v92
	v_mul_f32_e32 v57, v28, v81
	v_fma_f32 v52, v26, v80, -v2
	v_mul_f32_e32 v2, v29, v81
	s_waitcnt vmcnt(14)
	v_pk_fma_f32 v[18:19], v[30:31], v[36:37], v[16:17] op_sel:[0,0,1] op_sel_hi:[1,1,0] neg_lo:[0,0,1] neg_hi:[0,0,1]
	v_pk_fma_f32 v[16:17], v[30:31], v[36:37], v[16:17] op_sel:[0,0,1] op_sel_hi:[1,0,0]
	v_fmac_f32_e32 v57, v29, v82
	v_fma_f32 v56, v28, v82, -v2
	v_pk_add_f32 v[14:15], v[54:55], v[52:53]
	s_waitcnt vmcnt(7)
	v_mov_b32_e32 v16, v45
	ds_read2_b64 v[2:5], v1 offset0:105 offset1:106
	ds_read2_b64 v[6:9], v1 offset0:107 offset1:108
	ds_read2_b64 v[10:13], v1 offset0:109 offset1:110
	v_pk_add_f32 v[14:15], v[14:15], v[56:57]
	v_mov_b32_e32 v19, v17
	v_pk_mul_f32 v[16:17], v[32:33], v[16:17] op_sel_hi:[1,0]
	v_pk_add_f32 v[14:15], v[14:15], v[18:19]
	s_waitcnt vmcnt(6)
	v_pk_fma_f32 v[18:19], v[32:33], v[44:45], v[16:17] op_sel:[0,0,1] op_sel_hi:[1,1,0] neg_lo:[0,0,1] neg_hi:[0,0,1]
	v_pk_fma_f32 v[16:17], v[32:33], v[44:45], v[16:17] op_sel:[0,0,1] op_sel_hi:[1,0,0]
	v_mov_b32_e32 v16, v43
	v_mov_b32_e32 v19, v17
	s_waitcnt lgkmcnt(2)
	v_pk_mul_f32 v[16:17], v[2:3], v[16:17] op_sel_hi:[1,0]
	v_pk_add_f32 v[14:15], v[14:15], v[18:19]
	v_pk_fma_f32 v[18:19], v[2:3], v[42:43], v[16:17] op_sel:[0,0,1] op_sel_hi:[1,1,0] neg_lo:[0,0,1] neg_hi:[0,0,1]
	v_pk_fma_f32 v[2:3], v[2:3], v[42:43], v[16:17] op_sel:[0,0,1] op_sel_hi:[1,0,0]
	v_mov_b32_e32 v19, v3
	v_pk_add_f32 v[2:3], v[14:15], v[18:19]
	v_mov_b32_e32 v14, v41
	v_pk_mul_f32 v[14:15], v[4:5], v[14:15] op_sel_hi:[1,0]
	v_pk_fma_f32 v[16:17], v[4:5], v[40:41], v[14:15] op_sel:[0,0,1] op_sel_hi:[1,1,0] neg_lo:[0,0,1] neg_hi:[0,0,1]
	v_pk_fma_f32 v[4:5], v[4:5], v[40:41], v[14:15] op_sel:[0,0,1] op_sel_hi:[1,0,0]
	v_mov_b32_e32 v4, v39
	v_mov_b32_e32 v17, v5
	s_waitcnt lgkmcnt(1)
	v_pk_mul_f32 v[4:5], v[6:7], v[4:5] op_sel_hi:[1,0]
	v_pk_fma_f32 v[14:15], v[6:7], v[38:39], v[4:5] op_sel:[0,0,1] op_sel_hi:[1,1,0] neg_lo:[0,0,1] neg_hi:[0,0,1]
	v_pk_fma_f32 v[4:5], v[6:7], v[38:39], v[4:5] op_sel:[0,0,1] op_sel_hi:[1,0,0]
	s_waitcnt vmcnt(1)
	v_mov_b32_e32 v4, v51
	v_mov_b32_e32 v15, v5
	v_pk_mul_f32 v[4:5], v[8:9], v[4:5] op_sel_hi:[1,0]
	s_waitcnt vmcnt(0)
	v_pk_fma_f32 v[6:7], v[8:9], v[50:51], v[4:5] op_sel:[0,0,1] op_sel_hi:[1,1,0] neg_lo:[0,0,1] neg_hi:[0,0,1]
	v_pk_fma_f32 v[4:5], v[8:9], v[50:51], v[4:5] op_sel:[0,0,1] op_sel_hi:[1,0,0]
	v_pk_add_f32 v[2:3], v[2:3], v[16:17]
	v_mov_b32_e32 v4, v49
	v_pk_add_f32 v[2:3], v[2:3], v[14:15]
	v_mov_b32_e32 v7, v5
	s_waitcnt lgkmcnt(0)
	v_pk_mul_f32 v[4:5], v[10:11], v[4:5] op_sel_hi:[1,0]
	v_pk_add_f32 v[2:3], v[2:3], v[6:7]
	v_pk_fma_f32 v[6:7], v[10:11], v[48:49], v[4:5] op_sel:[0,0,1] op_sel_hi:[1,1,0] neg_lo:[0,0,1] neg_hi:[0,0,1]
	v_pk_fma_f32 v[4:5], v[10:11], v[48:49], v[4:5] op_sel:[0,0,1] op_sel_hi:[1,0,0]
	v_mov_b32_e32 v4, v47
	v_mov_b32_e32 v7, v5
	v_pk_mul_f32 v[4:5], v[12:13], v[4:5] op_sel_hi:[1,0]
	v_pk_add_f32 v[2:3], v[2:3], v[6:7]
	v_pk_fma_f32 v[6:7], v[12:13], v[46:47], v[4:5] op_sel:[0,0,1] op_sel_hi:[1,1,0] neg_lo:[0,0,1] neg_hi:[0,0,1]
	v_pk_fma_f32 v[4:5], v[12:13], v[46:47], v[4:5] op_sel:[0,0,1] op_sel_hi:[1,0,0]
	v_mov_b32_e32 v7, v5
	v_pk_add_f32 v[2:3], v[2:3], v[6:7]
	v_pk_add_f32 v[2:3], v[34:35], v[2:3] neg_lo:[0,1] neg_hi:[0,1]
	buffer_store_dword v3, off, s[0:3], 0 offset:260
	buffer_store_dword v2, off, s[0:3], 0 offset:256
	s_and_saveexec_b64 s[4:5], vcc
	s_cbranch_execz .LBB54_281
; %bb.280:
	buffer_load_dword v2, off, s[0:3], 0 offset:248
	buffer_load_dword v3, off, s[0:3], 0 offset:252
	v_mov_b32_e32 v1, 0
	buffer_store_dword v1, off, s[0:3], 0 offset:248
	buffer_store_dword v1, off, s[0:3], 0 offset:252
	s_waitcnt vmcnt(2)
	ds_write_b64 v153, v[2:3]
.LBB54_281:
	s_or_b64 exec, exec, s[4:5]
	s_waitcnt lgkmcnt(0)
	; wave barrier
	s_waitcnt lgkmcnt(0)
	buffer_load_dword v50, off, s[0:3], 0 offset:260
	buffer_load_dword v54, off, s[0:3], 0 offset:268
	buffer_load_dword v56, off, s[0:3], 0 offset:276
	buffer_load_dword v58, off, s[0:3], 0 offset:284
	buffer_load_dword v59, off, s[0:3], 0 offset:292
	buffer_load_dword v60, off, s[0:3], 0 offset:300
	buffer_load_dword v61, off, s[0:3], 0 offset:308
	buffer_load_dword v62, off, s[0:3], 0 offset:316
	buffer_load_dword v63, off, s[0:3], 0 offset:324
	buffer_load_dword v64, off, s[0:3], 0 offset:332
	buffer_load_dword v65, off, s[0:3], 0 offset:340
	buffer_load_dword v66, off, s[0:3], 0 offset:348
	buffer_load_dword v67, off, s[0:3], 0 offset:356
	buffer_load_dword v68, off, s[0:3], 0 offset:256
	buffer_load_dword v69, off, s[0:3], 0 offset:264
	buffer_load_dword v70, off, s[0:3], 0 offset:272
	buffer_load_dword v71, off, s[0:3], 0 offset:280
	buffer_load_dword v72, off, s[0:3], 0 offset:288
	buffer_load_dword v73, off, s[0:3], 0 offset:296
	buffer_load_dword v74, off, s[0:3], 0 offset:304
	buffer_load_dword v75, off, s[0:3], 0 offset:312
	buffer_load_dword v76, off, s[0:3], 0 offset:320
	buffer_load_dword v77, off, s[0:3], 0 offset:328
	buffer_load_dword v78, off, s[0:3], 0 offset:336
	buffer_load_dword v79, off, s[0:3], 0 offset:344
	buffer_load_dword v80, off, s[0:3], 0 offset:352
	buffer_load_dword v81, off, s[0:3], 0 offset:364
	buffer_load_dword v82, off, s[0:3], 0 offset:360
	buffer_load_dword v83, off, s[0:3], 0 offset:372
	buffer_load_dword v84, off, s[0:3], 0 offset:368
	buffer_load_dword v34, off, s[0:3], 0 offset:248
	buffer_load_dword v35, off, s[0:3], 0 offset:252
	v_mov_b32_e32 v1, 0
	buffer_load_dword v37, off, s[0:3], 0 offset:404
	buffer_load_dword v36, off, s[0:3], 0 offset:400
	;; [unrolled: 1-line block ×13, first 2 shown]
	ds_read_b128 v[2:5], v1 offset:704
	ds_read_b128 v[6:9], v1 offset:720
	;; [unrolled: 1-line block ×8, first 2 shown]
	v_cmp_lt_u32_e32 vcc, 30, v0
	s_waitcnt vmcnt(44) lgkmcnt(7)
	v_mul_f32_e32 v44, v2, v50
	s_waitcnt vmcnt(43)
	v_mul_f32_e32 v51, v4, v54
	s_waitcnt vmcnt(42) lgkmcnt(6)
	v_mul_f32_e32 v52, v6, v56
	s_waitcnt vmcnt(41)
	v_mul_f32_e32 v53, v8, v58
	;; [unrolled: 4-line block ×6, first 2 shown]
	s_waitcnt vmcnt(32) lgkmcnt(1)
	v_mul_f32_e32 v91, v26, v67
	s_waitcnt vmcnt(31)
	v_fmac_f32_e32 v44, v3, v68
	s_waitcnt vmcnt(30)
	v_fmac_f32_e32 v51, v5, v69
	v_add_f32_e32 v44, 0, v44
	s_waitcnt vmcnt(29)
	v_fmac_f32_e32 v52, v7, v70
	v_add_f32_e32 v44, v44, v51
	;; [unrolled: 3-line block ×12, first 2 shown]
	v_add_f32_e32 v51, v44, v91
	buffer_load_dword v53, off, s[0:3], 0 offset:420
	buffer_load_dword v52, off, s[0:3], 0 offset:416
	;; [unrolled: 1-line block ×3, first 2 shown]
	v_mul_f32_e32 v3, v3, v50
	v_fma_f32 v2, v2, v68, -v3
	v_mul_f32_e32 v3, v5, v54
	v_add_f32_e32 v2, 0, v2
	v_fma_f32 v3, v4, v69, -v3
	v_add_f32_e32 v2, v2, v3
	v_mul_f32_e32 v3, v7, v56
	v_fma_f32 v3, v6, v70, -v3
	v_add_f32_e32 v2, v2, v3
	v_mul_f32_e32 v3, v9, v58
	;; [unrolled: 3-line block ×11, first 2 shown]
	v_fma_f32 v3, v26, v80, -v3
	v_add_f32_e32 v50, v2, v3
	s_waitcnt vmcnt(21)
	v_mul_f32_e32 v2, v29, v81
	s_waitcnt vmcnt(9)
	v_mov_b32_e32 v18, v43
	v_mul_f32_e32 v55, v28, v81
	v_fma_f32 v54, v28, v82, -v2
	s_waitcnt lgkmcnt(0)
	v_mul_f32_e32 v2, v31, v83
	v_pk_mul_f32 v[18:19], v[32:33], v[18:19] op_sel_hi:[1,0]
	v_fmac_f32_e32 v55, v29, v82
	v_mul_f32_e32 v57, v30, v83
	v_fma_f32 v56, v30, v84, -v2
	ds_read_b128 v[2:5], v1 offset:832
	ds_read_b128 v[6:9], v1 offset:848
	;; [unrolled: 1-line block ×3, first 2 shown]
	ds_read_b64 v[14:15], v1 offset:880
	s_waitcnt vmcnt(8)
	v_pk_fma_f32 v[20:21], v[32:33], v[42:43], v[18:19] op_sel:[0,0,1] op_sel_hi:[1,1,0] neg_lo:[0,0,1] neg_hi:[0,0,1]
	v_pk_fma_f32 v[18:19], v[32:33], v[42:43], v[18:19] op_sel:[0,0,1] op_sel_hi:[1,0,0]
	v_fmac_f32_e32 v57, v31, v84
	v_pk_add_f32 v[16:17], v[50:51], v[54:55]
	v_mov_b32_e32 v18, v41
	v_pk_add_f32 v[16:17], v[16:17], v[56:57]
	v_mov_b32_e32 v21, v19
	s_waitcnt lgkmcnt(3)
	v_pk_mul_f32 v[18:19], v[2:3], v[18:19] op_sel_hi:[1,0]
	v_pk_add_f32 v[16:17], v[16:17], v[20:21]
	v_pk_fma_f32 v[20:21], v[2:3], v[40:41], v[18:19] op_sel:[0,0,1] op_sel_hi:[1,1,0] neg_lo:[0,0,1] neg_hi:[0,0,1]
	v_pk_fma_f32 v[2:3], v[2:3], v[40:41], v[18:19] op_sel:[0,0,1] op_sel_hi:[1,0,0]
	v_mov_b32_e32 v21, v3
	v_pk_add_f32 v[2:3], v[16:17], v[20:21]
	v_mov_b32_e32 v16, v39
	v_pk_mul_f32 v[16:17], v[4:5], v[16:17] op_sel_hi:[1,0]
	v_pk_fma_f32 v[18:19], v[4:5], v[38:39], v[16:17] op_sel:[0,0,1] op_sel_hi:[1,1,0] neg_lo:[0,0,1] neg_hi:[0,0,1]
	v_pk_fma_f32 v[4:5], v[4:5], v[38:39], v[16:17] op_sel:[0,0,1] op_sel_hi:[1,0,0]
	v_mov_b32_e32 v4, v37
	v_mov_b32_e32 v19, v5
	s_waitcnt lgkmcnt(2)
	v_pk_mul_f32 v[4:5], v[6:7], v[4:5] op_sel_hi:[1,0]
	v_pk_fma_f32 v[16:17], v[6:7], v[36:37], v[4:5] op_sel:[0,0,1] op_sel_hi:[1,1,0] neg_lo:[0,0,1] neg_hi:[0,0,1]
	v_pk_fma_f32 v[4:5], v[6:7], v[36:37], v[4:5] op_sel:[0,0,1] op_sel_hi:[1,0,0]
	s_waitcnt vmcnt(7)
	v_mov_b32_e32 v4, v45
	v_mov_b32_e32 v17, v5
	v_pk_mul_f32 v[4:5], v[8:9], v[4:5] op_sel_hi:[1,0]
	v_pk_add_f32 v[2:3], v[2:3], v[18:19]
	v_pk_add_f32 v[2:3], v[2:3], v[16:17]
	s_waitcnt vmcnt(0)
	v_pk_fma_f32 v[6:7], v[8:9], v[44:45], v[4:5] op_sel:[0,0,1] op_sel_hi:[1,1,0] neg_lo:[0,0,1] neg_hi:[0,0,1]
	v_pk_fma_f32 v[4:5], v[8:9], v[44:45], v[4:5] op_sel:[0,0,1] op_sel_hi:[1,0,0]
	v_mov_b32_e32 v4, v53
	v_mov_b32_e32 v7, v5
	s_waitcnt lgkmcnt(1)
	v_pk_mul_f32 v[4:5], v[10:11], v[4:5] op_sel_hi:[1,0]
	v_pk_add_f32 v[2:3], v[2:3], v[6:7]
	v_pk_fma_f32 v[6:7], v[10:11], v[52:53], v[4:5] op_sel:[0,0,1] op_sel_hi:[1,1,0] neg_lo:[0,0,1] neg_hi:[0,0,1]
	v_pk_fma_f32 v[4:5], v[10:11], v[52:53], v[4:5] op_sel:[0,0,1] op_sel_hi:[1,0,0]
	v_mov_b32_e32 v4, v49
	v_mov_b32_e32 v7, v5
	v_pk_mul_f32 v[4:5], v[12:13], v[4:5] op_sel_hi:[1,0]
	v_pk_add_f32 v[2:3], v[2:3], v[6:7]
	v_pk_fma_f32 v[6:7], v[12:13], v[48:49], v[4:5] op_sel:[0,0,1] op_sel_hi:[1,1,0] neg_lo:[0,0,1] neg_hi:[0,0,1]
	v_pk_fma_f32 v[4:5], v[12:13], v[48:49], v[4:5] op_sel:[0,0,1] op_sel_hi:[1,0,0]
	v_mov_b32_e32 v4, v47
	v_mov_b32_e32 v7, v5
	s_waitcnt lgkmcnt(0)
	v_pk_mul_f32 v[4:5], v[14:15], v[4:5] op_sel_hi:[1,0]
	v_pk_add_f32 v[2:3], v[2:3], v[6:7]
	v_pk_fma_f32 v[6:7], v[14:15], v[46:47], v[4:5] op_sel:[0,0,1] op_sel_hi:[1,1,0] neg_lo:[0,0,1] neg_hi:[0,0,1]
	v_pk_fma_f32 v[4:5], v[14:15], v[46:47], v[4:5] op_sel:[0,0,1] op_sel_hi:[1,0,0]
	v_mov_b32_e32 v7, v5
	v_pk_add_f32 v[2:3], v[2:3], v[6:7]
	v_pk_add_f32 v[2:3], v[34:35], v[2:3] neg_lo:[0,1] neg_hi:[0,1]
	buffer_store_dword v3, off, s[0:3], 0 offset:252
	buffer_store_dword v2, off, s[0:3], 0 offset:248
	s_and_saveexec_b64 s[4:5], vcc
	s_cbranch_execz .LBB54_283
; %bb.282:
	buffer_load_dword v2, off, s[0:3], 0 offset:240
	buffer_load_dword v3, off, s[0:3], 0 offset:244
	s_waitcnt vmcnt(0)
	ds_write_b64 v153, v[2:3]
	buffer_store_dword v1, off, s[0:3], 0 offset:240
	buffer_store_dword v1, off, s[0:3], 0 offset:244
.LBB54_283:
	s_or_b64 exec, exec, s[4:5]
	s_waitcnt lgkmcnt(0)
	; wave barrier
	s_waitcnt lgkmcnt(0)
	buffer_load_dword v50, off, s[0:3], 0 offset:252
	buffer_load_dword v52, off, s[0:3], 0 offset:260
	;; [unrolled: 1-line block ×34, first 2 shown]
	ds_read2_b64 v[2:5], v1 offset0:87 offset1:88
	ds_read2_b64 v[6:9], v1 offset0:89 offset1:90
	;; [unrolled: 1-line block ×8, first 2 shown]
	buffer_load_dword v37, off, s[0:3], 0 offset:396
	buffer_load_dword v36, off, s[0:3], 0 offset:392
	;; [unrolled: 1-line block ×9, first 2 shown]
	v_cmp_lt_u32_e32 vcc, 29, v0
	s_waitcnt vmcnt(42) lgkmcnt(7)
	v_mul_f32_e32 v42, v2, v50
	s_waitcnt vmcnt(41)
	v_mul_f32_e32 v46, v4, v52
	s_waitcnt vmcnt(40) lgkmcnt(6)
	v_mul_f32_e32 v47, v6, v54
	s_waitcnt vmcnt(39)
	v_mul_f32_e32 v48, v8, v58
	;; [unrolled: 4-line block ×7, first 2 shown]
	s_waitcnt vmcnt(28)
	v_fmac_f32_e32 v42, v3, v69
	s_waitcnt vmcnt(27)
	v_fmac_f32_e32 v46, v5, v70
	v_add_f32_e32 v42, 0, v42
	s_waitcnt vmcnt(26)
	v_fmac_f32_e32 v47, v7, v71
	v_add_f32_e32 v42, v42, v46
	;; [unrolled: 3-line block ×12, first 2 shown]
	v_add_f32_e32 v51, v42, v89
	buffer_load_dword v47, off, s[0:3], 0 offset:420
	buffer_load_dword v46, off, s[0:3], 0 offset:416
	;; [unrolled: 1-line block ×7, first 2 shown]
	v_mul_f32_e32 v3, v3, v50
	v_fma_f32 v2, v2, v69, -v3
	v_mul_f32_e32 v3, v5, v52
	v_add_f32_e32 v2, 0, v2
	v_fma_f32 v3, v4, v70, -v3
	v_add_f32_e32 v2, v2, v3
	v_mul_f32_e32 v3, v7, v54
	v_fma_f32 v3, v6, v71, -v3
	v_add_f32_e32 v2, v2, v3
	v_mul_f32_e32 v3, v9, v58
	;; [unrolled: 3-line block ×12, first 2 shown]
	s_waitcnt vmcnt(22)
	v_fma_f32 v3, v28, v82, -v3
	v_add_f32_e32 v50, v2, v3
	s_waitcnt vmcnt(21) lgkmcnt(0)
	v_mul_f32_e32 v2, v31, v83
	s_waitcnt vmcnt(20)
	v_fma_f32 v52, v30, v84, -v2
	s_waitcnt vmcnt(19)
	v_mul_f32_e32 v2, v33, v85
	s_waitcnt vmcnt(18)
	v_fma_f32 v54, v32, v86, -v2
	ds_read2_b64 v[2:5], v1 offset0:103 offset1:104
	ds_read2_b64 v[6:9], v1 offset0:105 offset1:106
	;; [unrolled: 1-line block ×4, first 2 shown]
	v_fmac_f32_e32 v90, v29, v82
	v_mul_f32_e32 v53, v30, v83
	s_waitcnt vmcnt(11)
	v_mov_b32_e32 v20, v41
	v_add_f32_e32 v51, v51, v90
	v_fmac_f32_e32 v53, v31, v84
	v_mul_f32_e32 v55, v32, v85
	s_waitcnt lgkmcnt(3)
	v_pk_mul_f32 v[20:21], v[2:3], v[20:21] op_sel_hi:[1,0]
	v_fmac_f32_e32 v55, v33, v86
	v_pk_add_f32 v[18:19], v[50:51], v[52:53]
	s_waitcnt vmcnt(10)
	v_pk_fma_f32 v[22:23], v[2:3], v[40:41], v[20:21] op_sel:[0,0,1] op_sel_hi:[1,1,0] neg_lo:[0,0,1] neg_hi:[0,0,1]
	v_pk_fma_f32 v[2:3], v[2:3], v[40:41], v[20:21] op_sel:[0,0,1] op_sel_hi:[1,0,0]
	v_pk_add_f32 v[18:19], v[18:19], v[54:55]
	v_mov_b32_e32 v23, v3
	v_pk_add_f32 v[2:3], v[18:19], v[22:23]
	v_mov_b32_e32 v18, v39
	v_pk_mul_f32 v[18:19], v[4:5], v[18:19] op_sel_hi:[1,0]
	v_pk_fma_f32 v[20:21], v[4:5], v[38:39], v[18:19] op_sel:[0,0,1] op_sel_hi:[1,1,0] neg_lo:[0,0,1] neg_hi:[0,0,1]
	v_pk_fma_f32 v[4:5], v[4:5], v[38:39], v[18:19] op_sel:[0,0,1] op_sel_hi:[1,0,0]
	v_mov_b32_e32 v4, v37
	v_mov_b32_e32 v21, v5
	s_waitcnt lgkmcnt(2)
	v_pk_mul_f32 v[4:5], v[6:7], v[4:5] op_sel_hi:[1,0]
	v_pk_fma_f32 v[18:19], v[6:7], v[36:37], v[4:5] op_sel:[0,0,1] op_sel_hi:[1,1,0] neg_lo:[0,0,1] neg_hi:[0,0,1]
	v_pk_fma_f32 v[4:5], v[6:7], v[36:37], v[4:5] op_sel:[0,0,1] op_sel_hi:[1,0,0]
	s_waitcnt vmcnt(9)
	v_mov_b32_e32 v4, v43
	v_mov_b32_e32 v19, v5
	v_pk_mul_f32 v[4:5], v[8:9], v[4:5] op_sel_hi:[1,0]
	v_pk_add_f32 v[2:3], v[2:3], v[20:21]
	v_pk_add_f32 v[2:3], v[2:3], v[18:19]
	s_waitcnt vmcnt(2)
	v_pk_fma_f32 v[6:7], v[8:9], v[42:43], v[4:5] op_sel:[0,0,1] op_sel_hi:[1,1,0] neg_lo:[0,0,1] neg_hi:[0,0,1]
	v_pk_fma_f32 v[4:5], v[8:9], v[42:43], v[4:5] op_sel:[0,0,1] op_sel_hi:[1,0,0]
	v_mov_b32_e32 v4, v49
	v_mov_b32_e32 v7, v5
	s_waitcnt lgkmcnt(1)
	v_pk_mul_f32 v[4:5], v[10:11], v[4:5] op_sel_hi:[1,0]
	v_pk_add_f32 v[2:3], v[2:3], v[6:7]
	v_pk_fma_f32 v[6:7], v[10:11], v[48:49], v[4:5] op_sel:[0,0,1] op_sel_hi:[1,1,0] neg_lo:[0,0,1] neg_hi:[0,0,1]
	v_pk_fma_f32 v[4:5], v[10:11], v[48:49], v[4:5] op_sel:[0,0,1] op_sel_hi:[1,0,0]
	v_mov_b32_e32 v4, v47
	v_mov_b32_e32 v7, v5
	v_pk_mul_f32 v[4:5], v[12:13], v[4:5] op_sel_hi:[1,0]
	v_pk_add_f32 v[2:3], v[2:3], v[6:7]
	v_pk_fma_f32 v[6:7], v[12:13], v[46:47], v[4:5] op_sel:[0,0,1] op_sel_hi:[1,1,0] neg_lo:[0,0,1] neg_hi:[0,0,1]
	v_pk_fma_f32 v[4:5], v[12:13], v[46:47], v[4:5] op_sel:[0,0,1] op_sel_hi:[1,0,0]
	v_mov_b32_e32 v4, v45
	v_mov_b32_e32 v7, v5
	s_waitcnt lgkmcnt(0)
	v_pk_mul_f32 v[4:5], v[14:15], v[4:5] op_sel_hi:[1,0]
	v_pk_add_f32 v[2:3], v[2:3], v[6:7]
	v_pk_fma_f32 v[6:7], v[14:15], v[44:45], v[4:5] op_sel:[0,0,1] op_sel_hi:[1,1,0] neg_lo:[0,0,1] neg_hi:[0,0,1]
	v_pk_fma_f32 v[4:5], v[14:15], v[44:45], v[4:5] op_sel:[0,0,1] op_sel_hi:[1,0,0]
	s_waitcnt vmcnt(1)
	v_mov_b32_e32 v4, v57
	v_mov_b32_e32 v7, v5
	v_pk_mul_f32 v[4:5], v[16:17], v[4:5] op_sel_hi:[1,0]
	v_pk_add_f32 v[2:3], v[2:3], v[6:7]
	s_waitcnt vmcnt(0)
	v_pk_fma_f32 v[6:7], v[16:17], v[56:57], v[4:5] op_sel:[0,0,1] op_sel_hi:[1,1,0] neg_lo:[0,0,1] neg_hi:[0,0,1]
	v_pk_fma_f32 v[4:5], v[16:17], v[56:57], v[4:5] op_sel:[0,0,1] op_sel_hi:[1,0,0]
	v_mov_b32_e32 v7, v5
	v_pk_add_f32 v[2:3], v[2:3], v[6:7]
	v_pk_add_f32 v[2:3], v[34:35], v[2:3] neg_lo:[0,1] neg_hi:[0,1]
	buffer_store_dword v3, off, s[0:3], 0 offset:244
	buffer_store_dword v2, off, s[0:3], 0 offset:240
	s_and_saveexec_b64 s[4:5], vcc
	s_cbranch_execz .LBB54_285
; %bb.284:
	buffer_load_dword v2, off, s[0:3], 0 offset:232
	buffer_load_dword v3, off, s[0:3], 0 offset:236
	v_mov_b32_e32 v1, 0
	buffer_store_dword v1, off, s[0:3], 0 offset:232
	buffer_store_dword v1, off, s[0:3], 0 offset:236
	s_waitcnt vmcnt(2)
	ds_write_b64 v153, v[2:3]
.LBB54_285:
	s_or_b64 exec, exec, s[4:5]
	s_waitcnt lgkmcnt(0)
	; wave barrier
	s_waitcnt lgkmcnt(0)
	buffer_load_dword v56, off, s[0:3], 0 offset:244
	buffer_load_dword v58, off, s[0:3], 0 offset:252
	;; [unrolled: 1-line block ×36, first 2 shown]
	v_mov_b32_e32 v1, 0
	buffer_load_dword v45, off, s[0:3], 0 offset:388
	buffer_load_dword v44, off, s[0:3], 0 offset:384
	;; [unrolled: 1-line block ×5, first 2 shown]
	ds_read_b128 v[4:7], v1 offset:688
	ds_read_b128 v[8:11], v1 offset:704
	;; [unrolled: 1-line block ×8, first 2 shown]
	v_cmp_lt_u32_e32 vcc, 28, v0
	s_waitcnt vmcnt(40) lgkmcnt(7)
	v_mul_f32_e32 v36, v4, v56
	s_waitcnt vmcnt(39)
	v_mul_f32_e32 v37, v6, v58
	s_waitcnt vmcnt(38) lgkmcnt(6)
	v_mul_f32_e32 v38, v8, v60
	s_waitcnt vmcnt(37)
	v_mul_f32_e32 v39, v10, v66
	;; [unrolled: 4-line block ×7, first 2 shown]
	s_waitcnt vmcnt(26) lgkmcnt(0)
	v_mul_f32_e32 v57, v32, v77
	s_waitcnt vmcnt(25)
	v_fmac_f32_e32 v36, v5, v78
	s_waitcnt vmcnt(24)
	v_fmac_f32_e32 v37, v7, v79
	v_add_f32_e32 v36, 0, v36
	s_waitcnt vmcnt(23)
	v_fmac_f32_e32 v38, v9, v80
	v_add_f32_e32 v36, v36, v37
	s_waitcnt vmcnt(22)
	v_fmac_f32_e32 v39, v11, v81
	v_add_f32_e32 v36, v36, v38
	s_waitcnt vmcnt(21)
	v_fmac_f32_e32 v40, v13, v82
	v_add_f32_e32 v36, v36, v39
	s_waitcnt vmcnt(20)
	v_fmac_f32_e32 v41, v15, v83
	v_add_f32_e32 v36, v36, v40
	s_waitcnt vmcnt(19)
	v_fmac_f32_e32 v42, v17, v84
	v_add_f32_e32 v36, v36, v41
	s_waitcnt vmcnt(18)
	v_fmac_f32_e32 v43, v19, v85
	v_add_f32_e32 v36, v36, v42
	s_waitcnt vmcnt(17)
	v_fmac_f32_e32 v48, v21, v86
	v_add_f32_e32 v36, v36, v43
	s_waitcnt vmcnt(16)
	v_fmac_f32_e32 v50, v23, v87
	v_add_f32_e32 v36, v36, v48
	s_waitcnt vmcnt(15)
	v_fmac_f32_e32 v51, v25, v88
	v_add_f32_e32 v36, v36, v50
	s_waitcnt vmcnt(14)
	v_fmac_f32_e32 v52, v27, v89
	v_add_f32_e32 v36, v36, v51
	s_waitcnt vmcnt(13)
	v_fmac_f32_e32 v53, v29, v90
	v_add_f32_e32 v36, v36, v52
	s_waitcnt vmcnt(12)
	v_fmac_f32_e32 v54, v31, v91
	v_add_f32_e32 v36, v36, v53
	v_add_f32_e32 v40, v36, v54
	buffer_load_dword v51, off, s[0:3], 0 offset:420
	buffer_load_dword v50, off, s[0:3], 0 offset:416
	;; [unrolled: 1-line block ×7, first 2 shown]
	s_waitcnt vmcnt(18)
	v_fmac_f32_e32 v57, v33, v92
	ds_read_b128 v[36:39], v1 offset:816
	v_add_f32_e32 v57, v40, v57
	ds_read_b128 v[40:43], v1 offset:832
	buffer_load_dword v63, off, s[0:3], 0 offset:436
	buffer_load_dword v62, off, s[0:3], 0 offset:432
	;; [unrolled: 1-line block ×4, first 2 shown]
	v_mul_f32_e32 v5, v5, v56
	v_fma_f32 v4, v4, v78, -v5
	v_mul_f32_e32 v5, v7, v58
	v_add_f32_e32 v4, 0, v4
	v_fma_f32 v5, v6, v79, -v5
	v_add_f32_e32 v4, v4, v5
	v_mul_f32_e32 v5, v9, v60
	v_fma_f32 v5, v8, v80, -v5
	v_add_f32_e32 v4, v4, v5
	v_mul_f32_e32 v5, v11, v66
	;; [unrolled: 3-line block ×13, first 2 shown]
	v_fma_f32 v5, v32, v92, -v5
	s_waitcnt vmcnt(13)
	v_mov_b32_e32 v16, v47
	v_mul_f32_e32 v59, v34, v93
	v_add_f32_e32 v56, v4, v5
	v_mul_f32_e32 v4, v35, v93
	s_waitcnt lgkmcnt(1)
	v_pk_mul_f32 v[16:17], v[38:39], v[16:17] op_sel_hi:[1,0]
	v_fmac_f32_e32 v59, v35, v94
	v_mul_f32_e32 v61, v36, v95
	v_fma_f32 v58, v34, v94, -v4
	v_mul_f32_e32 v4, v37, v95
	s_waitcnt vmcnt(12)
	v_pk_fma_f32 v[18:19], v[38:39], v[46:47], v[16:17] op_sel:[0,0,1] op_sel_hi:[1,1,0] neg_lo:[0,0,1] neg_hi:[0,0,1]
	v_pk_fma_f32 v[16:17], v[38:39], v[46:47], v[16:17] op_sel:[0,0,1] op_sel_hi:[1,0,0]
	v_fmac_f32_e32 v61, v37, v96
	v_fma_f32 v60, v36, v96, -v4
	v_pk_add_f32 v[14:15], v[56:57], v[58:59]
	v_mov_b32_e32 v16, v45
	v_pk_add_f32 v[14:15], v[14:15], v[60:61]
	v_mov_b32_e32 v19, v17
	s_waitcnt lgkmcnt(0)
	v_pk_mul_f32 v[16:17], v[40:41], v[16:17] op_sel_hi:[1,0]
	v_pk_add_f32 v[14:15], v[14:15], v[18:19]
	v_pk_fma_f32 v[18:19], v[40:41], v[44:45], v[16:17] op_sel:[0,0,1] op_sel_hi:[1,1,0] neg_lo:[0,0,1] neg_hi:[0,0,1]
	v_pk_fma_f32 v[16:17], v[40:41], v[44:45], v[16:17] op_sel:[0,0,1] op_sel_hi:[1,0,0]
	s_waitcnt vmcnt(11)
	v_mov_b32_e32 v16, v49
	ds_read_b128 v[4:7], v1 offset:848
	ds_read_b128 v[8:11], v1 offset:864
	ds_read_b64 v[12:13], v1 offset:880
	v_mov_b32_e32 v19, v17
	v_pk_mul_f32 v[16:17], v[42:43], v[16:17] op_sel_hi:[1,0]
	v_pk_add_f32 v[14:15], v[14:15], v[18:19]
	s_waitcnt vmcnt(4)
	v_pk_fma_f32 v[18:19], v[42:43], v[48:49], v[16:17] op_sel:[0,0,1] op_sel_hi:[1,1,0] neg_lo:[0,0,1] neg_hi:[0,0,1]
	v_pk_fma_f32 v[16:17], v[42:43], v[48:49], v[16:17] op_sel:[0,0,1] op_sel_hi:[1,0,0]
	v_mov_b32_e32 v16, v55
	v_mov_b32_e32 v19, v17
	s_waitcnt lgkmcnt(2)
	v_pk_mul_f32 v[16:17], v[4:5], v[16:17] op_sel_hi:[1,0]
	v_pk_add_f32 v[14:15], v[14:15], v[18:19]
	v_pk_fma_f32 v[18:19], v[4:5], v[54:55], v[16:17] op_sel:[0,0,1] op_sel_hi:[1,1,0] neg_lo:[0,0,1] neg_hi:[0,0,1]
	v_pk_fma_f32 v[4:5], v[4:5], v[54:55], v[16:17] op_sel:[0,0,1] op_sel_hi:[1,0,0]
	v_mov_b32_e32 v19, v5
	v_pk_add_f32 v[4:5], v[14:15], v[18:19]
	v_mov_b32_e32 v14, v53
	v_pk_mul_f32 v[14:15], v[6:7], v[14:15] op_sel_hi:[1,0]
	v_pk_fma_f32 v[16:17], v[6:7], v[52:53], v[14:15] op_sel:[0,0,1] op_sel_hi:[1,1,0] neg_lo:[0,0,1] neg_hi:[0,0,1]
	v_pk_fma_f32 v[6:7], v[6:7], v[52:53], v[14:15] op_sel:[0,0,1] op_sel_hi:[1,0,0]
	v_mov_b32_e32 v6, v51
	v_mov_b32_e32 v17, v7
	s_waitcnt lgkmcnt(1)
	v_pk_mul_f32 v[6:7], v[8:9], v[6:7] op_sel_hi:[1,0]
	v_pk_fma_f32 v[14:15], v[8:9], v[50:51], v[6:7] op_sel:[0,0,1] op_sel_hi:[1,1,0] neg_lo:[0,0,1] neg_hi:[0,0,1]
	v_pk_fma_f32 v[6:7], v[8:9], v[50:51], v[6:7] op_sel:[0,0,1] op_sel_hi:[1,0,0]
	s_waitcnt vmcnt(1)
	v_mov_b32_e32 v6, v65
	v_mov_b32_e32 v15, v7
	v_pk_mul_f32 v[6:7], v[10:11], v[6:7] op_sel_hi:[1,0]
	s_waitcnt vmcnt(0)
	v_pk_fma_f32 v[8:9], v[10:11], v[64:65], v[6:7] op_sel:[0,0,1] op_sel_hi:[1,1,0] neg_lo:[0,0,1] neg_hi:[0,0,1]
	v_pk_fma_f32 v[6:7], v[10:11], v[64:65], v[6:7] op_sel:[0,0,1] op_sel_hi:[1,0,0]
	v_pk_add_f32 v[4:5], v[4:5], v[16:17]
	v_mov_b32_e32 v6, v63
	v_pk_add_f32 v[4:5], v[4:5], v[14:15]
	v_mov_b32_e32 v9, v7
	s_waitcnt lgkmcnt(0)
	v_pk_mul_f32 v[6:7], v[12:13], v[6:7] op_sel_hi:[1,0]
	v_pk_add_f32 v[4:5], v[4:5], v[8:9]
	v_pk_fma_f32 v[8:9], v[12:13], v[62:63], v[6:7] op_sel:[0,0,1] op_sel_hi:[1,1,0] neg_lo:[0,0,1] neg_hi:[0,0,1]
	v_pk_fma_f32 v[6:7], v[12:13], v[62:63], v[6:7] op_sel:[0,0,1] op_sel_hi:[1,0,0]
	v_mov_b32_e32 v9, v7
	v_pk_add_f32 v[4:5], v[4:5], v[8:9]
	v_pk_add_f32 v[2:3], v[2:3], v[4:5] neg_lo:[0,1] neg_hi:[0,1]
	buffer_store_dword v3, off, s[0:3], 0 offset:236
	buffer_store_dword v2, off, s[0:3], 0 offset:232
	s_and_saveexec_b64 s[4:5], vcc
	s_cbranch_execz .LBB54_287
; %bb.286:
	buffer_load_dword v2, off, s[0:3], 0 offset:224
	buffer_load_dword v3, off, s[0:3], 0 offset:228
	s_waitcnt vmcnt(0)
	ds_write_b64 v153, v[2:3]
	buffer_store_dword v1, off, s[0:3], 0 offset:224
	buffer_store_dword v1, off, s[0:3], 0 offset:228
.LBB54_287:
	s_or_b64 exec, exec, s[4:5]
	s_waitcnt lgkmcnt(0)
	; wave barrier
	s_waitcnt lgkmcnt(0)
	buffer_load_dword v54, off, s[0:3], 0 offset:236
	buffer_load_dword v56, off, s[0:3], 0 offset:244
	;; [unrolled: 1-line block ×38, first 2 shown]
	ds_read2_b64 v[2:5], v1 offset0:85 offset1:86
	ds_read2_b64 v[6:9], v1 offset0:87 offset1:88
	;; [unrolled: 1-line block ×8, first 2 shown]
	buffer_load_dword v45, off, s[0:3], 0 offset:380
	buffer_load_dword v44, off, s[0:3], 0 offset:376
	;; [unrolled: 1-line block ×4, first 2 shown]
	v_cmp_lt_u32_e32 vcc, 27, v0
	s_waitcnt vmcnt(41) lgkmcnt(7)
	v_mul_f32_e32 v34, v2, v54
	s_waitcnt vmcnt(40)
	v_mul_f32_e32 v35, v4, v56
	s_waitcnt vmcnt(39) lgkmcnt(6)
	v_mul_f32_e32 v36, v6, v58
	s_waitcnt vmcnt(38)
	v_mul_f32_e32 v37, v8, v66
	;; [unrolled: 4-line block ×7, first 2 shown]
	s_waitcnt vmcnt(27) lgkmcnt(0)
	v_mul_f32_e32 v55, v30, v77
	s_waitcnt vmcnt(26)
	v_fmac_f32_e32 v34, v3, v78
	s_waitcnt vmcnt(25)
	v_fmac_f32_e32 v35, v5, v79
	v_add_f32_e32 v34, 0, v34
	s_waitcnt vmcnt(24)
	v_fmac_f32_e32 v36, v7, v80
	v_add_f32_e32 v34, v34, v35
	;; [unrolled: 3-line block ×13, first 2 shown]
	v_add_f32_e32 v34, v34, v53
	buffer_load_dword v49, off, s[0:3], 0 offset:404
	buffer_load_dword v48, off, s[0:3], 0 offset:400
	buffer_load_dword v51, off, s[0:3], 0 offset:396
	buffer_load_dword v50, off, s[0:3], 0 offset:392
	buffer_load_dword v53, off, s[0:3], 0 offset:388
	buffer_load_dword v52, off, s[0:3], 0 offset:384
	s_waitcnt vmcnt(18)
	v_fmac_f32_e32 v55, v31, v92
	s_waitcnt vmcnt(17)
	v_mul_f32_e32 v39, v32, v93
	v_add_f32_e32 v38, v34, v55
	s_waitcnt vmcnt(16)
	v_fmac_f32_e32 v39, v33, v94
	ds_read2_b64 v[34:37], v1 offset0:101 offset1:102
	v_add_f32_e32 v55, v38, v39
	ds_read2_b64 v[38:41], v1 offset0:103 offset1:104
	buffer_load_dword v61, off, s[0:3], 0 offset:436
	buffer_load_dword v60, off, s[0:3], 0 offset:432
	;; [unrolled: 1-line block ×6, first 2 shown]
	v_mul_f32_e32 v3, v3, v54
	v_fma_f32 v2, v2, v78, -v3
	v_mul_f32_e32 v3, v5, v56
	v_add_f32_e32 v2, 0, v2
	v_fma_f32 v3, v4, v79, -v3
	v_add_f32_e32 v2, v2, v3
	v_mul_f32_e32 v3, v7, v58
	v_fma_f32 v3, v6, v80, -v3
	v_add_f32_e32 v2, v2, v3
	v_mul_f32_e32 v3, v9, v66
	;; [unrolled: 3-line block ×14, first 2 shown]
	v_fma_f32 v3, v32, v94, -v3
	s_waitcnt vmcnt(15)
	v_mov_b32_e32 v16, v45
	s_waitcnt lgkmcnt(1)
	v_mul_f32_e32 v57, v34, v95
	v_add_f32_e32 v54, v2, v3
	v_mul_f32_e32 v2, v35, v95
	s_waitcnt lgkmcnt(0)
	v_pk_mul_f32 v[16:17], v[38:39], v[16:17] op_sel_hi:[1,0]
	v_fmac_f32_e32 v57, v35, v96
	v_mul_f32_e32 v59, v36, v97
	v_fma_f32 v56, v34, v96, -v2
	v_mul_f32_e32 v2, v37, v97
	s_waitcnt vmcnt(14)
	v_pk_fma_f32 v[18:19], v[38:39], v[44:45], v[16:17] op_sel:[0,0,1] op_sel_hi:[1,1,0] neg_lo:[0,0,1] neg_hi:[0,0,1]
	v_pk_fma_f32 v[16:17], v[38:39], v[44:45], v[16:17] op_sel:[0,0,1] op_sel_hi:[1,0,0]
	v_fmac_f32_e32 v59, v37, v98
	v_fma_f32 v58, v36, v98, -v2
	v_pk_add_f32 v[14:15], v[54:55], v[56:57]
	ds_read2_b64 v[2:5], v1 offset0:105 offset1:106
	ds_read2_b64 v[6:9], v1 offset0:107 offset1:108
	;; [unrolled: 1-line block ×3, first 2 shown]
	v_pk_add_f32 v[14:15], v[14:15], v[58:59]
	v_mov_b32_e32 v19, v17
	v_pk_add_f32 v[14:15], v[14:15], v[18:19]
	s_waitcnt vmcnt(7)
	v_mov_b32_e32 v16, v53
	v_pk_mul_f32 v[16:17], v[40:41], v[16:17] op_sel_hi:[1,0]
	s_waitcnt vmcnt(6)
	v_pk_fma_f32 v[18:19], v[40:41], v[52:53], v[16:17] op_sel:[0,0,1] op_sel_hi:[1,1,0] neg_lo:[0,0,1] neg_hi:[0,0,1]
	v_pk_fma_f32 v[16:17], v[40:41], v[52:53], v[16:17] op_sel:[0,0,1] op_sel_hi:[1,0,0]
	v_mov_b32_e32 v16, v51
	v_mov_b32_e32 v19, v17
	s_waitcnt lgkmcnt(2)
	v_pk_mul_f32 v[16:17], v[2:3], v[16:17] op_sel_hi:[1,0]
	v_pk_add_f32 v[14:15], v[14:15], v[18:19]
	v_pk_fma_f32 v[18:19], v[2:3], v[50:51], v[16:17] op_sel:[0,0,1] op_sel_hi:[1,1,0] neg_lo:[0,0,1] neg_hi:[0,0,1]
	v_pk_fma_f32 v[2:3], v[2:3], v[50:51], v[16:17] op_sel:[0,0,1] op_sel_hi:[1,0,0]
	v_mov_b32_e32 v19, v3
	v_pk_add_f32 v[2:3], v[14:15], v[18:19]
	v_mov_b32_e32 v14, v49
	v_pk_mul_f32 v[14:15], v[4:5], v[14:15] op_sel_hi:[1,0]
	v_pk_fma_f32 v[16:17], v[4:5], v[48:49], v[14:15] op_sel:[0,0,1] op_sel_hi:[1,1,0] neg_lo:[0,0,1] neg_hi:[0,0,1]
	v_pk_fma_f32 v[4:5], v[4:5], v[48:49], v[14:15] op_sel:[0,0,1] op_sel_hi:[1,0,0]
	v_mov_b32_e32 v4, v47
	v_mov_b32_e32 v17, v5
	s_waitcnt lgkmcnt(1)
	v_pk_mul_f32 v[4:5], v[6:7], v[4:5] op_sel_hi:[1,0]
	v_pk_fma_f32 v[14:15], v[6:7], v[46:47], v[4:5] op_sel:[0,0,1] op_sel_hi:[1,1,0] neg_lo:[0,0,1] neg_hi:[0,0,1]
	v_pk_fma_f32 v[4:5], v[6:7], v[46:47], v[4:5] op_sel:[0,0,1] op_sel_hi:[1,0,0]
	s_waitcnt vmcnt(1)
	v_mov_b32_e32 v4, v65
	v_mov_b32_e32 v15, v5
	v_pk_mul_f32 v[4:5], v[8:9], v[4:5] op_sel_hi:[1,0]
	s_waitcnt vmcnt(0)
	v_pk_fma_f32 v[6:7], v[8:9], v[64:65], v[4:5] op_sel:[0,0,1] op_sel_hi:[1,1,0] neg_lo:[0,0,1] neg_hi:[0,0,1]
	v_pk_fma_f32 v[4:5], v[8:9], v[64:65], v[4:5] op_sel:[0,0,1] op_sel_hi:[1,0,0]
	v_pk_add_f32 v[2:3], v[2:3], v[16:17]
	v_mov_b32_e32 v4, v63
	v_pk_add_f32 v[2:3], v[2:3], v[14:15]
	v_mov_b32_e32 v7, v5
	s_waitcnt lgkmcnt(0)
	v_pk_mul_f32 v[4:5], v[10:11], v[4:5] op_sel_hi:[1,0]
	v_pk_add_f32 v[2:3], v[2:3], v[6:7]
	v_pk_fma_f32 v[6:7], v[10:11], v[62:63], v[4:5] op_sel:[0,0,1] op_sel_hi:[1,1,0] neg_lo:[0,0,1] neg_hi:[0,0,1]
	v_pk_fma_f32 v[4:5], v[10:11], v[62:63], v[4:5] op_sel:[0,0,1] op_sel_hi:[1,0,0]
	v_mov_b32_e32 v4, v61
	v_mov_b32_e32 v7, v5
	v_pk_mul_f32 v[4:5], v[12:13], v[4:5] op_sel_hi:[1,0]
	v_pk_add_f32 v[2:3], v[2:3], v[6:7]
	v_pk_fma_f32 v[6:7], v[12:13], v[60:61], v[4:5] op_sel:[0,0,1] op_sel_hi:[1,1,0] neg_lo:[0,0,1] neg_hi:[0,0,1]
	v_pk_fma_f32 v[4:5], v[12:13], v[60:61], v[4:5] op_sel:[0,0,1] op_sel_hi:[1,0,0]
	v_mov_b32_e32 v7, v5
	v_pk_add_f32 v[2:3], v[2:3], v[6:7]
	v_pk_add_f32 v[2:3], v[42:43], v[2:3] neg_lo:[0,1] neg_hi:[0,1]
	buffer_store_dword v3, off, s[0:3], 0 offset:228
	buffer_store_dword v2, off, s[0:3], 0 offset:224
	s_and_saveexec_b64 s[4:5], vcc
	s_cbranch_execz .LBB54_289
; %bb.288:
	buffer_load_dword v2, off, s[0:3], 0 offset:216
	buffer_load_dword v3, off, s[0:3], 0 offset:220
	v_mov_b32_e32 v1, 0
	buffer_store_dword v1, off, s[0:3], 0 offset:216
	buffer_store_dword v1, off, s[0:3], 0 offset:220
	s_waitcnt vmcnt(2)
	ds_write_b64 v153, v[2:3]
.LBB54_289:
	s_or_b64 exec, exec, s[4:5]
	s_waitcnt lgkmcnt(0)
	; wave barrier
	s_waitcnt lgkmcnt(0)
	buffer_load_dword v52, off, s[0:3], 0 offset:228
	buffer_load_dword v54, off, s[0:3], 0 offset:236
	;; [unrolled: 1-line block ×40, first 2 shown]
	v_mov_b32_e32 v1, 0
	ds_read_b128 v[4:7], v1 offset:672
	ds_read_b128 v[8:11], v1 offset:688
	;; [unrolled: 1-line block ×8, first 2 shown]
	v_cmp_lt_u32_e32 vcc, 26, v0
	s_waitcnt vmcnt(39) lgkmcnt(7)
	v_mul_f32_e32 v36, v4, v52
	s_waitcnt vmcnt(38)
	v_mul_f32_e32 v37, v6, v54
	s_waitcnt vmcnt(37) lgkmcnt(6)
	v_mul_f32_e32 v38, v8, v56
	s_waitcnt vmcnt(36)
	v_mul_f32_e32 v39, v10, v66
	;; [unrolled: 4-line block ×8, first 2 shown]
	s_waitcnt vmcnt(23)
	v_fmac_f32_e32 v36, v5, v79
	s_waitcnt vmcnt(22)
	v_fmac_f32_e32 v37, v7, v80
	v_add_f32_e32 v36, 0, v36
	s_waitcnt vmcnt(21)
	v_fmac_f32_e32 v38, v9, v81
	v_add_f32_e32 v36, v36, v37
	;; [unrolled: 3-line block ×14, first 2 shown]
	v_add_f32_e32 v36, v36, v50
	s_waitcnt vmcnt(8)
	v_fmac_f32_e32 v51, v35, v94
	v_add_f32_e32 v53, v36, v51
	ds_read_b128 v[36:39], v1 offset:800
	buffer_load_dword v45, off, s[0:3], 0 offset:380
	buffer_load_dword v47, off, s[0:3], 0 offset:404
	;; [unrolled: 1-line block ×8, first 2 shown]
	ds_read_b128 v[40:43], v1 offset:816
	buffer_load_dword v59, off, s[0:3], 0 offset:436
	buffer_load_dword v58, off, s[0:3], 0 offset:432
	buffer_load_dword v61, off, s[0:3], 0 offset:428
	buffer_load_dword v60, off, s[0:3], 0 offset:424
	buffer_load_dword v63, off, s[0:3], 0 offset:420
	buffer_load_dword v62, off, s[0:3], 0 offset:416
	buffer_load_dword v65, off, s[0:3], 0 offset:412
	buffer_load_dword v64, off, s[0:3], 0 offset:408
	v_mul_f32_e32 v5, v5, v52
	v_fma_f32 v4, v4, v79, -v5
	v_mul_f32_e32 v5, v7, v54
	v_add_f32_e32 v4, 0, v4
	v_fma_f32 v5, v6, v80, -v5
	v_add_f32_e32 v4, v4, v5
	v_mul_f32_e32 v5, v9, v56
	v_fma_f32 v5, v8, v81, -v5
	v_add_f32_e32 v4, v4, v5
	v_mul_f32_e32 v5, v11, v66
	;; [unrolled: 3-line block ×14, first 2 shown]
	v_fma_f32 v5, v34, v94, -v5
	v_add_f32_e32 v4, v4, v5
	s_waitcnt vmcnt(23) lgkmcnt(1)
	v_mul_f32_e32 v5, v37, v95
	v_mul_f32_e32 v55, v36, v95
	s_waitcnt vmcnt(22)
	v_fma_f32 v5, v36, v96, -v5
	v_fmac_f32_e32 v55, v37, v96
	v_add_f32_e32 v52, v4, v5
	s_waitcnt vmcnt(21)
	v_mul_f32_e32 v4, v39, v97
	v_add_f32_e32 v53, v53, v55
	v_mul_f32_e32 v55, v38, v97
	s_waitcnt vmcnt(20)
	v_fma_f32 v54, v38, v98, -v4
	s_waitcnt vmcnt(19) lgkmcnt(0)
	v_mul_f32_e32 v4, v41, v99
	v_fmac_f32_e32 v55, v39, v98
	v_mul_f32_e32 v57, v40, v99
	s_waitcnt vmcnt(18)
	v_fma_f32 v56, v40, v100, -v4
	ds_read_b128 v[4:7], v1 offset:832
	ds_read_b128 v[8:11], v1 offset:848
	;; [unrolled: 1-line block ×3, first 2 shown]
	ds_read_b64 v[16:17], v1 offset:880
	v_fmac_f32_e32 v57, v41, v100
	v_pk_add_f32 v[18:19], v[52:53], v[54:55]
	v_pk_add_f32 v[18:19], v[18:19], v[56:57]
	s_waitcnt vmcnt(15)
	v_mov_b32_e32 v20, v45
	v_pk_mul_f32 v[20:21], v[42:43], v[20:21] op_sel_hi:[1,0]
	s_waitcnt vmcnt(8)
	v_pk_fma_f32 v[22:23], v[42:43], v[44:45], v[20:21] op_sel:[0,0,1] op_sel_hi:[1,1,0] neg_lo:[0,0,1] neg_hi:[0,0,1]
	v_pk_fma_f32 v[20:21], v[42:43], v[44:45], v[20:21] op_sel:[0,0,1] op_sel_hi:[1,0,0]
	v_mov_b32_e32 v20, v51
	v_mov_b32_e32 v23, v21
	s_waitcnt lgkmcnt(3)
	v_pk_mul_f32 v[20:21], v[4:5], v[20:21] op_sel_hi:[1,0]
	v_pk_add_f32 v[18:19], v[18:19], v[22:23]
	v_pk_fma_f32 v[22:23], v[4:5], v[50:51], v[20:21] op_sel:[0,0,1] op_sel_hi:[1,1,0] neg_lo:[0,0,1] neg_hi:[0,0,1]
	v_pk_fma_f32 v[4:5], v[4:5], v[50:51], v[20:21] op_sel:[0,0,1] op_sel_hi:[1,0,0]
	v_mov_b32_e32 v23, v5
	v_pk_add_f32 v[4:5], v[18:19], v[22:23]
	v_mov_b32_e32 v18, v49
	v_pk_mul_f32 v[18:19], v[6:7], v[18:19] op_sel_hi:[1,0]
	v_pk_fma_f32 v[20:21], v[6:7], v[48:49], v[18:19] op_sel:[0,0,1] op_sel_hi:[1,1,0] neg_lo:[0,0,1] neg_hi:[0,0,1]
	v_pk_fma_f32 v[6:7], v[6:7], v[48:49], v[18:19] op_sel:[0,0,1] op_sel_hi:[1,0,0]
	v_mov_b32_e32 v6, v47
	v_mov_b32_e32 v21, v7
	s_waitcnt lgkmcnt(2)
	v_pk_mul_f32 v[6:7], v[8:9], v[6:7] op_sel_hi:[1,0]
	v_pk_fma_f32 v[18:19], v[8:9], v[46:47], v[6:7] op_sel:[0,0,1] op_sel_hi:[1,1,0] neg_lo:[0,0,1] neg_hi:[0,0,1]
	v_pk_fma_f32 v[6:7], v[8:9], v[46:47], v[6:7] op_sel:[0,0,1] op_sel_hi:[1,0,0]
	s_waitcnt vmcnt(1)
	v_mov_b32_e32 v6, v65
	v_mov_b32_e32 v19, v7
	v_pk_mul_f32 v[6:7], v[10:11], v[6:7] op_sel_hi:[1,0]
	s_waitcnt vmcnt(0)
	v_pk_fma_f32 v[8:9], v[10:11], v[64:65], v[6:7] op_sel:[0,0,1] op_sel_hi:[1,1,0] neg_lo:[0,0,1] neg_hi:[0,0,1]
	v_pk_fma_f32 v[6:7], v[10:11], v[64:65], v[6:7] op_sel:[0,0,1] op_sel_hi:[1,0,0]
	v_pk_add_f32 v[4:5], v[4:5], v[20:21]
	v_mov_b32_e32 v6, v63
	v_pk_add_f32 v[4:5], v[4:5], v[18:19]
	v_mov_b32_e32 v9, v7
	s_waitcnt lgkmcnt(1)
	v_pk_mul_f32 v[6:7], v[12:13], v[6:7] op_sel_hi:[1,0]
	v_pk_add_f32 v[4:5], v[4:5], v[8:9]
	v_pk_fma_f32 v[8:9], v[12:13], v[62:63], v[6:7] op_sel:[0,0,1] op_sel_hi:[1,1,0] neg_lo:[0,0,1] neg_hi:[0,0,1]
	v_pk_fma_f32 v[6:7], v[12:13], v[62:63], v[6:7] op_sel:[0,0,1] op_sel_hi:[1,0,0]
	v_mov_b32_e32 v6, v61
	v_mov_b32_e32 v9, v7
	v_pk_mul_f32 v[6:7], v[14:15], v[6:7] op_sel_hi:[1,0]
	v_pk_add_f32 v[4:5], v[4:5], v[8:9]
	v_pk_fma_f32 v[8:9], v[14:15], v[60:61], v[6:7] op_sel:[0,0,1] op_sel_hi:[1,1,0] neg_lo:[0,0,1] neg_hi:[0,0,1]
	v_pk_fma_f32 v[6:7], v[14:15], v[60:61], v[6:7] op_sel:[0,0,1] op_sel_hi:[1,0,0]
	v_mov_b32_e32 v6, v59
	v_mov_b32_e32 v9, v7
	s_waitcnt lgkmcnt(0)
	v_pk_mul_f32 v[6:7], v[16:17], v[6:7] op_sel_hi:[1,0]
	v_pk_add_f32 v[4:5], v[4:5], v[8:9]
	v_pk_fma_f32 v[8:9], v[16:17], v[58:59], v[6:7] op_sel:[0,0,1] op_sel_hi:[1,1,0] neg_lo:[0,0,1] neg_hi:[0,0,1]
	v_pk_fma_f32 v[6:7], v[16:17], v[58:59], v[6:7] op_sel:[0,0,1] op_sel_hi:[1,0,0]
	v_mov_b32_e32 v9, v7
	v_pk_add_f32 v[4:5], v[4:5], v[8:9]
	v_pk_add_f32 v[2:3], v[2:3], v[4:5] neg_lo:[0,1] neg_hi:[0,1]
	buffer_store_dword v3, off, s[0:3], 0 offset:220
	buffer_store_dword v2, off, s[0:3], 0 offset:216
	s_and_saveexec_b64 s[4:5], vcc
	s_cbranch_execz .LBB54_291
; %bb.290:
	buffer_load_dword v2, off, s[0:3], 0 offset:208
	buffer_load_dword v3, off, s[0:3], 0 offset:212
	s_waitcnt vmcnt(0)
	ds_write_b64 v153, v[2:3]
	buffer_store_dword v1, off, s[0:3], 0 offset:208
	buffer_store_dword v1, off, s[0:3], 0 offset:212
.LBB54_291:
	s_or_b64 exec, exec, s[4:5]
	s_waitcnt lgkmcnt(0)
	; wave barrier
	s_waitcnt lgkmcnt(0)
	buffer_load_dword v44, off, s[0:3], 0 offset:220
	buffer_load_dword v46, off, s[0:3], 0 offset:228
	;; [unrolled: 1-line block ×42, first 2 shown]
	ds_read2_b64 v[4:7], v1 offset0:83 offset1:84
	ds_read2_b64 v[8:11], v1 offset0:85 offset1:86
	;; [unrolled: 1-line block ×8, first 2 shown]
	v_cmp_lt_u32_e32 vcc, 25, v0
	s_waitcnt vmcnt(41) lgkmcnt(7)
	v_mul_f32_e32 v36, v4, v44
	s_waitcnt vmcnt(40)
	v_mul_f32_e32 v37, v6, v46
	s_waitcnt vmcnt(39) lgkmcnt(6)
	v_mul_f32_e32 v38, v8, v54
	s_waitcnt vmcnt(38)
	v_mul_f32_e32 v39, v10, v66
	;; [unrolled: 4-line block ×7, first 2 shown]
	s_waitcnt vmcnt(27) lgkmcnt(0)
	v_mul_f32_e32 v52, v32, v77
	s_waitcnt vmcnt(26)
	v_fmac_f32_e32 v36, v5, v78
	s_waitcnt vmcnt(25)
	v_fmac_f32_e32 v37, v7, v79
	v_add_f32_e32 v36, 0, v36
	s_waitcnt vmcnt(24)
	v_fmac_f32_e32 v38, v9, v80
	v_add_f32_e32 v36, v36, v37
	;; [unrolled: 3-line block ×14, first 2 shown]
	s_waitcnt vmcnt(11)
	v_mul_f32_e32 v41, v34, v93
	v_add_f32_e32 v40, v36, v52
	s_waitcnt vmcnt(10)
	v_fmac_f32_e32 v41, v35, v94
	ds_read2_b64 v[36:39], v1 offset0:99 offset1:100
	v_add_f32_e32 v45, v40, v41
	ds_read2_b64 v[40:43], v1 offset0:101 offset1:102
	buffer_load_dword v49, off, s[0:3], 0 offset:380
	buffer_load_dword v51, off, s[0:3], 0 offset:396
	;; [unrolled: 1-line block ×16, first 2 shown]
	v_mul_f32_e32 v5, v5, v44
	v_fma_f32 v4, v4, v78, -v5
	v_mul_f32_e32 v5, v7, v46
	v_add_f32_e32 v4, 0, v4
	v_fma_f32 v5, v6, v79, -v5
	v_add_f32_e32 v4, v4, v5
	v_mul_f32_e32 v5, v9, v54
	v_fma_f32 v5, v8, v80, -v5
	v_add_f32_e32 v4, v4, v5
	v_mul_f32_e32 v5, v11, v66
	;; [unrolled: 3-line block ×14, first 2 shown]
	v_fma_f32 v5, v34, v94, -v5
	v_add_f32_e32 v4, v4, v5
	s_waitcnt vmcnt(25) lgkmcnt(1)
	v_mul_f32_e32 v5, v37, v95
	s_waitcnt vmcnt(24)
	v_fma_f32 v5, v36, v96, -v5
	v_add_f32_e32 v4, v4, v5
	s_waitcnt vmcnt(23)
	v_mul_f32_e32 v5, v39, v97
	v_mul_f32_e32 v47, v36, v95
	s_waitcnt vmcnt(22)
	v_fma_f32 v5, v38, v98, -v5
	v_fmac_f32_e32 v47, v37, v96
	v_add_f32_e32 v44, v4, v5
	s_waitcnt vmcnt(21) lgkmcnt(0)
	v_mul_f32_e32 v4, v41, v99
	v_add_f32_e32 v45, v45, v47
	v_mul_f32_e32 v47, v38, v97
	s_waitcnt vmcnt(20)
	v_fma_f32 v46, v40, v100, -v4
	s_waitcnt vmcnt(19)
	v_mul_f32_e32 v4, v43, v101
	v_fmac_f32_e32 v47, v39, v98
	s_waitcnt vmcnt(18)
	v_fma_f32 v54, v42, v102, -v4
	ds_read2_b64 v[4:7], v1 offset0:103 offset1:104
	ds_read2_b64 v[8:11], v1 offset0:105 offset1:106
	;; [unrolled: 1-line block ×4, first 2 shown]
	v_add_f32_e32 v45, v45, v47
	v_mul_f32_e32 v47, v40, v99
	v_fmac_f32_e32 v47, v41, v100
	v_mul_f32_e32 v55, v42, v101
	v_fmac_f32_e32 v55, v43, v102
	v_pk_add_f32 v[20:21], v[44:45], v[46:47]
	v_pk_add_f32 v[20:21], v[20:21], v[54:55]
	s_waitcnt vmcnt(15)
	v_mov_b32_e32 v22, v49
	s_waitcnt lgkmcnt(3)
	v_pk_mul_f32 v[22:23], v[4:5], v[22:23] op_sel_hi:[1,0]
	s_waitcnt vmcnt(10)
	v_pk_fma_f32 v[24:25], v[4:5], v[48:49], v[22:23] op_sel:[0,0,1] op_sel_hi:[1,1,0] neg_lo:[0,0,1] neg_hi:[0,0,1]
	v_pk_fma_f32 v[4:5], v[4:5], v[48:49], v[22:23] op_sel:[0,0,1] op_sel_hi:[1,0,0]
	v_mov_b32_e32 v25, v5
	v_pk_add_f32 v[4:5], v[20:21], v[24:25]
	v_mov_b32_e32 v20, v53
	v_pk_mul_f32 v[20:21], v[6:7], v[20:21] op_sel_hi:[1,0]
	v_pk_fma_f32 v[22:23], v[6:7], v[52:53], v[20:21] op_sel:[0,0,1] op_sel_hi:[1,1,0] neg_lo:[0,0,1] neg_hi:[0,0,1]
	v_pk_fma_f32 v[6:7], v[6:7], v[52:53], v[20:21] op_sel:[0,0,1] op_sel_hi:[1,0,0]
	v_mov_b32_e32 v6, v51
	v_mov_b32_e32 v23, v7
	s_waitcnt lgkmcnt(2)
	v_pk_mul_f32 v[6:7], v[8:9], v[6:7] op_sel_hi:[1,0]
	v_pk_fma_f32 v[20:21], v[8:9], v[50:51], v[6:7] op_sel:[0,0,1] op_sel_hi:[1,1,0] neg_lo:[0,0,1] neg_hi:[0,0,1]
	v_pk_fma_f32 v[6:7], v[8:9], v[50:51], v[6:7] op_sel:[0,0,1] op_sel_hi:[1,0,0]
	s_waitcnt vmcnt(3)
	v_mov_b32_e32 v6, v63
	v_mov_b32_e32 v21, v7
	v_pk_mul_f32 v[6:7], v[10:11], v[6:7] op_sel_hi:[1,0]
	s_waitcnt vmcnt(2)
	v_pk_fma_f32 v[8:9], v[10:11], v[62:63], v[6:7] op_sel:[0,0,1] op_sel_hi:[1,1,0] neg_lo:[0,0,1] neg_hi:[0,0,1]
	v_pk_fma_f32 v[6:7], v[10:11], v[62:63], v[6:7] op_sel:[0,0,1] op_sel_hi:[1,0,0]
	v_pk_add_f32 v[4:5], v[4:5], v[22:23]
	v_mov_b32_e32 v6, v61
	v_pk_add_f32 v[4:5], v[4:5], v[20:21]
	v_mov_b32_e32 v9, v7
	s_waitcnt lgkmcnt(1)
	v_pk_mul_f32 v[6:7], v[12:13], v[6:7] op_sel_hi:[1,0]
	v_pk_add_f32 v[4:5], v[4:5], v[8:9]
	v_pk_fma_f32 v[8:9], v[12:13], v[60:61], v[6:7] op_sel:[0,0,1] op_sel_hi:[1,1,0] neg_lo:[0,0,1] neg_hi:[0,0,1]
	v_pk_fma_f32 v[6:7], v[12:13], v[60:61], v[6:7] op_sel:[0,0,1] op_sel_hi:[1,0,0]
	v_mov_b32_e32 v6, v59
	v_mov_b32_e32 v9, v7
	v_pk_mul_f32 v[6:7], v[14:15], v[6:7] op_sel_hi:[1,0]
	v_pk_add_f32 v[4:5], v[4:5], v[8:9]
	v_pk_fma_f32 v[8:9], v[14:15], v[58:59], v[6:7] op_sel:[0,0,1] op_sel_hi:[1,1,0] neg_lo:[0,0,1] neg_hi:[0,0,1]
	v_pk_fma_f32 v[6:7], v[14:15], v[58:59], v[6:7] op_sel:[0,0,1] op_sel_hi:[1,0,0]
	v_mov_b32_e32 v6, v57
	v_mov_b32_e32 v9, v7
	s_waitcnt lgkmcnt(0)
	v_pk_mul_f32 v[6:7], v[16:17], v[6:7] op_sel_hi:[1,0]
	v_pk_add_f32 v[4:5], v[4:5], v[8:9]
	v_pk_fma_f32 v[8:9], v[16:17], v[56:57], v[6:7] op_sel:[0,0,1] op_sel_hi:[1,1,0] neg_lo:[0,0,1] neg_hi:[0,0,1]
	v_pk_fma_f32 v[6:7], v[16:17], v[56:57], v[6:7] op_sel:[0,0,1] op_sel_hi:[1,0,0]
	s_waitcnt vmcnt(1)
	v_mov_b32_e32 v6, v65
	v_mov_b32_e32 v9, v7
	v_pk_mul_f32 v[6:7], v[18:19], v[6:7] op_sel_hi:[1,0]
	v_pk_add_f32 v[4:5], v[4:5], v[8:9]
	s_waitcnt vmcnt(0)
	v_pk_fma_f32 v[8:9], v[18:19], v[64:65], v[6:7] op_sel:[0,0,1] op_sel_hi:[1,1,0] neg_lo:[0,0,1] neg_hi:[0,0,1]
	v_pk_fma_f32 v[6:7], v[18:19], v[64:65], v[6:7] op_sel:[0,0,1] op_sel_hi:[1,0,0]
	v_mov_b32_e32 v9, v7
	v_pk_add_f32 v[4:5], v[4:5], v[8:9]
	v_pk_add_f32 v[2:3], v[2:3], v[4:5] neg_lo:[0,1] neg_hi:[0,1]
	buffer_store_dword v3, off, s[0:3], 0 offset:212
	buffer_store_dword v2, off, s[0:3], 0 offset:208
	s_and_saveexec_b64 s[4:5], vcc
	s_cbranch_execz .LBB54_293
; %bb.292:
	buffer_load_dword v2, off, s[0:3], 0 offset:200
	buffer_load_dword v3, off, s[0:3], 0 offset:204
	v_mov_b32_e32 v1, 0
	buffer_store_dword v1, off, s[0:3], 0 offset:200
	buffer_store_dword v1, off, s[0:3], 0 offset:204
	s_waitcnt vmcnt(2)
	ds_write_b64 v153, v[2:3]
.LBB54_293:
	s_or_b64 exec, exec, s[4:5]
	s_waitcnt lgkmcnt(0)
	; wave barrier
	s_waitcnt lgkmcnt(0)
	buffer_load_dword v52, off, s[0:3], 0 offset:212
	buffer_load_dword v58, off, s[0:3], 0 offset:220
	;; [unrolled: 1-line block ×44, first 2 shown]
	v_mov_b32_e32 v1, 0
	ds_read_b128 v[4:7], v1 offset:656
	ds_read_b128 v[8:11], v1 offset:672
	;; [unrolled: 1-line block ×8, first 2 shown]
	v_cmp_lt_u32_e32 vcc, 24, v0
	s_waitcnt vmcnt(43) lgkmcnt(7)
	v_mul_f32_e32 v36, v4, v52
	s_waitcnt vmcnt(42)
	v_mul_f32_e32 v37, v6, v58
	s_waitcnt vmcnt(41) lgkmcnt(6)
	v_mul_f32_e32 v38, v8, v60
	s_waitcnt vmcnt(40)
	v_mul_f32_e32 v39, v10, v74
	;; [unrolled: 4-line block ×7, first 2 shown]
	s_waitcnt vmcnt(29)
	v_fmac_f32_e32 v36, v5, v85
	s_waitcnt vmcnt(28)
	v_fmac_f32_e32 v37, v7, v86
	v_add_f32_e32 v36, 0, v36
	s_waitcnt vmcnt(27)
	v_fmac_f32_e32 v38, v9, v87
	v_add_f32_e32 v36, v36, v37
	;; [unrolled: 3-line block ×12, first 2 shown]
	v_add_f32_e32 v36, v36, v48
	s_waitcnt vmcnt(16)
	v_fmac_f32_e32 v49, v31, v98
	s_waitcnt vmcnt(15) lgkmcnt(0)
	v_mul_f32_e32 v37, v32, v99
	v_add_f32_e32 v36, v36, v49
	s_waitcnt vmcnt(14)
	v_fmac_f32_e32 v37, v33, v100
	v_add_f32_e32 v40, v36, v37
	ds_read_b128 v[36:39], v1 offset:784
	s_waitcnt vmcnt(13)
	v_mul_f32_e32 v41, v34, v101
	s_waitcnt vmcnt(12)
	v_fmac_f32_e32 v41, v35, v102
	v_add_f32_e32 v44, v40, v41
	ds_read_b128 v[40:43], v1 offset:800
	s_waitcnt vmcnt(11) lgkmcnt(1)
	v_mul_f32_e32 v45, v36, v103
	s_waitcnt vmcnt(10)
	v_fmac_f32_e32 v45, v37, v104
	v_add_f32_e32 v44, v44, v45
	s_waitcnt vmcnt(9)
	v_mul_f32_e32 v45, v38, v105
	s_waitcnt vmcnt(8)
	v_fmac_f32_e32 v45, v39, v106
	v_add_f32_e32 v44, v44, v45
	s_waitcnt vmcnt(7) lgkmcnt(0)
	v_mul_f32_e32 v45, v40, v107
	s_waitcnt vmcnt(6)
	v_fmac_f32_e32 v45, v41, v108
	v_add_f32_e32 v53, v44, v45
	ds_read_b128 v[44:47], v1 offset:816
	buffer_load_dword v55, off, s[0:3], 0 offset:388
	buffer_load_dword v54, off, s[0:3], 0 offset:384
	;; [unrolled: 1-line block ×4, first 2 shown]
	ds_read_b128 v[48:51], v1 offset:832
	buffer_load_dword v63, off, s[0:3], 0 offset:420
	buffer_load_dword v62, off, s[0:3], 0 offset:416
	;; [unrolled: 1-line block ×12, first 2 shown]
	v_mul_f32_e32 v5, v5, v52
	v_fma_f32 v4, v4, v85, -v5
	v_mul_f32_e32 v5, v7, v58
	v_add_f32_e32 v4, 0, v4
	v_fma_f32 v5, v6, v86, -v5
	v_add_f32_e32 v4, v4, v5
	v_mul_f32_e32 v5, v9, v60
	v_fma_f32 v5, v8, v87, -v5
	v_add_f32_e32 v4, v4, v5
	v_mul_f32_e32 v5, v11, v74
	;; [unrolled: 3-line block ×17, first 2 shown]
	v_fma_f32 v5, v40, v108, -v5
	s_waitcnt vmcnt(21)
	v_mul_f32_e32 v59, v42, v109
	v_add_f32_e32 v52, v4, v5
	v_mul_f32_e32 v4, v43, v109
	s_waitcnt vmcnt(20)
	v_fmac_f32_e32 v59, v43, v110
	s_waitcnt vmcnt(19) lgkmcnt(1)
	v_mul_f32_e32 v61, v44, v111
	v_fma_f32 v58, v42, v110, -v4
	v_mul_f32_e32 v4, v45, v111
	s_waitcnt vmcnt(18)
	v_fmac_f32_e32 v61, v45, v112
	v_fma_f32 v60, v44, v112, -v4
	v_pk_add_f32 v[14:15], v[52:53], v[58:59]
	v_pk_add_f32 v[14:15], v[14:15], v[60:61]
	ds_read_b128 v[4:7], v1 offset:848
	ds_read_b128 v[8:11], v1 offset:864
	ds_read_b64 v[12:13], v1 offset:880
	s_waitcnt vmcnt(13)
	v_mov_b32_e32 v16, v57
	v_pk_mul_f32 v[16:17], v[46:47], v[16:17] op_sel_hi:[1,0]
	s_waitcnt vmcnt(12)
	v_pk_fma_f32 v[18:19], v[46:47], v[56:57], v[16:17] op_sel:[0,0,1] op_sel_hi:[1,1,0] neg_lo:[0,0,1] neg_hi:[0,0,1]
	v_pk_fma_f32 v[16:17], v[46:47], v[56:57], v[16:17] op_sel:[0,0,1] op_sel_hi:[1,0,0]
	v_mov_b32_e32 v16, v55
	v_mov_b32_e32 v19, v17
	s_waitcnt lgkmcnt(3)
	v_pk_mul_f32 v[16:17], v[48:49], v[16:17] op_sel_hi:[1,0]
	v_pk_add_f32 v[14:15], v[14:15], v[18:19]
	v_pk_fma_f32 v[18:19], v[48:49], v[54:55], v[16:17] op_sel:[0,0,1] op_sel_hi:[1,1,0] neg_lo:[0,0,1] neg_hi:[0,0,1]
	v_pk_fma_f32 v[16:17], v[48:49], v[54:55], v[16:17] op_sel:[0,0,1] op_sel_hi:[1,0,0]
	s_waitcnt vmcnt(5)
	v_mov_b32_e32 v16, v69
	v_mov_b32_e32 v19, v17
	v_pk_mul_f32 v[16:17], v[50:51], v[16:17] op_sel_hi:[1,0]
	v_pk_add_f32 v[14:15], v[14:15], v[18:19]
	s_waitcnt vmcnt(4)
	v_pk_fma_f32 v[18:19], v[50:51], v[68:69], v[16:17] op_sel:[0,0,1] op_sel_hi:[1,1,0] neg_lo:[0,0,1] neg_hi:[0,0,1]
	v_pk_fma_f32 v[16:17], v[50:51], v[68:69], v[16:17] op_sel:[0,0,1] op_sel_hi:[1,0,0]
	v_mov_b32_e32 v16, v67
	v_mov_b32_e32 v19, v17
	s_waitcnt lgkmcnt(2)
	v_pk_mul_f32 v[16:17], v[4:5], v[16:17] op_sel_hi:[1,0]
	v_pk_add_f32 v[14:15], v[14:15], v[18:19]
	v_pk_fma_f32 v[18:19], v[4:5], v[66:67], v[16:17] op_sel:[0,0,1] op_sel_hi:[1,1,0] neg_lo:[0,0,1] neg_hi:[0,0,1]
	v_pk_fma_f32 v[4:5], v[4:5], v[66:67], v[16:17] op_sel:[0,0,1] op_sel_hi:[1,0,0]
	v_mov_b32_e32 v19, v5
	v_pk_add_f32 v[4:5], v[14:15], v[18:19]
	v_mov_b32_e32 v14, v65
	v_pk_mul_f32 v[14:15], v[6:7], v[14:15] op_sel_hi:[1,0]
	v_pk_fma_f32 v[16:17], v[6:7], v[64:65], v[14:15] op_sel:[0,0,1] op_sel_hi:[1,1,0] neg_lo:[0,0,1] neg_hi:[0,0,1]
	v_pk_fma_f32 v[6:7], v[6:7], v[64:65], v[14:15] op_sel:[0,0,1] op_sel_hi:[1,0,0]
	v_mov_b32_e32 v6, v63
	v_mov_b32_e32 v17, v7
	s_waitcnt lgkmcnt(1)
	v_pk_mul_f32 v[6:7], v[8:9], v[6:7] op_sel_hi:[1,0]
	v_pk_fma_f32 v[14:15], v[8:9], v[62:63], v[6:7] op_sel:[0,0,1] op_sel_hi:[1,1,0] neg_lo:[0,0,1] neg_hi:[0,0,1]
	v_pk_fma_f32 v[6:7], v[8:9], v[62:63], v[6:7] op_sel:[0,0,1] op_sel_hi:[1,0,0]
	s_waitcnt vmcnt(1)
	v_mov_b32_e32 v6, v73
	v_mov_b32_e32 v15, v7
	v_pk_mul_f32 v[6:7], v[10:11], v[6:7] op_sel_hi:[1,0]
	s_waitcnt vmcnt(0)
	v_pk_fma_f32 v[8:9], v[10:11], v[72:73], v[6:7] op_sel:[0,0,1] op_sel_hi:[1,1,0] neg_lo:[0,0,1] neg_hi:[0,0,1]
	v_pk_fma_f32 v[6:7], v[10:11], v[72:73], v[6:7] op_sel:[0,0,1] op_sel_hi:[1,0,0]
	v_pk_add_f32 v[4:5], v[4:5], v[16:17]
	v_mov_b32_e32 v6, v71
	v_pk_add_f32 v[4:5], v[4:5], v[14:15]
	v_mov_b32_e32 v9, v7
	s_waitcnt lgkmcnt(0)
	v_pk_mul_f32 v[6:7], v[12:13], v[6:7] op_sel_hi:[1,0]
	v_pk_add_f32 v[4:5], v[4:5], v[8:9]
	v_pk_fma_f32 v[8:9], v[12:13], v[70:71], v[6:7] op_sel:[0,0,1] op_sel_hi:[1,1,0] neg_lo:[0,0,1] neg_hi:[0,0,1]
	v_pk_fma_f32 v[6:7], v[12:13], v[70:71], v[6:7] op_sel:[0,0,1] op_sel_hi:[1,0,0]
	v_mov_b32_e32 v9, v7
	v_pk_add_f32 v[4:5], v[4:5], v[8:9]
	v_pk_add_f32 v[2:3], v[2:3], v[4:5] neg_lo:[0,1] neg_hi:[0,1]
	buffer_store_dword v3, off, s[0:3], 0 offset:204
	buffer_store_dword v2, off, s[0:3], 0 offset:200
	s_and_saveexec_b64 s[4:5], vcc
	s_cbranch_execz .LBB54_295
; %bb.294:
	buffer_load_dword v2, off, s[0:3], 0 offset:192
	buffer_load_dword v3, off, s[0:3], 0 offset:196
	s_waitcnt vmcnt(0)
	ds_write_b64 v153, v[2:3]
	buffer_store_dword v1, off, s[0:3], 0 offset:192
	buffer_store_dword v1, off, s[0:3], 0 offset:196
.LBB54_295:
	s_or_b64 exec, exec, s[4:5]
	s_waitcnt lgkmcnt(0)
	; wave barrier
	s_waitcnt lgkmcnt(0)
	buffer_load_dword v54, off, s[0:3], 0 offset:204
	buffer_load_dword v56, off, s[0:3], 0 offset:212
	;; [unrolled: 1-line block ×46, first 2 shown]
	ds_read2_b64 v[4:7], v1 offset0:81 offset1:82
	ds_read2_b64 v[8:11], v1 offset0:83 offset1:84
	;; [unrolled: 1-line block ×8, first 2 shown]
	v_cmp_lt_u32_e32 vcc, 23, v0
	s_waitcnt vmcnt(45) lgkmcnt(7)
	v_mul_f32_e32 v36, v4, v54
	s_waitcnt vmcnt(44)
	v_mul_f32_e32 v37, v6, v56
	s_waitcnt vmcnt(43) lgkmcnt(6)
	v_mul_f32_e32 v38, v8, v58
	s_waitcnt vmcnt(42)
	v_mul_f32_e32 v39, v10, v74
	;; [unrolled: 4-line block ×6, first 2 shown]
	s_waitcnt vmcnt(33) lgkmcnt(1)
	v_mul_f32_e32 v48, v28, v83
	s_waitcnt vmcnt(32)
	v_fmac_f32_e32 v36, v5, v84
	s_waitcnt vmcnt(31)
	v_fmac_f32_e32 v37, v7, v85
	v_add_f32_e32 v36, 0, v36
	s_waitcnt vmcnt(30)
	v_fmac_f32_e32 v38, v9, v86
	v_add_f32_e32 v36, v36, v37
	;; [unrolled: 3-line block ×12, first 2 shown]
	s_waitcnt vmcnt(19)
	v_mul_f32_e32 v37, v30, v97
	v_add_f32_e32 v36, v36, v48
	s_waitcnt vmcnt(18)
	v_fmac_f32_e32 v37, v31, v98
	v_add_f32_e32 v36, v36, v37
	s_waitcnt vmcnt(17) lgkmcnt(0)
	v_mul_f32_e32 v37, v32, v99
	s_waitcnt vmcnt(16)
	v_fmac_f32_e32 v37, v33, v100
	v_add_f32_e32 v40, v36, v37
	ds_read2_b64 v[36:39], v1 offset0:97 offset1:98
	s_waitcnt vmcnt(15)
	v_mul_f32_e32 v41, v34, v101
	s_waitcnt vmcnt(14)
	v_fmac_f32_e32 v41, v35, v102
	v_add_f32_e32 v44, v40, v41
	ds_read2_b64 v[40:43], v1 offset0:99 offset1:100
	buffer_load_dword v53, off, s[0:3], 0 offset:380
	buffer_load_dword v52, off, s[0:3], 0 offset:376
	s_waitcnt vmcnt(15) lgkmcnt(1)
	v_mul_f32_e32 v45, v36, v103
	s_waitcnt vmcnt(14)
	v_fmac_f32_e32 v45, v37, v104
	v_add_f32_e32 v44, v44, v45
	s_waitcnt vmcnt(13)
	v_mul_f32_e32 v45, v38, v105
	s_waitcnt vmcnt(12)
	v_fmac_f32_e32 v45, v39, v106
	v_add_f32_e32 v44, v44, v45
	s_waitcnt vmcnt(11) lgkmcnt(0)
	v_mul_f32_e32 v45, v40, v107
	s_waitcnt vmcnt(10)
	v_fmac_f32_e32 v45, v41, v108
	s_waitcnt vmcnt(9)
	v_mul_f32_e32 v49, v42, v109
	v_add_f32_e32 v48, v44, v45
	s_waitcnt vmcnt(8)
	v_fmac_f32_e32 v49, v43, v110
	ds_read2_b64 v[44:47], v1 offset0:101 offset1:102
	v_add_f32_e32 v55, v48, v49
	ds_read2_b64 v[48:51], v1 offset0:103 offset1:104
	buffer_load_dword v61, off, s[0:3], 0 offset:412
	buffer_load_dword v60, off, s[0:3], 0 offset:408
	;; [unrolled: 1-line block ×14, first 2 shown]
	v_mul_f32_e32 v5, v5, v54
	v_fma_f32 v4, v4, v84, -v5
	v_mul_f32_e32 v5, v7, v56
	v_add_f32_e32 v4, 0, v4
	v_fma_f32 v5, v6, v85, -v5
	v_add_f32_e32 v4, v4, v5
	v_mul_f32_e32 v5, v9, v58
	v_fma_f32 v5, v8, v86, -v5
	v_add_f32_e32 v4, v4, v5
	v_mul_f32_e32 v5, v11, v74
	;; [unrolled: 3-line block ×18, first 2 shown]
	v_fma_f32 v5, v42, v110, -v5
	s_waitcnt vmcnt(21) lgkmcnt(1)
	v_mul_f32_e32 v57, v44, v111
	v_add_f32_e32 v54, v4, v5
	v_mul_f32_e32 v4, v45, v111
	s_waitcnt vmcnt(20)
	v_fmac_f32_e32 v57, v45, v112
	s_waitcnt vmcnt(15)
	v_mov_b32_e32 v18, v53
	s_waitcnt lgkmcnt(0)
	v_pk_mul_f32 v[18:19], v[48:49], v[18:19] op_sel_hi:[1,0]
	v_mul_f32_e32 v59, v46, v113
	v_fma_f32 v56, v44, v112, -v4
	v_mul_f32_e32 v4, v47, v113
	s_waitcnt vmcnt(14)
	v_pk_fma_f32 v[20:21], v[48:49], v[52:53], v[18:19] op_sel:[0,0,1] op_sel_hi:[1,1,0] neg_lo:[0,0,1] neg_hi:[0,0,1]
	v_pk_fma_f32 v[18:19], v[48:49], v[52:53], v[18:19] op_sel:[0,0,1] op_sel_hi:[1,0,0]
	v_fmac_f32_e32 v59, v47, v114
	v_fma_f32 v58, v46, v114, -v4
	v_pk_add_f32 v[16:17], v[54:55], v[56:57]
	s_waitcnt vmcnt(7)
	v_mov_b32_e32 v18, v67
	ds_read2_b64 v[4:7], v1 offset0:105 offset1:106
	ds_read2_b64 v[8:11], v1 offset0:107 offset1:108
	ds_read2_b64 v[12:15], v1 offset0:109 offset1:110
	v_pk_add_f32 v[16:17], v[16:17], v[58:59]
	v_mov_b32_e32 v21, v19
	v_pk_mul_f32 v[18:19], v[50:51], v[18:19] op_sel_hi:[1,0]
	v_pk_add_f32 v[16:17], v[16:17], v[20:21]
	s_waitcnt vmcnt(6)
	v_pk_fma_f32 v[20:21], v[50:51], v[66:67], v[18:19] op_sel:[0,0,1] op_sel_hi:[1,1,0] neg_lo:[0,0,1] neg_hi:[0,0,1]
	v_pk_fma_f32 v[18:19], v[50:51], v[66:67], v[18:19] op_sel:[0,0,1] op_sel_hi:[1,0,0]
	v_mov_b32_e32 v18, v65
	v_mov_b32_e32 v21, v19
	s_waitcnt lgkmcnt(2)
	v_pk_mul_f32 v[18:19], v[4:5], v[18:19] op_sel_hi:[1,0]
	v_pk_add_f32 v[16:17], v[16:17], v[20:21]
	v_pk_fma_f32 v[20:21], v[4:5], v[64:65], v[18:19] op_sel:[0,0,1] op_sel_hi:[1,1,0] neg_lo:[0,0,1] neg_hi:[0,0,1]
	v_pk_fma_f32 v[4:5], v[4:5], v[64:65], v[18:19] op_sel:[0,0,1] op_sel_hi:[1,0,0]
	v_mov_b32_e32 v21, v5
	v_pk_add_f32 v[4:5], v[16:17], v[20:21]
	v_mov_b32_e32 v16, v63
	v_pk_mul_f32 v[16:17], v[6:7], v[16:17] op_sel_hi:[1,0]
	v_pk_fma_f32 v[18:19], v[6:7], v[62:63], v[16:17] op_sel:[0,0,1] op_sel_hi:[1,1,0] neg_lo:[0,0,1] neg_hi:[0,0,1]
	v_pk_fma_f32 v[6:7], v[6:7], v[62:63], v[16:17] op_sel:[0,0,1] op_sel_hi:[1,0,0]
	v_mov_b32_e32 v6, v61
	v_mov_b32_e32 v19, v7
	s_waitcnt lgkmcnt(1)
	v_pk_mul_f32 v[6:7], v[8:9], v[6:7] op_sel_hi:[1,0]
	v_pk_fma_f32 v[16:17], v[8:9], v[60:61], v[6:7] op_sel:[0,0,1] op_sel_hi:[1,1,0] neg_lo:[0,0,1] neg_hi:[0,0,1]
	v_pk_fma_f32 v[6:7], v[8:9], v[60:61], v[6:7] op_sel:[0,0,1] op_sel_hi:[1,0,0]
	s_waitcnt vmcnt(1)
	v_mov_b32_e32 v6, v73
	v_mov_b32_e32 v17, v7
	v_pk_mul_f32 v[6:7], v[10:11], v[6:7] op_sel_hi:[1,0]
	s_waitcnt vmcnt(0)
	v_pk_fma_f32 v[8:9], v[10:11], v[72:73], v[6:7] op_sel:[0,0,1] op_sel_hi:[1,1,0] neg_lo:[0,0,1] neg_hi:[0,0,1]
	v_pk_fma_f32 v[6:7], v[10:11], v[72:73], v[6:7] op_sel:[0,0,1] op_sel_hi:[1,0,0]
	v_pk_add_f32 v[4:5], v[4:5], v[18:19]
	v_mov_b32_e32 v6, v71
	v_pk_add_f32 v[4:5], v[4:5], v[16:17]
	v_mov_b32_e32 v9, v7
	s_waitcnt lgkmcnt(0)
	v_pk_mul_f32 v[6:7], v[12:13], v[6:7] op_sel_hi:[1,0]
	v_pk_add_f32 v[4:5], v[4:5], v[8:9]
	v_pk_fma_f32 v[8:9], v[12:13], v[70:71], v[6:7] op_sel:[0,0,1] op_sel_hi:[1,1,0] neg_lo:[0,0,1] neg_hi:[0,0,1]
	v_pk_fma_f32 v[6:7], v[12:13], v[70:71], v[6:7] op_sel:[0,0,1] op_sel_hi:[1,0,0]
	v_mov_b32_e32 v6, v69
	v_mov_b32_e32 v9, v7
	v_pk_mul_f32 v[6:7], v[14:15], v[6:7] op_sel_hi:[1,0]
	v_pk_add_f32 v[4:5], v[4:5], v[8:9]
	v_pk_fma_f32 v[8:9], v[14:15], v[68:69], v[6:7] op_sel:[0,0,1] op_sel_hi:[1,1,0] neg_lo:[0,0,1] neg_hi:[0,0,1]
	v_pk_fma_f32 v[6:7], v[14:15], v[68:69], v[6:7] op_sel:[0,0,1] op_sel_hi:[1,0,0]
	v_mov_b32_e32 v9, v7
	v_pk_add_f32 v[4:5], v[4:5], v[8:9]
	v_pk_add_f32 v[2:3], v[2:3], v[4:5] neg_lo:[0,1] neg_hi:[0,1]
	buffer_store_dword v3, off, s[0:3], 0 offset:196
	buffer_store_dword v2, off, s[0:3], 0 offset:192
	s_and_saveexec_b64 s[4:5], vcc
	s_cbranch_execz .LBB54_297
; %bb.296:
	buffer_load_dword v2, off, s[0:3], 0 offset:184
	buffer_load_dword v3, off, s[0:3], 0 offset:188
	v_mov_b32_e32 v1, 0
	buffer_store_dword v1, off, s[0:3], 0 offset:184
	buffer_store_dword v1, off, s[0:3], 0 offset:188
	s_waitcnt vmcnt(2)
	ds_write_b64 v153, v[2:3]
.LBB54_297:
	s_or_b64 exec, exec, s[4:5]
	s_waitcnt lgkmcnt(0)
	; wave barrier
	s_waitcnt lgkmcnt(0)
	buffer_load_dword v52, off, s[0:3], 0 offset:196
	buffer_load_dword v54, off, s[0:3], 0 offset:204
	;; [unrolled: 1-line block ×48, first 2 shown]
	v_mov_b32_e32 v1, 0
	ds_read_b128 v[4:7], v1 offset:640
	ds_read_b128 v[8:11], v1 offset:656
	;; [unrolled: 1-line block ×6, first 2 shown]
	v_cmp_lt_u32_e32 vcc, 22, v0
	s_waitcnt vmcnt(47) lgkmcnt(5)
	v_mul_f32_e32 v28, v4, v52
	s_waitcnt vmcnt(46)
	v_mul_f32_e32 v29, v6, v54
	s_waitcnt vmcnt(45) lgkmcnt(4)
	v_mul_f32_e32 v30, v8, v56
	s_waitcnt vmcnt(44)
	v_mul_f32_e32 v31, v10, v74
	;; [unrolled: 4-line block ×6, first 2 shown]
	s_waitcnt vmcnt(35)
	v_fmac_f32_e32 v28, v5, v83
	s_waitcnt vmcnt(34)
	v_fmac_f32_e32 v29, v7, v84
	v_add_f32_e32 v28, 0, v28
	s_waitcnt vmcnt(33)
	v_fmac_f32_e32 v30, v9, v85
	v_add_f32_e32 v28, v28, v29
	;; [unrolled: 3-line block ×8, first 2 shown]
	v_add_f32_e32 v32, v28, v36
	ds_read_b128 v[28:31], v1 offset:736
	s_waitcnt vmcnt(26)
	v_fmac_f32_e32 v37, v23, v92
	s_waitcnt vmcnt(25)
	v_fmac_f32_e32 v38, v25, v93
	v_add_f32_e32 v32, v32, v37
	s_waitcnt vmcnt(24)
	v_fmac_f32_e32 v39, v27, v94
	v_add_f32_e32 v32, v32, v38
	v_add_f32_e32 v36, v32, v39
	ds_read_b128 v[32:35], v1 offset:752
	s_waitcnt vmcnt(23) lgkmcnt(1)
	v_mul_f32_e32 v37, v28, v95
	s_waitcnt vmcnt(22)
	v_fmac_f32_e32 v37, v29, v96
	v_add_f32_e32 v36, v36, v37
	s_waitcnt vmcnt(21)
	v_mul_f32_e32 v37, v30, v97
	s_waitcnt vmcnt(20)
	v_fmac_f32_e32 v37, v31, v98
	v_add_f32_e32 v36, v36, v37
	s_waitcnt vmcnt(19) lgkmcnt(0)
	v_mul_f32_e32 v37, v32, v99
	s_waitcnt vmcnt(18)
	v_fmac_f32_e32 v37, v33, v100
	v_add_f32_e32 v40, v36, v37
	ds_read_b128 v[36:39], v1 offset:768
	s_waitcnt vmcnt(17)
	v_mul_f32_e32 v41, v34, v101
	s_waitcnt vmcnt(16)
	v_fmac_f32_e32 v41, v35, v102
	v_add_f32_e32 v44, v40, v41
	ds_read_b128 v[40:43], v1 offset:784
	s_waitcnt vmcnt(15) lgkmcnt(1)
	v_mul_f32_e32 v45, v36, v103
	s_waitcnt vmcnt(14)
	v_fmac_f32_e32 v45, v37, v104
	v_add_f32_e32 v44, v44, v45
	s_waitcnt vmcnt(13)
	v_mul_f32_e32 v45, v38, v105
	s_waitcnt vmcnt(12)
	v_fmac_f32_e32 v45, v39, v106
	v_add_f32_e32 v44, v44, v45
	s_waitcnt vmcnt(11) lgkmcnt(0)
	v_mul_f32_e32 v45, v40, v107
	s_waitcnt vmcnt(10)
	v_fmac_f32_e32 v45, v41, v108
	s_waitcnt vmcnt(9)
	v_mul_f32_e32 v49, v42, v109
	v_add_f32_e32 v48, v44, v45
	s_waitcnt vmcnt(8)
	v_fmac_f32_e32 v49, v43, v110
	ds_read_b128 v[44:47], v1 offset:800
	v_add_f32_e32 v53, v48, v49
	ds_read_b128 v[48:51], v1 offset:816
	buffer_load_dword v59, off, s[0:3], 0 offset:404
	buffer_load_dword v58, off, s[0:3], 0 offset:400
	;; [unrolled: 1-line block ×16, first 2 shown]
	v_mul_f32_e32 v5, v5, v52
	v_fma_f32 v4, v4, v83, -v5
	v_mul_f32_e32 v5, v7, v54
	v_add_f32_e32 v4, 0, v4
	v_fma_f32 v5, v6, v84, -v5
	v_add_f32_e32 v4, v4, v5
	v_mul_f32_e32 v5, v9, v56
	v_fma_f32 v5, v8, v85, -v5
	v_add_f32_e32 v4, v4, v5
	v_mul_f32_e32 v5, v11, v74
	;; [unrolled: 3-line block ×18, first 2 shown]
	v_fma_f32 v5, v42, v110, -v5
	v_add_f32_e32 v4, v4, v5
	s_waitcnt vmcnt(22) lgkmcnt(1)
	v_mul_f32_e32 v5, v45, v112
	v_mul_f32_e32 v55, v44, v112
	v_fma_f32 v5, v44, v111, -v5
	v_fmac_f32_e32 v55, v45, v111
	v_add_f32_e32 v52, v4, v5
	s_waitcnt vmcnt(19)
	v_mul_f32_e32 v4, v47, v113
	v_add_f32_e32 v53, v53, v55
	v_mul_f32_e32 v55, v46, v113
	s_waitcnt vmcnt(18)
	v_fma_f32 v54, v46, v114, -v4
	s_waitcnt vmcnt(17) lgkmcnt(0)
	v_mul_f32_e32 v4, v49, v115
	s_waitcnt vmcnt(9)
	v_mov_b32_e32 v20, v65
	v_pk_mul_f32 v[20:21], v[50:51], v[20:21] op_sel_hi:[1,0]
	v_fmac_f32_e32 v55, v47, v114
	v_mul_f32_e32 v57, v48, v115
	v_fma_f32 v56, v48, v116, -v4
	ds_read_b128 v[4:7], v1 offset:832
	ds_read_b128 v[8:11], v1 offset:848
	;; [unrolled: 1-line block ×3, first 2 shown]
	ds_read_b64 v[16:17], v1 offset:880
	s_waitcnt vmcnt(8)
	v_pk_fma_f32 v[22:23], v[50:51], v[64:65], v[20:21] op_sel:[0,0,1] op_sel_hi:[1,1,0] neg_lo:[0,0,1] neg_hi:[0,0,1]
	v_pk_fma_f32 v[20:21], v[50:51], v[64:65], v[20:21] op_sel:[0,0,1] op_sel_hi:[1,0,0]
	v_fmac_f32_e32 v57, v49, v116
	v_pk_add_f32 v[18:19], v[52:53], v[54:55]
	v_mov_b32_e32 v20, v63
	v_pk_add_f32 v[18:19], v[18:19], v[56:57]
	v_mov_b32_e32 v23, v21
	s_waitcnt lgkmcnt(3)
	v_pk_mul_f32 v[20:21], v[4:5], v[20:21] op_sel_hi:[1,0]
	v_pk_add_f32 v[18:19], v[18:19], v[22:23]
	v_pk_fma_f32 v[22:23], v[4:5], v[62:63], v[20:21] op_sel:[0,0,1] op_sel_hi:[1,1,0] neg_lo:[0,0,1] neg_hi:[0,0,1]
	v_pk_fma_f32 v[4:5], v[4:5], v[62:63], v[20:21] op_sel:[0,0,1] op_sel_hi:[1,0,0]
	v_mov_b32_e32 v23, v5
	v_pk_add_f32 v[4:5], v[18:19], v[22:23]
	v_mov_b32_e32 v18, v61
	v_pk_mul_f32 v[18:19], v[6:7], v[18:19] op_sel_hi:[1,0]
	v_pk_fma_f32 v[20:21], v[6:7], v[60:61], v[18:19] op_sel:[0,0,1] op_sel_hi:[1,1,0] neg_lo:[0,0,1] neg_hi:[0,0,1]
	v_pk_fma_f32 v[6:7], v[6:7], v[60:61], v[18:19] op_sel:[0,0,1] op_sel_hi:[1,0,0]
	v_mov_b32_e32 v6, v59
	v_mov_b32_e32 v21, v7
	s_waitcnt lgkmcnt(2)
	v_pk_mul_f32 v[6:7], v[8:9], v[6:7] op_sel_hi:[1,0]
	v_pk_fma_f32 v[18:19], v[8:9], v[58:59], v[6:7] op_sel:[0,0,1] op_sel_hi:[1,1,0] neg_lo:[0,0,1] neg_hi:[0,0,1]
	v_pk_fma_f32 v[6:7], v[8:9], v[58:59], v[6:7] op_sel:[0,0,1] op_sel_hi:[1,0,0]
	s_waitcnt vmcnt(1)
	v_mov_b32_e32 v6, v73
	v_mov_b32_e32 v19, v7
	v_pk_mul_f32 v[6:7], v[10:11], v[6:7] op_sel_hi:[1,0]
	s_waitcnt vmcnt(0)
	v_pk_fma_f32 v[8:9], v[10:11], v[72:73], v[6:7] op_sel:[0,0,1] op_sel_hi:[1,1,0] neg_lo:[0,0,1] neg_hi:[0,0,1]
	v_pk_fma_f32 v[6:7], v[10:11], v[72:73], v[6:7] op_sel:[0,0,1] op_sel_hi:[1,0,0]
	v_pk_add_f32 v[4:5], v[4:5], v[20:21]
	v_mov_b32_e32 v6, v71
	v_pk_add_f32 v[4:5], v[4:5], v[18:19]
	v_mov_b32_e32 v9, v7
	s_waitcnt lgkmcnt(1)
	v_pk_mul_f32 v[6:7], v[12:13], v[6:7] op_sel_hi:[1,0]
	v_pk_add_f32 v[4:5], v[4:5], v[8:9]
	v_pk_fma_f32 v[8:9], v[12:13], v[70:71], v[6:7] op_sel:[0,0,1] op_sel_hi:[1,1,0] neg_lo:[0,0,1] neg_hi:[0,0,1]
	v_pk_fma_f32 v[6:7], v[12:13], v[70:71], v[6:7] op_sel:[0,0,1] op_sel_hi:[1,0,0]
	v_mov_b32_e32 v6, v69
	v_mov_b32_e32 v9, v7
	v_pk_mul_f32 v[6:7], v[14:15], v[6:7] op_sel_hi:[1,0]
	v_pk_add_f32 v[4:5], v[4:5], v[8:9]
	v_pk_fma_f32 v[8:9], v[14:15], v[68:69], v[6:7] op_sel:[0,0,1] op_sel_hi:[1,1,0] neg_lo:[0,0,1] neg_hi:[0,0,1]
	v_pk_fma_f32 v[6:7], v[14:15], v[68:69], v[6:7] op_sel:[0,0,1] op_sel_hi:[1,0,0]
	v_mov_b32_e32 v6, v67
	v_mov_b32_e32 v9, v7
	s_waitcnt lgkmcnt(0)
	v_pk_mul_f32 v[6:7], v[16:17], v[6:7] op_sel_hi:[1,0]
	v_pk_add_f32 v[4:5], v[4:5], v[8:9]
	v_pk_fma_f32 v[8:9], v[16:17], v[66:67], v[6:7] op_sel:[0,0,1] op_sel_hi:[1,1,0] neg_lo:[0,0,1] neg_hi:[0,0,1]
	v_pk_fma_f32 v[6:7], v[16:17], v[66:67], v[6:7] op_sel:[0,0,1] op_sel_hi:[1,0,0]
	v_mov_b32_e32 v9, v7
	v_pk_add_f32 v[4:5], v[4:5], v[8:9]
	v_pk_add_f32 v[2:3], v[2:3], v[4:5] neg_lo:[0,1] neg_hi:[0,1]
	buffer_store_dword v3, off, s[0:3], 0 offset:188
	buffer_store_dword v2, off, s[0:3], 0 offset:184
	s_and_saveexec_b64 s[4:5], vcc
	s_cbranch_execz .LBB54_299
; %bb.298:
	buffer_load_dword v2, off, s[0:3], 0 offset:176
	buffer_load_dword v3, off, s[0:3], 0 offset:180
	s_waitcnt vmcnt(0)
	ds_write_b64 v153, v[2:3]
	buffer_store_dword v1, off, s[0:3], 0 offset:176
	buffer_store_dword v1, off, s[0:3], 0 offset:180
.LBB54_299:
	s_or_b64 exec, exec, s[4:5]
	s_waitcnt lgkmcnt(0)
	; wave barrier
	s_waitcnt lgkmcnt(0)
	buffer_load_dword v52, off, s[0:3], 0 offset:188
	buffer_load_dword v54, off, s[0:3], 0 offset:196
	;; [unrolled: 1-line block ×48, first 2 shown]
	ds_read2_b64 v[4:7], v1 offset0:79 offset1:80
	ds_read2_b64 v[8:11], v1 offset0:81 offset1:82
	;; [unrolled: 1-line block ×6, first 2 shown]
	buffer_load_dword v117, off, s[0:3], 0 offset:368
	buffer_load_dword v118, off, s[0:3], 0 offset:372
	v_cmp_lt_u32_e32 vcc, 21, v0
	s_waitcnt vmcnt(49) lgkmcnt(5)
	v_mul_f32_e32 v28, v4, v52
	s_waitcnt vmcnt(48)
	v_mul_f32_e32 v29, v6, v54
	s_waitcnt vmcnt(47) lgkmcnt(4)
	v_mul_f32_e32 v30, v8, v62
	s_waitcnt vmcnt(46)
	v_mul_f32_e32 v31, v10, v74
	;; [unrolled: 4-line block ×6, first 2 shown]
	s_waitcnt vmcnt(37)
	v_fmac_f32_e32 v28, v5, v83
	s_waitcnt vmcnt(36)
	v_fmac_f32_e32 v29, v7, v84
	v_add_f32_e32 v28, 0, v28
	s_waitcnt vmcnt(35)
	v_fmac_f32_e32 v30, v9, v85
	v_add_f32_e32 v28, v28, v29
	;; [unrolled: 3-line block ×9, first 2 shown]
	v_add_f32_e32 v32, v28, v37
	ds_read2_b64 v[28:31], v1 offset0:91 offset1:92
	s_waitcnt vmcnt(27)
	v_fmac_f32_e32 v38, v25, v93
	v_add_f32_e32 v32, v32, v38
	s_waitcnt vmcnt(26)
	v_fmac_f32_e32 v39, v27, v94
	v_add_f32_e32 v36, v32, v39
	ds_read2_b64 v[32:35], v1 offset0:93 offset1:94
	s_waitcnt vmcnt(25) lgkmcnt(1)
	v_mul_f32_e32 v37, v28, v95
	s_waitcnt vmcnt(24)
	v_fmac_f32_e32 v37, v29, v96
	v_add_f32_e32 v36, v36, v37
	s_waitcnt vmcnt(23)
	v_mul_f32_e32 v37, v30, v97
	s_waitcnt vmcnt(22)
	v_fmac_f32_e32 v37, v31, v98
	v_add_f32_e32 v36, v36, v37
	s_waitcnt vmcnt(21) lgkmcnt(0)
	v_mul_f32_e32 v37, v32, v99
	s_waitcnt vmcnt(20)
	v_fmac_f32_e32 v37, v33, v100
	v_add_f32_e32 v40, v36, v37
	ds_read2_b64 v[36:39], v1 offset0:95 offset1:96
	s_waitcnt vmcnt(19)
	v_mul_f32_e32 v41, v34, v101
	s_waitcnt vmcnt(18)
	v_fmac_f32_e32 v41, v35, v102
	v_add_f32_e32 v44, v40, v41
	ds_read2_b64 v[40:43], v1 offset0:97 offset1:98
	s_waitcnt vmcnt(17) lgkmcnt(1)
	v_mul_f32_e32 v45, v36, v103
	s_waitcnt vmcnt(16)
	v_fmac_f32_e32 v45, v37, v104
	v_add_f32_e32 v44, v44, v45
	s_waitcnt vmcnt(15)
	v_mul_f32_e32 v45, v38, v105
	s_waitcnt vmcnt(14)
	v_fmac_f32_e32 v45, v39, v106
	v_add_f32_e32 v44, v44, v45
	s_waitcnt vmcnt(13) lgkmcnt(0)
	v_mul_f32_e32 v45, v40, v107
	s_waitcnt vmcnt(12)
	v_fmac_f32_e32 v45, v41, v108
	s_waitcnt vmcnt(11)
	v_mul_f32_e32 v49, v42, v109
	v_add_f32_e32 v48, v44, v45
	s_waitcnt vmcnt(10)
	v_fmac_f32_e32 v49, v43, v110
	ds_read2_b64 v[44:47], v1 offset0:99 offset1:100
	v_add_f32_e32 v53, v48, v49
	ds_read2_b64 v[48:51], v1 offset0:101 offset1:102
	buffer_load_dword v57, off, s[0:3], 0 offset:396
	buffer_load_dword v56, off, s[0:3], 0 offset:392
	buffer_load_dword v59, off, s[0:3], 0 offset:388
	buffer_load_dword v58, off, s[0:3], 0 offset:384
	buffer_load_dword v61, off, s[0:3], 0 offset:380
	buffer_load_dword v60, off, s[0:3], 0 offset:376
	buffer_load_dword v65, off, s[0:3], 0 offset:428
	buffer_load_dword v64, off, s[0:3], 0 offset:424
	buffer_load_dword v67, off, s[0:3], 0 offset:420
	buffer_load_dword v66, off, s[0:3], 0 offset:416
	buffer_load_dword v69, off, s[0:3], 0 offset:412
	buffer_load_dword v68, off, s[0:3], 0 offset:408
	buffer_load_dword v71, off, s[0:3], 0 offset:404
	buffer_load_dword v70, off, s[0:3], 0 offset:400
	buffer_load_dword v73, off, s[0:3], 0 offset:436
	buffer_load_dword v72, off, s[0:3], 0 offset:432
	v_mul_f32_e32 v5, v5, v52
	v_fma_f32 v4, v4, v83, -v5
	v_mul_f32_e32 v5, v7, v54
	v_add_f32_e32 v4, 0, v4
	v_fma_f32 v5, v6, v84, -v5
	v_add_f32_e32 v4, v4, v5
	v_mul_f32_e32 v5, v9, v62
	v_fma_f32 v5, v8, v85, -v5
	v_add_f32_e32 v4, v4, v5
	v_mul_f32_e32 v5, v11, v74
	;; [unrolled: 3-line block ×18, first 2 shown]
	v_fma_f32 v5, v42, v110, -v5
	v_add_f32_e32 v4, v4, v5
	s_waitcnt vmcnt(23) lgkmcnt(1)
	v_mul_f32_e32 v5, v45, v111
	s_waitcnt vmcnt(22)
	v_fma_f32 v5, v44, v112, -v5
	v_add_f32_e32 v4, v4, v5
	s_waitcnt vmcnt(20)
	v_mul_f32_e32 v5, v47, v114
	v_mul_f32_e32 v55, v44, v111
	v_fma_f32 v5, v46, v113, -v5
	v_fmac_f32_e32 v55, v45, v112
	v_add_f32_e32 v52, v4, v5
	s_waitcnt vmcnt(18) lgkmcnt(0)
	v_mul_f32_e32 v4, v49, v116
	v_add_f32_e32 v53, v53, v55
	v_mul_f32_e32 v55, v46, v114
	v_fma_f32 v54, v48, v115, -v4
	s_waitcnt vmcnt(16)
	v_mul_f32_e32 v4, v51, v118
	v_fmac_f32_e32 v55, v47, v113
	v_fma_f32 v62, v50, v117, -v4
	ds_read2_b64 v[4:7], v1 offset0:103 offset1:104
	ds_read2_b64 v[8:11], v1 offset0:105 offset1:106
	;; [unrolled: 1-line block ×4, first 2 shown]
	v_add_f32_e32 v53, v53, v55
	v_mul_f32_e32 v55, v48, v116
	s_waitcnt vmcnt(11)
	v_mov_b32_e32 v22, v61
	v_fmac_f32_e32 v55, v49, v115
	v_mul_f32_e32 v63, v50, v118
	s_waitcnt lgkmcnt(3)
	v_pk_mul_f32 v[22:23], v[4:5], v[22:23] op_sel_hi:[1,0]
	v_fmac_f32_e32 v63, v51, v117
	v_pk_add_f32 v[20:21], v[52:53], v[54:55]
	s_waitcnt vmcnt(10)
	v_pk_fma_f32 v[24:25], v[4:5], v[60:61], v[22:23] op_sel:[0,0,1] op_sel_hi:[1,1,0] neg_lo:[0,0,1] neg_hi:[0,0,1]
	v_pk_fma_f32 v[4:5], v[4:5], v[60:61], v[22:23] op_sel:[0,0,1] op_sel_hi:[1,0,0]
	v_pk_add_f32 v[20:21], v[20:21], v[62:63]
	v_mov_b32_e32 v25, v5
	v_pk_add_f32 v[4:5], v[20:21], v[24:25]
	v_mov_b32_e32 v20, v59
	v_pk_mul_f32 v[20:21], v[6:7], v[20:21] op_sel_hi:[1,0]
	v_pk_fma_f32 v[22:23], v[6:7], v[58:59], v[20:21] op_sel:[0,0,1] op_sel_hi:[1,1,0] neg_lo:[0,0,1] neg_hi:[0,0,1]
	v_pk_fma_f32 v[6:7], v[6:7], v[58:59], v[20:21] op_sel:[0,0,1] op_sel_hi:[1,0,0]
	v_mov_b32_e32 v6, v57
	v_mov_b32_e32 v23, v7
	s_waitcnt lgkmcnt(2)
	v_pk_mul_f32 v[6:7], v[8:9], v[6:7] op_sel_hi:[1,0]
	v_pk_fma_f32 v[20:21], v[8:9], v[56:57], v[6:7] op_sel:[0,0,1] op_sel_hi:[1,1,0] neg_lo:[0,0,1] neg_hi:[0,0,1]
	v_pk_fma_f32 v[6:7], v[8:9], v[56:57], v[6:7] op_sel:[0,0,1] op_sel_hi:[1,0,0]
	s_waitcnt vmcnt(3)
	v_mov_b32_e32 v6, v71
	v_mov_b32_e32 v21, v7
	v_pk_mul_f32 v[6:7], v[10:11], v[6:7] op_sel_hi:[1,0]
	s_waitcnt vmcnt(2)
	v_pk_fma_f32 v[8:9], v[10:11], v[70:71], v[6:7] op_sel:[0,0,1] op_sel_hi:[1,1,0] neg_lo:[0,0,1] neg_hi:[0,0,1]
	v_pk_fma_f32 v[6:7], v[10:11], v[70:71], v[6:7] op_sel:[0,0,1] op_sel_hi:[1,0,0]
	v_pk_add_f32 v[4:5], v[4:5], v[22:23]
	v_mov_b32_e32 v6, v69
	v_pk_add_f32 v[4:5], v[4:5], v[20:21]
	v_mov_b32_e32 v9, v7
	s_waitcnt lgkmcnt(1)
	v_pk_mul_f32 v[6:7], v[12:13], v[6:7] op_sel_hi:[1,0]
	v_pk_add_f32 v[4:5], v[4:5], v[8:9]
	v_pk_fma_f32 v[8:9], v[12:13], v[68:69], v[6:7] op_sel:[0,0,1] op_sel_hi:[1,1,0] neg_lo:[0,0,1] neg_hi:[0,0,1]
	v_pk_fma_f32 v[6:7], v[12:13], v[68:69], v[6:7] op_sel:[0,0,1] op_sel_hi:[1,0,0]
	v_mov_b32_e32 v6, v67
	v_mov_b32_e32 v9, v7
	v_pk_mul_f32 v[6:7], v[14:15], v[6:7] op_sel_hi:[1,0]
	v_pk_add_f32 v[4:5], v[4:5], v[8:9]
	v_pk_fma_f32 v[8:9], v[14:15], v[66:67], v[6:7] op_sel:[0,0,1] op_sel_hi:[1,1,0] neg_lo:[0,0,1] neg_hi:[0,0,1]
	v_pk_fma_f32 v[6:7], v[14:15], v[66:67], v[6:7] op_sel:[0,0,1] op_sel_hi:[1,0,0]
	v_mov_b32_e32 v6, v65
	v_mov_b32_e32 v9, v7
	s_waitcnt lgkmcnt(0)
	v_pk_mul_f32 v[6:7], v[16:17], v[6:7] op_sel_hi:[1,0]
	v_pk_add_f32 v[4:5], v[4:5], v[8:9]
	v_pk_fma_f32 v[8:9], v[16:17], v[64:65], v[6:7] op_sel:[0,0,1] op_sel_hi:[1,1,0] neg_lo:[0,0,1] neg_hi:[0,0,1]
	v_pk_fma_f32 v[6:7], v[16:17], v[64:65], v[6:7] op_sel:[0,0,1] op_sel_hi:[1,0,0]
	s_waitcnt vmcnt(1)
	v_mov_b32_e32 v6, v73
	v_mov_b32_e32 v9, v7
	v_pk_mul_f32 v[6:7], v[18:19], v[6:7] op_sel_hi:[1,0]
	v_pk_add_f32 v[4:5], v[4:5], v[8:9]
	s_waitcnt vmcnt(0)
	v_pk_fma_f32 v[8:9], v[18:19], v[72:73], v[6:7] op_sel:[0,0,1] op_sel_hi:[1,1,0] neg_lo:[0,0,1] neg_hi:[0,0,1]
	v_pk_fma_f32 v[6:7], v[18:19], v[72:73], v[6:7] op_sel:[0,0,1] op_sel_hi:[1,0,0]
	v_mov_b32_e32 v9, v7
	v_pk_add_f32 v[4:5], v[4:5], v[8:9]
	v_pk_add_f32 v[2:3], v[2:3], v[4:5] neg_lo:[0,1] neg_hi:[0,1]
	buffer_store_dword v3, off, s[0:3], 0 offset:180
	buffer_store_dword v2, off, s[0:3], 0 offset:176
	s_and_saveexec_b64 s[4:5], vcc
	s_cbranch_execz .LBB54_301
; %bb.300:
	buffer_load_dword v2, off, s[0:3], 0 offset:168
	buffer_load_dword v3, off, s[0:3], 0 offset:172
	v_mov_b32_e32 v1, 0
	buffer_store_dword v1, off, s[0:3], 0 offset:168
	buffer_store_dword v1, off, s[0:3], 0 offset:172
	s_waitcnt vmcnt(2)
	ds_write_b64 v153, v[2:3]
.LBB54_301:
	s_or_b64 exec, exec, s[4:5]
	s_waitcnt lgkmcnt(0)
	; wave barrier
	s_waitcnt lgkmcnt(0)
	buffer_load_dword v60, off, s[0:3], 0 offset:180
	buffer_load_dword v66, off, s[0:3], 0 offset:188
	;; [unrolled: 1-line block ×52, first 2 shown]
	v_mov_b32_e32 v1, 0
	ds_read_b128 v[4:7], v1 offset:624
	ds_read_b128 v[8:11], v1 offset:640
	;; [unrolled: 1-line block ×6, first 2 shown]
	v_cmp_lt_u32_e32 vcc, 20, v0
	s_waitcnt vmcnt(51) lgkmcnt(5)
	v_mul_f32_e32 v28, v4, v60
	s_waitcnt vmcnt(50)
	v_mul_f32_e32 v29, v6, v66
	s_waitcnt vmcnt(49) lgkmcnt(4)
	v_mul_f32_e32 v30, v8, v68
	s_waitcnt vmcnt(48)
	v_mul_f32_e32 v31, v10, v82
	;; [unrolled: 4-line block ×5, first 2 shown]
	s_waitcnt vmcnt(41) lgkmcnt(0)
	v_mul_f32_e32 v38, v24, v89
	s_waitcnt vmcnt(40)
	v_fmac_f32_e32 v28, v5, v90
	s_waitcnt vmcnt(39)
	v_fmac_f32_e32 v29, v7, v91
	v_add_f32_e32 v28, 0, v28
	s_waitcnt vmcnt(38)
	v_fmac_f32_e32 v30, v9, v92
	v_add_f32_e32 v28, v28, v29
	;; [unrolled: 3-line block ×9, first 2 shown]
	v_add_f32_e32 v28, v28, v37
	s_waitcnt vmcnt(30)
	v_fmac_f32_e32 v38, v25, v100
	v_add_f32_e32 v32, v28, v38
	ds_read_b128 v[28:31], v1 offset:720
	s_waitcnt vmcnt(29)
	v_mul_f32_e32 v33, v26, v101
	s_waitcnt vmcnt(28)
	v_fmac_f32_e32 v33, v27, v102
	v_add_f32_e32 v36, v32, v33
	ds_read_b128 v[32:35], v1 offset:736
	s_waitcnt vmcnt(27) lgkmcnt(1)
	v_mul_f32_e32 v37, v28, v103
	s_waitcnt vmcnt(26)
	v_fmac_f32_e32 v37, v29, v104
	v_add_f32_e32 v36, v36, v37
	s_waitcnt vmcnt(25)
	v_mul_f32_e32 v37, v30, v105
	s_waitcnt vmcnt(24)
	v_fmac_f32_e32 v37, v31, v106
	v_add_f32_e32 v36, v36, v37
	s_waitcnt vmcnt(23) lgkmcnt(0)
	v_mul_f32_e32 v37, v32, v107
	s_waitcnt vmcnt(22)
	v_fmac_f32_e32 v37, v33, v108
	v_add_f32_e32 v40, v36, v37
	ds_read_b128 v[36:39], v1 offset:752
	s_waitcnt vmcnt(21)
	v_mul_f32_e32 v41, v34, v109
	s_waitcnt vmcnt(20)
	v_fmac_f32_e32 v41, v35, v110
	v_add_f32_e32 v44, v40, v41
	ds_read_b128 v[40:43], v1 offset:768
	s_waitcnt vmcnt(19) lgkmcnt(1)
	v_mul_f32_e32 v45, v36, v111
	s_waitcnt vmcnt(18)
	v_fmac_f32_e32 v45, v37, v112
	v_add_f32_e32 v44, v44, v45
	s_waitcnt vmcnt(17)
	v_mul_f32_e32 v45, v38, v113
	s_waitcnt vmcnt(16)
	v_fmac_f32_e32 v45, v39, v114
	v_add_f32_e32 v44, v44, v45
	s_waitcnt vmcnt(14) lgkmcnt(0)
	v_mul_f32_e32 v45, v40, v116
	v_fmac_f32_e32 v45, v41, v115
	v_add_f32_e32 v48, v44, v45
	ds_read_b128 v[44:47], v1 offset:784
	s_waitcnt vmcnt(10)
	v_mul_f32_e32 v49, v42, v118
	v_fmac_f32_e32 v49, v43, v117
	v_add_f32_e32 v52, v48, v49
	ds_read_b128 v[48:51], v1 offset:800
	s_waitcnt vmcnt(8) lgkmcnt(1)
	v_mul_f32_e32 v53, v44, v120
	v_fmac_f32_e32 v53, v45, v119
	v_add_f32_e32 v52, v52, v53
	s_waitcnt vmcnt(6)
	v_mul_f32_e32 v53, v46, v122
	v_fmac_f32_e32 v53, v47, v121
	v_add_f32_e32 v52, v52, v53
	s_waitcnt vmcnt(4) lgkmcnt(0)
	v_mul_f32_e32 v53, v48, v124
	v_fmac_f32_e32 v53, v49, v123
	v_add_f32_e32 v61, v52, v53
	ds_read_b128 v[52:55], v1 offset:816
	buffer_load_dword v63, off, s[0:3], 0 offset:388
	buffer_load_dword v62, off, s[0:3], 0 offset:384
	;; [unrolled: 1-line block ×4, first 2 shown]
	ds_read_b128 v[56:59], v1 offset:832
	buffer_load_dword v71, off, s[0:3], 0 offset:420
	buffer_load_dword v70, off, s[0:3], 0 offset:416
	;; [unrolled: 1-line block ×12, first 2 shown]
	v_mul_f32_e32 v5, v5, v60
	v_fma_f32 v4, v4, v90, -v5
	v_mul_f32_e32 v5, v7, v66
	v_add_f32_e32 v4, 0, v4
	v_fma_f32 v5, v6, v91, -v5
	v_add_f32_e32 v4, v4, v5
	v_mul_f32_e32 v5, v9, v68
	v_fma_f32 v5, v8, v92, -v5
	v_add_f32_e32 v4, v4, v5
	v_mul_f32_e32 v5, v11, v82
	;; [unrolled: 3-line block ×21, first 2 shown]
	v_fma_f32 v5, v48, v123, -v5
	s_waitcnt vmcnt(18)
	v_mul_f32_e32 v67, v50, v126
	v_add_f32_e32 v60, v4, v5
	v_mul_f32_e32 v4, v51, v126
	v_fmac_f32_e32 v67, v51, v125
	s_waitcnt vmcnt(16) lgkmcnt(1)
	v_mul_f32_e32 v69, v52, v128
	v_fma_f32 v66, v50, v125, -v4
	v_mul_f32_e32 v4, v53, v128
	v_fmac_f32_e32 v69, v53, v127
	s_waitcnt vmcnt(13)
	v_mov_b32_e32 v16, v65
	v_pk_mul_f32 v[16:17], v[54:55], v[16:17] op_sel_hi:[1,0]
	s_waitcnt vmcnt(12)
	v_pk_fma_f32 v[18:19], v[54:55], v[64:65], v[16:17] op_sel:[0,0,1] op_sel_hi:[1,1,0] neg_lo:[0,0,1] neg_hi:[0,0,1]
	v_pk_fma_f32 v[16:17], v[54:55], v[64:65], v[16:17] op_sel:[0,0,1] op_sel_hi:[1,0,0]
	v_fma_f32 v68, v52, v127, -v4
	v_pk_add_f32 v[14:15], v[60:61], v[66:67]
	v_mov_b32_e32 v16, v63
	v_pk_add_f32 v[14:15], v[14:15], v[68:69]
	v_mov_b32_e32 v19, v17
	s_waitcnt lgkmcnt(0)
	v_pk_mul_f32 v[16:17], v[56:57], v[16:17] op_sel_hi:[1,0]
	v_pk_add_f32 v[14:15], v[14:15], v[18:19]
	v_pk_fma_f32 v[18:19], v[56:57], v[62:63], v[16:17] op_sel:[0,0,1] op_sel_hi:[1,1,0] neg_lo:[0,0,1] neg_hi:[0,0,1]
	v_pk_fma_f32 v[16:17], v[56:57], v[62:63], v[16:17] op_sel:[0,0,1] op_sel_hi:[1,0,0]
	s_waitcnt vmcnt(5)
	v_mov_b32_e32 v16, v77
	ds_read_b128 v[4:7], v1 offset:848
	ds_read_b128 v[8:11], v1 offset:864
	ds_read_b64 v[12:13], v1 offset:880
	v_mov_b32_e32 v19, v17
	v_pk_mul_f32 v[16:17], v[58:59], v[16:17] op_sel_hi:[1,0]
	v_pk_add_f32 v[14:15], v[14:15], v[18:19]
	s_waitcnt vmcnt(4)
	v_pk_fma_f32 v[18:19], v[58:59], v[76:77], v[16:17] op_sel:[0,0,1] op_sel_hi:[1,1,0] neg_lo:[0,0,1] neg_hi:[0,0,1]
	v_pk_fma_f32 v[16:17], v[58:59], v[76:77], v[16:17] op_sel:[0,0,1] op_sel_hi:[1,0,0]
	v_mov_b32_e32 v16, v75
	v_mov_b32_e32 v19, v17
	s_waitcnt lgkmcnt(2)
	v_pk_mul_f32 v[16:17], v[4:5], v[16:17] op_sel_hi:[1,0]
	v_pk_add_f32 v[14:15], v[14:15], v[18:19]
	v_pk_fma_f32 v[18:19], v[4:5], v[74:75], v[16:17] op_sel:[0,0,1] op_sel_hi:[1,1,0] neg_lo:[0,0,1] neg_hi:[0,0,1]
	v_pk_fma_f32 v[4:5], v[4:5], v[74:75], v[16:17] op_sel:[0,0,1] op_sel_hi:[1,0,0]
	v_mov_b32_e32 v19, v5
	v_pk_add_f32 v[4:5], v[14:15], v[18:19]
	v_mov_b32_e32 v14, v73
	v_pk_mul_f32 v[14:15], v[6:7], v[14:15] op_sel_hi:[1,0]
	v_pk_fma_f32 v[16:17], v[6:7], v[72:73], v[14:15] op_sel:[0,0,1] op_sel_hi:[1,1,0] neg_lo:[0,0,1] neg_hi:[0,0,1]
	v_pk_fma_f32 v[6:7], v[6:7], v[72:73], v[14:15] op_sel:[0,0,1] op_sel_hi:[1,0,0]
	v_mov_b32_e32 v6, v71
	v_mov_b32_e32 v17, v7
	s_waitcnt lgkmcnt(1)
	v_pk_mul_f32 v[6:7], v[8:9], v[6:7] op_sel_hi:[1,0]
	v_pk_fma_f32 v[14:15], v[8:9], v[70:71], v[6:7] op_sel:[0,0,1] op_sel_hi:[1,1,0] neg_lo:[0,0,1] neg_hi:[0,0,1]
	v_pk_fma_f32 v[6:7], v[8:9], v[70:71], v[6:7] op_sel:[0,0,1] op_sel_hi:[1,0,0]
	s_waitcnt vmcnt(1)
	v_mov_b32_e32 v6, v81
	v_mov_b32_e32 v15, v7
	v_pk_mul_f32 v[6:7], v[10:11], v[6:7] op_sel_hi:[1,0]
	s_waitcnt vmcnt(0)
	v_pk_fma_f32 v[8:9], v[10:11], v[80:81], v[6:7] op_sel:[0,0,1] op_sel_hi:[1,1,0] neg_lo:[0,0,1] neg_hi:[0,0,1]
	v_pk_fma_f32 v[6:7], v[10:11], v[80:81], v[6:7] op_sel:[0,0,1] op_sel_hi:[1,0,0]
	v_pk_add_f32 v[4:5], v[4:5], v[16:17]
	v_mov_b32_e32 v6, v79
	v_pk_add_f32 v[4:5], v[4:5], v[14:15]
	v_mov_b32_e32 v9, v7
	s_waitcnt lgkmcnt(0)
	v_pk_mul_f32 v[6:7], v[12:13], v[6:7] op_sel_hi:[1,0]
	v_pk_add_f32 v[4:5], v[4:5], v[8:9]
	v_pk_fma_f32 v[8:9], v[12:13], v[78:79], v[6:7] op_sel:[0,0,1] op_sel_hi:[1,1,0] neg_lo:[0,0,1] neg_hi:[0,0,1]
	v_pk_fma_f32 v[6:7], v[12:13], v[78:79], v[6:7] op_sel:[0,0,1] op_sel_hi:[1,0,0]
	v_mov_b32_e32 v9, v7
	v_pk_add_f32 v[4:5], v[4:5], v[8:9]
	v_pk_add_f32 v[2:3], v[2:3], v[4:5] neg_lo:[0,1] neg_hi:[0,1]
	buffer_store_dword v3, off, s[0:3], 0 offset:172
	buffer_store_dword v2, off, s[0:3], 0 offset:168
	s_and_saveexec_b64 s[4:5], vcc
	s_cbranch_execz .LBB54_303
; %bb.302:
	buffer_load_dword v2, off, s[0:3], 0 offset:160
	buffer_load_dword v3, off, s[0:3], 0 offset:164
	s_waitcnt vmcnt(0)
	ds_write_b64 v153, v[2:3]
	buffer_store_dword v1, off, s[0:3], 0 offset:160
	buffer_store_dword v1, off, s[0:3], 0 offset:164
.LBB54_303:
	s_or_b64 exec, exec, s[4:5]
	s_waitcnt lgkmcnt(0)
	; wave barrier
	s_waitcnt lgkmcnt(0)
	buffer_load_dword v62, off, s[0:3], 0 offset:172
	buffer_load_dword v64, off, s[0:3], 0 offset:180
	;; [unrolled: 1-line block ×42, first 2 shown]
	ds_read2_b64 v[4:7], v1 offset0:77 offset1:78
	ds_read2_b64 v[8:11], v1 offset0:79 offset1:80
	buffer_load_dword v119, off, s[0:3], 0 offset:328
	buffer_load_dword v120, off, s[0:3], 0 offset:332
	ds_read2_b64 v[12:15], v1 offset0:81 offset1:82
	ds_read2_b64 v[16:19], v1 offset0:83 offset1:84
	buffer_load_dword v121, off, s[0:3], 0 offset:336
	buffer_load_dword v122, off, s[0:3], 0 offset:340
	;; [unrolled: 1-line block ×4, first 2 shown]
	ds_read2_b64 v[20:23], v1 offset0:85 offset1:86
	ds_read2_b64 v[24:27], v1 offset0:87 offset1:88
	buffer_load_dword v125, off, s[0:3], 0 offset:352
	buffer_load_dword v126, off, s[0:3], 0 offset:356
	buffer_load_dword v127, off, s[0:3], 0 offset:360
	buffer_load_dword v128, off, s[0:3], 0 offset:364
	buffer_load_dword v129, off, s[0:3], 0 offset:368
	buffer_load_dword v130, off, s[0:3], 0 offset:372
	v_cmp_lt_u32_e32 vcc, 19, v0
	s_waitcnt vmcnt(53) lgkmcnt(5)
	v_mul_f32_e32 v28, v4, v62
	s_waitcnt vmcnt(52)
	v_mul_f32_e32 v29, v6, v64
	s_waitcnt vmcnt(51) lgkmcnt(4)
	v_mul_f32_e32 v30, v8, v66
	s_waitcnt vmcnt(50)
	v_mul_f32_e32 v31, v10, v82
	;; [unrolled: 4-line block ×5, first 2 shown]
	s_waitcnt vmcnt(43)
	v_fmac_f32_e32 v28, v5, v89
	s_waitcnt vmcnt(42)
	v_fmac_f32_e32 v29, v7, v90
	v_add_f32_e32 v28, 0, v28
	s_waitcnt vmcnt(41)
	v_fmac_f32_e32 v30, v9, v91
	v_add_f32_e32 v28, v28, v29
	;; [unrolled: 3-line block ×9, first 2 shown]
	s_waitcnt vmcnt(33) lgkmcnt(0)
	v_mul_f32_e32 v29, v24, v99
	v_add_f32_e32 v28, v28, v37
	s_waitcnt vmcnt(32)
	v_fmac_f32_e32 v29, v25, v100
	v_add_f32_e32 v32, v28, v29
	ds_read2_b64 v[28:31], v1 offset0:89 offset1:90
	s_waitcnt vmcnt(31)
	v_mul_f32_e32 v33, v26, v101
	s_waitcnt vmcnt(30)
	v_fmac_f32_e32 v33, v27, v102
	v_add_f32_e32 v36, v32, v33
	ds_read2_b64 v[32:35], v1 offset0:91 offset1:92
	s_waitcnt vmcnt(29) lgkmcnt(1)
	v_mul_f32_e32 v37, v28, v103
	s_waitcnt vmcnt(28)
	v_fmac_f32_e32 v37, v29, v104
	v_add_f32_e32 v36, v36, v37
	s_waitcnt vmcnt(27)
	v_mul_f32_e32 v37, v30, v105
	s_waitcnt vmcnt(26)
	v_fmac_f32_e32 v37, v31, v106
	v_add_f32_e32 v36, v36, v37
	s_waitcnt vmcnt(25) lgkmcnt(0)
	v_mul_f32_e32 v37, v32, v107
	s_waitcnt vmcnt(24)
	v_fmac_f32_e32 v37, v33, v108
	v_add_f32_e32 v40, v36, v37
	ds_read2_b64 v[36:39], v1 offset0:93 offset1:94
	s_waitcnt vmcnt(23)
	v_mul_f32_e32 v41, v34, v109
	s_waitcnt vmcnt(22)
	v_fmac_f32_e32 v41, v35, v110
	v_add_f32_e32 v44, v40, v41
	ds_read2_b64 v[40:43], v1 offset0:95 offset1:96
	s_waitcnt vmcnt(21) lgkmcnt(1)
	v_mul_f32_e32 v45, v36, v111
	s_waitcnt vmcnt(20)
	v_fmac_f32_e32 v45, v37, v112
	v_add_f32_e32 v44, v44, v45
	s_waitcnt vmcnt(18)
	v_mul_f32_e32 v45, v38, v114
	v_fmac_f32_e32 v45, v39, v113
	v_add_f32_e32 v44, v44, v45
	s_waitcnt vmcnt(15) lgkmcnt(0)
	v_mul_f32_e32 v45, v40, v115
	s_waitcnt vmcnt(14)
	v_fmac_f32_e32 v45, v41, v116
	v_add_f32_e32 v48, v44, v45
	ds_read2_b64 v[44:47], v1 offset0:97 offset1:98
	s_waitcnt vmcnt(12)
	v_mul_f32_e32 v49, v42, v118
	v_fmac_f32_e32 v49, v43, v117
	v_add_f32_e32 v52, v48, v49
	ds_read2_b64 v[48:51], v1 offset0:99 offset1:100
	buffer_load_dword v61, off, s[0:3], 0 offset:380
	buffer_load_dword v60, off, s[0:3], 0 offset:376
	s_waitcnt vmcnt(12) lgkmcnt(1)
	v_mul_f32_e32 v53, v44, v120
	v_fmac_f32_e32 v53, v45, v119
	v_add_f32_e32 v52, v52, v53
	s_waitcnt vmcnt(10)
	v_mul_f32_e32 v53, v46, v122
	v_fmac_f32_e32 v53, v47, v121
	v_add_f32_e32 v52, v52, v53
	s_waitcnt vmcnt(8) lgkmcnt(0)
	v_mul_f32_e32 v53, v48, v124
	v_fmac_f32_e32 v53, v49, v123
	s_waitcnt vmcnt(6)
	v_mul_f32_e32 v57, v50, v126
	v_add_f32_e32 v56, v52, v53
	v_fmac_f32_e32 v57, v51, v125
	ds_read2_b64 v[52:55], v1 offset0:101 offset1:102
	v_add_f32_e32 v63, v56, v57
	ds_read2_b64 v[56:59], v1 offset0:103 offset1:104
	buffer_load_dword v69, off, s[0:3], 0 offset:412
	buffer_load_dword v68, off, s[0:3], 0 offset:408
	;; [unrolled: 1-line block ×14, first 2 shown]
	v_mul_f32_e32 v5, v5, v62
	v_fma_f32 v4, v4, v89, -v5
	v_mul_f32_e32 v5, v7, v64
	v_add_f32_e32 v4, 0, v4
	v_fma_f32 v5, v6, v90, -v5
	v_add_f32_e32 v4, v4, v5
	v_mul_f32_e32 v5, v9, v66
	v_fma_f32 v5, v8, v91, -v5
	v_add_f32_e32 v4, v4, v5
	v_mul_f32_e32 v5, v11, v82
	;; [unrolled: 3-line block ×22, first 2 shown]
	v_fma_f32 v5, v50, v125, -v5
	s_waitcnt vmcnt(15)
	v_mov_b32_e32 v18, v61
	s_waitcnt lgkmcnt(1)
	v_mul_f32_e32 v65, v52, v128
	v_add_f32_e32 v62, v4, v5
	v_mul_f32_e32 v4, v53, v128
	s_waitcnt lgkmcnt(0)
	v_pk_mul_f32 v[18:19], v[56:57], v[18:19] op_sel_hi:[1,0]
	v_fmac_f32_e32 v65, v53, v127
	v_mul_f32_e32 v67, v54, v130
	v_fma_f32 v64, v52, v127, -v4
	v_mul_f32_e32 v4, v55, v130
	s_waitcnt vmcnt(14)
	v_pk_fma_f32 v[20:21], v[56:57], v[60:61], v[18:19] op_sel:[0,0,1] op_sel_hi:[1,1,0] neg_lo:[0,0,1] neg_hi:[0,0,1]
	v_pk_fma_f32 v[18:19], v[56:57], v[60:61], v[18:19] op_sel:[0,0,1] op_sel_hi:[1,0,0]
	v_fmac_f32_e32 v67, v55, v129
	v_fma_f32 v66, v54, v129, -v4
	v_pk_add_f32 v[16:17], v[62:63], v[64:65]
	s_waitcnt vmcnt(7)
	v_mov_b32_e32 v18, v75
	ds_read2_b64 v[4:7], v1 offset0:105 offset1:106
	ds_read2_b64 v[8:11], v1 offset0:107 offset1:108
	;; [unrolled: 1-line block ×3, first 2 shown]
	v_pk_add_f32 v[16:17], v[16:17], v[66:67]
	v_mov_b32_e32 v21, v19
	v_pk_mul_f32 v[18:19], v[58:59], v[18:19] op_sel_hi:[1,0]
	v_pk_add_f32 v[16:17], v[16:17], v[20:21]
	s_waitcnt vmcnt(6)
	v_pk_fma_f32 v[20:21], v[58:59], v[74:75], v[18:19] op_sel:[0,0,1] op_sel_hi:[1,1,0] neg_lo:[0,0,1] neg_hi:[0,0,1]
	v_pk_fma_f32 v[18:19], v[58:59], v[74:75], v[18:19] op_sel:[0,0,1] op_sel_hi:[1,0,0]
	v_mov_b32_e32 v18, v73
	v_mov_b32_e32 v21, v19
	s_waitcnt lgkmcnt(2)
	v_pk_mul_f32 v[18:19], v[4:5], v[18:19] op_sel_hi:[1,0]
	v_pk_add_f32 v[16:17], v[16:17], v[20:21]
	v_pk_fma_f32 v[20:21], v[4:5], v[72:73], v[18:19] op_sel:[0,0,1] op_sel_hi:[1,1,0] neg_lo:[0,0,1] neg_hi:[0,0,1]
	v_pk_fma_f32 v[4:5], v[4:5], v[72:73], v[18:19] op_sel:[0,0,1] op_sel_hi:[1,0,0]
	v_mov_b32_e32 v21, v5
	v_pk_add_f32 v[4:5], v[16:17], v[20:21]
	v_mov_b32_e32 v16, v71
	v_pk_mul_f32 v[16:17], v[6:7], v[16:17] op_sel_hi:[1,0]
	v_pk_fma_f32 v[18:19], v[6:7], v[70:71], v[16:17] op_sel:[0,0,1] op_sel_hi:[1,1,0] neg_lo:[0,0,1] neg_hi:[0,0,1]
	v_pk_fma_f32 v[6:7], v[6:7], v[70:71], v[16:17] op_sel:[0,0,1] op_sel_hi:[1,0,0]
	v_mov_b32_e32 v6, v69
	v_mov_b32_e32 v19, v7
	s_waitcnt lgkmcnt(1)
	v_pk_mul_f32 v[6:7], v[8:9], v[6:7] op_sel_hi:[1,0]
	v_pk_fma_f32 v[16:17], v[8:9], v[68:69], v[6:7] op_sel:[0,0,1] op_sel_hi:[1,1,0] neg_lo:[0,0,1] neg_hi:[0,0,1]
	v_pk_fma_f32 v[6:7], v[8:9], v[68:69], v[6:7] op_sel:[0,0,1] op_sel_hi:[1,0,0]
	s_waitcnt vmcnt(1)
	v_mov_b32_e32 v6, v81
	v_mov_b32_e32 v17, v7
	v_pk_mul_f32 v[6:7], v[10:11], v[6:7] op_sel_hi:[1,0]
	s_waitcnt vmcnt(0)
	v_pk_fma_f32 v[8:9], v[10:11], v[80:81], v[6:7] op_sel:[0,0,1] op_sel_hi:[1,1,0] neg_lo:[0,0,1] neg_hi:[0,0,1]
	v_pk_fma_f32 v[6:7], v[10:11], v[80:81], v[6:7] op_sel:[0,0,1] op_sel_hi:[1,0,0]
	v_pk_add_f32 v[4:5], v[4:5], v[18:19]
	v_mov_b32_e32 v6, v79
	v_pk_add_f32 v[4:5], v[4:5], v[16:17]
	v_mov_b32_e32 v9, v7
	s_waitcnt lgkmcnt(0)
	v_pk_mul_f32 v[6:7], v[12:13], v[6:7] op_sel_hi:[1,0]
	v_pk_add_f32 v[4:5], v[4:5], v[8:9]
	v_pk_fma_f32 v[8:9], v[12:13], v[78:79], v[6:7] op_sel:[0,0,1] op_sel_hi:[1,1,0] neg_lo:[0,0,1] neg_hi:[0,0,1]
	v_pk_fma_f32 v[6:7], v[12:13], v[78:79], v[6:7] op_sel:[0,0,1] op_sel_hi:[1,0,0]
	v_mov_b32_e32 v6, v77
	v_mov_b32_e32 v9, v7
	v_pk_mul_f32 v[6:7], v[14:15], v[6:7] op_sel_hi:[1,0]
	v_pk_add_f32 v[4:5], v[4:5], v[8:9]
	v_pk_fma_f32 v[8:9], v[14:15], v[76:77], v[6:7] op_sel:[0,0,1] op_sel_hi:[1,1,0] neg_lo:[0,0,1] neg_hi:[0,0,1]
	v_pk_fma_f32 v[6:7], v[14:15], v[76:77], v[6:7] op_sel:[0,0,1] op_sel_hi:[1,0,0]
	v_mov_b32_e32 v9, v7
	v_pk_add_f32 v[4:5], v[4:5], v[8:9]
	v_pk_add_f32 v[2:3], v[2:3], v[4:5] neg_lo:[0,1] neg_hi:[0,1]
	buffer_store_dword v3, off, s[0:3], 0 offset:164
	buffer_store_dword v2, off, s[0:3], 0 offset:160
	s_and_saveexec_b64 s[4:5], vcc
	s_cbranch_execz .LBB54_305
; %bb.304:
	buffer_load_dword v2, off, s[0:3], 0 offset:152
	buffer_load_dword v3, off, s[0:3], 0 offset:156
	v_mov_b32_e32 v1, 0
	buffer_store_dword v1, off, s[0:3], 0 offset:152
	buffer_store_dword v1, off, s[0:3], 0 offset:156
	s_waitcnt vmcnt(2)
	ds_write_b64 v153, v[2:3]
.LBB54_305:
	s_or_b64 exec, exec, s[4:5]
	s_waitcnt lgkmcnt(0)
	; wave barrier
	s_waitcnt lgkmcnt(0)
	buffer_load_dword v60, off, s[0:3], 0 offset:164
	buffer_load_dword v62, off, s[0:3], 0 offset:172
	;; [unrolled: 1-line block ×56, first 2 shown]
	v_mov_b32_e32 v1, 0
	ds_read_b128 v[4:7], v1 offset:608
	ds_read_b128 v[8:11], v1 offset:624
	;; [unrolled: 1-line block ×6, first 2 shown]
	v_cmp_lt_u32_e32 vcc, 18, v0
	s_waitcnt vmcnt(55) lgkmcnt(5)
	v_mul_f32_e32 v28, v4, v60
	s_waitcnt vmcnt(54)
	v_mul_f32_e32 v29, v6, v62
	s_waitcnt vmcnt(53) lgkmcnt(4)
	v_mul_f32_e32 v30, v8, v64
	s_waitcnt vmcnt(52)
	v_mul_f32_e32 v31, v10, v82
	;; [unrolled: 4-line block ×4, first 2 shown]
	s_waitcnt vmcnt(47) lgkmcnt(1)
	v_mul_f32_e32 v36, v20, v87
	s_waitcnt vmcnt(46)
	v_fmac_f32_e32 v28, v5, v88
	s_waitcnt vmcnt(45)
	v_fmac_f32_e32 v29, v7, v89
	v_add_f32_e32 v28, 0, v28
	s_waitcnt vmcnt(44)
	v_fmac_f32_e32 v30, v9, v90
	v_add_f32_e32 v28, v28, v29
	;; [unrolled: 3-line block ×7, first 2 shown]
	v_add_f32_e32 v28, v28, v35
	s_waitcnt vmcnt(38)
	v_fmac_f32_e32 v36, v21, v96
	s_waitcnt vmcnt(37)
	v_mul_f32_e32 v29, v22, v97
	v_add_f32_e32 v28, v28, v36
	s_waitcnt vmcnt(36)
	v_fmac_f32_e32 v29, v23, v98
	v_add_f32_e32 v28, v28, v29
	s_waitcnt vmcnt(35) lgkmcnt(0)
	v_mul_f32_e32 v29, v24, v99
	s_waitcnt vmcnt(34)
	v_fmac_f32_e32 v29, v25, v100
	v_add_f32_e32 v32, v28, v29
	ds_read_b128 v[28:31], v1 offset:704
	s_waitcnt vmcnt(33)
	v_mul_f32_e32 v33, v26, v101
	s_waitcnt vmcnt(32)
	v_fmac_f32_e32 v33, v27, v102
	v_add_f32_e32 v36, v32, v33
	ds_read_b128 v[32:35], v1 offset:720
	s_waitcnt vmcnt(31) lgkmcnt(1)
	v_mul_f32_e32 v37, v28, v103
	s_waitcnt vmcnt(30)
	v_fmac_f32_e32 v37, v29, v104
	v_add_f32_e32 v36, v36, v37
	s_waitcnt vmcnt(29)
	v_mul_f32_e32 v37, v30, v105
	s_waitcnt vmcnt(28)
	v_fmac_f32_e32 v37, v31, v106
	v_add_f32_e32 v36, v36, v37
	s_waitcnt vmcnt(27) lgkmcnt(0)
	v_mul_f32_e32 v37, v32, v107
	s_waitcnt vmcnt(26)
	v_fmac_f32_e32 v37, v33, v108
	v_add_f32_e32 v40, v36, v37
	ds_read_b128 v[36:39], v1 offset:736
	s_waitcnt vmcnt(24)
	v_mul_f32_e32 v41, v34, v110
	v_fmac_f32_e32 v41, v35, v109
	v_add_f32_e32 v44, v40, v41
	ds_read_b128 v[40:43], v1 offset:752
	s_waitcnt vmcnt(20) lgkmcnt(1)
	v_mul_f32_e32 v45, v36, v112
	v_fmac_f32_e32 v45, v37, v111
	v_add_f32_e32 v44, v44, v45
	s_waitcnt vmcnt(18)
	v_mul_f32_e32 v45, v38, v114
	v_fmac_f32_e32 v45, v39, v113
	v_add_f32_e32 v44, v44, v45
	s_waitcnt vmcnt(16) lgkmcnt(0)
	v_mul_f32_e32 v45, v40, v116
	v_fmac_f32_e32 v45, v41, v115
	v_add_f32_e32 v48, v44, v45
	ds_read_b128 v[44:47], v1 offset:768
	s_waitcnt vmcnt(14)
	v_mul_f32_e32 v49, v42, v118
	v_fmac_f32_e32 v49, v43, v117
	v_add_f32_e32 v52, v48, v49
	ds_read_b128 v[48:51], v1 offset:784
	s_waitcnt vmcnt(12) lgkmcnt(1)
	v_mul_f32_e32 v53, v44, v120
	v_fmac_f32_e32 v53, v45, v119
	v_add_f32_e32 v52, v52, v53
	s_waitcnt vmcnt(10)
	v_mul_f32_e32 v53, v46, v122
	v_fmac_f32_e32 v53, v47, v121
	v_add_f32_e32 v52, v52, v53
	s_waitcnt vmcnt(8) lgkmcnt(0)
	v_mul_f32_e32 v53, v48, v124
	v_fmac_f32_e32 v53, v49, v123
	s_waitcnt vmcnt(6)
	v_mul_f32_e32 v57, v50, v126
	v_add_f32_e32 v56, v52, v53
	v_fmac_f32_e32 v57, v51, v125
	ds_read_b128 v[52:55], v1 offset:800
	v_add_f32_e32 v61, v56, v57
	ds_read_b128 v[56:59], v1 offset:816
	buffer_load_dword v67, off, s[0:3], 0 offset:404
	buffer_load_dword v66, off, s[0:3], 0 offset:400
	;; [unrolled: 1-line block ×16, first 2 shown]
	v_mul_f32_e32 v5, v5, v60
	v_fma_f32 v4, v4, v88, -v5
	v_mul_f32_e32 v5, v7, v62
	v_add_f32_e32 v4, 0, v4
	v_fma_f32 v5, v6, v89, -v5
	v_add_f32_e32 v4, v4, v5
	v_mul_f32_e32 v5, v9, v64
	v_fma_f32 v5, v8, v90, -v5
	v_add_f32_e32 v4, v4, v5
	v_mul_f32_e32 v5, v11, v82
	;; [unrolled: 3-line block ×22, first 2 shown]
	v_fma_f32 v5, v50, v125, -v5
	v_add_f32_e32 v4, v4, v5
	s_waitcnt vmcnt(20) lgkmcnt(1)
	v_mul_f32_e32 v5, v53, v128
	v_mul_f32_e32 v63, v52, v128
	v_fma_f32 v5, v52, v127, -v5
	v_fmac_f32_e32 v63, v53, v127
	v_add_f32_e32 v60, v4, v5
	s_waitcnt vmcnt(18)
	v_mul_f32_e32 v4, v55, v130
	s_waitcnt vmcnt(9)
	v_mov_b32_e32 v20, v73
	v_add_f32_e32 v61, v61, v63
	v_mul_f32_e32 v63, v54, v130
	v_fma_f32 v62, v54, v129, -v4
	s_waitcnt lgkmcnt(0)
	v_mul_f32_e32 v4, v57, v132
	v_pk_mul_f32 v[20:21], v[58:59], v[20:21] op_sel_hi:[1,0]
	v_fmac_f32_e32 v63, v55, v129
	v_mul_f32_e32 v65, v56, v132
	v_fma_f32 v64, v56, v131, -v4
	ds_read_b128 v[4:7], v1 offset:832
	ds_read_b128 v[8:11], v1 offset:848
	ds_read_b128 v[12:15], v1 offset:864
	ds_read_b64 v[16:17], v1 offset:880
	s_waitcnt vmcnt(8)
	v_pk_fma_f32 v[22:23], v[58:59], v[72:73], v[20:21] op_sel:[0,0,1] op_sel_hi:[1,1,0] neg_lo:[0,0,1] neg_hi:[0,0,1]
	v_pk_fma_f32 v[20:21], v[58:59], v[72:73], v[20:21] op_sel:[0,0,1] op_sel_hi:[1,0,0]
	v_fmac_f32_e32 v65, v57, v131
	v_pk_add_f32 v[18:19], v[60:61], v[62:63]
	v_mov_b32_e32 v20, v71
	v_pk_add_f32 v[18:19], v[18:19], v[64:65]
	v_mov_b32_e32 v23, v21
	s_waitcnt lgkmcnt(3)
	v_pk_mul_f32 v[20:21], v[4:5], v[20:21] op_sel_hi:[1,0]
	v_pk_add_f32 v[18:19], v[18:19], v[22:23]
	v_pk_fma_f32 v[22:23], v[4:5], v[70:71], v[20:21] op_sel:[0,0,1] op_sel_hi:[1,1,0] neg_lo:[0,0,1] neg_hi:[0,0,1]
	v_pk_fma_f32 v[4:5], v[4:5], v[70:71], v[20:21] op_sel:[0,0,1] op_sel_hi:[1,0,0]
	v_mov_b32_e32 v23, v5
	v_pk_add_f32 v[4:5], v[18:19], v[22:23]
	v_mov_b32_e32 v18, v69
	v_pk_mul_f32 v[18:19], v[6:7], v[18:19] op_sel_hi:[1,0]
	v_pk_fma_f32 v[20:21], v[6:7], v[68:69], v[18:19] op_sel:[0,0,1] op_sel_hi:[1,1,0] neg_lo:[0,0,1] neg_hi:[0,0,1]
	v_pk_fma_f32 v[6:7], v[6:7], v[68:69], v[18:19] op_sel:[0,0,1] op_sel_hi:[1,0,0]
	v_mov_b32_e32 v6, v67
	v_mov_b32_e32 v21, v7
	s_waitcnt lgkmcnt(2)
	v_pk_mul_f32 v[6:7], v[8:9], v[6:7] op_sel_hi:[1,0]
	v_pk_fma_f32 v[18:19], v[8:9], v[66:67], v[6:7] op_sel:[0,0,1] op_sel_hi:[1,1,0] neg_lo:[0,0,1] neg_hi:[0,0,1]
	v_pk_fma_f32 v[6:7], v[8:9], v[66:67], v[6:7] op_sel:[0,0,1] op_sel_hi:[1,0,0]
	s_waitcnt vmcnt(1)
	v_mov_b32_e32 v6, v81
	v_mov_b32_e32 v19, v7
	v_pk_mul_f32 v[6:7], v[10:11], v[6:7] op_sel_hi:[1,0]
	s_waitcnt vmcnt(0)
	v_pk_fma_f32 v[8:9], v[10:11], v[80:81], v[6:7] op_sel:[0,0,1] op_sel_hi:[1,1,0] neg_lo:[0,0,1] neg_hi:[0,0,1]
	v_pk_fma_f32 v[6:7], v[10:11], v[80:81], v[6:7] op_sel:[0,0,1] op_sel_hi:[1,0,0]
	v_pk_add_f32 v[4:5], v[4:5], v[20:21]
	v_mov_b32_e32 v6, v79
	v_pk_add_f32 v[4:5], v[4:5], v[18:19]
	v_mov_b32_e32 v9, v7
	s_waitcnt lgkmcnt(1)
	v_pk_mul_f32 v[6:7], v[12:13], v[6:7] op_sel_hi:[1,0]
	v_pk_add_f32 v[4:5], v[4:5], v[8:9]
	v_pk_fma_f32 v[8:9], v[12:13], v[78:79], v[6:7] op_sel:[0,0,1] op_sel_hi:[1,1,0] neg_lo:[0,0,1] neg_hi:[0,0,1]
	v_pk_fma_f32 v[6:7], v[12:13], v[78:79], v[6:7] op_sel:[0,0,1] op_sel_hi:[1,0,0]
	v_mov_b32_e32 v6, v77
	v_mov_b32_e32 v9, v7
	v_pk_mul_f32 v[6:7], v[14:15], v[6:7] op_sel_hi:[1,0]
	v_pk_add_f32 v[4:5], v[4:5], v[8:9]
	v_pk_fma_f32 v[8:9], v[14:15], v[76:77], v[6:7] op_sel:[0,0,1] op_sel_hi:[1,1,0] neg_lo:[0,0,1] neg_hi:[0,0,1]
	v_pk_fma_f32 v[6:7], v[14:15], v[76:77], v[6:7] op_sel:[0,0,1] op_sel_hi:[1,0,0]
	v_mov_b32_e32 v6, v75
	v_mov_b32_e32 v9, v7
	s_waitcnt lgkmcnt(0)
	v_pk_mul_f32 v[6:7], v[16:17], v[6:7] op_sel_hi:[1,0]
	v_pk_add_f32 v[4:5], v[4:5], v[8:9]
	v_pk_fma_f32 v[8:9], v[16:17], v[74:75], v[6:7] op_sel:[0,0,1] op_sel_hi:[1,1,0] neg_lo:[0,0,1] neg_hi:[0,0,1]
	v_pk_fma_f32 v[6:7], v[16:17], v[74:75], v[6:7] op_sel:[0,0,1] op_sel_hi:[1,0,0]
	v_mov_b32_e32 v9, v7
	v_pk_add_f32 v[4:5], v[4:5], v[8:9]
	v_pk_add_f32 v[2:3], v[2:3], v[4:5] neg_lo:[0,1] neg_hi:[0,1]
	buffer_store_dword v3, off, s[0:3], 0 offset:156
	buffer_store_dword v2, off, s[0:3], 0 offset:152
	s_and_saveexec_b64 s[4:5], vcc
	s_cbranch_execz .LBB54_307
; %bb.306:
	buffer_load_dword v2, off, s[0:3], 0 offset:144
	buffer_load_dword v3, off, s[0:3], 0 offset:148
	s_waitcnt vmcnt(0)
	ds_write_b64 v153, v[2:3]
	buffer_store_dword v1, off, s[0:3], 0 offset:144
	buffer_store_dword v1, off, s[0:3], 0 offset:148
.LBB54_307:
	s_or_b64 exec, exec, s[4:5]
	s_waitcnt lgkmcnt(0)
	; wave barrier
	s_waitcnt lgkmcnt(0)
	buffer_load_dword v60, off, s[0:3], 0 offset:156
	buffer_load_dword v62, off, s[0:3], 0 offset:164
	;; [unrolled: 1-line block ×36, first 2 shown]
	ds_read2_b64 v[4:7], v1 offset0:75 offset1:76
	ds_read2_b64 v[8:11], v1 offset0:77 offset1:78
	buffer_load_dword v113, off, s[0:3], 0 offset:288
	buffer_load_dword v114, off, s[0:3], 0 offset:292
	;; [unrolled: 1-line block ×4, first 2 shown]
	ds_read2_b64 v[12:15], v1 offset0:79 offset1:80
	ds_read2_b64 v[16:19], v1 offset0:81 offset1:82
	buffer_load_dword v117, off, s[0:3], 0 offset:304
	buffer_load_dword v118, off, s[0:3], 0 offset:308
	ds_read2_b64 v[20:23], v1 offset0:83 offset1:84
	ds_read2_b64 v[24:27], v1 offset0:85 offset1:86
	buffer_load_dword v119, off, s[0:3], 0 offset:312
	buffer_load_dword v120, off, s[0:3], 0 offset:316
	;; [unrolled: 1-line block ×16, first 2 shown]
	v_cmp_lt_u32_e32 vcc, 17, v0
	s_waitcnt vmcnt(57) lgkmcnt(5)
	v_mul_f32_e32 v28, v4, v60
	s_waitcnt vmcnt(56)
	v_mul_f32_e32 v29, v6, v62
	s_waitcnt vmcnt(55) lgkmcnt(4)
	v_mul_f32_e32 v30, v8, v70
	s_waitcnt vmcnt(54)
	v_mul_f32_e32 v31, v10, v82
	s_waitcnt vmcnt(53) lgkmcnt(3)
	v_mul_f32_e32 v32, v12, v83
	s_waitcnt vmcnt(52)
	v_mul_f32_e32 v33, v14, v84
	s_waitcnt vmcnt(51) lgkmcnt(2)
	v_mul_f32_e32 v34, v16, v85
	s_waitcnt vmcnt(50)
	v_mul_f32_e32 v35, v18, v86
	s_waitcnt vmcnt(49)
	v_fmac_f32_e32 v28, v5, v87
	s_waitcnt vmcnt(48)
	v_fmac_f32_e32 v29, v7, v88
	v_add_f32_e32 v28, 0, v28
	s_waitcnt vmcnt(47)
	v_fmac_f32_e32 v30, v9, v89
	v_add_f32_e32 v28, v28, v29
	;; [unrolled: 3-line block ×7, first 2 shown]
	s_waitcnt vmcnt(41) lgkmcnt(1)
	v_mul_f32_e32 v29, v20, v95
	v_add_f32_e32 v28, v28, v35
	s_waitcnt vmcnt(40)
	v_fmac_f32_e32 v29, v21, v96
	v_add_f32_e32 v28, v28, v29
	s_waitcnt vmcnt(39)
	v_mul_f32_e32 v29, v22, v97
	s_waitcnt vmcnt(38)
	v_fmac_f32_e32 v29, v23, v98
	v_add_f32_e32 v28, v28, v29
	s_waitcnt vmcnt(37) lgkmcnt(0)
	v_mul_f32_e32 v29, v24, v99
	s_waitcnt vmcnt(36)
	v_fmac_f32_e32 v29, v25, v100
	v_add_f32_e32 v32, v28, v29
	ds_read2_b64 v[28:31], v1 offset0:87 offset1:88
	s_waitcnt vmcnt(35)
	v_mul_f32_e32 v33, v26, v101
	s_waitcnt vmcnt(34)
	v_fmac_f32_e32 v33, v27, v102
	v_add_f32_e32 v36, v32, v33
	ds_read2_b64 v[32:35], v1 offset0:89 offset1:90
	s_waitcnt vmcnt(33) lgkmcnt(1)
	v_mul_f32_e32 v37, v28, v103
	s_waitcnt vmcnt(32)
	v_fmac_f32_e32 v37, v29, v104
	v_add_f32_e32 v36, v36, v37
	s_waitcnt vmcnt(31)
	v_mul_f32_e32 v37, v30, v105
	s_waitcnt vmcnt(30)
	v_fmac_f32_e32 v37, v31, v106
	v_add_f32_e32 v36, v36, v37
	s_waitcnt vmcnt(29) lgkmcnt(0)
	v_mul_f32_e32 v37, v32, v107
	s_waitcnt vmcnt(28)
	v_fmac_f32_e32 v37, v33, v108
	v_add_f32_e32 v40, v36, v37
	ds_read2_b64 v[36:39], v1 offset0:91 offset1:92
	s_waitcnt vmcnt(25)
	v_mul_f32_e32 v41, v34, v109
	s_waitcnt vmcnt(24)
	v_fmac_f32_e32 v41, v35, v110
	v_add_f32_e32 v44, v40, v41
	ds_read2_b64 v[40:43], v1 offset0:93 offset1:94
	s_waitcnt vmcnt(22) lgkmcnt(1)
	v_mul_f32_e32 v45, v36, v112
	v_fmac_f32_e32 v45, v37, v111
	v_add_f32_e32 v44, v44, v45
	s_waitcnt vmcnt(20)
	v_mul_f32_e32 v45, v38, v114
	v_fmac_f32_e32 v45, v39, v113
	v_add_f32_e32 v44, v44, v45
	s_waitcnt vmcnt(18) lgkmcnt(0)
	v_mul_f32_e32 v45, v40, v116
	v_fmac_f32_e32 v45, v41, v115
	v_add_f32_e32 v48, v44, v45
	ds_read2_b64 v[44:47], v1 offset0:95 offset1:96
	s_waitcnt vmcnt(16)
	v_mul_f32_e32 v49, v42, v118
	v_fmac_f32_e32 v49, v43, v117
	v_add_f32_e32 v52, v48, v49
	ds_read2_b64 v[48:51], v1 offset0:97 offset1:98
	s_waitcnt vmcnt(14) lgkmcnt(1)
	v_mul_f32_e32 v53, v44, v120
	v_fmac_f32_e32 v53, v45, v119
	v_add_f32_e32 v52, v52, v53
	s_waitcnt vmcnt(12)
	v_mul_f32_e32 v53, v46, v122
	v_fmac_f32_e32 v53, v47, v121
	v_add_f32_e32 v52, v52, v53
	s_waitcnt vmcnt(10) lgkmcnt(0)
	v_mul_f32_e32 v53, v48, v124
	v_fmac_f32_e32 v53, v49, v123
	s_waitcnt vmcnt(8)
	v_mul_f32_e32 v57, v50, v126
	v_add_f32_e32 v56, v52, v53
	v_fmac_f32_e32 v57, v51, v125
	ds_read2_b64 v[52:55], v1 offset0:99 offset1:100
	v_add_f32_e32 v61, v56, v57
	ds_read2_b64 v[56:59], v1 offset0:101 offset1:102
	buffer_load_dword v65, off, s[0:3], 0 offset:396
	buffer_load_dword v64, off, s[0:3], 0 offset:392
	;; [unrolled: 1-line block ×16, first 2 shown]
	v_mul_f32_e32 v5, v5, v60
	v_fma_f32 v4, v4, v87, -v5
	v_mul_f32_e32 v5, v7, v62
	v_add_f32_e32 v4, 0, v4
	v_fma_f32 v5, v6, v88, -v5
	v_add_f32_e32 v4, v4, v5
	v_mul_f32_e32 v5, v9, v70
	v_fma_f32 v5, v8, v89, -v5
	v_add_f32_e32 v4, v4, v5
	v_mul_f32_e32 v5, v11, v82
	;; [unrolled: 3-line block ×22, first 2 shown]
	v_fma_f32 v5, v50, v125, -v5
	v_add_f32_e32 v4, v4, v5
	s_waitcnt vmcnt(22) lgkmcnt(1)
	v_mul_f32_e32 v5, v53, v128
	v_fma_f32 v5, v52, v127, -v5
	v_add_f32_e32 v4, v4, v5
	s_waitcnt vmcnt(20)
	v_mul_f32_e32 v5, v55, v130
	v_mul_f32_e32 v63, v52, v128
	v_fma_f32 v5, v54, v129, -v5
	v_fmac_f32_e32 v63, v53, v127
	v_add_f32_e32 v60, v4, v5
	s_waitcnt vmcnt(18) lgkmcnt(0)
	v_mul_f32_e32 v4, v57, v132
	v_add_f32_e32 v61, v61, v63
	v_mul_f32_e32 v63, v54, v130
	v_fma_f32 v62, v56, v131, -v4
	s_waitcnt vmcnt(16)
	v_mul_f32_e32 v4, v59, v134
	v_fmac_f32_e32 v63, v55, v129
	v_fma_f32 v70, v58, v133, -v4
	ds_read2_b64 v[4:7], v1 offset0:103 offset1:104
	ds_read2_b64 v[8:11], v1 offset0:105 offset1:106
	;; [unrolled: 1-line block ×4, first 2 shown]
	v_add_f32_e32 v61, v61, v63
	v_mul_f32_e32 v63, v56, v132
	s_waitcnt vmcnt(11)
	v_mov_b32_e32 v22, v69
	v_fmac_f32_e32 v63, v57, v131
	v_mul_f32_e32 v71, v58, v134
	s_waitcnt lgkmcnt(3)
	v_pk_mul_f32 v[22:23], v[4:5], v[22:23] op_sel_hi:[1,0]
	v_fmac_f32_e32 v71, v59, v133
	v_pk_add_f32 v[20:21], v[60:61], v[62:63]
	s_waitcnt vmcnt(10)
	v_pk_fma_f32 v[24:25], v[4:5], v[68:69], v[22:23] op_sel:[0,0,1] op_sel_hi:[1,1,0] neg_lo:[0,0,1] neg_hi:[0,0,1]
	v_pk_fma_f32 v[4:5], v[4:5], v[68:69], v[22:23] op_sel:[0,0,1] op_sel_hi:[1,0,0]
	v_pk_add_f32 v[20:21], v[20:21], v[70:71]
	v_mov_b32_e32 v25, v5
	v_pk_add_f32 v[4:5], v[20:21], v[24:25]
	v_mov_b32_e32 v20, v67
	v_pk_mul_f32 v[20:21], v[6:7], v[20:21] op_sel_hi:[1,0]
	v_pk_fma_f32 v[22:23], v[6:7], v[66:67], v[20:21] op_sel:[0,0,1] op_sel_hi:[1,1,0] neg_lo:[0,0,1] neg_hi:[0,0,1]
	v_pk_fma_f32 v[6:7], v[6:7], v[66:67], v[20:21] op_sel:[0,0,1] op_sel_hi:[1,0,0]
	v_mov_b32_e32 v6, v65
	v_mov_b32_e32 v23, v7
	s_waitcnt lgkmcnt(2)
	v_pk_mul_f32 v[6:7], v[8:9], v[6:7] op_sel_hi:[1,0]
	v_pk_fma_f32 v[20:21], v[8:9], v[64:65], v[6:7] op_sel:[0,0,1] op_sel_hi:[1,1,0] neg_lo:[0,0,1] neg_hi:[0,0,1]
	v_pk_fma_f32 v[6:7], v[8:9], v[64:65], v[6:7] op_sel:[0,0,1] op_sel_hi:[1,0,0]
	s_waitcnt vmcnt(3)
	v_mov_b32_e32 v6, v79
	v_mov_b32_e32 v21, v7
	v_pk_mul_f32 v[6:7], v[10:11], v[6:7] op_sel_hi:[1,0]
	s_waitcnt vmcnt(2)
	v_pk_fma_f32 v[8:9], v[10:11], v[78:79], v[6:7] op_sel:[0,0,1] op_sel_hi:[1,1,0] neg_lo:[0,0,1] neg_hi:[0,0,1]
	v_pk_fma_f32 v[6:7], v[10:11], v[78:79], v[6:7] op_sel:[0,0,1] op_sel_hi:[1,0,0]
	v_pk_add_f32 v[4:5], v[4:5], v[22:23]
	v_mov_b32_e32 v6, v77
	v_pk_add_f32 v[4:5], v[4:5], v[20:21]
	v_mov_b32_e32 v9, v7
	s_waitcnt lgkmcnt(1)
	v_pk_mul_f32 v[6:7], v[12:13], v[6:7] op_sel_hi:[1,0]
	v_pk_add_f32 v[4:5], v[4:5], v[8:9]
	v_pk_fma_f32 v[8:9], v[12:13], v[76:77], v[6:7] op_sel:[0,0,1] op_sel_hi:[1,1,0] neg_lo:[0,0,1] neg_hi:[0,0,1]
	v_pk_fma_f32 v[6:7], v[12:13], v[76:77], v[6:7] op_sel:[0,0,1] op_sel_hi:[1,0,0]
	v_mov_b32_e32 v6, v75
	v_mov_b32_e32 v9, v7
	v_pk_mul_f32 v[6:7], v[14:15], v[6:7] op_sel_hi:[1,0]
	v_pk_add_f32 v[4:5], v[4:5], v[8:9]
	v_pk_fma_f32 v[8:9], v[14:15], v[74:75], v[6:7] op_sel:[0,0,1] op_sel_hi:[1,1,0] neg_lo:[0,0,1] neg_hi:[0,0,1]
	v_pk_fma_f32 v[6:7], v[14:15], v[74:75], v[6:7] op_sel:[0,0,1] op_sel_hi:[1,0,0]
	v_mov_b32_e32 v6, v73
	v_mov_b32_e32 v9, v7
	s_waitcnt lgkmcnt(0)
	v_pk_mul_f32 v[6:7], v[16:17], v[6:7] op_sel_hi:[1,0]
	v_pk_add_f32 v[4:5], v[4:5], v[8:9]
	v_pk_fma_f32 v[8:9], v[16:17], v[72:73], v[6:7] op_sel:[0,0,1] op_sel_hi:[1,1,0] neg_lo:[0,0,1] neg_hi:[0,0,1]
	v_pk_fma_f32 v[6:7], v[16:17], v[72:73], v[6:7] op_sel:[0,0,1] op_sel_hi:[1,0,0]
	s_waitcnt vmcnt(1)
	v_mov_b32_e32 v6, v81
	v_mov_b32_e32 v9, v7
	v_pk_mul_f32 v[6:7], v[18:19], v[6:7] op_sel_hi:[1,0]
	v_pk_add_f32 v[4:5], v[4:5], v[8:9]
	s_waitcnt vmcnt(0)
	v_pk_fma_f32 v[8:9], v[18:19], v[80:81], v[6:7] op_sel:[0,0,1] op_sel_hi:[1,1,0] neg_lo:[0,0,1] neg_hi:[0,0,1]
	v_pk_fma_f32 v[6:7], v[18:19], v[80:81], v[6:7] op_sel:[0,0,1] op_sel_hi:[1,0,0]
	v_mov_b32_e32 v9, v7
	v_pk_add_f32 v[4:5], v[4:5], v[8:9]
	v_pk_add_f32 v[2:3], v[2:3], v[4:5] neg_lo:[0,1] neg_hi:[0,1]
	buffer_store_dword v3, off, s[0:3], 0 offset:148
	buffer_store_dword v2, off, s[0:3], 0 offset:144
	s_and_saveexec_b64 s[4:5], vcc
	s_cbranch_execz .LBB54_309
; %bb.308:
	buffer_load_dword v2, off, s[0:3], 0 offset:136
	buffer_load_dword v3, off, s[0:3], 0 offset:140
	v_mov_b32_e32 v1, 0
	buffer_store_dword v1, off, s[0:3], 0 offset:136
	buffer_store_dword v1, off, s[0:3], 0 offset:140
	s_waitcnt vmcnt(2)
	ds_write_b64 v153, v[2:3]
.LBB54_309:
	s_or_b64 exec, exec, s[4:5]
	s_waitcnt lgkmcnt(0)
	; wave barrier
	s_waitcnt lgkmcnt(0)
	buffer_load_dword v32, off, s[0:3], 0 offset:148
	buffer_load_dword v34, off, s[0:3], 0 offset:156
	;; [unrolled: 1-line block ×60, first 2 shown]
	v_mov_b32_e32 v50, 0
	ds_read_b128 v[22:25], v50 offset:592
	ds_read_b128 v[18:21], v50 offset:608
	;; [unrolled: 1-line block ×14, first 2 shown]
	v_cmp_lt_u32_e32 vcc, 16, v0
	s_waitcnt vmcnt(59) lgkmcnt(13)
	v_mul_f32_e32 v2, v22, v32
	s_waitcnt vmcnt(58)
	v_mul_f32_e32 v3, v24, v34
	s_waitcnt vmcnt(57) lgkmcnt(12)
	v_mul_f32_e32 v4, v18, v1
	s_waitcnt vmcnt(56)
	v_mul_f32_e32 v5, v20, v51
	;; [unrolled: 4-line block ×3, first 2 shown]
	s_waitcnt vmcnt(53) lgkmcnt(10)
	v_mul_f32_e32 v31, v10, v30
	s_waitcnt vmcnt(52)
	v_fmac_f32_e32 v2, v23, v64
	s_waitcnt vmcnt(51)
	v_fmac_f32_e32 v3, v25, v58
	v_add_f32_e32 v2, 0, v2
	s_waitcnt vmcnt(50)
	v_fmac_f32_e32 v4, v19, v67
	v_add_f32_e32 v2, v2, v3
	;; [unrolled: 3-line block ×6, first 2 shown]
	s_waitcnt vmcnt(45)
	v_mul_f32_e32 v3, v12, v63
	v_add_f32_e32 v2, v2, v31
	s_waitcnt vmcnt(44)
	v_fmac_f32_e32 v3, v13, v62
	v_add_f32_e32 v2, v2, v3
	s_waitcnt vmcnt(43) lgkmcnt(9)
	v_mul_f32_e32 v3, v6, v61
	s_waitcnt vmcnt(42)
	v_fmac_f32_e32 v3, v7, v60
	v_add_f32_e32 v2, v2, v3
	s_waitcnt vmcnt(41)
	v_mul_f32_e32 v3, v8, v57
	s_waitcnt vmcnt(40)
	v_fmac_f32_e32 v3, v9, v56
	v_add_f32_e32 v2, v2, v3
	s_waitcnt vmcnt(39) lgkmcnt(8)
	v_mul_f32_e32 v3, v76, v55
	s_waitcnt vmcnt(38)
	v_fmac_f32_e32 v3, v77, v75
	v_add_f32_e32 v2, v2, v3
	s_waitcnt vmcnt(37)
	v_mul_f32_e32 v3, v78, v71
	;; [unrolled: 10-line block ×4, first 2 shown]
	v_fmac_f32_e32 v3, v87, v113
	v_add_f32_e32 v2, v2, v3
	s_waitcnt vmcnt(24) lgkmcnt(5)
	v_mul_f32_e32 v3, v88, v116
	v_fmac_f32_e32 v3, v89, v115
	v_add_f32_e32 v2, v2, v3
	s_waitcnt vmcnt(22)
	v_mul_f32_e32 v3, v90, v118
	v_fmac_f32_e32 v3, v91, v117
	v_add_f32_e32 v2, v2, v3
	s_waitcnt vmcnt(20) lgkmcnt(4)
	v_mul_f32_e32 v3, v92, v120
	v_fmac_f32_e32 v3, v93, v119
	v_add_f32_e32 v2, v2, v3
	s_waitcnt vmcnt(18)
	v_mul_f32_e32 v3, v94, v122
	;; [unrolled: 8-line block ×5, first 2 shown]
	v_fmac_f32_e32 v3, v107, v133
	v_add_f32_e32 v28, v2, v3
	ds_read_b128 v[2:5], v50 offset:816
	s_waitcnt vmcnt(4) lgkmcnt(1)
	v_mul_f32_e32 v29, v108, v136
	v_fmac_f32_e32 v29, v109, v135
	v_add_f32_e32 v33, v28, v29
	buffer_load_dword v29, off, s[0:3], 0 offset:380
	buffer_load_dword v28, off, s[0:3], 0 offset:376
	;; [unrolled: 1-line block ×16, first 2 shown]
	v_mul_f32_e32 v23, v23, v32
	v_fma_f32 v22, v22, v64, -v23
	v_mul_f32_e32 v23, v25, v34
	v_add_f32_e32 v22, 0, v22
	v_fma_f32 v23, v24, v58, -v23
	v_mul_f32_e32 v1, v19, v1
	v_add_f32_e32 v22, v22, v23
	;; [unrolled: 3-line block ×4, first 2 shown]
	v_fma_f32 v14, v14, v59, -v15
	v_add_f32_e32 v1, v1, v14
	v_mul_f32_e32 v14, v17, v53
	v_fma_f32 v14, v16, v54, -v14
	v_mul_f32_e32 v11, v11, v30
	v_add_f32_e32 v1, v1, v14
	v_fma_f32 v10, v10, v66, -v11
	v_add_f32_e32 v1, v1, v10
	v_mul_f32_e32 v10, v13, v63
	v_fma_f32 v10, v12, v62, -v10
	v_mul_f32_e32 v7, v7, v61
	v_add_f32_e32 v1, v1, v10
	v_fma_f32 v6, v6, v60, -v7
	v_add_f32_e32 v1, v1, v6
	v_mul_f32_e32 v6, v9, v57
	v_fma_f32 v6, v8, v56, -v6
	v_add_f32_e32 v1, v1, v6
	v_mul_f32_e32 v6, v77, v55
	;; [unrolled: 3-line block ×18, first 2 shown]
	v_fma_f32 v6, v108, v135, -v6
	s_waitcnt vmcnt(18)
	v_mul_f32_e32 v35, v110, v138
	v_add_f32_e32 v32, v1, v6
	v_mul_f32_e32 v1, v111, v138
	s_waitcnt vmcnt(15)
	v_mov_b32_e32 v20, v29
	v_fmac_f32_e32 v35, v111, v137
	s_waitcnt lgkmcnt(0)
	v_mul_f32_e32 v31, v2, v140
	v_fma_f32 v34, v110, v137, -v1
	v_mul_f32_e32 v1, v3, v140
	v_pk_mul_f32 v[20:21], v[4:5], v[20:21] op_sel_hi:[1,0]
	v_fmac_f32_e32 v31, v3, v139
	v_fma_f32 v30, v2, v139, -v1
	v_pk_add_f32 v[18:19], v[32:33], v[34:35]
	s_waitcnt vmcnt(14)
	v_pk_fma_f32 v[22:23], v[4:5], v[28:29], v[20:21] op_sel:[0,0,1] op_sel_hi:[1,1,0] neg_lo:[0,0,1] neg_hi:[0,0,1]
	v_pk_fma_f32 v[4:5], v[4:5], v[28:29], v[20:21] op_sel:[0,0,1] op_sel_hi:[1,0,0]
	ds_read_b128 v[6:9], v50 offset:832
	ds_read_b128 v[10:13], v50 offset:848
	;; [unrolled: 1-line block ×3, first 2 shown]
	ds_read_b64 v[2:3], v50 offset:880
	v_pk_add_f32 v[18:19], v[18:19], v[30:31]
	v_mov_b32_e32 v23, v5
	v_pk_add_f32 v[4:5], v[18:19], v[22:23]
	s_waitcnt vmcnt(13)
	v_mov_b32_e32 v18, v49
	s_waitcnt lgkmcnt(3)
	v_pk_mul_f32 v[18:19], v[6:7], v[18:19] op_sel_hi:[1,0]
	s_waitcnt vmcnt(12)
	v_pk_fma_f32 v[20:21], v[6:7], v[48:49], v[18:19] op_sel:[0,0,1] op_sel_hi:[1,1,0] neg_lo:[0,0,1] neg_hi:[0,0,1]
	v_pk_fma_f32 v[6:7], v[6:7], v[48:49], v[18:19] op_sel:[0,0,1] op_sel_hi:[1,0,0]
	s_waitcnt vmcnt(11)
	v_mov_b32_e32 v6, v47
	v_mov_b32_e32 v21, v7
	v_pk_mul_f32 v[6:7], v[8:9], v[6:7] op_sel_hi:[1,0]
	s_waitcnt vmcnt(10)
	v_pk_fma_f32 v[18:19], v[8:9], v[46:47], v[6:7] op_sel:[0,0,1] op_sel_hi:[1,1,0] neg_lo:[0,0,1] neg_hi:[0,0,1]
	v_pk_fma_f32 v[6:7], v[8:9], v[46:47], v[6:7] op_sel:[0,0,1] op_sel_hi:[1,0,0]
	s_waitcnt vmcnt(9)
	v_mov_b32_e32 v6, v45
	v_mov_b32_e32 v19, v7
	s_waitcnt lgkmcnt(2)
	v_pk_mul_f32 v[6:7], v[10:11], v[6:7] op_sel_hi:[1,0]
	s_waitcnt vmcnt(8)
	v_pk_fma_f32 v[8:9], v[10:11], v[44:45], v[6:7] op_sel:[0,0,1] op_sel_hi:[1,1,0] neg_lo:[0,0,1] neg_hi:[0,0,1]
	v_pk_fma_f32 v[6:7], v[10:11], v[44:45], v[6:7] op_sel:[0,0,1] op_sel_hi:[1,0,0]
	v_pk_add_f32 v[4:5], v[4:5], v[20:21]
	s_waitcnt vmcnt(7)
	v_mov_b32_e32 v6, v43
	v_pk_add_f32 v[4:5], v[4:5], v[18:19]
	v_mov_b32_e32 v9, v7
	v_pk_mul_f32 v[6:7], v[12:13], v[6:7] op_sel_hi:[1,0]
	v_pk_add_f32 v[4:5], v[4:5], v[8:9]
	s_waitcnt vmcnt(6)
	v_pk_fma_f32 v[8:9], v[12:13], v[42:43], v[6:7] op_sel:[0,0,1] op_sel_hi:[1,1,0] neg_lo:[0,0,1] neg_hi:[0,0,1]
	v_pk_fma_f32 v[6:7], v[12:13], v[42:43], v[6:7] op_sel:[0,0,1] op_sel_hi:[1,0,0]
	s_waitcnt vmcnt(5)
	v_mov_b32_e32 v6, v41
	v_mov_b32_e32 v9, v7
	s_waitcnt lgkmcnt(1)
	v_pk_mul_f32 v[6:7], v[14:15], v[6:7] op_sel_hi:[1,0]
	v_pk_add_f32 v[4:5], v[4:5], v[8:9]
	s_waitcnt vmcnt(4)
	v_pk_fma_f32 v[8:9], v[14:15], v[40:41], v[6:7] op_sel:[0,0,1] op_sel_hi:[1,1,0] neg_lo:[0,0,1] neg_hi:[0,0,1]
	v_pk_fma_f32 v[6:7], v[14:15], v[40:41], v[6:7] op_sel:[0,0,1] op_sel_hi:[1,0,0]
	s_waitcnt vmcnt(3)
	v_mov_b32_e32 v6, v39
	v_mov_b32_e32 v9, v7
	v_pk_mul_f32 v[6:7], v[16:17], v[6:7] op_sel_hi:[1,0]
	v_pk_add_f32 v[4:5], v[4:5], v[8:9]
	s_waitcnt vmcnt(2)
	v_pk_fma_f32 v[8:9], v[16:17], v[38:39], v[6:7] op_sel:[0,0,1] op_sel_hi:[1,1,0] neg_lo:[0,0,1] neg_hi:[0,0,1]
	v_pk_fma_f32 v[6:7], v[16:17], v[38:39], v[6:7] op_sel:[0,0,1] op_sel_hi:[1,0,0]
	s_waitcnt vmcnt(1)
	v_mov_b32_e32 v6, v37
	v_mov_b32_e32 v9, v7
	s_waitcnt lgkmcnt(0)
	v_pk_mul_f32 v[6:7], v[2:3], v[6:7] op_sel_hi:[1,0]
	v_pk_add_f32 v[4:5], v[4:5], v[8:9]
	s_waitcnt vmcnt(0)
	v_pk_fma_f32 v[8:9], v[2:3], v[36:37], v[6:7] op_sel:[0,0,1] op_sel_hi:[1,1,0] neg_lo:[0,0,1] neg_hi:[0,0,1]
	v_pk_fma_f32 v[2:3], v[2:3], v[36:37], v[6:7] op_sel:[0,0,1] op_sel_hi:[1,0,0]
	v_mov_b32_e32 v9, v3
	v_pk_add_f32 v[2:3], v[4:5], v[8:9]
	v_pk_add_f32 v[2:3], v[26:27], v[2:3] neg_lo:[0,1] neg_hi:[0,1]
	buffer_store_dword v3, off, s[0:3], 0 offset:140
	buffer_store_dword v2, off, s[0:3], 0 offset:136
	s_and_saveexec_b64 s[4:5], vcc
	s_cbranch_execz .LBB54_311
; %bb.310:
	buffer_load_dword v2, off, s[0:3], 0 offset:128
	buffer_load_dword v3, off, s[0:3], 0 offset:132
	s_waitcnt vmcnt(0)
	ds_write_b64 v153, v[2:3]
	buffer_store_dword v50, off, s[0:3], 0 offset:128
	buffer_store_dword v50, off, s[0:3], 0 offset:132
.LBB54_311:
	s_or_b64 exec, exec, s[4:5]
	s_waitcnt lgkmcnt(0)
	; wave barrier
	s_waitcnt lgkmcnt(0)
	buffer_load_dword v1, off, s[0:3], 0 offset:140
	buffer_load_dword v51, off, s[0:3], 0 offset:148
	;; [unrolled: 1-line block ×32, first 2 shown]
	ds_read2_b64 v[16:19], v50 offset0:73 offset1:74
	ds_read2_b64 v[6:9], v50 offset0:75 offset1:76
	buffer_load_dword v117, off, s[0:3], 0 offset:256
	buffer_load_dword v118, off, s[0:3], 0 offset:260
	ds_read2_b64 v[10:13], v50 offset0:77 offset1:78
	ds_read2_b64 v[2:5], v50 offset0:79 offset1:80
	buffer_load_dword v119, off, s[0:3], 0 offset:264
	buffer_load_dword v120, off, s[0:3], 0 offset:268
	;; [unrolled: 1-line block ×28, first 2 shown]
	ds_read2_b64 v[56:59], v50 offset0:97 offset1:98
	ds_read2_b64 v[60:63], v50 offset0:99 offset1:100
	v_cmp_lt_u32_e32 vcc, 15, v0
	ds_read2_b64 v[52:55], v50 offset0:95 offset1:96
	s_waitcnt vmcnt(61) lgkmcnt(6)
	v_mul_f32_e32 v20, v16, v1
	s_waitcnt vmcnt(60)
	v_mul_f32_e32 v21, v18, v51
	s_waitcnt vmcnt(59) lgkmcnt(5)
	v_mul_f32_e32 v23, v8, v72
	s_waitcnt vmcnt(58) lgkmcnt(4)
	v_mul_f32_e32 v24, v10, v74
	s_waitcnt vmcnt(57)
	v_mul_f32_e32 v25, v12, v76
	s_waitcnt vmcnt(56)
	;; [unrolled: 2-line block ×3, first 2 shown]
	v_fmac_f32_e32 v22, v7, v93
	s_waitcnt vmcnt(54)
	v_fmac_f32_e32 v21, v19, v94
	s_waitcnt vmcnt(53)
	v_fmac_f32_e32 v20, v17, v95
	v_add_f32_e32 v20, 0, v20
	v_add_f32_e32 v20, v20, v21
	;; [unrolled: 1-line block ×3, first 2 shown]
	s_waitcnt vmcnt(49)
	v_fmac_f32_e32 v24, v11, v99
	s_waitcnt vmcnt(48)
	v_fmac_f32_e32 v23, v9, v100
	v_add_f32_e32 v20, v20, v23
	s_waitcnt lgkmcnt(3)
	v_mul_f32_e32 v26, v2, v96
	v_fmac_f32_e32 v25, v13, v98
	v_add_f32_e32 v20, v20, v24
	v_fmac_f32_e32 v26, v3, v97
	v_add_f32_e32 v20, v20, v25
	v_add_f32_e32 v24, v20, v26
	ds_read2_b64 v[20:23], v50 offset0:81 offset1:82
	s_waitcnt vmcnt(44)
	v_mul_f32_e32 v25, v4, v104
	s_waitcnt vmcnt(43)
	v_fmac_f32_e32 v25, v5, v105
	v_add_f32_e32 v28, v24, v25
	ds_read2_b64 v[24:27], v50 offset0:83 offset1:84
	s_waitcnt vmcnt(42) lgkmcnt(1)
	v_mul_f32_e32 v29, v20, v106
	v_fmac_f32_e32 v29, v21, v103
	v_add_f32_e32 v28, v28, v29
	s_waitcnt vmcnt(41)
	v_mul_f32_e32 v29, v22, v107
	v_fmac_f32_e32 v29, v23, v102
	v_add_f32_e32 v28, v28, v29
	s_waitcnt vmcnt(40) lgkmcnt(0)
	v_mul_f32_e32 v29, v24, v108
	v_fmac_f32_e32 v29, v25, v101
	v_add_f32_e32 v32, v28, v29
	ds_read2_b64 v[28:31], v50 offset0:85 offset1:86
	s_waitcnt vmcnt(34)
	v_mul_f32_e32 v33, v26, v114
	s_waitcnt vmcnt(33)
	v_fmac_f32_e32 v33, v27, v115
	v_add_f32_e32 v36, v32, v33
	ds_read2_b64 v[32:35], v50 offset0:87 offset1:88
	s_waitcnt vmcnt(32) lgkmcnt(1)
	v_mul_f32_e32 v37, v28, v116
	v_fmac_f32_e32 v37, v29, v113
	v_add_f32_e32 v36, v36, v37
	v_mul_f32_e32 v37, v30, v110
	v_fmac_f32_e32 v37, v31, v109
	v_add_f32_e32 v36, v36, v37
	s_waitcnt lgkmcnt(0)
	v_mul_f32_e32 v37, v32, v112
	v_fmac_f32_e32 v37, v33, v111
	v_add_f32_e32 v40, v36, v37
	ds_read2_b64 v[36:39], v50 offset0:89 offset1:90
	s_waitcnt vmcnt(28)
	v_mul_f32_e32 v41, v34, v118
	v_fmac_f32_e32 v41, v35, v117
	v_add_f32_e32 v44, v40, v41
	ds_read2_b64 v[40:43], v50 offset0:91 offset1:92
	s_waitcnt vmcnt(26) lgkmcnt(1)
	v_mul_f32_e32 v45, v36, v120
	v_fmac_f32_e32 v45, v37, v119
	v_add_f32_e32 v44, v44, v45
	s_waitcnt vmcnt(24)
	v_mul_f32_e32 v45, v38, v122
	v_fmac_f32_e32 v45, v39, v121
	v_add_f32_e32 v44, v44, v45
	s_waitcnt vmcnt(22) lgkmcnt(0)
	v_mul_f32_e32 v45, v40, v124
	v_fmac_f32_e32 v45, v41, v123
	v_add_f32_e32 v48, v44, v45
	ds_read2_b64 v[44:47], v50 offset0:93 offset1:94
	s_waitcnt vmcnt(20)
	v_mul_f32_e32 v49, v42, v126
	v_fmac_f32_e32 v49, v43, v125
	v_add_f32_e32 v48, v48, v49
	s_waitcnt vmcnt(4)
	v_mul_f32_e32 v69, v62, v204
	s_waitcnt lgkmcnt(0)
	v_mul_f32_e32 v49, v44, v128
	v_fmac_f32_e32 v49, v45, v127
	v_add_f32_e32 v48, v48, v49
	v_mul_f32_e32 v49, v46, v130
	v_fmac_f32_e32 v49, v47, v129
	v_add_f32_e32 v48, v48, v49
	;; [unrolled: 3-line block ×7, first 2 shown]
	buffer_load_dword v49, off, s[0:3], 0 offset:380
	buffer_load_dword v48, off, s[0:3], 0 offset:376
	v_fmac_f32_e32 v69, v63, v141
	ds_read2_b64 v[64:67], v50 offset0:101 offset1:102
	v_add_f32_e32 v73, v68, v69
	ds_read2_b64 v[68:71], v50 offset0:103 offset1:104
	buffer_load_dword v79, off, s[0:3], 0 offset:412
	buffer_load_dword v78, off, s[0:3], 0 offset:408
	;; [unrolled: 1-line block ×14, first 2 shown]
	v_mul_f32_e32 v1, v17, v1
	v_fma_f32 v1, v16, v95, -v1
	v_mul_f32_e32 v16, v19, v51
	v_add_f32_e32 v1, 0, v1
	v_fma_f32 v16, v18, v94, -v16
	v_mul_f32_e32 v7, v7, v92
	v_add_f32_e32 v1, v1, v16
	v_fma_f32 v6, v6, v93, -v7
	v_add_f32_e32 v1, v1, v6
	v_mul_f32_e32 v6, v9, v72
	v_fma_f32 v6, v8, v100, -v6
	v_add_f32_e32 v1, v1, v6
	v_mul_f32_e32 v6, v11, v74
	;; [unrolled: 3-line block ×3, first 2 shown]
	v_fma_f32 v6, v12, v98, -v6
	v_mul_f32_e32 v3, v3, v96
	v_add_f32_e32 v1, v1, v6
	v_fma_f32 v2, v2, v97, -v3
	v_add_f32_e32 v1, v1, v2
	v_mul_f32_e32 v2, v5, v104
	v_fma_f32 v2, v4, v105, -v2
	v_add_f32_e32 v1, v1, v2
	v_mul_f32_e32 v2, v21, v106
	;; [unrolled: 3-line block ×21, first 2 shown]
	v_fma_f32 v2, v62, v141, -v2
	s_waitcnt vmcnt(15)
	v_mov_b32_e32 v18, v49
	s_waitcnt lgkmcnt(1)
	v_mul_f32_e32 v75, v64, v206
	v_add_f32_e32 v72, v1, v2
	v_mul_f32_e32 v1, v65, v206
	s_waitcnt lgkmcnt(0)
	v_pk_mul_f32 v[18:19], v[68:69], v[18:19] op_sel_hi:[1,0]
	v_fmac_f32_e32 v75, v65, v205
	v_mul_f32_e32 v77, v66, v208
	v_fma_f32 v74, v64, v205, -v1
	v_mul_f32_e32 v1, v67, v208
	s_waitcnt vmcnt(14)
	v_pk_fma_f32 v[20:21], v[68:69], v[48:49], v[18:19] op_sel:[0,0,1] op_sel_hi:[1,1,0] neg_lo:[0,0,1] neg_hi:[0,0,1]
	v_pk_fma_f32 v[18:19], v[68:69], v[48:49], v[18:19] op_sel:[0,0,1] op_sel_hi:[1,0,0]
	v_fmac_f32_e32 v77, v67, v207
	v_fma_f32 v76, v66, v207, -v1
	v_pk_add_f32 v[16:17], v[72:73], v[74:75]
	s_waitcnt vmcnt(7)
	v_mov_b32_e32 v18, v85
	ds_read2_b64 v[2:5], v50 offset0:105 offset1:106
	ds_read2_b64 v[6:9], v50 offset0:107 offset1:108
	;; [unrolled: 1-line block ×3, first 2 shown]
	v_pk_add_f32 v[16:17], v[16:17], v[76:77]
	v_mov_b32_e32 v21, v19
	v_pk_mul_f32 v[18:19], v[70:71], v[18:19] op_sel_hi:[1,0]
	v_pk_add_f32 v[16:17], v[16:17], v[20:21]
	s_waitcnt vmcnt(6)
	v_pk_fma_f32 v[20:21], v[70:71], v[84:85], v[18:19] op_sel:[0,0,1] op_sel_hi:[1,1,0] neg_lo:[0,0,1] neg_hi:[0,0,1]
	v_pk_fma_f32 v[18:19], v[70:71], v[84:85], v[18:19] op_sel:[0,0,1] op_sel_hi:[1,0,0]
	v_mov_b32_e32 v18, v83
	v_mov_b32_e32 v21, v19
	s_waitcnt lgkmcnt(2)
	v_pk_mul_f32 v[18:19], v[2:3], v[18:19] op_sel_hi:[1,0]
	v_pk_add_f32 v[16:17], v[16:17], v[20:21]
	v_pk_fma_f32 v[20:21], v[2:3], v[82:83], v[18:19] op_sel:[0,0,1] op_sel_hi:[1,1,0] neg_lo:[0,0,1] neg_hi:[0,0,1]
	v_pk_fma_f32 v[2:3], v[2:3], v[82:83], v[18:19] op_sel:[0,0,1] op_sel_hi:[1,0,0]
	v_mov_b32_e32 v21, v3
	v_pk_add_f32 v[2:3], v[16:17], v[20:21]
	v_mov_b32_e32 v16, v81
	v_pk_mul_f32 v[16:17], v[4:5], v[16:17] op_sel_hi:[1,0]
	v_pk_fma_f32 v[18:19], v[4:5], v[80:81], v[16:17] op_sel:[0,0,1] op_sel_hi:[1,1,0] neg_lo:[0,0,1] neg_hi:[0,0,1]
	v_pk_fma_f32 v[4:5], v[4:5], v[80:81], v[16:17] op_sel:[0,0,1] op_sel_hi:[1,0,0]
	v_mov_b32_e32 v4, v79
	v_mov_b32_e32 v19, v5
	s_waitcnt lgkmcnt(1)
	v_pk_mul_f32 v[4:5], v[6:7], v[4:5] op_sel_hi:[1,0]
	v_pk_fma_f32 v[16:17], v[6:7], v[78:79], v[4:5] op_sel:[0,0,1] op_sel_hi:[1,1,0] neg_lo:[0,0,1] neg_hi:[0,0,1]
	v_pk_fma_f32 v[4:5], v[6:7], v[78:79], v[4:5] op_sel:[0,0,1] op_sel_hi:[1,0,0]
	s_waitcnt vmcnt(1)
	v_mov_b32_e32 v4, v91
	v_mov_b32_e32 v17, v5
	v_pk_mul_f32 v[4:5], v[8:9], v[4:5] op_sel_hi:[1,0]
	s_waitcnt vmcnt(0)
	v_pk_fma_f32 v[6:7], v[8:9], v[90:91], v[4:5] op_sel:[0,0,1] op_sel_hi:[1,1,0] neg_lo:[0,0,1] neg_hi:[0,0,1]
	v_pk_fma_f32 v[4:5], v[8:9], v[90:91], v[4:5] op_sel:[0,0,1] op_sel_hi:[1,0,0]
	v_pk_add_f32 v[2:3], v[2:3], v[18:19]
	v_mov_b32_e32 v4, v89
	v_pk_add_f32 v[2:3], v[2:3], v[16:17]
	v_mov_b32_e32 v7, v5
	s_waitcnt lgkmcnt(0)
	v_pk_mul_f32 v[4:5], v[10:11], v[4:5] op_sel_hi:[1,0]
	v_pk_add_f32 v[2:3], v[2:3], v[6:7]
	v_pk_fma_f32 v[6:7], v[10:11], v[88:89], v[4:5] op_sel:[0,0,1] op_sel_hi:[1,1,0] neg_lo:[0,0,1] neg_hi:[0,0,1]
	v_pk_fma_f32 v[4:5], v[10:11], v[88:89], v[4:5] op_sel:[0,0,1] op_sel_hi:[1,0,0]
	v_mov_b32_e32 v4, v87
	v_mov_b32_e32 v7, v5
	v_pk_mul_f32 v[4:5], v[12:13], v[4:5] op_sel_hi:[1,0]
	v_pk_add_f32 v[2:3], v[2:3], v[6:7]
	v_pk_fma_f32 v[6:7], v[12:13], v[86:87], v[4:5] op_sel:[0,0,1] op_sel_hi:[1,1,0] neg_lo:[0,0,1] neg_hi:[0,0,1]
	v_pk_fma_f32 v[4:5], v[12:13], v[86:87], v[4:5] op_sel:[0,0,1] op_sel_hi:[1,0,0]
	v_mov_b32_e32 v7, v5
	v_pk_add_f32 v[2:3], v[2:3], v[6:7]
	v_pk_add_f32 v[2:3], v[14:15], v[2:3] neg_lo:[0,1] neg_hi:[0,1]
	buffer_store_dword v3, off, s[0:3], 0 offset:132
	buffer_store_dword v2, off, s[0:3], 0 offset:128
	s_and_saveexec_b64 s[4:5], vcc
	s_cbranch_execz .LBB54_313
; %bb.312:
	buffer_load_dword v2, off, s[0:3], 0 offset:120
	buffer_load_dword v3, off, s[0:3], 0 offset:124
	v_mov_b32_e32 v1, 0
	buffer_store_dword v1, off, s[0:3], 0 offset:120
	buffer_store_dword v1, off, s[0:3], 0 offset:124
	s_waitcnt vmcnt(2)
	ds_write_b64 v153, v[2:3]
.LBB54_313:
	s_or_b64 exec, exec, s[4:5]
	s_waitcnt lgkmcnt(0)
	; wave barrier
	s_waitcnt lgkmcnt(0)
	buffer_load_dword v1, off, s[0:3], 0 offset:132
	buffer_load_dword v21, off, s[0:3], 0 offset:140
	;; [unrolled: 1-line block ×48, first 2 shown]
	v_mov_b32_e32 v20, 0
	ds_read_b128 v[2:5], v20 offset:576
	buffer_load_dword v133, off, s[0:3], 0 offset:312
	buffer_load_dword v134, off, s[0:3], 0 offset:316
	;; [unrolled: 1-line block ×8, first 2 shown]
	ds_read_b128 v[8:11], v20 offset:592
	ds_read_b128 v[12:15], v20 offset:608
	;; [unrolled: 1-line block ×3, first 2 shown]
	buffer_load_dword v141, off, s[0:3], 0 offset:344
	buffer_load_dword v204, off, s[0:3], 0 offset:348
	;; [unrolled: 1-line block ×8, first 2 shown]
	v_cmp_lt_u32_e32 vcc, 14, v0
	s_waitcnt vmcnt(62) lgkmcnt(3)
	v_mul_f32_e32 v22, v2, v1
	v_mul_f32_e32 v23, v4, v21
	s_waitcnt vmcnt(61) lgkmcnt(2)
	v_mul_f32_e32 v25, v10, v70
	s_waitcnt vmcnt(60) lgkmcnt(1)
	v_mul_f32_e32 v26, v12, v72
	s_waitcnt vmcnt(59)
	v_mul_f32_e32 v27, v14, v74
	s_waitcnt vmcnt(58)
	;; [unrolled: 2-line block ×3, first 2 shown]
	v_fmac_f32_e32 v24, v9, v93
	s_waitcnt vmcnt(56)
	v_fmac_f32_e32 v23, v5, v94
	s_waitcnt vmcnt(55)
	v_fmac_f32_e32 v22, v3, v95
	v_add_f32_e32 v22, 0, v22
	v_add_f32_e32 v22, v22, v23
	;; [unrolled: 1-line block ×3, first 2 shown]
	s_waitcnt vmcnt(51)
	v_fmac_f32_e32 v26, v13, v99
	s_waitcnt vmcnt(50)
	v_fmac_f32_e32 v25, v11, v100
	v_add_f32_e32 v22, v22, v25
	s_waitcnt lgkmcnt(0)
	v_mul_f32_e32 v28, v16, v96
	v_fmac_f32_e32 v27, v15, v98
	v_add_f32_e32 v22, v22, v26
	v_fmac_f32_e32 v28, v17, v97
	v_add_f32_e32 v22, v22, v27
	v_add_f32_e32 v26, v22, v28
	ds_read_b128 v[22:25], v20 offset:640
	s_waitcnt vmcnt(45)
	v_mul_f32_e32 v27, v18, v105
	s_waitcnt vmcnt(44)
	v_fmac_f32_e32 v27, v19, v106
	v_add_f32_e32 v30, v26, v27
	ds_read_b128 v[26:29], v20 offset:656
	s_waitcnt vmcnt(43) lgkmcnt(1)
	v_mul_f32_e32 v31, v22, v107
	v_fmac_f32_e32 v31, v23, v104
	v_add_f32_e32 v30, v30, v31
	s_waitcnt vmcnt(42)
	v_mul_f32_e32 v31, v24, v108
	v_fmac_f32_e32 v31, v25, v103
	v_add_f32_e32 v30, v30, v31
	s_waitcnt lgkmcnt(0)
	v_mul_f32_e32 v31, v26, v102
	v_fmac_f32_e32 v31, v27, v101
	v_add_f32_e32 v34, v30, v31
	ds_read_b128 v[30:33], v20 offset:672
	s_waitcnt vmcnt(38)
	v_mul_f32_e32 v35, v28, v110
	v_fmac_f32_e32 v35, v29, v109
	v_add_f32_e32 v38, v34, v35
	ds_read_b128 v[34:37], v20 offset:688
	s_waitcnt vmcnt(36) lgkmcnt(1)
	v_mul_f32_e32 v39, v30, v112
	v_fmac_f32_e32 v39, v31, v111
	v_add_f32_e32 v38, v38, v39
	s_waitcnt vmcnt(34)
	v_mul_f32_e32 v39, v32, v114
	v_fmac_f32_e32 v39, v33, v113
	v_add_f32_e32 v38, v38, v39
	s_waitcnt vmcnt(32) lgkmcnt(0)
	v_mul_f32_e32 v39, v34, v116
	v_fmac_f32_e32 v39, v35, v115
	v_add_f32_e32 v42, v38, v39
	ds_read_b128 v[38:41], v20 offset:704
	s_waitcnt vmcnt(30)
	v_mul_f32_e32 v43, v36, v118
	v_fmac_f32_e32 v43, v37, v117
	v_add_f32_e32 v46, v42, v43
	ds_read_b128 v[42:45], v20 offset:720
	s_waitcnt vmcnt(28) lgkmcnt(1)
	v_mul_f32_e32 v47, v38, v120
	v_fmac_f32_e32 v47, v39, v119
	v_add_f32_e32 v46, v46, v47
	s_waitcnt vmcnt(26)
	v_mul_f32_e32 v47, v40, v122
	v_fmac_f32_e32 v47, v41, v121
	v_add_f32_e32 v46, v46, v47
	s_waitcnt vmcnt(24) lgkmcnt(0)
	;; [unrolled: 18-line block ×4, first 2 shown]
	v_mul_f32_e32 v63, v58, v140
	v_fmac_f32_e32 v63, v59, v139
	s_waitcnt vmcnt(6)
	v_mul_f32_e32 v67, v60, v204
	v_add_f32_e32 v66, v62, v63
	v_fmac_f32_e32 v67, v61, v141
	ds_read_b128 v[62:65], v20 offset:800
	v_add_f32_e32 v71, v66, v67
	ds_read_b128 v[66:69], v20 offset:816
	buffer_load_dword v77, off, s[0:3], 0 offset:404
	buffer_load_dword v76, off, s[0:3], 0 offset:400
	;; [unrolled: 1-line block ×16, first 2 shown]
	v_mul_f32_e32 v1, v3, v1
	v_fma_f32 v1, v2, v95, -v1
	v_mul_f32_e32 v2, v5, v21
	v_add_f32_e32 v1, 0, v1
	v_fma_f32 v2, v4, v94, -v2
	v_add_f32_e32 v1, v1, v2
	v_mul_f32_e32 v2, v9, v92
	v_fma_f32 v2, v8, v93, -v2
	v_add_f32_e32 v1, v1, v2
	v_mul_f32_e32 v2, v11, v70
	;; [unrolled: 3-line block ×26, first 2 shown]
	v_fma_f32 v2, v60, v141, -v2
	s_waitcnt vmcnt(20) lgkmcnt(1)
	v_mul_f32_e32 v73, v62, v206
	v_add_f32_e32 v1, v1, v2
	v_mul_f32_e32 v2, v63, v206
	v_fmac_f32_e32 v73, v63, v205
	v_fma_f32 v2, v62, v205, -v2
	s_waitcnt vmcnt(9)
	v_mov_b32_e32 v22, v83
	v_add_f32_e32 v71, v71, v73
	v_mul_f32_e32 v73, v64, v208
	v_add_f32_e32 v70, v1, v2
	v_mul_f32_e32 v1, v65, v208
	s_waitcnt lgkmcnt(0)
	v_pk_mul_f32 v[22:23], v[68:69], v[22:23] op_sel_hi:[1,0]
	v_fmac_f32_e32 v73, v65, v207
	v_mul_f32_e32 v75, v66, v210
	v_fma_f32 v72, v64, v207, -v1
	v_mul_f32_e32 v1, v67, v210
	ds_read_b128 v[2:5], v20 offset:832
	ds_read_b128 v[8:11], v20 offset:848
	;; [unrolled: 1-line block ×3, first 2 shown]
	ds_read_b64 v[16:17], v20 offset:880
	s_waitcnt vmcnt(8)
	v_pk_fma_f32 v[24:25], v[68:69], v[82:83], v[22:23] op_sel:[0,0,1] op_sel_hi:[1,1,0] neg_lo:[0,0,1] neg_hi:[0,0,1]
	v_pk_fma_f32 v[22:23], v[68:69], v[82:83], v[22:23] op_sel:[0,0,1] op_sel_hi:[1,0,0]
	v_fmac_f32_e32 v75, v67, v209
	v_fma_f32 v74, v66, v209, -v1
	v_pk_add_f32 v[18:19], v[70:71], v[72:73]
	v_mov_b32_e32 v22, v81
	v_pk_add_f32 v[18:19], v[18:19], v[74:75]
	v_mov_b32_e32 v25, v23
	s_waitcnt lgkmcnt(3)
	v_pk_mul_f32 v[22:23], v[2:3], v[22:23] op_sel_hi:[1,0]
	v_pk_add_f32 v[18:19], v[18:19], v[24:25]
	v_pk_fma_f32 v[24:25], v[2:3], v[80:81], v[22:23] op_sel:[0,0,1] op_sel_hi:[1,1,0] neg_lo:[0,0,1] neg_hi:[0,0,1]
	v_pk_fma_f32 v[2:3], v[2:3], v[80:81], v[22:23] op_sel:[0,0,1] op_sel_hi:[1,0,0]
	v_mov_b32_e32 v25, v3
	v_pk_add_f32 v[2:3], v[18:19], v[24:25]
	v_mov_b32_e32 v18, v79
	v_pk_mul_f32 v[18:19], v[4:5], v[18:19] op_sel_hi:[1,0]
	v_pk_fma_f32 v[22:23], v[4:5], v[78:79], v[18:19] op_sel:[0,0,1] op_sel_hi:[1,1,0] neg_lo:[0,0,1] neg_hi:[0,0,1]
	v_pk_fma_f32 v[4:5], v[4:5], v[78:79], v[18:19] op_sel:[0,0,1] op_sel_hi:[1,0,0]
	v_mov_b32_e32 v4, v77
	v_mov_b32_e32 v23, v5
	s_waitcnt lgkmcnt(2)
	v_pk_mul_f32 v[4:5], v[8:9], v[4:5] op_sel_hi:[1,0]
	v_pk_fma_f32 v[18:19], v[8:9], v[76:77], v[4:5] op_sel:[0,0,1] op_sel_hi:[1,1,0] neg_lo:[0,0,1] neg_hi:[0,0,1]
	v_pk_fma_f32 v[4:5], v[8:9], v[76:77], v[4:5] op_sel:[0,0,1] op_sel_hi:[1,0,0]
	s_waitcnt vmcnt(1)
	v_mov_b32_e32 v4, v91
	v_mov_b32_e32 v19, v5
	v_pk_mul_f32 v[4:5], v[10:11], v[4:5] op_sel_hi:[1,0]
	s_waitcnt vmcnt(0)
	v_pk_fma_f32 v[8:9], v[10:11], v[90:91], v[4:5] op_sel:[0,0,1] op_sel_hi:[1,1,0] neg_lo:[0,0,1] neg_hi:[0,0,1]
	v_pk_fma_f32 v[4:5], v[10:11], v[90:91], v[4:5] op_sel:[0,0,1] op_sel_hi:[1,0,0]
	v_pk_add_f32 v[2:3], v[2:3], v[22:23]
	v_mov_b32_e32 v4, v89
	v_pk_add_f32 v[2:3], v[2:3], v[18:19]
	v_mov_b32_e32 v9, v5
	s_waitcnt lgkmcnt(1)
	v_pk_mul_f32 v[4:5], v[12:13], v[4:5] op_sel_hi:[1,0]
	v_pk_add_f32 v[2:3], v[2:3], v[8:9]
	v_pk_fma_f32 v[8:9], v[12:13], v[88:89], v[4:5] op_sel:[0,0,1] op_sel_hi:[1,1,0] neg_lo:[0,0,1] neg_hi:[0,0,1]
	v_pk_fma_f32 v[4:5], v[12:13], v[88:89], v[4:5] op_sel:[0,0,1] op_sel_hi:[1,0,0]
	v_mov_b32_e32 v4, v87
	v_mov_b32_e32 v9, v5
	v_pk_mul_f32 v[4:5], v[14:15], v[4:5] op_sel_hi:[1,0]
	v_pk_add_f32 v[2:3], v[2:3], v[8:9]
	v_pk_fma_f32 v[8:9], v[14:15], v[86:87], v[4:5] op_sel:[0,0,1] op_sel_hi:[1,1,0] neg_lo:[0,0,1] neg_hi:[0,0,1]
	v_pk_fma_f32 v[4:5], v[14:15], v[86:87], v[4:5] op_sel:[0,0,1] op_sel_hi:[1,0,0]
	v_mov_b32_e32 v4, v85
	v_mov_b32_e32 v9, v5
	s_waitcnt lgkmcnt(0)
	v_pk_mul_f32 v[4:5], v[16:17], v[4:5] op_sel_hi:[1,0]
	v_pk_add_f32 v[2:3], v[2:3], v[8:9]
	v_pk_fma_f32 v[8:9], v[16:17], v[84:85], v[4:5] op_sel:[0,0,1] op_sel_hi:[1,1,0] neg_lo:[0,0,1] neg_hi:[0,0,1]
	v_pk_fma_f32 v[4:5], v[16:17], v[84:85], v[4:5] op_sel:[0,0,1] op_sel_hi:[1,0,0]
	v_mov_b32_e32 v9, v5
	v_pk_add_f32 v[2:3], v[2:3], v[8:9]
	v_pk_add_f32 v[2:3], v[6:7], v[2:3] neg_lo:[0,1] neg_hi:[0,1]
	buffer_store_dword v3, off, s[0:3], 0 offset:124
	buffer_store_dword v2, off, s[0:3], 0 offset:120
	s_and_saveexec_b64 s[4:5], vcc
	s_cbranch_execz .LBB54_315
; %bb.314:
	buffer_load_dword v2, off, s[0:3], 0 offset:112
	buffer_load_dword v3, off, s[0:3], 0 offset:116
	s_waitcnt vmcnt(0)
	ds_write_b64 v153, v[2:3]
	buffer_store_dword v20, off, s[0:3], 0 offset:112
	buffer_store_dword v20, off, s[0:3], 0 offset:116
.LBB54_315:
	s_or_b64 exec, exec, s[4:5]
	s_waitcnt lgkmcnt(0)
	; wave barrier
	s_waitcnt lgkmcnt(0)
	buffer_load_dword v1, off, s[0:3], 0 offset:124
	buffer_load_dword v21, off, s[0:3], 0 offset:132
	;; [unrolled: 1-line block ×26, first 2 shown]
	ds_read2_b64 v[14:17], v20 offset0:71 offset1:72
	ds_read2_b64 v[6:9], v20 offset0:73 offset1:74
	buffer_load_dword v111, off, s[0:3], 0 offset:216
	buffer_load_dword v112, off, s[0:3], 0 offset:220
	ds_read2_b64 v[10:13], v20 offset0:75 offset1:76
	ds_read2_b64 v[2:5], v20 offset0:77 offset1:78
	buffer_load_dword v113, off, s[0:3], 0 offset:224
	buffer_load_dword v114, off, s[0:3], 0 offset:228
	buffer_load_dword v115, off, s[0:3], 0 offset:232
	buffer_load_dword v116, off, s[0:3], 0 offset:236
	buffer_load_dword v117, off, s[0:3], 0 offset:240
	buffer_load_dword v118, off, s[0:3], 0 offset:244
	buffer_load_dword v119, off, s[0:3], 0 offset:248
	buffer_load_dword v120, off, s[0:3], 0 offset:252
	buffer_load_dword v121, off, s[0:3], 0 offset:256
	buffer_load_dword v122, off, s[0:3], 0 offset:260
	buffer_load_dword v123, off, s[0:3], 0 offset:264
	buffer_load_dword v124, off, s[0:3], 0 offset:268
	buffer_load_dword v125, off, s[0:3], 0 offset:272
	buffer_load_dword v126, off, s[0:3], 0 offset:276
	buffer_load_dword v127, off, s[0:3], 0 offset:280
	buffer_load_dword v128, off, s[0:3], 0 offset:284
	buffer_load_dword v129, off, s[0:3], 0 offset:288
	buffer_load_dword v130, off, s[0:3], 0 offset:292
	buffer_load_dword v131, off, s[0:3], 0 offset:296
	buffer_load_dword v132, off, s[0:3], 0 offset:300
	buffer_load_dword v133, off, s[0:3], 0 offset:304
	buffer_load_dword v134, off, s[0:3], 0 offset:308
	buffer_load_dword v135, off, s[0:3], 0 offset:312
	buffer_load_dword v136, off, s[0:3], 0 offset:316
	buffer_load_dword v137, off, s[0:3], 0 offset:320
	buffer_load_dword v138, off, s[0:3], 0 offset:324
	buffer_load_dword v139, off, s[0:3], 0 offset:328
	buffer_load_dword v140, off, s[0:3], 0 offset:332
	buffer_load_dword v141, off, s[0:3], 0 offset:336
	buffer_load_dword v204, off, s[0:3], 0 offset:340
	buffer_load_dword v205, off, s[0:3], 0 offset:344
	buffer_load_dword v206, off, s[0:3], 0 offset:348
	v_cmp_lt_u32_e32 vcc, 13, v0
	s_waitcnt vmcnt(59) lgkmcnt(3)
	v_mul_f32_e32 v22, v14, v1
	s_waitcnt vmcnt(58)
	v_mul_f32_e32 v23, v16, v21
	s_waitcnt vmcnt(57) lgkmcnt(2)
	v_mul_f32_e32 v25, v8, v70
	s_waitcnt vmcnt(56) lgkmcnt(1)
	v_mul_f32_e32 v26, v10, v72
	s_waitcnt vmcnt(55)
	v_mul_f32_e32 v27, v12, v80
	s_waitcnt vmcnt(54)
	v_mul_f32_e32 v24, v6, v92
	s_waitcnt vmcnt(53) lgkmcnt(0)
	v_mul_f32_e32 v28, v2, v93
	s_waitcnt vmcnt(52)
	v_mul_f32_e32 v29, v4, v94
	s_waitcnt vmcnt(51)
	v_fmac_f32_e32 v24, v7, v95
	s_waitcnt vmcnt(50)
	v_fmac_f32_e32 v23, v17, v96
	;; [unrolled: 2-line block ×3, first 2 shown]
	v_add_f32_e32 v22, 0, v22
	v_add_f32_e32 v22, v22, v23
	;; [unrolled: 1-line block ×3, first 2 shown]
	s_waitcnt vmcnt(45)
	v_fmac_f32_e32 v25, v9, v101
	v_fmac_f32_e32 v26, v11, v100
	v_add_f32_e32 v22, v22, v25
	v_fmac_f32_e32 v27, v13, v99
	v_add_f32_e32 v22, v22, v26
	;; [unrolled: 2-line block ×3, first 2 shown]
	v_add_f32_e32 v26, v22, v28
	ds_read2_b64 v[22:25], v20 offset0:79 offset1:80
	s_waitcnt vmcnt(41)
	v_fmac_f32_e32 v29, v5, v105
	buffer_load_dword v207, off, s[0:3], 0 offset:352
	buffer_load_dword v208, off, s[0:3], 0 offset:356
	v_add_f32_e32 v30, v26, v29
	buffer_load_dword v209, off, s[0:3], 0 offset:360
	buffer_load_dword v210, off, s[0:3], 0 offset:364
	ds_read2_b64 v[26:29], v20 offset0:81 offset1:82
	s_waitcnt vmcnt(44) lgkmcnt(1)
	v_mul_f32_e32 v31, v22, v106
	v_fmac_f32_e32 v31, v23, v104
	v_add_f32_e32 v30, v30, v31
	s_waitcnt vmcnt(43)
	v_mul_f32_e32 v31, v24, v107
	v_fmac_f32_e32 v31, v25, v103
	v_add_f32_e32 v30, v30, v31
	s_waitcnt vmcnt(42) lgkmcnt(0)
	v_mul_f32_e32 v31, v26, v108
	v_fmac_f32_e32 v31, v27, v102
	buffer_load_dword v211, off, s[0:3], 0 offset:368
	buffer_load_dword v212, off, s[0:3], 0 offset:372
	v_add_f32_e32 v34, v30, v31
	ds_read2_b64 v[30:33], v20 offset0:83 offset1:84
	s_waitcnt vmcnt(40)
	v_mul_f32_e32 v35, v28, v110
	v_fmac_f32_e32 v35, v29, v109
	v_add_f32_e32 v38, v34, v35
	ds_read2_b64 v[34:37], v20 offset0:85 offset1:86
	s_waitcnt vmcnt(38) lgkmcnt(1)
	v_mul_f32_e32 v39, v30, v112
	v_fmac_f32_e32 v39, v31, v111
	v_add_f32_e32 v38, v38, v39
	s_waitcnt vmcnt(36)
	v_mul_f32_e32 v39, v32, v114
	v_fmac_f32_e32 v39, v33, v113
	v_add_f32_e32 v38, v38, v39
	s_waitcnt vmcnt(34) lgkmcnt(0)
	v_mul_f32_e32 v39, v34, v116
	v_fmac_f32_e32 v39, v35, v115
	v_add_f32_e32 v42, v38, v39
	ds_read2_b64 v[38:41], v20 offset0:87 offset1:88
	s_waitcnt vmcnt(32)
	v_mul_f32_e32 v43, v36, v118
	v_fmac_f32_e32 v43, v37, v117
	v_add_f32_e32 v46, v42, v43
	ds_read2_b64 v[42:45], v20 offset0:89 offset1:90
	s_waitcnt vmcnt(30) lgkmcnt(1)
	v_mul_f32_e32 v47, v38, v120
	v_fmac_f32_e32 v47, v39, v119
	v_add_f32_e32 v46, v46, v47
	s_waitcnt vmcnt(28)
	v_mul_f32_e32 v47, v40, v122
	v_fmac_f32_e32 v47, v41, v121
	v_add_f32_e32 v46, v46, v47
	s_waitcnt vmcnt(26) lgkmcnt(0)
	v_mul_f32_e32 v47, v42, v124
	v_fmac_f32_e32 v47, v43, v123
	;; [unrolled: 18-line block ×4, first 2 shown]
	s_waitcnt vmcnt(8)
	v_mul_f32_e32 v67, v60, v204
	v_add_f32_e32 v66, v62, v63
	v_fmac_f32_e32 v67, v61, v141
	ds_read2_b64 v[62:65], v20 offset0:99 offset1:100
	v_add_f32_e32 v71, v66, v67
	ds_read2_b64 v[66:69], v20 offset0:101 offset1:102
	buffer_load_dword v75, off, s[0:3], 0 offset:396
	buffer_load_dword v74, off, s[0:3], 0 offset:392
	;; [unrolled: 1-line block ×16, first 2 shown]
	v_mul_f32_e32 v1, v15, v1
	v_fma_f32 v1, v14, v97, -v1
	v_mul_f32_e32 v14, v17, v21
	v_add_f32_e32 v1, 0, v1
	v_fma_f32 v14, v16, v96, -v14
	v_mul_f32_e32 v7, v7, v92
	v_add_f32_e32 v1, v1, v14
	v_fma_f32 v6, v6, v95, -v7
	v_add_f32_e32 v1, v1, v6
	v_mul_f32_e32 v6, v9, v70
	v_fma_f32 v6, v8, v101, -v6
	v_add_f32_e32 v1, v1, v6
	v_mul_f32_e32 v6, v11, v72
	;; [unrolled: 3-line block ×3, first 2 shown]
	v_fma_f32 v6, v12, v99, -v6
	v_mul_f32_e32 v3, v3, v93
	v_add_f32_e32 v1, v1, v6
	v_fma_f32 v2, v2, v98, -v3
	v_add_f32_e32 v1, v1, v2
	v_mul_f32_e32 v2, v5, v94
	v_fma_f32 v2, v4, v105, -v2
	v_add_f32_e32 v1, v1, v2
	v_mul_f32_e32 v2, v23, v106
	;; [unrolled: 3-line block ×21, first 2 shown]
	v_fma_f32 v2, v60, v141, -v2
	v_add_f32_e32 v1, v1, v2
	s_waitcnt vmcnt(22) lgkmcnt(1)
	v_mul_f32_e32 v2, v63, v206
	v_mul_f32_e32 v73, v62, v206
	v_fma_f32 v2, v62, v205, -v2
	v_fmac_f32_e32 v73, v63, v205
	v_add_f32_e32 v1, v1, v2
	s_waitcnt vmcnt(20)
	v_mul_f32_e32 v2, v65, v208
	v_add_f32_e32 v71, v71, v73
	v_mul_f32_e32 v73, v64, v208
	v_fma_f32 v2, v64, v207, -v2
	v_fmac_f32_e32 v73, v65, v207
	v_add_f32_e32 v70, v1, v2
	ds_read2_b64 v[2:5], v20 offset0:103 offset1:104
	ds_read2_b64 v[6:9], v20 offset0:105 offset1:106
	ds_read2_b64 v[10:13], v20 offset0:107 offset1:108
	ds_read2_b64 v[14:17], v20 offset0:109 offset1:110
	v_add_f32_e32 v71, v71, v73
	s_waitcnt vmcnt(18) lgkmcnt(4)
	v_mul_f32_e32 v73, v66, v210
	v_mul_f32_e32 v1, v67, v210
	s_waitcnt vmcnt(11)
	v_mov_b32_e32 v22, v79
	v_fmac_f32_e32 v73, v67, v209
	v_mul_f32_e32 v81, v68, v212
	v_fma_f32 v72, v66, v209, -v1
	v_mul_f32_e32 v1, v69, v212
	s_waitcnt lgkmcnt(3)
	v_pk_mul_f32 v[22:23], v[2:3], v[22:23] op_sel_hi:[1,0]
	v_fmac_f32_e32 v81, v69, v211
	v_fma_f32 v80, v68, v211, -v1
	v_pk_add_f32 v[20:21], v[70:71], v[72:73]
	s_waitcnt vmcnt(10)
	v_pk_fma_f32 v[24:25], v[2:3], v[78:79], v[22:23] op_sel:[0,0,1] op_sel_hi:[1,1,0] neg_lo:[0,0,1] neg_hi:[0,0,1]
	v_pk_fma_f32 v[2:3], v[2:3], v[78:79], v[22:23] op_sel:[0,0,1] op_sel_hi:[1,0,0]
	v_pk_add_f32 v[20:21], v[20:21], v[80:81]
	v_mov_b32_e32 v25, v3
	v_pk_add_f32 v[2:3], v[20:21], v[24:25]
	v_mov_b32_e32 v20, v77
	v_pk_mul_f32 v[20:21], v[4:5], v[20:21] op_sel_hi:[1,0]
	v_pk_fma_f32 v[22:23], v[4:5], v[76:77], v[20:21] op_sel:[0,0,1] op_sel_hi:[1,1,0] neg_lo:[0,0,1] neg_hi:[0,0,1]
	v_pk_fma_f32 v[4:5], v[4:5], v[76:77], v[20:21] op_sel:[0,0,1] op_sel_hi:[1,0,0]
	v_mov_b32_e32 v4, v75
	v_mov_b32_e32 v23, v5
	s_waitcnt lgkmcnt(2)
	v_pk_mul_f32 v[4:5], v[6:7], v[4:5] op_sel_hi:[1,0]
	v_pk_fma_f32 v[20:21], v[6:7], v[74:75], v[4:5] op_sel:[0,0,1] op_sel_hi:[1,1,0] neg_lo:[0,0,1] neg_hi:[0,0,1]
	v_pk_fma_f32 v[4:5], v[6:7], v[74:75], v[4:5] op_sel:[0,0,1] op_sel_hi:[1,0,0]
	s_waitcnt vmcnt(3)
	v_mov_b32_e32 v4, v89
	v_mov_b32_e32 v21, v5
	v_pk_mul_f32 v[4:5], v[8:9], v[4:5] op_sel_hi:[1,0]
	s_waitcnt vmcnt(2)
	v_pk_fma_f32 v[6:7], v[8:9], v[88:89], v[4:5] op_sel:[0,0,1] op_sel_hi:[1,1,0] neg_lo:[0,0,1] neg_hi:[0,0,1]
	v_pk_fma_f32 v[4:5], v[8:9], v[88:89], v[4:5] op_sel:[0,0,1] op_sel_hi:[1,0,0]
	v_pk_add_f32 v[2:3], v[2:3], v[22:23]
	v_mov_b32_e32 v4, v87
	v_pk_add_f32 v[2:3], v[2:3], v[20:21]
	v_mov_b32_e32 v7, v5
	s_waitcnt lgkmcnt(1)
	v_pk_mul_f32 v[4:5], v[10:11], v[4:5] op_sel_hi:[1,0]
	v_pk_add_f32 v[2:3], v[2:3], v[6:7]
	v_pk_fma_f32 v[6:7], v[10:11], v[86:87], v[4:5] op_sel:[0,0,1] op_sel_hi:[1,1,0] neg_lo:[0,0,1] neg_hi:[0,0,1]
	v_pk_fma_f32 v[4:5], v[10:11], v[86:87], v[4:5] op_sel:[0,0,1] op_sel_hi:[1,0,0]
	v_mov_b32_e32 v4, v85
	v_mov_b32_e32 v7, v5
	v_pk_mul_f32 v[4:5], v[12:13], v[4:5] op_sel_hi:[1,0]
	v_pk_add_f32 v[2:3], v[2:3], v[6:7]
	v_pk_fma_f32 v[6:7], v[12:13], v[84:85], v[4:5] op_sel:[0,0,1] op_sel_hi:[1,1,0] neg_lo:[0,0,1] neg_hi:[0,0,1]
	v_pk_fma_f32 v[4:5], v[12:13], v[84:85], v[4:5] op_sel:[0,0,1] op_sel_hi:[1,0,0]
	v_mov_b32_e32 v4, v83
	v_mov_b32_e32 v7, v5
	s_waitcnt lgkmcnt(0)
	v_pk_mul_f32 v[4:5], v[14:15], v[4:5] op_sel_hi:[1,0]
	v_pk_add_f32 v[2:3], v[2:3], v[6:7]
	v_pk_fma_f32 v[6:7], v[14:15], v[82:83], v[4:5] op_sel:[0,0,1] op_sel_hi:[1,1,0] neg_lo:[0,0,1] neg_hi:[0,0,1]
	v_pk_fma_f32 v[4:5], v[14:15], v[82:83], v[4:5] op_sel:[0,0,1] op_sel_hi:[1,0,0]
	s_waitcnt vmcnt(1)
	v_mov_b32_e32 v4, v91
	v_mov_b32_e32 v7, v5
	v_pk_mul_f32 v[4:5], v[16:17], v[4:5] op_sel_hi:[1,0]
	v_pk_add_f32 v[2:3], v[2:3], v[6:7]
	s_waitcnt vmcnt(0)
	v_pk_fma_f32 v[6:7], v[16:17], v[90:91], v[4:5] op_sel:[0,0,1] op_sel_hi:[1,1,0] neg_lo:[0,0,1] neg_hi:[0,0,1]
	v_pk_fma_f32 v[4:5], v[16:17], v[90:91], v[4:5] op_sel:[0,0,1] op_sel_hi:[1,0,0]
	v_mov_b32_e32 v7, v5
	v_pk_add_f32 v[2:3], v[2:3], v[6:7]
	v_pk_add_f32 v[2:3], v[18:19], v[2:3] neg_lo:[0,1] neg_hi:[0,1]
	buffer_store_dword v3, off, s[0:3], 0 offset:116
	buffer_store_dword v2, off, s[0:3], 0 offset:112
	s_and_saveexec_b64 s[4:5], vcc
	s_cbranch_execz .LBB54_317
; %bb.316:
	buffer_load_dword v2, off, s[0:3], 0 offset:104
	buffer_load_dword v3, off, s[0:3], 0 offset:108
	v_mov_b32_e32 v1, 0
	buffer_store_dword v1, off, s[0:3], 0 offset:104
	buffer_store_dword v1, off, s[0:3], 0 offset:108
	s_waitcnt vmcnt(2)
	ds_write_b64 v153, v[2:3]
.LBB54_317:
	s_or_b64 exec, exec, s[4:5]
	v_mov_b32_e32 v204, 0
	s_waitcnt lgkmcnt(0)
	; wave barrier
	s_waitcnt lgkmcnt(0)
	ds_read_b128 v[14:17], v204 offset:560
	ds_read_b128 v[10:13], v204 offset:576
	;; [unrolled: 1-line block ×4, first 2 shown]
	buffer_load_dword v70, off, s[0:3], 0 offset:104
	buffer_load_dword v71, off, s[0:3], 0 offset:108
	;; [unrolled: 1-line block ×18, first 2 shown]
	v_cmp_lt_u32_e32 vcc, 12, v0
	s_waitcnt vmcnt(14) lgkmcnt(3)
	v_mul_f32_e32 v18, v14, v78
	v_fmac_f32_e32 v18, v15, v1
	s_waitcnt vmcnt(12)
	v_mul_f32_e32 v19, v16, v95
	v_add_f32_e32 v18, 0, v18
	v_fmac_f32_e32 v19, v17, v72
	v_add_f32_e32 v18, v18, v19
	s_waitcnt vmcnt(10) lgkmcnt(2)
	v_mul_f32_e32 v19, v10, v97
	v_fmac_f32_e32 v19, v11, v74
	v_add_f32_e32 v18, v18, v19
	s_waitcnt vmcnt(8)
	v_mul_f32_e32 v19, v12, v99
	v_fmac_f32_e32 v19, v13, v94
	v_add_f32_e32 v18, v18, v19
	s_waitcnt vmcnt(6) lgkmcnt(1)
	v_mul_f32_e32 v19, v6, v101
	v_fmac_f32_e32 v19, v7, v96
	v_add_f32_e32 v18, v18, v19
	s_waitcnt vmcnt(4)
	v_mul_f32_e32 v19, v8, v102
	;; [unrolled: 8-line block ×3, first 2 shown]
	v_fmac_f32_e32 v19, v5, v104
	v_add_f32_e32 v22, v18, v19
	ds_read_b128 v[18:21], v204 offset:624
	buffer_load_dword v106, off, s[0:3], 0 offset:176
	buffer_load_dword v107, off, s[0:3], 0 offset:180
	buffer_load_dword v108, off, s[0:3], 0 offset:184
	buffer_load_dword v109, off, s[0:3], 0 offset:188
	ds_read_b128 v[26:29], v204 offset:640
	buffer_load_dword v110, off, s[0:3], 0 offset:192
	buffer_load_dword v111, off, s[0:3], 0 offset:196
	buffer_load_dword v112, off, s[0:3], 0 offset:200
	buffer_load_dword v113, off, s[0:3], 0 offset:204
	;; [unrolled: 5-line block ×12, first 2 shown]
	v_mul_f32_e32 v15, v15, v78
	v_fma_f32 v1, v14, v1, -v15
	v_mul_f32_e32 v14, v17, v95
	v_add_f32_e32 v1, 0, v1
	v_fma_f32 v14, v16, v72, -v14
	v_mul_f32_e32 v11, v11, v97
	v_add_f32_e32 v1, v1, v14
	v_fma_f32 v10, v10, v74, -v11
	v_add_f32_e32 v1, v1, v10
	v_mul_f32_e32 v10, v13, v99
	v_fma_f32 v10, v12, v94, -v10
	v_mul_f32_e32 v7, v7, v101
	v_add_f32_e32 v1, v1, v10
	v_fma_f32 v6, v6, v96, -v7
	v_add_f32_e32 v1, v1, v6
	v_mul_f32_e32 v6, v9, v102
	;; [unrolled: 6-line block ×3, first 2 shown]
	v_fma_f32 v2, v4, v104, -v2
	v_add_f32_e32 v1, v1, v2
	s_waitcnt vmcnt(46) lgkmcnt(11)
	v_mul_f32_e32 v23, v18, v107
	v_fmac_f32_e32 v23, v19, v106
	v_add_f32_e32 v22, v22, v23
	s_waitcnt vmcnt(44)
	v_mul_f32_e32 v23, v20, v109
	v_fmac_f32_e32 v23, v21, v108
	v_add_f32_e32 v22, v22, v23
	s_waitcnt vmcnt(42) lgkmcnt(10)
	v_mul_f32_e32 v23, v26, v111
	v_fmac_f32_e32 v23, v27, v110
	v_add_f32_e32 v22, v22, v23
	s_waitcnt vmcnt(40)
	v_mul_f32_e32 v23, v28, v113
	v_fmac_f32_e32 v23, v29, v112
	;; [unrolled: 8-line block ×11, first 2 shown]
	v_add_f32_e32 v22, v22, v23
	s_waitcnt vmcnt(2) lgkmcnt(0)
	v_mul_f32_e32 v23, v66, v214
	v_fmac_f32_e32 v23, v67, v213
	v_add_f32_e32 v73, v22, v23
	ds_read_b128 v[22:25], v204 offset:816
	buffer_load_dword v217, off, s[0:3], 0 offset:368
	buffer_load_dword v218, off, s[0:3], 0 offset:372
	;; [unrolled: 1-line block ×18, first 2 shown]
	v_mul_f32_e32 v2, v19, v107
	v_fma_f32 v2, v18, v106, -v2
	v_add_f32_e32 v1, v1, v2
	v_mul_f32_e32 v2, v21, v109
	v_fma_f32 v2, v20, v108, -v2
	v_add_f32_e32 v1, v1, v2
	;; [unrolled: 3-line block ×22, first 2 shown]
	v_mul_f32_e32 v2, v67, v214
	v_fma_f32 v2, v66, v213, -v2
	s_waitcnt vmcnt(15)
	v_mov_b32_e32 v18, v77
	v_mul_f32_e32 v75, v68, v216
	v_add_f32_e32 v72, v1, v2
	v_mul_f32_e32 v1, v69, v216
	s_waitcnt lgkmcnt(0)
	v_pk_mul_f32 v[18:19], v[24:25], v[18:19] op_sel_hi:[1,0]
	v_fmac_f32_e32 v75, v69, v215
	v_fma_f32 v74, v68, v215, -v1
	ds_read_b128 v[2:5], v204 offset:832
	ds_read_b128 v[6:9], v204 offset:848
	;; [unrolled: 1-line block ×3, first 2 shown]
	ds_read_b64 v[14:15], v204 offset:880
	s_waitcnt vmcnt(14)
	v_pk_fma_f32 v[20:21], v[24:25], v[76:77], v[18:19] op_sel:[0,0,1] op_sel_hi:[1,1,0] neg_lo:[0,0,1] neg_hi:[0,0,1]
	v_pk_fma_f32 v[18:19], v[24:25], v[76:77], v[18:19] op_sel:[0,0,1] op_sel_hi:[1,0,0]
	v_mul_f32_e32 v79, v22, v218
	v_mul_f32_e32 v1, v23, v218
	v_fmac_f32_e32 v79, v23, v217
	v_fma_f32 v78, v22, v217, -v1
	v_pk_add_f32 v[16:17], v[72:73], v[74:75]
	s_waitcnt vmcnt(13)
	v_mov_b32_e32 v18, v93
	v_pk_add_f32 v[16:17], v[16:17], v[78:79]
	v_mov_b32_e32 v21, v19
	s_waitcnt lgkmcnt(3)
	v_pk_mul_f32 v[18:19], v[2:3], v[18:19] op_sel_hi:[1,0]
	v_pk_add_f32 v[16:17], v[16:17], v[20:21]
	s_waitcnt vmcnt(12)
	v_pk_fma_f32 v[20:21], v[2:3], v[92:93], v[18:19] op_sel:[0,0,1] op_sel_hi:[1,1,0] neg_lo:[0,0,1] neg_hi:[0,0,1]
	v_pk_fma_f32 v[2:3], v[2:3], v[92:93], v[18:19] op_sel:[0,0,1] op_sel_hi:[1,0,0]
	v_mov_b32_e32 v21, v3
	v_pk_add_f32 v[2:3], v[16:17], v[20:21]
	s_waitcnt vmcnt(11)
	v_mov_b32_e32 v16, v91
	v_pk_mul_f32 v[16:17], v[4:5], v[16:17] op_sel_hi:[1,0]
	s_waitcnt vmcnt(10)
	v_pk_fma_f32 v[18:19], v[4:5], v[90:91], v[16:17] op_sel:[0,0,1] op_sel_hi:[1,1,0] neg_lo:[0,0,1] neg_hi:[0,0,1]
	v_pk_fma_f32 v[4:5], v[4:5], v[90:91], v[16:17] op_sel:[0,0,1] op_sel_hi:[1,0,0]
	s_waitcnt vmcnt(9)
	v_mov_b32_e32 v4, v89
	v_mov_b32_e32 v19, v5
	s_waitcnt lgkmcnt(2)
	v_pk_mul_f32 v[4:5], v[6:7], v[4:5] op_sel_hi:[1,0]
	s_waitcnt vmcnt(8)
	v_pk_fma_f32 v[16:17], v[6:7], v[88:89], v[4:5] op_sel:[0,0,1] op_sel_hi:[1,1,0] neg_lo:[0,0,1] neg_hi:[0,0,1]
	v_pk_fma_f32 v[4:5], v[6:7], v[88:89], v[4:5] op_sel:[0,0,1] op_sel_hi:[1,0,0]
	s_waitcnt vmcnt(7)
	v_mov_b32_e32 v4, v87
	v_mov_b32_e32 v17, v5
	v_pk_mul_f32 v[4:5], v[8:9], v[4:5] op_sel_hi:[1,0]
	s_waitcnt vmcnt(6)
	v_pk_fma_f32 v[6:7], v[8:9], v[86:87], v[4:5] op_sel:[0,0,1] op_sel_hi:[1,1,0] neg_lo:[0,0,1] neg_hi:[0,0,1]
	v_pk_fma_f32 v[4:5], v[8:9], v[86:87], v[4:5] op_sel:[0,0,1] op_sel_hi:[1,0,0]
	v_pk_add_f32 v[2:3], v[2:3], v[18:19]
	s_waitcnt vmcnt(5)
	v_mov_b32_e32 v4, v85
	v_pk_add_f32 v[2:3], v[2:3], v[16:17]
	v_mov_b32_e32 v7, v5
	s_waitcnt lgkmcnt(1)
	v_pk_mul_f32 v[4:5], v[10:11], v[4:5] op_sel_hi:[1,0]
	v_pk_add_f32 v[2:3], v[2:3], v[6:7]
	s_waitcnt vmcnt(4)
	v_pk_fma_f32 v[6:7], v[10:11], v[84:85], v[4:5] op_sel:[0,0,1] op_sel_hi:[1,1,0] neg_lo:[0,0,1] neg_hi:[0,0,1]
	v_pk_fma_f32 v[4:5], v[10:11], v[84:85], v[4:5] op_sel:[0,0,1] op_sel_hi:[1,0,0]
	s_waitcnt vmcnt(3)
	v_mov_b32_e32 v4, v83
	v_mov_b32_e32 v7, v5
	v_pk_mul_f32 v[4:5], v[12:13], v[4:5] op_sel_hi:[1,0]
	v_pk_add_f32 v[2:3], v[2:3], v[6:7]
	s_waitcnt vmcnt(2)
	v_pk_fma_f32 v[6:7], v[12:13], v[82:83], v[4:5] op_sel:[0,0,1] op_sel_hi:[1,1,0] neg_lo:[0,0,1] neg_hi:[0,0,1]
	v_pk_fma_f32 v[4:5], v[12:13], v[82:83], v[4:5] op_sel:[0,0,1] op_sel_hi:[1,0,0]
	s_waitcnt vmcnt(1)
	v_mov_b32_e32 v4, v81
	v_mov_b32_e32 v7, v5
	s_waitcnt lgkmcnt(0)
	v_pk_mul_f32 v[4:5], v[14:15], v[4:5] op_sel_hi:[1,0]
	v_pk_add_f32 v[2:3], v[2:3], v[6:7]
	s_waitcnt vmcnt(0)
	v_pk_fma_f32 v[6:7], v[14:15], v[80:81], v[4:5] op_sel:[0,0,1] op_sel_hi:[1,1,0] neg_lo:[0,0,1] neg_hi:[0,0,1]
	v_pk_fma_f32 v[4:5], v[14:15], v[80:81], v[4:5] op_sel:[0,0,1] op_sel_hi:[1,0,0]
	v_mov_b32_e32 v7, v5
	v_pk_add_f32 v[2:3], v[2:3], v[6:7]
	v_pk_add_f32 v[2:3], v[70:71], v[2:3] neg_lo:[0,1] neg_hi:[0,1]
	buffer_store_dword v3, off, s[0:3], 0 offset:108
	buffer_store_dword v2, off, s[0:3], 0 offset:104
	s_and_saveexec_b64 s[4:5], vcc
	s_cbranch_execz .LBB54_319
; %bb.318:
	buffer_load_dword v2, off, s[0:3], 0 offset:96
	buffer_load_dword v3, off, s[0:3], 0 offset:100
	s_waitcnt vmcnt(0)
	ds_write_b64 v153, v[2:3]
	buffer_store_dword v204, off, s[0:3], 0 offset:96
	buffer_store_dword v204, off, s[0:3], 0 offset:100
.LBB54_319:
	s_or_b64 exec, exec, s[4:5]
	s_waitcnt lgkmcnt(0)
	; wave barrier
	s_waitcnt lgkmcnt(0)
	buffer_load_dword v1, off, s[0:3], 0 offset:108
	buffer_load_dword v78, off, s[0:3], 0 offset:116
	;; [unrolled: 1-line block ×24, first 2 shown]
	ds_read2_b64 v[22:25], v204 offset0:69 offset1:70
	ds_read2_b64 v[18:21], v204 offset0:71 offset1:72
	;; [unrolled: 1-line block ×4, first 2 shown]
	buffer_load_dword v116, off, s[0:3], 0 offset:192
	buffer_load_dword v117, off, s[0:3], 0 offset:196
	ds_read2_b64 v[10:13], v204 offset0:77 offset1:78
	ds_read2_b64 v[2:5], v204 offset0:79 offset1:80
	buffer_load_dword v118, off, s[0:3], 0 offset:200
	buffer_load_dword v119, off, s[0:3], 0 offset:204
	;; [unrolled: 1-line block ×44, first 2 shown]
	v_cmp_lt_u32_e32 vcc, 11, v0
	s_waitcnt vmcnt(62) lgkmcnt(5)
	v_mul_f32_e32 v28, v22, v1
	v_mul_f32_e32 v29, v24, v78
	s_waitcnt lgkmcnt(4)
	v_mul_f32_e32 v31, v20, v80
	s_waitcnt lgkmcnt(3)
	v_mul_f32_e32 v32, v14, v82
	v_mul_f32_e32 v33, v16, v98
	;; [unrolled: 1-line block ×3, first 2 shown]
	s_waitcnt lgkmcnt(2)
	v_mul_f32_e32 v34, v6, v100
	v_mul_f32_e32 v35, v8, v101
	s_waitcnt vmcnt(61)
	v_fmac_f32_e32 v30, v19, v102
	s_waitcnt vmcnt(60)
	v_fmac_f32_e32 v29, v25, v103
	;; [unrolled: 2-line block ×3, first 2 shown]
	v_add_f32_e32 v28, 0, v28
	v_add_f32_e32 v28, v28, v29
	v_add_f32_e32 v28, v28, v30
	s_waitcnt vmcnt(55)
	v_fmac_f32_e32 v31, v21, v108
	v_fmac_f32_e32 v32, v15, v107
	v_add_f32_e32 v28, v28, v31
	v_fmac_f32_e32 v33, v17, v106
	v_add_f32_e32 v28, v28, v32
	;; [unrolled: 2-line block ×3, first 2 shown]
	s_waitcnt vmcnt(51)
	v_fmac_f32_e32 v35, v9, v112
	v_add_f32_e32 v28, v28, v34
	s_waitcnt vmcnt(50) lgkmcnt(1)
	v_mul_f32_e32 v29, v10, v113
	v_add_f32_e32 v28, v28, v35
	v_fmac_f32_e32 v29, v11, v111
	v_add_f32_e32 v28, v28, v29
	s_waitcnt vmcnt(49)
	v_mul_f32_e32 v29, v12, v114
	v_fmac_f32_e32 v29, v13, v110
	v_add_f32_e32 v28, v28, v29
	s_waitcnt vmcnt(48) lgkmcnt(0)
	v_mul_f32_e32 v29, v2, v115
	v_fmac_f32_e32 v29, v3, v109
	v_add_f32_e32 v32, v28, v29
	ds_read2_b64 v[28:31], v204 offset0:81 offset1:82
	s_waitcnt vmcnt(44)
	v_mul_f32_e32 v33, v4, v117
	v_fmac_f32_e32 v33, v5, v116
	v_add_f32_e32 v36, v32, v33
	ds_read2_b64 v[32:35], v204 offset0:83 offset1:84
	s_waitcnt vmcnt(42) lgkmcnt(1)
	v_mul_f32_e32 v37, v28, v119
	v_fmac_f32_e32 v37, v29, v118
	v_add_f32_e32 v36, v36, v37
	s_waitcnt vmcnt(40)
	v_mul_f32_e32 v37, v30, v121
	v_fmac_f32_e32 v37, v31, v120
	v_add_f32_e32 v36, v36, v37
	s_waitcnt vmcnt(38) lgkmcnt(0)
	v_mul_f32_e32 v37, v32, v123
	v_fmac_f32_e32 v37, v33, v122
	v_add_f32_e32 v40, v36, v37
	ds_read2_b64 v[36:39], v204 offset0:85 offset1:86
	s_waitcnt vmcnt(36)
	v_mul_f32_e32 v41, v34, v125
	v_fmac_f32_e32 v41, v35, v124
	v_add_f32_e32 v44, v40, v41
	ds_read2_b64 v[40:43], v204 offset0:87 offset1:88
	s_waitcnt vmcnt(34) lgkmcnt(1)
	v_mul_f32_e32 v45, v36, v127
	;; [unrolled: 18-line block ×4, first 2 shown]
	v_fmac_f32_e32 v61, v53, v205
	v_add_f32_e32 v60, v60, v61
	s_waitcnt vmcnt(16)
	v_mul_f32_e32 v61, v54, v208
	v_fmac_f32_e32 v61, v55, v207
	v_add_f32_e32 v60, v60, v61
	s_waitcnt vmcnt(14) lgkmcnt(0)
	v_mul_f32_e32 v61, v56, v210
	v_fmac_f32_e32 v61, v57, v209
	v_add_f32_e32 v64, v60, v61
	ds_read2_b64 v[60:63], v204 offset0:97 offset1:98
	s_waitcnt vmcnt(12)
	v_mul_f32_e32 v65, v58, v212
	v_fmac_f32_e32 v65, v59, v211
	v_add_f32_e32 v68, v64, v65
	ds_read2_b64 v[64:67], v204 offset0:99 offset1:100
	buffer_load_dword v77, off, s[0:3], 0 offset:380
	buffer_load_dword v76, off, s[0:3], 0 offset:376
	s_waitcnt vmcnt(12) lgkmcnt(1)
	v_mul_f32_e32 v69, v60, v214
	v_fmac_f32_e32 v69, v61, v213
	v_add_f32_e32 v68, v68, v69
	s_waitcnt vmcnt(10)
	v_mul_f32_e32 v69, v62, v216
	v_fmac_f32_e32 v69, v63, v215
	v_add_f32_e32 v68, v68, v69
	s_waitcnt vmcnt(8) lgkmcnt(0)
	v_mul_f32_e32 v69, v64, v218
	v_fmac_f32_e32 v69, v65, v217
	s_waitcnt vmcnt(6)
	v_mul_f32_e32 v73, v66, v220
	v_add_f32_e32 v72, v68, v69
	v_fmac_f32_e32 v73, v67, v219
	ds_read2_b64 v[68:71], v204 offset0:101 offset1:102
	v_add_f32_e32 v79, v72, v73
	ds_read2_b64 v[72:75], v204 offset0:103 offset1:104
	buffer_load_dword v85, off, s[0:3], 0 offset:412
	buffer_load_dword v84, off, s[0:3], 0 offset:408
	;; [unrolled: 1-line block ×14, first 2 shown]
	v_mul_f32_e32 v1, v23, v1
	v_fma_f32 v1, v22, v104, -v1
	v_mul_f32_e32 v22, v25, v78
	v_add_f32_e32 v1, 0, v1
	v_fma_f32 v22, v24, v103, -v22
	v_mul_f32_e32 v19, v19, v99
	v_add_f32_e32 v1, v1, v22
	v_fma_f32 v18, v18, v102, -v19
	v_add_f32_e32 v1, v1, v18
	v_mul_f32_e32 v18, v21, v80
	v_fma_f32 v18, v20, v108, -v18
	v_mul_f32_e32 v15, v15, v82
	v_add_f32_e32 v1, v1, v18
	v_fma_f32 v14, v14, v107, -v15
	v_add_f32_e32 v1, v1, v14
	v_mul_f32_e32 v14, v17, v98
	;; [unrolled: 6-line block ×3, first 2 shown]
	v_fma_f32 v6, v8, v112, -v6
	v_add_f32_e32 v1, v1, v6
	v_mul_f32_e32 v6, v11, v113
	v_fma_f32 v6, v10, v111, -v6
	v_add_f32_e32 v1, v1, v6
	v_mul_f32_e32 v6, v13, v114
	v_fma_f32 v6, v12, v110, -v6
	v_mul_f32_e32 v3, v3, v115
	v_add_f32_e32 v1, v1, v6
	v_fma_f32 v2, v2, v109, -v3
	v_add_f32_e32 v1, v1, v2
	v_mul_f32_e32 v2, v5, v117
	v_fma_f32 v2, v4, v116, -v2
	v_add_f32_e32 v1, v1, v2
	v_mul_f32_e32 v2, v29, v119
	;; [unrolled: 3-line block ×21, first 2 shown]
	v_fma_f32 v2, v66, v219, -v2
	s_waitcnt vmcnt(15)
	v_mov_b32_e32 v16, v77
	s_waitcnt lgkmcnt(1)
	v_mul_f32_e32 v81, v68, v222
	v_add_f32_e32 v78, v1, v2
	v_mul_f32_e32 v1, v69, v222
	s_waitcnt lgkmcnt(0)
	v_pk_mul_f32 v[16:17], v[72:73], v[16:17] op_sel_hi:[1,0]
	v_fmac_f32_e32 v81, v69, v221
	v_mul_f32_e32 v83, v70, v224
	v_fma_f32 v80, v68, v221, -v1
	v_mul_f32_e32 v1, v71, v224
	s_waitcnt vmcnt(14)
	v_pk_fma_f32 v[18:19], v[72:73], v[76:77], v[16:17] op_sel:[0,0,1] op_sel_hi:[1,1,0] neg_lo:[0,0,1] neg_hi:[0,0,1]
	v_pk_fma_f32 v[16:17], v[72:73], v[76:77], v[16:17] op_sel:[0,0,1] op_sel_hi:[1,0,0]
	v_fmac_f32_e32 v83, v71, v223
	v_fma_f32 v82, v70, v223, -v1
	v_pk_add_f32 v[14:15], v[78:79], v[80:81]
	s_waitcnt vmcnt(7)
	v_mov_b32_e32 v16, v91
	ds_read2_b64 v[2:5], v204 offset0:105 offset1:106
	ds_read2_b64 v[6:9], v204 offset0:107 offset1:108
	;; [unrolled: 1-line block ×3, first 2 shown]
	v_pk_add_f32 v[14:15], v[14:15], v[82:83]
	v_mov_b32_e32 v19, v17
	v_pk_mul_f32 v[16:17], v[74:75], v[16:17] op_sel_hi:[1,0]
	v_pk_add_f32 v[14:15], v[14:15], v[18:19]
	s_waitcnt vmcnt(6)
	v_pk_fma_f32 v[18:19], v[74:75], v[90:91], v[16:17] op_sel:[0,0,1] op_sel_hi:[1,1,0] neg_lo:[0,0,1] neg_hi:[0,0,1]
	v_pk_fma_f32 v[16:17], v[74:75], v[90:91], v[16:17] op_sel:[0,0,1] op_sel_hi:[1,0,0]
	v_mov_b32_e32 v16, v89
	v_mov_b32_e32 v19, v17
	s_waitcnt lgkmcnt(2)
	v_pk_mul_f32 v[16:17], v[2:3], v[16:17] op_sel_hi:[1,0]
	v_pk_add_f32 v[14:15], v[14:15], v[18:19]
	v_pk_fma_f32 v[18:19], v[2:3], v[88:89], v[16:17] op_sel:[0,0,1] op_sel_hi:[1,1,0] neg_lo:[0,0,1] neg_hi:[0,0,1]
	v_pk_fma_f32 v[2:3], v[2:3], v[88:89], v[16:17] op_sel:[0,0,1] op_sel_hi:[1,0,0]
	v_mov_b32_e32 v19, v3
	v_pk_add_f32 v[2:3], v[14:15], v[18:19]
	v_mov_b32_e32 v14, v87
	v_pk_mul_f32 v[14:15], v[4:5], v[14:15] op_sel_hi:[1,0]
	v_pk_fma_f32 v[16:17], v[4:5], v[86:87], v[14:15] op_sel:[0,0,1] op_sel_hi:[1,1,0] neg_lo:[0,0,1] neg_hi:[0,0,1]
	v_pk_fma_f32 v[4:5], v[4:5], v[86:87], v[14:15] op_sel:[0,0,1] op_sel_hi:[1,0,0]
	v_mov_b32_e32 v4, v85
	v_mov_b32_e32 v17, v5
	s_waitcnt lgkmcnt(1)
	v_pk_mul_f32 v[4:5], v[6:7], v[4:5] op_sel_hi:[1,0]
	v_pk_fma_f32 v[14:15], v[6:7], v[84:85], v[4:5] op_sel:[0,0,1] op_sel_hi:[1,1,0] neg_lo:[0,0,1] neg_hi:[0,0,1]
	v_pk_fma_f32 v[4:5], v[6:7], v[84:85], v[4:5] op_sel:[0,0,1] op_sel_hi:[1,0,0]
	s_waitcnt vmcnt(1)
	v_mov_b32_e32 v4, v97
	v_mov_b32_e32 v15, v5
	v_pk_mul_f32 v[4:5], v[8:9], v[4:5] op_sel_hi:[1,0]
	s_waitcnt vmcnt(0)
	v_pk_fma_f32 v[6:7], v[8:9], v[96:97], v[4:5] op_sel:[0,0,1] op_sel_hi:[1,1,0] neg_lo:[0,0,1] neg_hi:[0,0,1]
	v_pk_fma_f32 v[4:5], v[8:9], v[96:97], v[4:5] op_sel:[0,0,1] op_sel_hi:[1,0,0]
	v_pk_add_f32 v[2:3], v[2:3], v[16:17]
	v_mov_b32_e32 v4, v95
	v_pk_add_f32 v[2:3], v[2:3], v[14:15]
	v_mov_b32_e32 v7, v5
	s_waitcnt lgkmcnt(0)
	v_pk_mul_f32 v[4:5], v[10:11], v[4:5] op_sel_hi:[1,0]
	v_pk_add_f32 v[2:3], v[2:3], v[6:7]
	v_pk_fma_f32 v[6:7], v[10:11], v[94:95], v[4:5] op_sel:[0,0,1] op_sel_hi:[1,1,0] neg_lo:[0,0,1] neg_hi:[0,0,1]
	v_pk_fma_f32 v[4:5], v[10:11], v[94:95], v[4:5] op_sel:[0,0,1] op_sel_hi:[1,0,0]
	v_mov_b32_e32 v4, v93
	v_mov_b32_e32 v7, v5
	v_pk_mul_f32 v[4:5], v[12:13], v[4:5] op_sel_hi:[1,0]
	v_pk_add_f32 v[2:3], v[2:3], v[6:7]
	v_pk_fma_f32 v[6:7], v[12:13], v[92:93], v[4:5] op_sel:[0,0,1] op_sel_hi:[1,1,0] neg_lo:[0,0,1] neg_hi:[0,0,1]
	v_pk_fma_f32 v[4:5], v[12:13], v[92:93], v[4:5] op_sel:[0,0,1] op_sel_hi:[1,0,0]
	v_mov_b32_e32 v7, v5
	v_pk_add_f32 v[2:3], v[2:3], v[6:7]
	v_pk_add_f32 v[2:3], v[26:27], v[2:3] neg_lo:[0,1] neg_hi:[0,1]
	buffer_store_dword v3, off, s[0:3], 0 offset:100
	buffer_store_dword v2, off, s[0:3], 0 offset:96
	s_and_saveexec_b64 s[4:5], vcc
	s_cbranch_execz .LBB54_321
; %bb.320:
	buffer_load_dword v2, off, s[0:3], 0 offset:88
	buffer_load_dword v3, off, s[0:3], 0 offset:92
	v_mov_b32_e32 v1, 0
	buffer_store_dword v1, off, s[0:3], 0 offset:88
	buffer_store_dword v1, off, s[0:3], 0 offset:92
	s_waitcnt vmcnt(2)
	ds_write_b64 v153, v[2:3]
.LBB54_321:
	s_or_b64 exec, exec, s[4:5]
	s_waitcnt lgkmcnt(0)
	; wave barrier
	s_waitcnt lgkmcnt(0)
	buffer_load_dword v1, off, s[0:3], 0 offset:100
	buffer_load_dword v29, off, s[0:3], 0 offset:108
	;; [unrolled: 1-line block ×56, first 2 shown]
	v_mov_b32_e32 v28, 0
	ds_read_b128 v[4:7], v28 offset:544
	ds_read_b128 v[8:11], v28 offset:560
	;; [unrolled: 1-line block ×6, first 2 shown]
	buffer_load_dword v211, off, s[0:3], 0 offset:312
	buffer_load_dword v212, off, s[0:3], 0 offset:316
	buffer_load_dword v213, off, s[0:3], 0 offset:320
	buffer_load_dword v214, off, s[0:3], 0 offset:324
	buffer_load_dword v215, off, s[0:3], 0 offset:328
	buffer_load_dword v216, off, s[0:3], 0 offset:332
	buffer_load_dword v217, off, s[0:3], 0 offset:336
	buffer_load_dword v218, off, s[0:3], 0 offset:340
	buffer_load_dword v219, off, s[0:3], 0 offset:344
	buffer_load_dword v220, off, s[0:3], 0 offset:348
	buffer_load_dword v221, off, s[0:3], 0 offset:352
	buffer_load_dword v222, off, s[0:3], 0 offset:356
	buffer_load_dword v223, off, s[0:3], 0 offset:360
	buffer_load_dword v224, off, s[0:3], 0 offset:364
	buffer_load_dword v225, off, s[0:3], 0 offset:368
	buffer_load_dword v226, off, s[0:3], 0 offset:372
	v_cmp_lt_u32_e32 vcc, 10, v0
	s_waitcnt vmcnt(62) lgkmcnt(5)
	v_mul_f32_e32 v30, v4, v1
	v_mul_f32_e32 v31, v6, v29
	s_waitcnt lgkmcnt(4)
	v_mul_f32_e32 v33, v10, v78
	s_waitcnt lgkmcnt(3)
	v_mul_f32_e32 v34, v12, v80
	v_mul_f32_e32 v35, v14, v82
	;; [unrolled: 1-line block ×3, first 2 shown]
	s_waitcnt lgkmcnt(2)
	v_mul_f32_e32 v36, v16, v101
	v_mul_f32_e32 v37, v18, v102
	s_waitcnt lgkmcnt(1)
	v_mul_f32_e32 v38, v20, v103
	v_fmac_f32_e32 v32, v9, v104
	s_waitcnt vmcnt(61)
	v_fmac_f32_e32 v31, v7, v105
	s_waitcnt vmcnt(60)
	v_fmac_f32_e32 v30, v5, v106
	v_add_f32_e32 v30, 0, v30
	v_add_f32_e32 v30, v30, v31
	;; [unrolled: 1-line block ×3, first 2 shown]
	s_waitcnt vmcnt(56)
	v_fmac_f32_e32 v33, v11, v110
	v_fmac_f32_e32 v34, v13, v109
	v_add_f32_e32 v30, v30, v33
	v_fmac_f32_e32 v35, v15, v108
	v_add_f32_e32 v30, v30, v34
	v_fmac_f32_e32 v36, v17, v107
	v_add_f32_e32 v30, v30, v35
	s_waitcnt vmcnt(52)
	v_fmac_f32_e32 v37, v19, v114
	v_add_f32_e32 v30, v30, v36
	v_add_f32_e32 v30, v30, v37
	v_fmac_f32_e32 v38, v21, v113
	s_waitcnt vmcnt(51)
	v_mul_f32_e32 v31, v22, v115
	v_add_f32_e32 v30, v30, v38
	v_fmac_f32_e32 v31, v23, v112
	v_add_f32_e32 v30, v30, v31
	s_waitcnt vmcnt(50) lgkmcnt(0)
	v_mul_f32_e32 v31, v24, v116
	v_fmac_f32_e32 v31, v25, v111
	v_add_f32_e32 v34, v30, v31
	ds_read_b128 v[30:33], v28 offset:640
	s_waitcnt vmcnt(46)
	v_mul_f32_e32 v35, v26, v118
	v_fmac_f32_e32 v35, v27, v117
	v_add_f32_e32 v38, v34, v35
	ds_read_b128 v[34:37], v28 offset:656
	s_waitcnt vmcnt(44) lgkmcnt(1)
	v_mul_f32_e32 v39, v30, v120
	v_fmac_f32_e32 v39, v31, v119
	v_add_f32_e32 v38, v38, v39
	s_waitcnt vmcnt(42)
	v_mul_f32_e32 v39, v32, v122
	v_fmac_f32_e32 v39, v33, v121
	v_add_f32_e32 v38, v38, v39
	s_waitcnt vmcnt(40) lgkmcnt(0)
	v_mul_f32_e32 v39, v34, v124
	v_fmac_f32_e32 v39, v35, v123
	v_add_f32_e32 v42, v38, v39
	ds_read_b128 v[38:41], v28 offset:672
	s_waitcnt vmcnt(38)
	v_mul_f32_e32 v43, v36, v126
	v_fmac_f32_e32 v43, v37, v125
	v_add_f32_e32 v46, v42, v43
	ds_read_b128 v[42:45], v28 offset:688
	s_waitcnt vmcnt(36) lgkmcnt(1)
	v_mul_f32_e32 v47, v38, v128
	v_fmac_f32_e32 v47, v39, v127
	v_add_f32_e32 v46, v46, v47
	s_waitcnt vmcnt(34)
	v_mul_f32_e32 v47, v40, v130
	;; [unrolled: 18-line block ×5, first 2 shown]
	v_fmac_f32_e32 v71, v65, v215
	v_add_f32_e32 v70, v70, v71
	s_waitcnt vmcnt(8) lgkmcnt(0)
	v_mul_f32_e32 v71, v66, v218
	v_fmac_f32_e32 v71, v67, v217
	s_waitcnt vmcnt(6)
	v_mul_f32_e32 v75, v68, v220
	v_add_f32_e32 v74, v70, v71
	v_fmac_f32_e32 v75, v69, v219
	ds_read_b128 v[70:73], v28 offset:800
	v_add_f32_e32 v79, v74, v75
	ds_read_b128 v[74:77], v28 offset:816
	buffer_load_dword v85, off, s[0:3], 0 offset:404
	buffer_load_dword v84, off, s[0:3], 0 offset:400
	buffer_load_dword v87, off, s[0:3], 0 offset:396
	buffer_load_dword v86, off, s[0:3], 0 offset:392
	buffer_load_dword v89, off, s[0:3], 0 offset:388
	buffer_load_dword v88, off, s[0:3], 0 offset:384
	buffer_load_dword v91, off, s[0:3], 0 offset:380
	buffer_load_dword v90, off, s[0:3], 0 offset:376
	buffer_load_dword v93, off, s[0:3], 0 offset:436
	buffer_load_dword v92, off, s[0:3], 0 offset:432
	buffer_load_dword v95, off, s[0:3], 0 offset:428
	buffer_load_dword v94, off, s[0:3], 0 offset:424
	buffer_load_dword v97, off, s[0:3], 0 offset:420
	buffer_load_dword v96, off, s[0:3], 0 offset:416
	buffer_load_dword v99, off, s[0:3], 0 offset:412
	buffer_load_dword v98, off, s[0:3], 0 offset:408
	v_mul_f32_e32 v1, v5, v1
	v_fma_f32 v1, v4, v106, -v1
	v_mul_f32_e32 v4, v7, v29
	v_add_f32_e32 v1, 0, v1
	v_fma_f32 v4, v6, v105, -v4
	v_add_f32_e32 v1, v1, v4
	v_mul_f32_e32 v4, v9, v100
	v_fma_f32 v4, v8, v104, -v4
	v_add_f32_e32 v1, v1, v4
	v_mul_f32_e32 v4, v11, v78
	;; [unrolled: 3-line block ×30, first 2 shown]
	v_fma_f32 v4, v68, v219, -v4
	s_waitcnt vmcnt(20) lgkmcnt(1)
	v_mul_f32_e32 v81, v70, v222
	v_add_f32_e32 v1, v1, v4
	v_mul_f32_e32 v4, v71, v222
	v_fmac_f32_e32 v81, v71, v221
	v_fma_f32 v4, v70, v221, -v4
	s_waitcnt vmcnt(9)
	v_mov_b32_e32 v20, v91
	v_add_f32_e32 v79, v79, v81
	v_mul_f32_e32 v81, v72, v224
	v_add_f32_e32 v78, v1, v4
	v_mul_f32_e32 v1, v73, v224
	s_waitcnt lgkmcnt(0)
	v_pk_mul_f32 v[20:21], v[76:77], v[20:21] op_sel_hi:[1,0]
	v_fmac_f32_e32 v81, v73, v223
	v_mul_f32_e32 v83, v74, v226
	v_fma_f32 v80, v72, v223, -v1
	v_mul_f32_e32 v1, v75, v226
	ds_read_b128 v[4:7], v28 offset:832
	ds_read_b128 v[8:11], v28 offset:848
	;; [unrolled: 1-line block ×3, first 2 shown]
	ds_read_b64 v[16:17], v28 offset:880
	s_waitcnt vmcnt(8)
	v_pk_fma_f32 v[22:23], v[76:77], v[90:91], v[20:21] op_sel:[0,0,1] op_sel_hi:[1,1,0] neg_lo:[0,0,1] neg_hi:[0,0,1]
	v_pk_fma_f32 v[20:21], v[76:77], v[90:91], v[20:21] op_sel:[0,0,1] op_sel_hi:[1,0,0]
	v_fmac_f32_e32 v83, v75, v225
	v_fma_f32 v82, v74, v225, -v1
	v_pk_add_f32 v[18:19], v[78:79], v[80:81]
	v_mov_b32_e32 v20, v89
	v_pk_add_f32 v[18:19], v[18:19], v[82:83]
	v_mov_b32_e32 v23, v21
	s_waitcnt lgkmcnt(3)
	v_pk_mul_f32 v[20:21], v[4:5], v[20:21] op_sel_hi:[1,0]
	v_pk_add_f32 v[18:19], v[18:19], v[22:23]
	v_pk_fma_f32 v[22:23], v[4:5], v[88:89], v[20:21] op_sel:[0,0,1] op_sel_hi:[1,1,0] neg_lo:[0,0,1] neg_hi:[0,0,1]
	v_pk_fma_f32 v[4:5], v[4:5], v[88:89], v[20:21] op_sel:[0,0,1] op_sel_hi:[1,0,0]
	v_mov_b32_e32 v23, v5
	v_pk_add_f32 v[4:5], v[18:19], v[22:23]
	v_mov_b32_e32 v18, v87
	v_pk_mul_f32 v[18:19], v[6:7], v[18:19] op_sel_hi:[1,0]
	v_pk_fma_f32 v[20:21], v[6:7], v[86:87], v[18:19] op_sel:[0,0,1] op_sel_hi:[1,1,0] neg_lo:[0,0,1] neg_hi:[0,0,1]
	v_pk_fma_f32 v[6:7], v[6:7], v[86:87], v[18:19] op_sel:[0,0,1] op_sel_hi:[1,0,0]
	v_mov_b32_e32 v6, v85
	v_mov_b32_e32 v21, v7
	s_waitcnt lgkmcnt(2)
	v_pk_mul_f32 v[6:7], v[8:9], v[6:7] op_sel_hi:[1,0]
	v_pk_fma_f32 v[18:19], v[8:9], v[84:85], v[6:7] op_sel:[0,0,1] op_sel_hi:[1,1,0] neg_lo:[0,0,1] neg_hi:[0,0,1]
	v_pk_fma_f32 v[6:7], v[8:9], v[84:85], v[6:7] op_sel:[0,0,1] op_sel_hi:[1,0,0]
	s_waitcnt vmcnt(1)
	v_mov_b32_e32 v6, v99
	v_mov_b32_e32 v19, v7
	v_pk_mul_f32 v[6:7], v[10:11], v[6:7] op_sel_hi:[1,0]
	s_waitcnt vmcnt(0)
	v_pk_fma_f32 v[8:9], v[10:11], v[98:99], v[6:7] op_sel:[0,0,1] op_sel_hi:[1,1,0] neg_lo:[0,0,1] neg_hi:[0,0,1]
	v_pk_fma_f32 v[6:7], v[10:11], v[98:99], v[6:7] op_sel:[0,0,1] op_sel_hi:[1,0,0]
	v_pk_add_f32 v[4:5], v[4:5], v[20:21]
	v_mov_b32_e32 v6, v97
	v_pk_add_f32 v[4:5], v[4:5], v[18:19]
	v_mov_b32_e32 v9, v7
	s_waitcnt lgkmcnt(1)
	v_pk_mul_f32 v[6:7], v[12:13], v[6:7] op_sel_hi:[1,0]
	v_pk_add_f32 v[4:5], v[4:5], v[8:9]
	v_pk_fma_f32 v[8:9], v[12:13], v[96:97], v[6:7] op_sel:[0,0,1] op_sel_hi:[1,1,0] neg_lo:[0,0,1] neg_hi:[0,0,1]
	v_pk_fma_f32 v[6:7], v[12:13], v[96:97], v[6:7] op_sel:[0,0,1] op_sel_hi:[1,0,0]
	v_mov_b32_e32 v6, v95
	v_mov_b32_e32 v9, v7
	v_pk_mul_f32 v[6:7], v[14:15], v[6:7] op_sel_hi:[1,0]
	v_pk_add_f32 v[4:5], v[4:5], v[8:9]
	v_pk_fma_f32 v[8:9], v[14:15], v[94:95], v[6:7] op_sel:[0,0,1] op_sel_hi:[1,1,0] neg_lo:[0,0,1] neg_hi:[0,0,1]
	v_pk_fma_f32 v[6:7], v[14:15], v[94:95], v[6:7] op_sel:[0,0,1] op_sel_hi:[1,0,0]
	v_mov_b32_e32 v6, v93
	v_mov_b32_e32 v9, v7
	s_waitcnt lgkmcnt(0)
	v_pk_mul_f32 v[6:7], v[16:17], v[6:7] op_sel_hi:[1,0]
	v_pk_add_f32 v[4:5], v[4:5], v[8:9]
	v_pk_fma_f32 v[8:9], v[16:17], v[92:93], v[6:7] op_sel:[0,0,1] op_sel_hi:[1,1,0] neg_lo:[0,0,1] neg_hi:[0,0,1]
	v_pk_fma_f32 v[6:7], v[16:17], v[92:93], v[6:7] op_sel:[0,0,1] op_sel_hi:[1,0,0]
	v_mov_b32_e32 v9, v7
	v_pk_add_f32 v[4:5], v[4:5], v[8:9]
	v_pk_add_f32 v[2:3], v[2:3], v[4:5] neg_lo:[0,1] neg_hi:[0,1]
	buffer_store_dword v3, off, s[0:3], 0 offset:92
	buffer_store_dword v2, off, s[0:3], 0 offset:88
	s_and_saveexec_b64 s[4:5], vcc
	s_cbranch_execz .LBB54_323
; %bb.322:
	buffer_load_dword v2, off, s[0:3], 0 offset:80
	buffer_load_dword v3, off, s[0:3], 0 offset:84
	s_waitcnt vmcnt(0)
	ds_write_b64 v153, v[2:3]
	buffer_store_dword v28, off, s[0:3], 0 offset:80
	buffer_store_dword v28, off, s[0:3], 0 offset:84
.LBB54_323:
	s_or_b64 exec, exec, s[4:5]
	s_waitcnt lgkmcnt(0)
	; wave barrier
	s_waitcnt lgkmcnt(0)
	buffer_load_dword v1, off, s[0:3], 0 offset:92
	buffer_load_dword v29, off, s[0:3], 0 offset:100
	;; [unrolled: 1-line block ×26, first 2 shown]
	ds_read2_b64 v[22:25], v28 offset0:67 offset1:68
	ds_read2_b64 v[18:21], v28 offset0:69 offset1:70
	;; [unrolled: 1-line block ×6, first 2 shown]
	buffer_load_dword v119, off, s[0:3], 0 offset:184
	buffer_load_dword v120, off, s[0:3], 0 offset:188
	;; [unrolled: 1-line block ×42, first 2 shown]
	v_cmp_lt_u32_e32 vcc, 9, v0
	s_waitcnt vmcnt(62) lgkmcnt(5)
	v_mul_f32_e32 v30, v22, v1
	v_mul_f32_e32 v31, v24, v29
	s_waitcnt lgkmcnt(4)
	v_mul_f32_e32 v33, v20, v78
	s_waitcnt lgkmcnt(3)
	v_mul_f32_e32 v34, v14, v80
	v_mul_f32_e32 v35, v16, v88
	;; [unrolled: 1-line block ×3, first 2 shown]
	s_waitcnt vmcnt(61) lgkmcnt(2)
	v_mul_f32_e32 v36, v10, v101
	s_waitcnt vmcnt(60)
	v_mul_f32_e32 v37, v12, v102
	s_waitcnt vmcnt(59) lgkmcnt(1)
	v_mul_f32_e32 v38, v6, v103
	s_waitcnt vmcnt(58)
	v_fmac_f32_e32 v32, v19, v104
	s_waitcnt vmcnt(57)
	v_fmac_f32_e32 v31, v25, v105
	;; [unrolled: 2-line block ×3, first 2 shown]
	v_add_f32_e32 v30, 0, v30
	v_add_f32_e32 v30, v30, v31
	;; [unrolled: 1-line block ×3, first 2 shown]
	s_waitcnt vmcnt(52)
	v_fmac_f32_e32 v33, v21, v110
	v_fmac_f32_e32 v34, v15, v109
	v_add_f32_e32 v30, v30, v33
	v_fmac_f32_e32 v35, v17, v108
	v_add_f32_e32 v30, v30, v34
	v_fmac_f32_e32 v36, v11, v107
	v_add_f32_e32 v30, v30, v35
	s_waitcnt vmcnt(48)
	v_fmac_f32_e32 v37, v13, v114
	v_add_f32_e32 v30, v30, v36
	v_fmac_f32_e32 v38, v7, v113
	v_add_f32_e32 v30, v30, v37
	s_waitcnt vmcnt(47)
	v_mul_f32_e32 v31, v8, v115
	v_add_f32_e32 v30, v30, v38
	v_fmac_f32_e32 v31, v9, v112
	v_add_f32_e32 v30, v30, v31
	s_waitcnt vmcnt(46) lgkmcnt(0)
	v_mul_f32_e32 v31, v2, v116
	v_fmac_f32_e32 v31, v3, v111
	v_add_f32_e32 v34, v30, v31
	ds_read2_b64 v[30:33], v28 offset0:79 offset1:80
	s_waitcnt vmcnt(42)
	v_mul_f32_e32 v35, v4, v118
	v_fmac_f32_e32 v35, v5, v117
	buffer_load_dword v223, off, s[0:3], 0 offset:352
	buffer_load_dword v224, off, s[0:3], 0 offset:356
	v_add_f32_e32 v38, v34, v35
	buffer_load_dword v225, off, s[0:3], 0 offset:360
	buffer_load_dword v226, off, s[0:3], 0 offset:364
	ds_read2_b64 v[34:37], v28 offset0:81 offset1:82
	s_waitcnt vmcnt(44) lgkmcnt(1)
	v_mul_f32_e32 v39, v30, v120
	v_fmac_f32_e32 v39, v31, v119
	v_add_f32_e32 v38, v38, v39
	s_waitcnt vmcnt(42)
	v_mul_f32_e32 v39, v32, v122
	v_fmac_f32_e32 v39, v33, v121
	v_add_f32_e32 v38, v38, v39
	s_waitcnt vmcnt(40) lgkmcnt(0)
	v_mul_f32_e32 v39, v34, v124
	v_fmac_f32_e32 v39, v35, v123
	buffer_load_dword v227, off, s[0:3], 0 offset:368
	buffer_load_dword v228, off, s[0:3], 0 offset:372
	v_add_f32_e32 v42, v38, v39
	ds_read2_b64 v[38:41], v28 offset0:83 offset1:84
	s_waitcnt vmcnt(40)
	v_mul_f32_e32 v43, v36, v126
	v_fmac_f32_e32 v43, v37, v125
	v_add_f32_e32 v46, v42, v43
	ds_read2_b64 v[42:45], v28 offset0:85 offset1:86
	s_waitcnt vmcnt(38) lgkmcnt(1)
	v_mul_f32_e32 v47, v38, v128
	v_fmac_f32_e32 v47, v39, v127
	v_add_f32_e32 v46, v46, v47
	s_waitcnt vmcnt(36)
	v_mul_f32_e32 v47, v40, v130
	v_fmac_f32_e32 v47, v41, v129
	v_add_f32_e32 v46, v46, v47
	s_waitcnt vmcnt(34) lgkmcnt(0)
	v_mul_f32_e32 v47, v42, v132
	v_fmac_f32_e32 v47, v43, v131
	v_add_f32_e32 v50, v46, v47
	ds_read2_b64 v[46:49], v28 offset0:87 offset1:88
	s_waitcnt vmcnt(32)
	v_mul_f32_e32 v51, v44, v134
	v_fmac_f32_e32 v51, v45, v133
	v_add_f32_e32 v54, v50, v51
	ds_read2_b64 v[50:53], v28 offset0:89 offset1:90
	s_waitcnt vmcnt(30) lgkmcnt(1)
	v_mul_f32_e32 v55, v46, v136
	v_fmac_f32_e32 v55, v47, v135
	v_add_f32_e32 v54, v54, v55
	s_waitcnt vmcnt(28)
	v_mul_f32_e32 v55, v48, v138
	v_fmac_f32_e32 v55, v49, v137
	v_add_f32_e32 v54, v54, v55
	s_waitcnt vmcnt(26) lgkmcnt(0)
	v_mul_f32_e32 v55, v50, v140
	v_fmac_f32_e32 v55, v51, v139
	;; [unrolled: 18-line block ×4, first 2 shown]
	s_waitcnt vmcnt(8)
	v_mul_f32_e32 v75, v68, v220
	v_add_f32_e32 v74, v70, v71
	v_fmac_f32_e32 v75, v69, v219
	ds_read2_b64 v[70:73], v28 offset0:99 offset1:100
	v_add_f32_e32 v79, v74, v75
	ds_read2_b64 v[74:77], v28 offset0:101 offset1:102
	buffer_load_dword v83, off, s[0:3], 0 offset:396
	buffer_load_dword v82, off, s[0:3], 0 offset:392
	;; [unrolled: 1-line block ×16, first 2 shown]
	v_mul_f32_e32 v1, v23, v1
	v_fma_f32 v1, v22, v106, -v1
	v_mul_f32_e32 v22, v25, v29
	v_add_f32_e32 v1, 0, v1
	v_fma_f32 v22, v24, v105, -v22
	v_mul_f32_e32 v19, v19, v100
	v_add_f32_e32 v1, v1, v22
	v_fma_f32 v18, v18, v104, -v19
	v_add_f32_e32 v1, v1, v18
	v_mul_f32_e32 v18, v21, v78
	v_fma_f32 v18, v20, v110, -v18
	v_mul_f32_e32 v15, v15, v80
	v_add_f32_e32 v1, v1, v18
	v_fma_f32 v14, v14, v109, -v15
	v_add_f32_e32 v1, v1, v14
	v_mul_f32_e32 v14, v17, v88
	;; [unrolled: 6-line block ×5, first 2 shown]
	v_fma_f32 v2, v4, v117, -v2
	v_add_f32_e32 v1, v1, v2
	v_mul_f32_e32 v2, v31, v120
	v_fma_f32 v2, v30, v119, -v2
	v_add_f32_e32 v1, v1, v2
	v_mul_f32_e32 v2, v33, v122
	v_fma_f32 v2, v32, v121, -v2
	v_add_f32_e32 v1, v1, v2
	v_mul_f32_e32 v2, v35, v124
	v_fma_f32 v2, v34, v123, -v2
	v_add_f32_e32 v1, v1, v2
	v_mul_f32_e32 v2, v37, v126
	v_fma_f32 v2, v36, v125, -v2
	v_add_f32_e32 v1, v1, v2
	v_mul_f32_e32 v2, v39, v128
	v_fma_f32 v2, v38, v127, -v2
	v_add_f32_e32 v1, v1, v2
	v_mul_f32_e32 v2, v41, v130
	v_fma_f32 v2, v40, v129, -v2
	v_add_f32_e32 v1, v1, v2
	v_mul_f32_e32 v2, v43, v132
	v_fma_f32 v2, v42, v131, -v2
	v_add_f32_e32 v1, v1, v2
	v_mul_f32_e32 v2, v45, v134
	v_fma_f32 v2, v44, v133, -v2
	v_add_f32_e32 v1, v1, v2
	v_mul_f32_e32 v2, v47, v136
	v_fma_f32 v2, v46, v135, -v2
	v_add_f32_e32 v1, v1, v2
	v_mul_f32_e32 v2, v49, v138
	v_fma_f32 v2, v48, v137, -v2
	v_add_f32_e32 v1, v1, v2
	v_mul_f32_e32 v2, v51, v140
	v_fma_f32 v2, v50, v139, -v2
	v_add_f32_e32 v1, v1, v2
	v_mul_f32_e32 v2, v53, v204
	v_fma_f32 v2, v52, v141, -v2
	v_add_f32_e32 v1, v1, v2
	v_mul_f32_e32 v2, v55, v206
	v_fma_f32 v2, v54, v205, -v2
	v_add_f32_e32 v1, v1, v2
	v_mul_f32_e32 v2, v57, v208
	v_fma_f32 v2, v56, v207, -v2
	v_add_f32_e32 v1, v1, v2
	v_mul_f32_e32 v2, v59, v210
	v_fma_f32 v2, v58, v209, -v2
	v_add_f32_e32 v1, v1, v2
	v_mul_f32_e32 v2, v61, v212
	v_fma_f32 v2, v60, v211, -v2
	v_add_f32_e32 v1, v1, v2
	v_mul_f32_e32 v2, v63, v214
	v_fma_f32 v2, v62, v213, -v2
	v_add_f32_e32 v1, v1, v2
	v_mul_f32_e32 v2, v65, v216
	v_fma_f32 v2, v64, v215, -v2
	v_add_f32_e32 v1, v1, v2
	v_mul_f32_e32 v2, v67, v218
	v_fma_f32 v2, v66, v217, -v2
	v_add_f32_e32 v1, v1, v2
	v_mul_f32_e32 v2, v69, v220
	v_fma_f32 v2, v68, v219, -v2
	v_add_f32_e32 v1, v1, v2
	s_waitcnt vmcnt(22) lgkmcnt(1)
	v_mul_f32_e32 v2, v71, v222
	v_mul_f32_e32 v81, v70, v222
	v_fma_f32 v2, v70, v221, -v2
	v_fmac_f32_e32 v81, v71, v221
	v_add_f32_e32 v1, v1, v2
	s_waitcnt vmcnt(20)
	v_mul_f32_e32 v2, v73, v224
	v_add_f32_e32 v79, v79, v81
	v_mul_f32_e32 v81, v72, v224
	v_fma_f32 v2, v72, v223, -v2
	v_fmac_f32_e32 v81, v73, v223
	v_add_f32_e32 v78, v1, v2
	ds_read2_b64 v[2:5], v28 offset0:103 offset1:104
	ds_read2_b64 v[6:9], v28 offset0:105 offset1:106
	;; [unrolled: 1-line block ×4, first 2 shown]
	v_add_f32_e32 v79, v79, v81
	s_waitcnt vmcnt(18) lgkmcnt(4)
	v_mul_f32_e32 v81, v74, v226
	v_mul_f32_e32 v1, v75, v226
	s_waitcnt vmcnt(11)
	v_mov_b32_e32 v20, v87
	v_fmac_f32_e32 v81, v75, v225
	v_mul_f32_e32 v89, v76, v228
	v_fma_f32 v80, v74, v225, -v1
	v_mul_f32_e32 v1, v77, v228
	s_waitcnt lgkmcnt(3)
	v_pk_mul_f32 v[20:21], v[2:3], v[20:21] op_sel_hi:[1,0]
	v_fmac_f32_e32 v89, v77, v227
	v_fma_f32 v88, v76, v227, -v1
	v_pk_add_f32 v[18:19], v[78:79], v[80:81]
	s_waitcnt vmcnt(10)
	v_pk_fma_f32 v[22:23], v[2:3], v[86:87], v[20:21] op_sel:[0,0,1] op_sel_hi:[1,1,0] neg_lo:[0,0,1] neg_hi:[0,0,1]
	v_pk_fma_f32 v[2:3], v[2:3], v[86:87], v[20:21] op_sel:[0,0,1] op_sel_hi:[1,0,0]
	v_pk_add_f32 v[18:19], v[18:19], v[88:89]
	v_mov_b32_e32 v23, v3
	v_pk_add_f32 v[2:3], v[18:19], v[22:23]
	v_mov_b32_e32 v18, v85
	v_pk_mul_f32 v[18:19], v[4:5], v[18:19] op_sel_hi:[1,0]
	v_pk_fma_f32 v[20:21], v[4:5], v[84:85], v[18:19] op_sel:[0,0,1] op_sel_hi:[1,1,0] neg_lo:[0,0,1] neg_hi:[0,0,1]
	v_pk_fma_f32 v[4:5], v[4:5], v[84:85], v[18:19] op_sel:[0,0,1] op_sel_hi:[1,0,0]
	v_mov_b32_e32 v4, v83
	v_mov_b32_e32 v21, v5
	s_waitcnt lgkmcnt(2)
	v_pk_mul_f32 v[4:5], v[6:7], v[4:5] op_sel_hi:[1,0]
	v_pk_fma_f32 v[18:19], v[6:7], v[82:83], v[4:5] op_sel:[0,0,1] op_sel_hi:[1,1,0] neg_lo:[0,0,1] neg_hi:[0,0,1]
	v_pk_fma_f32 v[4:5], v[6:7], v[82:83], v[4:5] op_sel:[0,0,1] op_sel_hi:[1,0,0]
	s_waitcnt vmcnt(3)
	v_mov_b32_e32 v4, v97
	v_mov_b32_e32 v19, v5
	v_pk_mul_f32 v[4:5], v[8:9], v[4:5] op_sel_hi:[1,0]
	s_waitcnt vmcnt(2)
	v_pk_fma_f32 v[6:7], v[8:9], v[96:97], v[4:5] op_sel:[0,0,1] op_sel_hi:[1,1,0] neg_lo:[0,0,1] neg_hi:[0,0,1]
	v_pk_fma_f32 v[4:5], v[8:9], v[96:97], v[4:5] op_sel:[0,0,1] op_sel_hi:[1,0,0]
	v_pk_add_f32 v[2:3], v[2:3], v[20:21]
	v_mov_b32_e32 v4, v95
	v_pk_add_f32 v[2:3], v[2:3], v[18:19]
	v_mov_b32_e32 v7, v5
	s_waitcnt lgkmcnt(1)
	v_pk_mul_f32 v[4:5], v[10:11], v[4:5] op_sel_hi:[1,0]
	v_pk_add_f32 v[2:3], v[2:3], v[6:7]
	v_pk_fma_f32 v[6:7], v[10:11], v[94:95], v[4:5] op_sel:[0,0,1] op_sel_hi:[1,1,0] neg_lo:[0,0,1] neg_hi:[0,0,1]
	v_pk_fma_f32 v[4:5], v[10:11], v[94:95], v[4:5] op_sel:[0,0,1] op_sel_hi:[1,0,0]
	v_mov_b32_e32 v4, v93
	v_mov_b32_e32 v7, v5
	v_pk_mul_f32 v[4:5], v[12:13], v[4:5] op_sel_hi:[1,0]
	v_pk_add_f32 v[2:3], v[2:3], v[6:7]
	v_pk_fma_f32 v[6:7], v[12:13], v[92:93], v[4:5] op_sel:[0,0,1] op_sel_hi:[1,1,0] neg_lo:[0,0,1] neg_hi:[0,0,1]
	v_pk_fma_f32 v[4:5], v[12:13], v[92:93], v[4:5] op_sel:[0,0,1] op_sel_hi:[1,0,0]
	v_mov_b32_e32 v4, v91
	v_mov_b32_e32 v7, v5
	s_waitcnt lgkmcnt(0)
	v_pk_mul_f32 v[4:5], v[14:15], v[4:5] op_sel_hi:[1,0]
	v_pk_add_f32 v[2:3], v[2:3], v[6:7]
	v_pk_fma_f32 v[6:7], v[14:15], v[90:91], v[4:5] op_sel:[0,0,1] op_sel_hi:[1,1,0] neg_lo:[0,0,1] neg_hi:[0,0,1]
	v_pk_fma_f32 v[4:5], v[14:15], v[90:91], v[4:5] op_sel:[0,0,1] op_sel_hi:[1,0,0]
	s_waitcnt vmcnt(1)
	v_mov_b32_e32 v4, v99
	v_mov_b32_e32 v7, v5
	v_pk_mul_f32 v[4:5], v[16:17], v[4:5] op_sel_hi:[1,0]
	v_pk_add_f32 v[2:3], v[2:3], v[6:7]
	s_waitcnt vmcnt(0)
	v_pk_fma_f32 v[6:7], v[16:17], v[98:99], v[4:5] op_sel:[0,0,1] op_sel_hi:[1,1,0] neg_lo:[0,0,1] neg_hi:[0,0,1]
	v_pk_fma_f32 v[4:5], v[16:17], v[98:99], v[4:5] op_sel:[0,0,1] op_sel_hi:[1,0,0]
	v_mov_b32_e32 v7, v5
	v_pk_add_f32 v[2:3], v[2:3], v[6:7]
	v_pk_add_f32 v[2:3], v[26:27], v[2:3] neg_lo:[0,1] neg_hi:[0,1]
	buffer_store_dword v3, off, s[0:3], 0 offset:84
	buffer_store_dword v2, off, s[0:3], 0 offset:80
	s_and_saveexec_b64 s[4:5], vcc
	s_cbranch_execz .LBB54_325
; %bb.324:
	buffer_load_dword v2, off, s[0:3], 0 offset:72
	buffer_load_dword v3, off, s[0:3], 0 offset:76
	v_mov_b32_e32 v1, 0
	buffer_store_dword v1, off, s[0:3], 0 offset:72
	buffer_store_dword v1, off, s[0:3], 0 offset:76
	s_waitcnt vmcnt(2)
	ds_write_b64 v153, v[2:3]
.LBB54_325:
	s_or_b64 exec, exec, s[4:5]
	v_mov_b32_e32 v212, 0
	s_waitcnt lgkmcnt(0)
	; wave barrier
	s_waitcnt lgkmcnt(0)
	ds_read_b128 v[14:17], v212 offset:528
	ds_read_b128 v[10:13], v212 offset:544
	;; [unrolled: 1-line block ×4, first 2 shown]
	buffer_load_dword v78, off, s[0:3], 0 offset:72
	buffer_load_dword v79, off, s[0:3], 0 offset:76
	buffer_load_dword v80, off, s[0:3], 0 offset:80
	buffer_load_dword v213, off, s[0:3], 0 offset:84
	buffer_load_dword v82, off, s[0:3], 0 offset:88
	buffer_load_dword v215, off, s[0:3], 0 offset:92
	buffer_load_dword v86, off, s[0:3], 0 offset:96
	buffer_load_dword v217, off, s[0:3], 0 offset:100
	buffer_load_dword v214, off, s[0:3], 0 offset:104
	buffer_load_dword v219, off, s[0:3], 0 offset:108
	buffer_load_dword v216, off, s[0:3], 0 offset:112
	buffer_load_dword v221, off, s[0:3], 0 offset:116
	buffer_load_dword v218, off, s[0:3], 0 offset:120
	buffer_load_dword v222, off, s[0:3], 0 offset:124
	buffer_load_dword v220, off, s[0:3], 0 offset:128
	buffer_load_dword v223, off, s[0:3], 0 offset:132
	v_cmp_lt_u32_e32 vcc, 8, v0
	s_waitcnt vmcnt(12) lgkmcnt(3)
	v_mul_f32_e32 v1, v14, v213
	v_fmac_f32_e32 v1, v15, v80
	s_waitcnt vmcnt(10)
	v_mul_f32_e32 v18, v16, v215
	v_add_f32_e32 v1, 0, v1
	v_fmac_f32_e32 v18, v17, v82
	v_add_f32_e32 v1, v1, v18
	s_waitcnt vmcnt(8) lgkmcnt(2)
	v_mul_f32_e32 v18, v10, v217
	v_fmac_f32_e32 v18, v11, v86
	v_add_f32_e32 v1, v1, v18
	s_waitcnt vmcnt(6)
	v_mul_f32_e32 v18, v12, v219
	v_fmac_f32_e32 v18, v13, v214
	v_add_f32_e32 v1, v1, v18
	s_waitcnt vmcnt(4) lgkmcnt(1)
	v_mul_f32_e32 v18, v6, v221
	v_fmac_f32_e32 v18, v7, v216
	v_add_f32_e32 v1, v1, v18
	s_waitcnt vmcnt(2)
	v_mul_f32_e32 v18, v8, v222
	v_fmac_f32_e32 v18, v9, v218
	v_add_f32_e32 v1, v1, v18
	s_waitcnt vmcnt(0) lgkmcnt(0)
	v_mul_f32_e32 v18, v2, v223
	v_fmac_f32_e32 v18, v3, v220
	v_add_f32_e32 v18, v1, v18
	buffer_load_dword v1, off, s[0:3], 0 offset:136
	buffer_load_dword v94, off, s[0:3], 0 offset:140
	v_mul_f32_e32 v15, v15, v213
	v_fma_f32 v14, v14, v80, -v15
	v_mul_f32_e32 v15, v17, v215
	v_add_f32_e32 v14, 0, v14
	v_fma_f32 v15, v16, v82, -v15
	v_mul_f32_e32 v11, v11, v217
	v_add_f32_e32 v14, v14, v15
	;; [unrolled: 3-line block ×6, first 2 shown]
	v_fma_f32 v2, v2, v220, -v3
	v_add_f32_e32 v2, v6, v2
	s_waitcnt vmcnt(0)
	v_mul_f32_e32 v19, v4, v94
	v_fmac_f32_e32 v19, v5, v1
	v_add_f32_e32 v22, v18, v19
	ds_read_b128 v[18:21], v212 offset:592
	buffer_load_dword v95, off, s[0:3], 0 offset:144
	buffer_load_dword v96, off, s[0:3], 0 offset:148
	;; [unrolled: 1-line block ×4, first 2 shown]
	v_mul_f32_e32 v3, v5, v94
	v_fma_f32 v1, v4, v1, -v3
	v_add_f32_e32 v1, v2, v1
	s_waitcnt vmcnt(2) lgkmcnt(0)
	v_mul_f32_e32 v23, v18, v96
	v_fmac_f32_e32 v23, v19, v95
	v_add_f32_e32 v22, v22, v23
	s_waitcnt vmcnt(0)
	v_mul_f32_e32 v23, v20, v98
	v_fmac_f32_e32 v23, v21, v97
	v_add_f32_e32 v26, v22, v23
	ds_read_b128 v[22:25], v212 offset:608
	buffer_load_dword v99, off, s[0:3], 0 offset:160
	buffer_load_dword v100, off, s[0:3], 0 offset:164
	buffer_load_dword v101, off, s[0:3], 0 offset:168
	buffer_load_dword v102, off, s[0:3], 0 offset:172
	ds_read_b128 v[30:33], v212 offset:624
	buffer_load_dword v103, off, s[0:3], 0 offset:176
	buffer_load_dword v104, off, s[0:3], 0 offset:180
	buffer_load_dword v105, off, s[0:3], 0 offset:184
	buffer_load_dword v106, off, s[0:3], 0 offset:188
	;; [unrolled: 5-line block ×13, first 2 shown]
	v_mul_f32_e32 v2, v19, v96
	v_fma_f32 v2, v18, v95, -v2
	v_add_f32_e32 v1, v1, v2
	v_mul_f32_e32 v2, v21, v98
	v_fma_f32 v2, v20, v97, -v2
	v_add_f32_e32 v1, v1, v2
	s_waitcnt vmcnt(50) lgkmcnt(12)
	v_mul_f32_e32 v27, v22, v100
	v_fmac_f32_e32 v27, v23, v99
	v_add_f32_e32 v26, v26, v27
	s_waitcnt vmcnt(48)
	v_mul_f32_e32 v27, v24, v102
	v_fmac_f32_e32 v27, v25, v101
	v_add_f32_e32 v26, v26, v27
	s_waitcnt vmcnt(46) lgkmcnt(11)
	v_mul_f32_e32 v27, v30, v104
	v_fmac_f32_e32 v27, v31, v103
	v_add_f32_e32 v26, v26, v27
	s_waitcnt vmcnt(44)
	v_mul_f32_e32 v27, v32, v106
	v_fmac_f32_e32 v27, v33, v105
	;; [unrolled: 8-line block ×12, first 2 shown]
	v_add_f32_e32 v26, v26, v27
	s_waitcnt vmcnt(2) lgkmcnt(0)
	v_mul_f32_e32 v27, v74, v230
	v_fmac_f32_e32 v27, v75, v229
	v_add_f32_e32 v81, v26, v27
	ds_read_b128 v[26:29], v212 offset:816
	buffer_load_dword v233, off, s[0:3], 0 offset:368
	buffer_load_dword v234, off, s[0:3], 0 offset:372
	;; [unrolled: 1-line block ×18, first 2 shown]
	v_mul_f32_e32 v2, v23, v100
	v_fma_f32 v2, v22, v99, -v2
	v_add_f32_e32 v1, v1, v2
	v_mul_f32_e32 v2, v25, v102
	v_fma_f32 v2, v24, v101, -v2
	v_add_f32_e32 v1, v1, v2
	;; [unrolled: 3-line block ×24, first 2 shown]
	v_mul_f32_e32 v2, v75, v230
	v_fma_f32 v2, v74, v229, -v2
	s_waitcnt vmcnt(15)
	v_mov_b32_e32 v18, v85
	v_mul_f32_e32 v83, v76, v232
	v_add_f32_e32 v80, v1, v2
	v_mul_f32_e32 v1, v77, v232
	s_waitcnt lgkmcnt(0)
	v_pk_mul_f32 v[18:19], v[28:29], v[18:19] op_sel_hi:[1,0]
	v_fmac_f32_e32 v83, v77, v231
	v_mul_f32_e32 v87, v26, v234
	v_fma_f32 v82, v76, v231, -v1
	v_mul_f32_e32 v1, v27, v234
	ds_read_b128 v[2:5], v212 offset:832
	ds_read_b128 v[6:9], v212 offset:848
	;; [unrolled: 1-line block ×3, first 2 shown]
	ds_read_b64 v[14:15], v212 offset:880
	s_waitcnt vmcnt(14)
	v_pk_fma_f32 v[20:21], v[28:29], v[84:85], v[18:19] op_sel:[0,0,1] op_sel_hi:[1,1,0] neg_lo:[0,0,1] neg_hi:[0,0,1]
	v_pk_fma_f32 v[18:19], v[28:29], v[84:85], v[18:19] op_sel:[0,0,1] op_sel_hi:[1,0,0]
	v_fmac_f32_e32 v87, v27, v233
	v_fma_f32 v86, v26, v233, -v1
	v_pk_add_f32 v[16:17], v[80:81], v[82:83]
	s_waitcnt vmcnt(13)
	v_mov_b32_e32 v18, v211
	v_pk_add_f32 v[16:17], v[16:17], v[86:87]
	v_mov_b32_e32 v21, v19
	s_waitcnt lgkmcnt(3)
	v_pk_mul_f32 v[18:19], v[2:3], v[18:19] op_sel_hi:[1,0]
	v_pk_add_f32 v[16:17], v[16:17], v[20:21]
	s_waitcnt vmcnt(12)
	v_pk_fma_f32 v[20:21], v[2:3], v[210:211], v[18:19] op_sel:[0,0,1] op_sel_hi:[1,1,0] neg_lo:[0,0,1] neg_hi:[0,0,1]
	v_pk_fma_f32 v[2:3], v[2:3], v[210:211], v[18:19] op_sel:[0,0,1] op_sel_hi:[1,0,0]
	v_mov_b32_e32 v21, v3
	v_pk_add_f32 v[2:3], v[16:17], v[20:21]
	s_waitcnt vmcnt(11)
	v_mov_b32_e32 v16, v209
	v_pk_mul_f32 v[16:17], v[4:5], v[16:17] op_sel_hi:[1,0]
	s_waitcnt vmcnt(10)
	v_pk_fma_f32 v[18:19], v[4:5], v[208:209], v[16:17] op_sel:[0,0,1] op_sel_hi:[1,1,0] neg_lo:[0,0,1] neg_hi:[0,0,1]
	v_pk_fma_f32 v[4:5], v[4:5], v[208:209], v[16:17] op_sel:[0,0,1] op_sel_hi:[1,0,0]
	s_waitcnt vmcnt(9)
	v_mov_b32_e32 v4, v207
	v_mov_b32_e32 v19, v5
	s_waitcnt lgkmcnt(2)
	v_pk_mul_f32 v[4:5], v[6:7], v[4:5] op_sel_hi:[1,0]
	s_waitcnt vmcnt(8)
	v_pk_fma_f32 v[16:17], v[6:7], v[206:207], v[4:5] op_sel:[0,0,1] op_sel_hi:[1,1,0] neg_lo:[0,0,1] neg_hi:[0,0,1]
	v_pk_fma_f32 v[4:5], v[6:7], v[206:207], v[4:5] op_sel:[0,0,1] op_sel_hi:[1,0,0]
	s_waitcnt vmcnt(7)
	v_mov_b32_e32 v4, v205
	v_mov_b32_e32 v17, v5
	v_pk_mul_f32 v[4:5], v[8:9], v[4:5] op_sel_hi:[1,0]
	s_waitcnt vmcnt(6)
	v_pk_fma_f32 v[6:7], v[8:9], v[204:205], v[4:5] op_sel:[0,0,1] op_sel_hi:[1,1,0] neg_lo:[0,0,1] neg_hi:[0,0,1]
	v_pk_fma_f32 v[4:5], v[8:9], v[204:205], v[4:5] op_sel:[0,0,1] op_sel_hi:[1,0,0]
	v_pk_add_f32 v[2:3], v[2:3], v[18:19]
	s_waitcnt vmcnt(5)
	v_mov_b32_e32 v4, v93
	v_pk_add_f32 v[2:3], v[2:3], v[16:17]
	v_mov_b32_e32 v7, v5
	s_waitcnt lgkmcnt(1)
	v_pk_mul_f32 v[4:5], v[10:11], v[4:5] op_sel_hi:[1,0]
	v_pk_add_f32 v[2:3], v[2:3], v[6:7]
	s_waitcnt vmcnt(4)
	v_pk_fma_f32 v[6:7], v[10:11], v[92:93], v[4:5] op_sel:[0,0,1] op_sel_hi:[1,1,0] neg_lo:[0,0,1] neg_hi:[0,0,1]
	v_pk_fma_f32 v[4:5], v[10:11], v[92:93], v[4:5] op_sel:[0,0,1] op_sel_hi:[1,0,0]
	s_waitcnt vmcnt(3)
	v_mov_b32_e32 v4, v91
	v_mov_b32_e32 v7, v5
	v_pk_mul_f32 v[4:5], v[12:13], v[4:5] op_sel_hi:[1,0]
	v_pk_add_f32 v[2:3], v[2:3], v[6:7]
	s_waitcnt vmcnt(2)
	v_pk_fma_f32 v[6:7], v[12:13], v[90:91], v[4:5] op_sel:[0,0,1] op_sel_hi:[1,1,0] neg_lo:[0,0,1] neg_hi:[0,0,1]
	v_pk_fma_f32 v[4:5], v[12:13], v[90:91], v[4:5] op_sel:[0,0,1] op_sel_hi:[1,0,0]
	s_waitcnt vmcnt(1)
	v_mov_b32_e32 v4, v89
	v_mov_b32_e32 v7, v5
	s_waitcnt lgkmcnt(0)
	v_pk_mul_f32 v[4:5], v[14:15], v[4:5] op_sel_hi:[1,0]
	v_pk_add_f32 v[2:3], v[2:3], v[6:7]
	s_waitcnt vmcnt(0)
	v_pk_fma_f32 v[6:7], v[14:15], v[88:89], v[4:5] op_sel:[0,0,1] op_sel_hi:[1,1,0] neg_lo:[0,0,1] neg_hi:[0,0,1]
	v_pk_fma_f32 v[4:5], v[14:15], v[88:89], v[4:5] op_sel:[0,0,1] op_sel_hi:[1,0,0]
	v_mov_b32_e32 v7, v5
	v_pk_add_f32 v[2:3], v[2:3], v[6:7]
	v_pk_add_f32 v[2:3], v[78:79], v[2:3] neg_lo:[0,1] neg_hi:[0,1]
	buffer_store_dword v3, off, s[0:3], 0 offset:76
	buffer_store_dword v2, off, s[0:3], 0 offset:72
	s_and_saveexec_b64 s[4:5], vcc
	s_cbranch_execz .LBB54_327
; %bb.326:
	buffer_load_dword v2, off, s[0:3], 0 offset:64
	buffer_load_dword v3, off, s[0:3], 0 offset:68
	s_waitcnt vmcnt(0)
	ds_write_b64 v153, v[2:3]
	buffer_store_dword v212, off, s[0:3], 0 offset:64
	buffer_store_dword v212, off, s[0:3], 0 offset:68
.LBB54_327:
	s_or_b64 exec, exec, s[4:5]
	s_waitcnt lgkmcnt(0)
	; wave barrier
	s_waitcnt lgkmcnt(0)
	buffer_load_dword v90, off, s[0:3], 0 offset:76
	buffer_load_dword v92, off, s[0:3], 0 offset:84
	;; [unrolled: 1-line block ×32, first 2 shown]
	ds_read2_b64 v[22:25], v212 offset0:65 offset1:66
	ds_read2_b64 v[18:21], v212 offset0:67 offset1:68
	;; [unrolled: 1-line block ×6, first 2 shown]
	buffer_load_dword v132, off, s[0:3], 0 offset:192
	buffer_load_dword v133, off, s[0:3], 0 offset:196
	buffer_load_dword v134, off, s[0:3], 0 offset:200
	buffer_load_dword v135, off, s[0:3], 0 offset:204
	buffer_load_dword v136, off, s[0:3], 0 offset:208
	buffer_load_dword v137, off, s[0:3], 0 offset:212
	buffer_load_dword v138, off, s[0:3], 0 offset:216
	buffer_load_dword v139, off, s[0:3], 0 offset:220
	buffer_load_dword v140, off, s[0:3], 0 offset:224
	buffer_load_dword v141, off, s[0:3], 0 offset:228
	buffer_load_dword v204, off, s[0:3], 0 offset:232
	buffer_load_dword v205, off, s[0:3], 0 offset:236
	buffer_load_dword v206, off, s[0:3], 0 offset:240
	buffer_load_dword v207, off, s[0:3], 0 offset:244
	buffer_load_dword v208, off, s[0:3], 0 offset:248
	buffer_load_dword v209, off, s[0:3], 0 offset:252
	buffer_load_dword v210, off, s[0:3], 0 offset:256
	buffer_load_dword v211, off, s[0:3], 0 offset:260
	buffer_load_dword v213, off, s[0:3], 0 offset:264
	buffer_load_dword v214, off, s[0:3], 0 offset:268
	buffer_load_dword v215, off, s[0:3], 0 offset:272
	buffer_load_dword v216, off, s[0:3], 0 offset:276
	buffer_load_dword v217, off, s[0:3], 0 offset:280
	buffer_load_dword v218, off, s[0:3], 0 offset:284
	buffer_load_dword v219, off, s[0:3], 0 offset:288
	buffer_load_dword v220, off, s[0:3], 0 offset:292
	buffer_load_dword v221, off, s[0:3], 0 offset:296
	buffer_load_dword v222, off, s[0:3], 0 offset:300
	buffer_load_dword v223, off, s[0:3], 0 offset:304
	buffer_load_dword v224, off, s[0:3], 0 offset:308
	buffer_load_dword v225, off, s[0:3], 0 offset:312
	buffer_load_dword v226, off, s[0:3], 0 offset:316
	v_cmp_lt_u32_e32 vcc, 7, v0
	s_waitcnt vmcnt(62) lgkmcnt(5)
	v_mul_f32_e32 v31, v22, v90
	v_mul_f32_e32 v32, v24, v92
	s_waitcnt vmcnt(61) lgkmcnt(4)
	v_mul_f32_e32 v34, v20, v30
	s_waitcnt vmcnt(60) lgkmcnt(3)
	v_mul_f32_e32 v35, v14, v29
	s_waitcnt vmcnt(59)
	v_mul_f32_e32 v36, v16, v1
	s_waitcnt vmcnt(58)
	v_mul_f32_e32 v33, v18, v108
	s_waitcnt vmcnt(57) lgkmcnt(2)
	v_mul_f32_e32 v37, v10, v28
	s_waitcnt vmcnt(56)
	v_mul_f32_e32 v38, v12, v109
	s_waitcnt vmcnt(55) lgkmcnt(1)
	v_mul_f32_e32 v39, v6, v110
	s_waitcnt vmcnt(54)
	v_mul_f32_e32 v40, v8, v111
	s_waitcnt vmcnt(53)
	v_fmac_f32_e32 v33, v19, v112
	s_waitcnt vmcnt(52)
	v_fmac_f32_e32 v32, v25, v113
	;; [unrolled: 2-line block ×3, first 2 shown]
	v_add_f32_e32 v31, 0, v31
	v_add_f32_e32 v31, v31, v32
	;; [unrolled: 1-line block ×3, first 2 shown]
	s_waitcnt vmcnt(47)
	v_fmac_f32_e32 v34, v21, v118
	v_fmac_f32_e32 v35, v15, v117
	v_add_f32_e32 v31, v31, v34
	v_fmac_f32_e32 v36, v17, v116
	v_add_f32_e32 v31, v31, v35
	;; [unrolled: 2-line block ×3, first 2 shown]
	s_waitcnt vmcnt(43)
	v_fmac_f32_e32 v38, v13, v122
	v_add_f32_e32 v31, v31, v37
	v_fmac_f32_e32 v39, v7, v121
	v_add_f32_e32 v31, v31, v38
	v_fmac_f32_e32 v40, v9, v120
	v_add_f32_e32 v31, v31, v39
	s_waitcnt vmcnt(42) lgkmcnt(0)
	v_mul_f32_e32 v32, v2, v123
	v_add_f32_e32 v31, v31, v40
	v_fmac_f32_e32 v32, v3, v119
	v_add_f32_e32 v31, v31, v32
	ds_read2_b64 v[32:35], v212 offset0:77 offset1:78
	buffer_load_dword v227, off, s[0:3], 0 offset:320
	buffer_load_dword v228, off, s[0:3], 0 offset:324
	s_waitcnt vmcnt(43)
	v_mul_f32_e32 v36, v4, v124
	s_waitcnt vmcnt(36)
	v_fmac_f32_e32 v36, v5, v131
	v_add_f32_e32 v31, v31, v36
	ds_read2_b64 v[36:39], v212 offset0:79 offset1:80
	buffer_load_dword v229, off, s[0:3], 0 offset:328
	buffer_load_dword v230, off, s[0:3], 0 offset:332
	;; [unrolled: 1-line block ×8, first 2 shown]
	s_waitcnt lgkmcnt(1)
	v_mul_f32_e32 v40, v32, v126
	v_fmac_f32_e32 v40, v33, v125
	v_add_f32_e32 v31, v31, v40
	v_mul_f32_e32 v40, v34, v128
	v_fmac_f32_e32 v40, v35, v127
	v_add_f32_e32 v31, v31, v40
	s_waitcnt lgkmcnt(0)
	v_mul_f32_e32 v40, v36, v130
	v_fmac_f32_e32 v40, v37, v129
	v_add_f32_e32 v31, v31, v40
	buffer_load_dword v237, off, s[0:3], 0 offset:360
	buffer_load_dword v238, off, s[0:3], 0 offset:364
	;; [unrolled: 1-line block ×4, first 2 shown]
	ds_read2_b64 v[40:43], v212 offset0:81 offset1:82
	s_waitcnt vmcnt(44)
	v_mul_f32_e32 v44, v38, v133
	v_fmac_f32_e32 v44, v39, v132
	v_add_f32_e32 v31, v31, v44
	ds_read2_b64 v[44:47], v212 offset0:83 offset1:84
	s_waitcnt vmcnt(42) lgkmcnt(1)
	v_mul_f32_e32 v48, v40, v135
	v_fmac_f32_e32 v48, v41, v134
	v_add_f32_e32 v31, v31, v48
	s_waitcnt vmcnt(40)
	v_mul_f32_e32 v48, v42, v137
	v_fmac_f32_e32 v48, v43, v136
	v_add_f32_e32 v31, v31, v48
	s_waitcnt vmcnt(38) lgkmcnt(0)
	v_mul_f32_e32 v48, v44, v139
	v_fmac_f32_e32 v48, v45, v138
	v_add_f32_e32 v31, v31, v48
	ds_read2_b64 v[48:51], v212 offset0:85 offset1:86
	s_waitcnt vmcnt(36)
	v_mul_f32_e32 v52, v46, v141
	v_fmac_f32_e32 v52, v47, v140
	v_add_f32_e32 v31, v31, v52
	ds_read2_b64 v[52:55], v212 offset0:87 offset1:88
	s_waitcnt vmcnt(34) lgkmcnt(1)
	v_mul_f32_e32 v56, v48, v205
	v_fmac_f32_e32 v56, v49, v204
	v_add_f32_e32 v31, v31, v56
	s_waitcnt vmcnt(32)
	v_mul_f32_e32 v56, v50, v207
	v_fmac_f32_e32 v56, v51, v206
	v_add_f32_e32 v31, v31, v56
	s_waitcnt vmcnt(30) lgkmcnt(0)
	v_mul_f32_e32 v56, v52, v209
	v_fmac_f32_e32 v56, v53, v208
	v_add_f32_e32 v31, v31, v56
	;; [unrolled: 18-line block ×4, first 2 shown]
	ds_read2_b64 v[72:75], v212 offset0:97 offset1:98
	v_mul_f32_e32 v23, v23, v90
	v_fma_f32 v22, v22, v114, -v23
	v_mul_f32_e32 v23, v25, v92
	v_add_f32_e32 v22, 0, v22
	s_waitcnt vmcnt(12)
	v_mul_f32_e32 v76, v70, v228
	v_fmac_f32_e32 v76, v71, v227
	v_add_f32_e32 v31, v31, v76
	ds_read2_b64 v[76:79], v212 offset0:99 offset1:100
	buffer_load_dword v89, off, s[0:3], 0 offset:380
	buffer_load_dword v88, off, s[0:3], 0 offset:376
	s_waitcnt vmcnt(12) lgkmcnt(1)
	v_mul_f32_e32 v80, v72, v230
	v_fmac_f32_e32 v80, v73, v229
	v_add_f32_e32 v31, v31, v80
	s_waitcnt vmcnt(10)
	v_mul_f32_e32 v80, v74, v232
	v_fmac_f32_e32 v80, v75, v231
	v_add_f32_e32 v31, v31, v80
	s_waitcnt vmcnt(8) lgkmcnt(0)
	v_mul_f32_e32 v80, v76, v234
	v_fmac_f32_e32 v80, v77, v233
	s_waitcnt vmcnt(6)
	v_mul_f32_e32 v84, v78, v236
	v_add_f32_e32 v31, v31, v80
	v_fmac_f32_e32 v84, v79, v235
	ds_read2_b64 v[80:83], v212 offset0:101 offset1:102
	v_add_f32_e32 v31, v31, v84
	ds_read2_b64 v[84:87], v212 offset0:103 offset1:104
	buffer_load_dword v95, off, s[0:3], 0 offset:412
	buffer_load_dword v94, off, s[0:3], 0 offset:408
	;; [unrolled: 1-line block ×14, first 2 shown]
	v_fma_f32 v23, v24, v113, -v23
	v_mul_f32_e32 v19, v19, v108
	v_add_f32_e32 v22, v22, v23
	v_fma_f32 v18, v18, v112, -v19
	v_mul_f32_e32 v19, v21, v30
	v_add_f32_e32 v18, v22, v18
	;; [unrolled: 3-line block ×5, first 2 shown]
	v_fma_f32 v10, v10, v115, -v11
	v_add_f32_e32 v1, v1, v10
	v_mul_f32_e32 v10, v13, v109
	v_fma_f32 v10, v12, v122, -v10
	v_mul_f32_e32 v7, v7, v110
	v_add_f32_e32 v1, v1, v10
	v_fma_f32 v6, v6, v121, -v7
	v_add_f32_e32 v1, v1, v6
	v_mul_f32_e32 v6, v9, v111
	v_fma_f32 v6, v8, v120, -v6
	v_mul_f32_e32 v3, v3, v123
	v_add_f32_e32 v1, v1, v6
	v_fma_f32 v2, v2, v119, -v3
	v_add_f32_e32 v1, v1, v2
	v_mul_f32_e32 v2, v5, v124
	v_fma_f32 v2, v4, v131, -v2
	v_add_f32_e32 v1, v1, v2
	v_mul_f32_e32 v2, v33, v126
	v_fma_f32 v2, v32, v125, -v2
	v_add_f32_e32 v1, v1, v2
	v_mul_f32_e32 v2, v35, v128
	v_fma_f32 v2, v34, v127, -v2
	v_add_f32_e32 v1, v1, v2
	v_mul_f32_e32 v2, v37, v130
	v_fma_f32 v2, v36, v129, -v2
	v_add_f32_e32 v1, v1, v2
	v_mul_f32_e32 v2, v39, v133
	v_fma_f32 v2, v38, v132, -v2
	v_add_f32_e32 v1, v1, v2
	v_mul_f32_e32 v2, v41, v135
	v_fma_f32 v2, v40, v134, -v2
	v_add_f32_e32 v1, v1, v2
	v_mul_f32_e32 v2, v43, v137
	v_fma_f32 v2, v42, v136, -v2
	v_add_f32_e32 v1, v1, v2
	v_mul_f32_e32 v2, v45, v139
	v_fma_f32 v2, v44, v138, -v2
	v_add_f32_e32 v1, v1, v2
	v_mul_f32_e32 v2, v47, v141
	v_fma_f32 v2, v46, v140, -v2
	v_add_f32_e32 v1, v1, v2
	v_mul_f32_e32 v2, v49, v205
	v_fma_f32 v2, v48, v204, -v2
	v_add_f32_e32 v1, v1, v2
	v_mul_f32_e32 v2, v51, v207
	v_fma_f32 v2, v50, v206, -v2
	v_add_f32_e32 v1, v1, v2
	v_mul_f32_e32 v2, v53, v209
	v_fma_f32 v2, v52, v208, -v2
	v_add_f32_e32 v1, v1, v2
	v_mul_f32_e32 v2, v55, v211
	v_fma_f32 v2, v54, v210, -v2
	v_add_f32_e32 v1, v1, v2
	v_mul_f32_e32 v2, v57, v214
	v_fma_f32 v2, v56, v213, -v2
	v_add_f32_e32 v1, v1, v2
	v_mul_f32_e32 v2, v59, v216
	v_fma_f32 v2, v58, v215, -v2
	v_add_f32_e32 v1, v1, v2
	v_mul_f32_e32 v2, v61, v218
	v_fma_f32 v2, v60, v217, -v2
	v_add_f32_e32 v1, v1, v2
	v_mul_f32_e32 v2, v63, v220
	v_fma_f32 v2, v62, v219, -v2
	v_add_f32_e32 v1, v1, v2
	v_mul_f32_e32 v2, v65, v222
	v_fma_f32 v2, v64, v221, -v2
	v_add_f32_e32 v1, v1, v2
	v_mul_f32_e32 v2, v67, v224
	v_fma_f32 v2, v66, v223, -v2
	v_add_f32_e32 v1, v1, v2
	v_mul_f32_e32 v2, v69, v226
	v_fma_f32 v2, v68, v225, -v2
	v_add_f32_e32 v1, v1, v2
	v_mul_f32_e32 v2, v71, v228
	v_fma_f32 v2, v70, v227, -v2
	v_add_f32_e32 v1, v1, v2
	v_mul_f32_e32 v2, v73, v230
	v_fma_f32 v2, v72, v229, -v2
	v_add_f32_e32 v1, v1, v2
	v_mul_f32_e32 v2, v75, v232
	v_fma_f32 v2, v74, v231, -v2
	v_add_f32_e32 v1, v1, v2
	v_mul_f32_e32 v2, v77, v234
	v_fma_f32 v2, v76, v233, -v2
	v_add_f32_e32 v1, v1, v2
	v_mul_f32_e32 v2, v79, v236
	v_fma_f32 v2, v78, v235, -v2
	s_waitcnt vmcnt(15)
	v_mov_b32_e32 v16, v89
	s_waitcnt lgkmcnt(1)
	v_mul_f32_e32 v91, v80, v238
	v_add_f32_e32 v30, v1, v2
	v_mul_f32_e32 v1, v81, v238
	s_waitcnt lgkmcnt(0)
	v_pk_mul_f32 v[16:17], v[84:85], v[16:17] op_sel_hi:[1,0]
	v_fmac_f32_e32 v91, v81, v237
	v_mul_f32_e32 v93, v82, v240
	v_fma_f32 v90, v80, v237, -v1
	v_mul_f32_e32 v1, v83, v240
	s_waitcnt vmcnt(14)
	v_pk_fma_f32 v[18:19], v[84:85], v[88:89], v[16:17] op_sel:[0,0,1] op_sel_hi:[1,1,0] neg_lo:[0,0,1] neg_hi:[0,0,1]
	v_pk_fma_f32 v[16:17], v[84:85], v[88:89], v[16:17] op_sel:[0,0,1] op_sel_hi:[1,0,0]
	v_fmac_f32_e32 v93, v83, v239
	v_fma_f32 v92, v82, v239, -v1
	v_pk_add_f32 v[14:15], v[30:31], v[90:91]
	s_waitcnt vmcnt(7)
	v_mov_b32_e32 v16, v101
	ds_read2_b64 v[2:5], v212 offset0:105 offset1:106
	ds_read2_b64 v[6:9], v212 offset0:107 offset1:108
	;; [unrolled: 1-line block ×3, first 2 shown]
	v_pk_add_f32 v[14:15], v[14:15], v[92:93]
	v_mov_b32_e32 v19, v17
	v_pk_mul_f32 v[16:17], v[86:87], v[16:17] op_sel_hi:[1,0]
	v_pk_add_f32 v[14:15], v[14:15], v[18:19]
	s_waitcnt vmcnt(6)
	v_pk_fma_f32 v[18:19], v[86:87], v[100:101], v[16:17] op_sel:[0,0,1] op_sel_hi:[1,1,0] neg_lo:[0,0,1] neg_hi:[0,0,1]
	v_pk_fma_f32 v[16:17], v[86:87], v[100:101], v[16:17] op_sel:[0,0,1] op_sel_hi:[1,0,0]
	v_mov_b32_e32 v16, v99
	v_mov_b32_e32 v19, v17
	s_waitcnt lgkmcnt(2)
	v_pk_mul_f32 v[16:17], v[2:3], v[16:17] op_sel_hi:[1,0]
	v_pk_add_f32 v[14:15], v[14:15], v[18:19]
	v_pk_fma_f32 v[18:19], v[2:3], v[98:99], v[16:17] op_sel:[0,0,1] op_sel_hi:[1,1,0] neg_lo:[0,0,1] neg_hi:[0,0,1]
	v_pk_fma_f32 v[2:3], v[2:3], v[98:99], v[16:17] op_sel:[0,0,1] op_sel_hi:[1,0,0]
	v_mov_b32_e32 v19, v3
	v_pk_add_f32 v[2:3], v[14:15], v[18:19]
	v_mov_b32_e32 v14, v97
	v_pk_mul_f32 v[14:15], v[4:5], v[14:15] op_sel_hi:[1,0]
	v_pk_fma_f32 v[16:17], v[4:5], v[96:97], v[14:15] op_sel:[0,0,1] op_sel_hi:[1,1,0] neg_lo:[0,0,1] neg_hi:[0,0,1]
	v_pk_fma_f32 v[4:5], v[4:5], v[96:97], v[14:15] op_sel:[0,0,1] op_sel_hi:[1,0,0]
	v_mov_b32_e32 v4, v95
	v_mov_b32_e32 v17, v5
	s_waitcnt lgkmcnt(1)
	v_pk_mul_f32 v[4:5], v[6:7], v[4:5] op_sel_hi:[1,0]
	v_pk_fma_f32 v[14:15], v[6:7], v[94:95], v[4:5] op_sel:[0,0,1] op_sel_hi:[1,1,0] neg_lo:[0,0,1] neg_hi:[0,0,1]
	v_pk_fma_f32 v[4:5], v[6:7], v[94:95], v[4:5] op_sel:[0,0,1] op_sel_hi:[1,0,0]
	s_waitcnt vmcnt(1)
	v_mov_b32_e32 v4, v107
	v_mov_b32_e32 v15, v5
	v_pk_mul_f32 v[4:5], v[8:9], v[4:5] op_sel_hi:[1,0]
	s_waitcnt vmcnt(0)
	v_pk_fma_f32 v[6:7], v[8:9], v[106:107], v[4:5] op_sel:[0,0,1] op_sel_hi:[1,1,0] neg_lo:[0,0,1] neg_hi:[0,0,1]
	v_pk_fma_f32 v[4:5], v[8:9], v[106:107], v[4:5] op_sel:[0,0,1] op_sel_hi:[1,0,0]
	v_pk_add_f32 v[2:3], v[2:3], v[16:17]
	v_mov_b32_e32 v4, v105
	v_pk_add_f32 v[2:3], v[2:3], v[14:15]
	v_mov_b32_e32 v7, v5
	s_waitcnt lgkmcnt(0)
	v_pk_mul_f32 v[4:5], v[10:11], v[4:5] op_sel_hi:[1,0]
	v_pk_add_f32 v[2:3], v[2:3], v[6:7]
	v_pk_fma_f32 v[6:7], v[10:11], v[104:105], v[4:5] op_sel:[0,0,1] op_sel_hi:[1,1,0] neg_lo:[0,0,1] neg_hi:[0,0,1]
	v_pk_fma_f32 v[4:5], v[10:11], v[104:105], v[4:5] op_sel:[0,0,1] op_sel_hi:[1,0,0]
	v_mov_b32_e32 v4, v103
	v_mov_b32_e32 v7, v5
	v_pk_mul_f32 v[4:5], v[12:13], v[4:5] op_sel_hi:[1,0]
	v_pk_add_f32 v[2:3], v[2:3], v[6:7]
	v_pk_fma_f32 v[6:7], v[12:13], v[102:103], v[4:5] op_sel:[0,0,1] op_sel_hi:[1,1,0] neg_lo:[0,0,1] neg_hi:[0,0,1]
	v_pk_fma_f32 v[4:5], v[12:13], v[102:103], v[4:5] op_sel:[0,0,1] op_sel_hi:[1,0,0]
	v_mov_b32_e32 v7, v5
	v_pk_add_f32 v[2:3], v[2:3], v[6:7]
	v_pk_add_f32 v[2:3], v[26:27], v[2:3] neg_lo:[0,1] neg_hi:[0,1]
	buffer_store_dword v3, off, s[0:3], 0 offset:68
	buffer_store_dword v2, off, s[0:3], 0 offset:64
	s_and_saveexec_b64 s[4:5], vcc
	s_cbranch_execz .LBB54_329
; %bb.328:
	buffer_load_dword v2, off, s[0:3], 0 offset:56
	buffer_load_dword v3, off, s[0:3], 0 offset:60
	v_mov_b32_e32 v1, 0
	buffer_store_dword v1, off, s[0:3], 0 offset:56
	buffer_store_dword v1, off, s[0:3], 0 offset:60
	s_waitcnt vmcnt(2)
	ds_write_b64 v153, v[2:3]
.LBB54_329:
	s_or_b64 exec, exec, s[4:5]
	s_waitcnt lgkmcnt(0)
	; wave barrier
	s_waitcnt lgkmcnt(0)
	buffer_load_dword v32, off, s[0:3], 0 offset:68
	buffer_load_dword v31, off, s[0:3], 0 offset:76
	;; [unrolled: 1-line block ×48, first 2 shown]
	v_mov_b32_e32 v36, 0
	ds_read_b128 v[22:25], v36 offset:512
	ds_read_b128 v[18:21], v36 offset:528
	;; [unrolled: 1-line block ×6, first 2 shown]
	buffer_load_dword v211, off, s[0:3], 0 offset:248
	buffer_load_dword v212, off, s[0:3], 0 offset:252
	;; [unrolled: 1-line block ×12, first 2 shown]
	v_cmp_lt_u32_e32 vcc, 6, v0
	s_waitcnt vmcnt(59) lgkmcnt(5)
	v_mul_f32_e32 v35, v22, v32
	s_waitcnt vmcnt(58)
	v_mul_f32_e32 v38, v24, v31
	s_waitcnt vmcnt(57) lgkmcnt(4)
	v_mul_f32_e32 v40, v20, v30
	s_waitcnt vmcnt(56) lgkmcnt(3)
	v_mul_f32_e32 v41, v14, v29
	s_waitcnt vmcnt(55)
	v_mul_f32_e32 v42, v16, v1
	s_waitcnt vmcnt(54)
	v_mul_f32_e32 v39, v18, v33
	s_waitcnt vmcnt(53) lgkmcnt(2)
	v_mul_f32_e32 v43, v10, v28
	s_waitcnt vmcnt(52)
	v_mul_f32_e32 v44, v12, v34
	s_waitcnt vmcnt(51) lgkmcnt(1)
	v_mul_f32_e32 v45, v6, v37
	s_waitcnt vmcnt(50)
	v_mul_f32_e32 v46, v8, v94
	s_waitcnt vmcnt(49)
	v_fmac_f32_e32 v39, v19, v96
	s_waitcnt vmcnt(48)
	v_fmac_f32_e32 v38, v25, v114
	;; [unrolled: 2-line block ×3, first 2 shown]
	v_add_f32_e32 v35, 0, v35
	v_add_f32_e32 v35, v35, v38
	;; [unrolled: 1-line block ×3, first 2 shown]
	s_waitcnt vmcnt(43)
	v_fmac_f32_e32 v40, v21, v119
	v_fmac_f32_e32 v41, v15, v118
	v_add_f32_e32 v35, v35, v40
	v_fmac_f32_e32 v42, v17, v117
	v_add_f32_e32 v35, v35, v41
	;; [unrolled: 2-line block ×3, first 2 shown]
	s_waitcnt vmcnt(39)
	v_fmac_f32_e32 v44, v13, v123
	v_add_f32_e32 v35, v35, v43
	v_fmac_f32_e32 v45, v7, v122
	v_add_f32_e32 v35, v35, v44
	;; [unrolled: 2-line block ×3, first 2 shown]
	s_waitcnt vmcnt(38) lgkmcnt(0)
	v_mul_f32_e32 v38, v2, v124
	v_add_f32_e32 v35, v35, v46
	v_fmac_f32_e32 v38, v3, v120
	v_add_f32_e32 v35, v35, v38
	ds_read_b128 v[38:41], v36 offset:608
	buffer_load_dword v223, off, s[0:3], 0 offset:296
	buffer_load_dword v224, off, s[0:3], 0 offset:300
	;; [unrolled: 1-line block ×4, first 2 shown]
	s_waitcnt vmcnt(35)
	v_mul_f32_e32 v42, v4, v131
	s_waitcnt vmcnt(34)
	v_fmac_f32_e32 v42, v5, v132
	v_add_f32_e32 v35, v35, v42
	ds_read_b128 v[42:45], v36 offset:624
	buffer_load_dword v227, off, s[0:3], 0 offset:312
	buffer_load_dword v228, off, s[0:3], 0 offset:316
	;; [unrolled: 1-line block ×10, first 2 shown]
	s_waitcnt lgkmcnt(1)
	v_mul_f32_e32 v46, v38, v126
	v_fmac_f32_e32 v46, v39, v125
	v_add_f32_e32 v35, v35, v46
	v_mul_f32_e32 v46, v40, v128
	v_fmac_f32_e32 v46, v41, v127
	v_add_f32_e32 v35, v35, v46
	s_waitcnt lgkmcnt(0)
	v_mul_f32_e32 v46, v42, v130
	v_fmac_f32_e32 v46, v43, v129
	v_add_f32_e32 v35, v35, v46
	buffer_load_dword v237, off, s[0:3], 0 offset:352
	buffer_load_dword v238, off, s[0:3], 0 offset:356
	buffer_load_dword v239, off, s[0:3], 0 offset:360
	buffer_load_dword v240, off, s[0:3], 0 offset:364
	buffer_load_dword v241, off, s[0:3], 0 offset:368
	buffer_load_dword v242, off, s[0:3], 0 offset:372
	ds_read_b128 v[46:49], v36 offset:640
	s_waitcnt vmcnt(46)
	v_mul_f32_e32 v50, v44, v134
	v_fmac_f32_e32 v50, v45, v133
	v_add_f32_e32 v35, v35, v50
	ds_read_b128 v[50:53], v36 offset:656
	s_waitcnt vmcnt(44) lgkmcnt(1)
	v_mul_f32_e32 v54, v46, v136
	v_fmac_f32_e32 v54, v47, v135
	v_add_f32_e32 v35, v35, v54
	s_waitcnt vmcnt(42)
	v_mul_f32_e32 v54, v48, v138
	v_fmac_f32_e32 v54, v49, v137
	v_add_f32_e32 v35, v35, v54
	s_waitcnt vmcnt(40) lgkmcnt(0)
	v_mul_f32_e32 v54, v50, v140
	v_fmac_f32_e32 v54, v51, v139
	v_add_f32_e32 v35, v35, v54
	ds_read_b128 v[54:57], v36 offset:672
	s_waitcnt vmcnt(38)
	v_mul_f32_e32 v58, v52, v204
	v_fmac_f32_e32 v58, v53, v141
	v_add_f32_e32 v35, v35, v58
	ds_read_b128 v[58:61], v36 offset:688
	s_waitcnt vmcnt(36) lgkmcnt(1)
	v_mul_f32_e32 v62, v54, v206
	v_fmac_f32_e32 v62, v55, v205
	v_add_f32_e32 v35, v35, v62
	s_waitcnt vmcnt(34)
	v_mul_f32_e32 v62, v56, v208
	v_fmac_f32_e32 v62, v57, v207
	v_add_f32_e32 v35, v35, v62
	s_waitcnt vmcnt(32) lgkmcnt(0)
	v_mul_f32_e32 v62, v58, v210
	v_fmac_f32_e32 v62, v59, v209
	v_add_f32_e32 v35, v35, v62
	;; [unrolled: 18-line block ×3, first 2 shown]
	ds_read_b128 v[70:73], v36 offset:736
	s_waitcnt vmcnt(22)
	v_mul_f32_e32 v74, v68, v220
	v_fmac_f32_e32 v74, v69, v219
	v_add_f32_e32 v35, v35, v74
	ds_read_b128 v[74:77], v36 offset:752
	s_waitcnt vmcnt(20) lgkmcnt(1)
	v_mul_f32_e32 v78, v70, v222
	v_fmac_f32_e32 v78, v71, v221
	v_add_f32_e32 v35, v35, v78
	v_mul_f32_e32 v23, v23, v32
	v_fma_f32 v22, v22, v115, -v23
	v_mul_f32_e32 v23, v25, v31
	v_add_f32_e32 v22, 0, v22
	v_fma_f32 v23, v24, v114, -v23
	v_mul_f32_e32 v19, v19, v33
	v_add_f32_e32 v22, v22, v23
	v_fma_f32 v18, v18, v96, -v19
	v_mul_f32_e32 v19, v21, v30
	s_waitcnt vmcnt(18)
	v_mul_f32_e32 v78, v72, v224
	v_fmac_f32_e32 v78, v73, v223
	v_add_f32_e32 v35, v35, v78
	s_waitcnt vmcnt(16) lgkmcnt(0)
	v_mul_f32_e32 v78, v74, v226
	v_fmac_f32_e32 v78, v75, v225
	v_add_f32_e32 v35, v35, v78
	ds_read_b128 v[78:81], v36 offset:768
	s_waitcnt vmcnt(14)
	v_mul_f32_e32 v82, v76, v228
	v_fmac_f32_e32 v82, v77, v227
	v_add_f32_e32 v35, v35, v82
	ds_read_b128 v[82:85], v36 offset:784
	s_waitcnt vmcnt(12) lgkmcnt(1)
	v_mul_f32_e32 v86, v78, v230
	v_fmac_f32_e32 v86, v79, v229
	v_add_f32_e32 v35, v35, v86
	s_waitcnt vmcnt(10)
	v_mul_f32_e32 v86, v80, v232
	v_fmac_f32_e32 v86, v81, v231
	v_add_f32_e32 v35, v35, v86
	s_waitcnt vmcnt(8) lgkmcnt(0)
	v_mul_f32_e32 v86, v82, v234
	v_fmac_f32_e32 v86, v83, v233
	s_waitcnt vmcnt(6)
	v_mul_f32_e32 v90, v84, v236
	v_add_f32_e32 v35, v35, v86
	v_fmac_f32_e32 v90, v85, v235
	ds_read_b128 v[86:89], v36 offset:800
	v_add_f32_e32 v35, v35, v90
	ds_read_b128 v[90:93], v36 offset:816
	buffer_load_dword v99, off, s[0:3], 0 offset:404
	buffer_load_dword v98, off, s[0:3], 0 offset:400
	;; [unrolled: 1-line block ×16, first 2 shown]
	v_add_f32_e32 v18, v22, v18
	v_fma_f32 v19, v20, v119, -v19
	v_mul_f32_e32 v15, v15, v29
	v_add_f32_e32 v18, v18, v19
	v_fma_f32 v14, v14, v118, -v15
	v_mul_f32_e32 v1, v17, v1
	;; [unrolled: 3-line block ×3, first 2 shown]
	v_add_f32_e32 v1, v14, v1
	v_fma_f32 v10, v10, v116, -v11
	v_add_f32_e32 v1, v1, v10
	v_mul_f32_e32 v10, v13, v34
	v_fma_f32 v10, v12, v123, -v10
	v_mul_f32_e32 v7, v7, v37
	v_add_f32_e32 v1, v1, v10
	v_fma_f32 v6, v6, v122, -v7
	v_add_f32_e32 v1, v1, v6
	v_mul_f32_e32 v6, v9, v94
	v_fma_f32 v6, v8, v121, -v6
	v_mul_f32_e32 v3, v3, v124
	v_add_f32_e32 v1, v1, v6
	v_fma_f32 v2, v2, v120, -v3
	v_add_f32_e32 v1, v1, v2
	v_mul_f32_e32 v2, v5, v131
	v_fma_f32 v2, v4, v132, -v2
	v_add_f32_e32 v1, v1, v2
	v_mul_f32_e32 v2, v39, v126
	v_fma_f32 v2, v38, v125, -v2
	v_add_f32_e32 v1, v1, v2
	v_mul_f32_e32 v2, v41, v128
	v_fma_f32 v2, v40, v127, -v2
	v_add_f32_e32 v1, v1, v2
	v_mul_f32_e32 v2, v43, v130
	v_fma_f32 v2, v42, v129, -v2
	v_add_f32_e32 v1, v1, v2
	v_mul_f32_e32 v2, v45, v134
	v_fma_f32 v2, v44, v133, -v2
	v_add_f32_e32 v1, v1, v2
	v_mul_f32_e32 v2, v47, v136
	v_fma_f32 v2, v46, v135, -v2
	v_add_f32_e32 v1, v1, v2
	v_mul_f32_e32 v2, v49, v138
	v_fma_f32 v2, v48, v137, -v2
	v_add_f32_e32 v1, v1, v2
	v_mul_f32_e32 v2, v51, v140
	v_fma_f32 v2, v50, v139, -v2
	v_add_f32_e32 v1, v1, v2
	v_mul_f32_e32 v2, v53, v204
	v_fma_f32 v2, v52, v141, -v2
	v_add_f32_e32 v1, v1, v2
	v_mul_f32_e32 v2, v55, v206
	v_fma_f32 v2, v54, v205, -v2
	v_add_f32_e32 v1, v1, v2
	v_mul_f32_e32 v2, v57, v208
	v_fma_f32 v2, v56, v207, -v2
	v_add_f32_e32 v1, v1, v2
	v_mul_f32_e32 v2, v59, v210
	v_fma_f32 v2, v58, v209, -v2
	v_add_f32_e32 v1, v1, v2
	v_mul_f32_e32 v2, v61, v212
	v_fma_f32 v2, v60, v211, -v2
	v_add_f32_e32 v1, v1, v2
	v_mul_f32_e32 v2, v63, v214
	v_fma_f32 v2, v62, v213, -v2
	v_add_f32_e32 v1, v1, v2
	v_mul_f32_e32 v2, v65, v216
	v_fma_f32 v2, v64, v215, -v2
	v_add_f32_e32 v1, v1, v2
	v_mul_f32_e32 v2, v67, v218
	v_fma_f32 v2, v66, v217, -v2
	v_add_f32_e32 v1, v1, v2
	v_mul_f32_e32 v2, v69, v220
	v_fma_f32 v2, v68, v219, -v2
	v_add_f32_e32 v1, v1, v2
	v_mul_f32_e32 v2, v71, v222
	v_fma_f32 v2, v70, v221, -v2
	v_add_f32_e32 v1, v1, v2
	v_mul_f32_e32 v2, v73, v224
	v_fma_f32 v2, v72, v223, -v2
	v_add_f32_e32 v1, v1, v2
	v_mul_f32_e32 v2, v75, v226
	v_fma_f32 v2, v74, v225, -v2
	v_add_f32_e32 v1, v1, v2
	v_mul_f32_e32 v2, v77, v228
	v_fma_f32 v2, v76, v227, -v2
	v_add_f32_e32 v1, v1, v2
	v_mul_f32_e32 v2, v79, v230
	v_fma_f32 v2, v78, v229, -v2
	v_add_f32_e32 v1, v1, v2
	v_mul_f32_e32 v2, v81, v232
	v_fma_f32 v2, v80, v231, -v2
	v_add_f32_e32 v1, v1, v2
	v_mul_f32_e32 v2, v83, v234
	v_fma_f32 v2, v82, v233, -v2
	v_add_f32_e32 v1, v1, v2
	v_mul_f32_e32 v2, v85, v236
	v_fma_f32 v2, v84, v235, -v2
	s_waitcnt vmcnt(20) lgkmcnt(1)
	v_mul_f32_e32 v95, v86, v238
	v_add_f32_e32 v1, v1, v2
	v_mul_f32_e32 v2, v87, v238
	v_fmac_f32_e32 v95, v87, v237
	v_fma_f32 v2, v86, v237, -v2
	s_waitcnt vmcnt(9)
	v_mov_b32_e32 v18, v105
	v_add_f32_e32 v35, v35, v95
	v_mul_f32_e32 v95, v88, v240
	v_add_f32_e32 v34, v1, v2
	v_mul_f32_e32 v1, v89, v240
	s_waitcnt lgkmcnt(0)
	v_pk_mul_f32 v[18:19], v[92:93], v[18:19] op_sel_hi:[1,0]
	v_fmac_f32_e32 v95, v89, v239
	v_mul_f32_e32 v97, v90, v242
	v_fma_f32 v94, v88, v239, -v1
	v_mul_f32_e32 v1, v91, v242
	ds_read_b128 v[2:5], v36 offset:832
	ds_read_b128 v[6:9], v36 offset:848
	;; [unrolled: 1-line block ×3, first 2 shown]
	ds_read_b64 v[14:15], v36 offset:880
	s_waitcnt vmcnt(8)
	v_pk_fma_f32 v[20:21], v[92:93], v[104:105], v[18:19] op_sel:[0,0,1] op_sel_hi:[1,1,0] neg_lo:[0,0,1] neg_hi:[0,0,1]
	v_pk_fma_f32 v[18:19], v[92:93], v[104:105], v[18:19] op_sel:[0,0,1] op_sel_hi:[1,0,0]
	v_fmac_f32_e32 v97, v91, v241
	v_fma_f32 v96, v90, v241, -v1
	v_pk_add_f32 v[16:17], v[34:35], v[94:95]
	v_mov_b32_e32 v18, v103
	v_pk_add_f32 v[16:17], v[16:17], v[96:97]
	v_mov_b32_e32 v21, v19
	s_waitcnt lgkmcnt(3)
	v_pk_mul_f32 v[18:19], v[2:3], v[18:19] op_sel_hi:[1,0]
	v_pk_add_f32 v[16:17], v[16:17], v[20:21]
	v_pk_fma_f32 v[20:21], v[2:3], v[102:103], v[18:19] op_sel:[0,0,1] op_sel_hi:[1,1,0] neg_lo:[0,0,1] neg_hi:[0,0,1]
	v_pk_fma_f32 v[2:3], v[2:3], v[102:103], v[18:19] op_sel:[0,0,1] op_sel_hi:[1,0,0]
	v_mov_b32_e32 v21, v3
	v_pk_add_f32 v[2:3], v[16:17], v[20:21]
	v_mov_b32_e32 v16, v101
	v_pk_mul_f32 v[16:17], v[4:5], v[16:17] op_sel_hi:[1,0]
	v_pk_fma_f32 v[18:19], v[4:5], v[100:101], v[16:17] op_sel:[0,0,1] op_sel_hi:[1,1,0] neg_lo:[0,0,1] neg_hi:[0,0,1]
	v_pk_fma_f32 v[4:5], v[4:5], v[100:101], v[16:17] op_sel:[0,0,1] op_sel_hi:[1,0,0]
	v_mov_b32_e32 v4, v99
	v_mov_b32_e32 v19, v5
	s_waitcnt lgkmcnt(2)
	v_pk_mul_f32 v[4:5], v[6:7], v[4:5] op_sel_hi:[1,0]
	v_pk_fma_f32 v[16:17], v[6:7], v[98:99], v[4:5] op_sel:[0,0,1] op_sel_hi:[1,1,0] neg_lo:[0,0,1] neg_hi:[0,0,1]
	v_pk_fma_f32 v[4:5], v[6:7], v[98:99], v[4:5] op_sel:[0,0,1] op_sel_hi:[1,0,0]
	s_waitcnt vmcnt(1)
	v_mov_b32_e32 v4, v113
	v_mov_b32_e32 v17, v5
	v_pk_mul_f32 v[4:5], v[8:9], v[4:5] op_sel_hi:[1,0]
	s_waitcnt vmcnt(0)
	v_pk_fma_f32 v[6:7], v[8:9], v[112:113], v[4:5] op_sel:[0,0,1] op_sel_hi:[1,1,0] neg_lo:[0,0,1] neg_hi:[0,0,1]
	v_pk_fma_f32 v[4:5], v[8:9], v[112:113], v[4:5] op_sel:[0,0,1] op_sel_hi:[1,0,0]
	v_pk_add_f32 v[2:3], v[2:3], v[18:19]
	v_mov_b32_e32 v4, v111
	v_pk_add_f32 v[2:3], v[2:3], v[16:17]
	v_mov_b32_e32 v7, v5
	s_waitcnt lgkmcnt(1)
	v_pk_mul_f32 v[4:5], v[10:11], v[4:5] op_sel_hi:[1,0]
	v_pk_add_f32 v[2:3], v[2:3], v[6:7]
	v_pk_fma_f32 v[6:7], v[10:11], v[110:111], v[4:5] op_sel:[0,0,1] op_sel_hi:[1,1,0] neg_lo:[0,0,1] neg_hi:[0,0,1]
	v_pk_fma_f32 v[4:5], v[10:11], v[110:111], v[4:5] op_sel:[0,0,1] op_sel_hi:[1,0,0]
	v_mov_b32_e32 v4, v109
	v_mov_b32_e32 v7, v5
	v_pk_mul_f32 v[4:5], v[12:13], v[4:5] op_sel_hi:[1,0]
	v_pk_add_f32 v[2:3], v[2:3], v[6:7]
	v_pk_fma_f32 v[6:7], v[12:13], v[108:109], v[4:5] op_sel:[0,0,1] op_sel_hi:[1,1,0] neg_lo:[0,0,1] neg_hi:[0,0,1]
	v_pk_fma_f32 v[4:5], v[12:13], v[108:109], v[4:5] op_sel:[0,0,1] op_sel_hi:[1,0,0]
	v_mov_b32_e32 v4, v107
	v_mov_b32_e32 v7, v5
	s_waitcnt lgkmcnt(0)
	v_pk_mul_f32 v[4:5], v[14:15], v[4:5] op_sel_hi:[1,0]
	v_pk_add_f32 v[2:3], v[2:3], v[6:7]
	v_pk_fma_f32 v[6:7], v[14:15], v[106:107], v[4:5] op_sel:[0,0,1] op_sel_hi:[1,1,0] neg_lo:[0,0,1] neg_hi:[0,0,1]
	v_pk_fma_f32 v[4:5], v[14:15], v[106:107], v[4:5] op_sel:[0,0,1] op_sel_hi:[1,0,0]
	v_mov_b32_e32 v7, v5
	v_pk_add_f32 v[2:3], v[2:3], v[6:7]
	v_pk_add_f32 v[2:3], v[26:27], v[2:3] neg_lo:[0,1] neg_hi:[0,1]
	buffer_store_dword v3, off, s[0:3], 0 offset:60
	buffer_store_dword v2, off, s[0:3], 0 offset:56
	s_and_saveexec_b64 s[4:5], vcc
	s_cbranch_execz .LBB54_331
; %bb.330:
	buffer_load_dword v2, off, s[0:3], 0 offset:48
	buffer_load_dword v3, off, s[0:3], 0 offset:52
	s_waitcnt vmcnt(0)
	ds_write_b64 v153, v[2:3]
	buffer_store_dword v36, off, s[0:3], 0 offset:48
	buffer_store_dword v36, off, s[0:3], 0 offset:52
.LBB54_331:
	s_or_b64 exec, exec, s[4:5]
	s_waitcnt lgkmcnt(0)
	; wave barrier
	s_waitcnt lgkmcnt(0)
	buffer_load_dword v41, off, s[0:3], 0 offset:60
	buffer_load_dword v40, off, s[0:3], 0 offset:68
	;; [unrolled: 1-line block ×32, first 2 shown]
	ds_read2_b64 v[22:25], v36 offset0:63 offset1:64
	ds_read2_b64 v[18:21], v36 offset0:65 offset1:66
	;; [unrolled: 1-line block ×6, first 2 shown]
	buffer_load_dword v133, off, s[0:3], 0 offset:176
	buffer_load_dword v134, off, s[0:3], 0 offset:180
	;; [unrolled: 1-line block ×26, first 2 shown]
	v_cmp_lt_u32_e32 vcc, 5, v0
	s_waitcnt vmcnt(57) lgkmcnt(5)
	v_mul_f32_e32 v26, v22, v41
	s_waitcnt vmcnt(56)
	v_mul_f32_e32 v27, v24, v40
	s_waitcnt vmcnt(55) lgkmcnt(4)
	v_mul_f32_e32 v29, v20, v39
	s_waitcnt vmcnt(54) lgkmcnt(3)
	v_mul_f32_e32 v30, v14, v38
	s_waitcnt vmcnt(53)
	v_mul_f32_e32 v31, v16, v1
	s_waitcnt vmcnt(52)
	v_mul_f32_e32 v28, v18, v42
	s_waitcnt vmcnt(51) lgkmcnt(2)
	v_mul_f32_e32 v32, v10, v37
	s_waitcnt vmcnt(50)
	v_mul_f32_e32 v33, v12, v43
	s_waitcnt vmcnt(49) lgkmcnt(1)
	;; [unrolled: 4-line block ×3, first 2 shown]
	v_mul_f32_e32 v46, v2, v102
	s_waitcnt vmcnt(46)
	v_fmac_f32_e32 v28, v19, v114
	s_waitcnt vmcnt(45)
	v_fmac_f32_e32 v27, v25, v115
	;; [unrolled: 2-line block ×3, first 2 shown]
	v_add_f32_e32 v26, 0, v26
	v_add_f32_e32 v26, v26, v27
	;; [unrolled: 1-line block ×3, first 2 shown]
	s_waitcnt vmcnt(40)
	v_fmac_f32_e32 v29, v21, v120
	v_fmac_f32_e32 v30, v15, v119
	v_add_f32_e32 v26, v26, v29
	v_fmac_f32_e32 v31, v17, v118
	v_add_f32_e32 v26, v26, v30
	;; [unrolled: 2-line block ×3, first 2 shown]
	s_waitcnt vmcnt(36)
	v_fmac_f32_e32 v33, v13, v124
	v_add_f32_e32 v26, v26, v32
	v_fmac_f32_e32 v44, v7, v123
	v_add_f32_e32 v26, v26, v33
	;; [unrolled: 2-line block ×4, first 2 shown]
	s_waitcnt vmcnt(30)
	v_mul_f32_e32 v27, v4, v130
	v_add_f32_e32 v26, v26, v46
	s_waitcnt vmcnt(29)
	v_fmac_f32_e32 v27, v5, v131
	v_add_f32_e32 v44, v26, v27
	ds_read2_b64 v[26:29], v36 offset0:75 offset1:76
	buffer_load_dword v221, off, s[0:3], 0 offset:280
	buffer_load_dword v222, off, s[0:3], 0 offset:284
	ds_read2_b64 v[30:33], v36 offset0:77 offset1:78
	buffer_load_dword v223, off, s[0:3], 0 offset:288
	buffer_load_dword v224, off, s[0:3], 0 offset:292
	;; [unrolled: 1-line block ×14, first 2 shown]
	s_waitcnt vmcnt(44) lgkmcnt(1)
	v_mul_f32_e32 v45, v26, v132
	v_fmac_f32_e32 v45, v27, v129
	v_add_f32_e32 v44, v44, v45
	v_mul_f32_e32 v45, v28, v126
	v_fmac_f32_e32 v45, v29, v125
	v_add_f32_e32 v44, v44, v45
	s_waitcnt lgkmcnt(0)
	v_mul_f32_e32 v45, v30, v128
	v_fmac_f32_e32 v45, v31, v127
	v_add_f32_e32 v48, v44, v45
	buffer_load_dword v237, off, s[0:3], 0 offset:344
	buffer_load_dword v238, off, s[0:3], 0 offset:348
	ds_read2_b64 v[44:47], v36 offset0:79 offset1:80
	s_waitcnt vmcnt(42)
	v_mul_f32_e32 v49, v32, v134
	v_fmac_f32_e32 v49, v33, v133
	buffer_load_dword v239, off, s[0:3], 0 offset:352
	buffer_load_dword v240, off, s[0:3], 0 offset:356
	v_add_f32_e32 v52, v48, v49
	buffer_load_dword v241, off, s[0:3], 0 offset:360
	buffer_load_dword v242, off, s[0:3], 0 offset:364
	ds_read2_b64 v[48:51], v36 offset0:81 offset1:82
	s_waitcnt vmcnt(44) lgkmcnt(1)
	v_mul_f32_e32 v53, v44, v136
	v_fmac_f32_e32 v53, v45, v135
	v_add_f32_e32 v52, v52, v53
	s_waitcnt vmcnt(42)
	v_mul_f32_e32 v53, v46, v138
	v_fmac_f32_e32 v53, v47, v137
	v_add_f32_e32 v52, v52, v53
	s_waitcnt vmcnt(40) lgkmcnt(0)
	v_mul_f32_e32 v53, v48, v140
	v_fmac_f32_e32 v53, v49, v139
	buffer_load_dword v243, off, s[0:3], 0 offset:368
	buffer_load_dword v244, off, s[0:3], 0 offset:372
	v_add_f32_e32 v56, v52, v53
	ds_read2_b64 v[52:55], v36 offset0:83 offset1:84
	s_waitcnt vmcnt(40)
	v_mul_f32_e32 v57, v50, v204
	v_fmac_f32_e32 v57, v51, v141
	v_add_f32_e32 v60, v56, v57
	ds_read2_b64 v[56:59], v36 offset0:85 offset1:86
	s_waitcnt vmcnt(38) lgkmcnt(1)
	v_mul_f32_e32 v61, v52, v206
	v_fmac_f32_e32 v61, v53, v205
	v_add_f32_e32 v60, v60, v61
	s_waitcnt vmcnt(36)
	v_mul_f32_e32 v61, v54, v208
	v_fmac_f32_e32 v61, v55, v207
	v_add_f32_e32 v60, v60, v61
	s_waitcnt vmcnt(34) lgkmcnt(0)
	v_mul_f32_e32 v61, v56, v210
	v_fmac_f32_e32 v61, v57, v209
	v_add_f32_e32 v64, v60, v61
	ds_read2_b64 v[60:63], v36 offset0:87 offset1:88
	s_waitcnt vmcnt(32)
	v_mul_f32_e32 v65, v58, v212
	v_fmac_f32_e32 v65, v59, v211
	v_add_f32_e32 v68, v64, v65
	ds_read2_b64 v[64:67], v36 offset0:89 offset1:90
	s_waitcnt vmcnt(30) lgkmcnt(1)
	v_mul_f32_e32 v69, v60, v214
	v_fmac_f32_e32 v69, v61, v213
	v_add_f32_e32 v68, v68, v69
	s_waitcnt vmcnt(28)
	v_mul_f32_e32 v69, v62, v216
	v_fmac_f32_e32 v69, v63, v215
	v_add_f32_e32 v68, v68, v69
	s_waitcnt vmcnt(26) lgkmcnt(0)
	v_mul_f32_e32 v69, v64, v218
	v_fmac_f32_e32 v69, v65, v217
	v_add_f32_e32 v72, v68, v69
	ds_read2_b64 v[68:71], v36 offset0:91 offset1:92
	s_waitcnt vmcnt(24)
	v_mul_f32_e32 v73, v66, v220
	v_fmac_f32_e32 v73, v67, v219
	v_add_f32_e32 v76, v72, v73
	ds_read2_b64 v[72:75], v36 offset0:93 offset1:94
	v_mul_f32_e32 v23, v23, v41
	v_fma_f32 v22, v22, v116, -v23
	v_mul_f32_e32 v23, v25, v40
	v_add_f32_e32 v22, 0, v22
	v_fma_f32 v23, v24, v115, -v23
	v_mul_f32_e32 v19, v19, v42
	v_add_f32_e32 v22, v22, v23
	;; [unrolled: 3-line block ×3, first 2 shown]
	v_fma_f32 v19, v20, v120, -v19
	s_waitcnt vmcnt(22) lgkmcnt(1)
	v_mul_f32_e32 v77, v68, v222
	v_fmac_f32_e32 v77, v69, v221
	v_add_f32_e32 v76, v76, v77
	s_waitcnt vmcnt(20)
	v_mul_f32_e32 v77, v70, v224
	v_fmac_f32_e32 v77, v71, v223
	v_add_f32_e32 v76, v76, v77
	s_waitcnt vmcnt(18) lgkmcnt(0)
	v_mul_f32_e32 v77, v72, v226
	v_fmac_f32_e32 v77, v73, v225
	v_add_f32_e32 v80, v76, v77
	ds_read2_b64 v[76:79], v36 offset0:95 offset1:96
	s_waitcnt vmcnt(16)
	v_mul_f32_e32 v81, v74, v228
	v_fmac_f32_e32 v81, v75, v227
	v_add_f32_e32 v84, v80, v81
	ds_read2_b64 v[80:83], v36 offset0:97 offset1:98
	s_waitcnt vmcnt(14) lgkmcnt(1)
	v_mul_f32_e32 v85, v76, v230
	v_fmac_f32_e32 v85, v77, v229
	v_add_f32_e32 v84, v84, v85
	s_waitcnt vmcnt(12)
	v_mul_f32_e32 v85, v78, v232
	v_fmac_f32_e32 v85, v79, v231
	v_add_f32_e32 v84, v84, v85
	s_waitcnt vmcnt(10) lgkmcnt(0)
	v_mul_f32_e32 v85, v80, v234
	v_fmac_f32_e32 v85, v81, v233
	s_waitcnt vmcnt(8)
	v_mul_f32_e32 v89, v82, v236
	v_add_f32_e32 v88, v84, v85
	v_fmac_f32_e32 v89, v83, v235
	ds_read2_b64 v[84:87], v36 offset0:99 offset1:100
	v_add_f32_e32 v93, v88, v89
	ds_read2_b64 v[88:91], v36 offset0:101 offset1:102
	buffer_load_dword v97, off, s[0:3], 0 offset:396
	buffer_load_dword v96, off, s[0:3], 0 offset:392
	;; [unrolled: 1-line block ×16, first 2 shown]
	v_mul_f32_e32 v15, v15, v38
	v_add_f32_e32 v18, v18, v19
	v_fma_f32 v14, v14, v119, -v15
	v_mul_f32_e32 v1, v17, v1
	v_add_f32_e32 v14, v18, v14
	v_fma_f32 v1, v16, v118, -v1
	;; [unrolled: 3-line block ×3, first 2 shown]
	v_add_f32_e32 v1, v1, v10
	v_mul_f32_e32 v10, v13, v43
	v_fma_f32 v10, v12, v124, -v10
	v_mul_f32_e32 v7, v7, v92
	v_add_f32_e32 v1, v1, v10
	v_fma_f32 v6, v6, v123, -v7
	v_add_f32_e32 v1, v1, v6
	v_mul_f32_e32 v6, v9, v94
	v_fma_f32 v6, v8, v122, -v6
	v_mul_f32_e32 v3, v3, v102
	v_add_f32_e32 v1, v1, v6
	v_fma_f32 v2, v2, v121, -v3
	v_add_f32_e32 v1, v1, v2
	v_mul_f32_e32 v2, v5, v130
	v_fma_f32 v2, v4, v131, -v2
	v_add_f32_e32 v1, v1, v2
	v_mul_f32_e32 v2, v27, v132
	;; [unrolled: 3-line block ×25, first 2 shown]
	v_fma_f32 v2, v82, v235, -v2
	v_add_f32_e32 v1, v1, v2
	s_waitcnt vmcnt(22) lgkmcnt(1)
	v_mul_f32_e32 v2, v85, v238
	v_mul_f32_e32 v95, v84, v238
	v_fma_f32 v2, v84, v237, -v2
	v_fmac_f32_e32 v95, v85, v237
	v_add_f32_e32 v1, v1, v2
	s_waitcnt vmcnt(20)
	v_mul_f32_e32 v2, v87, v240
	v_add_f32_e32 v93, v93, v95
	v_mul_f32_e32 v95, v86, v240
	v_fma_f32 v2, v86, v239, -v2
	v_fmac_f32_e32 v95, v87, v239
	v_add_f32_e32 v92, v1, v2
	ds_read2_b64 v[2:5], v36 offset0:103 offset1:104
	ds_read2_b64 v[6:9], v36 offset0:105 offset1:106
	;; [unrolled: 1-line block ×4, first 2 shown]
	v_add_f32_e32 v93, v93, v95
	s_waitcnt vmcnt(18) lgkmcnt(4)
	v_mul_f32_e32 v95, v88, v242
	v_mul_f32_e32 v1, v89, v242
	s_waitcnt vmcnt(11)
	v_mov_b32_e32 v20, v101
	v_fmac_f32_e32 v95, v89, v241
	v_mul_f32_e32 v103, v90, v244
	v_fma_f32 v94, v88, v241, -v1
	v_mul_f32_e32 v1, v91, v244
	s_waitcnt lgkmcnt(3)
	v_pk_mul_f32 v[20:21], v[2:3], v[20:21] op_sel_hi:[1,0]
	v_fmac_f32_e32 v103, v91, v243
	v_fma_f32 v102, v90, v243, -v1
	v_pk_add_f32 v[18:19], v[92:93], v[94:95]
	s_waitcnt vmcnt(10)
	v_pk_fma_f32 v[22:23], v[2:3], v[100:101], v[20:21] op_sel:[0,0,1] op_sel_hi:[1,1,0] neg_lo:[0,0,1] neg_hi:[0,0,1]
	v_pk_fma_f32 v[2:3], v[2:3], v[100:101], v[20:21] op_sel:[0,0,1] op_sel_hi:[1,0,0]
	v_pk_add_f32 v[18:19], v[18:19], v[102:103]
	v_mov_b32_e32 v23, v3
	v_pk_add_f32 v[2:3], v[18:19], v[22:23]
	v_mov_b32_e32 v18, v99
	v_pk_mul_f32 v[18:19], v[4:5], v[18:19] op_sel_hi:[1,0]
	v_pk_fma_f32 v[20:21], v[4:5], v[98:99], v[18:19] op_sel:[0,0,1] op_sel_hi:[1,1,0] neg_lo:[0,0,1] neg_hi:[0,0,1]
	v_pk_fma_f32 v[4:5], v[4:5], v[98:99], v[18:19] op_sel:[0,0,1] op_sel_hi:[1,0,0]
	v_mov_b32_e32 v4, v97
	v_mov_b32_e32 v21, v5
	s_waitcnt lgkmcnt(2)
	v_pk_mul_f32 v[4:5], v[6:7], v[4:5] op_sel_hi:[1,0]
	v_pk_fma_f32 v[18:19], v[6:7], v[96:97], v[4:5] op_sel:[0,0,1] op_sel_hi:[1,1,0] neg_lo:[0,0,1] neg_hi:[0,0,1]
	v_pk_fma_f32 v[4:5], v[6:7], v[96:97], v[4:5] op_sel:[0,0,1] op_sel_hi:[1,0,0]
	s_waitcnt vmcnt(3)
	v_mov_b32_e32 v4, v111
	v_mov_b32_e32 v19, v5
	v_pk_mul_f32 v[4:5], v[8:9], v[4:5] op_sel_hi:[1,0]
	s_waitcnt vmcnt(2)
	v_pk_fma_f32 v[6:7], v[8:9], v[110:111], v[4:5] op_sel:[0,0,1] op_sel_hi:[1,1,0] neg_lo:[0,0,1] neg_hi:[0,0,1]
	v_pk_fma_f32 v[4:5], v[8:9], v[110:111], v[4:5] op_sel:[0,0,1] op_sel_hi:[1,0,0]
	v_pk_add_f32 v[2:3], v[2:3], v[20:21]
	v_mov_b32_e32 v4, v109
	v_pk_add_f32 v[2:3], v[2:3], v[18:19]
	v_mov_b32_e32 v7, v5
	s_waitcnt lgkmcnt(1)
	v_pk_mul_f32 v[4:5], v[10:11], v[4:5] op_sel_hi:[1,0]
	v_pk_add_f32 v[2:3], v[2:3], v[6:7]
	v_pk_fma_f32 v[6:7], v[10:11], v[108:109], v[4:5] op_sel:[0,0,1] op_sel_hi:[1,1,0] neg_lo:[0,0,1] neg_hi:[0,0,1]
	v_pk_fma_f32 v[4:5], v[10:11], v[108:109], v[4:5] op_sel:[0,0,1] op_sel_hi:[1,0,0]
	v_mov_b32_e32 v4, v107
	v_mov_b32_e32 v7, v5
	v_pk_mul_f32 v[4:5], v[12:13], v[4:5] op_sel_hi:[1,0]
	v_pk_add_f32 v[2:3], v[2:3], v[6:7]
	v_pk_fma_f32 v[6:7], v[12:13], v[106:107], v[4:5] op_sel:[0,0,1] op_sel_hi:[1,1,0] neg_lo:[0,0,1] neg_hi:[0,0,1]
	v_pk_fma_f32 v[4:5], v[12:13], v[106:107], v[4:5] op_sel:[0,0,1] op_sel_hi:[1,0,0]
	v_mov_b32_e32 v4, v105
	v_mov_b32_e32 v7, v5
	s_waitcnt lgkmcnt(0)
	v_pk_mul_f32 v[4:5], v[14:15], v[4:5] op_sel_hi:[1,0]
	v_pk_add_f32 v[2:3], v[2:3], v[6:7]
	v_pk_fma_f32 v[6:7], v[14:15], v[104:105], v[4:5] op_sel:[0,0,1] op_sel_hi:[1,1,0] neg_lo:[0,0,1] neg_hi:[0,0,1]
	v_pk_fma_f32 v[4:5], v[14:15], v[104:105], v[4:5] op_sel:[0,0,1] op_sel_hi:[1,0,0]
	s_waitcnt vmcnt(1)
	v_mov_b32_e32 v4, v113
	v_mov_b32_e32 v7, v5
	v_pk_mul_f32 v[4:5], v[16:17], v[4:5] op_sel_hi:[1,0]
	v_pk_add_f32 v[2:3], v[2:3], v[6:7]
	s_waitcnt vmcnt(0)
	v_pk_fma_f32 v[6:7], v[16:17], v[112:113], v[4:5] op_sel:[0,0,1] op_sel_hi:[1,1,0] neg_lo:[0,0,1] neg_hi:[0,0,1]
	v_pk_fma_f32 v[4:5], v[16:17], v[112:113], v[4:5] op_sel:[0,0,1] op_sel_hi:[1,0,0]
	v_mov_b32_e32 v7, v5
	v_pk_add_f32 v[2:3], v[2:3], v[6:7]
	v_pk_add_f32 v[2:3], v[34:35], v[2:3] neg_lo:[0,1] neg_hi:[0,1]
	buffer_store_dword v3, off, s[0:3], 0 offset:52
	buffer_store_dword v2, off, s[0:3], 0 offset:48
	s_and_saveexec_b64 s[4:5], vcc
	s_cbranch_execz .LBB54_333
; %bb.332:
	buffer_load_dword v2, off, s[0:3], 0 offset:40
	buffer_load_dword v3, off, s[0:3], 0 offset:44
	v_mov_b32_e32 v1, 0
	buffer_store_dword v1, off, s[0:3], 0 offset:40
	buffer_store_dword v1, off, s[0:3], 0 offset:44
	s_waitcnt vmcnt(2)
	ds_write_b64 v153, v[2:3]
.LBB54_333:
	s_or_b64 exec, exec, s[4:5]
	v_mov_b32_e32 v220, 0
	s_waitcnt lgkmcnt(0)
	; wave barrier
	s_waitcnt lgkmcnt(0)
	ds_read_b128 v[2:5], v220 offset:496
	buffer_load_dword v86, off, s[0:3], 0 offset:40
	buffer_load_dword v87, off, s[0:3], 0 offset:44
	buffer_load_dword v88, off, s[0:3], 0 offset:48
	buffer_load_dword v221, off, s[0:3], 0 offset:52
	buffer_load_dword v90, off, s[0:3], 0 offset:56
	buffer_load_dword v223, off, s[0:3], 0 offset:60
	buffer_load_dword v204, off, s[0:3], 0 offset:64
	buffer_load_dword v225, off, s[0:3], 0 offset:68
	buffer_load_dword v222, off, s[0:3], 0 offset:72
	buffer_load_dword v227, off, s[0:3], 0 offset:76
	buffer_load_dword v224, off, s[0:3], 0 offset:80
	buffer_load_dword v229, off, s[0:3], 0 offset:84
	buffer_load_dword v226, off, s[0:3], 0 offset:88
	buffer_load_dword v230, off, s[0:3], 0 offset:92
	buffer_load_dword v228, off, s[0:3], 0 offset:96
	buffer_load_dword v231, off, s[0:3], 0 offset:100
	v_cmp_lt_u32_e32 vcc, 4, v0
	s_waitcnt vmcnt(12) lgkmcnt(0)
	v_mul_f32_e32 v1, v2, v221
	v_fmac_f32_e32 v1, v3, v88
	s_waitcnt vmcnt(10)
	v_mul_f32_e32 v6, v4, v223
	v_add_f32_e32 v1, 0, v1
	v_fmac_f32_e32 v6, v5, v90
	v_add_f32_e32 v1, v1, v6
	ds_read_b128 v[6:9], v220 offset:512
	v_mul_f32_e32 v3, v3, v221
	v_fma_f32 v2, v2, v88, -v3
	v_mul_f32_e32 v3, v5, v223
	v_add_f32_e32 v2, 0, v2
	s_waitcnt vmcnt(8) lgkmcnt(0)
	v_mul_f32_e32 v10, v6, v225
	v_fmac_f32_e32 v10, v7, v204
	v_add_f32_e32 v1, v1, v10
	s_waitcnt vmcnt(6)
	v_mul_f32_e32 v10, v8, v227
	v_fmac_f32_e32 v10, v9, v222
	v_add_f32_e32 v1, v1, v10
	ds_read_b128 v[10:13], v220 offset:528
	v_fma_f32 v3, v4, v90, -v3
	v_add_f32_e32 v2, v2, v3
	v_mul_f32_e32 v3, v7, v225
	v_fma_f32 v3, v6, v204, -v3
	s_waitcnt vmcnt(4) lgkmcnt(0)
	v_mul_f32_e32 v14, v10, v229
	v_fmac_f32_e32 v14, v11, v224
	v_add_f32_e32 v1, v1, v14
	s_waitcnt vmcnt(2)
	v_mul_f32_e32 v14, v12, v230
	v_fmac_f32_e32 v14, v13, v226
	v_add_f32_e32 v1, v1, v14
	ds_read_b128 v[14:17], v220 offset:544
	buffer_load_dword v232, off, s[0:3], 0 offset:104
	buffer_load_dword v233, off, s[0:3], 0 offset:108
	v_add_f32_e32 v2, v2, v3
	v_mul_f32_e32 v3, v9, v227
	v_fma_f32 v3, v8, v222, -v3
	s_waitcnt vmcnt(2) lgkmcnt(0)
	v_mul_f32_e32 v18, v14, v231
	v_fmac_f32_e32 v18, v15, v228
	v_add_f32_e32 v1, v1, v18
	v_add_f32_e32 v2, v2, v3
	v_mul_f32_e32 v3, v11, v229
	v_fma_f32 v3, v10, v224, -v3
	v_add_f32_e32 v2, v2, v3
	v_mul_f32_e32 v3, v13, v230
	v_fma_f32 v3, v12, v226, -v3
	;; [unrolled: 3-line block ×3, first 2 shown]
	v_add_f32_e32 v2, v2, v3
	s_waitcnt vmcnt(0)
	v_mul_f32_e32 v18, v16, v233
	v_fmac_f32_e32 v18, v17, v232
	v_add_f32_e32 v1, v1, v18
	ds_read_b128 v[18:21], v220 offset:560
	buffer_load_dword v234, off, s[0:3], 0 offset:112
	buffer_load_dword v235, off, s[0:3], 0 offset:116
	;; [unrolled: 1-line block ×4, first 2 shown]
	v_mul_f32_e32 v3, v17, v233
	v_fma_f32 v3, v16, v232, -v3
	v_add_f32_e32 v2, v2, v3
	s_waitcnt vmcnt(2) lgkmcnt(0)
	v_mul_f32_e32 v22, v18, v235
	v_fmac_f32_e32 v22, v19, v234
	v_add_f32_e32 v1, v1, v22
	s_waitcnt vmcnt(0)
	v_mul_f32_e32 v22, v20, v237
	v_fmac_f32_e32 v22, v21, v236
	v_add_f32_e32 v1, v1, v22
	ds_read_b128 v[22:25], v220 offset:576
	buffer_load_dword v238, off, s[0:3], 0 offset:128
	buffer_load_dword v239, off, s[0:3], 0 offset:132
	v_mul_f32_e32 v3, v19, v235
	v_fma_f32 v3, v18, v234, -v3
	v_add_f32_e32 v2, v2, v3
	v_mul_f32_e32 v3, v21, v237
	v_fma_f32 v3, v20, v236, -v3
	v_add_f32_e32 v2, v2, v3
	s_waitcnt vmcnt(0) lgkmcnt(0)
	v_mul_f32_e32 v26, v22, v239
	v_fmac_f32_e32 v26, v23, v238
	v_add_f32_e32 v26, v1, v26
	buffer_load_dword v240, off, s[0:3], 0 offset:136
	buffer_load_dword v1, off, s[0:3], 0 offset:140
	v_mul_f32_e32 v3, v23, v239
	v_fma_f32 v3, v22, v238, -v3
	v_add_f32_e32 v2, v2, v3
	s_waitcnt vmcnt(0)
	v_mul_f32_e32 v27, v24, v1
	v_fmac_f32_e32 v27, v25, v240
	v_add_f32_e32 v30, v26, v27
	ds_read_b128 v[26:29], v220 offset:592
	buffer_load_dword v94, off, s[0:3], 0 offset:144
	buffer_load_dword v95, off, s[0:3], 0 offset:148
	;; [unrolled: 1-line block ×4, first 2 shown]
	v_mul_f32_e32 v1, v25, v1
	v_fma_f32 v1, v24, v240, -v1
	v_add_f32_e32 v1, v2, v1
	s_waitcnt vmcnt(2) lgkmcnt(0)
	v_mul_f32_e32 v31, v26, v95
	v_fmac_f32_e32 v31, v27, v94
	v_add_f32_e32 v30, v30, v31
	s_waitcnt vmcnt(0)
	v_mul_f32_e32 v31, v28, v97
	v_fmac_f32_e32 v31, v29, v96
	v_add_f32_e32 v34, v30, v31
	ds_read_b128 v[30:33], v220 offset:608
	buffer_load_dword v98, off, s[0:3], 0 offset:160
	buffer_load_dword v99, off, s[0:3], 0 offset:164
	buffer_load_dword v100, off, s[0:3], 0 offset:168
	buffer_load_dword v101, off, s[0:3], 0 offset:172
	ds_read_b128 v[38:41], v220 offset:624
	buffer_load_dword v102, off, s[0:3], 0 offset:176
	buffer_load_dword v103, off, s[0:3], 0 offset:180
	buffer_load_dword v104, off, s[0:3], 0 offset:184
	buffer_load_dword v105, off, s[0:3], 0 offset:188
	;; [unrolled: 5-line block ×13, first 2 shown]
	v_mul_f32_e32 v2, v27, v95
	v_fma_f32 v2, v26, v94, -v2
	v_add_f32_e32 v1, v1, v2
	v_mul_f32_e32 v2, v29, v97
	v_fma_f32 v2, v28, v96, -v2
	v_add_f32_e32 v1, v1, v2
	s_waitcnt vmcnt(50) lgkmcnt(12)
	v_mul_f32_e32 v35, v30, v99
	v_fmac_f32_e32 v35, v31, v98
	v_add_f32_e32 v34, v34, v35
	s_waitcnt vmcnt(48)
	v_mul_f32_e32 v35, v32, v101
	v_fmac_f32_e32 v35, v33, v100
	v_add_f32_e32 v34, v34, v35
	s_waitcnt vmcnt(46) lgkmcnt(11)
	v_mul_f32_e32 v35, v38, v103
	v_fmac_f32_e32 v35, v39, v102
	v_add_f32_e32 v34, v34, v35
	s_waitcnt vmcnt(44)
	v_mul_f32_e32 v35, v40, v105
	v_fmac_f32_e32 v35, v41, v104
	v_add_f32_e32 v34, v34, v35
	s_waitcnt vmcnt(42) lgkmcnt(10)
	v_mul_f32_e32 v35, v42, v107
	v_fmac_f32_e32 v35, v43, v106
	v_add_f32_e32 v34, v34, v35
	s_waitcnt vmcnt(40)
	v_mul_f32_e32 v35, v44, v109
	v_fmac_f32_e32 v35, v45, v108
	v_add_f32_e32 v34, v34, v35
	s_waitcnt vmcnt(38) lgkmcnt(9)
	v_mul_f32_e32 v35, v46, v242
	v_fmac_f32_e32 v35, v47, v241
	v_add_f32_e32 v34, v34, v35
	s_waitcnt vmcnt(36)
	v_mul_f32_e32 v35, v48, v244
	v_fmac_f32_e32 v35, v49, v243
	v_add_f32_e32 v34, v34, v35
	s_waitcnt vmcnt(34) lgkmcnt(8)
	v_mul_f32_e32 v35, v50, v246
	v_fmac_f32_e32 v35, v51, v245
	v_add_f32_e32 v34, v34, v35
	s_waitcnt vmcnt(32)
	v_mul_f32_e32 v35, v52, v111
	v_fmac_f32_e32 v35, v53, v110
	v_add_f32_e32 v34, v34, v35
	s_waitcnt vmcnt(30) lgkmcnt(7)
	v_mul_f32_e32 v35, v54, v113
	v_fmac_f32_e32 v35, v55, v112
	v_add_f32_e32 v34, v34, v35
	s_waitcnt vmcnt(28)
	v_mul_f32_e32 v35, v56, v115
	v_fmac_f32_e32 v35, v57, v114
	v_add_f32_e32 v34, v34, v35
	s_waitcnt vmcnt(26) lgkmcnt(6)
	v_mul_f32_e32 v35, v58, v117
	v_fmac_f32_e32 v35, v59, v116
	v_add_f32_e32 v34, v34, v35
	s_waitcnt vmcnt(24)
	v_mul_f32_e32 v35, v60, v119
	v_fmac_f32_e32 v35, v61, v118
	v_add_f32_e32 v34, v34, v35
	s_waitcnt vmcnt(22) lgkmcnt(5)
	v_mul_f32_e32 v35, v62, v121
	v_fmac_f32_e32 v35, v63, v120
	v_add_f32_e32 v34, v34, v35
	s_waitcnt vmcnt(20)
	v_mul_f32_e32 v35, v64, v123
	v_fmac_f32_e32 v35, v65, v122
	v_add_f32_e32 v34, v34, v35
	s_waitcnt vmcnt(18) lgkmcnt(4)
	v_mul_f32_e32 v35, v66, v125
	v_fmac_f32_e32 v35, v67, v124
	v_add_f32_e32 v34, v34, v35
	s_waitcnt vmcnt(16)
	v_mul_f32_e32 v35, v68, v127
	v_fmac_f32_e32 v35, v69, v126
	v_add_f32_e32 v34, v34, v35
	s_waitcnt vmcnt(14) lgkmcnt(3)
	v_mul_f32_e32 v35, v70, v129
	v_fmac_f32_e32 v35, v71, v128
	v_add_f32_e32 v34, v34, v35
	s_waitcnt vmcnt(12)
	v_mul_f32_e32 v35, v72, v131
	v_fmac_f32_e32 v35, v73, v130
	v_add_f32_e32 v34, v34, v35
	s_waitcnt vmcnt(10) lgkmcnt(2)
	v_mul_f32_e32 v35, v74, v133
	v_fmac_f32_e32 v35, v75, v132
	v_add_f32_e32 v34, v34, v35
	s_waitcnt vmcnt(8)
	v_mul_f32_e32 v35, v76, v135
	v_fmac_f32_e32 v35, v77, v134
	v_add_f32_e32 v34, v34, v35
	s_waitcnt vmcnt(6) lgkmcnt(1)
	v_mul_f32_e32 v35, v78, v137
	v_fmac_f32_e32 v35, v79, v136
	v_add_f32_e32 v34, v34, v35
	s_waitcnt vmcnt(4)
	v_mul_f32_e32 v35, v80, v139
	v_fmac_f32_e32 v35, v81, v138
	v_add_f32_e32 v34, v34, v35
	s_waitcnt vmcnt(2) lgkmcnt(0)
	v_mul_f32_e32 v35, v82, v141
	v_fmac_f32_e32 v35, v83, v140
	v_add_f32_e32 v89, v34, v35
	ds_read_b128 v[34:37], v220 offset:816
	buffer_load_dword v249, off, s[0:3], 0 offset:368
	buffer_load_dword v250, off, s[0:3], 0 offset:372
	;; [unrolled: 1-line block ×18, first 2 shown]
	v_mul_f32_e32 v2, v31, v99
	v_fma_f32 v2, v30, v98, -v2
	v_add_f32_e32 v1, v1, v2
	v_mul_f32_e32 v2, v33, v101
	v_fma_f32 v2, v32, v100, -v2
	v_add_f32_e32 v1, v1, v2
	;; [unrolled: 3-line block ×24, first 2 shown]
	v_mul_f32_e32 v2, v83, v141
	v_fma_f32 v2, v82, v140, -v2
	s_waitcnt vmcnt(15)
	v_mov_b32_e32 v18, v93
	v_mul_f32_e32 v91, v84, v248
	v_add_f32_e32 v88, v1, v2
	v_mul_f32_e32 v1, v85, v248
	s_waitcnt lgkmcnt(0)
	v_pk_mul_f32 v[18:19], v[36:37], v[18:19] op_sel_hi:[1,0]
	v_fmac_f32_e32 v91, v85, v247
	v_mul_f32_e32 v205, v34, v250
	v_fma_f32 v90, v84, v247, -v1
	v_mul_f32_e32 v1, v35, v250
	ds_read_b128 v[2:5], v220 offset:832
	ds_read_b128 v[6:9], v220 offset:848
	;; [unrolled: 1-line block ×3, first 2 shown]
	ds_read_b64 v[14:15], v220 offset:880
	s_waitcnt vmcnt(14)
	v_pk_fma_f32 v[20:21], v[36:37], v[92:93], v[18:19] op_sel:[0,0,1] op_sel_hi:[1,1,0] neg_lo:[0,0,1] neg_hi:[0,0,1]
	v_pk_fma_f32 v[18:19], v[36:37], v[92:93], v[18:19] op_sel:[0,0,1] op_sel_hi:[1,0,0]
	v_fmac_f32_e32 v205, v35, v249
	v_fma_f32 v204, v34, v249, -v1
	v_pk_add_f32 v[16:17], v[88:89], v[90:91]
	s_waitcnt vmcnt(13)
	v_mov_b32_e32 v18, v219
	v_pk_add_f32 v[16:17], v[16:17], v[204:205]
	v_mov_b32_e32 v21, v19
	s_waitcnt lgkmcnt(3)
	v_pk_mul_f32 v[18:19], v[2:3], v[18:19] op_sel_hi:[1,0]
	v_pk_add_f32 v[16:17], v[16:17], v[20:21]
	s_waitcnt vmcnt(12)
	v_pk_fma_f32 v[20:21], v[2:3], v[218:219], v[18:19] op_sel:[0,0,1] op_sel_hi:[1,1,0] neg_lo:[0,0,1] neg_hi:[0,0,1]
	v_pk_fma_f32 v[2:3], v[2:3], v[218:219], v[18:19] op_sel:[0,0,1] op_sel_hi:[1,0,0]
	v_mov_b32_e32 v21, v3
	v_pk_add_f32 v[2:3], v[16:17], v[20:21]
	s_waitcnt vmcnt(11)
	v_mov_b32_e32 v16, v217
	v_pk_mul_f32 v[16:17], v[4:5], v[16:17] op_sel_hi:[1,0]
	s_waitcnt vmcnt(10)
	v_pk_fma_f32 v[18:19], v[4:5], v[216:217], v[16:17] op_sel:[0,0,1] op_sel_hi:[1,1,0] neg_lo:[0,0,1] neg_hi:[0,0,1]
	v_pk_fma_f32 v[4:5], v[4:5], v[216:217], v[16:17] op_sel:[0,0,1] op_sel_hi:[1,0,0]
	s_waitcnt vmcnt(9)
	v_mov_b32_e32 v4, v215
	v_mov_b32_e32 v19, v5
	s_waitcnt lgkmcnt(2)
	v_pk_mul_f32 v[4:5], v[6:7], v[4:5] op_sel_hi:[1,0]
	s_waitcnt vmcnt(8)
	v_pk_fma_f32 v[16:17], v[6:7], v[214:215], v[4:5] op_sel:[0,0,1] op_sel_hi:[1,1,0] neg_lo:[0,0,1] neg_hi:[0,0,1]
	v_pk_fma_f32 v[4:5], v[6:7], v[214:215], v[4:5] op_sel:[0,0,1] op_sel_hi:[1,0,0]
	s_waitcnt vmcnt(7)
	v_mov_b32_e32 v4, v213
	v_mov_b32_e32 v17, v5
	v_pk_mul_f32 v[4:5], v[8:9], v[4:5] op_sel_hi:[1,0]
	s_waitcnt vmcnt(6)
	v_pk_fma_f32 v[6:7], v[8:9], v[212:213], v[4:5] op_sel:[0,0,1] op_sel_hi:[1,1,0] neg_lo:[0,0,1] neg_hi:[0,0,1]
	v_pk_fma_f32 v[4:5], v[8:9], v[212:213], v[4:5] op_sel:[0,0,1] op_sel_hi:[1,0,0]
	v_pk_add_f32 v[2:3], v[2:3], v[18:19]
	s_waitcnt vmcnt(5)
	v_mov_b32_e32 v4, v211
	v_pk_add_f32 v[2:3], v[2:3], v[16:17]
	v_mov_b32_e32 v7, v5
	s_waitcnt lgkmcnt(1)
	v_pk_mul_f32 v[4:5], v[10:11], v[4:5] op_sel_hi:[1,0]
	v_pk_add_f32 v[2:3], v[2:3], v[6:7]
	s_waitcnt vmcnt(4)
	v_pk_fma_f32 v[6:7], v[10:11], v[210:211], v[4:5] op_sel:[0,0,1] op_sel_hi:[1,1,0] neg_lo:[0,0,1] neg_hi:[0,0,1]
	v_pk_fma_f32 v[4:5], v[10:11], v[210:211], v[4:5] op_sel:[0,0,1] op_sel_hi:[1,0,0]
	s_waitcnt vmcnt(3)
	v_mov_b32_e32 v4, v209
	v_mov_b32_e32 v7, v5
	v_pk_mul_f32 v[4:5], v[12:13], v[4:5] op_sel_hi:[1,0]
	v_pk_add_f32 v[2:3], v[2:3], v[6:7]
	s_waitcnt vmcnt(2)
	v_pk_fma_f32 v[6:7], v[12:13], v[208:209], v[4:5] op_sel:[0,0,1] op_sel_hi:[1,1,0] neg_lo:[0,0,1] neg_hi:[0,0,1]
	v_pk_fma_f32 v[4:5], v[12:13], v[208:209], v[4:5] op_sel:[0,0,1] op_sel_hi:[1,0,0]
	s_waitcnt vmcnt(1)
	v_mov_b32_e32 v4, v207
	v_mov_b32_e32 v7, v5
	s_waitcnt lgkmcnt(0)
	v_pk_mul_f32 v[4:5], v[14:15], v[4:5] op_sel_hi:[1,0]
	v_pk_add_f32 v[2:3], v[2:3], v[6:7]
	s_waitcnt vmcnt(0)
	v_pk_fma_f32 v[6:7], v[14:15], v[206:207], v[4:5] op_sel:[0,0,1] op_sel_hi:[1,1,0] neg_lo:[0,0,1] neg_hi:[0,0,1]
	v_pk_fma_f32 v[4:5], v[14:15], v[206:207], v[4:5] op_sel:[0,0,1] op_sel_hi:[1,0,0]
	v_mov_b32_e32 v7, v5
	v_pk_add_f32 v[2:3], v[2:3], v[6:7]
	v_pk_add_f32 v[2:3], v[86:87], v[2:3] neg_lo:[0,1] neg_hi:[0,1]
	buffer_store_dword v3, off, s[0:3], 0 offset:44
	buffer_store_dword v2, off, s[0:3], 0 offset:40
	s_and_saveexec_b64 s[4:5], vcc
	s_cbranch_execz .LBB54_335
; %bb.334:
	buffer_load_dword v2, off, s[0:3], 0 offset:32
	buffer_load_dword v3, off, s[0:3], 0 offset:36
	s_waitcnt vmcnt(0)
	ds_write_b64 v153, v[2:3]
	buffer_store_dword v220, off, s[0:3], 0 offset:32
	buffer_store_dword v220, off, s[0:3], 0 offset:36
.LBB54_335:
	s_or_b64 exec, exec, s[4:5]
	s_waitcnt lgkmcnt(0)
	; wave barrier
	s_waitcnt lgkmcnt(0)
	buffer_load_dword v40, off, s[0:3], 0 offset:44
	buffer_load_dword v39, off, s[0:3], 0 offset:52
	;; [unrolled: 1-line block ×32, first 2 shown]
	ds_read2_b64 v[22:25], v220 offset0:61 offset1:62
	ds_read2_b64 v[18:21], v220 offset0:63 offset1:64
	;; [unrolled: 1-line block ×6, first 2 shown]
	buffer_load_dword v140, off, s[0:3], 0 offset:160
	buffer_load_dword v141, off, s[0:3], 0 offset:164
	;; [unrolled: 1-line block ×20, first 2 shown]
	v_cmp_lt_u32_e32 vcc, 3, v0
	s_waitcnt vmcnt(51) lgkmcnt(5)
	v_mul_f32_e32 v26, v22, v40
	s_waitcnt vmcnt(50)
	v_mul_f32_e32 v27, v24, v39
	s_waitcnt vmcnt(49) lgkmcnt(4)
	v_mul_f32_e32 v29, v20, v38
	s_waitcnt vmcnt(48) lgkmcnt(3)
	v_mul_f32_e32 v30, v14, v37
	s_waitcnt vmcnt(47)
	v_mul_f32_e32 v31, v16, v36
	s_waitcnt vmcnt(46) lgkmcnt(2)
	v_mul_f32_e32 v32, v10, v1
	s_waitcnt vmcnt(45)
	v_mul_f32_e32 v28, v18, v41
	s_waitcnt vmcnt(44)
	v_mul_f32_e32 v33, v12, v42
	s_waitcnt vmcnt(43) lgkmcnt(1)
	v_mul_f32_e32 v47, v6, v43
	s_waitcnt vmcnt(42)
	v_mul_f32_e32 v48, v8, v44
	s_waitcnt vmcnt(41) lgkmcnt(0)
	v_mul_f32_e32 v49, v2, v45
	s_waitcnt vmcnt(40)
	v_mul_f32_e32 v50, v4, v46
	s_waitcnt vmcnt(39)
	v_fmac_f32_e32 v28, v19, v106
	s_waitcnt vmcnt(38)
	v_fmac_f32_e32 v27, v25, v108
	s_waitcnt vmcnt(37)
	v_fmac_f32_e32 v26, v23, v124
	v_add_f32_e32 v26, 0, v26
	v_add_f32_e32 v26, v26, v27
	;; [unrolled: 1-line block ×3, first 2 shown]
	s_waitcnt vmcnt(33)
	v_fmac_f32_e32 v29, v21, v128
	v_fmac_f32_e32 v30, v15, v127
	v_add_f32_e32 v26, v26, v29
	v_fmac_f32_e32 v31, v17, v126
	v_add_f32_e32 v26, v26, v30
	;; [unrolled: 2-line block ×3, first 2 shown]
	s_waitcnt vmcnt(29)
	v_fmac_f32_e32 v33, v13, v132
	v_add_f32_e32 v26, v26, v32
	v_fmac_f32_e32 v47, v7, v131
	v_add_f32_e32 v26, v26, v33
	;; [unrolled: 2-line block ×4, first 2 shown]
	v_add_f32_e32 v30, v26, v49
	ds_read2_b64 v[26:29], v220 offset0:73 offset1:74
	buffer_load_dword v223, off, s[0:3], 0 offset:240
	buffer_load_dword v224, off, s[0:3], 0 offset:244
	;; [unrolled: 1-line block ×4, first 2 shown]
	s_waitcnt vmcnt(28)
	v_fmac_f32_e32 v50, v5, v137
	v_add_f32_e32 v47, v30, v50
	ds_read2_b64 v[30:33], v220 offset0:75 offset1:76
	buffer_load_dword v227, off, s[0:3], 0 offset:256
	buffer_load_dword v228, off, s[0:3], 0 offset:260
	buffer_load_dword v229, off, s[0:3], 0 offset:264
	buffer_load_dword v230, off, s[0:3], 0 offset:268
	buffer_load_dword v231, off, s[0:3], 0 offset:272
	buffer_load_dword v232, off, s[0:3], 0 offset:276
	buffer_load_dword v233, off, s[0:3], 0 offset:280
	buffer_load_dword v234, off, s[0:3], 0 offset:284
	buffer_load_dword v235, off, s[0:3], 0 offset:288
	buffer_load_dword v236, off, s[0:3], 0 offset:292
	buffer_load_dword v237, off, s[0:3], 0 offset:296
	buffer_load_dword v238, off, s[0:3], 0 offset:300
	s_waitcnt vmcnt(39) lgkmcnt(1)
	v_mul_f32_e32 v48, v26, v138
	v_fmac_f32_e32 v48, v27, v136
	buffer_load_dword v239, off, s[0:3], 0 offset:304
	buffer_load_dword v240, off, s[0:3], 0 offset:308
	v_add_f32_e32 v47, v47, v48
	s_waitcnt vmcnt(40)
	v_mul_f32_e32 v48, v28, v139
	v_fmac_f32_e32 v48, v29, v135
	buffer_load_dword v241, off, s[0:3], 0 offset:312
	buffer_load_dword v242, off, s[0:3], 0 offset:316
	v_add_f32_e32 v47, v47, v48
	s_waitcnt lgkmcnt(0)
	v_mul_f32_e32 v48, v30, v134
	v_fmac_f32_e32 v48, v31, v133
	v_add_f32_e32 v47, v47, v48
	ds_read2_b64 v[48:51], v220 offset0:77 offset1:78
	buffer_load_dword v243, off, s[0:3], 0 offset:320
	buffer_load_dword v244, off, s[0:3], 0 offset:324
	s_waitcnt vmcnt(40)
	v_mul_f32_e32 v52, v32, v141
	v_fmac_f32_e32 v52, v33, v140
	v_add_f32_e32 v47, v47, v52
	ds_read2_b64 v[52:55], v220 offset0:79 offset1:80
	buffer_load_dword v245, off, s[0:3], 0 offset:328
	buffer_load_dword v246, off, s[0:3], 0 offset:332
	;; [unrolled: 1-line block ×8, first 2 shown]
	s_waitcnt vmcnt(46) lgkmcnt(1)
	v_mul_f32_e32 v56, v48, v205
	v_fmac_f32_e32 v56, v49, v204
	v_add_f32_e32 v47, v47, v56
	s_waitcnt vmcnt(44)
	v_mul_f32_e32 v56, v50, v207
	v_fmac_f32_e32 v56, v51, v206
	v_add_f32_e32 v47, v47, v56
	s_waitcnt vmcnt(42) lgkmcnt(0)
	v_mul_f32_e32 v56, v52, v209
	v_fmac_f32_e32 v56, v53, v208
	v_add_f32_e32 v47, v47, v56
	buffer_load_dword v253, off, s[0:3], 0 offset:360
	buffer_load_dword v254, off, s[0:3], 0 offset:364
	;; [unrolled: 1-line block ×4, first 2 shown]
	ds_read2_b64 v[56:59], v220 offset0:81 offset1:82
	s_waitcnt vmcnt(44)
	v_mul_f32_e32 v60, v54, v211
	v_fmac_f32_e32 v60, v55, v210
	v_add_f32_e32 v47, v47, v60
	ds_read2_b64 v[60:63], v220 offset0:83 offset1:84
	s_waitcnt vmcnt(42) lgkmcnt(1)
	v_mul_f32_e32 v64, v56, v213
	v_fmac_f32_e32 v64, v57, v212
	v_add_f32_e32 v47, v47, v64
	s_waitcnt vmcnt(40)
	v_mul_f32_e32 v64, v58, v215
	v_fmac_f32_e32 v64, v59, v214
	v_add_f32_e32 v47, v47, v64
	s_waitcnt vmcnt(38) lgkmcnt(0)
	v_mul_f32_e32 v64, v60, v217
	v_fmac_f32_e32 v64, v61, v216
	v_add_f32_e32 v47, v47, v64
	ds_read2_b64 v[64:67], v220 offset0:85 offset1:86
	s_waitcnt vmcnt(36)
	v_mul_f32_e32 v68, v62, v219
	v_fmac_f32_e32 v68, v63, v218
	v_add_f32_e32 v47, v47, v68
	ds_read2_b64 v[68:71], v220 offset0:87 offset1:88
	s_waitcnt vmcnt(34) lgkmcnt(1)
	v_mul_f32_e32 v72, v64, v222
	v_fmac_f32_e32 v72, v65, v221
	v_add_f32_e32 v47, v47, v72
	v_mul_f32_e32 v23, v23, v40
	v_fma_f32 v22, v22, v124, -v23
	v_mul_f32_e32 v23, v25, v39
	v_add_f32_e32 v22, 0, v22
	v_fma_f32 v23, v24, v108, -v23
	v_mul_f32_e32 v19, v19, v41
	v_add_f32_e32 v22, v22, v23
	;; [unrolled: 3-line block ×5, first 2 shown]
	s_waitcnt vmcnt(32)
	v_mul_f32_e32 v72, v66, v224
	v_fmac_f32_e32 v72, v67, v223
	v_add_f32_e32 v47, v47, v72
	s_waitcnt vmcnt(30) lgkmcnt(0)
	v_mul_f32_e32 v72, v68, v226
	v_fmac_f32_e32 v72, v69, v225
	v_add_f32_e32 v47, v47, v72
	ds_read2_b64 v[72:75], v220 offset0:89 offset1:90
	s_waitcnt vmcnt(28)
	v_mul_f32_e32 v76, v70, v228
	v_fmac_f32_e32 v76, v71, v227
	v_add_f32_e32 v47, v47, v76
	ds_read2_b64 v[76:79], v220 offset0:91 offset1:92
	s_waitcnt vmcnt(26) lgkmcnt(1)
	v_mul_f32_e32 v80, v72, v230
	v_fmac_f32_e32 v80, v73, v229
	v_add_f32_e32 v47, v47, v80
	s_waitcnt vmcnt(24)
	v_mul_f32_e32 v80, v74, v232
	v_fmac_f32_e32 v80, v75, v231
	v_add_f32_e32 v47, v47, v80
	s_waitcnt vmcnt(22) lgkmcnt(0)
	v_mul_f32_e32 v80, v76, v234
	v_fmac_f32_e32 v80, v77, v233
	v_add_f32_e32 v47, v47, v80
	ds_read2_b64 v[80:83], v220 offset0:93 offset1:94
	s_waitcnt vmcnt(20)
	v_mul_f32_e32 v84, v78, v236
	v_fmac_f32_e32 v84, v79, v235
	v_add_f32_e32 v47, v47, v84
	ds_read2_b64 v[84:87], v220 offset0:95 offset1:96
	s_waitcnt vmcnt(18) lgkmcnt(1)
	v_mul_f32_e32 v88, v80, v238
	v_fmac_f32_e32 v88, v81, v237
	v_add_f32_e32 v47, v47, v88
	s_waitcnt vmcnt(16)
	v_mul_f32_e32 v88, v82, v240
	v_fmac_f32_e32 v88, v83, v239
	v_add_f32_e32 v47, v47, v88
	s_waitcnt vmcnt(14) lgkmcnt(0)
	v_mul_f32_e32 v88, v84, v242
	v_fmac_f32_e32 v88, v85, v241
	v_add_f32_e32 v47, v47, v88
	ds_read2_b64 v[88:91], v220 offset0:97 offset1:98
	s_waitcnt vmcnt(12)
	v_mul_f32_e32 v92, v86, v244
	v_fmac_f32_e32 v92, v87, v243
	v_add_f32_e32 v47, v47, v92
	ds_read2_b64 v[92:95], v220 offset0:99 offset1:100
	buffer_load_dword v105, off, s[0:3], 0 offset:380
	buffer_load_dword v104, off, s[0:3], 0 offset:376
	s_waitcnt vmcnt(12) lgkmcnt(1)
	v_mul_f32_e32 v96, v88, v246
	v_fmac_f32_e32 v96, v89, v245
	v_add_f32_e32 v47, v47, v96
	s_waitcnt vmcnt(10)
	v_mul_f32_e32 v96, v90, v248
	v_fmac_f32_e32 v96, v91, v247
	v_add_f32_e32 v47, v47, v96
	s_waitcnt vmcnt(8) lgkmcnt(0)
	v_mul_f32_e32 v96, v92, v250
	v_fmac_f32_e32 v96, v93, v249
	s_waitcnt vmcnt(6)
	v_mul_f32_e32 v100, v94, v252
	v_add_f32_e32 v47, v47, v96
	v_fmac_f32_e32 v100, v95, v251
	ds_read2_b64 v[96:99], v220 offset0:101 offset1:102
	v_add_f32_e32 v47, v47, v100
	ds_read2_b64 v[100:103], v220 offset0:103 offset1:104
	buffer_load_dword v111, off, s[0:3], 0 offset:412
	buffer_load_dword v110, off, s[0:3], 0 offset:408
	;; [unrolled: 1-line block ×14, first 2 shown]
	v_fma_f32 v15, v16, v126, -v15
	v_mul_f32_e32 v1, v11, v1
	v_add_f32_e32 v14, v14, v15
	v_fma_f32 v1, v10, v125, -v1
	v_mul_f32_e32 v10, v13, v42
	v_add_f32_e32 v1, v14, v1
	;; [unrolled: 3-line block ×3, first 2 shown]
	v_fma_f32 v6, v6, v131, -v7
	v_add_f32_e32 v1, v1, v6
	v_mul_f32_e32 v6, v9, v44
	v_fma_f32 v6, v8, v130, -v6
	v_mul_f32_e32 v3, v3, v45
	v_add_f32_e32 v1, v1, v6
	v_fma_f32 v2, v2, v129, -v3
	v_add_f32_e32 v1, v1, v2
	v_mul_f32_e32 v2, v5, v46
	v_fma_f32 v2, v4, v137, -v2
	v_add_f32_e32 v1, v1, v2
	v_mul_f32_e32 v2, v27, v138
	;; [unrolled: 3-line block ×29, first 2 shown]
	v_fma_f32 v2, v94, v251, -v2
	s_waitcnt vmcnt(15)
	v_mov_b32_e32 v16, v105
	s_waitcnt lgkmcnt(1)
	v_mul_f32_e32 v107, v96, v254
	v_add_f32_e32 v46, v1, v2
	v_mul_f32_e32 v1, v97, v254
	s_waitcnt lgkmcnt(0)
	v_pk_mul_f32 v[16:17], v[100:101], v[16:17] op_sel_hi:[1,0]
	v_fmac_f32_e32 v107, v97, v253
	v_mul_f32_e32 v109, v98, v142
	v_fma_f32 v106, v96, v253, -v1
	v_mul_f32_e32 v1, v99, v142
	s_waitcnt vmcnt(14)
	v_pk_fma_f32 v[18:19], v[100:101], v[104:105], v[16:17] op_sel:[0,0,1] op_sel_hi:[1,1,0] neg_lo:[0,0,1] neg_hi:[0,0,1]
	v_pk_fma_f32 v[16:17], v[100:101], v[104:105], v[16:17] op_sel:[0,0,1] op_sel_hi:[1,0,0]
	v_fmac_f32_e32 v109, v99, v255
	v_fma_f32 v108, v98, v255, -v1
	v_pk_add_f32 v[14:15], v[46:47], v[106:107]
	s_waitcnt vmcnt(7)
	v_mov_b32_e32 v16, v117
	ds_read2_b64 v[2:5], v220 offset0:105 offset1:106
	ds_read2_b64 v[6:9], v220 offset0:107 offset1:108
	;; [unrolled: 1-line block ×3, first 2 shown]
	v_pk_add_f32 v[14:15], v[14:15], v[108:109]
	v_mov_b32_e32 v19, v17
	v_pk_mul_f32 v[16:17], v[102:103], v[16:17] op_sel_hi:[1,0]
	v_pk_add_f32 v[14:15], v[14:15], v[18:19]
	s_waitcnt vmcnt(6)
	v_pk_fma_f32 v[18:19], v[102:103], v[116:117], v[16:17] op_sel:[0,0,1] op_sel_hi:[1,1,0] neg_lo:[0,0,1] neg_hi:[0,0,1]
	v_pk_fma_f32 v[16:17], v[102:103], v[116:117], v[16:17] op_sel:[0,0,1] op_sel_hi:[1,0,0]
	v_mov_b32_e32 v16, v115
	v_mov_b32_e32 v19, v17
	s_waitcnt lgkmcnt(2)
	v_pk_mul_f32 v[16:17], v[2:3], v[16:17] op_sel_hi:[1,0]
	v_pk_add_f32 v[14:15], v[14:15], v[18:19]
	v_pk_fma_f32 v[18:19], v[2:3], v[114:115], v[16:17] op_sel:[0,0,1] op_sel_hi:[1,1,0] neg_lo:[0,0,1] neg_hi:[0,0,1]
	v_pk_fma_f32 v[2:3], v[2:3], v[114:115], v[16:17] op_sel:[0,0,1] op_sel_hi:[1,0,0]
	v_mov_b32_e32 v19, v3
	v_pk_add_f32 v[2:3], v[14:15], v[18:19]
	v_mov_b32_e32 v14, v113
	v_pk_mul_f32 v[14:15], v[4:5], v[14:15] op_sel_hi:[1,0]
	v_pk_fma_f32 v[16:17], v[4:5], v[112:113], v[14:15] op_sel:[0,0,1] op_sel_hi:[1,1,0] neg_lo:[0,0,1] neg_hi:[0,0,1]
	v_pk_fma_f32 v[4:5], v[4:5], v[112:113], v[14:15] op_sel:[0,0,1] op_sel_hi:[1,0,0]
	v_mov_b32_e32 v4, v111
	v_mov_b32_e32 v17, v5
	s_waitcnt lgkmcnt(1)
	v_pk_mul_f32 v[4:5], v[6:7], v[4:5] op_sel_hi:[1,0]
	v_pk_fma_f32 v[14:15], v[6:7], v[110:111], v[4:5] op_sel:[0,0,1] op_sel_hi:[1,1,0] neg_lo:[0,0,1] neg_hi:[0,0,1]
	v_pk_fma_f32 v[4:5], v[6:7], v[110:111], v[4:5] op_sel:[0,0,1] op_sel_hi:[1,0,0]
	s_waitcnt vmcnt(1)
	v_mov_b32_e32 v4, v123
	v_mov_b32_e32 v15, v5
	v_pk_mul_f32 v[4:5], v[8:9], v[4:5] op_sel_hi:[1,0]
	s_waitcnt vmcnt(0)
	v_pk_fma_f32 v[6:7], v[8:9], v[122:123], v[4:5] op_sel:[0,0,1] op_sel_hi:[1,1,0] neg_lo:[0,0,1] neg_hi:[0,0,1]
	v_pk_fma_f32 v[4:5], v[8:9], v[122:123], v[4:5] op_sel:[0,0,1] op_sel_hi:[1,0,0]
	v_pk_add_f32 v[2:3], v[2:3], v[16:17]
	v_mov_b32_e32 v4, v121
	v_pk_add_f32 v[2:3], v[2:3], v[14:15]
	v_mov_b32_e32 v7, v5
	s_waitcnt lgkmcnt(0)
	v_pk_mul_f32 v[4:5], v[10:11], v[4:5] op_sel_hi:[1,0]
	v_pk_add_f32 v[2:3], v[2:3], v[6:7]
	v_pk_fma_f32 v[6:7], v[10:11], v[120:121], v[4:5] op_sel:[0,0,1] op_sel_hi:[1,1,0] neg_lo:[0,0,1] neg_hi:[0,0,1]
	v_pk_fma_f32 v[4:5], v[10:11], v[120:121], v[4:5] op_sel:[0,0,1] op_sel_hi:[1,0,0]
	v_mov_b32_e32 v4, v119
	v_mov_b32_e32 v7, v5
	v_pk_mul_f32 v[4:5], v[12:13], v[4:5] op_sel_hi:[1,0]
	v_pk_add_f32 v[2:3], v[2:3], v[6:7]
	v_pk_fma_f32 v[6:7], v[12:13], v[118:119], v[4:5] op_sel:[0,0,1] op_sel_hi:[1,1,0] neg_lo:[0,0,1] neg_hi:[0,0,1]
	v_pk_fma_f32 v[4:5], v[12:13], v[118:119], v[4:5] op_sel:[0,0,1] op_sel_hi:[1,0,0]
	v_mov_b32_e32 v7, v5
	v_pk_add_f32 v[2:3], v[2:3], v[6:7]
	v_pk_add_f32 v[2:3], v[34:35], v[2:3] neg_lo:[0,1] neg_hi:[0,1]
	buffer_store_dword v3, off, s[0:3], 0 offset:36
	buffer_store_dword v2, off, s[0:3], 0 offset:32
	s_and_saveexec_b64 s[4:5], vcc
	s_cbranch_execz .LBB54_337
; %bb.336:
	buffer_load_dword v2, off, s[0:3], 0 offset:24
	buffer_load_dword v3, off, s[0:3], 0 offset:28
	v_mov_b32_e32 v1, 0
	buffer_store_dword v1, off, s[0:3], 0 offset:24
	buffer_store_dword v1, off, s[0:3], 0 offset:28
	s_waitcnt vmcnt(2)
	ds_write_b64 v153, v[2:3]
.LBB54_337:
	s_or_b64 exec, exec, s[4:5]
	s_waitcnt lgkmcnt(0)
	; wave barrier
	s_waitcnt lgkmcnt(0)
	buffer_load_dword v45, off, s[0:3], 0 offset:36
	buffer_load_dword v43, off, s[0:3], 0 offset:44
	;; [unrolled: 1-line block ×48, first 2 shown]
	v_mov_b32_e32 v44, 0
	ds_read_b128 v[22:25], v44 offset:480
	ds_read_b128 v[18:21], v44 offset:496
	;; [unrolled: 1-line block ×6, first 2 shown]
	buffer_load_dword v217, off, s[0:3], 0 offset:216
	buffer_load_dword v218, off, s[0:3], 0 offset:220
	v_cmp_lt_u32_e32 vcc, 2, v0
	s_waitcnt vmcnt(49) lgkmcnt(5)
	v_mul_f32_e32 v26, v22, v45
	s_waitcnt vmcnt(48)
	v_mul_f32_e32 v27, v24, v43
	s_waitcnt vmcnt(47) lgkmcnt(4)
	v_mul_f32_e32 v29, v20, v42
	s_waitcnt vmcnt(46) lgkmcnt(3)
	v_mul_f32_e32 v30, v14, v41
	s_waitcnt vmcnt(45)
	v_mul_f32_e32 v31, v16, v40
	s_waitcnt vmcnt(44) lgkmcnt(2)
	v_mul_f32_e32 v32, v10, v1
	s_waitcnt vmcnt(43)
	v_mul_f32_e32 v28, v18, v46
	s_waitcnt vmcnt(42)
	v_mul_f32_e32 v33, v12, v47
	s_waitcnt vmcnt(41) lgkmcnt(1)
	v_mul_f32_e32 v34, v6, v48
	s_waitcnt vmcnt(40)
	v_mul_f32_e32 v35, v8, v49
	s_waitcnt vmcnt(39) lgkmcnt(0)
	v_mul_f32_e32 v36, v2, v50
	s_waitcnt vmcnt(38)
	v_mul_f32_e32 v37, v4, v51
	s_waitcnt vmcnt(37)
	v_fmac_f32_e32 v28, v19, v57
	s_waitcnt vmcnt(36)
	v_fmac_f32_e32 v27, v25, v60
	;; [unrolled: 2-line block ×3, first 2 shown]
	v_add_f32_e32 v26, 0, v26
	v_add_f32_e32 v26, v26, v27
	;; [unrolled: 1-line block ×3, first 2 shown]
	s_waitcnt vmcnt(31)
	v_fmac_f32_e32 v29, v21, v62
	v_fmac_f32_e32 v30, v15, v59
	v_add_f32_e32 v26, v26, v29
	v_fmac_f32_e32 v31, v17, v56
	v_add_f32_e32 v26, v26, v30
	;; [unrolled: 2-line block ×3, first 2 shown]
	s_waitcnt vmcnt(27)
	v_fmac_f32_e32 v33, v13, v58
	v_add_f32_e32 v26, v26, v32
	v_fmac_f32_e32 v34, v7, v55
	v_add_f32_e32 v26, v26, v33
	v_fmac_f32_e32 v35, v9, v53
	v_add_f32_e32 v26, v26, v34
	v_fmac_f32_e32 v36, v3, v52
	v_add_f32_e32 v26, v26, v35
	s_waitcnt vmcnt(22)
	v_fmac_f32_e32 v37, v5, v138
	v_add_f32_e32 v26, v26, v36
	v_add_f32_e32 v34, v26, v37
	ds_read_b128 v[26:29], v44 offset:576
	buffer_load_dword v219, off, s[0:3], 0 offset:224
	buffer_load_dword v220, off, s[0:3], 0 offset:228
	ds_read_b128 v[30:33], v44 offset:592
	buffer_load_dword v221, off, s[0:3], 0 offset:232
	buffer_load_dword v222, off, s[0:3], 0 offset:236
	;; [unrolled: 1-line block ×12, first 2 shown]
	s_waitcnt vmcnt(35) lgkmcnt(1)
	v_mul_f32_e32 v35, v26, v139
	v_fmac_f32_e32 v35, v27, v137
	buffer_load_dword v233, off, s[0:3], 0 offset:280
	buffer_load_dword v234, off, s[0:3], 0 offset:284
	v_add_f32_e32 v34, v34, v35
	s_waitcnt vmcnt(36)
	v_mul_f32_e32 v35, v28, v140
	v_fmac_f32_e32 v35, v29, v136
	v_add_f32_e32 v34, v34, v35
	s_waitcnt lgkmcnt(0)
	v_mul_f32_e32 v35, v30, v118
	buffer_load_dword v235, off, s[0:3], 0 offset:288
	buffer_load_dword v236, off, s[0:3], 0 offset:292
	v_fmac_f32_e32 v35, v31, v61
	v_add_f32_e32 v63, v34, v35
	ds_read_b128 v[34:37], v44 offset:608
	buffer_load_dword v237, off, s[0:3], 0 offset:296
	buffer_load_dword v238, off, s[0:3], 0 offset:300
	;; [unrolled: 1-line block ×4, first 2 shown]
	s_waitcnt vmcnt(38)
	v_mul_f32_e32 v64, v32, v142
	v_fmac_f32_e32 v64, v33, v141
	v_add_f32_e32 v63, v63, v64
	ds_read_b128 v[64:67], v44 offset:624
	buffer_load_dword v241, off, s[0:3], 0 offset:312
	buffer_load_dword v242, off, s[0:3], 0 offset:316
	;; [unrolled: 1-line block ×10, first 2 shown]
	s_waitcnt vmcnt(46) lgkmcnt(1)
	v_mul_f32_e32 v68, v34, v204
	v_fmac_f32_e32 v68, v35, v143
	v_add_f32_e32 v63, v63, v68
	s_waitcnt vmcnt(44)
	v_mul_f32_e32 v68, v36, v206
	v_fmac_f32_e32 v68, v37, v205
	v_add_f32_e32 v63, v63, v68
	s_waitcnt vmcnt(42) lgkmcnt(0)
	v_mul_f32_e32 v68, v64, v208
	v_fmac_f32_e32 v68, v65, v207
	v_add_f32_e32 v63, v63, v68
	buffer_load_dword v251, off, s[0:3], 0 offset:352
	buffer_load_dword v252, off, s[0:3], 0 offset:356
	;; [unrolled: 1-line block ×6, first 2 shown]
	ds_read_b128 v[68:71], v44 offset:640
	s_waitcnt vmcnt(46)
	v_mul_f32_e32 v72, v66, v210
	v_fmac_f32_e32 v72, v67, v209
	v_add_f32_e32 v63, v63, v72
	ds_read_b128 v[72:75], v44 offset:656
	s_waitcnt vmcnt(44) lgkmcnt(1)
	v_mul_f32_e32 v76, v68, v212
	v_fmac_f32_e32 v76, v69, v211
	v_add_f32_e32 v63, v63, v76
	s_waitcnt vmcnt(42)
	v_mul_f32_e32 v76, v70, v214
	v_fmac_f32_e32 v76, v71, v213
	v_add_f32_e32 v63, v63, v76
	s_waitcnt vmcnt(40) lgkmcnt(0)
	v_mul_f32_e32 v76, v72, v216
	v_fmac_f32_e32 v76, v73, v215
	v_add_f32_e32 v63, v63, v76
	ds_read_b128 v[76:79], v44 offset:672
	s_waitcnt vmcnt(38)
	v_mul_f32_e32 v80, v74, v218
	v_fmac_f32_e32 v80, v75, v217
	v_add_f32_e32 v63, v63, v80
	ds_read_b128 v[80:83], v44 offset:688
	v_mul_f32_e32 v23, v23, v45
	v_fma_f32 v22, v22, v116, -v23
	v_mul_f32_e32 v23, v25, v43
	v_add_f32_e32 v22, 0, v22
	v_fma_f32 v23, v24, v60, -v23
	v_mul_f32_e32 v19, v19, v46
	v_add_f32_e32 v22, v22, v23
	;; [unrolled: 3-line block ×6, first 2 shown]
	v_fma_f32 v1, v10, v54, -v1
	s_waitcnt vmcnt(36) lgkmcnt(1)
	v_mul_f32_e32 v84, v76, v220
	v_fmac_f32_e32 v84, v77, v219
	v_add_f32_e32 v63, v63, v84
	s_waitcnt vmcnt(34)
	v_mul_f32_e32 v84, v78, v222
	v_fmac_f32_e32 v84, v79, v221
	v_add_f32_e32 v63, v63, v84
	s_waitcnt vmcnt(32) lgkmcnt(0)
	v_mul_f32_e32 v84, v80, v224
	v_fmac_f32_e32 v84, v81, v223
	v_add_f32_e32 v63, v63, v84
	ds_read_b128 v[84:87], v44 offset:704
	s_waitcnt vmcnt(30)
	v_mul_f32_e32 v88, v82, v226
	v_fmac_f32_e32 v88, v83, v225
	v_add_f32_e32 v63, v63, v88
	ds_read_b128 v[88:91], v44 offset:720
	s_waitcnt vmcnt(28) lgkmcnt(1)
	v_mul_f32_e32 v92, v84, v228
	v_fmac_f32_e32 v92, v85, v227
	v_add_f32_e32 v63, v63, v92
	s_waitcnt vmcnt(26)
	v_mul_f32_e32 v92, v86, v230
	v_fmac_f32_e32 v92, v87, v229
	v_add_f32_e32 v63, v63, v92
	s_waitcnt vmcnt(24) lgkmcnt(0)
	v_mul_f32_e32 v92, v88, v232
	v_fmac_f32_e32 v92, v89, v231
	v_add_f32_e32 v63, v63, v92
	ds_read_b128 v[92:95], v44 offset:736
	s_waitcnt vmcnt(22)
	v_mul_f32_e32 v96, v90, v234
	v_fmac_f32_e32 v96, v91, v233
	v_add_f32_e32 v63, v63, v96
	ds_read_b128 v[96:99], v44 offset:752
	;; [unrolled: 18-line block ×3, first 2 shown]
	s_waitcnt vmcnt(12) lgkmcnt(1)
	v_mul_f32_e32 v108, v100, v244
	v_fmac_f32_e32 v108, v101, v243
	v_add_f32_e32 v63, v63, v108
	s_waitcnt vmcnt(10)
	v_mul_f32_e32 v108, v102, v246
	v_fmac_f32_e32 v108, v103, v245
	v_add_f32_e32 v63, v63, v108
	s_waitcnt vmcnt(8) lgkmcnt(0)
	v_mul_f32_e32 v108, v104, v248
	v_fmac_f32_e32 v108, v105, v247
	s_waitcnt vmcnt(6)
	v_mul_f32_e32 v112, v106, v250
	v_add_f32_e32 v63, v63, v108
	v_fmac_f32_e32 v112, v107, v249
	ds_read_b128 v[108:111], v44 offset:800
	v_add_f32_e32 v63, v63, v112
	ds_read_b128 v[112:115], v44 offset:816
	buffer_load_dword v121, off, s[0:3], 0 offset:404
	buffer_load_dword v120, off, s[0:3], 0 offset:400
	buffer_load_dword v123, off, s[0:3], 0 offset:396
	buffer_load_dword v122, off, s[0:3], 0 offset:392
	buffer_load_dword v125, off, s[0:3], 0 offset:388
	buffer_load_dword v124, off, s[0:3], 0 offset:384
	buffer_load_dword v127, off, s[0:3], 0 offset:380
	buffer_load_dword v126, off, s[0:3], 0 offset:376
	buffer_load_dword v129, off, s[0:3], 0 offset:436
	buffer_load_dword v128, off, s[0:3], 0 offset:432
	buffer_load_dword v131, off, s[0:3], 0 offset:428
	buffer_load_dword v130, off, s[0:3], 0 offset:424
	buffer_load_dword v133, off, s[0:3], 0 offset:420
	buffer_load_dword v132, off, s[0:3], 0 offset:416
	buffer_load_dword v135, off, s[0:3], 0 offset:412
	buffer_load_dword v134, off, s[0:3], 0 offset:408
	v_mul_f32_e32 v10, v13, v47
	v_add_f32_e32 v1, v14, v1
	v_fma_f32 v10, v12, v58, -v10
	v_mul_f32_e32 v7, v7, v48
	v_add_f32_e32 v1, v1, v10
	v_fma_f32 v6, v6, v55, -v7
	v_add_f32_e32 v1, v1, v6
	v_mul_f32_e32 v6, v9, v49
	v_fma_f32 v6, v8, v53, -v6
	v_mul_f32_e32 v3, v3, v50
	v_add_f32_e32 v1, v1, v6
	v_fma_f32 v2, v2, v52, -v3
	v_add_f32_e32 v1, v1, v2
	v_mul_f32_e32 v2, v5, v51
	v_fma_f32 v2, v4, v138, -v2
	v_add_f32_e32 v1, v1, v2
	v_mul_f32_e32 v2, v27, v139
	;; [unrolled: 3-line block ×29, first 2 shown]
	v_fma_f32 v2, v106, v249, -v2
	s_waitcnt vmcnt(20) lgkmcnt(1)
	v_mul_f32_e32 v117, v108, v252
	v_add_f32_e32 v1, v1, v2
	v_mul_f32_e32 v2, v109, v252
	v_fmac_f32_e32 v117, v109, v251
	v_fma_f32 v2, v108, v251, -v2
	s_waitcnt vmcnt(9)
	v_mov_b32_e32 v18, v127
	v_add_f32_e32 v63, v63, v117
	v_mul_f32_e32 v117, v110, v254
	v_add_f32_e32 v62, v1, v2
	v_mul_f32_e32 v1, v111, v254
	s_waitcnt lgkmcnt(0)
	v_pk_mul_f32 v[18:19], v[114:115], v[18:19] op_sel_hi:[1,0]
	v_fmac_f32_e32 v117, v111, v253
	v_mul_f32_e32 v119, v112, v144
	v_fma_f32 v116, v110, v253, -v1
	v_mul_f32_e32 v1, v113, v144
	ds_read_b128 v[2:5], v44 offset:832
	ds_read_b128 v[6:9], v44 offset:848
	;; [unrolled: 1-line block ×3, first 2 shown]
	ds_read_b64 v[14:15], v44 offset:880
	s_waitcnt vmcnt(8)
	v_pk_fma_f32 v[20:21], v[114:115], v[126:127], v[18:19] op_sel:[0,0,1] op_sel_hi:[1,1,0] neg_lo:[0,0,1] neg_hi:[0,0,1]
	v_pk_fma_f32 v[18:19], v[114:115], v[126:127], v[18:19] op_sel:[0,0,1] op_sel_hi:[1,0,0]
	v_fmac_f32_e32 v119, v113, v255
	v_fma_f32 v118, v112, v255, -v1
	v_pk_add_f32 v[16:17], v[62:63], v[116:117]
	v_mov_b32_e32 v18, v125
	v_pk_add_f32 v[16:17], v[16:17], v[118:119]
	v_mov_b32_e32 v21, v19
	s_waitcnt lgkmcnt(3)
	v_pk_mul_f32 v[18:19], v[2:3], v[18:19] op_sel_hi:[1,0]
	v_pk_add_f32 v[16:17], v[16:17], v[20:21]
	v_pk_fma_f32 v[20:21], v[2:3], v[124:125], v[18:19] op_sel:[0,0,1] op_sel_hi:[1,1,0] neg_lo:[0,0,1] neg_hi:[0,0,1]
	v_pk_fma_f32 v[2:3], v[2:3], v[124:125], v[18:19] op_sel:[0,0,1] op_sel_hi:[1,0,0]
	v_mov_b32_e32 v21, v3
	v_pk_add_f32 v[2:3], v[16:17], v[20:21]
	v_mov_b32_e32 v16, v123
	v_pk_mul_f32 v[16:17], v[4:5], v[16:17] op_sel_hi:[1,0]
	v_pk_fma_f32 v[18:19], v[4:5], v[122:123], v[16:17] op_sel:[0,0,1] op_sel_hi:[1,1,0] neg_lo:[0,0,1] neg_hi:[0,0,1]
	v_pk_fma_f32 v[4:5], v[4:5], v[122:123], v[16:17] op_sel:[0,0,1] op_sel_hi:[1,0,0]
	v_mov_b32_e32 v4, v121
	v_mov_b32_e32 v19, v5
	s_waitcnt lgkmcnt(2)
	v_pk_mul_f32 v[4:5], v[6:7], v[4:5] op_sel_hi:[1,0]
	v_pk_fma_f32 v[16:17], v[6:7], v[120:121], v[4:5] op_sel:[0,0,1] op_sel_hi:[1,1,0] neg_lo:[0,0,1] neg_hi:[0,0,1]
	v_pk_fma_f32 v[4:5], v[6:7], v[120:121], v[4:5] op_sel:[0,0,1] op_sel_hi:[1,0,0]
	s_waitcnt vmcnt(1)
	v_mov_b32_e32 v4, v135
	v_mov_b32_e32 v17, v5
	v_pk_mul_f32 v[4:5], v[8:9], v[4:5] op_sel_hi:[1,0]
	s_waitcnt vmcnt(0)
	v_pk_fma_f32 v[6:7], v[8:9], v[134:135], v[4:5] op_sel:[0,0,1] op_sel_hi:[1,1,0] neg_lo:[0,0,1] neg_hi:[0,0,1]
	v_pk_fma_f32 v[4:5], v[8:9], v[134:135], v[4:5] op_sel:[0,0,1] op_sel_hi:[1,0,0]
	v_pk_add_f32 v[2:3], v[2:3], v[18:19]
	v_mov_b32_e32 v4, v133
	v_pk_add_f32 v[2:3], v[2:3], v[16:17]
	v_mov_b32_e32 v7, v5
	s_waitcnt lgkmcnt(1)
	v_pk_mul_f32 v[4:5], v[10:11], v[4:5] op_sel_hi:[1,0]
	v_pk_add_f32 v[2:3], v[2:3], v[6:7]
	v_pk_fma_f32 v[6:7], v[10:11], v[132:133], v[4:5] op_sel:[0,0,1] op_sel_hi:[1,1,0] neg_lo:[0,0,1] neg_hi:[0,0,1]
	v_pk_fma_f32 v[4:5], v[10:11], v[132:133], v[4:5] op_sel:[0,0,1] op_sel_hi:[1,0,0]
	v_mov_b32_e32 v4, v131
	v_mov_b32_e32 v7, v5
	v_pk_mul_f32 v[4:5], v[12:13], v[4:5] op_sel_hi:[1,0]
	v_pk_add_f32 v[2:3], v[2:3], v[6:7]
	v_pk_fma_f32 v[6:7], v[12:13], v[130:131], v[4:5] op_sel:[0,0,1] op_sel_hi:[1,1,0] neg_lo:[0,0,1] neg_hi:[0,0,1]
	v_pk_fma_f32 v[4:5], v[12:13], v[130:131], v[4:5] op_sel:[0,0,1] op_sel_hi:[1,0,0]
	v_mov_b32_e32 v4, v129
	v_mov_b32_e32 v7, v5
	s_waitcnt lgkmcnt(0)
	v_pk_mul_f32 v[4:5], v[14:15], v[4:5] op_sel_hi:[1,0]
	v_pk_add_f32 v[2:3], v[2:3], v[6:7]
	v_pk_fma_f32 v[6:7], v[14:15], v[128:129], v[4:5] op_sel:[0,0,1] op_sel_hi:[1,1,0] neg_lo:[0,0,1] neg_hi:[0,0,1]
	v_pk_fma_f32 v[4:5], v[14:15], v[128:129], v[4:5] op_sel:[0,0,1] op_sel_hi:[1,0,0]
	v_mov_b32_e32 v7, v5
	v_pk_add_f32 v[2:3], v[2:3], v[6:7]
	v_pk_add_f32 v[2:3], v[38:39], v[2:3] neg_lo:[0,1] neg_hi:[0,1]
	buffer_store_dword v3, off, s[0:3], 0 offset:28
	buffer_store_dword v2, off, s[0:3], 0 offset:24
	s_and_saveexec_b64 s[4:5], vcc
	s_cbranch_execz .LBB54_339
; %bb.338:
	buffer_load_dword v2, off, s[0:3], 0 offset:16
	buffer_load_dword v3, off, s[0:3], 0 offset:20
	s_waitcnt vmcnt(0)
	ds_write_b64 v153, v[2:3]
	buffer_store_dword v44, off, s[0:3], 0 offset:16
	buffer_store_dword v44, off, s[0:3], 0 offset:20
.LBB54_339:
	s_or_b64 exec, exec, s[4:5]
	s_waitcnt lgkmcnt(0)
	; wave barrier
	s_waitcnt lgkmcnt(0)
	buffer_load_dword v49, off, s[0:3], 0 offset:28
	buffer_load_dword v48, off, s[0:3], 0 offset:36
	;; [unrolled: 1-line block ×32, first 2 shown]
	ds_read2_b64 v[26:29], v44 offset0:59 offset1:60
	ds_read2_b64 v[22:25], v44 offset0:61 offset1:62
	;; [unrolled: 1-line block ×4, first 2 shown]
	buffer_load_dword v141, off, s[0:3], 0 offset:144
	buffer_load_dword v142, off, s[0:3], 0 offset:148
	ds_read2_b64 v[14:17], v44 offset0:67 offset1:68
	ds_read2_b64 v[6:9], v44 offset0:69 offset1:70
	;; [unrolled: 1-line block ×3, first 2 shown]
	buffer_load_dword v143, off, s[0:3], 0 offset:152
	buffer_load_dword v144, off, s[0:3], 0 offset:156
	;; [unrolled: 1-line block ×16, first 2 shown]
	v_cmp_lt_u32_e32 vcc, 1, v0
	s_waitcnt vmcnt(49) lgkmcnt(6)
	v_mul_f32_e32 v30, v26, v49
	s_waitcnt vmcnt(48)
	v_mul_f32_e32 v31, v28, v48
	s_waitcnt vmcnt(47) lgkmcnt(5)
	v_mul_f32_e32 v33, v24, v47
	s_waitcnt vmcnt(46) lgkmcnt(4)
	v_mul_f32_e32 v34, v18, v46
	s_waitcnt vmcnt(45)
	v_mul_f32_e32 v35, v20, v1
	s_waitcnt vmcnt(44)
	v_mul_f32_e32 v32, v22, v50
	s_waitcnt vmcnt(43) lgkmcnt(3)
	v_mul_f32_e32 v36, v10, v45
	s_waitcnt vmcnt(42)
	v_mul_f32_e32 v37, v12, v51
	s_waitcnt vmcnt(41) lgkmcnt(2)
	;; [unrolled: 4-line block ×3, first 2 shown]
	v_mul_f32_e32 v40, v6, v54
	s_waitcnt vmcnt(38)
	v_mul_f32_e32 v41, v8, v55
	s_waitcnt vmcnt(37)
	v_fmac_f32_e32 v32, v23, v61
	s_waitcnt vmcnt(36)
	v_fmac_f32_e32 v31, v29, v64
	;; [unrolled: 2-line block ×3, first 2 shown]
	v_add_f32_e32 v30, 0, v30
	v_add_f32_e32 v30, v30, v31
	;; [unrolled: 1-line block ×3, first 2 shown]
	s_waitcnt vmcnt(31)
	v_fmac_f32_e32 v33, v25, v65
	v_fmac_f32_e32 v34, v19, v63
	v_add_f32_e32 v30, v30, v33
	v_fmac_f32_e32 v35, v21, v60
	v_add_f32_e32 v30, v30, v34
	v_fmac_f32_e32 v36, v11, v58
	v_add_f32_e32 v30, v30, v35
	s_waitcnt vmcnt(27)
	v_fmac_f32_e32 v37, v13, v62
	v_add_f32_e32 v30, v30, v36
	v_fmac_f32_e32 v38, v15, v59
	v_add_f32_e32 v30, v30, v37
	;; [unrolled: 2-line block ×4, first 2 shown]
	s_waitcnt vmcnt(23)
	v_fmac_f32_e32 v41, v9, v137
	v_add_f32_e32 v30, v30, v40
	v_add_f32_e32 v34, v30, v41
	ds_read2_b64 v[30:33], v44 offset0:73 offset1:74
	buffer_load_dword v217, off, s[0:3], 0 offset:216
	buffer_load_dword v218, off, s[0:3], 0 offset:220
	;; [unrolled: 1-line block ×12, first 2 shown]
	s_waitcnt vmcnt(34) lgkmcnt(1)
	v_mul_f32_e32 v35, v2, v138
	v_fmac_f32_e32 v35, v3, v136
	buffer_load_dword v229, off, s[0:3], 0 offset:264
	buffer_load_dword v230, off, s[0:3], 0 offset:268
	v_add_f32_e32 v34, v34, v35
	s_waitcnt vmcnt(35)
	v_mul_f32_e32 v35, v4, v139
	v_fmac_f32_e32 v35, v5, v124
	v_add_f32_e32 v34, v34, v35
	s_waitcnt vmcnt(34) lgkmcnt(0)
	v_mul_f32_e32 v35, v30, v140
	v_fmac_f32_e32 v35, v31, v66
	buffer_load_dword v231, off, s[0:3], 0 offset:272
	buffer_load_dword v232, off, s[0:3], 0 offset:276
	v_add_f32_e32 v34, v34, v35
	s_waitcnt vmcnt(32)
	v_mul_f32_e32 v35, v32, v142
	v_fmac_f32_e32 v35, v33, v141
	v_add_f32_e32 v67, v34, v35
	ds_read2_b64 v[34:37], v44 offset0:75 offset1:76
	buffer_load_dword v233, off, s[0:3], 0 offset:280
	buffer_load_dword v234, off, s[0:3], 0 offset:284
	ds_read2_b64 v[38:41], v44 offset0:77 offset1:78
	buffer_load_dword v235, off, s[0:3], 0 offset:288
	buffer_load_dword v236, off, s[0:3], 0 offset:292
	;; [unrolled: 1-line block ×14, first 2 shown]
	s_waitcnt vmcnt(46) lgkmcnt(1)
	v_mul_f32_e32 v68, v34, v144
	v_fmac_f32_e32 v68, v35, v143
	v_add_f32_e32 v67, v67, v68
	s_waitcnt vmcnt(44)
	v_mul_f32_e32 v68, v36, v204
	v_fmac_f32_e32 v68, v37, v145
	v_add_f32_e32 v67, v67, v68
	s_waitcnt vmcnt(42) lgkmcnt(0)
	v_mul_f32_e32 v68, v38, v206
	v_fmac_f32_e32 v68, v39, v205
	v_add_f32_e32 v67, v67, v68
	buffer_load_dword v249, off, s[0:3], 0 offset:344
	buffer_load_dword v250, off, s[0:3], 0 offset:348
	ds_read2_b64 v[68:71], v44 offset0:79 offset1:80
	s_waitcnt vmcnt(42)
	v_mul_f32_e32 v72, v40, v208
	v_fmac_f32_e32 v72, v41, v207
	buffer_load_dword v251, off, s[0:3], 0 offset:352
	buffer_load_dword v252, off, s[0:3], 0 offset:356
	v_add_f32_e32 v67, v67, v72
	buffer_load_dword v253, off, s[0:3], 0 offset:360
	buffer_load_dword v254, off, s[0:3], 0 offset:364
	ds_read2_b64 v[72:75], v44 offset0:81 offset1:82
	s_waitcnt vmcnt(44) lgkmcnt(1)
	v_mul_f32_e32 v76, v68, v210
	v_fmac_f32_e32 v76, v69, v209
	v_add_f32_e32 v67, v67, v76
	s_waitcnt vmcnt(42)
	v_mul_f32_e32 v76, v70, v212
	v_fmac_f32_e32 v76, v71, v211
	v_add_f32_e32 v67, v67, v76
	s_waitcnt vmcnt(40) lgkmcnt(0)
	v_mul_f32_e32 v76, v72, v214
	v_fmac_f32_e32 v76, v73, v213
	buffer_load_dword v255, off, s[0:3], 0 offset:368
	buffer_load_dword v146, off, s[0:3], 0 offset:372
	v_add_f32_e32 v67, v67, v76
	ds_read2_b64 v[76:79], v44 offset0:83 offset1:84
	s_waitcnt vmcnt(40)
	v_mul_f32_e32 v80, v74, v216
	v_fmac_f32_e32 v80, v75, v215
	v_add_f32_e32 v67, v67, v80
	ds_read2_b64 v[80:83], v44 offset0:85 offset1:86
	v_mul_f32_e32 v27, v27, v49
	v_fma_f32 v26, v26, v116, -v27
	v_mul_f32_e32 v27, v29, v48
	v_add_f32_e32 v26, 0, v26
	v_fma_f32 v27, v28, v64, -v27
	v_mul_f32_e32 v23, v23, v50
	v_add_f32_e32 v26, v26, v27
	;; [unrolled: 3-line block ×5, first 2 shown]
	v_fma_f32 v1, v20, v60, -v1
	v_mul_f32_e32 v11, v11, v45
	s_waitcnt vmcnt(38) lgkmcnt(1)
	v_mul_f32_e32 v84, v76, v218
	v_fmac_f32_e32 v84, v77, v217
	v_add_f32_e32 v67, v67, v84
	s_waitcnt vmcnt(36)
	v_mul_f32_e32 v84, v78, v220
	v_fmac_f32_e32 v84, v79, v219
	v_add_f32_e32 v67, v67, v84
	s_waitcnt vmcnt(34) lgkmcnt(0)
	v_mul_f32_e32 v84, v80, v222
	v_fmac_f32_e32 v84, v81, v221
	v_add_f32_e32 v67, v67, v84
	ds_read2_b64 v[84:87], v44 offset0:87 offset1:88
	s_waitcnt vmcnt(32)
	v_mul_f32_e32 v88, v82, v224
	v_fmac_f32_e32 v88, v83, v223
	v_add_f32_e32 v67, v67, v88
	ds_read2_b64 v[88:91], v44 offset0:89 offset1:90
	s_waitcnt vmcnt(30) lgkmcnt(1)
	v_mul_f32_e32 v92, v84, v226
	v_fmac_f32_e32 v92, v85, v225
	v_add_f32_e32 v67, v67, v92
	s_waitcnt vmcnt(28)
	v_mul_f32_e32 v92, v86, v228
	v_fmac_f32_e32 v92, v87, v227
	v_add_f32_e32 v67, v67, v92
	s_waitcnt vmcnt(26) lgkmcnt(0)
	v_mul_f32_e32 v92, v88, v230
	v_fmac_f32_e32 v92, v89, v229
	v_add_f32_e32 v67, v67, v92
	ds_read2_b64 v[92:95], v44 offset0:91 offset1:92
	s_waitcnt vmcnt(24)
	v_mul_f32_e32 v96, v90, v232
	v_fmac_f32_e32 v96, v91, v231
	v_add_f32_e32 v67, v67, v96
	ds_read2_b64 v[96:99], v44 offset0:93 offset1:94
	;; [unrolled: 18-line block ×3, first 2 shown]
	s_waitcnt vmcnt(14) lgkmcnt(1)
	v_mul_f32_e32 v108, v100, v242
	v_fmac_f32_e32 v108, v101, v241
	v_add_f32_e32 v67, v67, v108
	s_waitcnt vmcnt(12)
	v_mul_f32_e32 v108, v102, v244
	v_fmac_f32_e32 v108, v103, v243
	v_add_f32_e32 v67, v67, v108
	s_waitcnt vmcnt(10) lgkmcnt(0)
	v_mul_f32_e32 v108, v104, v246
	v_fmac_f32_e32 v108, v105, v245
	s_waitcnt vmcnt(8)
	v_mul_f32_e32 v112, v106, v248
	v_add_f32_e32 v67, v67, v108
	v_fmac_f32_e32 v112, v107, v247
	ds_read2_b64 v[108:111], v44 offset0:99 offset1:100
	v_add_f32_e32 v67, v67, v112
	ds_read2_b64 v[112:115], v44 offset0:101 offset1:102
	buffer_load_dword v119, off, s[0:3], 0 offset:396
	buffer_load_dword v118, off, s[0:3], 0 offset:392
	buffer_load_dword v121, off, s[0:3], 0 offset:388
	buffer_load_dword v120, off, s[0:3], 0 offset:384
	buffer_load_dword v123, off, s[0:3], 0 offset:380
	buffer_load_dword v122, off, s[0:3], 0 offset:376
	v_add_f32_e32 v1, v18, v1
	v_fma_f32 v10, v10, v58, -v11
	v_add_f32_e32 v1, v1, v10
	v_mul_f32_e32 v10, v13, v51
	v_fma_f32 v10, v12, v62, -v10
	buffer_load_dword v127, off, s[0:3], 0 offset:428
	buffer_load_dword v126, off, s[0:3], 0 offset:424
	;; [unrolled: 1-line block ×10, first 2 shown]
	v_add_f32_e32 v1, v1, v10
	v_mul_f32_e32 v10, v15, v52
	v_fma_f32 v10, v14, v59, -v10
	v_add_f32_e32 v1, v1, v10
	v_mul_f32_e32 v10, v17, v53
	v_fma_f32 v10, v16, v57, -v10
	v_mul_f32_e32 v7, v7, v54
	v_add_f32_e32 v1, v1, v10
	v_fma_f32 v6, v6, v56, -v7
	v_add_f32_e32 v1, v1, v6
	v_mul_f32_e32 v6, v9, v55
	v_fma_f32 v6, v8, v137, -v6
	v_mul_f32_e32 v3, v3, v138
	v_add_f32_e32 v1, v1, v6
	v_fma_f32 v2, v2, v136, -v3
	v_add_f32_e32 v1, v1, v2
	v_mul_f32_e32 v2, v5, v139
	v_fma_f32 v2, v4, v124, -v2
	v_add_f32_e32 v1, v1, v2
	v_mul_f32_e32 v2, v31, v140
	;; [unrolled: 3-line block ×27, first 2 shown]
	v_fma_f32 v2, v106, v247, -v2
	v_add_f32_e32 v1, v1, v2
	s_waitcnt vmcnt(22) lgkmcnt(1)
	v_mul_f32_e32 v2, v109, v250
	v_mul_f32_e32 v117, v108, v250
	v_fma_f32 v2, v108, v249, -v2
	v_fmac_f32_e32 v117, v109, v249
	v_add_f32_e32 v1, v1, v2
	s_waitcnt vmcnt(20)
	v_mul_f32_e32 v2, v111, v252
	v_add_f32_e32 v67, v67, v117
	v_mul_f32_e32 v117, v110, v252
	v_fma_f32 v2, v110, v251, -v2
	v_fmac_f32_e32 v117, v111, v251
	v_add_f32_e32 v66, v1, v2
	ds_read2_b64 v[2:5], v44 offset0:103 offset1:104
	ds_read2_b64 v[6:9], v44 offset0:105 offset1:106
	ds_read2_b64 v[10:13], v44 offset0:107 offset1:108
	ds_read2_b64 v[14:17], v44 offset0:109 offset1:110
	v_add_f32_e32 v67, v67, v117
	s_waitcnt vmcnt(18) lgkmcnt(4)
	v_mul_f32_e32 v117, v112, v254
	v_mul_f32_e32 v1, v113, v254
	s_waitcnt vmcnt(11)
	v_mov_b32_e32 v20, v123
	v_fmac_f32_e32 v117, v113, v253
	v_mul_f32_e32 v125, v114, v146
	v_fma_f32 v116, v112, v253, -v1
	v_mul_f32_e32 v1, v115, v146
	s_waitcnt lgkmcnt(3)
	v_pk_mul_f32 v[20:21], v[2:3], v[20:21] op_sel_hi:[1,0]
	v_fmac_f32_e32 v125, v115, v255
	v_fma_f32 v124, v114, v255, -v1
	v_pk_add_f32 v[18:19], v[66:67], v[116:117]
	s_waitcnt vmcnt(10)
	v_pk_fma_f32 v[22:23], v[2:3], v[122:123], v[20:21] op_sel:[0,0,1] op_sel_hi:[1,1,0] neg_lo:[0,0,1] neg_hi:[0,0,1]
	v_pk_fma_f32 v[2:3], v[2:3], v[122:123], v[20:21] op_sel:[0,0,1] op_sel_hi:[1,0,0]
	v_pk_add_f32 v[18:19], v[18:19], v[124:125]
	v_mov_b32_e32 v23, v3
	v_pk_add_f32 v[2:3], v[18:19], v[22:23]
	v_mov_b32_e32 v18, v121
	v_pk_mul_f32 v[18:19], v[4:5], v[18:19] op_sel_hi:[1,0]
	v_pk_fma_f32 v[20:21], v[4:5], v[120:121], v[18:19] op_sel:[0,0,1] op_sel_hi:[1,1,0] neg_lo:[0,0,1] neg_hi:[0,0,1]
	v_pk_fma_f32 v[4:5], v[4:5], v[120:121], v[18:19] op_sel:[0,0,1] op_sel_hi:[1,0,0]
	v_mov_b32_e32 v4, v119
	v_mov_b32_e32 v21, v5
	s_waitcnt lgkmcnt(2)
	v_pk_mul_f32 v[4:5], v[6:7], v[4:5] op_sel_hi:[1,0]
	v_pk_fma_f32 v[18:19], v[6:7], v[118:119], v[4:5] op_sel:[0,0,1] op_sel_hi:[1,1,0] neg_lo:[0,0,1] neg_hi:[0,0,1]
	v_pk_fma_f32 v[4:5], v[6:7], v[118:119], v[4:5] op_sel:[0,0,1] op_sel_hi:[1,0,0]
	s_waitcnt vmcnt(3)
	v_mov_b32_e32 v4, v133
	v_mov_b32_e32 v19, v5
	v_pk_mul_f32 v[4:5], v[8:9], v[4:5] op_sel_hi:[1,0]
	s_waitcnt vmcnt(2)
	v_pk_fma_f32 v[6:7], v[8:9], v[132:133], v[4:5] op_sel:[0,0,1] op_sel_hi:[1,1,0] neg_lo:[0,0,1] neg_hi:[0,0,1]
	v_pk_fma_f32 v[4:5], v[8:9], v[132:133], v[4:5] op_sel:[0,0,1] op_sel_hi:[1,0,0]
	v_pk_add_f32 v[2:3], v[2:3], v[20:21]
	v_mov_b32_e32 v4, v131
	v_pk_add_f32 v[2:3], v[2:3], v[18:19]
	v_mov_b32_e32 v7, v5
	s_waitcnt lgkmcnt(1)
	v_pk_mul_f32 v[4:5], v[10:11], v[4:5] op_sel_hi:[1,0]
	v_pk_add_f32 v[2:3], v[2:3], v[6:7]
	v_pk_fma_f32 v[6:7], v[10:11], v[130:131], v[4:5] op_sel:[0,0,1] op_sel_hi:[1,1,0] neg_lo:[0,0,1] neg_hi:[0,0,1]
	v_pk_fma_f32 v[4:5], v[10:11], v[130:131], v[4:5] op_sel:[0,0,1] op_sel_hi:[1,0,0]
	v_mov_b32_e32 v4, v129
	v_mov_b32_e32 v7, v5
	v_pk_mul_f32 v[4:5], v[12:13], v[4:5] op_sel_hi:[1,0]
	v_pk_add_f32 v[2:3], v[2:3], v[6:7]
	v_pk_fma_f32 v[6:7], v[12:13], v[128:129], v[4:5] op_sel:[0,0,1] op_sel_hi:[1,1,0] neg_lo:[0,0,1] neg_hi:[0,0,1]
	v_pk_fma_f32 v[4:5], v[12:13], v[128:129], v[4:5] op_sel:[0,0,1] op_sel_hi:[1,0,0]
	v_mov_b32_e32 v4, v127
	v_mov_b32_e32 v7, v5
	s_waitcnt lgkmcnt(0)
	v_pk_mul_f32 v[4:5], v[14:15], v[4:5] op_sel_hi:[1,0]
	v_pk_add_f32 v[2:3], v[2:3], v[6:7]
	v_pk_fma_f32 v[6:7], v[14:15], v[126:127], v[4:5] op_sel:[0,0,1] op_sel_hi:[1,1,0] neg_lo:[0,0,1] neg_hi:[0,0,1]
	v_pk_fma_f32 v[4:5], v[14:15], v[126:127], v[4:5] op_sel:[0,0,1] op_sel_hi:[1,0,0]
	s_waitcnt vmcnt(1)
	v_mov_b32_e32 v4, v135
	v_mov_b32_e32 v7, v5
	v_pk_mul_f32 v[4:5], v[16:17], v[4:5] op_sel_hi:[1,0]
	v_pk_add_f32 v[2:3], v[2:3], v[6:7]
	s_waitcnt vmcnt(0)
	v_pk_fma_f32 v[6:7], v[16:17], v[134:135], v[4:5] op_sel:[0,0,1] op_sel_hi:[1,1,0] neg_lo:[0,0,1] neg_hi:[0,0,1]
	v_pk_fma_f32 v[4:5], v[16:17], v[134:135], v[4:5] op_sel:[0,0,1] op_sel_hi:[1,0,0]
	v_mov_b32_e32 v7, v5
	v_pk_add_f32 v[2:3], v[2:3], v[6:7]
	v_pk_add_f32 v[2:3], v[42:43], v[2:3] neg_lo:[0,1] neg_hi:[0,1]
	buffer_store_dword v3, off, s[0:3], 0 offset:20
	buffer_store_dword v2, off, s[0:3], 0 offset:16
	s_and_saveexec_b64 s[4:5], vcc
	s_cbranch_execz .LBB54_341
; %bb.340:
	buffer_load_dword v2, off, s[0:3], 0 offset:8
	buffer_load_dword v3, off, s[0:3], 0 offset:12
	v_mov_b32_e32 v1, 0
	buffer_store_dword v1, off, s[0:3], 0 offset:8
	buffer_store_dword v1, off, s[0:3], 0 offset:12
	s_waitcnt vmcnt(2)
	ds_write_b64 v153, v[2:3]
.LBB54_341:
	s_or_b64 exec, exec, s[4:5]
	v_mov_b32_e32 v228, 0
	s_waitcnt lgkmcnt(0)
	; wave barrier
	s_waitcnt lgkmcnt(0)
	ds_read_b128 v[2:5], v228 offset:464
	buffer_load_dword v204, off, s[0:3], 0 offset:8
	buffer_load_dword v205, off, s[0:3], 0 offset:12
	;; [unrolled: 1-line block ×16, first 2 shown]
	v_cmp_ne_u32_e32 vcc, 0, v0
	s_waitcnt vmcnt(12) lgkmcnt(0)
	v_mul_f32_e32 v1, v2, v229
	v_fmac_f32_e32 v1, v3, v206
	s_waitcnt vmcnt(10)
	v_mul_f32_e32 v6, v4, v231
	v_add_f32_e32 v1, 0, v1
	v_fmac_f32_e32 v6, v5, v208
	v_add_f32_e32 v1, v1, v6
	ds_read_b128 v[6:9], v228 offset:480
	v_mul_f32_e32 v3, v3, v229
	v_fma_f32 v2, v2, v206, -v3
	v_mul_f32_e32 v3, v5, v231
	v_add_f32_e32 v2, 0, v2
	s_waitcnt vmcnt(8) lgkmcnt(0)
	v_mul_f32_e32 v10, v6, v233
	v_fmac_f32_e32 v10, v7, v212
	v_add_f32_e32 v1, v1, v10
	s_waitcnt vmcnt(6)
	v_mul_f32_e32 v10, v8, v235
	v_fmac_f32_e32 v10, v9, v230
	v_add_f32_e32 v1, v1, v10
	ds_read_b128 v[10:13], v228 offset:496
	v_fma_f32 v3, v4, v208, -v3
	v_add_f32_e32 v2, v2, v3
	v_mul_f32_e32 v3, v7, v233
	v_fma_f32 v3, v6, v212, -v3
	s_waitcnt vmcnt(4) lgkmcnt(0)
	v_mul_f32_e32 v14, v10, v237
	v_fmac_f32_e32 v14, v11, v232
	v_add_f32_e32 v1, v1, v14
	s_waitcnt vmcnt(2)
	v_mul_f32_e32 v14, v12, v238
	v_fmac_f32_e32 v14, v13, v234
	v_add_f32_e32 v1, v1, v14
	ds_read_b128 v[14:17], v228 offset:512
	buffer_load_dword v240, off, s[0:3], 0 offset:72
	buffer_load_dword v241, off, s[0:3], 0 offset:76
	v_add_f32_e32 v2, v2, v3
	v_mul_f32_e32 v3, v9, v235
	v_fma_f32 v3, v8, v230, -v3
	s_waitcnt vmcnt(2) lgkmcnt(0)
	v_mul_f32_e32 v18, v14, v239
	v_fmac_f32_e32 v18, v15, v236
	v_add_f32_e32 v1, v1, v18
	v_add_f32_e32 v2, v2, v3
	v_mul_f32_e32 v3, v11, v237
	v_fma_f32 v3, v10, v232, -v3
	v_add_f32_e32 v2, v2, v3
	v_mul_f32_e32 v3, v13, v238
	v_fma_f32 v3, v12, v234, -v3
	;; [unrolled: 3-line block ×3, first 2 shown]
	v_add_f32_e32 v2, v2, v3
	s_waitcnt vmcnt(0)
	v_mul_f32_e32 v18, v16, v241
	v_fmac_f32_e32 v18, v17, v240
	v_add_f32_e32 v1, v1, v18
	ds_read_b128 v[18:21], v228 offset:528
	buffer_load_dword v242, off, s[0:3], 0 offset:80
	buffer_load_dword v243, off, s[0:3], 0 offset:84
	;; [unrolled: 1-line block ×4, first 2 shown]
	v_mul_f32_e32 v3, v17, v241
	v_fma_f32 v3, v16, v240, -v3
	v_add_f32_e32 v2, v2, v3
	s_waitcnt vmcnt(2) lgkmcnt(0)
	v_mul_f32_e32 v22, v18, v243
	v_fmac_f32_e32 v22, v19, v242
	v_add_f32_e32 v1, v1, v22
	s_waitcnt vmcnt(0)
	v_mul_f32_e32 v22, v20, v245
	v_fmac_f32_e32 v22, v21, v244
	v_add_f32_e32 v1, v1, v22
	ds_read_b128 v[22:25], v228 offset:544
	buffer_load_dword v246, off, s[0:3], 0 offset:96
	buffer_load_dword v247, off, s[0:3], 0 offset:100
	;; [unrolled: 1-line block ×4, first 2 shown]
	v_mul_f32_e32 v3, v19, v243
	v_fma_f32 v3, v18, v242, -v3
	v_add_f32_e32 v2, v2, v3
	v_mul_f32_e32 v3, v21, v245
	v_fma_f32 v3, v20, v244, -v3
	v_add_f32_e32 v2, v2, v3
	s_waitcnt vmcnt(2) lgkmcnt(0)
	v_mul_f32_e32 v26, v22, v247
	v_fmac_f32_e32 v26, v23, v246
	v_add_f32_e32 v1, v1, v26
	s_waitcnt vmcnt(0)
	v_mul_f32_e32 v26, v24, v249
	v_fmac_f32_e32 v26, v25, v248
	v_add_f32_e32 v1, v1, v26
	ds_read_b128 v[26:29], v228 offset:560
	buffer_load_dword v250, off, s[0:3], 0 offset:112
	buffer_load_dword v251, off, s[0:3], 0 offset:116
	;; [unrolled: 1-line block ×4, first 2 shown]
	v_mul_f32_e32 v3, v23, v247
	v_fma_f32 v3, v22, v246, -v3
	v_add_f32_e32 v2, v2, v3
	v_mul_f32_e32 v3, v25, v249
	v_fma_f32 v3, v24, v248, -v3
	v_add_f32_e32 v2, v2, v3
	s_waitcnt vmcnt(2) lgkmcnt(0)
	v_mul_f32_e32 v30, v26, v251
	v_fmac_f32_e32 v30, v27, v250
	v_add_f32_e32 v1, v1, v30
	s_waitcnt vmcnt(0)
	v_mul_f32_e32 v30, v28, v253
	v_fmac_f32_e32 v30, v29, v252
	v_add_f32_e32 v1, v1, v30
	ds_read_b128 v[30:33], v228 offset:576
	buffer_load_dword v254, off, s[0:3], 0 offset:128
	buffer_load_dword v255, off, s[0:3], 0 offset:132
	v_mul_f32_e32 v3, v27, v251
	v_fma_f32 v3, v26, v250, -v3
	v_add_f32_e32 v2, v2, v3
	v_mul_f32_e32 v3, v29, v253
	v_fma_f32 v3, v28, v252, -v3
	v_add_f32_e32 v2, v2, v3
	s_waitcnt vmcnt(0) lgkmcnt(0)
	v_mul_f32_e32 v34, v30, v255
	v_fmac_f32_e32 v34, v31, v254
	v_add_f32_e32 v34, v1, v34
	buffer_load_dword v1, off, s[0:3], 0 offset:136
	buffer_load_dword v94, off, s[0:3], 0 offset:140
	v_mul_f32_e32 v3, v31, v255
	v_fma_f32 v3, v30, v254, -v3
	v_add_f32_e32 v2, v2, v3
	s_waitcnt vmcnt(0)
	v_mul_f32_e32 v35, v32, v94
	v_fmac_f32_e32 v35, v33, v1
	v_add_f32_e32 v38, v34, v35
	ds_read_b128 v[34:37], v228 offset:592
	buffer_load_dword v95, off, s[0:3], 0 offset:144
	buffer_load_dword v96, off, s[0:3], 0 offset:148
	;; [unrolled: 1-line block ×4, first 2 shown]
	v_mul_f32_e32 v3, v33, v94
	v_fma_f32 v1, v32, v1, -v3
	v_add_f32_e32 v1, v2, v1
	s_waitcnt vmcnt(2) lgkmcnt(0)
	v_mul_f32_e32 v39, v34, v96
	v_fmac_f32_e32 v39, v35, v95
	v_add_f32_e32 v38, v38, v39
	s_waitcnt vmcnt(0)
	v_mul_f32_e32 v39, v36, v98
	v_fmac_f32_e32 v39, v37, v97
	v_add_f32_e32 v42, v38, v39
	ds_read_b128 v[38:41], v228 offset:608
	buffer_load_dword v99, off, s[0:3], 0 offset:160
	buffer_load_dword v100, off, s[0:3], 0 offset:164
	buffer_load_dword v101, off, s[0:3], 0 offset:168
	buffer_load_dword v102, off, s[0:3], 0 offset:172
	ds_read_b128 v[46:49], v228 offset:624
	buffer_load_dword v103, off, s[0:3], 0 offset:176
	buffer_load_dword v104, off, s[0:3], 0 offset:180
	buffer_load_dword v105, off, s[0:3], 0 offset:184
	buffer_load_dword v106, off, s[0:3], 0 offset:188
	;; [unrolled: 5-line block ×13, first 2 shown]
	v_mul_f32_e32 v2, v35, v96
	v_fma_f32 v2, v34, v95, -v2
	v_add_f32_e32 v1, v1, v2
	v_mul_f32_e32 v2, v37, v98
	v_fma_f32 v2, v36, v97, -v2
	v_add_f32_e32 v1, v1, v2
	s_waitcnt vmcnt(50) lgkmcnt(12)
	v_mul_f32_e32 v43, v38, v100
	v_fmac_f32_e32 v43, v39, v99
	v_add_f32_e32 v42, v42, v43
	s_waitcnt vmcnt(48)
	v_mul_f32_e32 v43, v40, v102
	v_fmac_f32_e32 v43, v41, v101
	v_add_f32_e32 v42, v42, v43
	s_waitcnt vmcnt(46) lgkmcnt(11)
	v_mul_f32_e32 v43, v46, v104
	v_fmac_f32_e32 v43, v47, v103
	v_add_f32_e32 v42, v42, v43
	s_waitcnt vmcnt(44)
	v_mul_f32_e32 v43, v48, v106
	v_fmac_f32_e32 v43, v49, v105
	;; [unrolled: 8-line block ×12, first 2 shown]
	v_add_f32_e32 v42, v42, v43
	s_waitcnt vmcnt(2) lgkmcnt(0)
	v_mul_f32_e32 v43, v90, v148
	v_fmac_f32_e32 v43, v91, v147
	v_add_f32_e32 v207, v42, v43
	ds_read_b128 v[42:45], v228 offset:816
	buffer_load_dword v151, off, s[0:3], 0 offset:368
	buffer_load_dword v152, off, s[0:3], 0 offset:372
	;; [unrolled: 1-line block ×18, first 2 shown]
	v_mul_f32_e32 v2, v39, v100
	v_fma_f32 v2, v38, v99, -v2
	v_add_f32_e32 v1, v1, v2
	v_mul_f32_e32 v2, v41, v102
	v_fma_f32 v2, v40, v101, -v2
	v_add_f32_e32 v1, v1, v2
	;; [unrolled: 3-line block ×24, first 2 shown]
	v_mul_f32_e32 v2, v91, v148
	v_fma_f32 v2, v90, v147, -v2
	s_waitcnt vmcnt(15)
	v_mov_b32_e32 v18, v211
	v_mul_f32_e32 v209, v92, v150
	v_add_f32_e32 v206, v1, v2
	v_mul_f32_e32 v1, v93, v150
	s_waitcnt lgkmcnt(0)
	v_pk_mul_f32 v[18:19], v[44:45], v[18:19] op_sel_hi:[1,0]
	v_fmac_f32_e32 v209, v93, v149
	v_mul_f32_e32 v213, v42, v152
	v_fma_f32 v208, v92, v149, -v1
	v_mul_f32_e32 v1, v43, v152
	ds_read_b128 v[2:5], v228 offset:832
	ds_read_b128 v[6:9], v228 offset:848
	;; [unrolled: 1-line block ×3, first 2 shown]
	ds_read_b64 v[14:15], v228 offset:880
	s_waitcnt vmcnt(14)
	v_pk_fma_f32 v[20:21], v[44:45], v[210:211], v[18:19] op_sel:[0,0,1] op_sel_hi:[1,1,0] neg_lo:[0,0,1] neg_hi:[0,0,1]
	v_pk_fma_f32 v[18:19], v[44:45], v[210:211], v[18:19] op_sel:[0,0,1] op_sel_hi:[1,0,0]
	v_fmac_f32_e32 v213, v43, v151
	v_fma_f32 v212, v42, v151, -v1
	v_pk_add_f32 v[16:17], v[206:207], v[208:209]
	s_waitcnt vmcnt(13)
	v_mov_b32_e32 v18, v227
	v_pk_add_f32 v[16:17], v[16:17], v[212:213]
	v_mov_b32_e32 v21, v19
	s_waitcnt lgkmcnt(3)
	v_pk_mul_f32 v[18:19], v[2:3], v[18:19] op_sel_hi:[1,0]
	v_pk_add_f32 v[16:17], v[16:17], v[20:21]
	s_waitcnt vmcnt(12)
	v_pk_fma_f32 v[20:21], v[2:3], v[226:227], v[18:19] op_sel:[0,0,1] op_sel_hi:[1,1,0] neg_lo:[0,0,1] neg_hi:[0,0,1]
	v_pk_fma_f32 v[2:3], v[2:3], v[226:227], v[18:19] op_sel:[0,0,1] op_sel_hi:[1,0,0]
	v_mov_b32_e32 v21, v3
	v_pk_add_f32 v[2:3], v[16:17], v[20:21]
	s_waitcnt vmcnt(11)
	v_mov_b32_e32 v16, v225
	v_pk_mul_f32 v[16:17], v[4:5], v[16:17] op_sel_hi:[1,0]
	s_waitcnt vmcnt(10)
	v_pk_fma_f32 v[18:19], v[4:5], v[224:225], v[16:17] op_sel:[0,0,1] op_sel_hi:[1,1,0] neg_lo:[0,0,1] neg_hi:[0,0,1]
	v_pk_fma_f32 v[4:5], v[4:5], v[224:225], v[16:17] op_sel:[0,0,1] op_sel_hi:[1,0,0]
	s_waitcnt vmcnt(9)
	v_mov_b32_e32 v4, v223
	v_mov_b32_e32 v19, v5
	s_waitcnt lgkmcnt(2)
	v_pk_mul_f32 v[4:5], v[6:7], v[4:5] op_sel_hi:[1,0]
	s_waitcnt vmcnt(8)
	v_pk_fma_f32 v[16:17], v[6:7], v[222:223], v[4:5] op_sel:[0,0,1] op_sel_hi:[1,1,0] neg_lo:[0,0,1] neg_hi:[0,0,1]
	v_pk_fma_f32 v[4:5], v[6:7], v[222:223], v[4:5] op_sel:[0,0,1] op_sel_hi:[1,0,0]
	s_waitcnt vmcnt(7)
	v_mov_b32_e32 v4, v221
	v_mov_b32_e32 v17, v5
	v_pk_mul_f32 v[4:5], v[8:9], v[4:5] op_sel_hi:[1,0]
	s_waitcnt vmcnt(6)
	v_pk_fma_f32 v[6:7], v[8:9], v[220:221], v[4:5] op_sel:[0,0,1] op_sel_hi:[1,1,0] neg_lo:[0,0,1] neg_hi:[0,0,1]
	v_pk_fma_f32 v[4:5], v[8:9], v[220:221], v[4:5] op_sel:[0,0,1] op_sel_hi:[1,0,0]
	v_pk_add_f32 v[2:3], v[2:3], v[18:19]
	s_waitcnt vmcnt(5)
	v_mov_b32_e32 v4, v219
	v_pk_add_f32 v[2:3], v[2:3], v[16:17]
	v_mov_b32_e32 v7, v5
	s_waitcnt lgkmcnt(1)
	v_pk_mul_f32 v[4:5], v[10:11], v[4:5] op_sel_hi:[1,0]
	v_pk_add_f32 v[2:3], v[2:3], v[6:7]
	s_waitcnt vmcnt(4)
	v_pk_fma_f32 v[6:7], v[10:11], v[218:219], v[4:5] op_sel:[0,0,1] op_sel_hi:[1,1,0] neg_lo:[0,0,1] neg_hi:[0,0,1]
	v_pk_fma_f32 v[4:5], v[10:11], v[218:219], v[4:5] op_sel:[0,0,1] op_sel_hi:[1,0,0]
	s_waitcnt vmcnt(3)
	v_mov_b32_e32 v4, v217
	v_mov_b32_e32 v7, v5
	v_pk_mul_f32 v[4:5], v[12:13], v[4:5] op_sel_hi:[1,0]
	v_pk_add_f32 v[2:3], v[2:3], v[6:7]
	s_waitcnt vmcnt(2)
	v_pk_fma_f32 v[6:7], v[12:13], v[216:217], v[4:5] op_sel:[0,0,1] op_sel_hi:[1,1,0] neg_lo:[0,0,1] neg_hi:[0,0,1]
	v_pk_fma_f32 v[4:5], v[12:13], v[216:217], v[4:5] op_sel:[0,0,1] op_sel_hi:[1,0,0]
	s_waitcnt vmcnt(1)
	v_mov_b32_e32 v4, v215
	v_mov_b32_e32 v7, v5
	s_waitcnt lgkmcnt(0)
	v_pk_mul_f32 v[4:5], v[14:15], v[4:5] op_sel_hi:[1,0]
	v_pk_add_f32 v[2:3], v[2:3], v[6:7]
	s_waitcnt vmcnt(0)
	v_pk_fma_f32 v[6:7], v[14:15], v[214:215], v[4:5] op_sel:[0,0,1] op_sel_hi:[1,1,0] neg_lo:[0,0,1] neg_hi:[0,0,1]
	v_pk_fma_f32 v[4:5], v[14:15], v[214:215], v[4:5] op_sel:[0,0,1] op_sel_hi:[1,0,0]
	v_mov_b32_e32 v7, v5
	v_pk_add_f32 v[2:3], v[2:3], v[6:7]
	v_pk_add_f32 v[2:3], v[204:205], v[2:3] neg_lo:[0,1] neg_hi:[0,1]
	buffer_store_dword v3, off, s[0:3], 0 offset:12
	buffer_store_dword v2, off, s[0:3], 0 offset:8
	s_and_saveexec_b64 s[4:5], vcc
	s_cbranch_execz .LBB54_343
; %bb.342:
	buffer_load_dword v0, off, s[0:3], 0
	buffer_load_dword v1, off, s[0:3], 0 offset:4
	s_waitcnt vmcnt(0)
	ds_write_b64 v153, v[0:1]
	buffer_store_dword v228, off, s[0:3], 0
	buffer_store_dword v228, off, s[0:3], 0 offset:4
.LBB54_343:
	s_or_b64 exec, exec, s[4:5]
	s_waitcnt lgkmcnt(0)
	; wave barrier
	s_waitcnt lgkmcnt(0)
	buffer_load_dword v47, off, s[0:3], 0 offset:12
	buffer_load_dword v46, off, s[0:3], 0 offset:20
	;; [unrolled: 1-line block ×32, first 2 shown]
	buffer_load_dword v40, off, s[0:3], 0
	buffer_load_dword v41, off, s[0:3], 0 offset:4
	ds_read2_b64 v[28:31], v228 offset0:57 offset1:58
	ds_read2_b64 v[24:27], v228 offset0:59 offset1:60
	;; [unrolled: 1-line block ×6, first 2 shown]
	buffer_load_dword v149, off, s[0:3], 0 offset:136
	buffer_load_dword v150, off, s[0:3], 0 offset:140
	ds_read2_b64 v[8:11], v228 offset0:69 offset1:70
	ds_read2_b64 v[0:3], v228 offset0:71 offset1:72
	buffer_load_dword v151, off, s[0:3], 0 offset:144
	buffer_load_dword v152, off, s[0:3], 0 offset:148
	;; [unrolled: 1-line block ×24, first 2 shown]
	s_and_b64 vcc, exec, s[20:21]
	s_waitcnt vmcnt(59) lgkmcnt(7)
	v_mul_f32_e32 v32, v28, v47
	s_waitcnt vmcnt(58)
	v_mul_f32_e32 v33, v30, v46
	s_waitcnt vmcnt(57) lgkmcnt(6)
	v_mul_f32_e32 v35, v26, v45
	s_waitcnt vmcnt(56) lgkmcnt(5)
	v_mul_f32_e32 v36, v20, v44
	s_waitcnt vmcnt(55)
	v_mul_f32_e32 v37, v22, v42
	s_waitcnt vmcnt(54)
	v_mul_f32_e32 v34, v24, v48
	s_waitcnt vmcnt(53) lgkmcnt(4)
	v_mul_f32_e32 v38, v16, v43
	s_waitcnt vmcnt(52)
	v_mul_f32_e32 v39, v18, v108
	s_waitcnt vmcnt(51) lgkmcnt(3)
	;; [unrolled: 4-line block ×3, first 2 shown]
	v_mul_f32_e32 v51, v4, v127
	s_waitcnt vmcnt(48)
	v_mul_f32_e32 v52, v6, v128
	s_waitcnt vmcnt(47)
	v_fmac_f32_e32 v34, v25, v129
	s_waitcnt vmcnt(46)
	v_fmac_f32_e32 v33, v31, v130
	;; [unrolled: 2-line block ×3, first 2 shown]
	v_add_f32_e32 v32, 0, v32
	v_add_f32_e32 v32, v32, v33
	;; [unrolled: 1-line block ×3, first 2 shown]
	s_waitcnt vmcnt(41)
	v_fmac_f32_e32 v35, v27, v135
	v_fmac_f32_e32 v36, v21, v134
	v_add_f32_e32 v32, v32, v35
	v_fmac_f32_e32 v37, v23, v133
	v_add_f32_e32 v32, v32, v36
	;; [unrolled: 2-line block ×3, first 2 shown]
	s_waitcnt vmcnt(37)
	v_fmac_f32_e32 v39, v19, v139
	v_add_f32_e32 v32, v32, v38
	v_fmac_f32_e32 v49, v13, v138
	v_add_f32_e32 v32, v32, v39
	;; [unrolled: 2-line block ×4, first 2 shown]
	s_waitcnt vmcnt(33)
	v_fmac_f32_e32 v52, v7, v143
	v_add_f32_e32 v32, v32, v51
	s_waitcnt vmcnt(32) lgkmcnt(1)
	v_mul_f32_e32 v33, v8, v144
	v_add_f32_e32 v32, v32, v52
	v_fmac_f32_e32 v33, v9, v142
	v_add_f32_e32 v32, v32, v33
	s_waitcnt vmcnt(31)
	v_mul_f32_e32 v33, v10, v145
	v_fmac_f32_e32 v33, v11, v141
	v_add_f32_e32 v32, v32, v33
	s_waitcnt vmcnt(30) lgkmcnt(0)
	v_mul_f32_e32 v33, v0, v146
	v_fmac_f32_e32 v33, v1, v140
	v_add_f32_e32 v36, v32, v33
	ds_read2_b64 v[32:35], v228 offset0:73 offset1:74
	buffer_load_dword v225, off, s[0:3], 0 offset:240
	buffer_load_dword v226, off, s[0:3], 0 offset:244
	;; [unrolled: 1-line block ×4, first 2 shown]
	s_waitcnt vmcnt(32)
	v_mul_f32_e32 v37, v2, v148
	v_fmac_f32_e32 v37, v3, v147
	v_add_f32_e32 v49, v36, v37
	ds_read2_b64 v[36:39], v228 offset0:75 offset1:76
	buffer_load_dword v230, off, s[0:3], 0 offset:256
	buffer_load_dword v231, off, s[0:3], 0 offset:260
	;; [unrolled: 1-line block ×12, first 2 shown]
	s_waitcnt vmcnt(40) lgkmcnt(1)
	v_mul_f32_e32 v50, v32, v150
	v_fmac_f32_e32 v50, v33, v149
	buffer_load_dword v242, off, s[0:3], 0 offset:304
	buffer_load_dword v243, off, s[0:3], 0 offset:308
	v_add_f32_e32 v49, v49, v50
	s_waitcnt vmcnt(40)
	v_mul_f32_e32 v50, v34, v152
	v_fmac_f32_e32 v50, v35, v151
	buffer_load_dword v244, off, s[0:3], 0 offset:312
	buffer_load_dword v245, off, s[0:3], 0 offset:316
	v_add_f32_e32 v49, v49, v50
	s_waitcnt vmcnt(40) lgkmcnt(0)
	v_mul_f32_e32 v50, v36, v204
	v_fmac_f32_e32 v50, v37, v153
	v_add_f32_e32 v49, v49, v50
	ds_read2_b64 v[50:53], v228 offset0:77 offset1:78
	buffer_load_dword v246, off, s[0:3], 0 offset:320
	buffer_load_dword v247, off, s[0:3], 0 offset:324
	s_waitcnt vmcnt(40)
	v_mul_f32_e32 v54, v38, v206
	v_fmac_f32_e32 v54, v39, v205
	v_add_f32_e32 v49, v49, v54
	ds_read2_b64 v[54:57], v228 offset0:79 offset1:80
	buffer_load_dword v248, off, s[0:3], 0 offset:328
	buffer_load_dword v249, off, s[0:3], 0 offset:332
	buffer_load_dword v250, off, s[0:3], 0 offset:336
	buffer_load_dword v251, off, s[0:3], 0 offset:340
	buffer_load_dword v252, off, s[0:3], 0 offset:344
	buffer_load_dword v253, off, s[0:3], 0 offset:348
	buffer_load_dword v254, off, s[0:3], 0 offset:352
	buffer_load_dword v255, off, s[0:3], 0 offset:356
	s_waitcnt vmcnt(46) lgkmcnt(1)
	v_mul_f32_e32 v58, v50, v208
	v_fmac_f32_e32 v58, v51, v207
	v_add_f32_e32 v49, v49, v58
	s_waitcnt vmcnt(44)
	v_mul_f32_e32 v58, v52, v210
	v_fmac_f32_e32 v58, v53, v209
	v_add_f32_e32 v49, v49, v58
	s_waitcnt vmcnt(42) lgkmcnt(0)
	v_mul_f32_e32 v58, v54, v212
	v_fmac_f32_e32 v58, v55, v211
	v_add_f32_e32 v49, v49, v58
	buffer_load_dword v154, off, s[0:3], 0 offset:360
	buffer_load_dword v155, off, s[0:3], 0 offset:364
	;; [unrolled: 1-line block ×4, first 2 shown]
	ds_read2_b64 v[58:61], v228 offset0:81 offset1:82
	s_waitcnt vmcnt(44)
	v_mul_f32_e32 v62, v56, v214
	v_fmac_f32_e32 v62, v57, v213
	v_add_f32_e32 v49, v49, v62
	ds_read2_b64 v[62:65], v228 offset0:83 offset1:84
	s_waitcnt vmcnt(42) lgkmcnt(1)
	v_mul_f32_e32 v66, v58, v216
	v_fmac_f32_e32 v66, v59, v215
	v_add_f32_e32 v49, v49, v66
	s_waitcnt vmcnt(40)
	v_mul_f32_e32 v66, v60, v218
	v_fmac_f32_e32 v66, v61, v217
	v_add_f32_e32 v49, v49, v66
	s_waitcnt vmcnt(38) lgkmcnt(0)
	v_mul_f32_e32 v66, v62, v220
	v_fmac_f32_e32 v66, v63, v219
	v_add_f32_e32 v49, v49, v66
	ds_read2_b64 v[66:69], v228 offset0:85 offset1:86
	s_waitcnt vmcnt(36)
	v_mul_f32_e32 v70, v64, v222
	v_fmac_f32_e32 v70, v65, v221
	v_add_f32_e32 v49, v49, v70
	ds_read2_b64 v[70:73], v228 offset0:87 offset1:88
	s_waitcnt vmcnt(34) lgkmcnt(1)
	v_mul_f32_e32 v74, v66, v224
	v_fmac_f32_e32 v74, v67, v223
	v_add_f32_e32 v49, v49, v74
	v_mul_f32_e32 v29, v29, v47
	v_fma_f32 v28, v28, v131, -v29
	v_mul_f32_e32 v29, v31, v46
	v_add_f32_e32 v28, 0, v28
	v_fma_f32 v29, v30, v130, -v29
	v_mul_f32_e32 v25, v25, v48
	v_add_f32_e32 v28, v28, v29
	;; [unrolled: 3-line block ×4, first 2 shown]
	v_fma_f32 v20, v20, v134, -v21
	v_mul_f32_e32 v21, v23, v42
	s_waitcnt vmcnt(32)
	v_mul_f32_e32 v74, v68, v226
	v_fmac_f32_e32 v74, v69, v225
	v_add_f32_e32 v49, v49, v74
	s_waitcnt vmcnt(30) lgkmcnt(0)
	v_mul_f32_e32 v74, v70, v229
	v_fmac_f32_e32 v74, v71, v227
	v_add_f32_e32 v49, v49, v74
	ds_read2_b64 v[74:77], v228 offset0:89 offset1:90
	s_waitcnt vmcnt(28)
	v_mul_f32_e32 v78, v72, v231
	v_fmac_f32_e32 v78, v73, v230
	v_add_f32_e32 v49, v49, v78
	ds_read2_b64 v[78:81], v228 offset0:91 offset1:92
	s_waitcnt vmcnt(26) lgkmcnt(1)
	v_mul_f32_e32 v82, v74, v233
	v_fmac_f32_e32 v82, v75, v232
	v_add_f32_e32 v49, v49, v82
	s_waitcnt vmcnt(24)
	v_mul_f32_e32 v82, v76, v235
	v_fmac_f32_e32 v82, v77, v234
	v_add_f32_e32 v49, v49, v82
	s_waitcnt vmcnt(22) lgkmcnt(0)
	v_mul_f32_e32 v82, v78, v237
	v_fmac_f32_e32 v82, v79, v236
	v_add_f32_e32 v49, v49, v82
	ds_read2_b64 v[82:85], v228 offset0:93 offset1:94
	s_waitcnt vmcnt(20)
	v_mul_f32_e32 v86, v80, v239
	v_fmac_f32_e32 v86, v81, v238
	v_add_f32_e32 v49, v49, v86
	ds_read2_b64 v[86:89], v228 offset0:95 offset1:96
	s_waitcnt vmcnt(18) lgkmcnt(1)
	v_mul_f32_e32 v90, v82, v241
	v_fmac_f32_e32 v90, v83, v240
	v_add_f32_e32 v49, v49, v90
	s_waitcnt vmcnt(16)
	v_mul_f32_e32 v90, v84, v243
	v_fmac_f32_e32 v90, v85, v242
	v_add_f32_e32 v49, v49, v90
	s_waitcnt vmcnt(14) lgkmcnt(0)
	v_mul_f32_e32 v90, v86, v245
	v_fmac_f32_e32 v90, v87, v244
	v_add_f32_e32 v49, v49, v90
	ds_read2_b64 v[90:93], v228 offset0:97 offset1:98
	s_waitcnt vmcnt(12)
	v_mul_f32_e32 v94, v88, v247
	v_fmac_f32_e32 v94, v89, v246
	v_add_f32_e32 v49, v49, v94
	ds_read2_b64 v[94:97], v228 offset0:99 offset1:100
	buffer_load_dword v107, off, s[0:3], 0 offset:380
	buffer_load_dword v106, off, s[0:3], 0 offset:376
	s_waitcnt vmcnt(12) lgkmcnt(1)
	v_mul_f32_e32 v98, v90, v249
	v_fmac_f32_e32 v98, v91, v248
	v_add_f32_e32 v49, v49, v98
	s_waitcnt vmcnt(10)
	v_mul_f32_e32 v98, v92, v251
	v_fmac_f32_e32 v98, v93, v250
	v_add_f32_e32 v49, v49, v98
	s_waitcnt vmcnt(8) lgkmcnt(0)
	v_mul_f32_e32 v98, v94, v253
	v_fmac_f32_e32 v98, v95, v252
	s_waitcnt vmcnt(6)
	v_mul_f32_e32 v102, v96, v255
	v_add_f32_e32 v49, v49, v98
	v_fmac_f32_e32 v102, v97, v254
	ds_read2_b64 v[98:101], v228 offset0:101 offset1:102
	v_add_f32_e32 v49, v49, v102
	ds_read2_b64 v[102:105], v228 offset0:103 offset1:104
	buffer_load_dword v113, off, s[0:3], 0 offset:412
	buffer_load_dword v112, off, s[0:3], 0 offset:408
	;; [unrolled: 1-line block ×14, first 2 shown]
	v_add_f32_e32 v20, v24, v20
	v_fma_f32 v21, v22, v133, -v21
	v_mul_f32_e32 v17, v17, v43
	v_add_f32_e32 v20, v20, v21
	v_fma_f32 v16, v16, v132, -v17
	v_mul_f32_e32 v17, v19, v108
	;; [unrolled: 3-line block ×6, first 2 shown]
	v_add_f32_e32 v4, v12, v4
	v_fma_f32 v5, v6, v143, -v5
	v_add_f32_e32 v4, v4, v5
	v_mul_f32_e32 v5, v9, v144
	v_fma_f32 v5, v8, v142, -v5
	v_add_f32_e32 v4, v4, v5
	v_mul_f32_e32 v5, v11, v145
	v_fma_f32 v5, v10, v141, -v5
	v_mul_f32_e32 v1, v1, v146
	v_add_f32_e32 v4, v4, v5
	v_fma_f32 v0, v0, v140, -v1
	v_mul_f32_e32 v1, v3, v148
	v_add_f32_e32 v0, v4, v0
	v_fma_f32 v1, v2, v147, -v1
	v_add_f32_e32 v0, v0, v1
	v_mul_f32_e32 v1, v33, v150
	v_fma_f32 v1, v32, v149, -v1
	v_add_f32_e32 v0, v0, v1
	v_mul_f32_e32 v1, v35, v152
	;; [unrolled: 3-line block ×28, first 2 shown]
	v_fma_f32 v1, v96, v254, -v1
	s_waitcnt vmcnt(15)
	v_mov_b32_e32 v14, v107
	s_waitcnt lgkmcnt(1)
	v_mul_f32_e32 v109, v98, v155
	v_add_f32_e32 v48, v0, v1
	v_mul_f32_e32 v0, v99, v155
	s_waitcnt lgkmcnt(0)
	v_pk_mul_f32 v[14:15], v[102:103], v[14:15] op_sel_hi:[1,0]
	v_fmac_f32_e32 v109, v99, v154
	v_mul_f32_e32 v111, v100, v157
	v_fma_f32 v108, v98, v154, -v0
	v_mul_f32_e32 v0, v101, v157
	s_waitcnt vmcnt(14)
	v_pk_fma_f32 v[16:17], v[102:103], v[106:107], v[14:15] op_sel:[0,0,1] op_sel_hi:[1,1,0] neg_lo:[0,0,1] neg_hi:[0,0,1]
	v_pk_fma_f32 v[14:15], v[102:103], v[106:107], v[14:15] op_sel:[0,0,1] op_sel_hi:[1,0,0]
	v_fmac_f32_e32 v111, v101, v156
	v_fma_f32 v110, v100, v156, -v0
	v_pk_add_f32 v[12:13], v[48:49], v[108:109]
	s_waitcnt vmcnt(7)
	v_mov_b32_e32 v14, v119
	ds_read2_b64 v[0:3], v228 offset0:105 offset1:106
	ds_read2_b64 v[4:7], v228 offset0:107 offset1:108
	;; [unrolled: 1-line block ×3, first 2 shown]
	v_pk_add_f32 v[12:13], v[12:13], v[110:111]
	v_mov_b32_e32 v17, v15
	v_pk_mul_f32 v[14:15], v[104:105], v[14:15] op_sel_hi:[1,0]
	v_pk_add_f32 v[12:13], v[12:13], v[16:17]
	s_waitcnt vmcnt(6)
	v_pk_fma_f32 v[16:17], v[104:105], v[118:119], v[14:15] op_sel:[0,0,1] op_sel_hi:[1,1,0] neg_lo:[0,0,1] neg_hi:[0,0,1]
	v_pk_fma_f32 v[14:15], v[104:105], v[118:119], v[14:15] op_sel:[0,0,1] op_sel_hi:[1,0,0]
	v_mov_b32_e32 v14, v117
	v_mov_b32_e32 v17, v15
	s_waitcnt lgkmcnt(2)
	v_pk_mul_f32 v[14:15], v[0:1], v[14:15] op_sel_hi:[1,0]
	v_pk_add_f32 v[12:13], v[12:13], v[16:17]
	v_pk_fma_f32 v[16:17], v[0:1], v[116:117], v[14:15] op_sel:[0,0,1] op_sel_hi:[1,1,0] neg_lo:[0,0,1] neg_hi:[0,0,1]
	v_pk_fma_f32 v[0:1], v[0:1], v[116:117], v[14:15] op_sel:[0,0,1] op_sel_hi:[1,0,0]
	v_mov_b32_e32 v17, v1
	v_pk_add_f32 v[0:1], v[12:13], v[16:17]
	v_mov_b32_e32 v12, v115
	v_pk_mul_f32 v[12:13], v[2:3], v[12:13] op_sel_hi:[1,0]
	v_pk_fma_f32 v[14:15], v[2:3], v[114:115], v[12:13] op_sel:[0,0,1] op_sel_hi:[1,1,0] neg_lo:[0,0,1] neg_hi:[0,0,1]
	v_pk_fma_f32 v[2:3], v[2:3], v[114:115], v[12:13] op_sel:[0,0,1] op_sel_hi:[1,0,0]
	v_mov_b32_e32 v2, v113
	v_mov_b32_e32 v15, v3
	s_waitcnt lgkmcnt(1)
	v_pk_mul_f32 v[2:3], v[4:5], v[2:3] op_sel_hi:[1,0]
	v_pk_fma_f32 v[12:13], v[4:5], v[112:113], v[2:3] op_sel:[0,0,1] op_sel_hi:[1,1,0] neg_lo:[0,0,1] neg_hi:[0,0,1]
	v_pk_fma_f32 v[2:3], v[4:5], v[112:113], v[2:3] op_sel:[0,0,1] op_sel_hi:[1,0,0]
	s_waitcnt vmcnt(1)
	v_mov_b32_e32 v2, v125
	v_mov_b32_e32 v13, v3
	v_pk_mul_f32 v[2:3], v[6:7], v[2:3] op_sel_hi:[1,0]
	s_waitcnt vmcnt(0)
	v_pk_fma_f32 v[4:5], v[6:7], v[124:125], v[2:3] op_sel:[0,0,1] op_sel_hi:[1,1,0] neg_lo:[0,0,1] neg_hi:[0,0,1]
	v_pk_fma_f32 v[2:3], v[6:7], v[124:125], v[2:3] op_sel:[0,0,1] op_sel_hi:[1,0,0]
	v_pk_add_f32 v[0:1], v[0:1], v[14:15]
	v_mov_b32_e32 v2, v123
	v_pk_add_f32 v[0:1], v[0:1], v[12:13]
	v_mov_b32_e32 v5, v3
	s_waitcnt lgkmcnt(0)
	v_pk_mul_f32 v[2:3], v[8:9], v[2:3] op_sel_hi:[1,0]
	v_pk_add_f32 v[0:1], v[0:1], v[4:5]
	v_pk_fma_f32 v[4:5], v[8:9], v[122:123], v[2:3] op_sel:[0,0,1] op_sel_hi:[1,1,0] neg_lo:[0,0,1] neg_hi:[0,0,1]
	v_pk_fma_f32 v[2:3], v[8:9], v[122:123], v[2:3] op_sel:[0,0,1] op_sel_hi:[1,0,0]
	v_mov_b32_e32 v2, v121
	v_mov_b32_e32 v5, v3
	v_pk_mul_f32 v[2:3], v[10:11], v[2:3] op_sel_hi:[1,0]
	v_pk_add_f32 v[0:1], v[0:1], v[4:5]
	v_pk_fma_f32 v[4:5], v[10:11], v[120:121], v[2:3] op_sel:[0,0,1] op_sel_hi:[1,1,0] neg_lo:[0,0,1] neg_hi:[0,0,1]
	v_pk_fma_f32 v[2:3], v[10:11], v[120:121], v[2:3] op_sel:[0,0,1] op_sel_hi:[1,0,0]
	v_mov_b32_e32 v5, v3
	v_pk_add_f32 v[0:1], v[0:1], v[4:5]
	v_pk_add_f32 v[0:1], v[40:41], v[0:1] neg_lo:[0,1] neg_hi:[0,1]
	buffer_store_dword v1, off, s[0:3], 0 offset:4
	buffer_store_dword v0, off, s[0:3], 0
	s_cbranch_vccz .LBB54_453
; %bb.344:
	v_pk_mov_b32 v[0:1], s[10:11], s[10:11] op_sel:[0,1]
	flat_load_dword v0, v[0:1] offset:212
	s_waitcnt vmcnt(0) lgkmcnt(0)
	v_add_u32_e32 v0, -1, v0
	v_cmp_ne_u32_e32 vcc, 53, v0
	s_and_saveexec_b64 s[4:5], vcc
	s_cbranch_execz .LBB54_346
; %bb.345:
	v_mov_b32_e32 v1, 0
	v_lshl_add_u32 v0, v0, 3, v1
	buffer_load_dword v1, v0, s[0:3], 0 offen
	buffer_load_dword v2, v0, s[0:3], 0 offen offset:4
	buffer_load_dword v3, off, s[0:3], 0 offset:424
	buffer_load_dword v4, off, s[0:3], 0 offset:428
	s_waitcnt vmcnt(3)
	buffer_store_dword v1, off, s[0:3], 0 offset:424
	s_waitcnt vmcnt(3)
	buffer_store_dword v2, off, s[0:3], 0 offset:428
	s_waitcnt vmcnt(3)
	buffer_store_dword v3, v0, s[0:3], 0 offen
	s_waitcnt vmcnt(3)
	buffer_store_dword v4, v0, s[0:3], 0 offen offset:4
.LBB54_346:
	s_or_b64 exec, exec, s[4:5]
	v_pk_mov_b32 v[0:1], s[10:11], s[10:11] op_sel:[0,1]
	flat_load_dword v0, v[0:1] offset:208
	s_waitcnt vmcnt(0) lgkmcnt(0)
	v_add_u32_e32 v0, -1, v0
	v_cmp_ne_u32_e32 vcc, 52, v0
	s_and_saveexec_b64 s[4:5], vcc
	s_cbranch_execz .LBB54_348
; %bb.347:
	v_mov_b32_e32 v1, 0
	v_lshl_add_u32 v0, v0, 3, v1
	buffer_load_dword v1, v0, s[0:3], 0 offen
	buffer_load_dword v2, v0, s[0:3], 0 offen offset:4
	buffer_load_dword v3, off, s[0:3], 0 offset:420
	buffer_load_dword v4, off, s[0:3], 0 offset:416
	s_waitcnt vmcnt(3)
	buffer_store_dword v1, off, s[0:3], 0 offset:416
	s_waitcnt vmcnt(3)
	buffer_store_dword v2, off, s[0:3], 0 offset:420
	s_waitcnt vmcnt(3)
	buffer_store_dword v3, v0, s[0:3], 0 offen offset:4
	s_waitcnt vmcnt(3)
	buffer_store_dword v4, v0, s[0:3], 0 offen
.LBB54_348:
	s_or_b64 exec, exec, s[4:5]
	v_pk_mov_b32 v[0:1], s[10:11], s[10:11] op_sel:[0,1]
	flat_load_dword v0, v[0:1] offset:204
	s_waitcnt vmcnt(0) lgkmcnt(0)
	v_add_u32_e32 v0, -1, v0
	v_cmp_ne_u32_e32 vcc, 51, v0
	s_and_saveexec_b64 s[4:5], vcc
	s_cbranch_execz .LBB54_350
; %bb.349:
	v_mov_b32_e32 v1, 0
	v_lshl_add_u32 v0, v0, 3, v1
	buffer_load_dword v1, v0, s[0:3], 0 offen
	buffer_load_dword v2, v0, s[0:3], 0 offen offset:4
	buffer_load_dword v3, off, s[0:3], 0 offset:408
	buffer_load_dword v4, off, s[0:3], 0 offset:412
	s_waitcnt vmcnt(3)
	buffer_store_dword v1, off, s[0:3], 0 offset:408
	s_waitcnt vmcnt(3)
	buffer_store_dword v2, off, s[0:3], 0 offset:412
	s_waitcnt vmcnt(3)
	buffer_store_dword v3, v0, s[0:3], 0 offen
	s_waitcnt vmcnt(3)
	buffer_store_dword v4, v0, s[0:3], 0 offen offset:4
.LBB54_350:
	s_or_b64 exec, exec, s[4:5]
	v_pk_mov_b32 v[0:1], s[10:11], s[10:11] op_sel:[0,1]
	flat_load_dword v0, v[0:1] offset:200
	s_waitcnt vmcnt(0) lgkmcnt(0)
	v_add_u32_e32 v0, -1, v0
	v_cmp_ne_u32_e32 vcc, 50, v0
	s_and_saveexec_b64 s[4:5], vcc
	s_cbranch_execz .LBB54_352
; %bb.351:
	v_mov_b32_e32 v1, 0
	v_lshl_add_u32 v0, v0, 3, v1
	buffer_load_dword v1, v0, s[0:3], 0 offen
	buffer_load_dword v2, v0, s[0:3], 0 offen offset:4
	buffer_load_dword v3, off, s[0:3], 0 offset:404
	buffer_load_dword v4, off, s[0:3], 0 offset:400
	s_waitcnt vmcnt(3)
	buffer_store_dword v1, off, s[0:3], 0 offset:400
	s_waitcnt vmcnt(3)
	buffer_store_dword v2, off, s[0:3], 0 offset:404
	s_waitcnt vmcnt(3)
	buffer_store_dword v3, v0, s[0:3], 0 offen offset:4
	s_waitcnt vmcnt(3)
	buffer_store_dword v4, v0, s[0:3], 0 offen
.LBB54_352:
	s_or_b64 exec, exec, s[4:5]
	;; [unrolled: 48-line block ×26, first 2 shown]
	v_pk_mov_b32 v[0:1], s[10:11], s[10:11] op_sel:[0,1]
	flat_load_dword v0, v[0:1] offset:4
	s_waitcnt vmcnt(0) lgkmcnt(0)
	v_add_u32_e32 v0, -1, v0
	v_cmp_ne_u32_e32 vcc, 1, v0
	s_and_saveexec_b64 s[4:5], vcc
	s_cbranch_execz .LBB54_450
; %bb.449:
	v_mov_b32_e32 v1, 0
	v_lshl_add_u32 v0, v0, 3, v1
	buffer_load_dword v1, v0, s[0:3], 0 offen
	buffer_load_dword v2, v0, s[0:3], 0 offen offset:4
	buffer_load_dword v3, off, s[0:3], 0 offset:8
	buffer_load_dword v4, off, s[0:3], 0 offset:12
	s_waitcnt vmcnt(3)
	buffer_store_dword v1, off, s[0:3], 0 offset:8
	s_waitcnt vmcnt(3)
	buffer_store_dword v2, off, s[0:3], 0 offset:12
	s_waitcnt vmcnt(3)
	buffer_store_dword v3, v0, s[0:3], 0 offen
	s_waitcnt vmcnt(3)
	buffer_store_dword v4, v0, s[0:3], 0 offen offset:4
.LBB54_450:
	s_or_b64 exec, exec, s[4:5]
	v_pk_mov_b32 v[0:1], s[10:11], s[10:11] op_sel:[0,1]
	flat_load_dword v2, v[0:1]
	s_nop 0
	buffer_load_dword v0, off, s[0:3], 0
	buffer_load_dword v1, off, s[0:3], 0 offset:4
	s_waitcnt vmcnt(0) lgkmcnt(0)
	v_add_u32_e32 v2, -1, v2
	v_cmp_ne_u32_e32 vcc, 0, v2
	s_and_saveexec_b64 s[4:5], vcc
	s_cbranch_execz .LBB54_452
; %bb.451:
	v_mov_b32_e32 v3, 0
	v_lshl_add_u32 v2, v2, 3, v3
	buffer_load_dword v3, v2, s[0:3], 0 offen offset:4
	buffer_load_dword v4, v2, s[0:3], 0 offen
	s_waitcnt vmcnt(1)
	buffer_store_dword v3, off, s[0:3], 0 offset:4
	s_waitcnt vmcnt(1)
	buffer_store_dword v4, off, s[0:3], 0
	buffer_store_dword v1, v2, s[0:3], 0 offen offset:4
	buffer_store_dword v0, v2, s[0:3], 0 offen
	buffer_load_dword v0, off, s[0:3], 0
	s_nop 0
	buffer_load_dword v1, off, s[0:3], 0 offset:4
.LBB54_452:
	s_or_b64 exec, exec, s[4:5]
.LBB54_453:
	buffer_load_dword v2, off, s[0:3], 0 offset:8
	buffer_load_dword v3, off, s[0:3], 0 offset:12
	;; [unrolled: 1-line block ×108, first 2 shown]
	s_waitcnt vmcnt(62)
	global_store_dwordx2 v[192:193], v[0:1], off
	global_store_dwordx2 v[196:197], v[2:3], off
	v_accvgpr_read_b32 v0, a0
	v_accvgpr_read_b32 v1, a1
	global_store_dwordx2 v[0:1], v[4:5], off
	v_accvgpr_read_b32 v0, a2
	v_accvgpr_read_b32 v1, a3
	;; [unrolled: 3-line block ×23, first 2 shown]
	s_waitcnt vmcnt(62)
	global_store_dwordx2 v[0:1], v[48:49], off
	v_accvgpr_read_b32 v0, a46
	v_accvgpr_read_b32 v1, a47
	global_store_dwordx2 v[0:1], v[50:51], off
	v_accvgpr_read_b32 v0, a48
	v_accvgpr_read_b32 v1, a49
	;; [unrolled: 3-line block ×9, first 2 shown]
	global_store_dwordx2 v[0:1], v[66:67], off
	global_store_dwordx2 v[158:159], v[68:69], off
	global_store_dwordx2 v[160:161], v[70:71], off
	s_waitcnt vmcnt(62)
	global_store_dwordx2 v[162:163], v[72:73], off
	global_store_dwordx2 v[164:165], v[74:75], off
	;; [unrolled: 1-line block ×6, first 2 shown]
	s_waitcnt vmcnt(62)
	global_store_dwordx2 v[174:175], v[84:85], off
	global_store_dwordx2 v[176:177], v[86:87], off
	;; [unrolled: 1-line block ×3, first 2 shown]
	s_waitcnt vmcnt(62)
	global_store_dwordx2 v[180:181], v[90:91], off
	s_waitcnt vmcnt(62)
	global_store_dwordx2 v[182:183], v[92:93], off
	;; [unrolled: 2-line block ×10, first 2 shown]
	s_endpgm
	.section	.rodata,"a",@progbits
	.p2align	6, 0x0
	.amdhsa_kernel _ZN9rocsolver6v33100L18getri_kernel_smallILi55E19rocblas_complex_numIfEPS3_EEvT1_iilPiilS6_bb
		.amdhsa_group_segment_fixed_size 888
		.amdhsa_private_segment_fixed_size 448
		.amdhsa_kernarg_size 60
		.amdhsa_user_sgpr_count 8
		.amdhsa_user_sgpr_private_segment_buffer 1
		.amdhsa_user_sgpr_dispatch_ptr 0
		.amdhsa_user_sgpr_queue_ptr 0
		.amdhsa_user_sgpr_kernarg_segment_ptr 1
		.amdhsa_user_sgpr_dispatch_id 0
		.amdhsa_user_sgpr_flat_scratch_init 1
		.amdhsa_user_sgpr_kernarg_preload_length 0
		.amdhsa_user_sgpr_kernarg_preload_offset 0
		.amdhsa_user_sgpr_private_segment_size 0
		.amdhsa_uses_dynamic_stack 0
		.amdhsa_system_sgpr_private_segment_wavefront_offset 1
		.amdhsa_system_sgpr_workgroup_id_x 1
		.amdhsa_system_sgpr_workgroup_id_y 0
		.amdhsa_system_sgpr_workgroup_id_z 0
		.amdhsa_system_sgpr_workgroup_info 0
		.amdhsa_system_vgpr_workitem_id 0
		.amdhsa_next_free_vgpr 320
		.amdhsa_next_free_sgpr 23
		.amdhsa_accum_offset 256
		.amdhsa_reserve_vcc 1
		.amdhsa_reserve_flat_scratch 1
		.amdhsa_float_round_mode_32 0
		.amdhsa_float_round_mode_16_64 0
		.amdhsa_float_denorm_mode_32 3
		.amdhsa_float_denorm_mode_16_64 3
		.amdhsa_dx10_clamp 1
		.amdhsa_ieee_mode 1
		.amdhsa_fp16_overflow 0
		.amdhsa_tg_split 0
		.amdhsa_exception_fp_ieee_invalid_op 0
		.amdhsa_exception_fp_denorm_src 0
		.amdhsa_exception_fp_ieee_div_zero 0
		.amdhsa_exception_fp_ieee_overflow 0
		.amdhsa_exception_fp_ieee_underflow 0
		.amdhsa_exception_fp_ieee_inexact 0
		.amdhsa_exception_int_div_zero 0
	.end_amdhsa_kernel
	.section	.text._ZN9rocsolver6v33100L18getri_kernel_smallILi55E19rocblas_complex_numIfEPS3_EEvT1_iilPiilS6_bb,"axG",@progbits,_ZN9rocsolver6v33100L18getri_kernel_smallILi55E19rocblas_complex_numIfEPS3_EEvT1_iilPiilS6_bb,comdat
.Lfunc_end54:
	.size	_ZN9rocsolver6v33100L18getri_kernel_smallILi55E19rocblas_complex_numIfEPS3_EEvT1_iilPiilS6_bb, .Lfunc_end54-_ZN9rocsolver6v33100L18getri_kernel_smallILi55E19rocblas_complex_numIfEPS3_EEvT1_iilPiilS6_bb
                                        ; -- End function
	.section	.AMDGPU.csdata,"",@progbits
; Kernel info:
; codeLenInByte = 116080
; NumSgprs: 29
; NumVgprs: 256
; NumAgprs: 64
; TotalNumVgprs: 320
; ScratchSize: 448
; MemoryBound: 0
; FloatMode: 240
; IeeeMode: 1
; LDSByteSize: 888 bytes/workgroup (compile time only)
; SGPRBlocks: 3
; VGPRBlocks: 39
; NumSGPRsForWavesPerEU: 29
; NumVGPRsForWavesPerEU: 320
; AccumOffset: 256
; Occupancy: 1
; WaveLimiterHint : 1
; COMPUTE_PGM_RSRC2:SCRATCH_EN: 1
; COMPUTE_PGM_RSRC2:USER_SGPR: 8
; COMPUTE_PGM_RSRC2:TRAP_HANDLER: 0
; COMPUTE_PGM_RSRC2:TGID_X_EN: 1
; COMPUTE_PGM_RSRC2:TGID_Y_EN: 0
; COMPUTE_PGM_RSRC2:TGID_Z_EN: 0
; COMPUTE_PGM_RSRC2:TIDIG_COMP_CNT: 0
; COMPUTE_PGM_RSRC3_GFX90A:ACCUM_OFFSET: 63
; COMPUTE_PGM_RSRC3_GFX90A:TG_SPLIT: 0
	.section	.text._ZN9rocsolver6v33100L18getri_kernel_smallILi56E19rocblas_complex_numIfEPS3_EEvT1_iilPiilS6_bb,"axG",@progbits,_ZN9rocsolver6v33100L18getri_kernel_smallILi56E19rocblas_complex_numIfEPS3_EEvT1_iilPiilS6_bb,comdat
	.globl	_ZN9rocsolver6v33100L18getri_kernel_smallILi56E19rocblas_complex_numIfEPS3_EEvT1_iilPiilS6_bb ; -- Begin function _ZN9rocsolver6v33100L18getri_kernel_smallILi56E19rocblas_complex_numIfEPS3_EEvT1_iilPiilS6_bb
	.p2align	8
	.type	_ZN9rocsolver6v33100L18getri_kernel_smallILi56E19rocblas_complex_numIfEPS3_EEvT1_iilPiilS6_bb,@function
_ZN9rocsolver6v33100L18getri_kernel_smallILi56E19rocblas_complex_numIfEPS3_EEvT1_iilPiilS6_bb: ; @_ZN9rocsolver6v33100L18getri_kernel_smallILi56E19rocblas_complex_numIfEPS3_EEvT1_iilPiilS6_bb
; %bb.0:
	s_add_u32 flat_scratch_lo, s6, s9
	s_addc_u32 flat_scratch_hi, s7, 0
	s_add_u32 s0, s0, s9
	s_addc_u32 s1, s1, 0
	v_cmp_gt_u32_e32 vcc, 56, v0
	s_and_saveexec_b64 s[6:7], vcc
	s_cbranch_execz .LBB55_238
; %bb.1:
	s_load_dword s22, s[4:5], 0x38
	s_load_dwordx4 s[16:19], s[4:5], 0x10
	s_load_dwordx4 s[12:15], s[4:5], 0x28
                                        ; implicit-def: $sgpr10_sgpr11
	s_waitcnt lgkmcnt(0)
	s_bitcmp1_b32 s22, 8
	s_cselect_b64 s[20:21], -1, 0
	s_ashr_i32 s9, s8, 31
	s_bfe_u32 s6, s22, 0x10008
	s_cmp_eq_u32 s6, 0
	s_cbranch_scc1 .LBB55_3
; %bb.2:
	s_load_dword s6, s[4:5], 0x20
	s_mul_i32 s7, s8, s13
	s_mul_hi_u32 s10, s8, s12
	s_mul_i32 s11, s9, s12
	s_add_i32 s10, s10, s7
	s_add_i32 s11, s10, s11
	s_mul_i32 s10, s8, s12
	s_waitcnt lgkmcnt(0)
	s_ashr_i32 s7, s6, 31
	s_lshl_b64 s[10:11], s[10:11], 2
	s_add_u32 s10, s18, s10
	s_addc_u32 s11, s19, s11
	s_lshl_b64 s[6:7], s[6:7], 2
	s_add_u32 s10, s10, s6
	s_addc_u32 s11, s11, s7
.LBB55_3:
	s_load_dwordx4 s[4:7], s[4:5], 0x0
	s_mul_i32 s12, s8, s17
	s_mul_hi_u32 s13, s8, s16
	s_add_i32 s17, s13, s12
	v_lshlrev_b32_e32 v6, 3, v0
	s_waitcnt lgkmcnt(0)
	s_ashr_i32 s13, s6, 31
	s_mov_b32 s12, s6
	s_mul_i32 s6, s9, s16
	s_add_i32 s17, s17, s6
	s_mul_i32 s16, s8, s16
	s_lshl_b64 s[16:17], s[16:17], 3
	s_add_u32 s6, s4, s16
	s_addc_u32 s16, s5, s17
	s_lshl_b64 s[4:5], s[12:13], 3
	s_add_u32 s4, s6, s4
	s_addc_u32 s5, s16, s5
	s_add_i32 s6, s7, s7
	v_add_u32_e32 v2, s6, v0
	v_ashrrev_i32_e32 v3, 31, v2
	v_lshlrev_b64 v[4:5], 3, v[2:3]
	v_add_u32_e32 v2, s7, v2
	v_mov_b32_e32 v1, s5
	v_add_co_u32_e32 v12, vcc, s4, v4
	v_ashrrev_i32_e32 v3, 31, v2
	v_addc_co_u32_e32 v13, vcc, v1, v5, vcc
	v_lshlrev_b64 v[4:5], 3, v[2:3]
	v_add_u32_e32 v2, s7, v2
	v_add_co_u32_e32 v14, vcc, s4, v4
	v_ashrrev_i32_e32 v3, 31, v2
	v_addc_co_u32_e32 v15, vcc, v1, v5, vcc
	v_lshlrev_b64 v[4:5], 3, v[2:3]
	v_add_u32_e32 v2, s7, v2
	v_add_co_u32_e32 v16, vcc, s4, v4
	v_ashrrev_i32_e32 v3, 31, v2
	v_addc_co_u32_e32 v17, vcc, v1, v5, vcc
	v_lshlrev_b64 v[4:5], 3, v[2:3]
	v_add_u32_e32 v2, s7, v2
	v_add_co_u32_e32 v18, vcc, s4, v4
	v_ashrrev_i32_e32 v3, 31, v2
	v_addc_co_u32_e32 v19, vcc, v1, v5, vcc
	v_lshlrev_b64 v[4:5], 3, v[2:3]
	v_add_u32_e32 v2, s7, v2
	v_add_co_u32_e32 v20, vcc, s4, v4
	v_ashrrev_i32_e32 v3, 31, v2
	v_addc_co_u32_e32 v21, vcc, v1, v5, vcc
	v_lshlrev_b64 v[4:5], 3, v[2:3]
	v_add_u32_e32 v2, s7, v2
	v_add_co_u32_e32 v22, vcc, s4, v4
	v_ashrrev_i32_e32 v3, 31, v2
	v_addc_co_u32_e32 v23, vcc, v1, v5, vcc
	v_lshlrev_b64 v[4:5], 3, v[2:3]
	v_add_u32_e32 v2, s7, v2
	v_add_co_u32_e32 v24, vcc, s4, v4
	v_ashrrev_i32_e32 v3, 31, v2
	v_addc_co_u32_e32 v25, vcc, v1, v5, vcc
	v_lshlrev_b64 v[4:5], 3, v[2:3]
	v_add_u32_e32 v2, s7, v2
	v_add_co_u32_e32 v26, vcc, s4, v4
	v_ashrrev_i32_e32 v3, 31, v2
	v_addc_co_u32_e32 v27, vcc, v1, v5, vcc
	v_lshlrev_b64 v[4:5], 3, v[2:3]
	v_add_u32_e32 v2, s7, v2
	v_add_co_u32_e32 v28, vcc, s4, v4
	v_ashrrev_i32_e32 v3, 31, v2
	v_addc_co_u32_e32 v29, vcc, v1, v5, vcc
	v_lshlrev_b64 v[4:5], 3, v[2:3]
	v_add_u32_e32 v2, s7, v2
	v_add_co_u32_e32 v30, vcc, s4, v4
	v_ashrrev_i32_e32 v3, 31, v2
	v_addc_co_u32_e32 v31, vcc, v1, v5, vcc
	v_lshlrev_b64 v[4:5], 3, v[2:3]
	v_add_u32_e32 v2, s7, v2
	v_add_co_u32_e32 v32, vcc, s4, v4
	v_ashrrev_i32_e32 v3, 31, v2
	v_addc_co_u32_e32 v33, vcc, v1, v5, vcc
	v_lshlrev_b64 v[4:5], 3, v[2:3]
	v_add_u32_e32 v2, s7, v2
	v_add_co_u32_e32 v34, vcc, s4, v4
	v_ashrrev_i32_e32 v3, 31, v2
	v_addc_co_u32_e32 v35, vcc, v1, v5, vcc
	v_lshlrev_b64 v[4:5], 3, v[2:3]
	v_add_u32_e32 v2, s7, v2
	v_add_co_u32_e32 v36, vcc, s4, v4
	v_ashrrev_i32_e32 v3, 31, v2
	v_addc_co_u32_e32 v37, vcc, v1, v5, vcc
	v_lshlrev_b64 v[4:5], 3, v[2:3]
	v_add_u32_e32 v2, s7, v2
	v_add_co_u32_e32 v38, vcc, s4, v4
	v_ashrrev_i32_e32 v3, 31, v2
	v_addc_co_u32_e32 v39, vcc, v1, v5, vcc
	v_lshlrev_b64 v[4:5], 3, v[2:3]
	v_add_u32_e32 v2, s7, v2
	v_add_co_u32_e32 v40, vcc, s4, v4
	v_ashrrev_i32_e32 v3, 31, v2
	v_addc_co_u32_e32 v41, vcc, v1, v5, vcc
	v_lshlrev_b64 v[4:5], 3, v[2:3]
	v_add_u32_e32 v2, s7, v2
	v_add_co_u32_e32 v42, vcc, s4, v4
	v_ashrrev_i32_e32 v3, 31, v2
	v_addc_co_u32_e32 v43, vcc, v1, v5, vcc
	v_lshlrev_b64 v[4:5], 3, v[2:3]
	v_add_u32_e32 v2, s7, v2
	v_add_co_u32_e32 v44, vcc, s4, v4
	v_ashrrev_i32_e32 v3, 31, v2
	v_addc_co_u32_e32 v45, vcc, v1, v5, vcc
	v_lshlrev_b64 v[4:5], 3, v[2:3]
	v_add_u32_e32 v2, s7, v2
	v_add_co_u32_e32 v46, vcc, s4, v4
	v_ashrrev_i32_e32 v3, 31, v2
	v_addc_co_u32_e32 v47, vcc, v1, v5, vcc
	v_lshlrev_b64 v[4:5], 3, v[2:3]
	v_add_u32_e32 v2, s7, v2
	v_add_co_u32_e32 v48, vcc, s4, v4
	v_ashrrev_i32_e32 v3, 31, v2
	v_addc_co_u32_e32 v49, vcc, v1, v5, vcc
	v_lshlrev_b64 v[4:5], 3, v[2:3]
	v_add_u32_e32 v2, s7, v2
	v_add_co_u32_e32 v50, vcc, s4, v4
	v_ashrrev_i32_e32 v3, 31, v2
	v_addc_co_u32_e32 v51, vcc, v1, v5, vcc
	v_lshlrev_b64 v[4:5], 3, v[2:3]
	v_add_u32_e32 v2, s7, v2
	v_add_co_u32_e32 v52, vcc, s4, v4
	v_ashrrev_i32_e32 v3, 31, v2
	v_addc_co_u32_e32 v53, vcc, v1, v5, vcc
	v_lshlrev_b64 v[4:5], 3, v[2:3]
	v_add_u32_e32 v2, s7, v2
	v_add_co_u32_e32 v54, vcc, s4, v4
	v_ashrrev_i32_e32 v3, 31, v2
	v_addc_co_u32_e32 v55, vcc, v1, v5, vcc
	v_lshlrev_b64 v[4:5], 3, v[2:3]
	v_add_u32_e32 v2, s7, v2
	v_add_co_u32_e32 v56, vcc, s4, v4
	v_ashrrev_i32_e32 v3, 31, v2
	v_addc_co_u32_e32 v57, vcc, v1, v5, vcc
	v_lshlrev_b64 v[4:5], 3, v[2:3]
	v_add_u32_e32 v2, s7, v2
	v_add_co_u32_e32 v58, vcc, s4, v4
	v_ashrrev_i32_e32 v3, 31, v2
	v_addc_co_u32_e32 v59, vcc, v1, v5, vcc
	v_lshlrev_b64 v[4:5], 3, v[2:3]
	v_add_u32_e32 v2, s7, v2
	v_add_co_u32_e32 v60, vcc, s4, v4
	v_ashrrev_i32_e32 v3, 31, v2
	v_addc_co_u32_e32 v61, vcc, v1, v5, vcc
	v_lshlrev_b64 v[4:5], 3, v[2:3]
	v_add_u32_e32 v2, s7, v2
	v_add_co_u32_e32 v62, vcc, s4, v4
	v_ashrrev_i32_e32 v3, 31, v2
	v_addc_co_u32_e32 v63, vcc, v1, v5, vcc
	v_lshlrev_b64 v[4:5], 3, v[2:3]
	v_add_u32_e32 v2, s7, v2
	v_add_co_u32_e32 v64, vcc, s4, v4
	v_ashrrev_i32_e32 v3, 31, v2
	v_addc_co_u32_e32 v65, vcc, v1, v5, vcc
	v_lshlrev_b64 v[4:5], 3, v[2:3]
	v_add_u32_e32 v2, s7, v2
	v_add_co_u32_e32 v66, vcc, s4, v4
	v_ashrrev_i32_e32 v3, 31, v2
	v_addc_co_u32_e32 v67, vcc, v1, v5, vcc
	v_lshlrev_b64 v[4:5], 3, v[2:3]
	v_add_u32_e32 v2, s7, v2
	v_add_co_u32_e32 v68, vcc, s4, v4
	v_ashrrev_i32_e32 v3, 31, v2
	v_addc_co_u32_e32 v69, vcc, v1, v5, vcc
	v_lshlrev_b64 v[4:5], 3, v[2:3]
	v_add_u32_e32 v2, s7, v2
	v_add_co_u32_e32 v70, vcc, s4, v4
	v_ashrrev_i32_e32 v3, 31, v2
	v_addc_co_u32_e32 v71, vcc, v1, v5, vcc
	v_lshlrev_b64 v[4:5], 3, v[2:3]
	v_add_u32_e32 v2, s7, v2
	v_add_co_u32_e32 v72, vcc, s4, v4
	v_ashrrev_i32_e32 v3, 31, v2
	v_addc_co_u32_e32 v73, vcc, v1, v5, vcc
	v_lshlrev_b64 v[4:5], 3, v[2:3]
	v_add_u32_e32 v2, s7, v2
	v_add_co_u32_e32 v74, vcc, s4, v4
	v_ashrrev_i32_e32 v3, 31, v2
	v_addc_co_u32_e32 v75, vcc, v1, v5, vcc
	v_lshlrev_b64 v[4:5], 3, v[2:3]
	v_add_u32_e32 v2, s7, v2
	v_add_co_u32_e32 v76, vcc, s4, v4
	v_ashrrev_i32_e32 v3, 31, v2
	v_addc_co_u32_e32 v77, vcc, v1, v5, vcc
	v_lshlrev_b64 v[4:5], 3, v[2:3]
	v_add_u32_e32 v2, s7, v2
	v_add_co_u32_e32 v78, vcc, s4, v4
	v_ashrrev_i32_e32 v3, 31, v2
	v_addc_co_u32_e32 v79, vcc, v1, v5, vcc
	v_lshlrev_b64 v[4:5], 3, v[2:3]
	v_add_u32_e32 v2, s7, v2
	v_add_co_u32_e32 v162, vcc, s4, v4
	v_ashrrev_i32_e32 v3, 31, v2
	v_addc_co_u32_e32 v163, vcc, v1, v5, vcc
	v_lshlrev_b64 v[4:5], 3, v[2:3]
	v_add_u32_e32 v2, s7, v2
	v_add_co_u32_e32 v164, vcc, s4, v4
	v_ashrrev_i32_e32 v3, 31, v2
	v_addc_co_u32_e32 v165, vcc, v1, v5, vcc
	v_lshlrev_b64 v[4:5], 3, v[2:3]
	v_add_u32_e32 v2, s7, v2
	v_add_co_u32_e32 v166, vcc, s4, v4
	v_ashrrev_i32_e32 v3, 31, v2
	v_addc_co_u32_e32 v167, vcc, v1, v5, vcc
	v_lshlrev_b64 v[4:5], 3, v[2:3]
	v_add_u32_e32 v2, s7, v2
	v_add_co_u32_e32 v168, vcc, s4, v4
	v_ashrrev_i32_e32 v3, 31, v2
	v_addc_co_u32_e32 v169, vcc, v1, v5, vcc
	v_lshlrev_b64 v[4:5], 3, v[2:3]
	v_add_u32_e32 v2, s7, v2
	v_add_co_u32_e32 v170, vcc, s4, v4
	v_ashrrev_i32_e32 v3, 31, v2
	v_addc_co_u32_e32 v171, vcc, v1, v5, vcc
	v_lshlrev_b64 v[4:5], 3, v[2:3]
	v_add_u32_e32 v2, s7, v2
	v_add_co_u32_e32 v172, vcc, s4, v4
	v_ashrrev_i32_e32 v3, 31, v2
	v_addc_co_u32_e32 v173, vcc, v1, v5, vcc
	v_lshlrev_b64 v[4:5], 3, v[2:3]
	v_add_u32_e32 v2, s7, v2
	v_add_co_u32_e32 v174, vcc, s4, v4
	v_ashrrev_i32_e32 v3, 31, v2
	v_addc_co_u32_e32 v175, vcc, v1, v5, vcc
	v_lshlrev_b64 v[4:5], 3, v[2:3]
	v_add_u32_e32 v2, s7, v2
	v_add_co_u32_e32 v176, vcc, s4, v4
	v_ashrrev_i32_e32 v3, 31, v2
	v_addc_co_u32_e32 v177, vcc, v1, v5, vcc
	v_lshlrev_b64 v[4:5], 3, v[2:3]
	v_add_u32_e32 v2, s7, v2
	v_add_co_u32_e32 v178, vcc, s4, v4
	v_ashrrev_i32_e32 v3, 31, v2
	v_addc_co_u32_e32 v179, vcc, v1, v5, vcc
	v_lshlrev_b64 v[4:5], 3, v[2:3]
	v_add_u32_e32 v2, s7, v2
	v_add_co_u32_e32 v180, vcc, s4, v4
	v_ashrrev_i32_e32 v3, 31, v2
	v_addc_co_u32_e32 v181, vcc, v1, v5, vcc
	v_lshlrev_b64 v[4:5], 3, v[2:3]
	v_add_u32_e32 v2, s7, v2
	v_add_co_u32_e32 v182, vcc, s4, v4
	v_ashrrev_i32_e32 v3, 31, v2
	v_addc_co_u32_e32 v183, vcc, v1, v5, vcc
	v_lshlrev_b64 v[4:5], 3, v[2:3]
	v_add_u32_e32 v2, s7, v2
	v_add_co_u32_e32 v184, vcc, s4, v4
	v_ashrrev_i32_e32 v3, 31, v2
	v_addc_co_u32_e32 v185, vcc, v1, v5, vcc
	v_lshlrev_b64 v[4:5], 3, v[2:3]
	v_add_co_u32_e32 v186, vcc, s4, v4
	v_add_u32_e32 v2, s7, v2
	v_addc_co_u32_e32 v187, vcc, v1, v5, vcc
	v_ashrrev_i32_e32 v3, 31, v2
	v_lshlrev_b64 v[4:5], 3, v[2:3]
	v_mov_b32_e32 v3, s5
	v_add_co_u32_e32 v196, vcc, s4, v6
	s_ashr_i32 s13, s7, 31
	s_mov_b32 s12, s7
	v_addc_co_u32_e32 v197, vcc, 0, v3, vcc
	s_lshl_b64 s[12:13], s[12:13], 3
	v_mov_b32_e32 v3, s13
	v_add_co_u32_e32 v198, vcc, s12, v196
	v_addc_co_u32_e32 v199, vcc, v197, v3, vcc
	v_add_co_u32_e32 v188, vcc, s4, v4
	v_accvgpr_write_b32 a2, v14
	v_accvgpr_write_b32 a4, v16
	global_load_dwordx2 v[8:9], v6, s[4:5]
	v_addc_co_u32_e32 v189, vcc, v1, v5, vcc
	global_load_dwordx2 v[4:5], v[12:13], off
	v_add_u32_e32 v2, s7, v2
	v_accvgpr_write_b32 a3, v15
	global_load_dwordx2 v[14:15], v[14:15], off
	v_accvgpr_write_b32 a5, v17
	global_load_dwordx2 v[16:17], v[16:17], off
	v_accvgpr_write_b32 a0, v12
	v_ashrrev_i32_e32 v3, 31, v2
	v_accvgpr_write_b32 a1, v13
	v_lshlrev_b64 v[12:13], 3, v[2:3]
	v_add_co_u32_e32 v190, vcc, s4, v12
	global_load_dwordx2 v[10:11], v[198:199], off
	v_addc_co_u32_e32 v191, vcc, v1, v13, vcc
	global_load_dwordx2 v[12:13], v[18:19], off
	v_add_u32_e32 v2, s7, v2
	v_ashrrev_i32_e32 v3, 31, v2
	v_accvgpr_write_b32 a6, v18
	v_accvgpr_write_b32 a8, v20
	;; [unrolled: 1-line block ×6, first 2 shown]
	global_load_dwordx2 v[20:21], v[20:21], off
	v_accvgpr_write_b32 a15, v27
	global_load_dwordx2 v[26:27], v[26:27], off
	v_accvgpr_write_b32 a25, v37
	global_load_dwordx2 v[36:37], v[36:37], off
	v_lshlrev_b64 v[18:19], 3, v[2:3]
	v_add_co_u32_e32 v192, vcc, s4, v18
	v_addc_co_u32_e32 v193, vcc, v1, v19, vcc
	global_load_dwordx2 v[18:19], v[22:23], off
	v_accvgpr_write_b32 a10, v22
	v_accvgpr_write_b32 a18, v30
	;; [unrolled: 1-line block ×4, first 2 shown]
	global_load_dwordx2 v[30:31], v[30:31], off
	v_add_u32_e32 v2, s7, v2
	global_load_dwordx2 v[22:23], v[24:25], off
	v_ashrrev_i32_e32 v3, 31, v2
	v_accvgpr_write_b32 a12, v24
	v_accvgpr_write_b32 a20, v32
	;; [unrolled: 1-line block ×4, first 2 shown]
	global_load_dwordx2 v[32:33], v[32:33], off
	v_lshlrev_b64 v[24:25], 3, v[2:3]
	v_add_co_u32_e32 v194, vcc, s4, v24
	v_addc_co_u32_e32 v195, vcc, v1, v25, vcc
	global_load_dwordx2 v[24:25], v[28:29], off
	v_add_u32_e32 v2, s7, v2
	v_accvgpr_write_b32 a16, v28
	v_ashrrev_i32_e32 v3, 31, v2
	v_accvgpr_write_b32 a26, v38
	v_accvgpr_write_b32 a17, v29
	;; [unrolled: 1-line block ×3, first 2 shown]
	global_load_dwordx2 v[38:39], v[38:39], off
	v_lshlrev_b64 v[28:29], 3, v[2:3]
	v_add_u32_e32 v2, s7, v2
	v_add_co_u32_e32 v200, vcc, s4, v28
	v_ashrrev_i32_e32 v3, 31, v2
	v_accvgpr_write_b32 a22, v34
	v_addc_co_u32_e32 v201, vcc, v1, v29, vcc
	v_accvgpr_write_b32 a23, v35
	global_load_dwordx2 v[28:29], v[34:35], off
	v_lshlrev_b64 v[34:35], 3, v[2:3]
	v_add_u32_e32 v2, s7, v2
	v_add_co_u32_e32 v202, vcc, s4, v34
	v_ashrrev_i32_e32 v3, 31, v2
	v_addc_co_u32_e32 v203, vcc, v1, v35, vcc
	v_lshlrev_b64 v[2:3], 3, v[2:3]
	v_accvgpr_write_b32 a28, v40
	v_accvgpr_write_b32 a30, v42
	v_accvgpr_write_b32 a32, v44
	v_accvgpr_write_b32 a34, v46
	v_accvgpr_write_b32 a36, v48
	v_accvgpr_write_b32 a38, v50
	v_accvgpr_write_b32 a40, v52
	v_accvgpr_write_b32 a42, v54
	v_add_co_u32_e32 v204, vcc, s4, v2
	v_accvgpr_write_b32 a29, v41
	global_load_dwordx2 v[34:35], v[40:41], off
	v_accvgpr_write_b32 a31, v43
	global_load_dwordx2 v[40:41], v[42:43], off
	;; [unrolled: 2-line block ×8, first 2 shown]
	v_addc_co_u32_e32 v205, vcc, v1, v3, vcc
	global_load_dwordx2 v[2:3], v[56:57], off
	global_load_dwordx2 v[54:55], v[204:205], off
	v_accvgpr_write_b32 a44, v56
	v_accvgpr_write_b32 a45, v57
	global_load_dwordx2 v[56:57], v[58:59], off
	v_accvgpr_write_b32 a46, v58
	v_accvgpr_write_b32 a47, v59
	s_waitcnt vmcnt(26)
	buffer_store_dword v9, off, s[0:3], 0 offset:4
	buffer_store_dword v8, off, s[0:3], 0
	global_load_dwordx2 v[8:9], v[62:63], off
	v_accvgpr_write_b32 a48, v60
	s_waitcnt vmcnt(28)
	buffer_store_dword v5, off, s[0:3], 0 offset:20
	buffer_store_dword v4, off, s[0:3], 0 offset:16
	global_load_dwordx2 v[4:5], v[70:71], off
	v_accvgpr_write_b32 a49, v61
	s_waitcnt vmcnt(29)
	buffer_store_dword v17, off, s[0:3], 0 offset:36
	buffer_store_dword v16, off, s[0:3], 0 offset:32
	global_load_dwordx2 v[16:17], v[78:79], off
	v_accvgpr_write_b32 a50, v62
	global_load_dwordx2 v[58:59], v[60:61], off
	v_accvgpr_write_b32 a51, v63
	s_waitcnt vmcnt(32)
	buffer_store_dword v11, off, s[0:3], 0 offset:12
	buffer_store_dword v10, off, s[0:3], 0 offset:8
	global_load_dwordx2 v[10:11], v[66:67], off
	v_accvgpr_write_b32 a52, v64
	buffer_store_dword v15, off, s[0:3], 0 offset:28
	buffer_store_dword v14, off, s[0:3], 0 offset:24
	global_load_dwordx2 v[14:15], v[74:75], off
	v_accvgpr_write_b32 a54, v66
	s_waitcnt vmcnt(37)
	buffer_store_dword v13, off, s[0:3], 0 offset:44
	buffer_store_dword v12, off, s[0:3], 0 offset:40
	global_load_dwordx2 v[12:13], v[164:165], off
	v_accvgpr_write_b32 a58, v70
	global_load_dwordx2 v[60:61], v[64:65], off
	global_load_dwordx2 v[62:63], v[68:69], off
	v_accvgpr_write_b32 a53, v65
	v_accvgpr_write_b32 a55, v67
	global_load_dwordx2 v[66:67], v[76:77], off
	v_accvgpr_write_b32 a59, v71
	global_load_dwordx2 v[70:71], v[166:167], off
	global_load_dwordx2 v[64:65], v[72:73], off
	v_accvgpr_write_b32 a56, v68
	v_accvgpr_write_b32 a57, v69
	global_load_dwordx2 v[68:69], v[162:163], off
	v_accvgpr_write_b32 a60, v72
	s_waitcnt vmcnt(45)
	buffer_store_dword v21, off, s[0:3], 0 offset:52
	buffer_store_dword v20, off, s[0:3], 0 offset:48
	global_load_dwordx2 v[20:21], v[168:169], off
	v_accvgpr_write_b32 a61, v73
	s_waitcnt vmcnt(45)
	buffer_store_dword v19, off, s[0:3], 0 offset:60
	buffer_store_dword v18, off, s[0:3], 0 offset:56
	global_load_dwordx2 v[18:19], v[172:173], off
	v_accvgpr_write_b32 a62, v74
	global_load_dwordx2 v[72:73], v[170:171], off
	v_accvgpr_write_b32 a63, v75
	;; [unrolled: 2-line block ×3, first 2 shown]
	s_waitcnt vmcnt(48)
	buffer_store_dword v23, off, s[0:3], 0 offset:68
	buffer_store_dword v22, off, s[0:3], 0 offset:64
	global_load_dwordx2 v[22:23], v[176:177], off
	v_accvgpr_write_b32 a65, v77
	global_load_dwordx2 v[76:77], v[178:179], off
	v_accvgpr_write_b32 a66, v78
	buffer_store_dword v26, off, s[0:3], 0 offset:72
	buffer_store_dword v27, off, s[0:3], 0 offset:76
	global_load_dwordx2 v[26:27], v[180:181], off
	v_accvgpr_write_b32 a67, v79
	global_load_dwordx2 v[78:79], v[182:183], off
	global_load_dwordx2 v[80:81], v[186:187], off
	;; [unrolled: 1-line block ×5, first 2 shown]
	s_bitcmp0_b32 s22, 0
	s_waitcnt vmcnt(58)
	buffer_store_dword v24, off, s[0:3], 0 offset:80
	buffer_store_dword v25, off, s[0:3], 0 offset:84
	global_load_dwordx2 v[24:25], v[184:185], off
	s_mov_b64 s[6:7], -1
	buffer_store_dword v30, off, s[0:3], 0 offset:88
	buffer_store_dword v31, off, s[0:3], 0 offset:92
	global_load_dwordx2 v[30:31], v[188:189], off
	s_nop 0
	buffer_store_dword v32, off, s[0:3], 0 offset:96
	buffer_store_dword v33, off, s[0:3], 0 offset:100
	global_load_dwordx2 v[32:33], v[192:193], off
	s_waitcnt vmcnt(62)
	buffer_store_dword v28, off, s[0:3], 0 offset:104
	buffer_store_dword v29, off, s[0:3], 0 offset:108
	global_load_dwordx2 v[28:29], v[200:201], off
	s_nop 0
	buffer_store_dword v37, off, s[0:3], 0 offset:116
	buffer_store_dword v36, off, s[0:3], 0 offset:112
	buffer_store_dword v38, off, s[0:3], 0 offset:120
	buffer_store_dword v39, off, s[0:3], 0 offset:124
	buffer_store_dword v34, off, s[0:3], 0 offset:128
	buffer_store_dword v35, off, s[0:3], 0 offset:132
	buffer_store_dword v40, off, s[0:3], 0 offset:136
	buffer_store_dword v41, off, s[0:3], 0 offset:140
	buffer_store_dword v42, off, s[0:3], 0 offset:144
	buffer_store_dword v43, off, s[0:3], 0 offset:148
	s_waitcnt vmcnt(62)
	buffer_store_dword v45, off, s[0:3], 0 offset:156
	buffer_store_dword v44, off, s[0:3], 0 offset:152
	;; [unrolled: 1-line block ×14, first 2 shown]
	s_waitcnt vmcnt(62)
	buffer_store_dword v59, off, s[0:3], 0 offset:212
	buffer_store_dword v58, off, s[0:3], 0 offset:208
	;; [unrolled: 1-line block ×4, first 2 shown]
	s_waitcnt vmcnt(62)
	buffer_store_dword v60, off, s[0:3], 0 offset:224
	buffer_store_dword v61, off, s[0:3], 0 offset:228
	;; [unrolled: 1-line block ×8, first 2 shown]
	s_waitcnt vmcnt(62)
	buffer_store_dword v65, off, s[0:3], 0 offset:260
	buffer_store_dword v64, off, s[0:3], 0 offset:256
	;; [unrolled: 1-line block ×16, first 2 shown]
	s_waitcnt vmcnt(62)
	buffer_store_dword v72, off, s[0:3], 0 offset:320
	buffer_store_dword v73, off, s[0:3], 0 offset:324
	;; [unrolled: 1-line block ×14, first 2 shown]
	s_waitcnt vmcnt(62)
	buffer_store_dword v24, off, s[0:3], 0 offset:376
	buffer_store_dword v25, off, s[0:3], 0 offset:380
	;; [unrolled: 1-line block ×18, first 2 shown]
	s_cbranch_scc1 .LBB55_236
; %bb.4:
	v_cmp_eq_u32_e64 s[4:5], 0, v0
	s_and_saveexec_b64 s[6:7], s[4:5]
	s_cbranch_execz .LBB55_6
; %bb.5:
	v_mov_b32_e32 v1, 0
	ds_write_b32 v1, v1 offset:896
.LBB55_6:
	s_or_b64 exec, exec, s[6:7]
	v_mov_b32_e32 v1, 0
	v_lshl_add_u32 v7, v0, 3, v1
	s_waitcnt lgkmcnt(0)
	; wave barrier
	s_waitcnt lgkmcnt(0)
	buffer_load_dword v1, v7, s[0:3], 0 offen
	buffer_load_dword v2, v7, s[0:3], 0 offen offset:4
	s_waitcnt vmcnt(1)
	v_cmp_eq_f32_e32 vcc, 0, v1
	s_waitcnt vmcnt(0)
	v_cmp_eq_f32_e64 s[6:7], 0, v2
	s_and_b64 s[6:7], vcc, s[6:7]
	s_and_saveexec_b64 s[12:13], s[6:7]
	s_cbranch_execz .LBB55_10
; %bb.7:
	v_mov_b32_e32 v1, 0
	ds_read_b32 v3, v1 offset:896
	v_add_u32_e32 v2, 1, v0
	s_waitcnt lgkmcnt(0)
	v_readfirstlane_b32 s6, v3
	s_cmp_eq_u32 s6, 0
	s_cselect_b64 s[16:17], -1, 0
	v_cmp_gt_i32_e32 vcc, s6, v2
	s_or_b64 s[16:17], s[16:17], vcc
	s_and_b64 exec, exec, s[16:17]
	s_cbranch_execz .LBB55_10
; %bb.8:
	s_mov_b64 s[16:17], 0
	v_mov_b32_e32 v3, s6
.LBB55_9:                               ; =>This Inner Loop Header: Depth=1
	ds_cmpst_rtn_b32 v3, v1, v3, v2 offset:896
	s_waitcnt lgkmcnt(0)
	v_cmp_ne_u32_e32 vcc, 0, v3
	v_cmp_le_i32_e64 s[6:7], v3, v2
	s_and_b64 s[6:7], vcc, s[6:7]
	s_and_b64 s[6:7], exec, s[6:7]
	s_or_b64 s[16:17], s[6:7], s[16:17]
	s_andn2_b64 exec, exec, s[16:17]
	s_cbranch_execnz .LBB55_9
.LBB55_10:
	s_or_b64 exec, exec, s[12:13]
	v_mov_b32_e32 v2, 0
	s_waitcnt lgkmcnt(0)
	; wave barrier
	ds_read_b32 v1, v2 offset:896
	s_and_saveexec_b64 s[6:7], s[4:5]
	s_cbranch_execz .LBB55_12
; %bb.11:
	s_lshl_b64 s[12:13], s[8:9], 2
	s_add_u32 s12, s14, s12
	s_addc_u32 s13, s15, s13
	s_waitcnt lgkmcnt(0)
	global_store_dword v2, v1, s[12:13]
.LBB55_12:
	s_or_b64 exec, exec, s[6:7]
	s_waitcnt lgkmcnt(0)
	v_cmp_ne_u32_e32 vcc, 0, v1
	s_mov_b64 s[6:7], 0
	s_cbranch_vccnz .LBB55_236
; %bb.13:
	buffer_load_dword v8, v7, s[0:3], 0 offen offset:4
	buffer_load_dword v3, v7, s[0:3], 0 offen
	s_waitcnt vmcnt(1)
	v_cmp_gt_f32_e32 vcc, 0, v8
	v_cndmask_b32_e64 v1, v8, -v8, vcc
	s_waitcnt vmcnt(0)
	v_cmp_gt_f32_e32 vcc, 0, v3
	v_cndmask_b32_e64 v2, v3, -v3, vcc
	v_cmp_ngt_f32_e32 vcc, v2, v1
                                        ; implicit-def: $vgpr1
                                        ; implicit-def: $vgpr2
	s_and_saveexec_b64 s[6:7], vcc
	s_xor_b64 s[6:7], exec, s[6:7]
                                        ; implicit-def: $vgpr4_vgpr5
	s_cbranch_execz .LBB55_15
; %bb.14:
	v_div_scale_f32 v1, s[12:13], v8, v8, v3
	v_rcp_f32_e32 v2, v1
	v_div_scale_f32 v4, vcc, v3, v8, v3
	v_fma_f32 v5, -v1, v2, 1.0
	v_fmac_f32_e32 v2, v5, v2
	v_mul_f32_e32 v5, v4, v2
	v_fma_f32 v9, -v1, v5, v4
	v_fmac_f32_e32 v5, v9, v2
	v_fma_f32 v1, -v1, v5, v4
	v_div_fmas_f32 v1, v1, v2, v5
	v_div_fixup_f32 v2, v1, v8, v3
	v_fmac_f32_e32 v8, v3, v2
	v_div_scale_f32 v1, s[12:13], v8, v8, -1.0
	v_rcp_f32_e32 v3, v1
	v_fma_f32 v4, -v1, v3, 1.0
	v_fmac_f32_e32 v3, v4, v3
	v_div_scale_f32 v4, vcc, -1.0, v8, -1.0
	v_mul_f32_e32 v5, v4, v3
	v_fma_f32 v9, -v1, v5, v4
	v_fmac_f32_e32 v5, v9, v3
	v_fma_f32 v1, -v1, v5, v4
	v_div_fmas_f32 v1, v1, v3, v5
	v_div_fixup_f32 v1, v1, v8, -1.0
	v_mul_f32_e32 v2, v2, v1
	v_xor_b32_e32 v4, 0x80000000, v2
                                        ; implicit-def: $vgpr3
                                        ; implicit-def: $vgpr8
.LBB55_15:
	s_andn2_saveexec_b64 s[6:7], s[6:7]
	s_cbranch_execz .LBB55_17
; %bb.16:
	v_div_scale_f32 v1, s[12:13], v3, v3, v8
	v_rcp_f32_e32 v2, v1
	v_div_scale_f32 v4, vcc, v8, v3, v8
	v_fma_f32 v5, -v1, v2, 1.0
	v_fmac_f32_e32 v2, v5, v2
	v_mul_f32_e32 v5, v4, v2
	v_fma_f32 v9, -v1, v5, v4
	v_fmac_f32_e32 v5, v9, v2
	v_fma_f32 v1, -v1, v5, v4
	v_div_fmas_f32 v1, v1, v2, v5
	v_div_fixup_f32 v1, v1, v3, v8
	v_fmac_f32_e32 v3, v8, v1
	v_div_scale_f32 v2, s[12:13], v3, v3, 1.0
	v_rcp_f32_e32 v4, v2
	v_fma_f32 v5, -v2, v4, 1.0
	v_fmac_f32_e32 v4, v5, v4
	v_div_scale_f32 v5, vcc, 1.0, v3, 1.0
	v_mul_f32_e32 v8, v5, v4
	v_fma_f32 v9, -v2, v8, v5
	v_fmac_f32_e32 v8, v9, v4
	v_fma_f32 v2, -v2, v8, v5
	v_div_fmas_f32 v2, v2, v4, v8
	v_div_fixup_f32 v4, v2, v3, 1.0
	v_xor_b32_e32 v2, 0x80000000, v4
	v_mul_f32_e64 v1, v1, -v4
.LBB55_17:
	s_or_b64 exec, exec, s[6:7]
	buffer_store_dword v1, v7, s[0:3], 0 offen offset:4
	buffer_store_dword v4, v7, s[0:3], 0 offen
	buffer_load_dword v5, off, s[0:3], 0 offset:12
	s_nop 0
	buffer_load_dword v4, off, s[0:3], 0 offset:8
	v_xor_b32_e32 v3, 0x80000000, v1
	v_add_u32_e32 v1, 0x1c0, v6
	s_waitcnt vmcnt(0)
	ds_write2_b64 v6, v[2:3], v[4:5] offset1:56
	s_waitcnt lgkmcnt(0)
	; wave barrier
	s_waitcnt lgkmcnt(0)
	s_and_saveexec_b64 s[6:7], s[4:5]
	s_cbranch_execz .LBB55_19
; %bb.18:
	buffer_load_dword v8, v7, s[0:3], 0 offen offset:4
	buffer_load_dword v9, v7, s[0:3], 0 offen
	ds_read_b64 v[2:3], v1
	v_mov_b32_e32 v4, 0
	ds_read_b64 v[4:5], v4 offset:8
	s_waitcnt vmcnt(1) lgkmcnt(1)
	v_mul_f32_e32 v10, v3, v8
	v_mul_f32_e32 v8, v2, v8
	s_waitcnt vmcnt(0)
	v_fmac_f32_e32 v8, v3, v9
	v_fma_f32 v2, v2, v9, -v10
	v_add_f32_e32 v3, 0, v8
	v_add_f32_e32 v2, 0, v2
	s_waitcnt lgkmcnt(0)
	v_mul_f32_e32 v8, v3, v5
	v_mul_f32_e32 v5, v2, v5
	v_fma_f32 v2, v2, v4, -v8
	v_fmac_f32_e32 v5, v3, v4
	buffer_store_dword v2, off, s[0:3], 0 offset:8
	buffer_store_dword v5, off, s[0:3], 0 offset:12
.LBB55_19:
	s_or_b64 exec, exec, s[6:7]
	s_waitcnt lgkmcnt(0)
	; wave barrier
	buffer_load_dword v2, off, s[0:3], 0 offset:16
	buffer_load_dword v3, off, s[0:3], 0 offset:20
	v_cmp_gt_u32_e32 vcc, 2, v0
	s_waitcnt vmcnt(0)
	ds_write_b64 v1, v[2:3]
	s_waitcnt lgkmcnt(0)
	; wave barrier
	s_waitcnt lgkmcnt(0)
	s_and_saveexec_b64 s[6:7], vcc
	s_cbranch_execz .LBB55_23
; %bb.20:
	buffer_load_dword v4, v7, s[0:3], 0 offen offset:4
	buffer_load_dword v5, v7, s[0:3], 0 offen
	ds_read_b64 v[2:3], v1
	s_waitcnt vmcnt(1) lgkmcnt(0)
	v_mul_f32_e32 v7, v3, v4
	v_mul_f32_e32 v4, v2, v4
	s_waitcnt vmcnt(0)
	v_fma_f32 v2, v2, v5, -v7
	v_fmac_f32_e32 v4, v3, v5
	v_add_f32_e32 v3, 0, v2
	v_add_f32_e32 v2, 0, v4
	s_and_saveexec_b64 s[12:13], s[4:5]
	s_cbranch_execz .LBB55_22
; %bb.21:
	buffer_load_dword v7, off, s[0:3], 0 offset:12
	buffer_load_dword v8, off, s[0:3], 0 offset:8
	v_mov_b32_e32 v4, 0
	ds_read_b64 v[4:5], v4 offset:456
	s_waitcnt vmcnt(1) lgkmcnt(0)
	v_mul_f32_e32 v9, v4, v7
	v_mul_f32_e32 v7, v5, v7
	s_waitcnt vmcnt(0)
	v_fmac_f32_e32 v9, v5, v8
	v_fma_f32 v4, v4, v8, -v7
	v_add_f32_e32 v2, v2, v9
	v_add_f32_e32 v3, v3, v4
.LBB55_22:
	s_or_b64 exec, exec, s[12:13]
	v_mov_b32_e32 v4, 0
	ds_read_b64 v[4:5], v4 offset:16
	s_waitcnt lgkmcnt(0)
	v_mul_f32_e32 v7, v2, v5
	v_mul_f32_e32 v5, v3, v5
	v_fma_f32 v3, v3, v4, -v7
	v_fmac_f32_e32 v5, v2, v4
	buffer_store_dword v3, off, s[0:3], 0 offset:16
	buffer_store_dword v5, off, s[0:3], 0 offset:20
.LBB55_23:
	s_or_b64 exec, exec, s[6:7]
	s_waitcnt lgkmcnt(0)
	; wave barrier
	buffer_load_dword v2, off, s[0:3], 0 offset:24
	buffer_load_dword v3, off, s[0:3], 0 offset:28
	v_cmp_gt_u32_e32 vcc, 3, v0
	s_waitcnt vmcnt(0)
	ds_write_b64 v1, v[2:3]
	v_add_u32_e32 v2, -1, v0
	s_waitcnt lgkmcnt(0)
	; wave barrier
	s_waitcnt lgkmcnt(0)
	s_and_saveexec_b64 s[4:5], vcc
	s_cbranch_execz .LBB55_27
; %bb.24:
	v_add_u32_e32 v4, -1, v0
	v_add_u32_e32 v5, 0x1c0, v6
	v_add_u32_e32 v7, 0, v6
	s_mov_b64 s[6:7], 0
	v_mov_b32_e32 v3, 0
	v_mov_b32_e32 v8, 0
.LBB55_25:                              ; =>This Inner Loop Header: Depth=1
	buffer_load_dword v9, v7, s[0:3], 0 offen offset:4
	buffer_load_dword v12, v7, s[0:3], 0 offen
	ds_read_b64 v[10:11], v5
	v_add_u32_e32 v4, 1, v4
	v_cmp_lt_u32_e32 vcc, 1, v4
	v_add_u32_e32 v5, 8, v5
	v_add_u32_e32 v7, 8, v7
	s_or_b64 s[6:7], vcc, s[6:7]
	s_waitcnt vmcnt(1) lgkmcnt(0)
	v_mul_f32_e32 v13, v11, v9
	v_mul_f32_e32 v9, v10, v9
	s_waitcnt vmcnt(0)
	v_fma_f32 v10, v10, v12, -v13
	v_fmac_f32_e32 v9, v11, v12
	v_add_f32_e32 v8, v8, v10
	v_add_f32_e32 v3, v3, v9
	s_andn2_b64 exec, exec, s[6:7]
	s_cbranch_execnz .LBB55_25
; %bb.26:
	s_or_b64 exec, exec, s[6:7]
	v_mov_b32_e32 v4, 0
	ds_read_b64 v[4:5], v4 offset:24
	s_waitcnt lgkmcnt(0)
	v_mul_f32_e32 v7, v3, v5
	v_mul_f32_e32 v5, v8, v5
	v_fma_f32 v7, v8, v4, -v7
	v_fmac_f32_e32 v5, v3, v4
	buffer_store_dword v7, off, s[0:3], 0 offset:24
	buffer_store_dword v5, off, s[0:3], 0 offset:28
.LBB55_27:
	s_or_b64 exec, exec, s[4:5]
	s_waitcnt lgkmcnt(0)
	; wave barrier
	buffer_load_dword v4, off, s[0:3], 0 offset:32
	buffer_load_dword v5, off, s[0:3], 0 offset:36
	v_cmp_gt_u32_e32 vcc, 4, v0
	s_waitcnt vmcnt(0)
	ds_write_b64 v1, v[4:5]
	s_waitcnt lgkmcnt(0)
	; wave barrier
	s_waitcnt lgkmcnt(0)
	s_and_saveexec_b64 s[4:5], vcc
	s_cbranch_execz .LBB55_31
; %bb.28:
	v_add_u32_e32 v4, -1, v0
	v_add_u32_e32 v5, 0x1c0, v6
	v_add_u32_e32 v7, 0, v6
	s_mov_b64 s[6:7], 0
	v_mov_b32_e32 v3, 0
	v_mov_b32_e32 v8, 0
.LBB55_29:                              ; =>This Inner Loop Header: Depth=1
	buffer_load_dword v9, v7, s[0:3], 0 offen offset:4
	buffer_load_dword v12, v7, s[0:3], 0 offen
	ds_read_b64 v[10:11], v5
	v_add_u32_e32 v4, 1, v4
	v_cmp_lt_u32_e32 vcc, 2, v4
	v_add_u32_e32 v5, 8, v5
	v_add_u32_e32 v7, 8, v7
	s_or_b64 s[6:7], vcc, s[6:7]
	s_waitcnt vmcnt(1) lgkmcnt(0)
	v_mul_f32_e32 v13, v11, v9
	v_mul_f32_e32 v9, v10, v9
	s_waitcnt vmcnt(0)
	v_fma_f32 v10, v10, v12, -v13
	v_fmac_f32_e32 v9, v11, v12
	v_add_f32_e32 v8, v8, v10
	v_add_f32_e32 v3, v3, v9
	s_andn2_b64 exec, exec, s[6:7]
	s_cbranch_execnz .LBB55_29
; %bb.30:
	s_or_b64 exec, exec, s[6:7]
	v_mov_b32_e32 v4, 0
	ds_read_b64 v[4:5], v4 offset:32
	s_waitcnt lgkmcnt(0)
	v_mul_f32_e32 v7, v3, v5
	v_mul_f32_e32 v5, v8, v5
	v_fma_f32 v7, v8, v4, -v7
	v_fmac_f32_e32 v5, v3, v4
	buffer_store_dword v7, off, s[0:3], 0 offset:32
	buffer_store_dword v5, off, s[0:3], 0 offset:36
.LBB55_31:
	s_or_b64 exec, exec, s[4:5]
	s_waitcnt lgkmcnt(0)
	; wave barrier
	buffer_load_dword v4, off, s[0:3], 0 offset:40
	buffer_load_dword v5, off, s[0:3], 0 offset:44
	v_cmp_gt_u32_e32 vcc, 5, v0
	s_waitcnt vmcnt(0)
	ds_write_b64 v1, v[4:5]
	;; [unrolled: 51-line block ×19, first 2 shown]
	s_waitcnt lgkmcnt(0)
	; wave barrier
	s_waitcnt lgkmcnt(0)
	s_and_saveexec_b64 s[4:5], vcc
	s_cbranch_execz .LBB55_103
; %bb.100:
	v_add_u32_e32 v4, -1, v0
	v_add_u32_e32 v5, 0x1c0, v6
	v_add_u32_e32 v7, 0, v6
	s_mov_b64 s[6:7], 0
	v_mov_b32_e32 v3, 0
	v_mov_b32_e32 v8, 0
.LBB55_101:                             ; =>This Inner Loop Header: Depth=1
	buffer_load_dword v9, v7, s[0:3], 0 offen offset:4
	buffer_load_dword v12, v7, s[0:3], 0 offen
	ds_read_b64 v[10:11], v5
	v_add_u32_e32 v4, 1, v4
	v_cmp_lt_u32_e32 vcc, 20, v4
	v_add_u32_e32 v5, 8, v5
	v_add_u32_e32 v7, 8, v7
	s_or_b64 s[6:7], vcc, s[6:7]
	s_waitcnt vmcnt(1) lgkmcnt(0)
	v_mul_f32_e32 v13, v11, v9
	v_mul_f32_e32 v9, v10, v9
	s_waitcnt vmcnt(0)
	v_fma_f32 v10, v10, v12, -v13
	v_fmac_f32_e32 v9, v11, v12
	v_add_f32_e32 v8, v8, v10
	v_add_f32_e32 v3, v3, v9
	s_andn2_b64 exec, exec, s[6:7]
	s_cbranch_execnz .LBB55_101
; %bb.102:
	s_or_b64 exec, exec, s[6:7]
	v_mov_b32_e32 v4, 0
	ds_read_b64 v[4:5], v4 offset:176
	s_waitcnt lgkmcnt(0)
	v_mul_f32_e32 v7, v3, v5
	v_mul_f32_e32 v5, v8, v5
	v_fma_f32 v7, v8, v4, -v7
	v_fmac_f32_e32 v5, v3, v4
	buffer_store_dword v7, off, s[0:3], 0 offset:176
	buffer_store_dword v5, off, s[0:3], 0 offset:180
.LBB55_103:
	s_or_b64 exec, exec, s[4:5]
	s_waitcnt lgkmcnt(0)
	; wave barrier
	buffer_load_dword v4, off, s[0:3], 0 offset:184
	buffer_load_dword v5, off, s[0:3], 0 offset:188
	v_cmp_gt_u32_e32 vcc, 23, v0
	s_waitcnt vmcnt(0)
	ds_write_b64 v1, v[4:5]
	s_waitcnt lgkmcnt(0)
	; wave barrier
	s_waitcnt lgkmcnt(0)
	s_and_saveexec_b64 s[4:5], vcc
	s_cbranch_execz .LBB55_107
; %bb.104:
	v_add_u32_e32 v4, -1, v0
	v_add_u32_e32 v5, 0x1c0, v6
	v_add_u32_e32 v7, 0, v6
	s_mov_b64 s[6:7], 0
	v_mov_b32_e32 v3, 0
	v_mov_b32_e32 v8, 0
.LBB55_105:                             ; =>This Inner Loop Header: Depth=1
	buffer_load_dword v9, v7, s[0:3], 0 offen offset:4
	buffer_load_dword v12, v7, s[0:3], 0 offen
	ds_read_b64 v[10:11], v5
	v_add_u32_e32 v4, 1, v4
	v_cmp_lt_u32_e32 vcc, 21, v4
	v_add_u32_e32 v5, 8, v5
	v_add_u32_e32 v7, 8, v7
	s_or_b64 s[6:7], vcc, s[6:7]
	s_waitcnt vmcnt(1) lgkmcnt(0)
	v_mul_f32_e32 v13, v11, v9
	v_mul_f32_e32 v9, v10, v9
	s_waitcnt vmcnt(0)
	v_fma_f32 v10, v10, v12, -v13
	v_fmac_f32_e32 v9, v11, v12
	v_add_f32_e32 v8, v8, v10
	v_add_f32_e32 v3, v3, v9
	s_andn2_b64 exec, exec, s[6:7]
	s_cbranch_execnz .LBB55_105
; %bb.106:
	s_or_b64 exec, exec, s[6:7]
	v_mov_b32_e32 v4, 0
	ds_read_b64 v[4:5], v4 offset:184
	s_waitcnt lgkmcnt(0)
	v_mul_f32_e32 v7, v3, v5
	v_mul_f32_e32 v5, v8, v5
	v_fma_f32 v7, v8, v4, -v7
	v_fmac_f32_e32 v5, v3, v4
	buffer_store_dword v7, off, s[0:3], 0 offset:184
	buffer_store_dword v5, off, s[0:3], 0 offset:188
.LBB55_107:
	s_or_b64 exec, exec, s[4:5]
	s_waitcnt lgkmcnt(0)
	; wave barrier
	buffer_load_dword v4, off, s[0:3], 0 offset:192
	buffer_load_dword v5, off, s[0:3], 0 offset:196
	v_cmp_gt_u32_e32 vcc, 24, v0
	s_waitcnt vmcnt(0)
	ds_write_b64 v1, v[4:5]
	;; [unrolled: 51-line block ×32, first 2 shown]
	s_waitcnt lgkmcnt(0)
	; wave barrier
	s_waitcnt lgkmcnt(0)
	s_and_saveexec_b64 s[4:5], vcc
	s_cbranch_execz .LBB55_231
; %bb.228:
	v_add_u32_e32 v4, -1, v0
	v_add_u32_e32 v5, 0x1c0, v6
	v_add_u32_e32 v7, 0, v6
	s_mov_b64 s[6:7], 0
	v_mov_b32_e32 v3, 0
	v_mov_b32_e32 v8, 0
.LBB55_229:                             ; =>This Inner Loop Header: Depth=1
	buffer_load_dword v9, v7, s[0:3], 0 offen offset:4
	buffer_load_dword v12, v7, s[0:3], 0 offen
	ds_read_b64 v[10:11], v5
	v_add_u32_e32 v4, 1, v4
	v_cmp_lt_u32_e32 vcc, 52, v4
	v_add_u32_e32 v5, 8, v5
	v_add_u32_e32 v7, 8, v7
	s_or_b64 s[6:7], vcc, s[6:7]
	s_waitcnt vmcnt(1) lgkmcnt(0)
	v_mul_f32_e32 v13, v11, v9
	v_mul_f32_e32 v9, v10, v9
	s_waitcnt vmcnt(0)
	v_fma_f32 v10, v10, v12, -v13
	v_fmac_f32_e32 v9, v11, v12
	v_add_f32_e32 v8, v8, v10
	v_add_f32_e32 v3, v3, v9
	s_andn2_b64 exec, exec, s[6:7]
	s_cbranch_execnz .LBB55_229
; %bb.230:
	s_or_b64 exec, exec, s[6:7]
	v_mov_b32_e32 v4, 0
	ds_read_b64 v[4:5], v4 offset:432
	s_waitcnt lgkmcnt(0)
	v_mul_f32_e32 v7, v3, v5
	v_mul_f32_e32 v5, v8, v5
	v_fma_f32 v7, v8, v4, -v7
	v_fmac_f32_e32 v5, v3, v4
	buffer_store_dword v7, off, s[0:3], 0 offset:432
	buffer_store_dword v5, off, s[0:3], 0 offset:436
.LBB55_231:
	s_or_b64 exec, exec, s[4:5]
	s_waitcnt lgkmcnt(0)
	; wave barrier
	buffer_load_dword v4, off, s[0:3], 0 offset:440
	buffer_load_dword v5, off, s[0:3], 0 offset:444
	v_cmp_ne_u32_e32 vcc, 55, v0
	s_waitcnt vmcnt(0)
	ds_write_b64 v1, v[4:5]
	s_waitcnt lgkmcnt(0)
	; wave barrier
	s_waitcnt lgkmcnt(0)
	s_and_saveexec_b64 s[4:5], vcc
	s_cbranch_execz .LBB55_235
; %bb.232:
	v_add_u32_e32 v3, 0x1c0, v6
	v_add_u32_e32 v4, 0, v6
	s_mov_b64 s[6:7], 0
	v_mov_b32_e32 v1, 0
	v_mov_b32_e32 v5, 0
.LBB55_233:                             ; =>This Inner Loop Header: Depth=1
	buffer_load_dword v8, v4, s[0:3], 0 offen offset:4
	buffer_load_dword v9, v4, s[0:3], 0 offen
	ds_read_b64 v[6:7], v3
	v_add_u32_e32 v2, 1, v2
	v_cmp_lt_u32_e32 vcc, 53, v2
	v_add_u32_e32 v3, 8, v3
	v_add_u32_e32 v4, 8, v4
	s_or_b64 s[6:7], vcc, s[6:7]
	s_waitcnt vmcnt(1) lgkmcnt(0)
	v_mul_f32_e32 v10, v7, v8
	v_mul_f32_e32 v8, v6, v8
	s_waitcnt vmcnt(0)
	v_fma_f32 v6, v6, v9, -v10
	v_fmac_f32_e32 v8, v7, v9
	v_add_f32_e32 v5, v5, v6
	v_add_f32_e32 v1, v1, v8
	s_andn2_b64 exec, exec, s[6:7]
	s_cbranch_execnz .LBB55_233
; %bb.234:
	s_or_b64 exec, exec, s[6:7]
	v_mov_b32_e32 v2, 0
	ds_read_b64 v[2:3], v2 offset:440
	s_waitcnt lgkmcnt(0)
	v_mul_f32_e32 v4, v1, v3
	v_mul_f32_e32 v3, v5, v3
	v_fma_f32 v4, v5, v2, -v4
	v_fmac_f32_e32 v3, v1, v2
	buffer_store_dword v4, off, s[0:3], 0 offset:440
	buffer_store_dword v3, off, s[0:3], 0 offset:444
.LBB55_235:
	s_or_b64 exec, exec, s[4:5]
	s_mov_b64 s[6:7], -1
	s_waitcnt lgkmcnt(0)
	; wave barrier
.LBB55_236:
	s_and_b64 vcc, exec, s[6:7]
	s_cbranch_vccz .LBB55_238
; %bb.237:
	s_lshl_b64 s[4:5], s[8:9], 2
	s_add_u32 s4, s14, s4
	s_addc_u32 s5, s15, s5
	v_mov_b32_e32 v1, 0
	global_load_dword v1, v1, s[4:5]
	s_waitcnt vmcnt(0)
	v_cmp_ne_u32_e32 vcc, 0, v1
	s_cbranch_vccz .LBB55_239
.LBB55_238:
	s_endpgm
.LBB55_239:
	v_mov_b32_e32 v1, 0x1c0
	v_lshl_add_u32 v161, v0, 3, v1
	v_cmp_eq_u32_e32 vcc, 55, v0
	s_and_saveexec_b64 s[4:5], vcc
	s_cbranch_execz .LBB55_241
; %bb.240:
	buffer_load_dword v2, off, s[0:3], 0 offset:432
	buffer_load_dword v3, off, s[0:3], 0 offset:436
	v_mov_b32_e32 v1, 0
	buffer_store_dword v1, off, s[0:3], 0 offset:432
	buffer_store_dword v1, off, s[0:3], 0 offset:436
	s_waitcnt vmcnt(2)
	ds_write_b64 v161, v[2:3]
.LBB55_241:
	s_or_b64 exec, exec, s[4:5]
	s_waitcnt lgkmcnt(0)
	; wave barrier
	s_waitcnt lgkmcnt(0)
	buffer_load_dword v3, off, s[0:3], 0 offset:444
	buffer_load_dword v2, off, s[0:3], 0 offset:440
	;; [unrolled: 1-line block ×4, first 2 shown]
	v_mov_b32_e32 v1, 0
	ds_read_b64 v[6:7], v1 offset:888
	v_cmp_lt_u32_e32 vcc, 53, v0
	s_waitcnt vmcnt(3)
	v_mov_b32_e32 v8, v3
	s_waitcnt lgkmcnt(0)
	v_pk_mul_f32 v[8:9], v[6:7], v[8:9] op_sel_hi:[1,0]
	s_waitcnt vmcnt(2)
	v_pk_fma_f32 v[10:11], v[6:7], v[2:3], v[8:9] op_sel:[0,0,1] op_sel_hi:[1,1,0] neg_lo:[0,0,1] neg_hi:[0,0,1]
	v_pk_fma_f32 v[2:3], v[6:7], v[2:3], v[8:9] op_sel:[0,0,1] op_sel_hi:[1,0,0]
	v_mov_b32_e32 v11, v3
	v_pk_add_f32 v[2:3], v[10:11], 0 op_sel_hi:[1,0]
	s_waitcnt vmcnt(0)
	v_pk_add_f32 v[2:3], v[4:5], v[2:3] neg_lo:[0,1] neg_hi:[0,1]
	buffer_store_dword v2, off, s[0:3], 0 offset:432
	buffer_store_dword v3, off, s[0:3], 0 offset:436
	s_and_saveexec_b64 s[4:5], vcc
	s_cbranch_execz .LBB55_243
; %bb.242:
	buffer_load_dword v2, off, s[0:3], 0 offset:424
	buffer_load_dword v3, off, s[0:3], 0 offset:428
	s_waitcnt vmcnt(0)
	ds_write_b64 v161, v[2:3]
	buffer_store_dword v1, off, s[0:3], 0 offset:424
	buffer_store_dword v1, off, s[0:3], 0 offset:428
.LBB55_243:
	s_or_b64 exec, exec, s[4:5]
	s_waitcnt lgkmcnt(0)
	; wave barrier
	s_waitcnt lgkmcnt(0)
	buffer_load_dword v6, off, s[0:3], 0 offset:424
	buffer_load_dword v7, off, s[0:3], 0 offset:428
	;; [unrolled: 1-line block ×6, first 2 shown]
	ds_read_b128 v[2:5], v1 offset:880
	v_cmp_lt_u32_e32 vcc, 52, v0
	s_waitcnt vmcnt(2)
	v_mov_b32_e32 v12, v9
	s_waitcnt lgkmcnt(0)
	v_pk_mul_f32 v[12:13], v[2:3], v[12:13] op_sel_hi:[1,0]
	v_pk_fma_f32 v[14:15], v[2:3], v[8:9], v[12:13] op_sel:[0,0,1] op_sel_hi:[1,1,0] neg_lo:[0,0,1] neg_hi:[0,0,1]
	v_pk_fma_f32 v[2:3], v[2:3], v[8:9], v[12:13] op_sel:[0,0,1] op_sel_hi:[1,0,0]
	s_waitcnt vmcnt(0)
	v_mov_b32_e32 v8, v11
	v_pk_mul_f32 v[8:9], v[4:5], v[8:9] op_sel_hi:[1,0]
	v_mov_b32_e32 v15, v3
	v_pk_fma_f32 v[12:13], v[4:5], v[10:11], v[8:9] op_sel:[0,0,1] op_sel_hi:[1,1,0] neg_lo:[0,0,1] neg_hi:[0,0,1]
	v_pk_fma_f32 v[4:5], v[4:5], v[10:11], v[8:9] op_sel:[0,0,1] op_sel_hi:[1,0,0]
	v_pk_add_f32 v[2:3], v[14:15], 0 op_sel_hi:[1,0]
	v_mov_b32_e32 v13, v5
	v_pk_add_f32 v[2:3], v[2:3], v[12:13]
	v_pk_add_f32 v[2:3], v[6:7], v[2:3] neg_lo:[0,1] neg_hi:[0,1]
	buffer_store_dword v2, off, s[0:3], 0 offset:424
	buffer_store_dword v3, off, s[0:3], 0 offset:428
	s_and_saveexec_b64 s[4:5], vcc
	s_cbranch_execz .LBB55_245
; %bb.244:
	buffer_load_dword v2, off, s[0:3], 0 offset:416
	buffer_load_dword v3, off, s[0:3], 0 offset:420
	v_mov_b32_e32 v1, 0
	buffer_store_dword v1, off, s[0:3], 0 offset:416
	buffer_store_dword v1, off, s[0:3], 0 offset:420
	s_waitcnt vmcnt(2)
	ds_write_b64 v161, v[2:3]
.LBB55_245:
	s_or_b64 exec, exec, s[4:5]
	s_waitcnt lgkmcnt(0)
	; wave barrier
	s_waitcnt lgkmcnt(0)
	buffer_load_dword v7, off, s[0:3], 0 offset:428
	buffer_load_dword v9, off, s[0:3], 0 offset:436
	;; [unrolled: 1-line block ×8, first 2 shown]
	v_mov_b32_e32 v1, 0
	ds_read2_b64 v[2:5], v1 offset0:109 offset1:110
	ds_read_b64 v[14:15], v1 offset:888
	v_cmp_lt_u32_e32 vcc, 51, v0
	s_waitcnt vmcnt(7)
	v_mov_b32_e32 v16, v7
	s_waitcnt vmcnt(6)
	v_mov_b32_e32 v18, v9
	s_waitcnt lgkmcnt(1)
	v_pk_mul_f32 v[16:17], v[2:3], v[16:17] op_sel_hi:[1,0]
	s_waitcnt vmcnt(5)
	v_mov_b32_e32 v20, v11
	v_pk_mul_f32 v[18:19], v[4:5], v[18:19] op_sel_hi:[1,0]
	s_waitcnt vmcnt(4)
	v_pk_fma_f32 v[22:23], v[2:3], v[6:7], v[16:17] op_sel:[0,0,1] op_sel_hi:[1,1,0] neg_lo:[0,0,1] neg_hi:[0,0,1]
	v_pk_fma_f32 v[2:3], v[2:3], v[6:7], v[16:17] op_sel:[0,0,1] op_sel_hi:[1,0,0]
	s_waitcnt lgkmcnt(0)
	v_pk_mul_f32 v[20:21], v[14:15], v[20:21] op_sel_hi:[1,0]
	s_waitcnt vmcnt(3)
	v_pk_fma_f32 v[6:7], v[4:5], v[8:9], v[18:19] op_sel:[0,0,1] op_sel_hi:[1,1,0] neg_lo:[0,0,1] neg_hi:[0,0,1]
	v_pk_fma_f32 v[4:5], v[4:5], v[8:9], v[18:19] op_sel:[0,0,1] op_sel_hi:[1,0,0]
	v_mov_b32_e32 v23, v3
	s_waitcnt vmcnt(2)
	v_pk_fma_f32 v[8:9], v[14:15], v[10:11], v[20:21] op_sel:[0,0,1] op_sel_hi:[1,1,0] neg_lo:[0,0,1] neg_hi:[0,0,1]
	v_pk_fma_f32 v[10:11], v[14:15], v[10:11], v[20:21] op_sel:[0,0,1] op_sel_hi:[1,0,0]
	v_mov_b32_e32 v7, v5
	v_pk_add_f32 v[2:3], v[22:23], 0 op_sel_hi:[1,0]
	v_mov_b32_e32 v9, v11
	v_pk_add_f32 v[2:3], v[2:3], v[6:7]
	v_pk_add_f32 v[2:3], v[2:3], v[8:9]
	s_waitcnt vmcnt(0)
	v_pk_add_f32 v[2:3], v[12:13], v[2:3] neg_lo:[0,1] neg_hi:[0,1]
	buffer_store_dword v2, off, s[0:3], 0 offset:416
	buffer_store_dword v3, off, s[0:3], 0 offset:420
	s_and_saveexec_b64 s[4:5], vcc
	s_cbranch_execz .LBB55_247
; %bb.246:
	buffer_load_dword v2, off, s[0:3], 0 offset:408
	buffer_load_dword v3, off, s[0:3], 0 offset:412
	s_waitcnt vmcnt(0)
	ds_write_b64 v161, v[2:3]
	buffer_store_dword v1, off, s[0:3], 0 offset:408
	buffer_store_dword v1, off, s[0:3], 0 offset:412
.LBB55_247:
	s_or_b64 exec, exec, s[4:5]
	s_waitcnt lgkmcnt(0)
	; wave barrier
	s_waitcnt lgkmcnt(0)
	buffer_load_dword v11, off, s[0:3], 0 offset:420
	buffer_load_dword v13, off, s[0:3], 0 offset:428
	;; [unrolled: 1-line block ×10, first 2 shown]
	ds_read_b128 v[2:5], v1 offset:864
	ds_read_b128 v[6:9], v1 offset:880
	v_cmp_lt_u32_e32 vcc, 50, v0
	s_waitcnt vmcnt(9)
	v_mov_b32_e32 v20, v11
	s_waitcnt vmcnt(8)
	v_mov_b32_e32 v22, v13
	s_waitcnt lgkmcnt(1)
	v_pk_mul_f32 v[20:21], v[2:3], v[20:21] op_sel_hi:[1,0]
	s_waitcnt vmcnt(7)
	v_mov_b32_e32 v24, v15
	v_pk_mul_f32 v[22:23], v[4:5], v[22:23] op_sel_hi:[1,0]
	s_waitcnt vmcnt(5)
	v_pk_fma_f32 v[28:29], v[2:3], v[10:11], v[20:21] op_sel:[0,0,1] op_sel_hi:[1,1,0] neg_lo:[0,0,1] neg_hi:[0,0,1]
	v_pk_fma_f32 v[2:3], v[2:3], v[10:11], v[20:21] op_sel:[0,0,1] op_sel_hi:[1,0,0]
	v_mov_b32_e32 v26, v17
	s_waitcnt lgkmcnt(0)
	v_pk_mul_f32 v[24:25], v[6:7], v[24:25] op_sel_hi:[1,0]
	s_waitcnt vmcnt(4)
	v_pk_fma_f32 v[10:11], v[4:5], v[12:13], v[22:23] op_sel:[0,0,1] op_sel_hi:[1,1,0] neg_lo:[0,0,1] neg_hi:[0,0,1]
	v_pk_fma_f32 v[4:5], v[4:5], v[12:13], v[22:23] op_sel:[0,0,1] op_sel_hi:[1,0,0]
	v_mov_b32_e32 v29, v3
	v_pk_mul_f32 v[26:27], v[8:9], v[26:27] op_sel_hi:[1,0]
	s_waitcnt vmcnt(3)
	v_pk_fma_f32 v[12:13], v[6:7], v[14:15], v[24:25] op_sel:[0,0,1] op_sel_hi:[1,1,0] neg_lo:[0,0,1] neg_hi:[0,0,1]
	v_pk_fma_f32 v[6:7], v[6:7], v[14:15], v[24:25] op_sel:[0,0,1] op_sel_hi:[1,0,0]
	v_mov_b32_e32 v11, v5
	v_pk_add_f32 v[2:3], v[28:29], 0 op_sel_hi:[1,0]
	s_waitcnt vmcnt(2)
	v_pk_fma_f32 v[14:15], v[8:9], v[16:17], v[26:27] op_sel:[0,0,1] op_sel_hi:[1,1,0] neg_lo:[0,0,1] neg_hi:[0,0,1]
	v_pk_fma_f32 v[8:9], v[8:9], v[16:17], v[26:27] op_sel:[0,0,1] op_sel_hi:[1,0,0]
	v_mov_b32_e32 v13, v7
	v_pk_add_f32 v[2:3], v[2:3], v[10:11]
	v_mov_b32_e32 v15, v9
	v_pk_add_f32 v[2:3], v[2:3], v[12:13]
	v_pk_add_f32 v[2:3], v[2:3], v[14:15]
	s_waitcnt vmcnt(0)
	v_pk_add_f32 v[2:3], v[18:19], v[2:3] neg_lo:[0,1] neg_hi:[0,1]
	buffer_store_dword v2, off, s[0:3], 0 offset:408
	buffer_store_dword v3, off, s[0:3], 0 offset:412
	s_and_saveexec_b64 s[4:5], vcc
	s_cbranch_execz .LBB55_249
; %bb.248:
	buffer_load_dword v2, off, s[0:3], 0 offset:400
	buffer_load_dword v3, off, s[0:3], 0 offset:404
	v_mov_b32_e32 v1, 0
	buffer_store_dword v1, off, s[0:3], 0 offset:400
	buffer_store_dword v1, off, s[0:3], 0 offset:404
	s_waitcnt vmcnt(2)
	ds_write_b64 v161, v[2:3]
.LBB55_249:
	s_or_b64 exec, exec, s[4:5]
	s_waitcnt lgkmcnt(0)
	; wave barrier
	s_waitcnt lgkmcnt(0)
	buffer_load_dword v11, off, s[0:3], 0 offset:412
	buffer_load_dword v13, off, s[0:3], 0 offset:420
	;; [unrolled: 1-line block ×12, first 2 shown]
	v_mov_b32_e32 v1, 0
	ds_read2_b64 v[2:5], v1 offset0:107 offset1:108
	ds_read2_b64 v[6:9], v1 offset0:109 offset1:110
	ds_read_b64 v[22:23], v1 offset:888
	v_cmp_lt_u32_e32 vcc, 49, v0
	s_waitcnt vmcnt(11)
	v_mov_b32_e32 v24, v11
	s_waitcnt vmcnt(10)
	v_mov_b32_e32 v26, v13
	s_waitcnt lgkmcnt(2)
	v_pk_mul_f32 v[24:25], v[2:3], v[24:25] op_sel_hi:[1,0]
	s_waitcnt vmcnt(9)
	v_mov_b32_e32 v28, v15
	v_pk_mul_f32 v[26:27], v[4:5], v[26:27] op_sel_hi:[1,0]
	s_waitcnt vmcnt(6)
	v_pk_fma_f32 v[34:35], v[2:3], v[10:11], v[24:25] op_sel:[0,0,1] op_sel_hi:[1,1,0] neg_lo:[0,0,1] neg_hi:[0,0,1]
	v_pk_fma_f32 v[2:3], v[2:3], v[10:11], v[24:25] op_sel:[0,0,1] op_sel_hi:[1,0,0]
	v_mov_b32_e32 v30, v17
	s_waitcnt lgkmcnt(1)
	v_pk_mul_f32 v[28:29], v[6:7], v[28:29] op_sel_hi:[1,0]
	s_waitcnt vmcnt(5)
	v_pk_fma_f32 v[10:11], v[4:5], v[12:13], v[26:27] op_sel:[0,0,1] op_sel_hi:[1,1,0] neg_lo:[0,0,1] neg_hi:[0,0,1]
	v_pk_fma_f32 v[4:5], v[4:5], v[12:13], v[26:27] op_sel:[0,0,1] op_sel_hi:[1,0,0]
	v_mov_b32_e32 v35, v3
	v_mov_b32_e32 v32, v19
	v_pk_mul_f32 v[30:31], v[8:9], v[30:31] op_sel_hi:[1,0]
	s_waitcnt vmcnt(4)
	v_pk_fma_f32 v[12:13], v[6:7], v[14:15], v[28:29] op_sel:[0,0,1] op_sel_hi:[1,1,0] neg_lo:[0,0,1] neg_hi:[0,0,1]
	v_pk_fma_f32 v[6:7], v[6:7], v[14:15], v[28:29] op_sel:[0,0,1] op_sel_hi:[1,0,0]
	v_mov_b32_e32 v11, v5
	v_pk_add_f32 v[2:3], v[34:35], 0 op_sel_hi:[1,0]
	s_waitcnt lgkmcnt(0)
	v_pk_mul_f32 v[32:33], v[22:23], v[32:33] op_sel_hi:[1,0]
	s_waitcnt vmcnt(3)
	v_pk_fma_f32 v[14:15], v[8:9], v[16:17], v[30:31] op_sel:[0,0,1] op_sel_hi:[1,1,0] neg_lo:[0,0,1] neg_hi:[0,0,1]
	v_pk_fma_f32 v[8:9], v[8:9], v[16:17], v[30:31] op_sel:[0,0,1] op_sel_hi:[1,0,0]
	v_mov_b32_e32 v13, v7
	v_pk_add_f32 v[2:3], v[2:3], v[10:11]
	s_waitcnt vmcnt(2)
	v_pk_fma_f32 v[16:17], v[22:23], v[18:19], v[32:33] op_sel:[0,0,1] op_sel_hi:[1,1,0] neg_lo:[0,0,1] neg_hi:[0,0,1]
	v_pk_fma_f32 v[18:19], v[22:23], v[18:19], v[32:33] op_sel:[0,0,1] op_sel_hi:[1,0,0]
	v_mov_b32_e32 v15, v9
	v_pk_add_f32 v[2:3], v[2:3], v[12:13]
	v_mov_b32_e32 v17, v19
	v_pk_add_f32 v[2:3], v[2:3], v[14:15]
	v_pk_add_f32 v[2:3], v[2:3], v[16:17]
	s_waitcnt vmcnt(0)
	v_pk_add_f32 v[2:3], v[20:21], v[2:3] neg_lo:[0,1] neg_hi:[0,1]
	buffer_store_dword v2, off, s[0:3], 0 offset:400
	buffer_store_dword v3, off, s[0:3], 0 offset:404
	s_and_saveexec_b64 s[4:5], vcc
	s_cbranch_execz .LBB55_251
; %bb.250:
	buffer_load_dword v2, off, s[0:3], 0 offset:392
	buffer_load_dword v3, off, s[0:3], 0 offset:396
	s_waitcnt vmcnt(0)
	ds_write_b64 v161, v[2:3]
	buffer_store_dword v1, off, s[0:3], 0 offset:392
	buffer_store_dword v1, off, s[0:3], 0 offset:396
.LBB55_251:
	s_or_b64 exec, exec, s[4:5]
	s_waitcnt lgkmcnt(0)
	; wave barrier
	s_waitcnt lgkmcnt(0)
	buffer_load_dword v15, off, s[0:3], 0 offset:404
	buffer_load_dword v17, off, s[0:3], 0 offset:412
	;; [unrolled: 1-line block ×14, first 2 shown]
	ds_read_b128 v[2:5], v1 offset:848
	ds_read_b128 v[6:9], v1 offset:864
	;; [unrolled: 1-line block ×3, first 2 shown]
	v_cmp_lt_u32_e32 vcc, 48, v0
	s_waitcnt vmcnt(13)
	v_mov_b32_e32 v28, v15
	s_waitcnt vmcnt(12)
	v_mov_b32_e32 v30, v17
	s_waitcnt lgkmcnt(2)
	v_pk_mul_f32 v[28:29], v[2:3], v[28:29] op_sel_hi:[1,0]
	s_waitcnt vmcnt(11)
	v_mov_b32_e32 v32, v19
	v_pk_mul_f32 v[30:31], v[4:5], v[30:31] op_sel_hi:[1,0]
	s_waitcnt vmcnt(10)
	v_mov_b32_e32 v34, v21
	s_waitcnt vmcnt(7)
	v_pk_fma_f32 v[40:41], v[2:3], v[14:15], v[28:29] op_sel:[0,0,1] op_sel_hi:[1,1,0] neg_lo:[0,0,1] neg_hi:[0,0,1]
	v_pk_fma_f32 v[2:3], v[2:3], v[14:15], v[28:29] op_sel:[0,0,1] op_sel_hi:[1,0,0]
	s_waitcnt lgkmcnt(1)
	v_pk_mul_f32 v[32:33], v[6:7], v[32:33] op_sel_hi:[1,0]
	s_waitcnt vmcnt(6)
	v_pk_fma_f32 v[14:15], v[4:5], v[16:17], v[30:31] op_sel:[0,0,1] op_sel_hi:[1,1,0] neg_lo:[0,0,1] neg_hi:[0,0,1]
	v_pk_fma_f32 v[4:5], v[4:5], v[16:17], v[30:31] op_sel:[0,0,1] op_sel_hi:[1,0,0]
	v_mov_b32_e32 v41, v3
	v_mov_b32_e32 v36, v23
	v_pk_mul_f32 v[34:35], v[8:9], v[34:35] op_sel_hi:[1,0]
	s_waitcnt vmcnt(5)
	v_pk_fma_f32 v[16:17], v[6:7], v[18:19], v[32:33] op_sel:[0,0,1] op_sel_hi:[1,1,0] neg_lo:[0,0,1] neg_hi:[0,0,1]
	v_pk_fma_f32 v[6:7], v[6:7], v[18:19], v[32:33] op_sel:[0,0,1] op_sel_hi:[1,0,0]
	v_mov_b32_e32 v15, v5
	v_pk_add_f32 v[2:3], v[40:41], 0 op_sel_hi:[1,0]
	v_mov_b32_e32 v38, v25
	s_waitcnt lgkmcnt(0)
	v_pk_mul_f32 v[36:37], v[10:11], v[36:37] op_sel_hi:[1,0]
	s_waitcnt vmcnt(4)
	v_pk_fma_f32 v[18:19], v[8:9], v[20:21], v[34:35] op_sel:[0,0,1] op_sel_hi:[1,1,0] neg_lo:[0,0,1] neg_hi:[0,0,1]
	v_pk_fma_f32 v[8:9], v[8:9], v[20:21], v[34:35] op_sel:[0,0,1] op_sel_hi:[1,0,0]
	v_mov_b32_e32 v17, v7
	v_pk_add_f32 v[2:3], v[2:3], v[14:15]
	v_pk_mul_f32 v[38:39], v[12:13], v[38:39] op_sel_hi:[1,0]
	s_waitcnt vmcnt(3)
	v_pk_fma_f32 v[20:21], v[10:11], v[22:23], v[36:37] op_sel:[0,0,1] op_sel_hi:[1,1,0] neg_lo:[0,0,1] neg_hi:[0,0,1]
	v_pk_fma_f32 v[10:11], v[10:11], v[22:23], v[36:37] op_sel:[0,0,1] op_sel_hi:[1,0,0]
	v_mov_b32_e32 v19, v9
	v_pk_add_f32 v[2:3], v[2:3], v[16:17]
	s_waitcnt vmcnt(2)
	v_pk_fma_f32 v[22:23], v[12:13], v[24:25], v[38:39] op_sel:[0,0,1] op_sel_hi:[1,1,0] neg_lo:[0,0,1] neg_hi:[0,0,1]
	v_pk_fma_f32 v[12:13], v[12:13], v[24:25], v[38:39] op_sel:[0,0,1] op_sel_hi:[1,0,0]
	v_mov_b32_e32 v21, v11
	v_pk_add_f32 v[2:3], v[2:3], v[18:19]
	v_mov_b32_e32 v23, v13
	v_pk_add_f32 v[2:3], v[2:3], v[20:21]
	v_pk_add_f32 v[2:3], v[2:3], v[22:23]
	s_waitcnt vmcnt(0)
	v_pk_add_f32 v[2:3], v[26:27], v[2:3] neg_lo:[0,1] neg_hi:[0,1]
	buffer_store_dword v2, off, s[0:3], 0 offset:392
	buffer_store_dword v3, off, s[0:3], 0 offset:396
	s_and_saveexec_b64 s[4:5], vcc
	s_cbranch_execz .LBB55_253
; %bb.252:
	buffer_load_dword v2, off, s[0:3], 0 offset:384
	buffer_load_dword v3, off, s[0:3], 0 offset:388
	v_mov_b32_e32 v1, 0
	buffer_store_dword v1, off, s[0:3], 0 offset:384
	buffer_store_dword v1, off, s[0:3], 0 offset:388
	s_waitcnt vmcnt(2)
	ds_write_b64 v161, v[2:3]
.LBB55_253:
	s_or_b64 exec, exec, s[4:5]
	s_waitcnt lgkmcnt(0)
	; wave barrier
	s_waitcnt lgkmcnt(0)
	buffer_load_dword v15, off, s[0:3], 0 offset:396
	buffer_load_dword v17, off, s[0:3], 0 offset:404
	buffer_load_dword v19, off, s[0:3], 0 offset:412
	buffer_load_dword v21, off, s[0:3], 0 offset:420
	buffer_load_dword v23, off, s[0:3], 0 offset:428
	buffer_load_dword v25, off, s[0:3], 0 offset:436
	buffer_load_dword v27, off, s[0:3], 0 offset:444
	buffer_load_dword v14, off, s[0:3], 0 offset:392
	buffer_load_dword v16, off, s[0:3], 0 offset:400
	buffer_load_dword v18, off, s[0:3], 0 offset:408
	buffer_load_dword v20, off, s[0:3], 0 offset:416
	buffer_load_dword v22, off, s[0:3], 0 offset:424
	buffer_load_dword v24, off, s[0:3], 0 offset:432
	buffer_load_dword v26, off, s[0:3], 0 offset:440
	buffer_load_dword v28, off, s[0:3], 0 offset:384
	buffer_load_dword v29, off, s[0:3], 0 offset:388
	v_mov_b32_e32 v1, 0
	ds_read2_b64 v[2:5], v1 offset0:105 offset1:106
	ds_read2_b64 v[6:9], v1 offset0:107 offset1:108
	;; [unrolled: 1-line block ×3, first 2 shown]
	ds_read_b64 v[30:31], v1 offset:888
	v_cmp_lt_u32_e32 vcc, 47, v0
	s_waitcnt vmcnt(15)
	v_mov_b32_e32 v32, v15
	s_waitcnt vmcnt(14)
	v_mov_b32_e32 v34, v17
	s_waitcnt lgkmcnt(3)
	v_pk_mul_f32 v[32:33], v[2:3], v[32:33] op_sel_hi:[1,0]
	s_waitcnt vmcnt(13)
	v_mov_b32_e32 v36, v19
	v_pk_mul_f32 v[34:35], v[4:5], v[34:35] op_sel_hi:[1,0]
	s_waitcnt vmcnt(12)
	v_mov_b32_e32 v38, v21
	s_waitcnt lgkmcnt(2)
	v_pk_mul_f32 v[36:37], v[6:7], v[36:37] op_sel_hi:[1,0]
	s_waitcnt vmcnt(8)
	v_pk_fma_f32 v[46:47], v[2:3], v[14:15], v[32:33] op_sel:[0,0,1] op_sel_hi:[1,1,0] neg_lo:[0,0,1] neg_hi:[0,0,1]
	v_pk_fma_f32 v[2:3], v[2:3], v[14:15], v[32:33] op_sel:[0,0,1] op_sel_hi:[1,0,0]
	s_waitcnt vmcnt(7)
	v_pk_fma_f32 v[14:15], v[4:5], v[16:17], v[34:35] op_sel:[0,0,1] op_sel_hi:[1,1,0] neg_lo:[0,0,1] neg_hi:[0,0,1]
	v_pk_fma_f32 v[4:5], v[4:5], v[16:17], v[34:35] op_sel:[0,0,1] op_sel_hi:[1,0,0]
	v_mov_b32_e32 v47, v3
	v_mov_b32_e32 v40, v23
	v_pk_mul_f32 v[38:39], v[8:9], v[38:39] op_sel_hi:[1,0]
	s_waitcnt vmcnt(6)
	v_pk_fma_f32 v[16:17], v[6:7], v[18:19], v[36:37] op_sel:[0,0,1] op_sel_hi:[1,1,0] neg_lo:[0,0,1] neg_hi:[0,0,1]
	v_pk_fma_f32 v[6:7], v[6:7], v[18:19], v[36:37] op_sel:[0,0,1] op_sel_hi:[1,0,0]
	v_mov_b32_e32 v15, v5
	v_pk_add_f32 v[2:3], v[46:47], 0 op_sel_hi:[1,0]
	v_mov_b32_e32 v42, v25
	s_waitcnt lgkmcnt(1)
	v_pk_mul_f32 v[40:41], v[10:11], v[40:41] op_sel_hi:[1,0]
	s_waitcnt vmcnt(5)
	v_pk_fma_f32 v[18:19], v[8:9], v[20:21], v[38:39] op_sel:[0,0,1] op_sel_hi:[1,1,0] neg_lo:[0,0,1] neg_hi:[0,0,1]
	v_pk_fma_f32 v[8:9], v[8:9], v[20:21], v[38:39] op_sel:[0,0,1] op_sel_hi:[1,0,0]
	v_mov_b32_e32 v17, v7
	v_pk_add_f32 v[2:3], v[2:3], v[14:15]
	v_mov_b32_e32 v44, v27
	v_pk_mul_f32 v[42:43], v[12:13], v[42:43] op_sel_hi:[1,0]
	s_waitcnt vmcnt(4)
	v_pk_fma_f32 v[20:21], v[10:11], v[22:23], v[40:41] op_sel:[0,0,1] op_sel_hi:[1,1,0] neg_lo:[0,0,1] neg_hi:[0,0,1]
	v_pk_fma_f32 v[10:11], v[10:11], v[22:23], v[40:41] op_sel:[0,0,1] op_sel_hi:[1,0,0]
	v_mov_b32_e32 v19, v9
	v_pk_add_f32 v[2:3], v[2:3], v[16:17]
	s_waitcnt lgkmcnt(0)
	v_pk_mul_f32 v[44:45], v[30:31], v[44:45] op_sel_hi:[1,0]
	s_waitcnt vmcnt(3)
	v_pk_fma_f32 v[22:23], v[12:13], v[24:25], v[42:43] op_sel:[0,0,1] op_sel_hi:[1,1,0] neg_lo:[0,0,1] neg_hi:[0,0,1]
	v_pk_fma_f32 v[12:13], v[12:13], v[24:25], v[42:43] op_sel:[0,0,1] op_sel_hi:[1,0,0]
	v_mov_b32_e32 v21, v11
	v_pk_add_f32 v[2:3], v[2:3], v[18:19]
	s_waitcnt vmcnt(2)
	v_pk_fma_f32 v[24:25], v[30:31], v[26:27], v[44:45] op_sel:[0,0,1] op_sel_hi:[1,1,0] neg_lo:[0,0,1] neg_hi:[0,0,1]
	v_pk_fma_f32 v[26:27], v[30:31], v[26:27], v[44:45] op_sel:[0,0,1] op_sel_hi:[1,0,0]
	v_mov_b32_e32 v23, v13
	v_pk_add_f32 v[2:3], v[2:3], v[20:21]
	v_mov_b32_e32 v25, v27
	v_pk_add_f32 v[2:3], v[2:3], v[22:23]
	v_pk_add_f32 v[2:3], v[2:3], v[24:25]
	s_waitcnt vmcnt(0)
	v_pk_add_f32 v[2:3], v[28:29], v[2:3] neg_lo:[0,1] neg_hi:[0,1]
	buffer_store_dword v2, off, s[0:3], 0 offset:384
	buffer_store_dword v3, off, s[0:3], 0 offset:388
	s_and_saveexec_b64 s[4:5], vcc
	s_cbranch_execz .LBB55_255
; %bb.254:
	buffer_load_dword v2, off, s[0:3], 0 offset:376
	buffer_load_dword v3, off, s[0:3], 0 offset:380
	s_waitcnt vmcnt(0)
	ds_write_b64 v161, v[2:3]
	buffer_store_dword v1, off, s[0:3], 0 offset:376
	buffer_store_dword v1, off, s[0:3], 0 offset:380
.LBB55_255:
	s_or_b64 exec, exec, s[4:5]
	s_waitcnt lgkmcnt(0)
	; wave barrier
	s_waitcnt lgkmcnt(0)
	buffer_load_dword v19, off, s[0:3], 0 offset:388
	buffer_load_dword v21, off, s[0:3], 0 offset:396
	;; [unrolled: 1-line block ×18, first 2 shown]
	ds_read_b128 v[2:5], v1 offset:832
	ds_read_b128 v[6:9], v1 offset:848
	;; [unrolled: 1-line block ×4, first 2 shown]
	v_cmp_lt_u32_e32 vcc, 46, v0
	s_waitcnt vmcnt(17)
	v_mov_b32_e32 v36, v19
	s_waitcnt vmcnt(16)
	v_mov_b32_e32 v38, v21
	s_waitcnt lgkmcnt(3)
	v_pk_mul_f32 v[36:37], v[2:3], v[36:37] op_sel_hi:[1,0]
	s_waitcnt vmcnt(15)
	v_mov_b32_e32 v40, v23
	v_pk_mul_f32 v[38:39], v[4:5], v[38:39] op_sel_hi:[1,0]
	s_waitcnt vmcnt(14)
	v_mov_b32_e32 v42, v25
	s_waitcnt lgkmcnt(2)
	v_pk_mul_f32 v[40:41], v[6:7], v[40:41] op_sel_hi:[1,0]
	s_waitcnt vmcnt(13)
	v_mov_b32_e32 v44, v27
	s_waitcnt vmcnt(9)
	v_pk_fma_f32 v[52:53], v[2:3], v[18:19], v[36:37] op_sel:[0,0,1] op_sel_hi:[1,1,0] neg_lo:[0,0,1] neg_hi:[0,0,1]
	v_pk_fma_f32 v[2:3], v[2:3], v[18:19], v[36:37] op_sel:[0,0,1] op_sel_hi:[1,0,0]
	s_waitcnt vmcnt(8)
	v_pk_fma_f32 v[18:19], v[4:5], v[20:21], v[38:39] op_sel:[0,0,1] op_sel_hi:[1,1,0] neg_lo:[0,0,1] neg_hi:[0,0,1]
	v_pk_fma_f32 v[4:5], v[4:5], v[20:21], v[38:39] op_sel:[0,0,1] op_sel_hi:[1,0,0]
	v_mov_b32_e32 v53, v3
	v_pk_mul_f32 v[42:43], v[8:9], v[42:43] op_sel_hi:[1,0]
	s_waitcnt vmcnt(7)
	v_pk_fma_f32 v[20:21], v[6:7], v[22:23], v[40:41] op_sel:[0,0,1] op_sel_hi:[1,1,0] neg_lo:[0,0,1] neg_hi:[0,0,1]
	v_pk_fma_f32 v[6:7], v[6:7], v[22:23], v[40:41] op_sel:[0,0,1] op_sel_hi:[1,0,0]
	v_mov_b32_e32 v19, v5
	v_pk_add_f32 v[2:3], v[52:53], 0 op_sel_hi:[1,0]
	v_mov_b32_e32 v46, v29
	s_waitcnt lgkmcnt(1)
	v_pk_mul_f32 v[44:45], v[10:11], v[44:45] op_sel_hi:[1,0]
	s_waitcnt vmcnt(6)
	v_pk_fma_f32 v[22:23], v[8:9], v[24:25], v[42:43] op_sel:[0,0,1] op_sel_hi:[1,1,0] neg_lo:[0,0,1] neg_hi:[0,0,1]
	v_pk_fma_f32 v[8:9], v[8:9], v[24:25], v[42:43] op_sel:[0,0,1] op_sel_hi:[1,0,0]
	v_mov_b32_e32 v21, v7
	v_pk_add_f32 v[2:3], v[2:3], v[18:19]
	v_mov_b32_e32 v48, v31
	v_pk_mul_f32 v[46:47], v[12:13], v[46:47] op_sel_hi:[1,0]
	s_waitcnt vmcnt(5)
	v_pk_fma_f32 v[24:25], v[10:11], v[26:27], v[44:45] op_sel:[0,0,1] op_sel_hi:[1,1,0] neg_lo:[0,0,1] neg_hi:[0,0,1]
	v_pk_fma_f32 v[10:11], v[10:11], v[26:27], v[44:45] op_sel:[0,0,1] op_sel_hi:[1,0,0]
	v_mov_b32_e32 v23, v9
	v_pk_add_f32 v[2:3], v[2:3], v[20:21]
	v_mov_b32_e32 v50, v33
	s_waitcnt lgkmcnt(0)
	v_pk_mul_f32 v[48:49], v[14:15], v[48:49] op_sel_hi:[1,0]
	s_waitcnt vmcnt(4)
	v_pk_fma_f32 v[26:27], v[12:13], v[28:29], v[46:47] op_sel:[0,0,1] op_sel_hi:[1,1,0] neg_lo:[0,0,1] neg_hi:[0,0,1]
	v_pk_fma_f32 v[12:13], v[12:13], v[28:29], v[46:47] op_sel:[0,0,1] op_sel_hi:[1,0,0]
	v_mov_b32_e32 v25, v11
	v_pk_add_f32 v[2:3], v[2:3], v[22:23]
	v_pk_mul_f32 v[50:51], v[16:17], v[50:51] op_sel_hi:[1,0]
	s_waitcnt vmcnt(3)
	v_pk_fma_f32 v[28:29], v[14:15], v[30:31], v[48:49] op_sel:[0,0,1] op_sel_hi:[1,1,0] neg_lo:[0,0,1] neg_hi:[0,0,1]
	v_pk_fma_f32 v[14:15], v[14:15], v[30:31], v[48:49] op_sel:[0,0,1] op_sel_hi:[1,0,0]
	v_mov_b32_e32 v27, v13
	v_pk_add_f32 v[2:3], v[2:3], v[24:25]
	s_waitcnt vmcnt(2)
	v_pk_fma_f32 v[30:31], v[16:17], v[32:33], v[50:51] op_sel:[0,0,1] op_sel_hi:[1,1,0] neg_lo:[0,0,1] neg_hi:[0,0,1]
	v_pk_fma_f32 v[16:17], v[16:17], v[32:33], v[50:51] op_sel:[0,0,1] op_sel_hi:[1,0,0]
	v_mov_b32_e32 v29, v15
	v_pk_add_f32 v[2:3], v[2:3], v[26:27]
	v_mov_b32_e32 v31, v17
	v_pk_add_f32 v[2:3], v[2:3], v[28:29]
	v_pk_add_f32 v[2:3], v[2:3], v[30:31]
	s_waitcnt vmcnt(0)
	v_pk_add_f32 v[2:3], v[34:35], v[2:3] neg_lo:[0,1] neg_hi:[0,1]
	buffer_store_dword v2, off, s[0:3], 0 offset:376
	buffer_store_dword v3, off, s[0:3], 0 offset:380
	s_and_saveexec_b64 s[4:5], vcc
	s_cbranch_execz .LBB55_257
; %bb.256:
	buffer_load_dword v2, off, s[0:3], 0 offset:368
	buffer_load_dword v3, off, s[0:3], 0 offset:372
	v_mov_b32_e32 v1, 0
	buffer_store_dword v1, off, s[0:3], 0 offset:368
	buffer_store_dword v1, off, s[0:3], 0 offset:372
	s_waitcnt vmcnt(2)
	ds_write_b64 v161, v[2:3]
.LBB55_257:
	s_or_b64 exec, exec, s[4:5]
	v_mov_b32_e32 v1, 0
	s_waitcnt lgkmcnt(0)
	; wave barrier
	s_waitcnt lgkmcnt(0)
	ds_read2_b64 v[2:5], v1 offset0:103 offset1:104
	buffer_load_dword v18, off, s[0:3], 0 offset:368
	buffer_load_dword v19, off, s[0:3], 0 offset:372
	;; [unrolled: 1-line block ×20, first 2 shown]
	v_cmp_lt_u32_e32 vcc, 45, v0
	s_waitcnt vmcnt(16) lgkmcnt(0)
	v_mul_f32_e32 v33, v2, v7
	v_fmac_f32_e32 v33, v3, v6
	v_mul_f32_e32 v3, v3, v7
	s_waitcnt vmcnt(14)
	v_mov_b32_e32 v38, v21
	v_fma_f32 v32, v2, v6, -v3
	ds_read2_b64 v[6:9], v1 offset0:105 offset1:106
	ds_read2_b64 v[10:13], v1 offset0:107 offset1:108
	;; [unrolled: 1-line block ×3, first 2 shown]
	ds_read_b64 v[2:3], v1 offset:888
	v_pk_mul_f32 v[38:39], v[4:5], v[38:39] op_sel_hi:[1,0]
	v_pk_fma_f32 v[40:41], v[4:5], v[20:21], v[38:39] op_sel:[0,0,1] op_sel_hi:[1,1,0] neg_lo:[0,0,1] neg_hi:[0,0,1]
	v_pk_fma_f32 v[4:5], v[4:5], v[20:21], v[38:39] op_sel:[0,0,1] op_sel_hi:[1,0,0]
	s_waitcnt vmcnt(12)
	v_mov_b32_e32 v20, v23
	v_pk_add_f32 v[32:33], v[32:33], 0 op_sel_hi:[1,0]
	v_mov_b32_e32 v41, v5
	s_waitcnt lgkmcnt(3)
	v_pk_mul_f32 v[20:21], v[6:7], v[20:21] op_sel_hi:[1,0]
	v_pk_add_f32 v[4:5], v[32:33], v[40:41]
	v_pk_fma_f32 v[32:33], v[6:7], v[22:23], v[20:21] op_sel:[0,0,1] op_sel_hi:[1,1,0] neg_lo:[0,0,1] neg_hi:[0,0,1]
	v_pk_fma_f32 v[6:7], v[6:7], v[22:23], v[20:21] op_sel:[0,0,1] op_sel_hi:[1,0,0]
	s_waitcnt vmcnt(10)
	v_mov_b32_e32 v6, v25
	v_mov_b32_e32 v33, v7
	v_pk_mul_f32 v[6:7], v[8:9], v[6:7] op_sel_hi:[1,0]
	v_pk_fma_f32 v[20:21], v[8:9], v[24:25], v[6:7] op_sel:[0,0,1] op_sel_hi:[1,1,0] neg_lo:[0,0,1] neg_hi:[0,0,1]
	v_pk_fma_f32 v[6:7], v[8:9], v[24:25], v[6:7] op_sel:[0,0,1] op_sel_hi:[1,0,0]
	s_waitcnt vmcnt(8)
	v_mov_b32_e32 v6, v27
	v_mov_b32_e32 v21, v7
	s_waitcnt lgkmcnt(2)
	v_pk_mul_f32 v[6:7], v[10:11], v[6:7] op_sel_hi:[1,0]
	v_pk_fma_f32 v[8:9], v[10:11], v[26:27], v[6:7] op_sel:[0,0,1] op_sel_hi:[1,1,0] neg_lo:[0,0,1] neg_hi:[0,0,1]
	v_pk_fma_f32 v[6:7], v[10:11], v[26:27], v[6:7] op_sel:[0,0,1] op_sel_hi:[1,0,0]
	v_pk_add_f32 v[4:5], v[4:5], v[32:33]
	s_waitcnt vmcnt(6)
	v_mov_b32_e32 v6, v29
	v_pk_add_f32 v[4:5], v[4:5], v[20:21]
	v_mov_b32_e32 v9, v7
	v_pk_mul_f32 v[6:7], v[12:13], v[6:7] op_sel_hi:[1,0]
	v_pk_add_f32 v[4:5], v[4:5], v[8:9]
	v_pk_fma_f32 v[8:9], v[12:13], v[28:29], v[6:7] op_sel:[0,0,1] op_sel_hi:[1,1,0] neg_lo:[0,0,1] neg_hi:[0,0,1]
	v_pk_fma_f32 v[6:7], v[12:13], v[28:29], v[6:7] op_sel:[0,0,1] op_sel_hi:[1,0,0]
	s_waitcnt vmcnt(4)
	v_mov_b32_e32 v6, v31
	v_mov_b32_e32 v9, v7
	s_waitcnt lgkmcnt(1)
	v_pk_mul_f32 v[6:7], v[14:15], v[6:7] op_sel_hi:[1,0]
	v_pk_add_f32 v[4:5], v[4:5], v[8:9]
	v_pk_fma_f32 v[8:9], v[14:15], v[30:31], v[6:7] op_sel:[0,0,1] op_sel_hi:[1,1,0] neg_lo:[0,0,1] neg_hi:[0,0,1]
	v_pk_fma_f32 v[6:7], v[14:15], v[30:31], v[6:7] op_sel:[0,0,1] op_sel_hi:[1,0,0]
	s_waitcnt vmcnt(3)
	v_mov_b32_e32 v6, v35
	v_mov_b32_e32 v9, v7
	v_pk_mul_f32 v[6:7], v[16:17], v[6:7] op_sel_hi:[1,0]
	v_pk_add_f32 v[4:5], v[4:5], v[8:9]
	s_waitcnt vmcnt(2)
	v_pk_fma_f32 v[8:9], v[16:17], v[34:35], v[6:7] op_sel:[0,0,1] op_sel_hi:[1,1,0] neg_lo:[0,0,1] neg_hi:[0,0,1]
	v_pk_fma_f32 v[6:7], v[16:17], v[34:35], v[6:7] op_sel:[0,0,1] op_sel_hi:[1,0,0]
	s_waitcnt vmcnt(1)
	v_mov_b32_e32 v6, v37
	v_mov_b32_e32 v9, v7
	s_waitcnt lgkmcnt(0)
	v_pk_mul_f32 v[6:7], v[2:3], v[6:7] op_sel_hi:[1,0]
	v_pk_add_f32 v[4:5], v[4:5], v[8:9]
	s_waitcnt vmcnt(0)
	v_pk_fma_f32 v[8:9], v[2:3], v[36:37], v[6:7] op_sel:[0,0,1] op_sel_hi:[1,1,0] neg_lo:[0,0,1] neg_hi:[0,0,1]
	v_pk_fma_f32 v[2:3], v[2:3], v[36:37], v[6:7] op_sel:[0,0,1] op_sel_hi:[1,0,0]
	v_mov_b32_e32 v9, v3
	v_pk_add_f32 v[2:3], v[4:5], v[8:9]
	v_pk_add_f32 v[2:3], v[18:19], v[2:3] neg_lo:[0,1] neg_hi:[0,1]
	buffer_store_dword v2, off, s[0:3], 0 offset:368
	buffer_store_dword v3, off, s[0:3], 0 offset:372
	s_and_saveexec_b64 s[4:5], vcc
	s_cbranch_execz .LBB55_259
; %bb.258:
	buffer_load_dword v2, off, s[0:3], 0 offset:360
	buffer_load_dword v3, off, s[0:3], 0 offset:364
	s_waitcnt vmcnt(0)
	ds_write_b64 v161, v[2:3]
	buffer_store_dword v1, off, s[0:3], 0 offset:360
	buffer_store_dword v1, off, s[0:3], 0 offset:364
.LBB55_259:
	s_or_b64 exec, exec, s[4:5]
	s_waitcnt lgkmcnt(0)
	; wave barrier
	s_waitcnt lgkmcnt(0)
	ds_read_b128 v[4:7], v1 offset:816
	ds_read_b128 v[8:11], v1 offset:832
	;; [unrolled: 1-line block ×4, first 2 shown]
	buffer_load_dword v2, off, s[0:3], 0 offset:360
	buffer_load_dword v3, off, s[0:3], 0 offset:364
	;; [unrolled: 1-line block ×22, first 2 shown]
	v_cmp_lt_u32_e32 vcc, 44, v0
	s_waitcnt vmcnt(18) lgkmcnt(3)
	v_mul_f32_e32 v31, v4, v32
	v_fmac_f32_e32 v31, v5, v30
	v_mul_f32_e32 v5, v5, v32
	s_waitcnt vmcnt(16)
	v_mul_f32_e32 v33, v6, v41
	v_fma_f32 v30, v4, v30, -v5
	v_mul_f32_e32 v4, v7, v41
	v_fmac_f32_e32 v33, v7, v40
	v_fma_f32 v32, v6, v40, -v4
	v_pk_add_f32 v[30:31], v[30:31], 0 op_sel_hi:[1,0]
	v_pk_add_f32 v[30:31], v[30:31], v[32:33]
	s_waitcnt vmcnt(14)
	v_mov_b32_e32 v32, v21
	s_waitcnt lgkmcnt(2)
	v_pk_mul_f32 v[32:33], v[8:9], v[32:33] op_sel_hi:[1,0]
	v_pk_fma_f32 v[40:41], v[8:9], v[20:21], v[32:33] op_sel:[0,0,1] op_sel_hi:[1,1,0] neg_lo:[0,0,1] neg_hi:[0,0,1]
	v_pk_fma_f32 v[8:9], v[8:9], v[20:21], v[32:33] op_sel:[0,0,1] op_sel_hi:[1,0,0]
	s_waitcnt vmcnt(12)
	v_mov_b32_e32 v20, v23
	v_mov_b32_e32 v41, v9
	v_pk_mul_f32 v[20:21], v[10:11], v[20:21] op_sel_hi:[1,0]
	v_pk_add_f32 v[8:9], v[30:31], v[40:41]
	v_pk_fma_f32 v[30:31], v[10:11], v[22:23], v[20:21] op_sel:[0,0,1] op_sel_hi:[1,1,0] neg_lo:[0,0,1] neg_hi:[0,0,1]
	v_pk_fma_f32 v[10:11], v[10:11], v[22:23], v[20:21] op_sel:[0,0,1] op_sel_hi:[1,0,0]
	s_waitcnt vmcnt(10)
	v_mov_b32_e32 v10, v25
	v_mov_b32_e32 v31, v11
	s_waitcnt lgkmcnt(1)
	v_pk_mul_f32 v[10:11], v[12:13], v[10:11] op_sel_hi:[1,0]
	v_pk_fma_f32 v[20:21], v[12:13], v[24:25], v[10:11] op_sel:[0,0,1] op_sel_hi:[1,1,0] neg_lo:[0,0,1] neg_hi:[0,0,1]
	v_pk_fma_f32 v[10:11], v[12:13], v[24:25], v[10:11] op_sel:[0,0,1] op_sel_hi:[1,0,0]
	s_waitcnt vmcnt(8)
	v_mov_b32_e32 v10, v27
	v_mov_b32_e32 v21, v11
	v_pk_mul_f32 v[10:11], v[14:15], v[10:11] op_sel_hi:[1,0]
	v_pk_fma_f32 v[12:13], v[14:15], v[26:27], v[10:11] op_sel:[0,0,1] op_sel_hi:[1,1,0] neg_lo:[0,0,1] neg_hi:[0,0,1]
	v_pk_fma_f32 v[10:11], v[14:15], v[26:27], v[10:11] op_sel:[0,0,1] op_sel_hi:[1,0,0]
	v_pk_add_f32 v[8:9], v[8:9], v[30:31]
	s_waitcnt vmcnt(6)
	v_mov_b32_e32 v10, v29
	v_pk_add_f32 v[8:9], v[8:9], v[20:21]
	v_mov_b32_e32 v13, v11
	s_waitcnt lgkmcnt(0)
	v_pk_mul_f32 v[10:11], v[16:17], v[10:11] op_sel_hi:[1,0]
	ds_read_b128 v[4:7], v1 offset:880
	v_pk_add_f32 v[8:9], v[8:9], v[12:13]
	v_pk_fma_f32 v[12:13], v[16:17], v[28:29], v[10:11] op_sel:[0,0,1] op_sel_hi:[1,1,0] neg_lo:[0,0,1] neg_hi:[0,0,1]
	v_pk_fma_f32 v[10:11], v[16:17], v[28:29], v[10:11] op_sel:[0,0,1] op_sel_hi:[1,0,0]
	s_waitcnt vmcnt(5)
	v_mov_b32_e32 v10, v35
	v_mov_b32_e32 v13, v11
	v_pk_mul_f32 v[10:11], v[18:19], v[10:11] op_sel_hi:[1,0]
	v_pk_add_f32 v[8:9], v[8:9], v[12:13]
	s_waitcnt vmcnt(4)
	v_pk_fma_f32 v[12:13], v[18:19], v[34:35], v[10:11] op_sel:[0,0,1] op_sel_hi:[1,1,0] neg_lo:[0,0,1] neg_hi:[0,0,1]
	v_pk_fma_f32 v[10:11], v[18:19], v[34:35], v[10:11] op_sel:[0,0,1] op_sel_hi:[1,0,0]
	s_waitcnt vmcnt(3)
	v_mov_b32_e32 v10, v37
	v_mov_b32_e32 v13, v11
	s_waitcnt lgkmcnt(0)
	v_pk_mul_f32 v[10:11], v[4:5], v[10:11] op_sel_hi:[1,0]
	v_pk_add_f32 v[8:9], v[8:9], v[12:13]
	s_waitcnt vmcnt(2)
	v_pk_fma_f32 v[12:13], v[4:5], v[36:37], v[10:11] op_sel:[0,0,1] op_sel_hi:[1,1,0] neg_lo:[0,0,1] neg_hi:[0,0,1]
	v_pk_fma_f32 v[4:5], v[4:5], v[36:37], v[10:11] op_sel:[0,0,1] op_sel_hi:[1,0,0]
	v_mov_b32_e32 v13, v5
	v_pk_add_f32 v[4:5], v[8:9], v[12:13]
	s_waitcnt vmcnt(1)
	v_mov_b32_e32 v8, v39
	v_pk_mul_f32 v[8:9], v[6:7], v[8:9] op_sel_hi:[1,0]
	s_waitcnt vmcnt(0)
	v_pk_fma_f32 v[10:11], v[6:7], v[38:39], v[8:9] op_sel:[0,0,1] op_sel_hi:[1,1,0] neg_lo:[0,0,1] neg_hi:[0,0,1]
	v_pk_fma_f32 v[6:7], v[6:7], v[38:39], v[8:9] op_sel:[0,0,1] op_sel_hi:[1,0,0]
	v_mov_b32_e32 v11, v7
	v_pk_add_f32 v[4:5], v[4:5], v[10:11]
	v_pk_add_f32 v[2:3], v[2:3], v[4:5] neg_lo:[0,1] neg_hi:[0,1]
	buffer_store_dword v2, off, s[0:3], 0 offset:360
	buffer_store_dword v3, off, s[0:3], 0 offset:364
	s_and_saveexec_b64 s[4:5], vcc
	s_cbranch_execz .LBB55_261
; %bb.260:
	buffer_load_dword v2, off, s[0:3], 0 offset:352
	buffer_load_dword v3, off, s[0:3], 0 offset:356
	v_mov_b32_e32 v1, 0
	buffer_store_dword v1, off, s[0:3], 0 offset:352
	buffer_store_dword v1, off, s[0:3], 0 offset:356
	s_waitcnt vmcnt(2)
	ds_write_b64 v161, v[2:3]
.LBB55_261:
	s_or_b64 exec, exec, s[4:5]
	v_mov_b32_e32 v1, 0
	s_waitcnt lgkmcnt(0)
	; wave barrier
	s_waitcnt lgkmcnt(0)
	ds_read2_b64 v[4:7], v1 offset0:101 offset1:102
	buffer_load_dword v2, off, s[0:3], 0 offset:352
	buffer_load_dword v3, off, s[0:3], 0 offset:356
	;; [unrolled: 1-line block ×16, first 2 shown]
	v_cmp_lt_u32_e32 vcc, 43, v0
	s_waitcnt vmcnt(12) lgkmcnt(0)
	v_mul_f32_e32 v8, v4, v13
	v_fmac_f32_e32 v8, v5, v12
	v_add_f32_e32 v29, 0, v8
	ds_read2_b64 v[8:11], v1 offset0:103 offset1:104
	buffer_load_dword v35, off, s[0:3], 0 offset:420
	buffer_load_dword v34, off, s[0:3], 0 offset:416
	;; [unrolled: 1-line block ×8, first 2 shown]
	v_mul_f32_e32 v5, v5, v13
	v_fma_f32 v4, v4, v12, -v5
	s_waitcnt vmcnt(18)
	v_mul_f32_e32 v31, v6, v15
	v_add_f32_e32 v28, 0, v4
	v_mul_f32_e32 v4, v7, v15
	v_fmac_f32_e32 v31, v7, v14
	v_fma_f32 v30, v6, v14, -v4
	s_waitcnt vmcnt(16) lgkmcnt(0)
	v_mul_f32_e32 v33, v8, v17
	v_mul_f32_e32 v4, v9, v17
	v_pk_add_f32 v[28:29], v[28:29], v[30:31]
	s_waitcnt vmcnt(14)
	v_mov_b32_e32 v30, v21
	v_fmac_f32_e32 v33, v9, v16
	v_fma_f32 v32, v8, v16, -v4
	ds_read2_b64 v[4:7], v1 offset0:105 offset1:106
	ds_read2_b64 v[12:15], v1 offset0:107 offset1:108
	;; [unrolled: 1-line block ×3, first 2 shown]
	ds_read_b64 v[8:9], v1 offset:888
	v_pk_mul_f32 v[30:31], v[10:11], v[30:31] op_sel_hi:[1,0]
	v_pk_add_f32 v[28:29], v[28:29], v[32:33]
	v_pk_fma_f32 v[32:33], v[10:11], v[20:21], v[30:31] op_sel:[0,0,1] op_sel_hi:[1,1,0] neg_lo:[0,0,1] neg_hi:[0,0,1]
	v_pk_fma_f32 v[10:11], v[10:11], v[20:21], v[30:31] op_sel:[0,0,1] op_sel_hi:[1,0,0]
	s_waitcnt vmcnt(12)
	v_mov_b32_e32 v20, v23
	v_mov_b32_e32 v33, v11
	s_waitcnt lgkmcnt(3)
	v_pk_mul_f32 v[20:21], v[4:5], v[20:21] op_sel_hi:[1,0]
	v_pk_add_f32 v[10:11], v[28:29], v[32:33]
	v_pk_fma_f32 v[28:29], v[4:5], v[22:23], v[20:21] op_sel:[0,0,1] op_sel_hi:[1,1,0] neg_lo:[0,0,1] neg_hi:[0,0,1]
	v_pk_fma_f32 v[4:5], v[4:5], v[22:23], v[20:21] op_sel:[0,0,1] op_sel_hi:[1,0,0]
	v_mov_b32_e32 v29, v5
	v_pk_add_f32 v[4:5], v[10:11], v[28:29]
	s_waitcnt vmcnt(10)
	v_mov_b32_e32 v10, v25
	v_pk_mul_f32 v[10:11], v[6:7], v[10:11] op_sel_hi:[1,0]
	v_pk_fma_f32 v[20:21], v[6:7], v[24:25], v[10:11] op_sel:[0,0,1] op_sel_hi:[1,1,0] neg_lo:[0,0,1] neg_hi:[0,0,1]
	v_pk_fma_f32 v[6:7], v[6:7], v[24:25], v[10:11] op_sel:[0,0,1] op_sel_hi:[1,0,0]
	s_waitcnt vmcnt(8)
	v_mov_b32_e32 v6, v27
	v_mov_b32_e32 v21, v7
	s_waitcnt lgkmcnt(2)
	v_pk_mul_f32 v[6:7], v[12:13], v[6:7] op_sel_hi:[1,0]
	v_pk_fma_f32 v[10:11], v[12:13], v[26:27], v[6:7] op_sel:[0,0,1] op_sel_hi:[1,1,0] neg_lo:[0,0,1] neg_hi:[0,0,1]
	v_pk_fma_f32 v[6:7], v[12:13], v[26:27], v[6:7] op_sel:[0,0,1] op_sel_hi:[1,0,0]
	v_pk_add_f32 v[4:5], v[4:5], v[20:21]
	v_mov_b32_e32 v11, v7
	v_pk_add_f32 v[4:5], v[4:5], v[10:11]
	s_waitcnt vmcnt(7)
	v_mov_b32_e32 v6, v35
	v_pk_mul_f32 v[6:7], v[14:15], v[6:7] op_sel_hi:[1,0]
	s_waitcnt vmcnt(6)
	v_pk_fma_f32 v[10:11], v[14:15], v[34:35], v[6:7] op_sel:[0,0,1] op_sel_hi:[1,1,0] neg_lo:[0,0,1] neg_hi:[0,0,1]
	v_pk_fma_f32 v[6:7], v[14:15], v[34:35], v[6:7] op_sel:[0,0,1] op_sel_hi:[1,0,0]
	s_waitcnt vmcnt(5)
	v_mov_b32_e32 v6, v37
	v_mov_b32_e32 v11, v7
	s_waitcnt lgkmcnt(1)
	v_pk_mul_f32 v[6:7], v[16:17], v[6:7] op_sel_hi:[1,0]
	v_pk_add_f32 v[4:5], v[4:5], v[10:11]
	s_waitcnt vmcnt(4)
	v_pk_fma_f32 v[10:11], v[16:17], v[36:37], v[6:7] op_sel:[0,0,1] op_sel_hi:[1,1,0] neg_lo:[0,0,1] neg_hi:[0,0,1]
	v_pk_fma_f32 v[6:7], v[16:17], v[36:37], v[6:7] op_sel:[0,0,1] op_sel_hi:[1,0,0]
	s_waitcnt vmcnt(3)
	v_mov_b32_e32 v6, v39
	v_mov_b32_e32 v11, v7
	v_pk_mul_f32 v[6:7], v[18:19], v[6:7] op_sel_hi:[1,0]
	v_pk_add_f32 v[4:5], v[4:5], v[10:11]
	s_waitcnt vmcnt(2)
	v_pk_fma_f32 v[10:11], v[18:19], v[38:39], v[6:7] op_sel:[0,0,1] op_sel_hi:[1,1,0] neg_lo:[0,0,1] neg_hi:[0,0,1]
	v_pk_fma_f32 v[6:7], v[18:19], v[38:39], v[6:7] op_sel:[0,0,1] op_sel_hi:[1,0,0]
	s_waitcnt vmcnt(1)
	v_mov_b32_e32 v6, v41
	v_mov_b32_e32 v11, v7
	s_waitcnt lgkmcnt(0)
	v_pk_mul_f32 v[6:7], v[8:9], v[6:7] op_sel_hi:[1,0]
	v_pk_add_f32 v[4:5], v[4:5], v[10:11]
	s_waitcnt vmcnt(0)
	v_pk_fma_f32 v[10:11], v[8:9], v[40:41], v[6:7] op_sel:[0,0,1] op_sel_hi:[1,1,0] neg_lo:[0,0,1] neg_hi:[0,0,1]
	v_pk_fma_f32 v[6:7], v[8:9], v[40:41], v[6:7] op_sel:[0,0,1] op_sel_hi:[1,0,0]
	v_mov_b32_e32 v11, v7
	v_pk_add_f32 v[4:5], v[4:5], v[10:11]
	v_pk_add_f32 v[2:3], v[2:3], v[4:5] neg_lo:[0,1] neg_hi:[0,1]
	buffer_store_dword v3, off, s[0:3], 0 offset:356
	buffer_store_dword v2, off, s[0:3], 0 offset:352
	s_and_saveexec_b64 s[4:5], vcc
	s_cbranch_execz .LBB55_263
; %bb.262:
	buffer_load_dword v2, off, s[0:3], 0 offset:344
	buffer_load_dword v3, off, s[0:3], 0 offset:348
	s_waitcnt vmcnt(0)
	ds_write_b64 v161, v[2:3]
	buffer_store_dword v1, off, s[0:3], 0 offset:344
	buffer_store_dword v1, off, s[0:3], 0 offset:348
.LBB55_263:
	s_or_b64 exec, exec, s[4:5]
	s_waitcnt lgkmcnt(0)
	; wave barrier
	s_waitcnt lgkmcnt(0)
	ds_read_b128 v[4:7], v1 offset:800
	ds_read_b128 v[8:11], v1 offset:816
	ds_read_b128 v[12:15], v1 offset:832
	ds_read_b128 v[16:19], v1 offset:848
	buffer_load_dword v2, off, s[0:3], 0 offset:344
	buffer_load_dword v3, off, s[0:3], 0 offset:348
	;; [unrolled: 1-line block ×26, first 2 shown]
	v_cmp_lt_u32_e32 vcc, 42, v0
	s_waitcnt vmcnt(22) lgkmcnt(3)
	v_mul_f32_e32 v27, v4, v28
	v_fmac_f32_e32 v27, v5, v26
	v_mul_f32_e32 v5, v5, v28
	s_waitcnt vmcnt(20)
	v_mul_f32_e32 v29, v6, v42
	v_fma_f32 v4, v4, v26, -v5
	v_mul_f32_e32 v5, v7, v42
	v_add_f32_e32 v27, 0, v27
	v_fmac_f32_e32 v29, v7, v30
	v_add_f32_e32 v4, 0, v4
	v_fma_f32 v5, v6, v30, -v5
	v_add_f32_e32 v27, v27, v29
	s_waitcnt vmcnt(18) lgkmcnt(2)
	v_mul_f32_e32 v29, v8, v44
	v_add_f32_e32 v26, v4, v5
	v_mul_f32_e32 v4, v9, v44
	v_fmac_f32_e32 v29, v9, v43
	v_fma_f32 v28, v8, v43, -v4
	s_waitcnt vmcnt(16)
	v_mul_f32_e32 v31, v10, v46
	v_mul_f32_e32 v4, v11, v46
	v_pk_add_f32 v[26:27], v[26:27], v[28:29]
	s_waitcnt vmcnt(14)
	v_mov_b32_e32 v28, v21
	v_fmac_f32_e32 v31, v11, v45
	v_fma_f32 v30, v10, v45, -v4
	s_waitcnt lgkmcnt(1)
	v_pk_mul_f32 v[28:29], v[12:13], v[28:29] op_sel_hi:[1,0]
	v_pk_add_f32 v[26:27], v[26:27], v[30:31]
	v_pk_fma_f32 v[30:31], v[12:13], v[20:21], v[28:29] op_sel:[0,0,1] op_sel_hi:[1,1,0] neg_lo:[0,0,1] neg_hi:[0,0,1]
	v_pk_fma_f32 v[12:13], v[12:13], v[20:21], v[28:29] op_sel:[0,0,1] op_sel_hi:[1,0,0]
	s_waitcnt vmcnt(12)
	v_mov_b32_e32 v20, v23
	v_mov_b32_e32 v31, v13
	v_pk_mul_f32 v[20:21], v[14:15], v[20:21] op_sel_hi:[1,0]
	v_pk_add_f32 v[12:13], v[26:27], v[30:31]
	v_pk_fma_f32 v[26:27], v[14:15], v[22:23], v[20:21] op_sel:[0,0,1] op_sel_hi:[1,1,0] neg_lo:[0,0,1] neg_hi:[0,0,1]
	v_pk_fma_f32 v[14:15], v[14:15], v[22:23], v[20:21] op_sel:[0,0,1] op_sel_hi:[1,0,0]
	s_waitcnt vmcnt(10)
	v_mov_b32_e32 v14, v25
	v_mov_b32_e32 v27, v15
	s_waitcnt lgkmcnt(0)
	v_pk_mul_f32 v[14:15], v[16:17], v[14:15] op_sel_hi:[1,0]
	v_pk_fma_f32 v[20:21], v[16:17], v[24:25], v[14:15] op_sel:[0,0,1] op_sel_hi:[1,1,0] neg_lo:[0,0,1] neg_hi:[0,0,1]
	v_pk_fma_f32 v[14:15], v[16:17], v[24:25], v[14:15] op_sel:[0,0,1] op_sel_hi:[1,0,0]
	ds_read_b128 v[4:7], v1 offset:864
	ds_read_b128 v[8:11], v1 offset:880
	s_waitcnt vmcnt(9)
	v_mov_b32_e32 v14, v33
	v_mov_b32_e32 v21, v15
	v_pk_mul_f32 v[14:15], v[18:19], v[14:15] op_sel_hi:[1,0]
	s_waitcnt vmcnt(8)
	v_pk_fma_f32 v[16:17], v[18:19], v[32:33], v[14:15] op_sel:[0,0,1] op_sel_hi:[1,1,0] neg_lo:[0,0,1] neg_hi:[0,0,1]
	v_pk_fma_f32 v[14:15], v[18:19], v[32:33], v[14:15] op_sel:[0,0,1] op_sel_hi:[1,0,0]
	v_pk_add_f32 v[12:13], v[12:13], v[26:27]
	s_waitcnt vmcnt(7)
	v_mov_b32_e32 v14, v35
	v_pk_add_f32 v[12:13], v[12:13], v[20:21]
	v_mov_b32_e32 v17, v15
	s_waitcnt lgkmcnt(1)
	v_pk_mul_f32 v[14:15], v[4:5], v[14:15] op_sel_hi:[1,0]
	v_pk_add_f32 v[12:13], v[12:13], v[16:17]
	s_waitcnt vmcnt(6)
	v_pk_fma_f32 v[16:17], v[4:5], v[34:35], v[14:15] op_sel:[0,0,1] op_sel_hi:[1,1,0] neg_lo:[0,0,1] neg_hi:[0,0,1]
	v_pk_fma_f32 v[4:5], v[4:5], v[34:35], v[14:15] op_sel:[0,0,1] op_sel_hi:[1,0,0]
	v_mov_b32_e32 v17, v5
	v_pk_add_f32 v[4:5], v[12:13], v[16:17]
	s_waitcnt vmcnt(5)
	v_mov_b32_e32 v12, v37
	v_pk_mul_f32 v[12:13], v[6:7], v[12:13] op_sel_hi:[1,0]
	s_waitcnt vmcnt(4)
	v_pk_fma_f32 v[14:15], v[6:7], v[36:37], v[12:13] op_sel:[0,0,1] op_sel_hi:[1,1,0] neg_lo:[0,0,1] neg_hi:[0,0,1]
	v_pk_fma_f32 v[6:7], v[6:7], v[36:37], v[12:13] op_sel:[0,0,1] op_sel_hi:[1,0,0]
	s_waitcnt vmcnt(3)
	v_mov_b32_e32 v6, v39
	v_mov_b32_e32 v15, v7
	s_waitcnt lgkmcnt(0)
	v_pk_mul_f32 v[6:7], v[8:9], v[6:7] op_sel_hi:[1,0]
	s_waitcnt vmcnt(2)
	v_pk_fma_f32 v[12:13], v[8:9], v[38:39], v[6:7] op_sel:[0,0,1] op_sel_hi:[1,1,0] neg_lo:[0,0,1] neg_hi:[0,0,1]
	v_pk_fma_f32 v[6:7], v[8:9], v[38:39], v[6:7] op_sel:[0,0,1] op_sel_hi:[1,0,0]
	s_waitcnt vmcnt(1)
	v_mov_b32_e32 v6, v41
	v_mov_b32_e32 v13, v7
	v_pk_mul_f32 v[6:7], v[10:11], v[6:7] op_sel_hi:[1,0]
	v_pk_add_f32 v[4:5], v[4:5], v[14:15]
	s_waitcnt vmcnt(0)
	v_pk_fma_f32 v[8:9], v[10:11], v[40:41], v[6:7] op_sel:[0,0,1] op_sel_hi:[1,1,0] neg_lo:[0,0,1] neg_hi:[0,0,1]
	v_pk_fma_f32 v[6:7], v[10:11], v[40:41], v[6:7] op_sel:[0,0,1] op_sel_hi:[1,0,0]
	v_pk_add_f32 v[4:5], v[4:5], v[12:13]
	v_mov_b32_e32 v9, v7
	v_pk_add_f32 v[4:5], v[4:5], v[8:9]
	v_pk_add_f32 v[2:3], v[2:3], v[4:5] neg_lo:[0,1] neg_hi:[0,1]
	buffer_store_dword v3, off, s[0:3], 0 offset:348
	buffer_store_dword v2, off, s[0:3], 0 offset:344
	s_and_saveexec_b64 s[4:5], vcc
	s_cbranch_execz .LBB55_265
; %bb.264:
	buffer_load_dword v2, off, s[0:3], 0 offset:336
	buffer_load_dword v3, off, s[0:3], 0 offset:340
	v_mov_b32_e32 v1, 0
	buffer_store_dword v1, off, s[0:3], 0 offset:336
	buffer_store_dword v1, off, s[0:3], 0 offset:340
	s_waitcnt vmcnt(2)
	ds_write_b64 v161, v[2:3]
.LBB55_265:
	s_or_b64 exec, exec, s[4:5]
	v_mov_b32_e32 v1, 0
	s_waitcnt lgkmcnt(0)
	; wave barrier
	s_waitcnt lgkmcnt(0)
	ds_read2_b64 v[4:7], v1 offset0:99 offset1:100
	buffer_load_dword v2, off, s[0:3], 0 offset:336
	buffer_load_dword v3, off, s[0:3], 0 offset:340
	;; [unrolled: 1-line block ×16, first 2 shown]
	v_cmp_lt_u32_e32 vcc, 41, v0
	s_waitcnt vmcnt(12) lgkmcnt(0)
	v_mul_f32_e32 v8, v4, v17
	v_fmac_f32_e32 v8, v5, v16
	s_waitcnt vmcnt(10)
	v_mul_f32_e32 v9, v6, v19
	v_add_f32_e32 v8, 0, v8
	v_fmac_f32_e32 v9, v7, v18
	v_add_f32_e32 v12, v8, v9
	ds_read2_b64 v[8:11], v1 offset0:101 offset1:102
	v_mul_f32_e32 v5, v5, v17
	v_fma_f32 v4, v4, v16, -v5
	v_mul_f32_e32 v5, v7, v19
	v_add_f32_e32 v4, 0, v4
	s_waitcnt vmcnt(8) lgkmcnt(0)
	v_mul_f32_e32 v13, v8, v26
	v_fmac_f32_e32 v13, v9, v24
	v_add_f32_e32 v25, v12, v13
	ds_read2_b64 v[12:15], v1 offset0:103 offset1:104
	buffer_load_dword v31, off, s[0:3], 0 offset:404
	buffer_load_dword v30, off, s[0:3], 0 offset:400
	;; [unrolled: 1-line block ×12, first 2 shown]
	v_fma_f32 v5, v6, v18, -v5
	v_add_f32_e32 v4, v4, v5
	v_mul_f32_e32 v5, v9, v26
	v_fma_f32 v5, v8, v24, -v5
	s_waitcnt vmcnt(18)
	v_mul_f32_e32 v27, v10, v42
	v_add_f32_e32 v24, v4, v5
	v_mul_f32_e32 v4, v11, v42
	v_fmac_f32_e32 v27, v11, v28
	v_fma_f32 v26, v10, v28, -v4
	s_waitcnt vmcnt(16) lgkmcnt(0)
	v_mul_f32_e32 v29, v12, v44
	v_mul_f32_e32 v4, v13, v44
	v_pk_add_f32 v[24:25], v[24:25], v[26:27]
	s_waitcnt vmcnt(14)
	v_mov_b32_e32 v26, v21
	v_fmac_f32_e32 v29, v13, v43
	v_fma_f32 v28, v12, v43, -v4
	ds_read2_b64 v[4:7], v1 offset0:105 offset1:106
	ds_read2_b64 v[8:11], v1 offset0:107 offset1:108
	;; [unrolled: 1-line block ×3, first 2 shown]
	ds_read_b64 v[12:13], v1 offset:888
	v_pk_mul_f32 v[26:27], v[14:15], v[26:27] op_sel_hi:[1,0]
	v_pk_add_f32 v[24:25], v[24:25], v[28:29]
	v_pk_fma_f32 v[28:29], v[14:15], v[20:21], v[26:27] op_sel:[0,0,1] op_sel_hi:[1,1,0] neg_lo:[0,0,1] neg_hi:[0,0,1]
	v_pk_fma_f32 v[14:15], v[14:15], v[20:21], v[26:27] op_sel:[0,0,1] op_sel_hi:[1,0,0]
	s_waitcnt vmcnt(12)
	v_mov_b32_e32 v20, v23
	v_mov_b32_e32 v29, v15
	s_waitcnt lgkmcnt(3)
	v_pk_mul_f32 v[20:21], v[4:5], v[20:21] op_sel_hi:[1,0]
	v_pk_add_f32 v[14:15], v[24:25], v[28:29]
	v_pk_fma_f32 v[24:25], v[4:5], v[22:23], v[20:21] op_sel:[0,0,1] op_sel_hi:[1,1,0] neg_lo:[0,0,1] neg_hi:[0,0,1]
	v_pk_fma_f32 v[4:5], v[4:5], v[22:23], v[20:21] op_sel:[0,0,1] op_sel_hi:[1,0,0]
	v_mov_b32_e32 v25, v5
	v_pk_add_f32 v[4:5], v[14:15], v[24:25]
	s_waitcnt vmcnt(11)
	v_mov_b32_e32 v14, v31
	v_pk_mul_f32 v[14:15], v[6:7], v[14:15] op_sel_hi:[1,0]
	s_waitcnt vmcnt(10)
	v_pk_fma_f32 v[20:21], v[6:7], v[30:31], v[14:15] op_sel:[0,0,1] op_sel_hi:[1,1,0] neg_lo:[0,0,1] neg_hi:[0,0,1]
	v_pk_fma_f32 v[6:7], v[6:7], v[30:31], v[14:15] op_sel:[0,0,1] op_sel_hi:[1,0,0]
	s_waitcnt vmcnt(9)
	v_mov_b32_e32 v6, v33
	v_mov_b32_e32 v21, v7
	s_waitcnt lgkmcnt(2)
	v_pk_mul_f32 v[6:7], v[8:9], v[6:7] op_sel_hi:[1,0]
	s_waitcnt vmcnt(8)
	v_pk_fma_f32 v[14:15], v[8:9], v[32:33], v[6:7] op_sel:[0,0,1] op_sel_hi:[1,1,0] neg_lo:[0,0,1] neg_hi:[0,0,1]
	v_pk_fma_f32 v[6:7], v[8:9], v[32:33], v[6:7] op_sel:[0,0,1] op_sel_hi:[1,0,0]
	s_waitcnt vmcnt(7)
	v_mov_b32_e32 v6, v35
	v_mov_b32_e32 v15, v7
	v_pk_mul_f32 v[6:7], v[10:11], v[6:7] op_sel_hi:[1,0]
	s_waitcnt vmcnt(6)
	v_pk_fma_f32 v[8:9], v[10:11], v[34:35], v[6:7] op_sel:[0,0,1] op_sel_hi:[1,1,0] neg_lo:[0,0,1] neg_hi:[0,0,1]
	v_pk_fma_f32 v[6:7], v[10:11], v[34:35], v[6:7] op_sel:[0,0,1] op_sel_hi:[1,0,0]
	v_pk_add_f32 v[4:5], v[4:5], v[20:21]
	s_waitcnt vmcnt(5)
	v_mov_b32_e32 v6, v37
	v_pk_add_f32 v[4:5], v[4:5], v[14:15]
	v_mov_b32_e32 v9, v7
	s_waitcnt lgkmcnt(1)
	v_pk_mul_f32 v[6:7], v[16:17], v[6:7] op_sel_hi:[1,0]
	v_pk_add_f32 v[4:5], v[4:5], v[8:9]
	s_waitcnt vmcnt(4)
	v_pk_fma_f32 v[8:9], v[16:17], v[36:37], v[6:7] op_sel:[0,0,1] op_sel_hi:[1,1,0] neg_lo:[0,0,1] neg_hi:[0,0,1]
	v_pk_fma_f32 v[6:7], v[16:17], v[36:37], v[6:7] op_sel:[0,0,1] op_sel_hi:[1,0,0]
	s_waitcnt vmcnt(3)
	v_mov_b32_e32 v6, v39
	v_mov_b32_e32 v9, v7
	v_pk_mul_f32 v[6:7], v[18:19], v[6:7] op_sel_hi:[1,0]
	v_pk_add_f32 v[4:5], v[4:5], v[8:9]
	s_waitcnt vmcnt(2)
	v_pk_fma_f32 v[8:9], v[18:19], v[38:39], v[6:7] op_sel:[0,0,1] op_sel_hi:[1,1,0] neg_lo:[0,0,1] neg_hi:[0,0,1]
	v_pk_fma_f32 v[6:7], v[18:19], v[38:39], v[6:7] op_sel:[0,0,1] op_sel_hi:[1,0,0]
	s_waitcnt vmcnt(1)
	v_mov_b32_e32 v6, v41
	v_mov_b32_e32 v9, v7
	s_waitcnt lgkmcnt(0)
	v_pk_mul_f32 v[6:7], v[12:13], v[6:7] op_sel_hi:[1,0]
	v_pk_add_f32 v[4:5], v[4:5], v[8:9]
	s_waitcnt vmcnt(0)
	v_pk_fma_f32 v[8:9], v[12:13], v[40:41], v[6:7] op_sel:[0,0,1] op_sel_hi:[1,1,0] neg_lo:[0,0,1] neg_hi:[0,0,1]
	v_pk_fma_f32 v[6:7], v[12:13], v[40:41], v[6:7] op_sel:[0,0,1] op_sel_hi:[1,0,0]
	v_mov_b32_e32 v9, v7
	v_pk_add_f32 v[4:5], v[4:5], v[8:9]
	v_pk_add_f32 v[2:3], v[2:3], v[4:5] neg_lo:[0,1] neg_hi:[0,1]
	buffer_store_dword v3, off, s[0:3], 0 offset:340
	buffer_store_dword v2, off, s[0:3], 0 offset:336
	s_and_saveexec_b64 s[4:5], vcc
	s_cbranch_execz .LBB55_267
; %bb.266:
	buffer_load_dword v2, off, s[0:3], 0 offset:328
	buffer_load_dword v3, off, s[0:3], 0 offset:332
	s_waitcnt vmcnt(0)
	ds_write_b64 v161, v[2:3]
	buffer_store_dword v1, off, s[0:3], 0 offset:328
	buffer_store_dword v1, off, s[0:3], 0 offset:332
.LBB55_267:
	s_or_b64 exec, exec, s[4:5]
	s_waitcnt lgkmcnt(0)
	; wave barrier
	s_waitcnt lgkmcnt(0)
	ds_read_b128 v[4:7], v1 offset:784
	ds_read_b128 v[8:11], v1 offset:800
	;; [unrolled: 1-line block ×4, first 2 shown]
	buffer_load_dword v2, off, s[0:3], 0 offset:328
	buffer_load_dword v3, off, s[0:3], 0 offset:332
	;; [unrolled: 1-line block ×30, first 2 shown]
	v_cmp_lt_u32_e32 vcc, 40, v0
	s_waitcnt vmcnt(26) lgkmcnt(3)
	v_mul_f32_e32 v23, v4, v24
	v_fmac_f32_e32 v23, v5, v22
	v_mul_f32_e32 v5, v5, v24
	s_waitcnt vmcnt(24)
	v_mul_f32_e32 v25, v6, v42
	v_fma_f32 v4, v4, v22, -v5
	v_mul_f32_e32 v5, v7, v42
	v_add_f32_e32 v23, 0, v23
	v_fmac_f32_e32 v25, v7, v26
	v_add_f32_e32 v4, 0, v4
	v_fma_f32 v5, v6, v26, -v5
	v_add_f32_e32 v23, v23, v25
	s_waitcnt vmcnt(22) lgkmcnt(2)
	v_mul_f32_e32 v25, v8, v44
	v_add_f32_e32 v4, v4, v5
	v_mul_f32_e32 v5, v9, v44
	v_fmac_f32_e32 v25, v9, v43
	v_fma_f32 v5, v8, v43, -v5
	v_add_f32_e32 v23, v23, v25
	s_waitcnt vmcnt(20)
	v_mul_f32_e32 v25, v10, v46
	v_add_f32_e32 v4, v4, v5
	v_mul_f32_e32 v5, v11, v46
	v_fmac_f32_e32 v25, v11, v45
	v_fma_f32 v5, v10, v45, -v5
	v_add_f32_e32 v23, v23, v25
	s_waitcnt vmcnt(18) lgkmcnt(1)
	v_mul_f32_e32 v25, v12, v48
	v_add_f32_e32 v22, v4, v5
	v_mul_f32_e32 v4, v13, v48
	v_fmac_f32_e32 v25, v13, v47
	v_fma_f32 v24, v12, v47, -v4
	s_waitcnt vmcnt(16)
	v_mul_f32_e32 v27, v14, v50
	v_mul_f32_e32 v4, v15, v50
	v_pk_add_f32 v[22:23], v[22:23], v[24:25]
	s_waitcnt vmcnt(14)
	v_mov_b32_e32 v24, v21
	v_fmac_f32_e32 v27, v15, v49
	v_fma_f32 v26, v14, v49, -v4
	s_waitcnt lgkmcnt(0)
	v_pk_mul_f32 v[24:25], v[16:17], v[24:25] op_sel_hi:[1,0]
	v_pk_add_f32 v[22:23], v[22:23], v[26:27]
	v_pk_fma_f32 v[26:27], v[16:17], v[20:21], v[24:25] op_sel:[0,0,1] op_sel_hi:[1,1,0] neg_lo:[0,0,1] neg_hi:[0,0,1]
	v_pk_fma_f32 v[16:17], v[16:17], v[20:21], v[24:25] op_sel:[0,0,1] op_sel_hi:[1,0,0]
	s_waitcnt vmcnt(13)
	v_mov_b32_e32 v20, v29
	ds_read_b128 v[4:7], v1 offset:848
	ds_read_b128 v[8:11], v1 offset:864
	;; [unrolled: 1-line block ×3, first 2 shown]
	v_mov_b32_e32 v27, v17
	v_pk_mul_f32 v[20:21], v[18:19], v[20:21] op_sel_hi:[1,0]
	v_pk_add_f32 v[16:17], v[22:23], v[26:27]
	s_waitcnt vmcnt(12)
	v_pk_fma_f32 v[22:23], v[18:19], v[28:29], v[20:21] op_sel:[0,0,1] op_sel_hi:[1,1,0] neg_lo:[0,0,1] neg_hi:[0,0,1]
	v_pk_fma_f32 v[18:19], v[18:19], v[28:29], v[20:21] op_sel:[0,0,1] op_sel_hi:[1,0,0]
	s_waitcnt vmcnt(11)
	v_mov_b32_e32 v18, v31
	v_mov_b32_e32 v23, v19
	s_waitcnt lgkmcnt(2)
	v_pk_mul_f32 v[18:19], v[4:5], v[18:19] op_sel_hi:[1,0]
	s_waitcnt vmcnt(10)
	v_pk_fma_f32 v[20:21], v[4:5], v[30:31], v[18:19] op_sel:[0,0,1] op_sel_hi:[1,1,0] neg_lo:[0,0,1] neg_hi:[0,0,1]
	v_pk_fma_f32 v[4:5], v[4:5], v[30:31], v[18:19] op_sel:[0,0,1] op_sel_hi:[1,0,0]
	v_pk_add_f32 v[16:17], v[16:17], v[22:23]
	v_mov_b32_e32 v21, v5
	v_pk_add_f32 v[4:5], v[16:17], v[20:21]
	s_waitcnt vmcnt(9)
	v_mov_b32_e32 v16, v33
	v_pk_mul_f32 v[16:17], v[6:7], v[16:17] op_sel_hi:[1,0]
	s_waitcnt vmcnt(8)
	v_pk_fma_f32 v[18:19], v[6:7], v[32:33], v[16:17] op_sel:[0,0,1] op_sel_hi:[1,1,0] neg_lo:[0,0,1] neg_hi:[0,0,1]
	v_pk_fma_f32 v[6:7], v[6:7], v[32:33], v[16:17] op_sel:[0,0,1] op_sel_hi:[1,0,0]
	s_waitcnt vmcnt(7)
	v_mov_b32_e32 v6, v35
	v_mov_b32_e32 v19, v7
	s_waitcnt lgkmcnt(1)
	v_pk_mul_f32 v[6:7], v[8:9], v[6:7] op_sel_hi:[1,0]
	s_waitcnt vmcnt(6)
	v_pk_fma_f32 v[16:17], v[8:9], v[34:35], v[6:7] op_sel:[0,0,1] op_sel_hi:[1,1,0] neg_lo:[0,0,1] neg_hi:[0,0,1]
	v_pk_fma_f32 v[6:7], v[8:9], v[34:35], v[6:7] op_sel:[0,0,1] op_sel_hi:[1,0,0]
	s_waitcnt vmcnt(5)
	v_mov_b32_e32 v6, v37
	v_mov_b32_e32 v17, v7
	v_pk_mul_f32 v[6:7], v[10:11], v[6:7] op_sel_hi:[1,0]
	s_waitcnt vmcnt(4)
	v_pk_fma_f32 v[8:9], v[10:11], v[36:37], v[6:7] op_sel:[0,0,1] op_sel_hi:[1,1,0] neg_lo:[0,0,1] neg_hi:[0,0,1]
	v_pk_fma_f32 v[6:7], v[10:11], v[36:37], v[6:7] op_sel:[0,0,1] op_sel_hi:[1,0,0]
	v_pk_add_f32 v[4:5], v[4:5], v[18:19]
	s_waitcnt vmcnt(3)
	v_mov_b32_e32 v6, v39
	v_pk_add_f32 v[4:5], v[4:5], v[16:17]
	v_mov_b32_e32 v9, v7
	s_waitcnt lgkmcnt(0)
	v_pk_mul_f32 v[6:7], v[12:13], v[6:7] op_sel_hi:[1,0]
	v_pk_add_f32 v[4:5], v[4:5], v[8:9]
	s_waitcnt vmcnt(2)
	v_pk_fma_f32 v[8:9], v[12:13], v[38:39], v[6:7] op_sel:[0,0,1] op_sel_hi:[1,1,0] neg_lo:[0,0,1] neg_hi:[0,0,1]
	v_pk_fma_f32 v[6:7], v[12:13], v[38:39], v[6:7] op_sel:[0,0,1] op_sel_hi:[1,0,0]
	s_waitcnt vmcnt(1)
	v_mov_b32_e32 v6, v41
	v_mov_b32_e32 v9, v7
	v_pk_mul_f32 v[6:7], v[14:15], v[6:7] op_sel_hi:[1,0]
	v_pk_add_f32 v[4:5], v[4:5], v[8:9]
	s_waitcnt vmcnt(0)
	v_pk_fma_f32 v[8:9], v[14:15], v[40:41], v[6:7] op_sel:[0,0,1] op_sel_hi:[1,1,0] neg_lo:[0,0,1] neg_hi:[0,0,1]
	v_pk_fma_f32 v[6:7], v[14:15], v[40:41], v[6:7] op_sel:[0,0,1] op_sel_hi:[1,0,0]
	v_mov_b32_e32 v9, v7
	v_pk_add_f32 v[4:5], v[4:5], v[8:9]
	v_pk_add_f32 v[2:3], v[2:3], v[4:5] neg_lo:[0,1] neg_hi:[0,1]
	buffer_store_dword v3, off, s[0:3], 0 offset:332
	buffer_store_dword v2, off, s[0:3], 0 offset:328
	s_and_saveexec_b64 s[4:5], vcc
	s_cbranch_execz .LBB55_269
; %bb.268:
	buffer_load_dword v2, off, s[0:3], 0 offset:320
	buffer_load_dword v3, off, s[0:3], 0 offset:324
	v_mov_b32_e32 v1, 0
	buffer_store_dword v1, off, s[0:3], 0 offset:320
	buffer_store_dword v1, off, s[0:3], 0 offset:324
	s_waitcnt vmcnt(2)
	ds_write_b64 v161, v[2:3]
.LBB55_269:
	s_or_b64 exec, exec, s[4:5]
	v_mov_b32_e32 v1, 0
	s_waitcnt lgkmcnt(0)
	; wave barrier
	s_waitcnt lgkmcnt(0)
	ds_read2_b64 v[4:7], v1 offset0:97 offset1:98
	buffer_load_dword v2, off, s[0:3], 0 offset:320
	buffer_load_dword v3, off, s[0:3], 0 offset:324
	buffer_load_dword v20, off, s[0:3], 0 offset:328
	buffer_load_dword v22, off, s[0:3], 0 offset:332
	buffer_load_dword v24, off, s[0:3], 0 offset:336
	buffer_load_dword v42, off, s[0:3], 0 offset:340
	buffer_load_dword v43, off, s[0:3], 0 offset:344
	buffer_load_dword v44, off, s[0:3], 0 offset:348
	buffer_load_dword v45, off, s[0:3], 0 offset:352
	buffer_load_dword v46, off, s[0:3], 0 offset:356
	buffer_load_dword v47, off, s[0:3], 0 offset:360
	buffer_load_dword v48, off, s[0:3], 0 offset:364
	buffer_load_dword v49, off, s[0:3], 0 offset:368
	buffer_load_dword v50, off, s[0:3], 0 offset:372
	buffer_load_dword v51, off, s[0:3], 0 offset:376
	buffer_load_dword v52, off, s[0:3], 0 offset:380
	v_cmp_lt_u32_e32 vcc, 39, v0
	s_waitcnt vmcnt(12) lgkmcnt(0)
	v_mul_f32_e32 v8, v4, v22
	v_fmac_f32_e32 v8, v5, v20
	s_waitcnt vmcnt(10)
	v_mul_f32_e32 v9, v6, v42
	v_add_f32_e32 v8, 0, v8
	v_fmac_f32_e32 v9, v7, v24
	v_add_f32_e32 v12, v8, v9
	ds_read2_b64 v[8:11], v1 offset0:99 offset1:100
	v_mul_f32_e32 v5, v5, v22
	v_fma_f32 v4, v4, v20, -v5
	v_mul_f32_e32 v5, v7, v42
	v_add_f32_e32 v4, 0, v4
	s_waitcnt vmcnt(8) lgkmcnt(0)
	v_mul_f32_e32 v13, v8, v44
	v_fmac_f32_e32 v13, v9, v43
	v_add_f32_e32 v12, v12, v13
	s_waitcnt vmcnt(6)
	v_mul_f32_e32 v13, v10, v46
	v_fmac_f32_e32 v13, v11, v45
	v_add_f32_e32 v16, v12, v13
	ds_read2_b64 v[12:15], v1 offset0:101 offset1:102
	v_fma_f32 v5, v6, v24, -v5
	v_add_f32_e32 v4, v4, v5
	v_mul_f32_e32 v5, v9, v44
	v_fma_f32 v5, v8, v43, -v5
	s_waitcnt vmcnt(4) lgkmcnt(0)
	v_mul_f32_e32 v17, v12, v48
	v_fmac_f32_e32 v17, v13, v47
	v_add_f32_e32 v21, v16, v17
	ds_read2_b64 v[16:19], v1 offset0:103 offset1:104
	buffer_load_dword v27, off, s[0:3], 0 offset:388
	buffer_load_dword v26, off, s[0:3], 0 offset:384
	;; [unrolled: 1-line block ×16, first 2 shown]
	v_add_f32_e32 v4, v4, v5
	v_mul_f32_e32 v5, v11, v46
	v_fma_f32 v5, v10, v45, -v5
	v_add_f32_e32 v4, v4, v5
	v_mul_f32_e32 v5, v13, v48
	v_fma_f32 v5, v12, v47, -v5
	s_waitcnt vmcnt(18)
	v_mul_f32_e32 v23, v14, v50
	v_add_f32_e32 v20, v4, v5
	v_mul_f32_e32 v4, v15, v50
	v_fmac_f32_e32 v23, v15, v49
	v_fma_f32 v22, v14, v49, -v4
	s_waitcnt vmcnt(16) lgkmcnt(0)
	v_mul_f32_e32 v25, v16, v52
	v_mul_f32_e32 v4, v17, v52
	v_pk_add_f32 v[20:21], v[20:21], v[22:23]
	v_fmac_f32_e32 v25, v17, v51
	v_fma_f32 v24, v16, v51, -v4
	v_pk_add_f32 v[20:21], v[20:21], v[24:25]
	ds_read2_b64 v[4:7], v1 offset0:105 offset1:106
	ds_read2_b64 v[8:11], v1 offset0:107 offset1:108
	;; [unrolled: 1-line block ×3, first 2 shown]
	ds_read_b64 v[16:17], v1 offset:888
	s_waitcnt vmcnt(15)
	v_mov_b32_e32 v22, v27
	v_pk_mul_f32 v[22:23], v[18:19], v[22:23] op_sel_hi:[1,0]
	s_waitcnt vmcnt(14)
	v_pk_fma_f32 v[24:25], v[18:19], v[26:27], v[22:23] op_sel:[0,0,1] op_sel_hi:[1,1,0] neg_lo:[0,0,1] neg_hi:[0,0,1]
	v_pk_fma_f32 v[18:19], v[18:19], v[26:27], v[22:23] op_sel:[0,0,1] op_sel_hi:[1,0,0]
	v_mov_b32_e32 v25, v19
	v_pk_add_f32 v[18:19], v[20:21], v[24:25]
	s_waitcnt vmcnt(13)
	v_mov_b32_e32 v20, v29
	s_waitcnt lgkmcnt(3)
	v_pk_mul_f32 v[20:21], v[4:5], v[20:21] op_sel_hi:[1,0]
	s_waitcnt vmcnt(12)
	v_pk_fma_f32 v[22:23], v[4:5], v[28:29], v[20:21] op_sel:[0,0,1] op_sel_hi:[1,1,0] neg_lo:[0,0,1] neg_hi:[0,0,1]
	v_pk_fma_f32 v[4:5], v[4:5], v[28:29], v[20:21] op_sel:[0,0,1] op_sel_hi:[1,0,0]
	v_mov_b32_e32 v23, v5
	v_pk_add_f32 v[4:5], v[18:19], v[22:23]
	s_waitcnt vmcnt(11)
	v_mov_b32_e32 v18, v31
	v_pk_mul_f32 v[18:19], v[6:7], v[18:19] op_sel_hi:[1,0]
	s_waitcnt vmcnt(10)
	v_pk_fma_f32 v[20:21], v[6:7], v[30:31], v[18:19] op_sel:[0,0,1] op_sel_hi:[1,1,0] neg_lo:[0,0,1] neg_hi:[0,0,1]
	v_pk_fma_f32 v[6:7], v[6:7], v[30:31], v[18:19] op_sel:[0,0,1] op_sel_hi:[1,0,0]
	s_waitcnt vmcnt(9)
	v_mov_b32_e32 v6, v33
	v_mov_b32_e32 v21, v7
	s_waitcnt lgkmcnt(2)
	v_pk_mul_f32 v[6:7], v[8:9], v[6:7] op_sel_hi:[1,0]
	s_waitcnt vmcnt(8)
	v_pk_fma_f32 v[18:19], v[8:9], v[32:33], v[6:7] op_sel:[0,0,1] op_sel_hi:[1,1,0] neg_lo:[0,0,1] neg_hi:[0,0,1]
	v_pk_fma_f32 v[6:7], v[8:9], v[32:33], v[6:7] op_sel:[0,0,1] op_sel_hi:[1,0,0]
	s_waitcnt vmcnt(7)
	v_mov_b32_e32 v6, v35
	v_mov_b32_e32 v19, v7
	v_pk_mul_f32 v[6:7], v[10:11], v[6:7] op_sel_hi:[1,0]
	s_waitcnt vmcnt(6)
	v_pk_fma_f32 v[8:9], v[10:11], v[34:35], v[6:7] op_sel:[0,0,1] op_sel_hi:[1,1,0] neg_lo:[0,0,1] neg_hi:[0,0,1]
	v_pk_fma_f32 v[6:7], v[10:11], v[34:35], v[6:7] op_sel:[0,0,1] op_sel_hi:[1,0,0]
	v_pk_add_f32 v[4:5], v[4:5], v[20:21]
	s_waitcnt vmcnt(5)
	v_mov_b32_e32 v6, v37
	v_pk_add_f32 v[4:5], v[4:5], v[18:19]
	v_mov_b32_e32 v9, v7
	s_waitcnt lgkmcnt(1)
	v_pk_mul_f32 v[6:7], v[12:13], v[6:7] op_sel_hi:[1,0]
	v_pk_add_f32 v[4:5], v[4:5], v[8:9]
	s_waitcnt vmcnt(4)
	v_pk_fma_f32 v[8:9], v[12:13], v[36:37], v[6:7] op_sel:[0,0,1] op_sel_hi:[1,1,0] neg_lo:[0,0,1] neg_hi:[0,0,1]
	v_pk_fma_f32 v[6:7], v[12:13], v[36:37], v[6:7] op_sel:[0,0,1] op_sel_hi:[1,0,0]
	s_waitcnt vmcnt(3)
	v_mov_b32_e32 v6, v39
	v_mov_b32_e32 v9, v7
	v_pk_mul_f32 v[6:7], v[14:15], v[6:7] op_sel_hi:[1,0]
	v_pk_add_f32 v[4:5], v[4:5], v[8:9]
	s_waitcnt vmcnt(2)
	v_pk_fma_f32 v[8:9], v[14:15], v[38:39], v[6:7] op_sel:[0,0,1] op_sel_hi:[1,1,0] neg_lo:[0,0,1] neg_hi:[0,0,1]
	v_pk_fma_f32 v[6:7], v[14:15], v[38:39], v[6:7] op_sel:[0,0,1] op_sel_hi:[1,0,0]
	s_waitcnt vmcnt(1)
	v_mov_b32_e32 v6, v41
	v_mov_b32_e32 v9, v7
	s_waitcnt lgkmcnt(0)
	v_pk_mul_f32 v[6:7], v[16:17], v[6:7] op_sel_hi:[1,0]
	v_pk_add_f32 v[4:5], v[4:5], v[8:9]
	s_waitcnt vmcnt(0)
	v_pk_fma_f32 v[8:9], v[16:17], v[40:41], v[6:7] op_sel:[0,0,1] op_sel_hi:[1,1,0] neg_lo:[0,0,1] neg_hi:[0,0,1]
	v_pk_fma_f32 v[6:7], v[16:17], v[40:41], v[6:7] op_sel:[0,0,1] op_sel_hi:[1,0,0]
	v_mov_b32_e32 v9, v7
	v_pk_add_f32 v[4:5], v[4:5], v[8:9]
	v_pk_add_f32 v[2:3], v[2:3], v[4:5] neg_lo:[0,1] neg_hi:[0,1]
	buffer_store_dword v3, off, s[0:3], 0 offset:324
	buffer_store_dword v2, off, s[0:3], 0 offset:320
	s_and_saveexec_b64 s[4:5], vcc
	s_cbranch_execz .LBB55_271
; %bb.270:
	buffer_load_dword v2, off, s[0:3], 0 offset:312
	buffer_load_dword v3, off, s[0:3], 0 offset:316
	s_waitcnt vmcnt(0)
	ds_write_b64 v161, v[2:3]
	buffer_store_dword v1, off, s[0:3], 0 offset:312
	buffer_store_dword v1, off, s[0:3], 0 offset:316
.LBB55_271:
	s_or_b64 exec, exec, s[4:5]
	s_waitcnt lgkmcnt(0)
	; wave barrier
	s_waitcnt lgkmcnt(0)
	buffer_load_dword v52, off, s[0:3], 0 offset:324
	buffer_load_dword v54, off, s[0:3], 0 offset:332
	;; [unrolled: 1-line block ×32, first 2 shown]
	ds_read_b128 v[2:5], v1 offset:768
	ds_read_b128 v[6:9], v1 offset:784
	;; [unrolled: 1-line block ×4, first 2 shown]
	buffer_load_dword v51, off, s[0:3], 0 offset:444
	buffer_load_dword v50, off, s[0:3], 0 offset:440
	ds_read_b128 v[18:21], v1 offset:832
	ds_read_b128 v[22:25], v1 offset:848
	ds_read_b128 v[26:29], v1 offset:864
	ds_read_b128 v[30:33], v1 offset:880
	v_cmp_lt_u32_e32 vcc, 38, v0
	s_waitcnt vmcnt(33) lgkmcnt(7)
	v_mul_f32_e32 v1, v2, v52
	v_mul_f32_e32 v52, v3, v52
	s_waitcnt vmcnt(32)
	v_mul_f32_e32 v70, v4, v54
	v_mul_f32_e32 v54, v5, v54
	s_waitcnt vmcnt(31) lgkmcnt(6)
	v_mul_f32_e32 v71, v6, v56
	v_mul_f32_e32 v56, v7, v56
	s_waitcnt vmcnt(30)
	v_mul_f32_e32 v72, v8, v57
	v_mul_f32_e32 v57, v9, v57
	s_waitcnt vmcnt(25)
	v_fmac_f32_e32 v1, v3, v62
	v_fma_f32 v2, v2, v62, -v52
	s_waitcnt vmcnt(24)
	v_fmac_f32_e32 v70, v5, v63
	v_fma_f32 v3, v4, v63, -v54
	v_add_f32_e32 v1, 0, v1
	v_add_f32_e32 v2, 0, v2
	s_waitcnt vmcnt(23)
	v_fmac_f32_e32 v71, v7, v64
	v_fma_f32 v4, v6, v64, -v56
	v_add_f32_e32 v1, v1, v70
	v_add_f32_e32 v2, v2, v3
	s_waitcnt lgkmcnt(5)
	v_mul_f32_e32 v73, v10, v58
	v_mul_f32_e32 v58, v11, v58
	s_waitcnt vmcnt(22)
	v_fmac_f32_e32 v72, v9, v65
	v_fma_f32 v5, v8, v65, -v57
	v_add_f32_e32 v1, v1, v71
	v_add_f32_e32 v2, v2, v4
	v_mul_f32_e32 v74, v12, v59
	v_mul_f32_e32 v59, v13, v59
	s_waitcnt vmcnt(21)
	v_fmac_f32_e32 v73, v11, v66
	v_fma_f32 v6, v10, v66, -v58
	v_add_f32_e32 v1, v1, v72
	v_add_f32_e32 v2, v2, v5
	s_waitcnt vmcnt(17)
	v_mov_b32_e32 v4, v35
	s_waitcnt lgkmcnt(4)
	v_mul_f32_e32 v53, v14, v60
	v_mul_f32_e32 v60, v15, v60
	v_fmac_f32_e32 v74, v13, v67
	v_fma_f32 v7, v12, v67, -v59
	v_add_f32_e32 v1, v1, v73
	v_add_f32_e32 v2, v2, v6
	s_waitcnt lgkmcnt(3)
	v_pk_mul_f32 v[4:5], v[18:19], v[4:5] op_sel_hi:[1,0]
	v_mul_f32_e32 v55, v16, v61
	v_mul_f32_e32 v61, v17, v61
	v_fmac_f32_e32 v53, v15, v68
	v_fma_f32 v52, v14, v68, -v60
	v_add_f32_e32 v3, v1, v74
	v_add_f32_e32 v2, v2, v7
	s_waitcnt vmcnt(14)
	v_pk_fma_f32 v[6:7], v[18:19], v[34:35], v[4:5] op_sel:[0,0,1] op_sel_hi:[1,1,0] neg_lo:[0,0,1] neg_hi:[0,0,1]
	v_pk_fma_f32 v[4:5], v[18:19], v[34:35], v[4:5] op_sel:[0,0,1] op_sel_hi:[1,0,0]
	v_fmac_f32_e32 v55, v17, v69
	v_fma_f32 v54, v16, v69, -v61
	v_pk_add_f32 v[2:3], v[2:3], v[52:53]
	s_waitcnt vmcnt(13)
	v_mov_b32_e32 v4, v39
	v_pk_add_f32 v[2:3], v[2:3], v[54:55]
	v_mov_b32_e32 v7, v5
	v_pk_mul_f32 v[4:5], v[20:21], v[4:5] op_sel_hi:[1,0]
	v_pk_add_f32 v[2:3], v[2:3], v[6:7]
	v_pk_fma_f32 v[6:7], v[20:21], v[38:39], v[4:5] op_sel:[0,0,1] op_sel_hi:[1,1,0] neg_lo:[0,0,1] neg_hi:[0,0,1]
	v_pk_fma_f32 v[4:5], v[20:21], v[38:39], v[4:5] op_sel:[0,0,1] op_sel_hi:[1,0,0]
	s_waitcnt vmcnt(12)
	v_mov_b32_e32 v4, v37
	v_mov_b32_e32 v7, v5
	s_waitcnt lgkmcnt(2)
	v_pk_mul_f32 v[4:5], v[22:23], v[4:5] op_sel_hi:[1,0]
	v_pk_add_f32 v[2:3], v[2:3], v[6:7]
	v_pk_fma_f32 v[6:7], v[22:23], v[36:37], v[4:5] op_sel:[0,0,1] op_sel_hi:[1,1,0] neg_lo:[0,0,1] neg_hi:[0,0,1]
	v_pk_fma_f32 v[4:5], v[22:23], v[36:37], v[4:5] op_sel:[0,0,1] op_sel_hi:[1,0,0]
	s_waitcnt vmcnt(11)
	v_mov_b32_e32 v4, v41
	v_mov_b32_e32 v7, v5
	v_pk_mul_f32 v[4:5], v[24:25], v[4:5] op_sel_hi:[1,0]
	v_pk_add_f32 v[2:3], v[2:3], v[6:7]
	s_waitcnt vmcnt(5)
	v_pk_fma_f32 v[6:7], v[24:25], v[40:41], v[4:5] op_sel:[0,0,1] op_sel_hi:[1,1,0] neg_lo:[0,0,1] neg_hi:[0,0,1]
	v_pk_fma_f32 v[4:5], v[24:25], v[40:41], v[4:5] op_sel:[0,0,1] op_sel_hi:[1,0,0]
	v_mov_b32_e32 v4, v47
	v_mov_b32_e32 v7, v5
	s_waitcnt lgkmcnt(1)
	v_pk_mul_f32 v[4:5], v[26:27], v[4:5] op_sel_hi:[1,0]
	v_pk_add_f32 v[2:3], v[2:3], v[6:7]
	v_pk_fma_f32 v[6:7], v[26:27], v[46:47], v[4:5] op_sel:[0,0,1] op_sel_hi:[1,1,0] neg_lo:[0,0,1] neg_hi:[0,0,1]
	v_pk_fma_f32 v[4:5], v[26:27], v[46:47], v[4:5] op_sel:[0,0,1] op_sel_hi:[1,0,0]
	v_mov_b32_e32 v4, v45
	v_mov_b32_e32 v7, v5
	v_pk_mul_f32 v[4:5], v[28:29], v[4:5] op_sel_hi:[1,0]
	v_pk_add_f32 v[2:3], v[2:3], v[6:7]
	v_pk_fma_f32 v[6:7], v[28:29], v[44:45], v[4:5] op_sel:[0,0,1] op_sel_hi:[1,1,0] neg_lo:[0,0,1] neg_hi:[0,0,1]
	v_pk_fma_f32 v[4:5], v[28:29], v[44:45], v[4:5] op_sel:[0,0,1] op_sel_hi:[1,0,0]
	s_waitcnt vmcnt(2)
	v_mov_b32_e32 v4, v43
	v_mov_b32_e32 v7, v5
	s_waitcnt lgkmcnt(0)
	v_pk_mul_f32 v[4:5], v[30:31], v[4:5] op_sel_hi:[1,0]
	v_pk_add_f32 v[2:3], v[2:3], v[6:7]
	v_pk_fma_f32 v[6:7], v[30:31], v[42:43], v[4:5] op_sel:[0,0,1] op_sel_hi:[1,1,0] neg_lo:[0,0,1] neg_hi:[0,0,1]
	v_pk_fma_f32 v[4:5], v[30:31], v[42:43], v[4:5] op_sel:[0,0,1] op_sel_hi:[1,0,0]
	s_waitcnt vmcnt(1)
	v_mov_b32_e32 v4, v51
	v_mov_b32_e32 v7, v5
	v_pk_mul_f32 v[4:5], v[32:33], v[4:5] op_sel_hi:[1,0]
	v_pk_add_f32 v[2:3], v[2:3], v[6:7]
	s_waitcnt vmcnt(0)
	v_pk_fma_f32 v[6:7], v[32:33], v[50:51], v[4:5] op_sel:[0,0,1] op_sel_hi:[1,1,0] neg_lo:[0,0,1] neg_hi:[0,0,1]
	v_pk_fma_f32 v[4:5], v[32:33], v[50:51], v[4:5] op_sel:[0,0,1] op_sel_hi:[1,0,0]
	v_mov_b32_e32 v7, v5
	v_pk_add_f32 v[2:3], v[2:3], v[6:7]
	v_pk_add_f32 v[2:3], v[48:49], v[2:3] neg_lo:[0,1] neg_hi:[0,1]
	buffer_store_dword v3, off, s[0:3], 0 offset:316
	buffer_store_dword v2, off, s[0:3], 0 offset:312
	s_and_saveexec_b64 s[4:5], vcc
	s_cbranch_execz .LBB55_273
; %bb.272:
	buffer_load_dword v2, off, s[0:3], 0 offset:304
	buffer_load_dword v3, off, s[0:3], 0 offset:308
	v_mov_b32_e32 v1, 0
	buffer_store_dword v1, off, s[0:3], 0 offset:304
	buffer_store_dword v1, off, s[0:3], 0 offset:308
	s_waitcnt vmcnt(2)
	ds_write_b64 v161, v[2:3]
.LBB55_273:
	s_or_b64 exec, exec, s[4:5]
	s_waitcnt lgkmcnt(0)
	; wave barrier
	s_waitcnt lgkmcnt(0)
	buffer_load_dword v44, off, s[0:3], 0 offset:316
	buffer_load_dword v46, off, s[0:3], 0 offset:324
	;; [unrolled: 1-line block ×36, first 2 shown]
	v_mov_b32_e32 v1, 0
	ds_read2_b64 v[2:5], v1 offset0:95 offset1:96
	ds_read2_b64 v[6:9], v1 offset0:97 offset1:98
	;; [unrolled: 1-line block ×6, first 2 shown]
	v_cmp_lt_u32_e32 vcc, 37, v0
	s_waitcnt vmcnt(35) lgkmcnt(5)
	v_mul_f32_e32 v64, v2, v44
	s_waitcnt vmcnt(34)
	v_mul_f32_e32 v65, v4, v46
	v_mul_f32_e32 v44, v3, v44
	s_waitcnt vmcnt(32) lgkmcnt(4)
	v_mul_f32_e32 v67, v8, v49
	v_mul_f32_e32 v49, v9, v49
	;; [unrolled: 1-line block ×5, first 2 shown]
	s_waitcnt vmcnt(31) lgkmcnt(3)
	v_mul_f32_e32 v68, v10, v50
	s_waitcnt vmcnt(26)
	v_fmac_f32_e32 v64, v3, v55
	s_waitcnt vmcnt(25)
	v_fmac_f32_e32 v65, v5, v56
	v_fma_f32 v2, v2, v55, -v44
	s_waitcnt vmcnt(23)
	v_fma_f32 v5, v8, v58, -v49
	v_add_f32_e32 v8, 0, v64
	v_fmac_f32_e32 v66, v7, v57
	v_fma_f32 v3, v4, v56, -v46
	v_add_f32_e32 v2, 0, v2
	v_add_f32_e32 v8, v8, v65
	v_fmac_f32_e32 v67, v9, v58
	v_fma_f32 v4, v6, v57, -v48
	v_add_f32_e32 v2, v2, v3
	v_add_f32_e32 v3, v8, v66
	v_mul_f32_e32 v69, v12, v51
	v_mul_f32_e32 v50, v11, v50
	s_waitcnt vmcnt(22)
	v_fmac_f32_e32 v68, v11, v59
	v_add_f32_e32 v2, v2, v4
	v_add_f32_e32 v3, v3, v67
	s_waitcnt lgkmcnt(2)
	v_mul_f32_e32 v70, v14, v52
	v_mul_f32_e32 v51, v13, v51
	s_waitcnt vmcnt(21)
	v_fmac_f32_e32 v69, v13, v60
	v_fma_f32 v6, v10, v59, -v50
	v_add_f32_e32 v2, v2, v5
	v_add_f32_e32 v3, v3, v68
	v_mul_f32_e32 v52, v15, v52
	s_waitcnt vmcnt(20)
	v_fmac_f32_e32 v70, v15, v61
	v_fma_f32 v7, v12, v60, -v51
	v_add_f32_e32 v2, v2, v6
	v_add_f32_e32 v3, v3, v69
	;; [unrolled: 1-line block ×4, first 2 shown]
	v_fma_f32 v3, v14, v61, -v52
	s_waitcnt vmcnt(17)
	v_mov_b32_e32 v14, v27
	v_mul_f32_e32 v45, v16, v53
	v_add_f32_e32 v10, v2, v3
	v_mul_f32_e32 v2, v17, v53
	s_waitcnt lgkmcnt(1)
	v_pk_mul_f32 v[14:15], v[20:21], v[14:15] op_sel_hi:[1,0]
	v_mul_f32_e32 v47, v18, v54
	v_fmac_f32_e32 v45, v17, v62
	v_fma_f32 v44, v16, v62, -v2
	v_mul_f32_e32 v2, v19, v54
	s_waitcnt vmcnt(15)
	v_pk_fma_f32 v[16:17], v[20:21], v[26:27], v[14:15] op_sel:[0,0,1] op_sel_hi:[1,1,0] neg_lo:[0,0,1] neg_hi:[0,0,1]
	v_pk_fma_f32 v[14:15], v[20:21], v[26:27], v[14:15] op_sel:[0,0,1] op_sel_hi:[1,0,0]
	v_fmac_f32_e32 v47, v19, v63
	v_fma_f32 v46, v18, v63, -v2
	v_pk_add_f32 v[10:11], v[10:11], v[44:45]
	s_waitcnt vmcnt(12)
	v_mov_b32_e32 v14, v29
	v_pk_add_f32 v[10:11], v[10:11], v[46:47]
	v_mov_b32_e32 v17, v15
	s_waitcnt lgkmcnt(0)
	v_pk_mul_f32 v[14:15], v[22:23], v[14:15] op_sel_hi:[1,0]
	v_pk_add_f32 v[10:11], v[10:11], v[16:17]
	v_pk_fma_f32 v[16:17], v[22:23], v[28:29], v[14:15] op_sel:[0,0,1] op_sel_hi:[1,1,0] neg_lo:[0,0,1] neg_hi:[0,0,1]
	v_pk_fma_f32 v[14:15], v[22:23], v[28:29], v[14:15] op_sel:[0,0,1] op_sel_hi:[1,0,0]
	s_waitcnt vmcnt(11)
	v_mov_b32_e32 v14, v33
	ds_read2_b64 v[2:5], v1 offset0:107 offset1:108
	ds_read2_b64 v[6:9], v1 offset0:109 offset1:110
	ds_read_b64 v[12:13], v1 offset:888
	v_mov_b32_e32 v17, v15
	v_pk_mul_f32 v[14:15], v[24:25], v[14:15] op_sel_hi:[1,0]
	v_pk_add_f32 v[10:11], v[10:11], v[16:17]
	s_waitcnt vmcnt(4)
	v_pk_fma_f32 v[16:17], v[24:25], v[32:33], v[14:15] op_sel:[0,0,1] op_sel_hi:[1,1,0] neg_lo:[0,0,1] neg_hi:[0,0,1]
	v_pk_fma_f32 v[14:15], v[24:25], v[32:33], v[14:15] op_sel:[0,0,1] op_sel_hi:[1,0,0]
	v_mov_b32_e32 v14, v39
	v_mov_b32_e32 v17, v15
	s_waitcnt lgkmcnt(2)
	v_pk_mul_f32 v[14:15], v[2:3], v[14:15] op_sel_hi:[1,0]
	v_pk_add_f32 v[10:11], v[10:11], v[16:17]
	v_pk_fma_f32 v[16:17], v[2:3], v[38:39], v[14:15] op_sel:[0,0,1] op_sel_hi:[1,1,0] neg_lo:[0,0,1] neg_hi:[0,0,1]
	v_pk_fma_f32 v[2:3], v[2:3], v[38:39], v[14:15] op_sel:[0,0,1] op_sel_hi:[1,0,0]
	v_mov_b32_e32 v17, v3
	v_pk_add_f32 v[2:3], v[10:11], v[16:17]
	v_mov_b32_e32 v10, v37
	v_pk_mul_f32 v[10:11], v[4:5], v[10:11] op_sel_hi:[1,0]
	v_pk_fma_f32 v[14:15], v[4:5], v[36:37], v[10:11] op_sel:[0,0,1] op_sel_hi:[1,1,0] neg_lo:[0,0,1] neg_hi:[0,0,1]
	v_pk_fma_f32 v[4:5], v[4:5], v[36:37], v[10:11] op_sel:[0,0,1] op_sel_hi:[1,0,0]
	v_mov_b32_e32 v4, v35
	v_mov_b32_e32 v15, v5
	s_waitcnt lgkmcnt(1)
	v_pk_mul_f32 v[4:5], v[6:7], v[4:5] op_sel_hi:[1,0]
	v_pk_fma_f32 v[10:11], v[6:7], v[34:35], v[4:5] op_sel:[0,0,1] op_sel_hi:[1,1,0] neg_lo:[0,0,1] neg_hi:[0,0,1]
	v_pk_fma_f32 v[4:5], v[6:7], v[34:35], v[4:5] op_sel:[0,0,1] op_sel_hi:[1,0,0]
	s_waitcnt vmcnt(1)
	v_mov_b32_e32 v4, v43
	v_mov_b32_e32 v11, v5
	v_pk_mul_f32 v[4:5], v[8:9], v[4:5] op_sel_hi:[1,0]
	s_waitcnt vmcnt(0)
	v_pk_fma_f32 v[6:7], v[8:9], v[42:43], v[4:5] op_sel:[0,0,1] op_sel_hi:[1,1,0] neg_lo:[0,0,1] neg_hi:[0,0,1]
	v_pk_fma_f32 v[4:5], v[8:9], v[42:43], v[4:5] op_sel:[0,0,1] op_sel_hi:[1,0,0]
	v_pk_add_f32 v[2:3], v[2:3], v[14:15]
	v_mov_b32_e32 v4, v41
	v_pk_add_f32 v[2:3], v[2:3], v[10:11]
	v_mov_b32_e32 v7, v5
	s_waitcnt lgkmcnt(0)
	v_pk_mul_f32 v[4:5], v[12:13], v[4:5] op_sel_hi:[1,0]
	v_pk_add_f32 v[2:3], v[2:3], v[6:7]
	v_pk_fma_f32 v[6:7], v[12:13], v[40:41], v[4:5] op_sel:[0,0,1] op_sel_hi:[1,1,0] neg_lo:[0,0,1] neg_hi:[0,0,1]
	v_pk_fma_f32 v[4:5], v[12:13], v[40:41], v[4:5] op_sel:[0,0,1] op_sel_hi:[1,0,0]
	v_mov_b32_e32 v7, v5
	v_pk_add_f32 v[2:3], v[2:3], v[6:7]
	v_pk_add_f32 v[2:3], v[30:31], v[2:3] neg_lo:[0,1] neg_hi:[0,1]
	buffer_store_dword v3, off, s[0:3], 0 offset:308
	buffer_store_dword v2, off, s[0:3], 0 offset:304
	s_and_saveexec_b64 s[4:5], vcc
	s_cbranch_execz .LBB55_275
; %bb.274:
	buffer_load_dword v2, off, s[0:3], 0 offset:296
	buffer_load_dword v3, off, s[0:3], 0 offset:300
	s_waitcnt vmcnt(0)
	ds_write_b64 v161, v[2:3]
	buffer_store_dword v1, off, s[0:3], 0 offset:296
	buffer_store_dword v1, off, s[0:3], 0 offset:300
.LBB55_275:
	s_or_b64 exec, exec, s[4:5]
	s_waitcnt lgkmcnt(0)
	; wave barrier
	s_waitcnt lgkmcnt(0)
	buffer_load_dword v44, off, s[0:3], 0 offset:308
	buffer_load_dword v46, off, s[0:3], 0 offset:316
	;; [unrolled: 1-line block ×22, first 2 shown]
	ds_read_b128 v[2:5], v1 offset:752
	ds_read_b128 v[6:9], v1 offset:768
	buffer_load_dword v29, off, s[0:3], 0 offset:388
	buffer_load_dword v28, off, s[0:3], 0 offset:384
	;; [unrolled: 1-line block ×10, first 2 shown]
	ds_read_b128 v[10:13], v1 offset:784
	ds_read_b128 v[14:17], v1 offset:800
	;; [unrolled: 1-line block ×4, first 2 shown]
	buffer_load_dword v39, off, s[0:3], 0 offset:444
	buffer_load_dword v38, off, s[0:3], 0 offset:440
	;; [unrolled: 1-line block ×6, first 2 shown]
	v_cmp_lt_u32_e32 vcc, 36, v0
	s_waitcnt vmcnt(37) lgkmcnt(5)
	v_mul_f32_e32 v66, v2, v44
	s_waitcnt vmcnt(36)
	v_mul_f32_e32 v67, v4, v46
	s_waitcnt vmcnt(35) lgkmcnt(4)
	v_mul_f32_e32 v68, v6, v48
	v_mul_f32_e32 v44, v3, v44
	;; [unrolled: 1-line block ×4, first 2 shown]
	s_waitcnt vmcnt(34)
	v_mul_f32_e32 v69, v8, v49
	s_waitcnt vmcnt(33) lgkmcnt(3)
	v_mul_f32_e32 v70, v10, v50
	s_waitcnt vmcnt(32)
	v_mul_f32_e32 v71, v12, v51
	s_waitcnt vmcnt(31) lgkmcnt(2)
	v_mul_f32_e32 v72, v14, v52
	s_waitcnt vmcnt(27)
	v_fmac_f32_e32 v66, v3, v56
	s_waitcnt vmcnt(26)
	v_fmac_f32_e32 v67, v5, v57
	;; [unrolled: 2-line block ×3, first 2 shown]
	v_fma_f32 v2, v2, v56, -v44
	v_add_f32_e32 v7, 0, v66
	v_fma_f32 v3, v4, v57, -v46
	v_add_f32_e32 v2, 0, v2
	v_add_f32_e32 v7, v7, v67
	s_waitcnt vmcnt(24)
	v_fmac_f32_e32 v69, v9, v59
	v_add_f32_e32 v2, v2, v3
	v_add_f32_e32 v3, v7, v68
	s_waitcnt vmcnt(23)
	v_fmac_f32_e32 v70, v11, v60
	v_add_f32_e32 v3, v3, v69
	v_mul_f32_e32 v49, v9, v49
	s_waitcnt vmcnt(22)
	v_fmac_f32_e32 v71, v13, v61
	v_fma_f32 v4, v6, v58, -v48
	v_add_f32_e32 v3, v3, v70
	v_mul_f32_e32 v73, v16, v53
	v_mul_f32_e32 v50, v11, v50
	s_waitcnt vmcnt(21)
	v_fmac_f32_e32 v72, v15, v62
	v_fma_f32 v5, v8, v59, -v49
	v_add_f32_e32 v2, v2, v4
	v_add_f32_e32 v3, v3, v71
	v_mul_f32_e32 v51, v13, v51
	s_waitcnt vmcnt(20)
	v_fmac_f32_e32 v73, v17, v63
	v_fma_f32 v6, v10, v60, -v50
	v_add_f32_e32 v2, v2, v5
	v_add_f32_e32 v3, v3, v72
	;; [unrolled: 1-line block ×4, first 2 shown]
	v_fma_f32 v3, v12, v61, -v51
	v_add_f32_e32 v2, v2, v3
	v_mul_f32_e32 v3, v15, v52
	v_fma_f32 v3, v14, v62, -v3
	v_add_f32_e32 v2, v2, v3
	v_mul_f32_e32 v3, v17, v53
	v_fma_f32 v3, v16, v63, -v3
	s_waitcnt vmcnt(15)
	v_mov_b32_e32 v16, v29
	s_waitcnt lgkmcnt(1)
	v_mul_f32_e32 v45, v18, v54
	v_add_f32_e32 v48, v2, v3
	v_mul_f32_e32 v2, v19, v54
	s_waitcnt lgkmcnt(0)
	v_pk_mul_f32 v[16:17], v[22:23], v[16:17] op_sel_hi:[1,0]
	v_mul_f32_e32 v47, v20, v55
	v_fmac_f32_e32 v45, v19, v64
	v_fma_f32 v44, v18, v64, -v2
	v_mul_f32_e32 v2, v21, v55
	s_waitcnt vmcnt(14)
	v_pk_fma_f32 v[18:19], v[22:23], v[28:29], v[16:17] op_sel:[0,0,1] op_sel_hi:[1,1,0] neg_lo:[0,0,1] neg_hi:[0,0,1]
	v_pk_fma_f32 v[16:17], v[22:23], v[28:29], v[16:17] op_sel:[0,0,1] op_sel_hi:[1,0,0]
	v_fmac_f32_e32 v47, v21, v65
	v_fma_f32 v46, v20, v65, -v2
	v_pk_add_f32 v[14:15], v[48:49], v[44:45]
	s_waitcnt vmcnt(13)
	v_mov_b32_e32 v16, v31
	ds_read_b128 v[2:5], v1 offset:848
	ds_read_b128 v[6:9], v1 offset:864
	;; [unrolled: 1-line block ×3, first 2 shown]
	v_pk_add_f32 v[14:15], v[14:15], v[46:47]
	v_mov_b32_e32 v19, v17
	v_pk_mul_f32 v[16:17], v[24:25], v[16:17] op_sel_hi:[1,0]
	v_pk_add_f32 v[14:15], v[14:15], v[18:19]
	s_waitcnt vmcnt(6)
	v_pk_fma_f32 v[18:19], v[24:25], v[30:31], v[16:17] op_sel:[0,0,1] op_sel_hi:[1,1,0] neg_lo:[0,0,1] neg_hi:[0,0,1]
	v_pk_fma_f32 v[16:17], v[24:25], v[30:31], v[16:17] op_sel:[0,0,1] op_sel_hi:[1,0,0]
	v_mov_b32_e32 v16, v37
	v_mov_b32_e32 v19, v17
	s_waitcnt lgkmcnt(2)
	v_pk_mul_f32 v[16:17], v[2:3], v[16:17] op_sel_hi:[1,0]
	v_pk_add_f32 v[14:15], v[14:15], v[18:19]
	v_pk_fma_f32 v[18:19], v[2:3], v[36:37], v[16:17] op_sel:[0,0,1] op_sel_hi:[1,1,0] neg_lo:[0,0,1] neg_hi:[0,0,1]
	v_pk_fma_f32 v[2:3], v[2:3], v[36:37], v[16:17] op_sel:[0,0,1] op_sel_hi:[1,0,0]
	v_mov_b32_e32 v19, v3
	v_pk_add_f32 v[2:3], v[14:15], v[18:19]
	v_mov_b32_e32 v14, v35
	v_pk_mul_f32 v[14:15], v[4:5], v[14:15] op_sel_hi:[1,0]
	v_pk_fma_f32 v[16:17], v[4:5], v[34:35], v[14:15] op_sel:[0,0,1] op_sel_hi:[1,1,0] neg_lo:[0,0,1] neg_hi:[0,0,1]
	v_pk_fma_f32 v[4:5], v[4:5], v[34:35], v[14:15] op_sel:[0,0,1] op_sel_hi:[1,0,0]
	v_mov_b32_e32 v4, v33
	v_mov_b32_e32 v17, v5
	s_waitcnt lgkmcnt(1)
	v_pk_mul_f32 v[4:5], v[6:7], v[4:5] op_sel_hi:[1,0]
	v_pk_fma_f32 v[14:15], v[6:7], v[32:33], v[4:5] op_sel:[0,0,1] op_sel_hi:[1,1,0] neg_lo:[0,0,1] neg_hi:[0,0,1]
	v_pk_fma_f32 v[4:5], v[6:7], v[32:33], v[4:5] op_sel:[0,0,1] op_sel_hi:[1,0,0]
	s_waitcnt vmcnt(1)
	v_mov_b32_e32 v4, v43
	v_mov_b32_e32 v15, v5
	v_pk_mul_f32 v[4:5], v[8:9], v[4:5] op_sel_hi:[1,0]
	s_waitcnt vmcnt(0)
	v_pk_fma_f32 v[6:7], v[8:9], v[42:43], v[4:5] op_sel:[0,0,1] op_sel_hi:[1,1,0] neg_lo:[0,0,1] neg_hi:[0,0,1]
	v_pk_fma_f32 v[4:5], v[8:9], v[42:43], v[4:5] op_sel:[0,0,1] op_sel_hi:[1,0,0]
	v_pk_add_f32 v[2:3], v[2:3], v[16:17]
	v_mov_b32_e32 v4, v41
	v_pk_add_f32 v[2:3], v[2:3], v[14:15]
	v_mov_b32_e32 v7, v5
	s_waitcnt lgkmcnt(0)
	v_pk_mul_f32 v[4:5], v[10:11], v[4:5] op_sel_hi:[1,0]
	v_pk_add_f32 v[2:3], v[2:3], v[6:7]
	v_pk_fma_f32 v[6:7], v[10:11], v[40:41], v[4:5] op_sel:[0,0,1] op_sel_hi:[1,1,0] neg_lo:[0,0,1] neg_hi:[0,0,1]
	v_pk_fma_f32 v[4:5], v[10:11], v[40:41], v[4:5] op_sel:[0,0,1] op_sel_hi:[1,0,0]
	v_mov_b32_e32 v4, v39
	v_mov_b32_e32 v7, v5
	v_pk_mul_f32 v[4:5], v[12:13], v[4:5] op_sel_hi:[1,0]
	v_pk_add_f32 v[2:3], v[2:3], v[6:7]
	v_pk_fma_f32 v[6:7], v[12:13], v[38:39], v[4:5] op_sel:[0,0,1] op_sel_hi:[1,1,0] neg_lo:[0,0,1] neg_hi:[0,0,1]
	v_pk_fma_f32 v[4:5], v[12:13], v[38:39], v[4:5] op_sel:[0,0,1] op_sel_hi:[1,0,0]
	v_mov_b32_e32 v7, v5
	v_pk_add_f32 v[2:3], v[2:3], v[6:7]
	v_pk_add_f32 v[2:3], v[26:27], v[2:3] neg_lo:[0,1] neg_hi:[0,1]
	buffer_store_dword v3, off, s[0:3], 0 offset:300
	buffer_store_dword v2, off, s[0:3], 0 offset:296
	s_and_saveexec_b64 s[4:5], vcc
	s_cbranch_execz .LBB55_277
; %bb.276:
	buffer_load_dword v2, off, s[0:3], 0 offset:288
	buffer_load_dword v3, off, s[0:3], 0 offset:292
	v_mov_b32_e32 v1, 0
	buffer_store_dword v1, off, s[0:3], 0 offset:288
	buffer_store_dword v1, off, s[0:3], 0 offset:292
	s_waitcnt vmcnt(2)
	ds_write_b64 v161, v[2:3]
.LBB55_277:
	s_or_b64 exec, exec, s[4:5]
	s_waitcnt lgkmcnt(0)
	; wave barrier
	s_waitcnt lgkmcnt(0)
	buffer_load_dword v44, off, s[0:3], 0 offset:300
	buffer_load_dword v46, off, s[0:3], 0 offset:308
	;; [unrolled: 1-line block ×40, first 2 shown]
	v_mov_b32_e32 v1, 0
	ds_read2_b64 v[2:5], v1 offset0:93 offset1:94
	ds_read2_b64 v[6:9], v1 offset0:95 offset1:96
	;; [unrolled: 1-line block ×6, first 2 shown]
	v_cmp_lt_u32_e32 vcc, 35, v0
	s_waitcnt vmcnt(39) lgkmcnt(5)
	v_mul_f32_e32 v68, v2, v44
	s_waitcnt vmcnt(38)
	v_mul_f32_e32 v69, v4, v46
	s_waitcnt vmcnt(37) lgkmcnt(4)
	v_mul_f32_e32 v70, v6, v48
	v_mul_f32_e32 v44, v3, v44
	;; [unrolled: 1-line block ×4, first 2 shown]
	s_waitcnt vmcnt(36)
	v_mul_f32_e32 v71, v8, v49
	s_waitcnt vmcnt(35) lgkmcnt(3)
	v_mul_f32_e32 v72, v10, v50
	s_waitcnt vmcnt(34)
	v_mul_f32_e32 v73, v12, v51
	s_waitcnt vmcnt(33) lgkmcnt(2)
	v_mul_f32_e32 v74, v14, v52
	s_waitcnt vmcnt(32)
	v_mul_f32_e32 v75, v16, v53
	s_waitcnt vmcnt(28)
	v_fmac_f32_e32 v68, v3, v57
	s_waitcnt vmcnt(27)
	v_fmac_f32_e32 v69, v5, v58
	v_fma_f32 v2, v2, v57, -v44
	v_fma_f32 v3, v4, v58, -v46
	s_waitcnt vmcnt(26)
	v_fma_f32 v4, v6, v59, -v48
	v_add_f32_e32 v6, 0, v68
	v_fmac_f32_e32 v70, v7, v59
	v_add_f32_e32 v2, 0, v2
	v_add_f32_e32 v6, v6, v69
	s_waitcnt vmcnt(25)
	v_fmac_f32_e32 v71, v9, v60
	v_add_f32_e32 v2, v2, v3
	v_add_f32_e32 v3, v6, v70
	s_waitcnt vmcnt(24)
	v_fmac_f32_e32 v72, v11, v61
	v_add_f32_e32 v3, v3, v71
	s_waitcnt vmcnt(23)
	v_fmac_f32_e32 v73, v13, v62
	;; [unrolled: 3-line block ×3, first 2 shown]
	v_add_f32_e32 v3, v3, v73
	s_waitcnt lgkmcnt(1)
	v_mul_f32_e32 v76, v18, v54
	s_waitcnt vmcnt(21)
	v_fmac_f32_e32 v75, v17, v64
	v_add_f32_e32 v3, v3, v74
	v_mul_f32_e32 v49, v9, v49
	s_waitcnt vmcnt(20)
	v_fmac_f32_e32 v76, v19, v65
	v_add_f32_e32 v3, v3, v75
	v_fma_f32 v5, v8, v60, -v49
	v_add_f32_e32 v2, v2, v4
	v_add_f32_e32 v49, v3, v76
	v_mul_f32_e32 v3, v11, v50
	v_add_f32_e32 v2, v2, v5
	v_fma_f32 v3, v10, v61, -v3
	v_add_f32_e32 v2, v2, v3
	v_mul_f32_e32 v3, v13, v51
	v_fma_f32 v3, v12, v62, -v3
	v_add_f32_e32 v2, v2, v3
	v_mul_f32_e32 v3, v15, v52
	;; [unrolled: 3-line block ×5, first 2 shown]
	s_waitcnt vmcnt(9)
	v_mov_b32_e32 v18, v35
	v_mul_f32_e32 v45, v20, v55
	v_fma_f32 v44, v20, v66, -v2
	s_waitcnt lgkmcnt(0)
	v_mul_f32_e32 v2, v23, v56
	v_pk_mul_f32 v[18:19], v[24:25], v[18:19] op_sel_hi:[1,0]
	v_mul_f32_e32 v47, v22, v56
	v_fmac_f32_e32 v45, v21, v66
	v_fma_f32 v46, v22, v67, -v2
	ds_read2_b64 v[2:5], v1 offset0:105 offset1:106
	ds_read2_b64 v[6:9], v1 offset0:107 offset1:108
	;; [unrolled: 1-line block ×3, first 2 shown]
	ds_read_b64 v[14:15], v1 offset:888
	s_waitcnt vmcnt(8)
	v_pk_fma_f32 v[20:21], v[24:25], v[34:35], v[18:19] op_sel:[0,0,1] op_sel_hi:[1,1,0] neg_lo:[0,0,1] neg_hi:[0,0,1]
	v_pk_fma_f32 v[18:19], v[24:25], v[34:35], v[18:19] op_sel:[0,0,1] op_sel_hi:[1,0,0]
	v_fmac_f32_e32 v47, v23, v67
	v_pk_add_f32 v[16:17], v[48:49], v[44:45]
	v_mov_b32_e32 v18, v33
	v_pk_add_f32 v[16:17], v[16:17], v[46:47]
	v_mov_b32_e32 v21, v19
	s_waitcnt lgkmcnt(3)
	v_pk_mul_f32 v[18:19], v[2:3], v[18:19] op_sel_hi:[1,0]
	v_pk_add_f32 v[16:17], v[16:17], v[20:21]
	v_pk_fma_f32 v[20:21], v[2:3], v[32:33], v[18:19] op_sel:[0,0,1] op_sel_hi:[1,1,0] neg_lo:[0,0,1] neg_hi:[0,0,1]
	v_pk_fma_f32 v[2:3], v[2:3], v[32:33], v[18:19] op_sel:[0,0,1] op_sel_hi:[1,0,0]
	v_mov_b32_e32 v21, v3
	v_pk_add_f32 v[2:3], v[16:17], v[20:21]
	v_mov_b32_e32 v16, v31
	v_pk_mul_f32 v[16:17], v[4:5], v[16:17] op_sel_hi:[1,0]
	v_pk_fma_f32 v[18:19], v[4:5], v[30:31], v[16:17] op_sel:[0,0,1] op_sel_hi:[1,1,0] neg_lo:[0,0,1] neg_hi:[0,0,1]
	v_pk_fma_f32 v[4:5], v[4:5], v[30:31], v[16:17] op_sel:[0,0,1] op_sel_hi:[1,0,0]
	v_mov_b32_e32 v4, v29
	v_mov_b32_e32 v19, v5
	s_waitcnt lgkmcnt(2)
	v_pk_mul_f32 v[4:5], v[6:7], v[4:5] op_sel_hi:[1,0]
	v_pk_fma_f32 v[16:17], v[6:7], v[28:29], v[4:5] op_sel:[0,0,1] op_sel_hi:[1,1,0] neg_lo:[0,0,1] neg_hi:[0,0,1]
	v_pk_fma_f32 v[4:5], v[6:7], v[28:29], v[4:5] op_sel:[0,0,1] op_sel_hi:[1,0,0]
	s_waitcnt vmcnt(1)
	v_mov_b32_e32 v4, v43
	v_mov_b32_e32 v17, v5
	v_pk_mul_f32 v[4:5], v[8:9], v[4:5] op_sel_hi:[1,0]
	s_waitcnt vmcnt(0)
	v_pk_fma_f32 v[6:7], v[8:9], v[42:43], v[4:5] op_sel:[0,0,1] op_sel_hi:[1,1,0] neg_lo:[0,0,1] neg_hi:[0,0,1]
	v_pk_fma_f32 v[4:5], v[8:9], v[42:43], v[4:5] op_sel:[0,0,1] op_sel_hi:[1,0,0]
	v_pk_add_f32 v[2:3], v[2:3], v[18:19]
	v_mov_b32_e32 v4, v41
	v_pk_add_f32 v[2:3], v[2:3], v[16:17]
	v_mov_b32_e32 v7, v5
	s_waitcnt lgkmcnt(1)
	v_pk_mul_f32 v[4:5], v[10:11], v[4:5] op_sel_hi:[1,0]
	v_pk_add_f32 v[2:3], v[2:3], v[6:7]
	v_pk_fma_f32 v[6:7], v[10:11], v[40:41], v[4:5] op_sel:[0,0,1] op_sel_hi:[1,1,0] neg_lo:[0,0,1] neg_hi:[0,0,1]
	v_pk_fma_f32 v[4:5], v[10:11], v[40:41], v[4:5] op_sel:[0,0,1] op_sel_hi:[1,0,0]
	v_mov_b32_e32 v4, v39
	v_mov_b32_e32 v7, v5
	v_pk_mul_f32 v[4:5], v[12:13], v[4:5] op_sel_hi:[1,0]
	v_pk_add_f32 v[2:3], v[2:3], v[6:7]
	v_pk_fma_f32 v[6:7], v[12:13], v[38:39], v[4:5] op_sel:[0,0,1] op_sel_hi:[1,1,0] neg_lo:[0,0,1] neg_hi:[0,0,1]
	v_pk_fma_f32 v[4:5], v[12:13], v[38:39], v[4:5] op_sel:[0,0,1] op_sel_hi:[1,0,0]
	v_mov_b32_e32 v4, v37
	v_mov_b32_e32 v7, v5
	s_waitcnt lgkmcnt(0)
	v_pk_mul_f32 v[4:5], v[14:15], v[4:5] op_sel_hi:[1,0]
	v_pk_add_f32 v[2:3], v[2:3], v[6:7]
	v_pk_fma_f32 v[6:7], v[14:15], v[36:37], v[4:5] op_sel:[0,0,1] op_sel_hi:[1,1,0] neg_lo:[0,0,1] neg_hi:[0,0,1]
	v_pk_fma_f32 v[4:5], v[14:15], v[36:37], v[4:5] op_sel:[0,0,1] op_sel_hi:[1,0,0]
	v_mov_b32_e32 v7, v5
	v_pk_add_f32 v[2:3], v[2:3], v[6:7]
	v_pk_add_f32 v[2:3], v[26:27], v[2:3] neg_lo:[0,1] neg_hi:[0,1]
	buffer_store_dword v3, off, s[0:3], 0 offset:292
	buffer_store_dword v2, off, s[0:3], 0 offset:288
	s_and_saveexec_b64 s[4:5], vcc
	s_cbranch_execz .LBB55_279
; %bb.278:
	buffer_load_dword v2, off, s[0:3], 0 offset:280
	buffer_load_dword v3, off, s[0:3], 0 offset:284
	s_waitcnt vmcnt(0)
	ds_write_b64 v161, v[2:3]
	buffer_store_dword v1, off, s[0:3], 0 offset:280
	buffer_store_dword v1, off, s[0:3], 0 offset:284
.LBB55_279:
	s_or_b64 exec, exec, s[4:5]
	s_waitcnt lgkmcnt(0)
	; wave barrier
	s_waitcnt lgkmcnt(0)
	buffer_load_dword v44, off, s[0:3], 0 offset:292
	buffer_load_dword v46, off, s[0:3], 0 offset:300
	;; [unrolled: 1-line block ×26, first 2 shown]
	ds_read_b128 v[2:5], v1 offset:736
	ds_read_b128 v[6:9], v1 offset:752
	;; [unrolled: 1-line block ×6, first 2 shown]
	buffer_load_dword v29, off, s[0:3], 0 offset:404
	buffer_load_dword v28, off, s[0:3], 0 offset:400
	;; [unrolled: 1-line block ×16, first 2 shown]
	v_cmp_lt_u32_e32 vcc, 34, v0
	s_waitcnt vmcnt(41) lgkmcnt(5)
	v_mul_f32_e32 v70, v2, v44
	s_waitcnt vmcnt(40)
	v_mul_f32_e32 v71, v4, v46
	v_mul_f32_e32 v44, v3, v44
	s_waitcnt vmcnt(39) lgkmcnt(4)
	v_mul_f32_e32 v72, v6, v48
	v_mul_f32_e32 v46, v5, v46
	s_waitcnt vmcnt(38)
	v_mul_f32_e32 v73, v8, v50
	s_waitcnt vmcnt(37) lgkmcnt(3)
	v_mul_f32_e32 v74, v10, v51
	s_waitcnt vmcnt(36)
	v_mul_f32_e32 v75, v12, v52
	s_waitcnt vmcnt(35) lgkmcnt(2)
	;; [unrolled: 4-line block ×3, first 2 shown]
	v_mul_f32_e32 v78, v18, v55
	s_waitcnt vmcnt(32)
	v_mul_f32_e32 v79, v20, v56
	s_waitcnt vmcnt(29)
	v_fmac_f32_e32 v70, v3, v49
	s_waitcnt vmcnt(28)
	v_fmac_f32_e32 v71, v5, v59
	v_fma_f32 v2, v2, v49, -v44
	v_add_f32_e32 v5, 0, v70
	s_waitcnt vmcnt(27)
	v_fmac_f32_e32 v72, v7, v60
	v_fma_f32 v3, v4, v59, -v46
	v_add_f32_e32 v2, 0, v2
	v_add_f32_e32 v5, v5, v71
	s_waitcnt vmcnt(26)
	v_fmac_f32_e32 v73, v9, v61
	v_add_f32_e32 v2, v2, v3
	v_add_f32_e32 v3, v5, v72
	s_waitcnt vmcnt(25)
	v_fmac_f32_e32 v74, v11, v62
	v_add_f32_e32 v3, v3, v73
	s_waitcnt vmcnt(24)
	v_fmac_f32_e32 v75, v13, v63
	;; [unrolled: 3-line block ×5, first 2 shown]
	v_add_f32_e32 v3, v3, v77
	v_mul_f32_e32 v48, v7, v48
	s_waitcnt vmcnt(20)
	v_fmac_f32_e32 v79, v21, v67
	v_add_f32_e32 v3, v3, v78
	v_fma_f32 v4, v6, v60, -v48
	v_add_f32_e32 v49, v3, v79
	v_mul_f32_e32 v3, v9, v50
	v_add_f32_e32 v2, v2, v4
	v_fma_f32 v3, v8, v61, -v3
	v_add_f32_e32 v2, v2, v3
	v_mul_f32_e32 v3, v11, v51
	v_fma_f32 v3, v10, v62, -v3
	v_add_f32_e32 v2, v2, v3
	v_mul_f32_e32 v3, v13, v52
	;; [unrolled: 3-line block ×6, first 2 shown]
	v_fma_f32 v3, v20, v67, -v3
	v_add_f32_e32 v48, v2, v3
	s_waitcnt lgkmcnt(0)
	v_mul_f32_e32 v2, v23, v57
	s_waitcnt vmcnt(19)
	v_fma_f32 v44, v22, v68, -v2
	v_mul_f32_e32 v2, v25, v58
	s_waitcnt vmcnt(18)
	v_fma_f32 v46, v24, v69, -v2
	ds_read_b128 v[2:5], v1 offset:832
	ds_read_b128 v[6:9], v1 offset:848
	;; [unrolled: 1-line block ×4, first 2 shown]
	v_mul_f32_e32 v45, v22, v57
	s_waitcnt vmcnt(11)
	v_mov_b32_e32 v20, v33
	v_mul_f32_e32 v47, v24, v58
	v_fmac_f32_e32 v45, v23, v68
	s_waitcnt lgkmcnt(3)
	v_pk_mul_f32 v[20:21], v[2:3], v[20:21] op_sel_hi:[1,0]
	v_fmac_f32_e32 v47, v25, v69
	v_pk_add_f32 v[18:19], v[48:49], v[44:45]
	s_waitcnt vmcnt(10)
	v_pk_fma_f32 v[22:23], v[2:3], v[32:33], v[20:21] op_sel:[0,0,1] op_sel_hi:[1,1,0] neg_lo:[0,0,1] neg_hi:[0,0,1]
	v_pk_fma_f32 v[2:3], v[2:3], v[32:33], v[20:21] op_sel:[0,0,1] op_sel_hi:[1,0,0]
	v_pk_add_f32 v[18:19], v[18:19], v[46:47]
	v_mov_b32_e32 v23, v3
	v_pk_add_f32 v[2:3], v[18:19], v[22:23]
	v_mov_b32_e32 v18, v31
	v_pk_mul_f32 v[18:19], v[4:5], v[18:19] op_sel_hi:[1,0]
	v_pk_fma_f32 v[20:21], v[4:5], v[30:31], v[18:19] op_sel:[0,0,1] op_sel_hi:[1,1,0] neg_lo:[0,0,1] neg_hi:[0,0,1]
	v_pk_fma_f32 v[4:5], v[4:5], v[30:31], v[18:19] op_sel:[0,0,1] op_sel_hi:[1,0,0]
	v_mov_b32_e32 v4, v29
	v_mov_b32_e32 v21, v5
	s_waitcnt lgkmcnt(2)
	v_pk_mul_f32 v[4:5], v[6:7], v[4:5] op_sel_hi:[1,0]
	v_pk_fma_f32 v[18:19], v[6:7], v[28:29], v[4:5] op_sel:[0,0,1] op_sel_hi:[1,1,0] neg_lo:[0,0,1] neg_hi:[0,0,1]
	v_pk_fma_f32 v[4:5], v[6:7], v[28:29], v[4:5] op_sel:[0,0,1] op_sel_hi:[1,0,0]
	s_waitcnt vmcnt(3)
	v_mov_b32_e32 v4, v41
	v_mov_b32_e32 v19, v5
	v_pk_mul_f32 v[4:5], v[8:9], v[4:5] op_sel_hi:[1,0]
	s_waitcnt vmcnt(2)
	v_pk_fma_f32 v[6:7], v[8:9], v[40:41], v[4:5] op_sel:[0,0,1] op_sel_hi:[1,1,0] neg_lo:[0,0,1] neg_hi:[0,0,1]
	v_pk_fma_f32 v[4:5], v[8:9], v[40:41], v[4:5] op_sel:[0,0,1] op_sel_hi:[1,0,0]
	v_pk_add_f32 v[2:3], v[2:3], v[20:21]
	v_mov_b32_e32 v4, v39
	v_pk_add_f32 v[2:3], v[2:3], v[18:19]
	v_mov_b32_e32 v7, v5
	s_waitcnt lgkmcnt(1)
	v_pk_mul_f32 v[4:5], v[10:11], v[4:5] op_sel_hi:[1,0]
	v_pk_add_f32 v[2:3], v[2:3], v[6:7]
	v_pk_fma_f32 v[6:7], v[10:11], v[38:39], v[4:5] op_sel:[0,0,1] op_sel_hi:[1,1,0] neg_lo:[0,0,1] neg_hi:[0,0,1]
	v_pk_fma_f32 v[4:5], v[10:11], v[38:39], v[4:5] op_sel:[0,0,1] op_sel_hi:[1,0,0]
	v_mov_b32_e32 v4, v37
	v_mov_b32_e32 v7, v5
	v_pk_mul_f32 v[4:5], v[12:13], v[4:5] op_sel_hi:[1,0]
	v_pk_add_f32 v[2:3], v[2:3], v[6:7]
	v_pk_fma_f32 v[6:7], v[12:13], v[36:37], v[4:5] op_sel:[0,0,1] op_sel_hi:[1,1,0] neg_lo:[0,0,1] neg_hi:[0,0,1]
	v_pk_fma_f32 v[4:5], v[12:13], v[36:37], v[4:5] op_sel:[0,0,1] op_sel_hi:[1,0,0]
	v_mov_b32_e32 v4, v35
	v_mov_b32_e32 v7, v5
	s_waitcnt lgkmcnt(0)
	v_pk_mul_f32 v[4:5], v[14:15], v[4:5] op_sel_hi:[1,0]
	v_pk_add_f32 v[2:3], v[2:3], v[6:7]
	v_pk_fma_f32 v[6:7], v[14:15], v[34:35], v[4:5] op_sel:[0,0,1] op_sel_hi:[1,1,0] neg_lo:[0,0,1] neg_hi:[0,0,1]
	v_pk_fma_f32 v[4:5], v[14:15], v[34:35], v[4:5] op_sel:[0,0,1] op_sel_hi:[1,0,0]
	s_waitcnt vmcnt(1)
	v_mov_b32_e32 v4, v43
	v_mov_b32_e32 v7, v5
	v_pk_mul_f32 v[4:5], v[16:17], v[4:5] op_sel_hi:[1,0]
	v_pk_add_f32 v[2:3], v[2:3], v[6:7]
	s_waitcnt vmcnt(0)
	v_pk_fma_f32 v[6:7], v[16:17], v[42:43], v[4:5] op_sel:[0,0,1] op_sel_hi:[1,1,0] neg_lo:[0,0,1] neg_hi:[0,0,1]
	v_pk_fma_f32 v[4:5], v[16:17], v[42:43], v[4:5] op_sel:[0,0,1] op_sel_hi:[1,0,0]
	v_mov_b32_e32 v7, v5
	v_pk_add_f32 v[2:3], v[2:3], v[6:7]
	v_pk_add_f32 v[2:3], v[26:27], v[2:3] neg_lo:[0,1] neg_hi:[0,1]
	buffer_store_dword v3, off, s[0:3], 0 offset:284
	buffer_store_dword v2, off, s[0:3], 0 offset:280
	s_and_saveexec_b64 s[4:5], vcc
	s_cbranch_execz .LBB55_281
; %bb.280:
	buffer_load_dword v2, off, s[0:3], 0 offset:272
	buffer_load_dword v3, off, s[0:3], 0 offset:276
	v_mov_b32_e32 v1, 0
	buffer_store_dword v1, off, s[0:3], 0 offset:272
	buffer_store_dword v1, off, s[0:3], 0 offset:276
	s_waitcnt vmcnt(2)
	ds_write_b64 v161, v[2:3]
.LBB55_281:
	s_or_b64 exec, exec, s[4:5]
	s_waitcnt lgkmcnt(0)
	; wave barrier
	s_waitcnt lgkmcnt(0)
	buffer_load_dword v52, off, s[0:3], 0 offset:284
	buffer_load_dword v54, off, s[0:3], 0 offset:292
	;; [unrolled: 1-line block ×44, first 2 shown]
	v_mov_b32_e32 v1, 0
	ds_read2_b64 v[2:5], v1 offset0:91 offset1:92
	ds_read2_b64 v[6:9], v1 offset0:93 offset1:94
	;; [unrolled: 1-line block ×8, first 2 shown]
	v_cmp_lt_u32_e32 vcc, 33, v0
	s_waitcnt vmcnt(43) lgkmcnt(7)
	v_mul_f32_e32 v57, v2, v52
	s_waitcnt vmcnt(42)
	v_mul_f32_e32 v81, v4, v54
	s_waitcnt vmcnt(41) lgkmcnt(6)
	v_mul_f32_e32 v82, v6, v56
	v_mul_f32_e32 v52, v3, v52
	s_waitcnt vmcnt(40)
	v_mul_f32_e32 v83, v8, v58
	s_waitcnt vmcnt(39) lgkmcnt(5)
	v_mul_f32_e32 v84, v10, v59
	s_waitcnt vmcnt(38)
	v_mul_f32_e32 v85, v12, v60
	s_waitcnt vmcnt(37) lgkmcnt(4)
	;; [unrolled: 4-line block ×4, first 2 shown]
	v_mul_f32_e32 v90, v22, v65
	s_waitcnt vmcnt(32)
	v_mul_f32_e32 v53, v24, v66
	s_waitcnt vmcnt(30)
	v_fmac_f32_e32 v57, v3, v68
	s_waitcnt vmcnt(29)
	v_fmac_f32_e32 v81, v5, v69
	v_add_f32_e32 v3, 0, v57
	s_waitcnt vmcnt(28)
	v_fmac_f32_e32 v82, v7, v70
	v_add_f32_e32 v3, v3, v81
	;; [unrolled: 3-line block ×10, first 2 shown]
	v_add_f32_e32 v57, v3, v90
	v_fma_f32 v2, v2, v68, -v52
	v_mul_f32_e32 v3, v5, v54
	v_add_f32_e32 v2, 0, v2
	v_fma_f32 v3, v4, v69, -v3
	v_add_f32_e32 v2, v2, v3
	v_mul_f32_e32 v3, v7, v56
	v_fma_f32 v3, v6, v70, -v3
	v_add_f32_e32 v2, v2, v3
	v_mul_f32_e32 v3, v9, v58
	;; [unrolled: 3-line block ×9, first 2 shown]
	v_fma_f32 v3, v22, v78, -v3
	s_waitcnt vmcnt(13)
	v_mov_b32_e32 v14, v39
	v_add_f32_e32 v56, v2, v3
	v_mul_f32_e32 v2, v25, v66
	s_waitcnt lgkmcnt(1)
	v_pk_mul_f32 v[14:15], v[28:29], v[14:15] op_sel_hi:[1,0]
	v_mul_f32_e32 v55, v26, v67
	v_fmac_f32_e32 v53, v25, v79
	v_fma_f32 v52, v24, v79, -v2
	v_mul_f32_e32 v2, v27, v67
	s_waitcnt vmcnt(12)
	v_pk_fma_f32 v[16:17], v[28:29], v[38:39], v[14:15] op_sel:[0,0,1] op_sel_hi:[1,1,0] neg_lo:[0,0,1] neg_hi:[0,0,1]
	v_pk_fma_f32 v[14:15], v[28:29], v[38:39], v[14:15] op_sel:[0,0,1] op_sel_hi:[1,0,0]
	v_fmac_f32_e32 v55, v27, v80
	v_fma_f32 v54, v26, v80, -v2
	v_pk_add_f32 v[12:13], v[56:57], v[52:53]
	v_mov_b32_e32 v14, v37
	v_pk_add_f32 v[12:13], v[12:13], v[54:55]
	v_mov_b32_e32 v17, v15
	s_waitcnt lgkmcnt(0)
	v_pk_mul_f32 v[14:15], v[30:31], v[14:15] op_sel_hi:[1,0]
	v_pk_add_f32 v[12:13], v[12:13], v[16:17]
	v_pk_fma_f32 v[16:17], v[30:31], v[36:37], v[14:15] op_sel:[0,0,1] op_sel_hi:[1,1,0] neg_lo:[0,0,1] neg_hi:[0,0,1]
	v_pk_fma_f32 v[14:15], v[30:31], v[36:37], v[14:15] op_sel:[0,0,1] op_sel_hi:[1,0,0]
	s_waitcnt vmcnt(5)
	v_mov_b32_e32 v14, v47
	ds_read2_b64 v[2:5], v1 offset0:107 offset1:108
	ds_read2_b64 v[6:9], v1 offset0:109 offset1:110
	ds_read_b64 v[10:11], v1 offset:888
	v_mov_b32_e32 v17, v15
	v_pk_mul_f32 v[14:15], v[32:33], v[14:15] op_sel_hi:[1,0]
	v_pk_add_f32 v[12:13], v[12:13], v[16:17]
	s_waitcnt vmcnt(4)
	v_pk_fma_f32 v[16:17], v[32:33], v[46:47], v[14:15] op_sel:[0,0,1] op_sel_hi:[1,1,0] neg_lo:[0,0,1] neg_hi:[0,0,1]
	v_pk_fma_f32 v[14:15], v[32:33], v[46:47], v[14:15] op_sel:[0,0,1] op_sel_hi:[1,0,0]
	v_mov_b32_e32 v14, v45
	v_mov_b32_e32 v17, v15
	s_waitcnt lgkmcnt(2)
	v_pk_mul_f32 v[14:15], v[2:3], v[14:15] op_sel_hi:[1,0]
	v_pk_add_f32 v[12:13], v[12:13], v[16:17]
	v_pk_fma_f32 v[16:17], v[2:3], v[44:45], v[14:15] op_sel:[0,0,1] op_sel_hi:[1,1,0] neg_lo:[0,0,1] neg_hi:[0,0,1]
	v_pk_fma_f32 v[2:3], v[2:3], v[44:45], v[14:15] op_sel:[0,0,1] op_sel_hi:[1,0,0]
	v_mov_b32_e32 v17, v3
	v_pk_add_f32 v[2:3], v[12:13], v[16:17]
	v_mov_b32_e32 v12, v43
	v_pk_mul_f32 v[12:13], v[4:5], v[12:13] op_sel_hi:[1,0]
	v_pk_fma_f32 v[14:15], v[4:5], v[42:43], v[12:13] op_sel:[0,0,1] op_sel_hi:[1,1,0] neg_lo:[0,0,1] neg_hi:[0,0,1]
	v_pk_fma_f32 v[4:5], v[4:5], v[42:43], v[12:13] op_sel:[0,0,1] op_sel_hi:[1,0,0]
	v_mov_b32_e32 v4, v41
	v_mov_b32_e32 v15, v5
	s_waitcnt lgkmcnt(1)
	v_pk_mul_f32 v[4:5], v[6:7], v[4:5] op_sel_hi:[1,0]
	v_pk_fma_f32 v[12:13], v[6:7], v[40:41], v[4:5] op_sel:[0,0,1] op_sel_hi:[1,1,0] neg_lo:[0,0,1] neg_hi:[0,0,1]
	v_pk_fma_f32 v[4:5], v[6:7], v[40:41], v[4:5] op_sel:[0,0,1] op_sel_hi:[1,0,0]
	s_waitcnt vmcnt(1)
	v_mov_b32_e32 v4, v51
	v_mov_b32_e32 v13, v5
	v_pk_mul_f32 v[4:5], v[8:9], v[4:5] op_sel_hi:[1,0]
	s_waitcnt vmcnt(0)
	v_pk_fma_f32 v[6:7], v[8:9], v[50:51], v[4:5] op_sel:[0,0,1] op_sel_hi:[1,1,0] neg_lo:[0,0,1] neg_hi:[0,0,1]
	v_pk_fma_f32 v[4:5], v[8:9], v[50:51], v[4:5] op_sel:[0,0,1] op_sel_hi:[1,0,0]
	v_pk_add_f32 v[2:3], v[2:3], v[14:15]
	v_mov_b32_e32 v4, v49
	v_pk_add_f32 v[2:3], v[2:3], v[12:13]
	v_mov_b32_e32 v7, v5
	s_waitcnt lgkmcnt(0)
	v_pk_mul_f32 v[4:5], v[10:11], v[4:5] op_sel_hi:[1,0]
	v_pk_add_f32 v[2:3], v[2:3], v[6:7]
	v_pk_fma_f32 v[6:7], v[10:11], v[48:49], v[4:5] op_sel:[0,0,1] op_sel_hi:[1,1,0] neg_lo:[0,0,1] neg_hi:[0,0,1]
	v_pk_fma_f32 v[4:5], v[10:11], v[48:49], v[4:5] op_sel:[0,0,1] op_sel_hi:[1,0,0]
	v_mov_b32_e32 v7, v5
	v_pk_add_f32 v[2:3], v[2:3], v[6:7]
	v_pk_add_f32 v[2:3], v[34:35], v[2:3] neg_lo:[0,1] neg_hi:[0,1]
	buffer_store_dword v3, off, s[0:3], 0 offset:276
	buffer_store_dword v2, off, s[0:3], 0 offset:272
	s_and_saveexec_b64 s[4:5], vcc
	s_cbranch_execz .LBB55_283
; %bb.282:
	buffer_load_dword v2, off, s[0:3], 0 offset:264
	buffer_load_dword v3, off, s[0:3], 0 offset:268
	s_waitcnt vmcnt(0)
	ds_write_b64 v161, v[2:3]
	buffer_store_dword v1, off, s[0:3], 0 offset:264
	buffer_store_dword v1, off, s[0:3], 0 offset:268
.LBB55_283:
	s_or_b64 exec, exec, s[4:5]
	s_waitcnt lgkmcnt(0)
	; wave barrier
	s_waitcnt lgkmcnt(0)
	buffer_load_dword v52, off, s[0:3], 0 offset:276
	buffer_load_dword v54, off, s[0:3], 0 offset:284
	;; [unrolled: 1-line block ×30, first 2 shown]
	ds_read_b128 v[2:5], v1 offset:720
	ds_read_b128 v[6:9], v1 offset:736
	;; [unrolled: 1-line block ×6, first 2 shown]
	buffer_load_dword v37, off, s[0:3], 0 offset:388
	buffer_load_dword v36, off, s[0:3], 0 offset:384
	ds_read_b128 v[26:29], v1 offset:816
	ds_read_b128 v[30:33], v1 offset:832
	buffer_load_dword v39, off, s[0:3], 0 offset:420
	buffer_load_dword v38, off, s[0:3], 0 offset:416
	buffer_load_dword v41, off, s[0:3], 0 offset:412
	buffer_load_dword v40, off, s[0:3], 0 offset:408
	buffer_load_dword v43, off, s[0:3], 0 offset:404
	buffer_load_dword v42, off, s[0:3], 0 offset:400
	buffer_load_dword v45, off, s[0:3], 0 offset:396
	buffer_load_dword v44, off, s[0:3], 0 offset:392
	buffer_load_dword v47, off, s[0:3], 0 offset:444
	buffer_load_dword v46, off, s[0:3], 0 offset:440
	buffer_load_dword v49, off, s[0:3], 0 offset:436
	buffer_load_dword v48, off, s[0:3], 0 offset:432
	buffer_load_dword v51, off, s[0:3], 0 offset:428
	buffer_load_dword v50, off, s[0:3], 0 offset:424
	v_cmp_lt_u32_e32 vcc, 32, v0
	s_waitcnt vmcnt(45) lgkmcnt(7)
	v_mul_f32_e32 v55, v2, v52
	s_waitcnt vmcnt(44)
	v_mul_f32_e32 v57, v4, v54
	s_waitcnt vmcnt(43) lgkmcnt(6)
	v_mul_f32_e32 v83, v6, v56
	s_waitcnt vmcnt(42)
	v_mul_f32_e32 v84, v8, v58
	;; [unrolled: 4-line block ×6, first 2 shown]
	s_waitcnt vmcnt(33) lgkmcnt(1)
	v_mul_f32_e32 v53, v26, v67
	s_waitcnt vmcnt(32)
	v_fmac_f32_e32 v55, v3, v68
	v_mul_f32_e32 v3, v3, v52
	v_fma_f32 v2, v2, v68, -v3
	v_mul_f32_e32 v3, v5, v54
	v_add_f32_e32 v2, 0, v2
	s_waitcnt vmcnt(31)
	v_fma_f32 v3, v4, v69, -v3
	v_add_f32_e32 v2, v2, v3
	v_mul_f32_e32 v3, v7, v56
	s_waitcnt vmcnt(30)
	v_fma_f32 v3, v6, v70, -v3
	v_add_f32_e32 v2, v2, v3
	v_mul_f32_e32 v3, v9, v58
	;; [unrolled: 4-line block ×5, first 2 shown]
	s_waitcnt vmcnt(26)
	v_fma_f32 v3, v14, v74, -v3
	v_fmac_f32_e32 v57, v5, v69
	v_add_f32_e32 v55, 0, v55
	v_add_f32_e32 v2, v2, v3
	v_mul_f32_e32 v3, v17, v62
	v_fmac_f32_e32 v83, v7, v70
	v_add_f32_e32 v55, v55, v57
	s_waitcnt vmcnt(25)
	v_fma_f32 v3, v16, v75, -v3
	v_fmac_f32_e32 v84, v9, v71
	v_add_f32_e32 v55, v55, v83
	v_add_f32_e32 v2, v2, v3
	v_mul_f32_e32 v3, v19, v63
	v_fmac_f32_e32 v85, v11, v72
	v_add_f32_e32 v55, v55, v84
	;; [unrolled: 8-line block ×5, first 2 shown]
	s_waitcnt vmcnt(21)
	v_fma_f32 v3, v24, v79, -v3
	s_waitcnt vmcnt(15)
	v_mov_b32_e32 v16, v37
	v_fmac_f32_e32 v92, v25, v79
	v_add_f32_e32 v55, v55, v91
	v_add_f32_e32 v54, v2, v3
	v_mul_f32_e32 v2, v27, v67
	s_waitcnt lgkmcnt(0)
	v_pk_mul_f32 v[16:17], v[30:31], v[16:17] op_sel_hi:[1,0]
	v_fmac_f32_e32 v53, v27, v80
	v_add_f32_e32 v55, v55, v92
	v_mul_f32_e32 v57, v28, v81
	v_fma_f32 v52, v26, v80, -v2
	v_mul_f32_e32 v2, v29, v81
	s_waitcnt vmcnt(14)
	v_pk_fma_f32 v[18:19], v[30:31], v[36:37], v[16:17] op_sel:[0,0,1] op_sel_hi:[1,1,0] neg_lo:[0,0,1] neg_hi:[0,0,1]
	v_pk_fma_f32 v[16:17], v[30:31], v[36:37], v[16:17] op_sel:[0,0,1] op_sel_hi:[1,0,0]
	v_fmac_f32_e32 v57, v29, v82
	v_fma_f32 v56, v28, v82, -v2
	v_pk_add_f32 v[14:15], v[54:55], v[52:53]
	s_waitcnt vmcnt(7)
	v_mov_b32_e32 v16, v45
	ds_read_b128 v[2:5], v1 offset:848
	ds_read_b128 v[6:9], v1 offset:864
	;; [unrolled: 1-line block ×3, first 2 shown]
	v_pk_add_f32 v[14:15], v[14:15], v[56:57]
	v_mov_b32_e32 v19, v17
	v_pk_mul_f32 v[16:17], v[32:33], v[16:17] op_sel_hi:[1,0]
	v_pk_add_f32 v[14:15], v[14:15], v[18:19]
	s_waitcnt vmcnt(6)
	v_pk_fma_f32 v[18:19], v[32:33], v[44:45], v[16:17] op_sel:[0,0,1] op_sel_hi:[1,1,0] neg_lo:[0,0,1] neg_hi:[0,0,1]
	v_pk_fma_f32 v[16:17], v[32:33], v[44:45], v[16:17] op_sel:[0,0,1] op_sel_hi:[1,0,0]
	v_mov_b32_e32 v16, v43
	v_mov_b32_e32 v19, v17
	s_waitcnt lgkmcnt(2)
	v_pk_mul_f32 v[16:17], v[2:3], v[16:17] op_sel_hi:[1,0]
	v_pk_add_f32 v[14:15], v[14:15], v[18:19]
	v_pk_fma_f32 v[18:19], v[2:3], v[42:43], v[16:17] op_sel:[0,0,1] op_sel_hi:[1,1,0] neg_lo:[0,0,1] neg_hi:[0,0,1]
	v_pk_fma_f32 v[2:3], v[2:3], v[42:43], v[16:17] op_sel:[0,0,1] op_sel_hi:[1,0,0]
	v_mov_b32_e32 v19, v3
	v_pk_add_f32 v[2:3], v[14:15], v[18:19]
	v_mov_b32_e32 v14, v41
	v_pk_mul_f32 v[14:15], v[4:5], v[14:15] op_sel_hi:[1,0]
	v_pk_fma_f32 v[16:17], v[4:5], v[40:41], v[14:15] op_sel:[0,0,1] op_sel_hi:[1,1,0] neg_lo:[0,0,1] neg_hi:[0,0,1]
	v_pk_fma_f32 v[4:5], v[4:5], v[40:41], v[14:15] op_sel:[0,0,1] op_sel_hi:[1,0,0]
	v_mov_b32_e32 v4, v39
	v_mov_b32_e32 v17, v5
	s_waitcnt lgkmcnt(1)
	v_pk_mul_f32 v[4:5], v[6:7], v[4:5] op_sel_hi:[1,0]
	v_pk_fma_f32 v[14:15], v[6:7], v[38:39], v[4:5] op_sel:[0,0,1] op_sel_hi:[1,1,0] neg_lo:[0,0,1] neg_hi:[0,0,1]
	v_pk_fma_f32 v[4:5], v[6:7], v[38:39], v[4:5] op_sel:[0,0,1] op_sel_hi:[1,0,0]
	s_waitcnt vmcnt(1)
	v_mov_b32_e32 v4, v51
	v_mov_b32_e32 v15, v5
	v_pk_mul_f32 v[4:5], v[8:9], v[4:5] op_sel_hi:[1,0]
	s_waitcnt vmcnt(0)
	v_pk_fma_f32 v[6:7], v[8:9], v[50:51], v[4:5] op_sel:[0,0,1] op_sel_hi:[1,1,0] neg_lo:[0,0,1] neg_hi:[0,0,1]
	v_pk_fma_f32 v[4:5], v[8:9], v[50:51], v[4:5] op_sel:[0,0,1] op_sel_hi:[1,0,0]
	v_pk_add_f32 v[2:3], v[2:3], v[16:17]
	v_mov_b32_e32 v4, v49
	v_pk_add_f32 v[2:3], v[2:3], v[14:15]
	v_mov_b32_e32 v7, v5
	s_waitcnt lgkmcnt(0)
	v_pk_mul_f32 v[4:5], v[10:11], v[4:5] op_sel_hi:[1,0]
	v_pk_add_f32 v[2:3], v[2:3], v[6:7]
	v_pk_fma_f32 v[6:7], v[10:11], v[48:49], v[4:5] op_sel:[0,0,1] op_sel_hi:[1,1,0] neg_lo:[0,0,1] neg_hi:[0,0,1]
	v_pk_fma_f32 v[4:5], v[10:11], v[48:49], v[4:5] op_sel:[0,0,1] op_sel_hi:[1,0,0]
	v_mov_b32_e32 v4, v47
	v_mov_b32_e32 v7, v5
	v_pk_mul_f32 v[4:5], v[12:13], v[4:5] op_sel_hi:[1,0]
	v_pk_add_f32 v[2:3], v[2:3], v[6:7]
	v_pk_fma_f32 v[6:7], v[12:13], v[46:47], v[4:5] op_sel:[0,0,1] op_sel_hi:[1,1,0] neg_lo:[0,0,1] neg_hi:[0,0,1]
	v_pk_fma_f32 v[4:5], v[12:13], v[46:47], v[4:5] op_sel:[0,0,1] op_sel_hi:[1,0,0]
	v_mov_b32_e32 v7, v5
	v_pk_add_f32 v[2:3], v[2:3], v[6:7]
	v_pk_add_f32 v[2:3], v[34:35], v[2:3] neg_lo:[0,1] neg_hi:[0,1]
	buffer_store_dword v3, off, s[0:3], 0 offset:268
	buffer_store_dword v2, off, s[0:3], 0 offset:264
	s_and_saveexec_b64 s[4:5], vcc
	s_cbranch_execz .LBB55_285
; %bb.284:
	buffer_load_dword v2, off, s[0:3], 0 offset:256
	buffer_load_dword v3, off, s[0:3], 0 offset:260
	v_mov_b32_e32 v1, 0
	buffer_store_dword v1, off, s[0:3], 0 offset:256
	buffer_store_dword v1, off, s[0:3], 0 offset:260
	s_waitcnt vmcnt(2)
	ds_write_b64 v161, v[2:3]
.LBB55_285:
	s_or_b64 exec, exec, s[4:5]
	s_waitcnt lgkmcnt(0)
	; wave barrier
	s_waitcnt lgkmcnt(0)
	buffer_load_dword v50, off, s[0:3], 0 offset:268
	buffer_load_dword v54, off, s[0:3], 0 offset:276
	;; [unrolled: 1-line block ×32, first 2 shown]
	v_mov_b32_e32 v1, 0
	buffer_load_dword v37, off, s[0:3], 0 offset:412
	buffer_load_dword v36, off, s[0:3], 0 offset:408
	;; [unrolled: 1-line block ×13, first 2 shown]
	ds_read2_b64 v[2:5], v1 offset0:89 offset1:90
	ds_read2_b64 v[6:9], v1 offset0:91 offset1:92
	;; [unrolled: 1-line block ×8, first 2 shown]
	v_cmp_lt_u32_e32 vcc, 31, v0
	s_waitcnt vmcnt(44) lgkmcnt(7)
	v_mul_f32_e32 v44, v2, v50
	s_waitcnt vmcnt(43)
	v_mul_f32_e32 v51, v4, v54
	s_waitcnt vmcnt(42) lgkmcnt(6)
	v_mul_f32_e32 v52, v6, v56
	s_waitcnt vmcnt(41)
	v_mul_f32_e32 v53, v8, v58
	;; [unrolled: 4-line block ×6, first 2 shown]
	s_waitcnt vmcnt(32) lgkmcnt(1)
	v_mul_f32_e32 v91, v26, v67
	s_waitcnt vmcnt(31)
	v_fmac_f32_e32 v44, v3, v68
	s_waitcnt vmcnt(30)
	v_fmac_f32_e32 v51, v5, v69
	v_add_f32_e32 v44, 0, v44
	s_waitcnt vmcnt(29)
	v_fmac_f32_e32 v52, v7, v70
	v_add_f32_e32 v44, v44, v51
	;; [unrolled: 3-line block ×12, first 2 shown]
	v_add_f32_e32 v51, v44, v91
	buffer_load_dword v53, off, s[0:3], 0 offset:428
	buffer_load_dword v52, off, s[0:3], 0 offset:424
	;; [unrolled: 1-line block ×3, first 2 shown]
	v_mul_f32_e32 v3, v3, v50
	v_fma_f32 v2, v2, v68, -v3
	v_mul_f32_e32 v3, v5, v54
	v_add_f32_e32 v2, 0, v2
	v_fma_f32 v3, v4, v69, -v3
	v_add_f32_e32 v2, v2, v3
	v_mul_f32_e32 v3, v7, v56
	v_fma_f32 v3, v6, v70, -v3
	v_add_f32_e32 v2, v2, v3
	v_mul_f32_e32 v3, v9, v58
	;; [unrolled: 3-line block ×11, first 2 shown]
	v_fma_f32 v3, v26, v80, -v3
	v_add_f32_e32 v50, v2, v3
	s_waitcnt vmcnt(21)
	v_mul_f32_e32 v2, v29, v81
	s_waitcnt vmcnt(9)
	v_mov_b32_e32 v18, v43
	v_mul_f32_e32 v55, v28, v81
	v_fma_f32 v54, v28, v82, -v2
	s_waitcnt lgkmcnt(0)
	v_mul_f32_e32 v2, v31, v83
	v_pk_mul_f32 v[18:19], v[32:33], v[18:19] op_sel_hi:[1,0]
	v_fmac_f32_e32 v55, v29, v82
	v_mul_f32_e32 v57, v30, v83
	v_fma_f32 v56, v30, v84, -v2
	ds_read2_b64 v[2:5], v1 offset0:105 offset1:106
	ds_read2_b64 v[6:9], v1 offset0:107 offset1:108
	;; [unrolled: 1-line block ×3, first 2 shown]
	ds_read_b64 v[14:15], v1 offset:888
	s_waitcnt vmcnt(8)
	v_pk_fma_f32 v[20:21], v[32:33], v[42:43], v[18:19] op_sel:[0,0,1] op_sel_hi:[1,1,0] neg_lo:[0,0,1] neg_hi:[0,0,1]
	v_pk_fma_f32 v[18:19], v[32:33], v[42:43], v[18:19] op_sel:[0,0,1] op_sel_hi:[1,0,0]
	v_fmac_f32_e32 v57, v31, v84
	v_pk_add_f32 v[16:17], v[50:51], v[54:55]
	v_mov_b32_e32 v18, v41
	v_pk_add_f32 v[16:17], v[16:17], v[56:57]
	v_mov_b32_e32 v21, v19
	s_waitcnt lgkmcnt(3)
	v_pk_mul_f32 v[18:19], v[2:3], v[18:19] op_sel_hi:[1,0]
	v_pk_add_f32 v[16:17], v[16:17], v[20:21]
	v_pk_fma_f32 v[20:21], v[2:3], v[40:41], v[18:19] op_sel:[0,0,1] op_sel_hi:[1,1,0] neg_lo:[0,0,1] neg_hi:[0,0,1]
	v_pk_fma_f32 v[2:3], v[2:3], v[40:41], v[18:19] op_sel:[0,0,1] op_sel_hi:[1,0,0]
	v_mov_b32_e32 v21, v3
	v_pk_add_f32 v[2:3], v[16:17], v[20:21]
	v_mov_b32_e32 v16, v39
	v_pk_mul_f32 v[16:17], v[4:5], v[16:17] op_sel_hi:[1,0]
	v_pk_fma_f32 v[18:19], v[4:5], v[38:39], v[16:17] op_sel:[0,0,1] op_sel_hi:[1,1,0] neg_lo:[0,0,1] neg_hi:[0,0,1]
	v_pk_fma_f32 v[4:5], v[4:5], v[38:39], v[16:17] op_sel:[0,0,1] op_sel_hi:[1,0,0]
	v_mov_b32_e32 v4, v37
	v_mov_b32_e32 v19, v5
	s_waitcnt lgkmcnt(2)
	v_pk_mul_f32 v[4:5], v[6:7], v[4:5] op_sel_hi:[1,0]
	v_pk_fma_f32 v[16:17], v[6:7], v[36:37], v[4:5] op_sel:[0,0,1] op_sel_hi:[1,1,0] neg_lo:[0,0,1] neg_hi:[0,0,1]
	v_pk_fma_f32 v[4:5], v[6:7], v[36:37], v[4:5] op_sel:[0,0,1] op_sel_hi:[1,0,0]
	s_waitcnt vmcnt(7)
	v_mov_b32_e32 v4, v45
	v_mov_b32_e32 v17, v5
	v_pk_mul_f32 v[4:5], v[8:9], v[4:5] op_sel_hi:[1,0]
	v_pk_add_f32 v[2:3], v[2:3], v[18:19]
	v_pk_add_f32 v[2:3], v[2:3], v[16:17]
	s_waitcnt vmcnt(0)
	v_pk_fma_f32 v[6:7], v[8:9], v[44:45], v[4:5] op_sel:[0,0,1] op_sel_hi:[1,1,0] neg_lo:[0,0,1] neg_hi:[0,0,1]
	v_pk_fma_f32 v[4:5], v[8:9], v[44:45], v[4:5] op_sel:[0,0,1] op_sel_hi:[1,0,0]
	v_mov_b32_e32 v4, v53
	v_mov_b32_e32 v7, v5
	s_waitcnt lgkmcnt(1)
	v_pk_mul_f32 v[4:5], v[10:11], v[4:5] op_sel_hi:[1,0]
	v_pk_add_f32 v[2:3], v[2:3], v[6:7]
	v_pk_fma_f32 v[6:7], v[10:11], v[52:53], v[4:5] op_sel:[0,0,1] op_sel_hi:[1,1,0] neg_lo:[0,0,1] neg_hi:[0,0,1]
	v_pk_fma_f32 v[4:5], v[10:11], v[52:53], v[4:5] op_sel:[0,0,1] op_sel_hi:[1,0,0]
	v_mov_b32_e32 v4, v49
	v_mov_b32_e32 v7, v5
	v_pk_mul_f32 v[4:5], v[12:13], v[4:5] op_sel_hi:[1,0]
	v_pk_add_f32 v[2:3], v[2:3], v[6:7]
	v_pk_fma_f32 v[6:7], v[12:13], v[48:49], v[4:5] op_sel:[0,0,1] op_sel_hi:[1,1,0] neg_lo:[0,0,1] neg_hi:[0,0,1]
	v_pk_fma_f32 v[4:5], v[12:13], v[48:49], v[4:5] op_sel:[0,0,1] op_sel_hi:[1,0,0]
	v_mov_b32_e32 v4, v47
	v_mov_b32_e32 v7, v5
	s_waitcnt lgkmcnt(0)
	v_pk_mul_f32 v[4:5], v[14:15], v[4:5] op_sel_hi:[1,0]
	v_pk_add_f32 v[2:3], v[2:3], v[6:7]
	v_pk_fma_f32 v[6:7], v[14:15], v[46:47], v[4:5] op_sel:[0,0,1] op_sel_hi:[1,1,0] neg_lo:[0,0,1] neg_hi:[0,0,1]
	v_pk_fma_f32 v[4:5], v[14:15], v[46:47], v[4:5] op_sel:[0,0,1] op_sel_hi:[1,0,0]
	v_mov_b32_e32 v7, v5
	v_pk_add_f32 v[2:3], v[2:3], v[6:7]
	v_pk_add_f32 v[2:3], v[34:35], v[2:3] neg_lo:[0,1] neg_hi:[0,1]
	buffer_store_dword v3, off, s[0:3], 0 offset:260
	buffer_store_dword v2, off, s[0:3], 0 offset:256
	s_and_saveexec_b64 s[4:5], vcc
	s_cbranch_execz .LBB55_287
; %bb.286:
	buffer_load_dword v2, off, s[0:3], 0 offset:248
	buffer_load_dword v3, off, s[0:3], 0 offset:252
	s_waitcnt vmcnt(0)
	ds_write_b64 v161, v[2:3]
	buffer_store_dword v1, off, s[0:3], 0 offset:248
	buffer_store_dword v1, off, s[0:3], 0 offset:252
.LBB55_287:
	s_or_b64 exec, exec, s[4:5]
	s_waitcnt lgkmcnt(0)
	; wave barrier
	s_waitcnt lgkmcnt(0)
	buffer_load_dword v50, off, s[0:3], 0 offset:260
	buffer_load_dword v52, off, s[0:3], 0 offset:268
	;; [unrolled: 1-line block ×34, first 2 shown]
	ds_read_b128 v[2:5], v1 offset:704
	ds_read_b128 v[6:9], v1 offset:720
	;; [unrolled: 1-line block ×8, first 2 shown]
	buffer_load_dword v37, off, s[0:3], 0 offset:404
	buffer_load_dword v36, off, s[0:3], 0 offset:400
	;; [unrolled: 1-line block ×9, first 2 shown]
	v_cmp_lt_u32_e32 vcc, 30, v0
	s_waitcnt vmcnt(42) lgkmcnt(7)
	v_mul_f32_e32 v42, v2, v50
	s_waitcnt vmcnt(41)
	v_mul_f32_e32 v46, v4, v52
	s_waitcnt vmcnt(40) lgkmcnt(6)
	v_mul_f32_e32 v47, v6, v54
	s_waitcnt vmcnt(39)
	v_mul_f32_e32 v48, v8, v58
	;; [unrolled: 4-line block ×7, first 2 shown]
	s_waitcnt vmcnt(28)
	v_fmac_f32_e32 v42, v3, v69
	s_waitcnt vmcnt(27)
	v_fmac_f32_e32 v46, v5, v70
	v_add_f32_e32 v42, 0, v42
	s_waitcnt vmcnt(26)
	v_fmac_f32_e32 v47, v7, v71
	v_add_f32_e32 v42, v42, v46
	;; [unrolled: 3-line block ×12, first 2 shown]
	v_add_f32_e32 v51, v42, v89
	buffer_load_dword v47, off, s[0:3], 0 offset:428
	buffer_load_dword v46, off, s[0:3], 0 offset:424
	;; [unrolled: 1-line block ×7, first 2 shown]
	v_mul_f32_e32 v3, v3, v50
	v_fma_f32 v2, v2, v69, -v3
	v_mul_f32_e32 v3, v5, v52
	v_add_f32_e32 v2, 0, v2
	v_fma_f32 v3, v4, v70, -v3
	v_add_f32_e32 v2, v2, v3
	v_mul_f32_e32 v3, v7, v54
	v_fma_f32 v3, v6, v71, -v3
	v_add_f32_e32 v2, v2, v3
	v_mul_f32_e32 v3, v9, v58
	;; [unrolled: 3-line block ×12, first 2 shown]
	s_waitcnt vmcnt(22)
	v_fma_f32 v3, v28, v82, -v3
	v_add_f32_e32 v50, v2, v3
	s_waitcnt vmcnt(21) lgkmcnt(0)
	v_mul_f32_e32 v2, v31, v83
	s_waitcnt vmcnt(20)
	v_fma_f32 v52, v30, v84, -v2
	s_waitcnt vmcnt(19)
	v_mul_f32_e32 v2, v33, v85
	s_waitcnt vmcnt(18)
	v_fma_f32 v54, v32, v86, -v2
	ds_read_b128 v[2:5], v1 offset:832
	ds_read_b128 v[6:9], v1 offset:848
	;; [unrolled: 1-line block ×4, first 2 shown]
	v_fmac_f32_e32 v90, v29, v82
	v_mul_f32_e32 v53, v30, v83
	s_waitcnt vmcnt(11)
	v_mov_b32_e32 v20, v41
	v_add_f32_e32 v51, v51, v90
	v_fmac_f32_e32 v53, v31, v84
	v_mul_f32_e32 v55, v32, v85
	s_waitcnt lgkmcnt(3)
	v_pk_mul_f32 v[20:21], v[2:3], v[20:21] op_sel_hi:[1,0]
	v_fmac_f32_e32 v55, v33, v86
	v_pk_add_f32 v[18:19], v[50:51], v[52:53]
	s_waitcnt vmcnt(10)
	v_pk_fma_f32 v[22:23], v[2:3], v[40:41], v[20:21] op_sel:[0,0,1] op_sel_hi:[1,1,0] neg_lo:[0,0,1] neg_hi:[0,0,1]
	v_pk_fma_f32 v[2:3], v[2:3], v[40:41], v[20:21] op_sel:[0,0,1] op_sel_hi:[1,0,0]
	v_pk_add_f32 v[18:19], v[18:19], v[54:55]
	v_mov_b32_e32 v23, v3
	v_pk_add_f32 v[2:3], v[18:19], v[22:23]
	v_mov_b32_e32 v18, v39
	v_pk_mul_f32 v[18:19], v[4:5], v[18:19] op_sel_hi:[1,0]
	v_pk_fma_f32 v[20:21], v[4:5], v[38:39], v[18:19] op_sel:[0,0,1] op_sel_hi:[1,1,0] neg_lo:[0,0,1] neg_hi:[0,0,1]
	v_pk_fma_f32 v[4:5], v[4:5], v[38:39], v[18:19] op_sel:[0,0,1] op_sel_hi:[1,0,0]
	v_mov_b32_e32 v4, v37
	v_mov_b32_e32 v21, v5
	s_waitcnt lgkmcnt(2)
	v_pk_mul_f32 v[4:5], v[6:7], v[4:5] op_sel_hi:[1,0]
	v_pk_fma_f32 v[18:19], v[6:7], v[36:37], v[4:5] op_sel:[0,0,1] op_sel_hi:[1,1,0] neg_lo:[0,0,1] neg_hi:[0,0,1]
	v_pk_fma_f32 v[4:5], v[6:7], v[36:37], v[4:5] op_sel:[0,0,1] op_sel_hi:[1,0,0]
	s_waitcnt vmcnt(9)
	v_mov_b32_e32 v4, v43
	v_mov_b32_e32 v19, v5
	v_pk_mul_f32 v[4:5], v[8:9], v[4:5] op_sel_hi:[1,0]
	v_pk_add_f32 v[2:3], v[2:3], v[20:21]
	v_pk_add_f32 v[2:3], v[2:3], v[18:19]
	s_waitcnt vmcnt(2)
	v_pk_fma_f32 v[6:7], v[8:9], v[42:43], v[4:5] op_sel:[0,0,1] op_sel_hi:[1,1,0] neg_lo:[0,0,1] neg_hi:[0,0,1]
	v_pk_fma_f32 v[4:5], v[8:9], v[42:43], v[4:5] op_sel:[0,0,1] op_sel_hi:[1,0,0]
	v_mov_b32_e32 v4, v49
	v_mov_b32_e32 v7, v5
	s_waitcnt lgkmcnt(1)
	v_pk_mul_f32 v[4:5], v[10:11], v[4:5] op_sel_hi:[1,0]
	v_pk_add_f32 v[2:3], v[2:3], v[6:7]
	v_pk_fma_f32 v[6:7], v[10:11], v[48:49], v[4:5] op_sel:[0,0,1] op_sel_hi:[1,1,0] neg_lo:[0,0,1] neg_hi:[0,0,1]
	v_pk_fma_f32 v[4:5], v[10:11], v[48:49], v[4:5] op_sel:[0,0,1] op_sel_hi:[1,0,0]
	v_mov_b32_e32 v4, v47
	v_mov_b32_e32 v7, v5
	v_pk_mul_f32 v[4:5], v[12:13], v[4:5] op_sel_hi:[1,0]
	v_pk_add_f32 v[2:3], v[2:3], v[6:7]
	v_pk_fma_f32 v[6:7], v[12:13], v[46:47], v[4:5] op_sel:[0,0,1] op_sel_hi:[1,1,0] neg_lo:[0,0,1] neg_hi:[0,0,1]
	v_pk_fma_f32 v[4:5], v[12:13], v[46:47], v[4:5] op_sel:[0,0,1] op_sel_hi:[1,0,0]
	v_mov_b32_e32 v4, v45
	v_mov_b32_e32 v7, v5
	s_waitcnt lgkmcnt(0)
	v_pk_mul_f32 v[4:5], v[14:15], v[4:5] op_sel_hi:[1,0]
	v_pk_add_f32 v[2:3], v[2:3], v[6:7]
	v_pk_fma_f32 v[6:7], v[14:15], v[44:45], v[4:5] op_sel:[0,0,1] op_sel_hi:[1,1,0] neg_lo:[0,0,1] neg_hi:[0,0,1]
	v_pk_fma_f32 v[4:5], v[14:15], v[44:45], v[4:5] op_sel:[0,0,1] op_sel_hi:[1,0,0]
	s_waitcnt vmcnt(1)
	v_mov_b32_e32 v4, v57
	v_mov_b32_e32 v7, v5
	v_pk_mul_f32 v[4:5], v[16:17], v[4:5] op_sel_hi:[1,0]
	v_pk_add_f32 v[2:3], v[2:3], v[6:7]
	s_waitcnt vmcnt(0)
	v_pk_fma_f32 v[6:7], v[16:17], v[56:57], v[4:5] op_sel:[0,0,1] op_sel_hi:[1,1,0] neg_lo:[0,0,1] neg_hi:[0,0,1]
	v_pk_fma_f32 v[4:5], v[16:17], v[56:57], v[4:5] op_sel:[0,0,1] op_sel_hi:[1,0,0]
	v_mov_b32_e32 v7, v5
	v_pk_add_f32 v[2:3], v[2:3], v[6:7]
	v_pk_add_f32 v[2:3], v[34:35], v[2:3] neg_lo:[0,1] neg_hi:[0,1]
	buffer_store_dword v3, off, s[0:3], 0 offset:252
	buffer_store_dword v2, off, s[0:3], 0 offset:248
	s_and_saveexec_b64 s[4:5], vcc
	s_cbranch_execz .LBB55_289
; %bb.288:
	buffer_load_dword v2, off, s[0:3], 0 offset:240
	buffer_load_dword v3, off, s[0:3], 0 offset:244
	v_mov_b32_e32 v1, 0
	buffer_store_dword v1, off, s[0:3], 0 offset:240
	buffer_store_dword v1, off, s[0:3], 0 offset:244
	s_waitcnt vmcnt(2)
	ds_write_b64 v161, v[2:3]
.LBB55_289:
	s_or_b64 exec, exec, s[4:5]
	s_waitcnt lgkmcnt(0)
	; wave barrier
	s_waitcnt lgkmcnt(0)
	buffer_load_dword v56, off, s[0:3], 0 offset:252
	buffer_load_dword v58, off, s[0:3], 0 offset:260
	;; [unrolled: 1-line block ×36, first 2 shown]
	v_mov_b32_e32 v1, 0
	buffer_load_dword v45, off, s[0:3], 0 offset:396
	buffer_load_dword v44, off, s[0:3], 0 offset:392
	;; [unrolled: 1-line block ×5, first 2 shown]
	ds_read2_b64 v[4:7], v1 offset0:87 offset1:88
	ds_read2_b64 v[8:11], v1 offset0:89 offset1:90
	ds_read2_b64 v[12:15], v1 offset0:91 offset1:92
	ds_read2_b64 v[16:19], v1 offset0:93 offset1:94
	ds_read2_b64 v[20:23], v1 offset0:95 offset1:96
	ds_read2_b64 v[24:27], v1 offset0:97 offset1:98
	ds_read2_b64 v[28:31], v1 offset0:99 offset1:100
	ds_read2_b64 v[32:35], v1 offset0:101 offset1:102
	v_cmp_lt_u32_e32 vcc, 29, v0
	s_waitcnt vmcnt(40) lgkmcnt(7)
	v_mul_f32_e32 v36, v4, v56
	s_waitcnt vmcnt(39)
	v_mul_f32_e32 v37, v6, v58
	s_waitcnt vmcnt(38) lgkmcnt(6)
	v_mul_f32_e32 v38, v8, v60
	s_waitcnt vmcnt(37)
	v_mul_f32_e32 v39, v10, v66
	s_waitcnt vmcnt(36) lgkmcnt(5)
	v_mul_f32_e32 v40, v12, v67
	s_waitcnt vmcnt(35)
	v_mul_f32_e32 v41, v14, v68
	s_waitcnt vmcnt(34) lgkmcnt(4)
	v_mul_f32_e32 v42, v16, v69
	s_waitcnt vmcnt(33)
	v_mul_f32_e32 v43, v18, v70
	s_waitcnt vmcnt(32) lgkmcnt(3)
	v_mul_f32_e32 v48, v20, v71
	s_waitcnt vmcnt(31)
	v_mul_f32_e32 v50, v22, v72
	s_waitcnt vmcnt(30) lgkmcnt(2)
	v_mul_f32_e32 v51, v24, v73
	s_waitcnt vmcnt(29)
	v_mul_f32_e32 v52, v26, v74
	s_waitcnt vmcnt(28) lgkmcnt(1)
	v_mul_f32_e32 v53, v28, v75
	s_waitcnt vmcnt(27)
	v_mul_f32_e32 v54, v30, v76
	s_waitcnt vmcnt(26) lgkmcnt(0)
	v_mul_f32_e32 v57, v32, v77
	s_waitcnt vmcnt(25)
	v_fmac_f32_e32 v36, v5, v78
	s_waitcnt vmcnt(24)
	v_fmac_f32_e32 v37, v7, v79
	v_add_f32_e32 v36, 0, v36
	s_waitcnt vmcnt(23)
	v_fmac_f32_e32 v38, v9, v80
	v_add_f32_e32 v36, v36, v37
	;; [unrolled: 3-line block ×13, first 2 shown]
	v_add_f32_e32 v40, v36, v54
	buffer_load_dword v51, off, s[0:3], 0 offset:428
	buffer_load_dword v50, off, s[0:3], 0 offset:424
	;; [unrolled: 1-line block ×7, first 2 shown]
	s_waitcnt vmcnt(18)
	v_fmac_f32_e32 v57, v33, v92
	ds_read2_b64 v[36:39], v1 offset0:103 offset1:104
	v_add_f32_e32 v57, v40, v57
	ds_read2_b64 v[40:43], v1 offset0:105 offset1:106
	buffer_load_dword v63, off, s[0:3], 0 offset:444
	buffer_load_dword v62, off, s[0:3], 0 offset:440
	buffer_load_dword v65, off, s[0:3], 0 offset:436
	buffer_load_dword v64, off, s[0:3], 0 offset:432
	v_mul_f32_e32 v5, v5, v56
	v_fma_f32 v4, v4, v78, -v5
	v_mul_f32_e32 v5, v7, v58
	v_add_f32_e32 v4, 0, v4
	v_fma_f32 v5, v6, v79, -v5
	v_add_f32_e32 v4, v4, v5
	v_mul_f32_e32 v5, v9, v60
	v_fma_f32 v5, v8, v80, -v5
	v_add_f32_e32 v4, v4, v5
	v_mul_f32_e32 v5, v11, v66
	;; [unrolled: 3-line block ×13, first 2 shown]
	v_fma_f32 v5, v32, v92, -v5
	s_waitcnt vmcnt(13)
	v_mov_b32_e32 v16, v47
	v_mul_f32_e32 v59, v34, v93
	v_add_f32_e32 v56, v4, v5
	v_mul_f32_e32 v4, v35, v93
	s_waitcnt lgkmcnt(1)
	v_pk_mul_f32 v[16:17], v[38:39], v[16:17] op_sel_hi:[1,0]
	v_fmac_f32_e32 v59, v35, v94
	v_mul_f32_e32 v61, v36, v95
	v_fma_f32 v58, v34, v94, -v4
	v_mul_f32_e32 v4, v37, v95
	s_waitcnt vmcnt(12)
	v_pk_fma_f32 v[18:19], v[38:39], v[46:47], v[16:17] op_sel:[0,0,1] op_sel_hi:[1,1,0] neg_lo:[0,0,1] neg_hi:[0,0,1]
	v_pk_fma_f32 v[16:17], v[38:39], v[46:47], v[16:17] op_sel:[0,0,1] op_sel_hi:[1,0,0]
	v_fmac_f32_e32 v61, v37, v96
	v_fma_f32 v60, v36, v96, -v4
	v_pk_add_f32 v[14:15], v[56:57], v[58:59]
	v_mov_b32_e32 v16, v45
	v_pk_add_f32 v[14:15], v[14:15], v[60:61]
	v_mov_b32_e32 v19, v17
	s_waitcnt lgkmcnt(0)
	v_pk_mul_f32 v[16:17], v[40:41], v[16:17] op_sel_hi:[1,0]
	v_pk_add_f32 v[14:15], v[14:15], v[18:19]
	v_pk_fma_f32 v[18:19], v[40:41], v[44:45], v[16:17] op_sel:[0,0,1] op_sel_hi:[1,1,0] neg_lo:[0,0,1] neg_hi:[0,0,1]
	v_pk_fma_f32 v[16:17], v[40:41], v[44:45], v[16:17] op_sel:[0,0,1] op_sel_hi:[1,0,0]
	s_waitcnt vmcnt(11)
	v_mov_b32_e32 v16, v49
	ds_read2_b64 v[4:7], v1 offset0:107 offset1:108
	ds_read2_b64 v[8:11], v1 offset0:109 offset1:110
	ds_read_b64 v[12:13], v1 offset:888
	v_mov_b32_e32 v19, v17
	v_pk_mul_f32 v[16:17], v[42:43], v[16:17] op_sel_hi:[1,0]
	v_pk_add_f32 v[14:15], v[14:15], v[18:19]
	s_waitcnt vmcnt(4)
	v_pk_fma_f32 v[18:19], v[42:43], v[48:49], v[16:17] op_sel:[0,0,1] op_sel_hi:[1,1,0] neg_lo:[0,0,1] neg_hi:[0,0,1]
	v_pk_fma_f32 v[16:17], v[42:43], v[48:49], v[16:17] op_sel:[0,0,1] op_sel_hi:[1,0,0]
	v_mov_b32_e32 v16, v55
	v_mov_b32_e32 v19, v17
	s_waitcnt lgkmcnt(2)
	v_pk_mul_f32 v[16:17], v[4:5], v[16:17] op_sel_hi:[1,0]
	v_pk_add_f32 v[14:15], v[14:15], v[18:19]
	v_pk_fma_f32 v[18:19], v[4:5], v[54:55], v[16:17] op_sel:[0,0,1] op_sel_hi:[1,1,0] neg_lo:[0,0,1] neg_hi:[0,0,1]
	v_pk_fma_f32 v[4:5], v[4:5], v[54:55], v[16:17] op_sel:[0,0,1] op_sel_hi:[1,0,0]
	v_mov_b32_e32 v19, v5
	v_pk_add_f32 v[4:5], v[14:15], v[18:19]
	v_mov_b32_e32 v14, v53
	v_pk_mul_f32 v[14:15], v[6:7], v[14:15] op_sel_hi:[1,0]
	v_pk_fma_f32 v[16:17], v[6:7], v[52:53], v[14:15] op_sel:[0,0,1] op_sel_hi:[1,1,0] neg_lo:[0,0,1] neg_hi:[0,0,1]
	v_pk_fma_f32 v[6:7], v[6:7], v[52:53], v[14:15] op_sel:[0,0,1] op_sel_hi:[1,0,0]
	v_mov_b32_e32 v6, v51
	v_mov_b32_e32 v17, v7
	s_waitcnt lgkmcnt(1)
	v_pk_mul_f32 v[6:7], v[8:9], v[6:7] op_sel_hi:[1,0]
	v_pk_fma_f32 v[14:15], v[8:9], v[50:51], v[6:7] op_sel:[0,0,1] op_sel_hi:[1,1,0] neg_lo:[0,0,1] neg_hi:[0,0,1]
	v_pk_fma_f32 v[6:7], v[8:9], v[50:51], v[6:7] op_sel:[0,0,1] op_sel_hi:[1,0,0]
	s_waitcnt vmcnt(1)
	v_mov_b32_e32 v6, v65
	v_mov_b32_e32 v15, v7
	v_pk_mul_f32 v[6:7], v[10:11], v[6:7] op_sel_hi:[1,0]
	s_waitcnt vmcnt(0)
	v_pk_fma_f32 v[8:9], v[10:11], v[64:65], v[6:7] op_sel:[0,0,1] op_sel_hi:[1,1,0] neg_lo:[0,0,1] neg_hi:[0,0,1]
	v_pk_fma_f32 v[6:7], v[10:11], v[64:65], v[6:7] op_sel:[0,0,1] op_sel_hi:[1,0,0]
	v_pk_add_f32 v[4:5], v[4:5], v[16:17]
	v_mov_b32_e32 v6, v63
	v_pk_add_f32 v[4:5], v[4:5], v[14:15]
	v_mov_b32_e32 v9, v7
	s_waitcnt lgkmcnt(0)
	v_pk_mul_f32 v[6:7], v[12:13], v[6:7] op_sel_hi:[1,0]
	v_pk_add_f32 v[4:5], v[4:5], v[8:9]
	v_pk_fma_f32 v[8:9], v[12:13], v[62:63], v[6:7] op_sel:[0,0,1] op_sel_hi:[1,1,0] neg_lo:[0,0,1] neg_hi:[0,0,1]
	v_pk_fma_f32 v[6:7], v[12:13], v[62:63], v[6:7] op_sel:[0,0,1] op_sel_hi:[1,0,0]
	v_mov_b32_e32 v9, v7
	v_pk_add_f32 v[4:5], v[4:5], v[8:9]
	v_pk_add_f32 v[2:3], v[2:3], v[4:5] neg_lo:[0,1] neg_hi:[0,1]
	buffer_store_dword v3, off, s[0:3], 0 offset:244
	buffer_store_dword v2, off, s[0:3], 0 offset:240
	s_and_saveexec_b64 s[4:5], vcc
	s_cbranch_execz .LBB55_291
; %bb.290:
	buffer_load_dword v2, off, s[0:3], 0 offset:232
	buffer_load_dword v3, off, s[0:3], 0 offset:236
	s_waitcnt vmcnt(0)
	ds_write_b64 v161, v[2:3]
	buffer_store_dword v1, off, s[0:3], 0 offset:232
	buffer_store_dword v1, off, s[0:3], 0 offset:236
.LBB55_291:
	s_or_b64 exec, exec, s[4:5]
	s_waitcnt lgkmcnt(0)
	; wave barrier
	s_waitcnt lgkmcnt(0)
	buffer_load_dword v54, off, s[0:3], 0 offset:244
	buffer_load_dword v56, off, s[0:3], 0 offset:252
	;; [unrolled: 1-line block ×38, first 2 shown]
	ds_read_b128 v[2:5], v1 offset:688
	ds_read_b128 v[6:9], v1 offset:704
	;; [unrolled: 1-line block ×8, first 2 shown]
	buffer_load_dword v45, off, s[0:3], 0 offset:388
	buffer_load_dword v44, off, s[0:3], 0 offset:384
	;; [unrolled: 1-line block ×4, first 2 shown]
	v_cmp_lt_u32_e32 vcc, 28, v0
	s_waitcnt vmcnt(41) lgkmcnt(7)
	v_mul_f32_e32 v34, v2, v54
	s_waitcnt vmcnt(40)
	v_mul_f32_e32 v35, v4, v56
	s_waitcnt vmcnt(39) lgkmcnt(6)
	v_mul_f32_e32 v36, v6, v58
	s_waitcnt vmcnt(38)
	v_mul_f32_e32 v37, v8, v66
	;; [unrolled: 4-line block ×7, first 2 shown]
	s_waitcnt vmcnt(27) lgkmcnt(0)
	v_mul_f32_e32 v55, v30, v77
	s_waitcnt vmcnt(26)
	v_fmac_f32_e32 v34, v3, v78
	s_waitcnt vmcnt(25)
	v_fmac_f32_e32 v35, v5, v79
	v_add_f32_e32 v34, 0, v34
	s_waitcnt vmcnt(24)
	v_fmac_f32_e32 v36, v7, v80
	v_add_f32_e32 v34, v34, v35
	s_waitcnt vmcnt(23)
	v_fmac_f32_e32 v37, v9, v81
	v_add_f32_e32 v34, v34, v36
	s_waitcnt vmcnt(22)
	v_fmac_f32_e32 v38, v11, v82
	v_add_f32_e32 v34, v34, v37
	s_waitcnt vmcnt(21)
	v_fmac_f32_e32 v39, v13, v83
	v_add_f32_e32 v34, v34, v38
	s_waitcnt vmcnt(20)
	v_fmac_f32_e32 v40, v15, v84
	v_add_f32_e32 v34, v34, v39
	s_waitcnt vmcnt(19)
	v_fmac_f32_e32 v41, v17, v85
	v_add_f32_e32 v34, v34, v40
	s_waitcnt vmcnt(18)
	v_fmac_f32_e32 v48, v19, v86
	v_add_f32_e32 v34, v34, v41
	s_waitcnt vmcnt(17)
	v_fmac_f32_e32 v49, v21, v87
	v_add_f32_e32 v34, v34, v48
	s_waitcnt vmcnt(16)
	v_fmac_f32_e32 v50, v23, v88
	v_add_f32_e32 v34, v34, v49
	s_waitcnt vmcnt(15)
	v_fmac_f32_e32 v51, v25, v89
	v_add_f32_e32 v34, v34, v50
	s_waitcnt vmcnt(14)
	v_fmac_f32_e32 v52, v27, v90
	v_add_f32_e32 v34, v34, v51
	s_waitcnt vmcnt(13)
	v_fmac_f32_e32 v53, v29, v91
	v_add_f32_e32 v34, v34, v52
	v_add_f32_e32 v34, v34, v53
	buffer_load_dword v49, off, s[0:3], 0 offset:412
	buffer_load_dword v48, off, s[0:3], 0 offset:408
	;; [unrolled: 1-line block ×6, first 2 shown]
	s_waitcnt vmcnt(18)
	v_fmac_f32_e32 v55, v31, v92
	s_waitcnt vmcnt(17)
	v_mul_f32_e32 v39, v32, v93
	v_add_f32_e32 v38, v34, v55
	s_waitcnt vmcnt(16)
	v_fmac_f32_e32 v39, v33, v94
	ds_read_b128 v[34:37], v1 offset:816
	v_add_f32_e32 v55, v38, v39
	ds_read_b128 v[38:41], v1 offset:832
	buffer_load_dword v61, off, s[0:3], 0 offset:444
	buffer_load_dword v60, off, s[0:3], 0 offset:440
	;; [unrolled: 1-line block ×6, first 2 shown]
	v_mul_f32_e32 v3, v3, v54
	v_fma_f32 v2, v2, v78, -v3
	v_mul_f32_e32 v3, v5, v56
	v_add_f32_e32 v2, 0, v2
	v_fma_f32 v3, v4, v79, -v3
	v_add_f32_e32 v2, v2, v3
	v_mul_f32_e32 v3, v7, v58
	v_fma_f32 v3, v6, v80, -v3
	v_add_f32_e32 v2, v2, v3
	v_mul_f32_e32 v3, v9, v66
	v_fma_f32 v3, v8, v81, -v3
	v_add_f32_e32 v2, v2, v3
	v_mul_f32_e32 v3, v11, v67
	v_fma_f32 v3, v10, v82, -v3
	v_add_f32_e32 v2, v2, v3
	v_mul_f32_e32 v3, v13, v68
	v_fma_f32 v3, v12, v83, -v3
	v_add_f32_e32 v2, v2, v3
	v_mul_f32_e32 v3, v15, v69
	v_fma_f32 v3, v14, v84, -v3
	v_add_f32_e32 v2, v2, v3
	v_mul_f32_e32 v3, v17, v70
	v_fma_f32 v3, v16, v85, -v3
	v_add_f32_e32 v2, v2, v3
	v_mul_f32_e32 v3, v19, v71
	v_fma_f32 v3, v18, v86, -v3
	v_add_f32_e32 v2, v2, v3
	v_mul_f32_e32 v3, v21, v72
	v_fma_f32 v3, v20, v87, -v3
	v_add_f32_e32 v2, v2, v3
	v_mul_f32_e32 v3, v23, v73
	v_fma_f32 v3, v22, v88, -v3
	v_add_f32_e32 v2, v2, v3
	v_mul_f32_e32 v3, v25, v74
	v_fma_f32 v3, v24, v89, -v3
	v_add_f32_e32 v2, v2, v3
	v_mul_f32_e32 v3, v27, v75
	v_fma_f32 v3, v26, v90, -v3
	v_add_f32_e32 v2, v2, v3
	v_mul_f32_e32 v3, v29, v76
	v_fma_f32 v3, v28, v91, -v3
	v_add_f32_e32 v2, v2, v3
	v_mul_f32_e32 v3, v31, v77
	v_fma_f32 v3, v30, v92, -v3
	v_add_f32_e32 v2, v2, v3
	v_mul_f32_e32 v3, v33, v93
	v_fma_f32 v3, v32, v94, -v3
	s_waitcnt vmcnt(15)
	v_mov_b32_e32 v16, v45
	s_waitcnt lgkmcnt(1)
	v_mul_f32_e32 v57, v34, v95
	v_add_f32_e32 v54, v2, v3
	v_mul_f32_e32 v2, v35, v95
	s_waitcnt lgkmcnt(0)
	v_pk_mul_f32 v[16:17], v[38:39], v[16:17] op_sel_hi:[1,0]
	v_fmac_f32_e32 v57, v35, v96
	v_mul_f32_e32 v59, v36, v97
	v_fma_f32 v56, v34, v96, -v2
	v_mul_f32_e32 v2, v37, v97
	s_waitcnt vmcnt(14)
	v_pk_fma_f32 v[18:19], v[38:39], v[44:45], v[16:17] op_sel:[0,0,1] op_sel_hi:[1,1,0] neg_lo:[0,0,1] neg_hi:[0,0,1]
	v_pk_fma_f32 v[16:17], v[38:39], v[44:45], v[16:17] op_sel:[0,0,1] op_sel_hi:[1,0,0]
	v_fmac_f32_e32 v59, v37, v98
	v_fma_f32 v58, v36, v98, -v2
	v_pk_add_f32 v[14:15], v[54:55], v[56:57]
	ds_read_b128 v[2:5], v1 offset:848
	ds_read_b128 v[6:9], v1 offset:864
	;; [unrolled: 1-line block ×3, first 2 shown]
	v_pk_add_f32 v[14:15], v[14:15], v[58:59]
	v_mov_b32_e32 v19, v17
	v_pk_add_f32 v[14:15], v[14:15], v[18:19]
	s_waitcnt vmcnt(7)
	v_mov_b32_e32 v16, v53
	v_pk_mul_f32 v[16:17], v[40:41], v[16:17] op_sel_hi:[1,0]
	s_waitcnt vmcnt(6)
	v_pk_fma_f32 v[18:19], v[40:41], v[52:53], v[16:17] op_sel:[0,0,1] op_sel_hi:[1,1,0] neg_lo:[0,0,1] neg_hi:[0,0,1]
	v_pk_fma_f32 v[16:17], v[40:41], v[52:53], v[16:17] op_sel:[0,0,1] op_sel_hi:[1,0,0]
	v_mov_b32_e32 v16, v51
	v_mov_b32_e32 v19, v17
	s_waitcnt lgkmcnt(2)
	v_pk_mul_f32 v[16:17], v[2:3], v[16:17] op_sel_hi:[1,0]
	v_pk_add_f32 v[14:15], v[14:15], v[18:19]
	v_pk_fma_f32 v[18:19], v[2:3], v[50:51], v[16:17] op_sel:[0,0,1] op_sel_hi:[1,1,0] neg_lo:[0,0,1] neg_hi:[0,0,1]
	v_pk_fma_f32 v[2:3], v[2:3], v[50:51], v[16:17] op_sel:[0,0,1] op_sel_hi:[1,0,0]
	v_mov_b32_e32 v19, v3
	v_pk_add_f32 v[2:3], v[14:15], v[18:19]
	v_mov_b32_e32 v14, v49
	v_pk_mul_f32 v[14:15], v[4:5], v[14:15] op_sel_hi:[1,0]
	v_pk_fma_f32 v[16:17], v[4:5], v[48:49], v[14:15] op_sel:[0,0,1] op_sel_hi:[1,1,0] neg_lo:[0,0,1] neg_hi:[0,0,1]
	v_pk_fma_f32 v[4:5], v[4:5], v[48:49], v[14:15] op_sel:[0,0,1] op_sel_hi:[1,0,0]
	v_mov_b32_e32 v4, v47
	v_mov_b32_e32 v17, v5
	s_waitcnt lgkmcnt(1)
	v_pk_mul_f32 v[4:5], v[6:7], v[4:5] op_sel_hi:[1,0]
	v_pk_fma_f32 v[14:15], v[6:7], v[46:47], v[4:5] op_sel:[0,0,1] op_sel_hi:[1,1,0] neg_lo:[0,0,1] neg_hi:[0,0,1]
	v_pk_fma_f32 v[4:5], v[6:7], v[46:47], v[4:5] op_sel:[0,0,1] op_sel_hi:[1,0,0]
	s_waitcnt vmcnt(1)
	v_mov_b32_e32 v4, v65
	v_mov_b32_e32 v15, v5
	v_pk_mul_f32 v[4:5], v[8:9], v[4:5] op_sel_hi:[1,0]
	s_waitcnt vmcnt(0)
	v_pk_fma_f32 v[6:7], v[8:9], v[64:65], v[4:5] op_sel:[0,0,1] op_sel_hi:[1,1,0] neg_lo:[0,0,1] neg_hi:[0,0,1]
	v_pk_fma_f32 v[4:5], v[8:9], v[64:65], v[4:5] op_sel:[0,0,1] op_sel_hi:[1,0,0]
	v_pk_add_f32 v[2:3], v[2:3], v[16:17]
	v_mov_b32_e32 v4, v63
	v_pk_add_f32 v[2:3], v[2:3], v[14:15]
	v_mov_b32_e32 v7, v5
	s_waitcnt lgkmcnt(0)
	v_pk_mul_f32 v[4:5], v[10:11], v[4:5] op_sel_hi:[1,0]
	v_pk_add_f32 v[2:3], v[2:3], v[6:7]
	v_pk_fma_f32 v[6:7], v[10:11], v[62:63], v[4:5] op_sel:[0,0,1] op_sel_hi:[1,1,0] neg_lo:[0,0,1] neg_hi:[0,0,1]
	v_pk_fma_f32 v[4:5], v[10:11], v[62:63], v[4:5] op_sel:[0,0,1] op_sel_hi:[1,0,0]
	v_mov_b32_e32 v4, v61
	v_mov_b32_e32 v7, v5
	v_pk_mul_f32 v[4:5], v[12:13], v[4:5] op_sel_hi:[1,0]
	v_pk_add_f32 v[2:3], v[2:3], v[6:7]
	v_pk_fma_f32 v[6:7], v[12:13], v[60:61], v[4:5] op_sel:[0,0,1] op_sel_hi:[1,1,0] neg_lo:[0,0,1] neg_hi:[0,0,1]
	v_pk_fma_f32 v[4:5], v[12:13], v[60:61], v[4:5] op_sel:[0,0,1] op_sel_hi:[1,0,0]
	v_mov_b32_e32 v7, v5
	v_pk_add_f32 v[2:3], v[2:3], v[6:7]
	v_pk_add_f32 v[2:3], v[42:43], v[2:3] neg_lo:[0,1] neg_hi:[0,1]
	buffer_store_dword v3, off, s[0:3], 0 offset:236
	buffer_store_dword v2, off, s[0:3], 0 offset:232
	s_and_saveexec_b64 s[4:5], vcc
	s_cbranch_execz .LBB55_293
; %bb.292:
	buffer_load_dword v2, off, s[0:3], 0 offset:224
	buffer_load_dword v3, off, s[0:3], 0 offset:228
	v_mov_b32_e32 v1, 0
	buffer_store_dword v1, off, s[0:3], 0 offset:224
	buffer_store_dword v1, off, s[0:3], 0 offset:228
	s_waitcnt vmcnt(2)
	ds_write_b64 v161, v[2:3]
.LBB55_293:
	s_or_b64 exec, exec, s[4:5]
	s_waitcnt lgkmcnt(0)
	; wave barrier
	s_waitcnt lgkmcnt(0)
	buffer_load_dword v52, off, s[0:3], 0 offset:236
	buffer_load_dword v54, off, s[0:3], 0 offset:244
	;; [unrolled: 1-line block ×40, first 2 shown]
	v_mov_b32_e32 v1, 0
	ds_read2_b64 v[4:7], v1 offset0:85 offset1:86
	ds_read2_b64 v[8:11], v1 offset0:87 offset1:88
	;; [unrolled: 1-line block ×8, first 2 shown]
	v_cmp_lt_u32_e32 vcc, 27, v0
	s_waitcnt vmcnt(39) lgkmcnt(7)
	v_mul_f32_e32 v36, v4, v52
	s_waitcnt vmcnt(38)
	v_mul_f32_e32 v37, v6, v54
	s_waitcnt vmcnt(37) lgkmcnt(6)
	v_mul_f32_e32 v38, v8, v56
	s_waitcnt vmcnt(36)
	v_mul_f32_e32 v39, v10, v66
	;; [unrolled: 4-line block ×8, first 2 shown]
	s_waitcnt vmcnt(23)
	v_fmac_f32_e32 v36, v5, v79
	s_waitcnt vmcnt(22)
	v_fmac_f32_e32 v37, v7, v80
	v_add_f32_e32 v36, 0, v36
	s_waitcnt vmcnt(21)
	v_fmac_f32_e32 v38, v9, v81
	v_add_f32_e32 v36, v36, v37
	;; [unrolled: 3-line block ×14, first 2 shown]
	v_add_f32_e32 v36, v36, v50
	s_waitcnt vmcnt(8)
	v_fmac_f32_e32 v51, v35, v94
	v_add_f32_e32 v53, v36, v51
	ds_read2_b64 v[36:39], v1 offset0:101 offset1:102
	buffer_load_dword v45, off, s[0:3], 0 offset:388
	buffer_load_dword v47, off, s[0:3], 0 offset:412
	;; [unrolled: 1-line block ×8, first 2 shown]
	ds_read2_b64 v[40:43], v1 offset0:103 offset1:104
	buffer_load_dword v59, off, s[0:3], 0 offset:444
	buffer_load_dword v58, off, s[0:3], 0 offset:440
	;; [unrolled: 1-line block ×8, first 2 shown]
	v_mul_f32_e32 v5, v5, v52
	v_fma_f32 v4, v4, v79, -v5
	v_mul_f32_e32 v5, v7, v54
	v_add_f32_e32 v4, 0, v4
	v_fma_f32 v5, v6, v80, -v5
	v_add_f32_e32 v4, v4, v5
	v_mul_f32_e32 v5, v9, v56
	v_fma_f32 v5, v8, v81, -v5
	v_add_f32_e32 v4, v4, v5
	v_mul_f32_e32 v5, v11, v66
	;; [unrolled: 3-line block ×14, first 2 shown]
	v_fma_f32 v5, v34, v94, -v5
	v_add_f32_e32 v4, v4, v5
	s_waitcnt vmcnt(23) lgkmcnt(1)
	v_mul_f32_e32 v5, v37, v95
	v_mul_f32_e32 v55, v36, v95
	s_waitcnt vmcnt(22)
	v_fma_f32 v5, v36, v96, -v5
	v_fmac_f32_e32 v55, v37, v96
	v_add_f32_e32 v52, v4, v5
	s_waitcnt vmcnt(21)
	v_mul_f32_e32 v4, v39, v97
	v_add_f32_e32 v53, v53, v55
	v_mul_f32_e32 v55, v38, v97
	s_waitcnt vmcnt(20)
	v_fma_f32 v54, v38, v98, -v4
	s_waitcnt vmcnt(19) lgkmcnt(0)
	v_mul_f32_e32 v4, v41, v99
	v_fmac_f32_e32 v55, v39, v98
	v_mul_f32_e32 v57, v40, v99
	s_waitcnt vmcnt(18)
	v_fma_f32 v56, v40, v100, -v4
	ds_read2_b64 v[4:7], v1 offset0:105 offset1:106
	ds_read2_b64 v[8:11], v1 offset0:107 offset1:108
	;; [unrolled: 1-line block ×3, first 2 shown]
	ds_read_b64 v[16:17], v1 offset:888
	v_fmac_f32_e32 v57, v41, v100
	v_pk_add_f32 v[18:19], v[52:53], v[54:55]
	v_pk_add_f32 v[18:19], v[18:19], v[56:57]
	s_waitcnt vmcnt(15)
	v_mov_b32_e32 v20, v45
	v_pk_mul_f32 v[20:21], v[42:43], v[20:21] op_sel_hi:[1,0]
	s_waitcnt vmcnt(8)
	v_pk_fma_f32 v[22:23], v[42:43], v[44:45], v[20:21] op_sel:[0,0,1] op_sel_hi:[1,1,0] neg_lo:[0,0,1] neg_hi:[0,0,1]
	v_pk_fma_f32 v[20:21], v[42:43], v[44:45], v[20:21] op_sel:[0,0,1] op_sel_hi:[1,0,0]
	v_mov_b32_e32 v20, v51
	v_mov_b32_e32 v23, v21
	s_waitcnt lgkmcnt(3)
	v_pk_mul_f32 v[20:21], v[4:5], v[20:21] op_sel_hi:[1,0]
	v_pk_add_f32 v[18:19], v[18:19], v[22:23]
	v_pk_fma_f32 v[22:23], v[4:5], v[50:51], v[20:21] op_sel:[0,0,1] op_sel_hi:[1,1,0] neg_lo:[0,0,1] neg_hi:[0,0,1]
	v_pk_fma_f32 v[4:5], v[4:5], v[50:51], v[20:21] op_sel:[0,0,1] op_sel_hi:[1,0,0]
	v_mov_b32_e32 v23, v5
	v_pk_add_f32 v[4:5], v[18:19], v[22:23]
	v_mov_b32_e32 v18, v49
	v_pk_mul_f32 v[18:19], v[6:7], v[18:19] op_sel_hi:[1,0]
	v_pk_fma_f32 v[20:21], v[6:7], v[48:49], v[18:19] op_sel:[0,0,1] op_sel_hi:[1,1,0] neg_lo:[0,0,1] neg_hi:[0,0,1]
	v_pk_fma_f32 v[6:7], v[6:7], v[48:49], v[18:19] op_sel:[0,0,1] op_sel_hi:[1,0,0]
	v_mov_b32_e32 v6, v47
	v_mov_b32_e32 v21, v7
	s_waitcnt lgkmcnt(2)
	v_pk_mul_f32 v[6:7], v[8:9], v[6:7] op_sel_hi:[1,0]
	v_pk_fma_f32 v[18:19], v[8:9], v[46:47], v[6:7] op_sel:[0,0,1] op_sel_hi:[1,1,0] neg_lo:[0,0,1] neg_hi:[0,0,1]
	v_pk_fma_f32 v[6:7], v[8:9], v[46:47], v[6:7] op_sel:[0,0,1] op_sel_hi:[1,0,0]
	s_waitcnt vmcnt(1)
	v_mov_b32_e32 v6, v65
	v_mov_b32_e32 v19, v7
	v_pk_mul_f32 v[6:7], v[10:11], v[6:7] op_sel_hi:[1,0]
	s_waitcnt vmcnt(0)
	v_pk_fma_f32 v[8:9], v[10:11], v[64:65], v[6:7] op_sel:[0,0,1] op_sel_hi:[1,1,0] neg_lo:[0,0,1] neg_hi:[0,0,1]
	v_pk_fma_f32 v[6:7], v[10:11], v[64:65], v[6:7] op_sel:[0,0,1] op_sel_hi:[1,0,0]
	v_pk_add_f32 v[4:5], v[4:5], v[20:21]
	v_mov_b32_e32 v6, v63
	v_pk_add_f32 v[4:5], v[4:5], v[18:19]
	v_mov_b32_e32 v9, v7
	s_waitcnt lgkmcnt(1)
	v_pk_mul_f32 v[6:7], v[12:13], v[6:7] op_sel_hi:[1,0]
	v_pk_add_f32 v[4:5], v[4:5], v[8:9]
	v_pk_fma_f32 v[8:9], v[12:13], v[62:63], v[6:7] op_sel:[0,0,1] op_sel_hi:[1,1,0] neg_lo:[0,0,1] neg_hi:[0,0,1]
	v_pk_fma_f32 v[6:7], v[12:13], v[62:63], v[6:7] op_sel:[0,0,1] op_sel_hi:[1,0,0]
	v_mov_b32_e32 v6, v61
	v_mov_b32_e32 v9, v7
	v_pk_mul_f32 v[6:7], v[14:15], v[6:7] op_sel_hi:[1,0]
	v_pk_add_f32 v[4:5], v[4:5], v[8:9]
	v_pk_fma_f32 v[8:9], v[14:15], v[60:61], v[6:7] op_sel:[0,0,1] op_sel_hi:[1,1,0] neg_lo:[0,0,1] neg_hi:[0,0,1]
	v_pk_fma_f32 v[6:7], v[14:15], v[60:61], v[6:7] op_sel:[0,0,1] op_sel_hi:[1,0,0]
	v_mov_b32_e32 v6, v59
	v_mov_b32_e32 v9, v7
	s_waitcnt lgkmcnt(0)
	v_pk_mul_f32 v[6:7], v[16:17], v[6:7] op_sel_hi:[1,0]
	v_pk_add_f32 v[4:5], v[4:5], v[8:9]
	v_pk_fma_f32 v[8:9], v[16:17], v[58:59], v[6:7] op_sel:[0,0,1] op_sel_hi:[1,1,0] neg_lo:[0,0,1] neg_hi:[0,0,1]
	v_pk_fma_f32 v[6:7], v[16:17], v[58:59], v[6:7] op_sel:[0,0,1] op_sel_hi:[1,0,0]
	v_mov_b32_e32 v9, v7
	v_pk_add_f32 v[4:5], v[4:5], v[8:9]
	v_pk_add_f32 v[2:3], v[2:3], v[4:5] neg_lo:[0,1] neg_hi:[0,1]
	buffer_store_dword v3, off, s[0:3], 0 offset:228
	buffer_store_dword v2, off, s[0:3], 0 offset:224
	s_and_saveexec_b64 s[4:5], vcc
	s_cbranch_execz .LBB55_295
; %bb.294:
	buffer_load_dword v2, off, s[0:3], 0 offset:216
	buffer_load_dword v3, off, s[0:3], 0 offset:220
	s_waitcnt vmcnt(0)
	ds_write_b64 v161, v[2:3]
	buffer_store_dword v1, off, s[0:3], 0 offset:216
	buffer_store_dword v1, off, s[0:3], 0 offset:220
.LBB55_295:
	s_or_b64 exec, exec, s[4:5]
	s_waitcnt lgkmcnt(0)
	; wave barrier
	s_waitcnt lgkmcnt(0)
	buffer_load_dword v44, off, s[0:3], 0 offset:228
	buffer_load_dword v46, off, s[0:3], 0 offset:236
	;; [unrolled: 1-line block ×42, first 2 shown]
	ds_read_b128 v[4:7], v1 offset:672
	ds_read_b128 v[8:11], v1 offset:688
	;; [unrolled: 1-line block ×8, first 2 shown]
	v_cmp_lt_u32_e32 vcc, 26, v0
	s_waitcnt vmcnt(41) lgkmcnt(7)
	v_mul_f32_e32 v36, v4, v44
	s_waitcnt vmcnt(40)
	v_mul_f32_e32 v37, v6, v46
	s_waitcnt vmcnt(39) lgkmcnt(6)
	v_mul_f32_e32 v38, v8, v54
	s_waitcnt vmcnt(38)
	v_mul_f32_e32 v39, v10, v66
	s_waitcnt vmcnt(37) lgkmcnt(5)
	v_mul_f32_e32 v40, v12, v67
	s_waitcnt vmcnt(36)
	v_mul_f32_e32 v41, v14, v68
	s_waitcnt vmcnt(35) lgkmcnt(4)
	v_mul_f32_e32 v42, v16, v69
	s_waitcnt vmcnt(34)
	v_mul_f32_e32 v43, v18, v70
	s_waitcnt vmcnt(33) lgkmcnt(3)
	v_mul_f32_e32 v45, v20, v71
	s_waitcnt vmcnt(32)
	v_mul_f32_e32 v47, v22, v72
	s_waitcnt vmcnt(31) lgkmcnt(2)
	v_mul_f32_e32 v48, v24, v73
	s_waitcnt vmcnt(30)
	v_mul_f32_e32 v49, v26, v74
	s_waitcnt vmcnt(29) lgkmcnt(1)
	v_mul_f32_e32 v50, v28, v75
	s_waitcnt vmcnt(28)
	v_mul_f32_e32 v51, v30, v76
	s_waitcnt vmcnt(27) lgkmcnt(0)
	v_mul_f32_e32 v52, v32, v77
	s_waitcnt vmcnt(26)
	v_fmac_f32_e32 v36, v5, v78
	s_waitcnt vmcnt(25)
	v_fmac_f32_e32 v37, v7, v79
	v_add_f32_e32 v36, 0, v36
	s_waitcnt vmcnt(24)
	v_fmac_f32_e32 v38, v9, v80
	v_add_f32_e32 v36, v36, v37
	s_waitcnt vmcnt(23)
	v_fmac_f32_e32 v39, v11, v81
	v_add_f32_e32 v36, v36, v38
	s_waitcnt vmcnt(22)
	v_fmac_f32_e32 v40, v13, v82
	v_add_f32_e32 v36, v36, v39
	s_waitcnt vmcnt(21)
	v_fmac_f32_e32 v41, v15, v83
	v_add_f32_e32 v36, v36, v40
	s_waitcnt vmcnt(20)
	v_fmac_f32_e32 v42, v17, v84
	v_add_f32_e32 v36, v36, v41
	s_waitcnt vmcnt(19)
	v_fmac_f32_e32 v43, v19, v85
	v_add_f32_e32 v36, v36, v42
	s_waitcnt vmcnt(18)
	v_fmac_f32_e32 v45, v21, v86
	v_add_f32_e32 v36, v36, v43
	s_waitcnt vmcnt(17)
	v_fmac_f32_e32 v47, v23, v87
	v_add_f32_e32 v36, v36, v45
	s_waitcnt vmcnt(16)
	v_fmac_f32_e32 v48, v25, v88
	v_add_f32_e32 v36, v36, v47
	s_waitcnt vmcnt(15)
	v_fmac_f32_e32 v49, v27, v89
	v_add_f32_e32 v36, v36, v48
	s_waitcnt vmcnt(14)
	v_fmac_f32_e32 v50, v29, v90
	v_add_f32_e32 v36, v36, v49
	s_waitcnt vmcnt(13)
	v_fmac_f32_e32 v51, v31, v91
	v_add_f32_e32 v36, v36, v50
	s_waitcnt vmcnt(12)
	v_fmac_f32_e32 v52, v33, v92
	v_add_f32_e32 v36, v36, v51
	s_waitcnt vmcnt(11)
	v_mul_f32_e32 v41, v34, v93
	v_add_f32_e32 v40, v36, v52
	s_waitcnt vmcnt(10)
	v_fmac_f32_e32 v41, v35, v94
	ds_read_b128 v[36:39], v1 offset:800
	v_add_f32_e32 v45, v40, v41
	ds_read_b128 v[40:43], v1 offset:816
	buffer_load_dword v49, off, s[0:3], 0 offset:388
	buffer_load_dword v51, off, s[0:3], 0 offset:404
	;; [unrolled: 1-line block ×16, first 2 shown]
	v_mul_f32_e32 v5, v5, v44
	v_fma_f32 v4, v4, v78, -v5
	v_mul_f32_e32 v5, v7, v46
	v_add_f32_e32 v4, 0, v4
	v_fma_f32 v5, v6, v79, -v5
	v_add_f32_e32 v4, v4, v5
	v_mul_f32_e32 v5, v9, v54
	v_fma_f32 v5, v8, v80, -v5
	v_add_f32_e32 v4, v4, v5
	v_mul_f32_e32 v5, v11, v66
	v_fma_f32 v5, v10, v81, -v5
	v_add_f32_e32 v4, v4, v5
	v_mul_f32_e32 v5, v13, v67
	v_fma_f32 v5, v12, v82, -v5
	v_add_f32_e32 v4, v4, v5
	v_mul_f32_e32 v5, v15, v68
	v_fma_f32 v5, v14, v83, -v5
	v_add_f32_e32 v4, v4, v5
	v_mul_f32_e32 v5, v17, v69
	v_fma_f32 v5, v16, v84, -v5
	v_add_f32_e32 v4, v4, v5
	v_mul_f32_e32 v5, v19, v70
	v_fma_f32 v5, v18, v85, -v5
	v_add_f32_e32 v4, v4, v5
	v_mul_f32_e32 v5, v21, v71
	v_fma_f32 v5, v20, v86, -v5
	v_add_f32_e32 v4, v4, v5
	v_mul_f32_e32 v5, v23, v72
	v_fma_f32 v5, v22, v87, -v5
	v_add_f32_e32 v4, v4, v5
	v_mul_f32_e32 v5, v25, v73
	v_fma_f32 v5, v24, v88, -v5
	v_add_f32_e32 v4, v4, v5
	v_mul_f32_e32 v5, v27, v74
	v_fma_f32 v5, v26, v89, -v5
	v_add_f32_e32 v4, v4, v5
	v_mul_f32_e32 v5, v29, v75
	v_fma_f32 v5, v28, v90, -v5
	v_add_f32_e32 v4, v4, v5
	v_mul_f32_e32 v5, v31, v76
	v_fma_f32 v5, v30, v91, -v5
	v_add_f32_e32 v4, v4, v5
	v_mul_f32_e32 v5, v33, v77
	v_fma_f32 v5, v32, v92, -v5
	v_add_f32_e32 v4, v4, v5
	v_mul_f32_e32 v5, v35, v93
	v_fma_f32 v5, v34, v94, -v5
	v_add_f32_e32 v4, v4, v5
	s_waitcnt vmcnt(25) lgkmcnt(1)
	v_mul_f32_e32 v5, v37, v95
	s_waitcnt vmcnt(24)
	v_fma_f32 v5, v36, v96, -v5
	v_add_f32_e32 v4, v4, v5
	s_waitcnt vmcnt(23)
	v_mul_f32_e32 v5, v39, v97
	v_mul_f32_e32 v47, v36, v95
	s_waitcnt vmcnt(22)
	v_fma_f32 v5, v38, v98, -v5
	v_fmac_f32_e32 v47, v37, v96
	v_add_f32_e32 v44, v4, v5
	s_waitcnt vmcnt(21) lgkmcnt(0)
	v_mul_f32_e32 v4, v41, v99
	v_add_f32_e32 v45, v45, v47
	v_mul_f32_e32 v47, v38, v97
	s_waitcnt vmcnt(20)
	v_fma_f32 v46, v40, v100, -v4
	s_waitcnt vmcnt(19)
	v_mul_f32_e32 v4, v43, v101
	v_fmac_f32_e32 v47, v39, v98
	s_waitcnt vmcnt(18)
	v_fma_f32 v54, v42, v102, -v4
	ds_read_b128 v[4:7], v1 offset:832
	ds_read_b128 v[8:11], v1 offset:848
	;; [unrolled: 1-line block ×4, first 2 shown]
	v_add_f32_e32 v45, v45, v47
	v_mul_f32_e32 v47, v40, v99
	v_fmac_f32_e32 v47, v41, v100
	v_mul_f32_e32 v55, v42, v101
	v_fmac_f32_e32 v55, v43, v102
	v_pk_add_f32 v[20:21], v[44:45], v[46:47]
	v_pk_add_f32 v[20:21], v[20:21], v[54:55]
	s_waitcnt vmcnt(15)
	v_mov_b32_e32 v22, v49
	s_waitcnt lgkmcnt(3)
	v_pk_mul_f32 v[22:23], v[4:5], v[22:23] op_sel_hi:[1,0]
	s_waitcnt vmcnt(10)
	v_pk_fma_f32 v[24:25], v[4:5], v[48:49], v[22:23] op_sel:[0,0,1] op_sel_hi:[1,1,0] neg_lo:[0,0,1] neg_hi:[0,0,1]
	v_pk_fma_f32 v[4:5], v[4:5], v[48:49], v[22:23] op_sel:[0,0,1] op_sel_hi:[1,0,0]
	v_mov_b32_e32 v25, v5
	v_pk_add_f32 v[4:5], v[20:21], v[24:25]
	v_mov_b32_e32 v20, v53
	v_pk_mul_f32 v[20:21], v[6:7], v[20:21] op_sel_hi:[1,0]
	v_pk_fma_f32 v[22:23], v[6:7], v[52:53], v[20:21] op_sel:[0,0,1] op_sel_hi:[1,1,0] neg_lo:[0,0,1] neg_hi:[0,0,1]
	v_pk_fma_f32 v[6:7], v[6:7], v[52:53], v[20:21] op_sel:[0,0,1] op_sel_hi:[1,0,0]
	v_mov_b32_e32 v6, v51
	v_mov_b32_e32 v23, v7
	s_waitcnt lgkmcnt(2)
	v_pk_mul_f32 v[6:7], v[8:9], v[6:7] op_sel_hi:[1,0]
	v_pk_fma_f32 v[20:21], v[8:9], v[50:51], v[6:7] op_sel:[0,0,1] op_sel_hi:[1,1,0] neg_lo:[0,0,1] neg_hi:[0,0,1]
	v_pk_fma_f32 v[6:7], v[8:9], v[50:51], v[6:7] op_sel:[0,0,1] op_sel_hi:[1,0,0]
	s_waitcnt vmcnt(3)
	v_mov_b32_e32 v6, v63
	v_mov_b32_e32 v21, v7
	v_pk_mul_f32 v[6:7], v[10:11], v[6:7] op_sel_hi:[1,0]
	s_waitcnt vmcnt(2)
	v_pk_fma_f32 v[8:9], v[10:11], v[62:63], v[6:7] op_sel:[0,0,1] op_sel_hi:[1,1,0] neg_lo:[0,0,1] neg_hi:[0,0,1]
	v_pk_fma_f32 v[6:7], v[10:11], v[62:63], v[6:7] op_sel:[0,0,1] op_sel_hi:[1,0,0]
	v_pk_add_f32 v[4:5], v[4:5], v[22:23]
	v_mov_b32_e32 v6, v61
	v_pk_add_f32 v[4:5], v[4:5], v[20:21]
	v_mov_b32_e32 v9, v7
	s_waitcnt lgkmcnt(1)
	v_pk_mul_f32 v[6:7], v[12:13], v[6:7] op_sel_hi:[1,0]
	v_pk_add_f32 v[4:5], v[4:5], v[8:9]
	v_pk_fma_f32 v[8:9], v[12:13], v[60:61], v[6:7] op_sel:[0,0,1] op_sel_hi:[1,1,0] neg_lo:[0,0,1] neg_hi:[0,0,1]
	v_pk_fma_f32 v[6:7], v[12:13], v[60:61], v[6:7] op_sel:[0,0,1] op_sel_hi:[1,0,0]
	v_mov_b32_e32 v6, v59
	v_mov_b32_e32 v9, v7
	v_pk_mul_f32 v[6:7], v[14:15], v[6:7] op_sel_hi:[1,0]
	v_pk_add_f32 v[4:5], v[4:5], v[8:9]
	v_pk_fma_f32 v[8:9], v[14:15], v[58:59], v[6:7] op_sel:[0,0,1] op_sel_hi:[1,1,0] neg_lo:[0,0,1] neg_hi:[0,0,1]
	v_pk_fma_f32 v[6:7], v[14:15], v[58:59], v[6:7] op_sel:[0,0,1] op_sel_hi:[1,0,0]
	v_mov_b32_e32 v6, v57
	v_mov_b32_e32 v9, v7
	s_waitcnt lgkmcnt(0)
	v_pk_mul_f32 v[6:7], v[16:17], v[6:7] op_sel_hi:[1,0]
	v_pk_add_f32 v[4:5], v[4:5], v[8:9]
	v_pk_fma_f32 v[8:9], v[16:17], v[56:57], v[6:7] op_sel:[0,0,1] op_sel_hi:[1,1,0] neg_lo:[0,0,1] neg_hi:[0,0,1]
	v_pk_fma_f32 v[6:7], v[16:17], v[56:57], v[6:7] op_sel:[0,0,1] op_sel_hi:[1,0,0]
	s_waitcnt vmcnt(1)
	v_mov_b32_e32 v6, v65
	v_mov_b32_e32 v9, v7
	v_pk_mul_f32 v[6:7], v[18:19], v[6:7] op_sel_hi:[1,0]
	v_pk_add_f32 v[4:5], v[4:5], v[8:9]
	s_waitcnt vmcnt(0)
	v_pk_fma_f32 v[8:9], v[18:19], v[64:65], v[6:7] op_sel:[0,0,1] op_sel_hi:[1,1,0] neg_lo:[0,0,1] neg_hi:[0,0,1]
	v_pk_fma_f32 v[6:7], v[18:19], v[64:65], v[6:7] op_sel:[0,0,1] op_sel_hi:[1,0,0]
	v_mov_b32_e32 v9, v7
	v_pk_add_f32 v[4:5], v[4:5], v[8:9]
	v_pk_add_f32 v[2:3], v[2:3], v[4:5] neg_lo:[0,1] neg_hi:[0,1]
	buffer_store_dword v3, off, s[0:3], 0 offset:220
	buffer_store_dword v2, off, s[0:3], 0 offset:216
	s_and_saveexec_b64 s[4:5], vcc
	s_cbranch_execz .LBB55_297
; %bb.296:
	buffer_load_dword v2, off, s[0:3], 0 offset:208
	buffer_load_dword v3, off, s[0:3], 0 offset:212
	v_mov_b32_e32 v1, 0
	buffer_store_dword v1, off, s[0:3], 0 offset:208
	buffer_store_dword v1, off, s[0:3], 0 offset:212
	s_waitcnt vmcnt(2)
	ds_write_b64 v161, v[2:3]
.LBB55_297:
	s_or_b64 exec, exec, s[4:5]
	s_waitcnt lgkmcnt(0)
	; wave barrier
	s_waitcnt lgkmcnt(0)
	buffer_load_dword v52, off, s[0:3], 0 offset:220
	buffer_load_dword v58, off, s[0:3], 0 offset:228
	;; [unrolled: 1-line block ×44, first 2 shown]
	v_mov_b32_e32 v1, 0
	ds_read2_b64 v[4:7], v1 offset0:83 offset1:84
	ds_read2_b64 v[8:11], v1 offset0:85 offset1:86
	;; [unrolled: 1-line block ×8, first 2 shown]
	v_cmp_lt_u32_e32 vcc, 25, v0
	s_waitcnt vmcnt(43) lgkmcnt(7)
	v_mul_f32_e32 v36, v4, v52
	s_waitcnt vmcnt(42)
	v_mul_f32_e32 v37, v6, v58
	s_waitcnt vmcnt(41) lgkmcnt(6)
	v_mul_f32_e32 v38, v8, v60
	s_waitcnt vmcnt(40)
	v_mul_f32_e32 v39, v10, v74
	;; [unrolled: 4-line block ×7, first 2 shown]
	s_waitcnt vmcnt(29)
	v_fmac_f32_e32 v36, v5, v85
	s_waitcnt vmcnt(28)
	v_fmac_f32_e32 v37, v7, v86
	v_add_f32_e32 v36, 0, v36
	s_waitcnt vmcnt(27)
	v_fmac_f32_e32 v38, v9, v87
	v_add_f32_e32 v36, v36, v37
	;; [unrolled: 3-line block ×12, first 2 shown]
	v_add_f32_e32 v36, v36, v48
	s_waitcnt vmcnt(16)
	v_fmac_f32_e32 v49, v31, v98
	s_waitcnt vmcnt(15) lgkmcnt(0)
	v_mul_f32_e32 v37, v32, v99
	v_add_f32_e32 v36, v36, v49
	s_waitcnt vmcnt(14)
	v_fmac_f32_e32 v37, v33, v100
	v_add_f32_e32 v40, v36, v37
	ds_read2_b64 v[36:39], v1 offset0:99 offset1:100
	s_waitcnt vmcnt(13)
	v_mul_f32_e32 v41, v34, v101
	s_waitcnt vmcnt(12)
	v_fmac_f32_e32 v41, v35, v102
	v_add_f32_e32 v44, v40, v41
	ds_read2_b64 v[40:43], v1 offset0:101 offset1:102
	s_waitcnt vmcnt(11) lgkmcnt(1)
	v_mul_f32_e32 v45, v36, v103
	s_waitcnt vmcnt(10)
	v_fmac_f32_e32 v45, v37, v104
	v_add_f32_e32 v44, v44, v45
	s_waitcnt vmcnt(9)
	v_mul_f32_e32 v45, v38, v105
	s_waitcnt vmcnt(8)
	v_fmac_f32_e32 v45, v39, v106
	v_add_f32_e32 v44, v44, v45
	s_waitcnt vmcnt(7) lgkmcnt(0)
	v_mul_f32_e32 v45, v40, v107
	s_waitcnt vmcnt(6)
	v_fmac_f32_e32 v45, v41, v108
	v_add_f32_e32 v53, v44, v45
	ds_read2_b64 v[44:47], v1 offset0:103 offset1:104
	buffer_load_dword v55, off, s[0:3], 0 offset:396
	buffer_load_dword v54, off, s[0:3], 0 offset:392
	;; [unrolled: 1-line block ×4, first 2 shown]
	ds_read2_b64 v[48:51], v1 offset0:105 offset1:106
	buffer_load_dword v63, off, s[0:3], 0 offset:428
	buffer_load_dword v62, off, s[0:3], 0 offset:424
	;; [unrolled: 1-line block ×12, first 2 shown]
	v_mul_f32_e32 v5, v5, v52
	v_fma_f32 v4, v4, v85, -v5
	v_mul_f32_e32 v5, v7, v58
	v_add_f32_e32 v4, 0, v4
	v_fma_f32 v5, v6, v86, -v5
	v_add_f32_e32 v4, v4, v5
	v_mul_f32_e32 v5, v9, v60
	v_fma_f32 v5, v8, v87, -v5
	v_add_f32_e32 v4, v4, v5
	v_mul_f32_e32 v5, v11, v74
	v_fma_f32 v5, v10, v88, -v5
	v_add_f32_e32 v4, v4, v5
	v_mul_f32_e32 v5, v13, v75
	v_fma_f32 v5, v12, v89, -v5
	v_add_f32_e32 v4, v4, v5
	v_mul_f32_e32 v5, v15, v76
	v_fma_f32 v5, v14, v90, -v5
	v_add_f32_e32 v4, v4, v5
	v_mul_f32_e32 v5, v17, v77
	v_fma_f32 v5, v16, v91, -v5
	v_add_f32_e32 v4, v4, v5
	v_mul_f32_e32 v5, v19, v78
	v_fma_f32 v5, v18, v92, -v5
	v_add_f32_e32 v4, v4, v5
	v_mul_f32_e32 v5, v21, v79
	v_fma_f32 v5, v20, v93, -v5
	v_add_f32_e32 v4, v4, v5
	v_mul_f32_e32 v5, v23, v80
	v_fma_f32 v5, v22, v94, -v5
	v_add_f32_e32 v4, v4, v5
	v_mul_f32_e32 v5, v25, v81
	v_fma_f32 v5, v24, v95, -v5
	v_add_f32_e32 v4, v4, v5
	v_mul_f32_e32 v5, v27, v82
	v_fma_f32 v5, v26, v96, -v5
	v_add_f32_e32 v4, v4, v5
	v_mul_f32_e32 v5, v29, v83
	v_fma_f32 v5, v28, v97, -v5
	v_add_f32_e32 v4, v4, v5
	v_mul_f32_e32 v5, v31, v84
	v_fma_f32 v5, v30, v98, -v5
	v_add_f32_e32 v4, v4, v5
	v_mul_f32_e32 v5, v33, v99
	v_fma_f32 v5, v32, v100, -v5
	v_add_f32_e32 v4, v4, v5
	v_mul_f32_e32 v5, v35, v101
	v_fma_f32 v5, v34, v102, -v5
	v_add_f32_e32 v4, v4, v5
	v_mul_f32_e32 v5, v37, v103
	v_fma_f32 v5, v36, v104, -v5
	v_add_f32_e32 v4, v4, v5
	v_mul_f32_e32 v5, v39, v105
	v_fma_f32 v5, v38, v106, -v5
	v_add_f32_e32 v4, v4, v5
	v_mul_f32_e32 v5, v41, v107
	v_fma_f32 v5, v40, v108, -v5
	s_waitcnt vmcnt(21)
	v_mul_f32_e32 v59, v42, v109
	v_add_f32_e32 v52, v4, v5
	v_mul_f32_e32 v4, v43, v109
	s_waitcnt vmcnt(20)
	v_fmac_f32_e32 v59, v43, v110
	s_waitcnt vmcnt(19) lgkmcnt(1)
	v_mul_f32_e32 v61, v44, v111
	v_fma_f32 v58, v42, v110, -v4
	v_mul_f32_e32 v4, v45, v111
	s_waitcnt vmcnt(18)
	v_fmac_f32_e32 v61, v45, v112
	v_fma_f32 v60, v44, v112, -v4
	v_pk_add_f32 v[14:15], v[52:53], v[58:59]
	v_pk_add_f32 v[14:15], v[14:15], v[60:61]
	ds_read2_b64 v[4:7], v1 offset0:107 offset1:108
	ds_read2_b64 v[8:11], v1 offset0:109 offset1:110
	ds_read_b64 v[12:13], v1 offset:888
	s_waitcnt vmcnt(13)
	v_mov_b32_e32 v16, v57
	v_pk_mul_f32 v[16:17], v[46:47], v[16:17] op_sel_hi:[1,0]
	s_waitcnt vmcnt(12)
	v_pk_fma_f32 v[18:19], v[46:47], v[56:57], v[16:17] op_sel:[0,0,1] op_sel_hi:[1,1,0] neg_lo:[0,0,1] neg_hi:[0,0,1]
	v_pk_fma_f32 v[16:17], v[46:47], v[56:57], v[16:17] op_sel:[0,0,1] op_sel_hi:[1,0,0]
	v_mov_b32_e32 v16, v55
	v_mov_b32_e32 v19, v17
	s_waitcnt lgkmcnt(3)
	v_pk_mul_f32 v[16:17], v[48:49], v[16:17] op_sel_hi:[1,0]
	v_pk_add_f32 v[14:15], v[14:15], v[18:19]
	v_pk_fma_f32 v[18:19], v[48:49], v[54:55], v[16:17] op_sel:[0,0,1] op_sel_hi:[1,1,0] neg_lo:[0,0,1] neg_hi:[0,0,1]
	v_pk_fma_f32 v[16:17], v[48:49], v[54:55], v[16:17] op_sel:[0,0,1] op_sel_hi:[1,0,0]
	s_waitcnt vmcnt(5)
	v_mov_b32_e32 v16, v69
	v_mov_b32_e32 v19, v17
	v_pk_mul_f32 v[16:17], v[50:51], v[16:17] op_sel_hi:[1,0]
	v_pk_add_f32 v[14:15], v[14:15], v[18:19]
	s_waitcnt vmcnt(4)
	v_pk_fma_f32 v[18:19], v[50:51], v[68:69], v[16:17] op_sel:[0,0,1] op_sel_hi:[1,1,0] neg_lo:[0,0,1] neg_hi:[0,0,1]
	v_pk_fma_f32 v[16:17], v[50:51], v[68:69], v[16:17] op_sel:[0,0,1] op_sel_hi:[1,0,0]
	v_mov_b32_e32 v16, v67
	v_mov_b32_e32 v19, v17
	s_waitcnt lgkmcnt(2)
	v_pk_mul_f32 v[16:17], v[4:5], v[16:17] op_sel_hi:[1,0]
	v_pk_add_f32 v[14:15], v[14:15], v[18:19]
	v_pk_fma_f32 v[18:19], v[4:5], v[66:67], v[16:17] op_sel:[0,0,1] op_sel_hi:[1,1,0] neg_lo:[0,0,1] neg_hi:[0,0,1]
	v_pk_fma_f32 v[4:5], v[4:5], v[66:67], v[16:17] op_sel:[0,0,1] op_sel_hi:[1,0,0]
	v_mov_b32_e32 v19, v5
	v_pk_add_f32 v[4:5], v[14:15], v[18:19]
	v_mov_b32_e32 v14, v65
	v_pk_mul_f32 v[14:15], v[6:7], v[14:15] op_sel_hi:[1,0]
	v_pk_fma_f32 v[16:17], v[6:7], v[64:65], v[14:15] op_sel:[0,0,1] op_sel_hi:[1,1,0] neg_lo:[0,0,1] neg_hi:[0,0,1]
	v_pk_fma_f32 v[6:7], v[6:7], v[64:65], v[14:15] op_sel:[0,0,1] op_sel_hi:[1,0,0]
	v_mov_b32_e32 v6, v63
	v_mov_b32_e32 v17, v7
	s_waitcnt lgkmcnt(1)
	v_pk_mul_f32 v[6:7], v[8:9], v[6:7] op_sel_hi:[1,0]
	v_pk_fma_f32 v[14:15], v[8:9], v[62:63], v[6:7] op_sel:[0,0,1] op_sel_hi:[1,1,0] neg_lo:[0,0,1] neg_hi:[0,0,1]
	v_pk_fma_f32 v[6:7], v[8:9], v[62:63], v[6:7] op_sel:[0,0,1] op_sel_hi:[1,0,0]
	s_waitcnt vmcnt(1)
	v_mov_b32_e32 v6, v73
	v_mov_b32_e32 v15, v7
	v_pk_mul_f32 v[6:7], v[10:11], v[6:7] op_sel_hi:[1,0]
	s_waitcnt vmcnt(0)
	v_pk_fma_f32 v[8:9], v[10:11], v[72:73], v[6:7] op_sel:[0,0,1] op_sel_hi:[1,1,0] neg_lo:[0,0,1] neg_hi:[0,0,1]
	v_pk_fma_f32 v[6:7], v[10:11], v[72:73], v[6:7] op_sel:[0,0,1] op_sel_hi:[1,0,0]
	v_pk_add_f32 v[4:5], v[4:5], v[16:17]
	v_mov_b32_e32 v6, v71
	v_pk_add_f32 v[4:5], v[4:5], v[14:15]
	v_mov_b32_e32 v9, v7
	s_waitcnt lgkmcnt(0)
	v_pk_mul_f32 v[6:7], v[12:13], v[6:7] op_sel_hi:[1,0]
	v_pk_add_f32 v[4:5], v[4:5], v[8:9]
	v_pk_fma_f32 v[8:9], v[12:13], v[70:71], v[6:7] op_sel:[0,0,1] op_sel_hi:[1,1,0] neg_lo:[0,0,1] neg_hi:[0,0,1]
	v_pk_fma_f32 v[6:7], v[12:13], v[70:71], v[6:7] op_sel:[0,0,1] op_sel_hi:[1,0,0]
	v_mov_b32_e32 v9, v7
	v_pk_add_f32 v[4:5], v[4:5], v[8:9]
	v_pk_add_f32 v[2:3], v[2:3], v[4:5] neg_lo:[0,1] neg_hi:[0,1]
	buffer_store_dword v3, off, s[0:3], 0 offset:212
	buffer_store_dword v2, off, s[0:3], 0 offset:208
	s_and_saveexec_b64 s[4:5], vcc
	s_cbranch_execz .LBB55_299
; %bb.298:
	buffer_load_dword v2, off, s[0:3], 0 offset:200
	buffer_load_dword v3, off, s[0:3], 0 offset:204
	s_waitcnt vmcnt(0)
	ds_write_b64 v161, v[2:3]
	buffer_store_dword v1, off, s[0:3], 0 offset:200
	buffer_store_dword v1, off, s[0:3], 0 offset:204
.LBB55_299:
	s_or_b64 exec, exec, s[4:5]
	s_waitcnt lgkmcnt(0)
	; wave barrier
	s_waitcnt lgkmcnt(0)
	buffer_load_dword v54, off, s[0:3], 0 offset:212
	buffer_load_dword v56, off, s[0:3], 0 offset:220
	;; [unrolled: 1-line block ×46, first 2 shown]
	ds_read_b128 v[4:7], v1 offset:656
	ds_read_b128 v[8:11], v1 offset:672
	;; [unrolled: 1-line block ×8, first 2 shown]
	v_cmp_lt_u32_e32 vcc, 24, v0
	s_waitcnt vmcnt(45) lgkmcnt(7)
	v_mul_f32_e32 v36, v4, v54
	s_waitcnt vmcnt(44)
	v_mul_f32_e32 v37, v6, v56
	s_waitcnt vmcnt(43) lgkmcnt(6)
	v_mul_f32_e32 v38, v8, v58
	s_waitcnt vmcnt(42)
	v_mul_f32_e32 v39, v10, v74
	;; [unrolled: 4-line block ×6, first 2 shown]
	s_waitcnt vmcnt(33) lgkmcnt(1)
	v_mul_f32_e32 v48, v28, v83
	s_waitcnt vmcnt(32)
	v_fmac_f32_e32 v36, v5, v84
	s_waitcnt vmcnt(31)
	v_fmac_f32_e32 v37, v7, v85
	v_add_f32_e32 v36, 0, v36
	s_waitcnt vmcnt(30)
	v_fmac_f32_e32 v38, v9, v86
	v_add_f32_e32 v36, v36, v37
	;; [unrolled: 3-line block ×12, first 2 shown]
	s_waitcnt vmcnt(19)
	v_mul_f32_e32 v37, v30, v97
	v_add_f32_e32 v36, v36, v48
	s_waitcnt vmcnt(18)
	v_fmac_f32_e32 v37, v31, v98
	v_add_f32_e32 v36, v36, v37
	s_waitcnt vmcnt(17) lgkmcnt(0)
	v_mul_f32_e32 v37, v32, v99
	s_waitcnt vmcnt(16)
	v_fmac_f32_e32 v37, v33, v100
	v_add_f32_e32 v40, v36, v37
	ds_read_b128 v[36:39], v1 offset:784
	s_waitcnt vmcnt(15)
	v_mul_f32_e32 v41, v34, v101
	s_waitcnt vmcnt(14)
	v_fmac_f32_e32 v41, v35, v102
	v_add_f32_e32 v44, v40, v41
	ds_read_b128 v[40:43], v1 offset:800
	buffer_load_dword v53, off, s[0:3], 0 offset:388
	buffer_load_dword v52, off, s[0:3], 0 offset:384
	s_waitcnt vmcnt(15) lgkmcnt(1)
	v_mul_f32_e32 v45, v36, v103
	s_waitcnt vmcnt(14)
	v_fmac_f32_e32 v45, v37, v104
	v_add_f32_e32 v44, v44, v45
	s_waitcnt vmcnt(13)
	v_mul_f32_e32 v45, v38, v105
	s_waitcnt vmcnt(12)
	v_fmac_f32_e32 v45, v39, v106
	v_add_f32_e32 v44, v44, v45
	s_waitcnt vmcnt(11) lgkmcnt(0)
	v_mul_f32_e32 v45, v40, v107
	s_waitcnt vmcnt(10)
	v_fmac_f32_e32 v45, v41, v108
	s_waitcnt vmcnt(9)
	v_mul_f32_e32 v49, v42, v109
	v_add_f32_e32 v48, v44, v45
	s_waitcnt vmcnt(8)
	v_fmac_f32_e32 v49, v43, v110
	ds_read_b128 v[44:47], v1 offset:816
	v_add_f32_e32 v55, v48, v49
	ds_read_b128 v[48:51], v1 offset:832
	buffer_load_dword v61, off, s[0:3], 0 offset:420
	buffer_load_dword v60, off, s[0:3], 0 offset:416
	;; [unrolled: 1-line block ×14, first 2 shown]
	v_mul_f32_e32 v5, v5, v54
	v_fma_f32 v4, v4, v84, -v5
	v_mul_f32_e32 v5, v7, v56
	v_add_f32_e32 v4, 0, v4
	v_fma_f32 v5, v6, v85, -v5
	v_add_f32_e32 v4, v4, v5
	v_mul_f32_e32 v5, v9, v58
	v_fma_f32 v5, v8, v86, -v5
	v_add_f32_e32 v4, v4, v5
	v_mul_f32_e32 v5, v11, v74
	;; [unrolled: 3-line block ×18, first 2 shown]
	v_fma_f32 v5, v42, v110, -v5
	s_waitcnt vmcnt(21) lgkmcnt(1)
	v_mul_f32_e32 v57, v44, v111
	v_add_f32_e32 v54, v4, v5
	v_mul_f32_e32 v4, v45, v111
	s_waitcnt vmcnt(20)
	v_fmac_f32_e32 v57, v45, v112
	s_waitcnt vmcnt(15)
	v_mov_b32_e32 v18, v53
	s_waitcnt lgkmcnt(0)
	v_pk_mul_f32 v[18:19], v[48:49], v[18:19] op_sel_hi:[1,0]
	v_mul_f32_e32 v59, v46, v113
	v_fma_f32 v56, v44, v112, -v4
	v_mul_f32_e32 v4, v47, v113
	s_waitcnt vmcnt(14)
	v_pk_fma_f32 v[20:21], v[48:49], v[52:53], v[18:19] op_sel:[0,0,1] op_sel_hi:[1,1,0] neg_lo:[0,0,1] neg_hi:[0,0,1]
	v_pk_fma_f32 v[18:19], v[48:49], v[52:53], v[18:19] op_sel:[0,0,1] op_sel_hi:[1,0,0]
	v_fmac_f32_e32 v59, v47, v114
	v_fma_f32 v58, v46, v114, -v4
	v_pk_add_f32 v[16:17], v[54:55], v[56:57]
	s_waitcnt vmcnt(7)
	v_mov_b32_e32 v18, v67
	ds_read_b128 v[4:7], v1 offset:848
	ds_read_b128 v[8:11], v1 offset:864
	;; [unrolled: 1-line block ×3, first 2 shown]
	v_pk_add_f32 v[16:17], v[16:17], v[58:59]
	v_mov_b32_e32 v21, v19
	v_pk_mul_f32 v[18:19], v[50:51], v[18:19] op_sel_hi:[1,0]
	v_pk_add_f32 v[16:17], v[16:17], v[20:21]
	s_waitcnt vmcnt(6)
	v_pk_fma_f32 v[20:21], v[50:51], v[66:67], v[18:19] op_sel:[0,0,1] op_sel_hi:[1,1,0] neg_lo:[0,0,1] neg_hi:[0,0,1]
	v_pk_fma_f32 v[18:19], v[50:51], v[66:67], v[18:19] op_sel:[0,0,1] op_sel_hi:[1,0,0]
	v_mov_b32_e32 v18, v65
	v_mov_b32_e32 v21, v19
	s_waitcnt lgkmcnt(2)
	v_pk_mul_f32 v[18:19], v[4:5], v[18:19] op_sel_hi:[1,0]
	v_pk_add_f32 v[16:17], v[16:17], v[20:21]
	v_pk_fma_f32 v[20:21], v[4:5], v[64:65], v[18:19] op_sel:[0,0,1] op_sel_hi:[1,1,0] neg_lo:[0,0,1] neg_hi:[0,0,1]
	v_pk_fma_f32 v[4:5], v[4:5], v[64:65], v[18:19] op_sel:[0,0,1] op_sel_hi:[1,0,0]
	v_mov_b32_e32 v21, v5
	v_pk_add_f32 v[4:5], v[16:17], v[20:21]
	v_mov_b32_e32 v16, v63
	v_pk_mul_f32 v[16:17], v[6:7], v[16:17] op_sel_hi:[1,0]
	v_pk_fma_f32 v[18:19], v[6:7], v[62:63], v[16:17] op_sel:[0,0,1] op_sel_hi:[1,1,0] neg_lo:[0,0,1] neg_hi:[0,0,1]
	v_pk_fma_f32 v[6:7], v[6:7], v[62:63], v[16:17] op_sel:[0,0,1] op_sel_hi:[1,0,0]
	v_mov_b32_e32 v6, v61
	v_mov_b32_e32 v19, v7
	s_waitcnt lgkmcnt(1)
	v_pk_mul_f32 v[6:7], v[8:9], v[6:7] op_sel_hi:[1,0]
	v_pk_fma_f32 v[16:17], v[8:9], v[60:61], v[6:7] op_sel:[0,0,1] op_sel_hi:[1,1,0] neg_lo:[0,0,1] neg_hi:[0,0,1]
	v_pk_fma_f32 v[6:7], v[8:9], v[60:61], v[6:7] op_sel:[0,0,1] op_sel_hi:[1,0,0]
	s_waitcnt vmcnt(1)
	v_mov_b32_e32 v6, v73
	v_mov_b32_e32 v17, v7
	v_pk_mul_f32 v[6:7], v[10:11], v[6:7] op_sel_hi:[1,0]
	s_waitcnt vmcnt(0)
	v_pk_fma_f32 v[8:9], v[10:11], v[72:73], v[6:7] op_sel:[0,0,1] op_sel_hi:[1,1,0] neg_lo:[0,0,1] neg_hi:[0,0,1]
	v_pk_fma_f32 v[6:7], v[10:11], v[72:73], v[6:7] op_sel:[0,0,1] op_sel_hi:[1,0,0]
	v_pk_add_f32 v[4:5], v[4:5], v[18:19]
	v_mov_b32_e32 v6, v71
	v_pk_add_f32 v[4:5], v[4:5], v[16:17]
	v_mov_b32_e32 v9, v7
	s_waitcnt lgkmcnt(0)
	v_pk_mul_f32 v[6:7], v[12:13], v[6:7] op_sel_hi:[1,0]
	v_pk_add_f32 v[4:5], v[4:5], v[8:9]
	v_pk_fma_f32 v[8:9], v[12:13], v[70:71], v[6:7] op_sel:[0,0,1] op_sel_hi:[1,1,0] neg_lo:[0,0,1] neg_hi:[0,0,1]
	v_pk_fma_f32 v[6:7], v[12:13], v[70:71], v[6:7] op_sel:[0,0,1] op_sel_hi:[1,0,0]
	v_mov_b32_e32 v6, v69
	v_mov_b32_e32 v9, v7
	v_pk_mul_f32 v[6:7], v[14:15], v[6:7] op_sel_hi:[1,0]
	v_pk_add_f32 v[4:5], v[4:5], v[8:9]
	v_pk_fma_f32 v[8:9], v[14:15], v[68:69], v[6:7] op_sel:[0,0,1] op_sel_hi:[1,1,0] neg_lo:[0,0,1] neg_hi:[0,0,1]
	v_pk_fma_f32 v[6:7], v[14:15], v[68:69], v[6:7] op_sel:[0,0,1] op_sel_hi:[1,0,0]
	v_mov_b32_e32 v9, v7
	v_pk_add_f32 v[4:5], v[4:5], v[8:9]
	v_pk_add_f32 v[2:3], v[2:3], v[4:5] neg_lo:[0,1] neg_hi:[0,1]
	buffer_store_dword v3, off, s[0:3], 0 offset:204
	buffer_store_dword v2, off, s[0:3], 0 offset:200
	s_and_saveexec_b64 s[4:5], vcc
	s_cbranch_execz .LBB55_301
; %bb.300:
	buffer_load_dword v2, off, s[0:3], 0 offset:192
	buffer_load_dword v3, off, s[0:3], 0 offset:196
	v_mov_b32_e32 v1, 0
	buffer_store_dword v1, off, s[0:3], 0 offset:192
	buffer_store_dword v1, off, s[0:3], 0 offset:196
	s_waitcnt vmcnt(2)
	ds_write_b64 v161, v[2:3]
.LBB55_301:
	s_or_b64 exec, exec, s[4:5]
	s_waitcnt lgkmcnt(0)
	; wave barrier
	s_waitcnt lgkmcnt(0)
	buffer_load_dword v52, off, s[0:3], 0 offset:204
	buffer_load_dword v54, off, s[0:3], 0 offset:212
	;; [unrolled: 1-line block ×48, first 2 shown]
	v_mov_b32_e32 v1, 0
	ds_read2_b64 v[4:7], v1 offset0:81 offset1:82
	ds_read2_b64 v[8:11], v1 offset0:83 offset1:84
	;; [unrolled: 1-line block ×6, first 2 shown]
	v_cmp_lt_u32_e32 vcc, 23, v0
	s_waitcnt vmcnt(47) lgkmcnt(5)
	v_mul_f32_e32 v28, v4, v52
	s_waitcnt vmcnt(46)
	v_mul_f32_e32 v29, v6, v54
	s_waitcnt vmcnt(45) lgkmcnt(4)
	v_mul_f32_e32 v30, v8, v56
	s_waitcnt vmcnt(44)
	v_mul_f32_e32 v31, v10, v74
	;; [unrolled: 4-line block ×6, first 2 shown]
	s_waitcnt vmcnt(35)
	v_fmac_f32_e32 v28, v5, v83
	s_waitcnt vmcnt(34)
	v_fmac_f32_e32 v29, v7, v84
	v_add_f32_e32 v28, 0, v28
	s_waitcnt vmcnt(33)
	v_fmac_f32_e32 v30, v9, v85
	v_add_f32_e32 v28, v28, v29
	;; [unrolled: 3-line block ×8, first 2 shown]
	v_add_f32_e32 v32, v28, v36
	ds_read2_b64 v[28:31], v1 offset0:93 offset1:94
	s_waitcnt vmcnt(26)
	v_fmac_f32_e32 v37, v23, v92
	s_waitcnt vmcnt(25)
	v_fmac_f32_e32 v38, v25, v93
	v_add_f32_e32 v32, v32, v37
	s_waitcnt vmcnt(24)
	v_fmac_f32_e32 v39, v27, v94
	v_add_f32_e32 v32, v32, v38
	v_add_f32_e32 v36, v32, v39
	ds_read2_b64 v[32:35], v1 offset0:95 offset1:96
	s_waitcnt vmcnt(23) lgkmcnt(1)
	v_mul_f32_e32 v37, v28, v95
	s_waitcnt vmcnt(22)
	v_fmac_f32_e32 v37, v29, v96
	v_add_f32_e32 v36, v36, v37
	s_waitcnt vmcnt(21)
	v_mul_f32_e32 v37, v30, v97
	s_waitcnt vmcnt(20)
	v_fmac_f32_e32 v37, v31, v98
	v_add_f32_e32 v36, v36, v37
	s_waitcnt vmcnt(19) lgkmcnt(0)
	v_mul_f32_e32 v37, v32, v99
	s_waitcnt vmcnt(18)
	v_fmac_f32_e32 v37, v33, v100
	v_add_f32_e32 v40, v36, v37
	ds_read2_b64 v[36:39], v1 offset0:97 offset1:98
	s_waitcnt vmcnt(17)
	v_mul_f32_e32 v41, v34, v101
	s_waitcnt vmcnt(16)
	v_fmac_f32_e32 v41, v35, v102
	v_add_f32_e32 v44, v40, v41
	ds_read2_b64 v[40:43], v1 offset0:99 offset1:100
	s_waitcnt vmcnt(15) lgkmcnt(1)
	v_mul_f32_e32 v45, v36, v103
	s_waitcnt vmcnt(14)
	v_fmac_f32_e32 v45, v37, v104
	v_add_f32_e32 v44, v44, v45
	s_waitcnt vmcnt(13)
	v_mul_f32_e32 v45, v38, v105
	s_waitcnt vmcnt(12)
	v_fmac_f32_e32 v45, v39, v106
	v_add_f32_e32 v44, v44, v45
	s_waitcnt vmcnt(11) lgkmcnt(0)
	v_mul_f32_e32 v45, v40, v107
	s_waitcnt vmcnt(10)
	v_fmac_f32_e32 v45, v41, v108
	s_waitcnt vmcnt(9)
	v_mul_f32_e32 v49, v42, v109
	v_add_f32_e32 v48, v44, v45
	s_waitcnt vmcnt(8)
	v_fmac_f32_e32 v49, v43, v110
	ds_read2_b64 v[44:47], v1 offset0:101 offset1:102
	v_add_f32_e32 v53, v48, v49
	ds_read2_b64 v[48:51], v1 offset0:103 offset1:104
	buffer_load_dword v59, off, s[0:3], 0 offset:412
	buffer_load_dword v58, off, s[0:3], 0 offset:408
	;; [unrolled: 1-line block ×16, first 2 shown]
	v_mul_f32_e32 v5, v5, v52
	v_fma_f32 v4, v4, v83, -v5
	v_mul_f32_e32 v5, v7, v54
	v_add_f32_e32 v4, 0, v4
	v_fma_f32 v5, v6, v84, -v5
	v_add_f32_e32 v4, v4, v5
	v_mul_f32_e32 v5, v9, v56
	v_fma_f32 v5, v8, v85, -v5
	v_add_f32_e32 v4, v4, v5
	v_mul_f32_e32 v5, v11, v74
	;; [unrolled: 3-line block ×18, first 2 shown]
	v_fma_f32 v5, v42, v110, -v5
	v_add_f32_e32 v4, v4, v5
	s_waitcnt vmcnt(22) lgkmcnt(1)
	v_mul_f32_e32 v5, v45, v112
	v_mul_f32_e32 v55, v44, v112
	v_fma_f32 v5, v44, v111, -v5
	v_fmac_f32_e32 v55, v45, v111
	v_add_f32_e32 v52, v4, v5
	s_waitcnt vmcnt(19)
	v_mul_f32_e32 v4, v47, v113
	v_add_f32_e32 v53, v53, v55
	v_mul_f32_e32 v55, v46, v113
	s_waitcnt vmcnt(18)
	v_fma_f32 v54, v46, v114, -v4
	s_waitcnt vmcnt(17) lgkmcnt(0)
	v_mul_f32_e32 v4, v49, v115
	s_waitcnt vmcnt(9)
	v_mov_b32_e32 v20, v65
	v_pk_mul_f32 v[20:21], v[50:51], v[20:21] op_sel_hi:[1,0]
	v_fmac_f32_e32 v55, v47, v114
	v_mul_f32_e32 v57, v48, v115
	v_fma_f32 v56, v48, v116, -v4
	ds_read2_b64 v[4:7], v1 offset0:105 offset1:106
	ds_read2_b64 v[8:11], v1 offset0:107 offset1:108
	;; [unrolled: 1-line block ×3, first 2 shown]
	ds_read_b64 v[16:17], v1 offset:888
	s_waitcnt vmcnt(8)
	v_pk_fma_f32 v[22:23], v[50:51], v[64:65], v[20:21] op_sel:[0,0,1] op_sel_hi:[1,1,0] neg_lo:[0,0,1] neg_hi:[0,0,1]
	v_pk_fma_f32 v[20:21], v[50:51], v[64:65], v[20:21] op_sel:[0,0,1] op_sel_hi:[1,0,0]
	v_fmac_f32_e32 v57, v49, v116
	v_pk_add_f32 v[18:19], v[52:53], v[54:55]
	v_mov_b32_e32 v20, v63
	v_pk_add_f32 v[18:19], v[18:19], v[56:57]
	v_mov_b32_e32 v23, v21
	s_waitcnt lgkmcnt(3)
	v_pk_mul_f32 v[20:21], v[4:5], v[20:21] op_sel_hi:[1,0]
	v_pk_add_f32 v[18:19], v[18:19], v[22:23]
	v_pk_fma_f32 v[22:23], v[4:5], v[62:63], v[20:21] op_sel:[0,0,1] op_sel_hi:[1,1,0] neg_lo:[0,0,1] neg_hi:[0,0,1]
	v_pk_fma_f32 v[4:5], v[4:5], v[62:63], v[20:21] op_sel:[0,0,1] op_sel_hi:[1,0,0]
	v_mov_b32_e32 v23, v5
	v_pk_add_f32 v[4:5], v[18:19], v[22:23]
	v_mov_b32_e32 v18, v61
	v_pk_mul_f32 v[18:19], v[6:7], v[18:19] op_sel_hi:[1,0]
	v_pk_fma_f32 v[20:21], v[6:7], v[60:61], v[18:19] op_sel:[0,0,1] op_sel_hi:[1,1,0] neg_lo:[0,0,1] neg_hi:[0,0,1]
	v_pk_fma_f32 v[6:7], v[6:7], v[60:61], v[18:19] op_sel:[0,0,1] op_sel_hi:[1,0,0]
	v_mov_b32_e32 v6, v59
	v_mov_b32_e32 v21, v7
	s_waitcnt lgkmcnt(2)
	v_pk_mul_f32 v[6:7], v[8:9], v[6:7] op_sel_hi:[1,0]
	v_pk_fma_f32 v[18:19], v[8:9], v[58:59], v[6:7] op_sel:[0,0,1] op_sel_hi:[1,1,0] neg_lo:[0,0,1] neg_hi:[0,0,1]
	v_pk_fma_f32 v[6:7], v[8:9], v[58:59], v[6:7] op_sel:[0,0,1] op_sel_hi:[1,0,0]
	s_waitcnt vmcnt(1)
	v_mov_b32_e32 v6, v73
	v_mov_b32_e32 v19, v7
	v_pk_mul_f32 v[6:7], v[10:11], v[6:7] op_sel_hi:[1,0]
	s_waitcnt vmcnt(0)
	v_pk_fma_f32 v[8:9], v[10:11], v[72:73], v[6:7] op_sel:[0,0,1] op_sel_hi:[1,1,0] neg_lo:[0,0,1] neg_hi:[0,0,1]
	v_pk_fma_f32 v[6:7], v[10:11], v[72:73], v[6:7] op_sel:[0,0,1] op_sel_hi:[1,0,0]
	v_pk_add_f32 v[4:5], v[4:5], v[20:21]
	v_mov_b32_e32 v6, v71
	v_pk_add_f32 v[4:5], v[4:5], v[18:19]
	v_mov_b32_e32 v9, v7
	s_waitcnt lgkmcnt(1)
	v_pk_mul_f32 v[6:7], v[12:13], v[6:7] op_sel_hi:[1,0]
	v_pk_add_f32 v[4:5], v[4:5], v[8:9]
	v_pk_fma_f32 v[8:9], v[12:13], v[70:71], v[6:7] op_sel:[0,0,1] op_sel_hi:[1,1,0] neg_lo:[0,0,1] neg_hi:[0,0,1]
	v_pk_fma_f32 v[6:7], v[12:13], v[70:71], v[6:7] op_sel:[0,0,1] op_sel_hi:[1,0,0]
	v_mov_b32_e32 v6, v69
	v_mov_b32_e32 v9, v7
	v_pk_mul_f32 v[6:7], v[14:15], v[6:7] op_sel_hi:[1,0]
	v_pk_add_f32 v[4:5], v[4:5], v[8:9]
	v_pk_fma_f32 v[8:9], v[14:15], v[68:69], v[6:7] op_sel:[0,0,1] op_sel_hi:[1,1,0] neg_lo:[0,0,1] neg_hi:[0,0,1]
	v_pk_fma_f32 v[6:7], v[14:15], v[68:69], v[6:7] op_sel:[0,0,1] op_sel_hi:[1,0,0]
	v_mov_b32_e32 v6, v67
	v_mov_b32_e32 v9, v7
	s_waitcnt lgkmcnt(0)
	v_pk_mul_f32 v[6:7], v[16:17], v[6:7] op_sel_hi:[1,0]
	v_pk_add_f32 v[4:5], v[4:5], v[8:9]
	v_pk_fma_f32 v[8:9], v[16:17], v[66:67], v[6:7] op_sel:[0,0,1] op_sel_hi:[1,1,0] neg_lo:[0,0,1] neg_hi:[0,0,1]
	v_pk_fma_f32 v[6:7], v[16:17], v[66:67], v[6:7] op_sel:[0,0,1] op_sel_hi:[1,0,0]
	v_mov_b32_e32 v9, v7
	v_pk_add_f32 v[4:5], v[4:5], v[8:9]
	v_pk_add_f32 v[2:3], v[2:3], v[4:5] neg_lo:[0,1] neg_hi:[0,1]
	buffer_store_dword v3, off, s[0:3], 0 offset:196
	buffer_store_dword v2, off, s[0:3], 0 offset:192
	s_and_saveexec_b64 s[4:5], vcc
	s_cbranch_execz .LBB55_303
; %bb.302:
	buffer_load_dword v2, off, s[0:3], 0 offset:184
	buffer_load_dword v3, off, s[0:3], 0 offset:188
	s_waitcnt vmcnt(0)
	ds_write_b64 v161, v[2:3]
	buffer_store_dword v1, off, s[0:3], 0 offset:184
	buffer_store_dword v1, off, s[0:3], 0 offset:188
.LBB55_303:
	s_or_b64 exec, exec, s[4:5]
	s_waitcnt lgkmcnt(0)
	; wave barrier
	s_waitcnt lgkmcnt(0)
	buffer_load_dword v52, off, s[0:3], 0 offset:196
	buffer_load_dword v54, off, s[0:3], 0 offset:204
	;; [unrolled: 1-line block ×48, first 2 shown]
	ds_read_b128 v[4:7], v1 offset:640
	ds_read_b128 v[8:11], v1 offset:656
	;; [unrolled: 1-line block ×6, first 2 shown]
	buffer_load_dword v117, off, s[0:3], 0 offset:376
	buffer_load_dword v118, off, s[0:3], 0 offset:380
	v_cmp_lt_u32_e32 vcc, 22, v0
	s_waitcnt vmcnt(49) lgkmcnt(5)
	v_mul_f32_e32 v28, v4, v52
	s_waitcnt vmcnt(48)
	v_mul_f32_e32 v29, v6, v54
	s_waitcnt vmcnt(47) lgkmcnt(4)
	v_mul_f32_e32 v30, v8, v62
	s_waitcnt vmcnt(46)
	v_mul_f32_e32 v31, v10, v74
	;; [unrolled: 4-line block ×6, first 2 shown]
	s_waitcnt vmcnt(37)
	v_fmac_f32_e32 v28, v5, v83
	s_waitcnt vmcnt(36)
	v_fmac_f32_e32 v29, v7, v84
	v_add_f32_e32 v28, 0, v28
	s_waitcnt vmcnt(35)
	v_fmac_f32_e32 v30, v9, v85
	v_add_f32_e32 v28, v28, v29
	;; [unrolled: 3-line block ×9, first 2 shown]
	v_add_f32_e32 v32, v28, v37
	ds_read_b128 v[28:31], v1 offset:736
	s_waitcnt vmcnt(27)
	v_fmac_f32_e32 v38, v25, v93
	v_add_f32_e32 v32, v32, v38
	s_waitcnt vmcnt(26)
	v_fmac_f32_e32 v39, v27, v94
	v_add_f32_e32 v36, v32, v39
	ds_read_b128 v[32:35], v1 offset:752
	s_waitcnt vmcnt(25) lgkmcnt(1)
	v_mul_f32_e32 v37, v28, v95
	s_waitcnt vmcnt(24)
	v_fmac_f32_e32 v37, v29, v96
	v_add_f32_e32 v36, v36, v37
	s_waitcnt vmcnt(23)
	v_mul_f32_e32 v37, v30, v97
	s_waitcnt vmcnt(22)
	v_fmac_f32_e32 v37, v31, v98
	v_add_f32_e32 v36, v36, v37
	s_waitcnt vmcnt(21) lgkmcnt(0)
	v_mul_f32_e32 v37, v32, v99
	s_waitcnt vmcnt(20)
	v_fmac_f32_e32 v37, v33, v100
	v_add_f32_e32 v40, v36, v37
	ds_read_b128 v[36:39], v1 offset:768
	s_waitcnt vmcnt(19)
	v_mul_f32_e32 v41, v34, v101
	s_waitcnt vmcnt(18)
	v_fmac_f32_e32 v41, v35, v102
	v_add_f32_e32 v44, v40, v41
	ds_read_b128 v[40:43], v1 offset:784
	s_waitcnt vmcnt(17) lgkmcnt(1)
	v_mul_f32_e32 v45, v36, v103
	s_waitcnt vmcnt(16)
	v_fmac_f32_e32 v45, v37, v104
	v_add_f32_e32 v44, v44, v45
	s_waitcnt vmcnt(15)
	v_mul_f32_e32 v45, v38, v105
	s_waitcnt vmcnt(14)
	v_fmac_f32_e32 v45, v39, v106
	v_add_f32_e32 v44, v44, v45
	s_waitcnt vmcnt(13) lgkmcnt(0)
	v_mul_f32_e32 v45, v40, v107
	s_waitcnt vmcnt(12)
	v_fmac_f32_e32 v45, v41, v108
	s_waitcnt vmcnt(11)
	v_mul_f32_e32 v49, v42, v109
	v_add_f32_e32 v48, v44, v45
	s_waitcnt vmcnt(10)
	v_fmac_f32_e32 v49, v43, v110
	ds_read_b128 v[44:47], v1 offset:800
	v_add_f32_e32 v53, v48, v49
	ds_read_b128 v[48:51], v1 offset:816
	buffer_load_dword v57, off, s[0:3], 0 offset:404
	buffer_load_dword v56, off, s[0:3], 0 offset:400
	;; [unrolled: 1-line block ×16, first 2 shown]
	v_mul_f32_e32 v5, v5, v52
	v_fma_f32 v4, v4, v83, -v5
	v_mul_f32_e32 v5, v7, v54
	v_add_f32_e32 v4, 0, v4
	v_fma_f32 v5, v6, v84, -v5
	v_add_f32_e32 v4, v4, v5
	v_mul_f32_e32 v5, v9, v62
	v_fma_f32 v5, v8, v85, -v5
	v_add_f32_e32 v4, v4, v5
	v_mul_f32_e32 v5, v11, v74
	;; [unrolled: 3-line block ×18, first 2 shown]
	v_fma_f32 v5, v42, v110, -v5
	v_add_f32_e32 v4, v4, v5
	s_waitcnt vmcnt(23) lgkmcnt(1)
	v_mul_f32_e32 v5, v45, v111
	s_waitcnt vmcnt(22)
	v_fma_f32 v5, v44, v112, -v5
	v_add_f32_e32 v4, v4, v5
	s_waitcnt vmcnt(20)
	v_mul_f32_e32 v5, v47, v114
	v_mul_f32_e32 v55, v44, v111
	v_fma_f32 v5, v46, v113, -v5
	v_fmac_f32_e32 v55, v45, v112
	v_add_f32_e32 v52, v4, v5
	s_waitcnt vmcnt(18) lgkmcnt(0)
	v_mul_f32_e32 v4, v49, v116
	v_add_f32_e32 v53, v53, v55
	v_mul_f32_e32 v55, v46, v114
	v_fma_f32 v54, v48, v115, -v4
	s_waitcnt vmcnt(16)
	v_mul_f32_e32 v4, v51, v118
	v_fmac_f32_e32 v55, v47, v113
	v_fma_f32 v62, v50, v117, -v4
	ds_read_b128 v[4:7], v1 offset:832
	ds_read_b128 v[8:11], v1 offset:848
	ds_read_b128 v[12:15], v1 offset:864
	ds_read_b128 v[16:19], v1 offset:880
	v_add_f32_e32 v53, v53, v55
	v_mul_f32_e32 v55, v48, v116
	s_waitcnt vmcnt(11)
	v_mov_b32_e32 v22, v61
	v_fmac_f32_e32 v55, v49, v115
	v_mul_f32_e32 v63, v50, v118
	s_waitcnt lgkmcnt(3)
	v_pk_mul_f32 v[22:23], v[4:5], v[22:23] op_sel_hi:[1,0]
	v_fmac_f32_e32 v63, v51, v117
	v_pk_add_f32 v[20:21], v[52:53], v[54:55]
	s_waitcnt vmcnt(10)
	v_pk_fma_f32 v[24:25], v[4:5], v[60:61], v[22:23] op_sel:[0,0,1] op_sel_hi:[1,1,0] neg_lo:[0,0,1] neg_hi:[0,0,1]
	v_pk_fma_f32 v[4:5], v[4:5], v[60:61], v[22:23] op_sel:[0,0,1] op_sel_hi:[1,0,0]
	v_pk_add_f32 v[20:21], v[20:21], v[62:63]
	v_mov_b32_e32 v25, v5
	v_pk_add_f32 v[4:5], v[20:21], v[24:25]
	v_mov_b32_e32 v20, v59
	v_pk_mul_f32 v[20:21], v[6:7], v[20:21] op_sel_hi:[1,0]
	v_pk_fma_f32 v[22:23], v[6:7], v[58:59], v[20:21] op_sel:[0,0,1] op_sel_hi:[1,1,0] neg_lo:[0,0,1] neg_hi:[0,0,1]
	v_pk_fma_f32 v[6:7], v[6:7], v[58:59], v[20:21] op_sel:[0,0,1] op_sel_hi:[1,0,0]
	v_mov_b32_e32 v6, v57
	v_mov_b32_e32 v23, v7
	s_waitcnt lgkmcnt(2)
	v_pk_mul_f32 v[6:7], v[8:9], v[6:7] op_sel_hi:[1,0]
	v_pk_fma_f32 v[20:21], v[8:9], v[56:57], v[6:7] op_sel:[0,0,1] op_sel_hi:[1,1,0] neg_lo:[0,0,1] neg_hi:[0,0,1]
	v_pk_fma_f32 v[6:7], v[8:9], v[56:57], v[6:7] op_sel:[0,0,1] op_sel_hi:[1,0,0]
	s_waitcnt vmcnt(3)
	v_mov_b32_e32 v6, v71
	v_mov_b32_e32 v21, v7
	v_pk_mul_f32 v[6:7], v[10:11], v[6:7] op_sel_hi:[1,0]
	s_waitcnt vmcnt(2)
	v_pk_fma_f32 v[8:9], v[10:11], v[70:71], v[6:7] op_sel:[0,0,1] op_sel_hi:[1,1,0] neg_lo:[0,0,1] neg_hi:[0,0,1]
	v_pk_fma_f32 v[6:7], v[10:11], v[70:71], v[6:7] op_sel:[0,0,1] op_sel_hi:[1,0,0]
	v_pk_add_f32 v[4:5], v[4:5], v[22:23]
	v_mov_b32_e32 v6, v69
	v_pk_add_f32 v[4:5], v[4:5], v[20:21]
	v_mov_b32_e32 v9, v7
	s_waitcnt lgkmcnt(1)
	v_pk_mul_f32 v[6:7], v[12:13], v[6:7] op_sel_hi:[1,0]
	v_pk_add_f32 v[4:5], v[4:5], v[8:9]
	v_pk_fma_f32 v[8:9], v[12:13], v[68:69], v[6:7] op_sel:[0,0,1] op_sel_hi:[1,1,0] neg_lo:[0,0,1] neg_hi:[0,0,1]
	v_pk_fma_f32 v[6:7], v[12:13], v[68:69], v[6:7] op_sel:[0,0,1] op_sel_hi:[1,0,0]
	v_mov_b32_e32 v6, v67
	v_mov_b32_e32 v9, v7
	v_pk_mul_f32 v[6:7], v[14:15], v[6:7] op_sel_hi:[1,0]
	v_pk_add_f32 v[4:5], v[4:5], v[8:9]
	v_pk_fma_f32 v[8:9], v[14:15], v[66:67], v[6:7] op_sel:[0,0,1] op_sel_hi:[1,1,0] neg_lo:[0,0,1] neg_hi:[0,0,1]
	v_pk_fma_f32 v[6:7], v[14:15], v[66:67], v[6:7] op_sel:[0,0,1] op_sel_hi:[1,0,0]
	v_mov_b32_e32 v6, v65
	v_mov_b32_e32 v9, v7
	s_waitcnt lgkmcnt(0)
	v_pk_mul_f32 v[6:7], v[16:17], v[6:7] op_sel_hi:[1,0]
	v_pk_add_f32 v[4:5], v[4:5], v[8:9]
	v_pk_fma_f32 v[8:9], v[16:17], v[64:65], v[6:7] op_sel:[0,0,1] op_sel_hi:[1,1,0] neg_lo:[0,0,1] neg_hi:[0,0,1]
	v_pk_fma_f32 v[6:7], v[16:17], v[64:65], v[6:7] op_sel:[0,0,1] op_sel_hi:[1,0,0]
	s_waitcnt vmcnt(1)
	v_mov_b32_e32 v6, v73
	v_mov_b32_e32 v9, v7
	v_pk_mul_f32 v[6:7], v[18:19], v[6:7] op_sel_hi:[1,0]
	v_pk_add_f32 v[4:5], v[4:5], v[8:9]
	s_waitcnt vmcnt(0)
	v_pk_fma_f32 v[8:9], v[18:19], v[72:73], v[6:7] op_sel:[0,0,1] op_sel_hi:[1,1,0] neg_lo:[0,0,1] neg_hi:[0,0,1]
	v_pk_fma_f32 v[6:7], v[18:19], v[72:73], v[6:7] op_sel:[0,0,1] op_sel_hi:[1,0,0]
	v_mov_b32_e32 v9, v7
	v_pk_add_f32 v[4:5], v[4:5], v[8:9]
	v_pk_add_f32 v[2:3], v[2:3], v[4:5] neg_lo:[0,1] neg_hi:[0,1]
	buffer_store_dword v3, off, s[0:3], 0 offset:188
	buffer_store_dword v2, off, s[0:3], 0 offset:184
	s_and_saveexec_b64 s[4:5], vcc
	s_cbranch_execz .LBB55_305
; %bb.304:
	buffer_load_dword v2, off, s[0:3], 0 offset:176
	buffer_load_dword v3, off, s[0:3], 0 offset:180
	v_mov_b32_e32 v1, 0
	buffer_store_dword v1, off, s[0:3], 0 offset:176
	buffer_store_dword v1, off, s[0:3], 0 offset:180
	s_waitcnt vmcnt(2)
	ds_write_b64 v161, v[2:3]
.LBB55_305:
	s_or_b64 exec, exec, s[4:5]
	s_waitcnt lgkmcnt(0)
	; wave barrier
	s_waitcnt lgkmcnt(0)
	buffer_load_dword v60, off, s[0:3], 0 offset:188
	buffer_load_dword v66, off, s[0:3], 0 offset:196
	;; [unrolled: 1-line block ×52, first 2 shown]
	v_mov_b32_e32 v1, 0
	ds_read2_b64 v[4:7], v1 offset0:79 offset1:80
	ds_read2_b64 v[8:11], v1 offset0:81 offset1:82
	;; [unrolled: 1-line block ×6, first 2 shown]
	v_cmp_lt_u32_e32 vcc, 21, v0
	s_waitcnt vmcnt(51) lgkmcnt(5)
	v_mul_f32_e32 v28, v4, v60
	s_waitcnt vmcnt(50)
	v_mul_f32_e32 v29, v6, v66
	s_waitcnt vmcnt(49) lgkmcnt(4)
	v_mul_f32_e32 v30, v8, v68
	s_waitcnt vmcnt(48)
	v_mul_f32_e32 v31, v10, v82
	;; [unrolled: 4-line block ×5, first 2 shown]
	s_waitcnt vmcnt(41) lgkmcnt(0)
	v_mul_f32_e32 v38, v24, v89
	s_waitcnt vmcnt(40)
	v_fmac_f32_e32 v28, v5, v90
	s_waitcnt vmcnt(39)
	v_fmac_f32_e32 v29, v7, v91
	v_add_f32_e32 v28, 0, v28
	s_waitcnt vmcnt(38)
	v_fmac_f32_e32 v30, v9, v92
	v_add_f32_e32 v28, v28, v29
	;; [unrolled: 3-line block ×9, first 2 shown]
	v_add_f32_e32 v28, v28, v37
	s_waitcnt vmcnt(30)
	v_fmac_f32_e32 v38, v25, v100
	v_add_f32_e32 v32, v28, v38
	ds_read2_b64 v[28:31], v1 offset0:91 offset1:92
	s_waitcnt vmcnt(29)
	v_mul_f32_e32 v33, v26, v101
	s_waitcnt vmcnt(28)
	v_fmac_f32_e32 v33, v27, v102
	v_add_f32_e32 v36, v32, v33
	ds_read2_b64 v[32:35], v1 offset0:93 offset1:94
	s_waitcnt vmcnt(27) lgkmcnt(1)
	v_mul_f32_e32 v37, v28, v103
	s_waitcnt vmcnt(26)
	v_fmac_f32_e32 v37, v29, v104
	v_add_f32_e32 v36, v36, v37
	s_waitcnt vmcnt(25)
	v_mul_f32_e32 v37, v30, v105
	s_waitcnt vmcnt(24)
	v_fmac_f32_e32 v37, v31, v106
	v_add_f32_e32 v36, v36, v37
	s_waitcnt vmcnt(23) lgkmcnt(0)
	v_mul_f32_e32 v37, v32, v107
	s_waitcnt vmcnt(22)
	v_fmac_f32_e32 v37, v33, v108
	v_add_f32_e32 v40, v36, v37
	ds_read2_b64 v[36:39], v1 offset0:95 offset1:96
	s_waitcnt vmcnt(21)
	v_mul_f32_e32 v41, v34, v109
	s_waitcnt vmcnt(20)
	v_fmac_f32_e32 v41, v35, v110
	v_add_f32_e32 v44, v40, v41
	ds_read2_b64 v[40:43], v1 offset0:97 offset1:98
	s_waitcnt vmcnt(19) lgkmcnt(1)
	v_mul_f32_e32 v45, v36, v111
	s_waitcnt vmcnt(18)
	v_fmac_f32_e32 v45, v37, v112
	v_add_f32_e32 v44, v44, v45
	s_waitcnt vmcnt(17)
	v_mul_f32_e32 v45, v38, v113
	s_waitcnt vmcnt(16)
	v_fmac_f32_e32 v45, v39, v114
	v_add_f32_e32 v44, v44, v45
	s_waitcnt vmcnt(14) lgkmcnt(0)
	v_mul_f32_e32 v45, v40, v116
	v_fmac_f32_e32 v45, v41, v115
	v_add_f32_e32 v48, v44, v45
	ds_read2_b64 v[44:47], v1 offset0:99 offset1:100
	s_waitcnt vmcnt(10)
	v_mul_f32_e32 v49, v42, v118
	v_fmac_f32_e32 v49, v43, v117
	v_add_f32_e32 v52, v48, v49
	ds_read2_b64 v[48:51], v1 offset0:101 offset1:102
	s_waitcnt vmcnt(8) lgkmcnt(1)
	v_mul_f32_e32 v53, v44, v120
	v_fmac_f32_e32 v53, v45, v119
	v_add_f32_e32 v52, v52, v53
	s_waitcnt vmcnt(6)
	v_mul_f32_e32 v53, v46, v122
	v_fmac_f32_e32 v53, v47, v121
	v_add_f32_e32 v52, v52, v53
	s_waitcnt vmcnt(4) lgkmcnt(0)
	v_mul_f32_e32 v53, v48, v124
	v_fmac_f32_e32 v53, v49, v123
	v_add_f32_e32 v61, v52, v53
	ds_read2_b64 v[52:55], v1 offset0:103 offset1:104
	buffer_load_dword v63, off, s[0:3], 0 offset:396
	buffer_load_dword v62, off, s[0:3], 0 offset:392
	;; [unrolled: 1-line block ×4, first 2 shown]
	ds_read2_b64 v[56:59], v1 offset0:105 offset1:106
	buffer_load_dword v71, off, s[0:3], 0 offset:428
	buffer_load_dword v70, off, s[0:3], 0 offset:424
	;; [unrolled: 1-line block ×12, first 2 shown]
	v_mul_f32_e32 v5, v5, v60
	v_fma_f32 v4, v4, v90, -v5
	v_mul_f32_e32 v5, v7, v66
	v_add_f32_e32 v4, 0, v4
	v_fma_f32 v5, v6, v91, -v5
	v_add_f32_e32 v4, v4, v5
	v_mul_f32_e32 v5, v9, v68
	v_fma_f32 v5, v8, v92, -v5
	v_add_f32_e32 v4, v4, v5
	v_mul_f32_e32 v5, v11, v82
	;; [unrolled: 3-line block ×21, first 2 shown]
	v_fma_f32 v5, v48, v123, -v5
	s_waitcnt vmcnt(18)
	v_mul_f32_e32 v67, v50, v126
	v_add_f32_e32 v60, v4, v5
	v_mul_f32_e32 v4, v51, v126
	v_fmac_f32_e32 v67, v51, v125
	s_waitcnt vmcnt(16) lgkmcnt(1)
	v_mul_f32_e32 v69, v52, v128
	v_fma_f32 v66, v50, v125, -v4
	v_mul_f32_e32 v4, v53, v128
	v_fmac_f32_e32 v69, v53, v127
	s_waitcnt vmcnt(13)
	v_mov_b32_e32 v16, v65
	v_pk_mul_f32 v[16:17], v[54:55], v[16:17] op_sel_hi:[1,0]
	s_waitcnt vmcnt(12)
	v_pk_fma_f32 v[18:19], v[54:55], v[64:65], v[16:17] op_sel:[0,0,1] op_sel_hi:[1,1,0] neg_lo:[0,0,1] neg_hi:[0,0,1]
	v_pk_fma_f32 v[16:17], v[54:55], v[64:65], v[16:17] op_sel:[0,0,1] op_sel_hi:[1,0,0]
	v_fma_f32 v68, v52, v127, -v4
	v_pk_add_f32 v[14:15], v[60:61], v[66:67]
	v_mov_b32_e32 v16, v63
	v_pk_add_f32 v[14:15], v[14:15], v[68:69]
	v_mov_b32_e32 v19, v17
	s_waitcnt lgkmcnt(0)
	v_pk_mul_f32 v[16:17], v[56:57], v[16:17] op_sel_hi:[1,0]
	v_pk_add_f32 v[14:15], v[14:15], v[18:19]
	v_pk_fma_f32 v[18:19], v[56:57], v[62:63], v[16:17] op_sel:[0,0,1] op_sel_hi:[1,1,0] neg_lo:[0,0,1] neg_hi:[0,0,1]
	v_pk_fma_f32 v[16:17], v[56:57], v[62:63], v[16:17] op_sel:[0,0,1] op_sel_hi:[1,0,0]
	s_waitcnt vmcnt(5)
	v_mov_b32_e32 v16, v77
	ds_read2_b64 v[4:7], v1 offset0:107 offset1:108
	ds_read2_b64 v[8:11], v1 offset0:109 offset1:110
	ds_read_b64 v[12:13], v1 offset:888
	v_mov_b32_e32 v19, v17
	v_pk_mul_f32 v[16:17], v[58:59], v[16:17] op_sel_hi:[1,0]
	v_pk_add_f32 v[14:15], v[14:15], v[18:19]
	s_waitcnt vmcnt(4)
	v_pk_fma_f32 v[18:19], v[58:59], v[76:77], v[16:17] op_sel:[0,0,1] op_sel_hi:[1,1,0] neg_lo:[0,0,1] neg_hi:[0,0,1]
	v_pk_fma_f32 v[16:17], v[58:59], v[76:77], v[16:17] op_sel:[0,0,1] op_sel_hi:[1,0,0]
	v_mov_b32_e32 v16, v75
	v_mov_b32_e32 v19, v17
	s_waitcnt lgkmcnt(2)
	v_pk_mul_f32 v[16:17], v[4:5], v[16:17] op_sel_hi:[1,0]
	v_pk_add_f32 v[14:15], v[14:15], v[18:19]
	v_pk_fma_f32 v[18:19], v[4:5], v[74:75], v[16:17] op_sel:[0,0,1] op_sel_hi:[1,1,0] neg_lo:[0,0,1] neg_hi:[0,0,1]
	v_pk_fma_f32 v[4:5], v[4:5], v[74:75], v[16:17] op_sel:[0,0,1] op_sel_hi:[1,0,0]
	v_mov_b32_e32 v19, v5
	v_pk_add_f32 v[4:5], v[14:15], v[18:19]
	v_mov_b32_e32 v14, v73
	v_pk_mul_f32 v[14:15], v[6:7], v[14:15] op_sel_hi:[1,0]
	v_pk_fma_f32 v[16:17], v[6:7], v[72:73], v[14:15] op_sel:[0,0,1] op_sel_hi:[1,1,0] neg_lo:[0,0,1] neg_hi:[0,0,1]
	v_pk_fma_f32 v[6:7], v[6:7], v[72:73], v[14:15] op_sel:[0,0,1] op_sel_hi:[1,0,0]
	v_mov_b32_e32 v6, v71
	v_mov_b32_e32 v17, v7
	s_waitcnt lgkmcnt(1)
	v_pk_mul_f32 v[6:7], v[8:9], v[6:7] op_sel_hi:[1,0]
	v_pk_fma_f32 v[14:15], v[8:9], v[70:71], v[6:7] op_sel:[0,0,1] op_sel_hi:[1,1,0] neg_lo:[0,0,1] neg_hi:[0,0,1]
	v_pk_fma_f32 v[6:7], v[8:9], v[70:71], v[6:7] op_sel:[0,0,1] op_sel_hi:[1,0,0]
	s_waitcnt vmcnt(1)
	v_mov_b32_e32 v6, v81
	v_mov_b32_e32 v15, v7
	v_pk_mul_f32 v[6:7], v[10:11], v[6:7] op_sel_hi:[1,0]
	s_waitcnt vmcnt(0)
	v_pk_fma_f32 v[8:9], v[10:11], v[80:81], v[6:7] op_sel:[0,0,1] op_sel_hi:[1,1,0] neg_lo:[0,0,1] neg_hi:[0,0,1]
	v_pk_fma_f32 v[6:7], v[10:11], v[80:81], v[6:7] op_sel:[0,0,1] op_sel_hi:[1,0,0]
	v_pk_add_f32 v[4:5], v[4:5], v[16:17]
	v_mov_b32_e32 v6, v79
	v_pk_add_f32 v[4:5], v[4:5], v[14:15]
	v_mov_b32_e32 v9, v7
	s_waitcnt lgkmcnt(0)
	v_pk_mul_f32 v[6:7], v[12:13], v[6:7] op_sel_hi:[1,0]
	v_pk_add_f32 v[4:5], v[4:5], v[8:9]
	v_pk_fma_f32 v[8:9], v[12:13], v[78:79], v[6:7] op_sel:[0,0,1] op_sel_hi:[1,1,0] neg_lo:[0,0,1] neg_hi:[0,0,1]
	v_pk_fma_f32 v[6:7], v[12:13], v[78:79], v[6:7] op_sel:[0,0,1] op_sel_hi:[1,0,0]
	v_mov_b32_e32 v9, v7
	v_pk_add_f32 v[4:5], v[4:5], v[8:9]
	v_pk_add_f32 v[2:3], v[2:3], v[4:5] neg_lo:[0,1] neg_hi:[0,1]
	buffer_store_dword v3, off, s[0:3], 0 offset:180
	buffer_store_dword v2, off, s[0:3], 0 offset:176
	s_and_saveexec_b64 s[4:5], vcc
	s_cbranch_execz .LBB55_307
; %bb.306:
	buffer_load_dword v2, off, s[0:3], 0 offset:168
	buffer_load_dword v3, off, s[0:3], 0 offset:172
	s_waitcnt vmcnt(0)
	ds_write_b64 v161, v[2:3]
	buffer_store_dword v1, off, s[0:3], 0 offset:168
	buffer_store_dword v1, off, s[0:3], 0 offset:172
.LBB55_307:
	s_or_b64 exec, exec, s[4:5]
	s_waitcnt lgkmcnt(0)
	; wave barrier
	s_waitcnt lgkmcnt(0)
	buffer_load_dword v62, off, s[0:3], 0 offset:180
	buffer_load_dword v64, off, s[0:3], 0 offset:188
	buffer_load_dword v66, off, s[0:3], 0 offset:196
	buffer_load_dword v82, off, s[0:3], 0 offset:204
	buffer_load_dword v83, off, s[0:3], 0 offset:212
	buffer_load_dword v84, off, s[0:3], 0 offset:220
	buffer_load_dword v85, off, s[0:3], 0 offset:228
	buffer_load_dword v86, off, s[0:3], 0 offset:236
	buffer_load_dword v87, off, s[0:3], 0 offset:244
	buffer_load_dword v88, off, s[0:3], 0 offset:252
	buffer_load_dword v89, off, s[0:3], 0 offset:176
	buffer_load_dword v90, off, s[0:3], 0 offset:184
	buffer_load_dword v91, off, s[0:3], 0 offset:192
	buffer_load_dword v92, off, s[0:3], 0 offset:200
	buffer_load_dword v93, off, s[0:3], 0 offset:208
	buffer_load_dword v94, off, s[0:3], 0 offset:216
	buffer_load_dword v95, off, s[0:3], 0 offset:224
	buffer_load_dword v96, off, s[0:3], 0 offset:232
	buffer_load_dword v97, off, s[0:3], 0 offset:240
	buffer_load_dword v98, off, s[0:3], 0 offset:248
	buffer_load_dword v99, off, s[0:3], 0 offset:260
	buffer_load_dword v100, off, s[0:3], 0 offset:256
	buffer_load_dword v101, off, s[0:3], 0 offset:268
	buffer_load_dword v102, off, s[0:3], 0 offset:264
	buffer_load_dword v103, off, s[0:3], 0 offset:276
	buffer_load_dword v104, off, s[0:3], 0 offset:272
	buffer_load_dword v105, off, s[0:3], 0 offset:284
	buffer_load_dword v106, off, s[0:3], 0 offset:280
	buffer_load_dword v107, off, s[0:3], 0 offset:292
	buffer_load_dword v108, off, s[0:3], 0 offset:288
	buffer_load_dword v109, off, s[0:3], 0 offset:300
	buffer_load_dword v110, off, s[0:3], 0 offset:296
	buffer_load_dword v111, off, s[0:3], 0 offset:308
	buffer_load_dword v112, off, s[0:3], 0 offset:304
	buffer_load_dword v113, off, s[0:3], 0 offset:312
	buffer_load_dword v114, off, s[0:3], 0 offset:316
	buffer_load_dword v2, off, s[0:3], 0 offset:168
	buffer_load_dword v3, off, s[0:3], 0 offset:172
	buffer_load_dword v115, off, s[0:3], 0 offset:324
	buffer_load_dword v116, off, s[0:3], 0 offset:320
	buffer_load_dword v117, off, s[0:3], 0 offset:328
	buffer_load_dword v118, off, s[0:3], 0 offset:332
	ds_read_b128 v[4:7], v1 offset:624
	ds_read_b128 v[8:11], v1 offset:640
	buffer_load_dword v119, off, s[0:3], 0 offset:336
	buffer_load_dword v120, off, s[0:3], 0 offset:340
	ds_read_b128 v[12:15], v1 offset:656
	ds_read_b128 v[16:19], v1 offset:672
	buffer_load_dword v121, off, s[0:3], 0 offset:344
	buffer_load_dword v122, off, s[0:3], 0 offset:348
	;; [unrolled: 1-line block ×4, first 2 shown]
	ds_read_b128 v[20:23], v1 offset:688
	ds_read_b128 v[24:27], v1 offset:704
	buffer_load_dword v125, off, s[0:3], 0 offset:360
	buffer_load_dword v126, off, s[0:3], 0 offset:364
	;; [unrolled: 1-line block ×6, first 2 shown]
	v_cmp_lt_u32_e32 vcc, 20, v0
	s_waitcnt vmcnt(53) lgkmcnt(5)
	v_mul_f32_e32 v28, v4, v62
	s_waitcnt vmcnt(52)
	v_mul_f32_e32 v29, v6, v64
	s_waitcnt vmcnt(51) lgkmcnt(4)
	v_mul_f32_e32 v30, v8, v66
	s_waitcnt vmcnt(50)
	v_mul_f32_e32 v31, v10, v82
	;; [unrolled: 4-line block ×5, first 2 shown]
	s_waitcnt vmcnt(43)
	v_fmac_f32_e32 v28, v5, v89
	s_waitcnt vmcnt(42)
	v_fmac_f32_e32 v29, v7, v90
	v_add_f32_e32 v28, 0, v28
	s_waitcnt vmcnt(41)
	v_fmac_f32_e32 v30, v9, v91
	v_add_f32_e32 v28, v28, v29
	s_waitcnt vmcnt(40)
	v_fmac_f32_e32 v31, v11, v92
	v_add_f32_e32 v28, v28, v30
	s_waitcnt vmcnt(39)
	v_fmac_f32_e32 v32, v13, v93
	v_add_f32_e32 v28, v28, v31
	s_waitcnt vmcnt(38)
	v_fmac_f32_e32 v33, v15, v94
	v_add_f32_e32 v28, v28, v32
	s_waitcnt vmcnt(37)
	v_fmac_f32_e32 v34, v17, v95
	v_add_f32_e32 v28, v28, v33
	s_waitcnt vmcnt(36)
	v_fmac_f32_e32 v35, v19, v96
	v_add_f32_e32 v28, v28, v34
	s_waitcnt vmcnt(35)
	v_fmac_f32_e32 v36, v21, v97
	v_add_f32_e32 v28, v28, v35
	s_waitcnt vmcnt(34)
	v_fmac_f32_e32 v37, v23, v98
	v_add_f32_e32 v28, v28, v36
	s_waitcnt vmcnt(33) lgkmcnt(0)
	v_mul_f32_e32 v29, v24, v99
	v_add_f32_e32 v28, v28, v37
	s_waitcnt vmcnt(32)
	v_fmac_f32_e32 v29, v25, v100
	v_add_f32_e32 v32, v28, v29
	ds_read_b128 v[28:31], v1 offset:720
	s_waitcnt vmcnt(31)
	v_mul_f32_e32 v33, v26, v101
	s_waitcnt vmcnt(30)
	v_fmac_f32_e32 v33, v27, v102
	v_add_f32_e32 v36, v32, v33
	ds_read_b128 v[32:35], v1 offset:736
	s_waitcnt vmcnt(29) lgkmcnt(1)
	v_mul_f32_e32 v37, v28, v103
	s_waitcnt vmcnt(28)
	v_fmac_f32_e32 v37, v29, v104
	v_add_f32_e32 v36, v36, v37
	s_waitcnt vmcnt(27)
	v_mul_f32_e32 v37, v30, v105
	s_waitcnt vmcnt(26)
	v_fmac_f32_e32 v37, v31, v106
	v_add_f32_e32 v36, v36, v37
	s_waitcnt vmcnt(25) lgkmcnt(0)
	v_mul_f32_e32 v37, v32, v107
	s_waitcnt vmcnt(24)
	v_fmac_f32_e32 v37, v33, v108
	v_add_f32_e32 v40, v36, v37
	ds_read_b128 v[36:39], v1 offset:752
	s_waitcnt vmcnt(23)
	v_mul_f32_e32 v41, v34, v109
	s_waitcnt vmcnt(22)
	v_fmac_f32_e32 v41, v35, v110
	v_add_f32_e32 v44, v40, v41
	ds_read_b128 v[40:43], v1 offset:768
	s_waitcnt vmcnt(21) lgkmcnt(1)
	v_mul_f32_e32 v45, v36, v111
	s_waitcnt vmcnt(20)
	v_fmac_f32_e32 v45, v37, v112
	v_add_f32_e32 v44, v44, v45
	s_waitcnt vmcnt(18)
	v_mul_f32_e32 v45, v38, v114
	v_fmac_f32_e32 v45, v39, v113
	v_add_f32_e32 v44, v44, v45
	s_waitcnt vmcnt(15) lgkmcnt(0)
	v_mul_f32_e32 v45, v40, v115
	s_waitcnt vmcnt(14)
	v_fmac_f32_e32 v45, v41, v116
	v_add_f32_e32 v48, v44, v45
	ds_read_b128 v[44:47], v1 offset:784
	s_waitcnt vmcnt(12)
	v_mul_f32_e32 v49, v42, v118
	v_fmac_f32_e32 v49, v43, v117
	v_add_f32_e32 v52, v48, v49
	ds_read_b128 v[48:51], v1 offset:800
	buffer_load_dword v61, off, s[0:3], 0 offset:388
	buffer_load_dword v60, off, s[0:3], 0 offset:384
	s_waitcnt vmcnt(12) lgkmcnt(1)
	v_mul_f32_e32 v53, v44, v120
	v_fmac_f32_e32 v53, v45, v119
	v_add_f32_e32 v52, v52, v53
	s_waitcnt vmcnt(10)
	v_mul_f32_e32 v53, v46, v122
	v_fmac_f32_e32 v53, v47, v121
	v_add_f32_e32 v52, v52, v53
	s_waitcnt vmcnt(8) lgkmcnt(0)
	v_mul_f32_e32 v53, v48, v124
	v_fmac_f32_e32 v53, v49, v123
	s_waitcnt vmcnt(6)
	v_mul_f32_e32 v57, v50, v126
	v_add_f32_e32 v56, v52, v53
	v_fmac_f32_e32 v57, v51, v125
	ds_read_b128 v[52:55], v1 offset:816
	v_add_f32_e32 v63, v56, v57
	ds_read_b128 v[56:59], v1 offset:832
	buffer_load_dword v69, off, s[0:3], 0 offset:420
	buffer_load_dword v68, off, s[0:3], 0 offset:416
	;; [unrolled: 1-line block ×14, first 2 shown]
	v_mul_f32_e32 v5, v5, v62
	v_fma_f32 v4, v4, v89, -v5
	v_mul_f32_e32 v5, v7, v64
	v_add_f32_e32 v4, 0, v4
	v_fma_f32 v5, v6, v90, -v5
	v_add_f32_e32 v4, v4, v5
	v_mul_f32_e32 v5, v9, v66
	v_fma_f32 v5, v8, v91, -v5
	v_add_f32_e32 v4, v4, v5
	v_mul_f32_e32 v5, v11, v82
	;; [unrolled: 3-line block ×22, first 2 shown]
	v_fma_f32 v5, v50, v125, -v5
	s_waitcnt vmcnt(15)
	v_mov_b32_e32 v18, v61
	s_waitcnt lgkmcnt(1)
	v_mul_f32_e32 v65, v52, v128
	v_add_f32_e32 v62, v4, v5
	v_mul_f32_e32 v4, v53, v128
	s_waitcnt lgkmcnt(0)
	v_pk_mul_f32 v[18:19], v[56:57], v[18:19] op_sel_hi:[1,0]
	v_fmac_f32_e32 v65, v53, v127
	v_mul_f32_e32 v67, v54, v130
	v_fma_f32 v64, v52, v127, -v4
	v_mul_f32_e32 v4, v55, v130
	s_waitcnt vmcnt(14)
	v_pk_fma_f32 v[20:21], v[56:57], v[60:61], v[18:19] op_sel:[0,0,1] op_sel_hi:[1,1,0] neg_lo:[0,0,1] neg_hi:[0,0,1]
	v_pk_fma_f32 v[18:19], v[56:57], v[60:61], v[18:19] op_sel:[0,0,1] op_sel_hi:[1,0,0]
	v_fmac_f32_e32 v67, v55, v129
	v_fma_f32 v66, v54, v129, -v4
	v_pk_add_f32 v[16:17], v[62:63], v[64:65]
	s_waitcnt vmcnt(7)
	v_mov_b32_e32 v18, v75
	ds_read_b128 v[4:7], v1 offset:848
	ds_read_b128 v[8:11], v1 offset:864
	;; [unrolled: 1-line block ×3, first 2 shown]
	v_pk_add_f32 v[16:17], v[16:17], v[66:67]
	v_mov_b32_e32 v21, v19
	v_pk_mul_f32 v[18:19], v[58:59], v[18:19] op_sel_hi:[1,0]
	v_pk_add_f32 v[16:17], v[16:17], v[20:21]
	s_waitcnt vmcnt(6)
	v_pk_fma_f32 v[20:21], v[58:59], v[74:75], v[18:19] op_sel:[0,0,1] op_sel_hi:[1,1,0] neg_lo:[0,0,1] neg_hi:[0,0,1]
	v_pk_fma_f32 v[18:19], v[58:59], v[74:75], v[18:19] op_sel:[0,0,1] op_sel_hi:[1,0,0]
	v_mov_b32_e32 v18, v73
	v_mov_b32_e32 v21, v19
	s_waitcnt lgkmcnt(2)
	v_pk_mul_f32 v[18:19], v[4:5], v[18:19] op_sel_hi:[1,0]
	v_pk_add_f32 v[16:17], v[16:17], v[20:21]
	v_pk_fma_f32 v[20:21], v[4:5], v[72:73], v[18:19] op_sel:[0,0,1] op_sel_hi:[1,1,0] neg_lo:[0,0,1] neg_hi:[0,0,1]
	v_pk_fma_f32 v[4:5], v[4:5], v[72:73], v[18:19] op_sel:[0,0,1] op_sel_hi:[1,0,0]
	v_mov_b32_e32 v21, v5
	v_pk_add_f32 v[4:5], v[16:17], v[20:21]
	v_mov_b32_e32 v16, v71
	v_pk_mul_f32 v[16:17], v[6:7], v[16:17] op_sel_hi:[1,0]
	v_pk_fma_f32 v[18:19], v[6:7], v[70:71], v[16:17] op_sel:[0,0,1] op_sel_hi:[1,1,0] neg_lo:[0,0,1] neg_hi:[0,0,1]
	v_pk_fma_f32 v[6:7], v[6:7], v[70:71], v[16:17] op_sel:[0,0,1] op_sel_hi:[1,0,0]
	v_mov_b32_e32 v6, v69
	v_mov_b32_e32 v19, v7
	s_waitcnt lgkmcnt(1)
	v_pk_mul_f32 v[6:7], v[8:9], v[6:7] op_sel_hi:[1,0]
	v_pk_fma_f32 v[16:17], v[8:9], v[68:69], v[6:7] op_sel:[0,0,1] op_sel_hi:[1,1,0] neg_lo:[0,0,1] neg_hi:[0,0,1]
	v_pk_fma_f32 v[6:7], v[8:9], v[68:69], v[6:7] op_sel:[0,0,1] op_sel_hi:[1,0,0]
	s_waitcnt vmcnt(1)
	v_mov_b32_e32 v6, v81
	v_mov_b32_e32 v17, v7
	v_pk_mul_f32 v[6:7], v[10:11], v[6:7] op_sel_hi:[1,0]
	s_waitcnt vmcnt(0)
	v_pk_fma_f32 v[8:9], v[10:11], v[80:81], v[6:7] op_sel:[0,0,1] op_sel_hi:[1,1,0] neg_lo:[0,0,1] neg_hi:[0,0,1]
	v_pk_fma_f32 v[6:7], v[10:11], v[80:81], v[6:7] op_sel:[0,0,1] op_sel_hi:[1,0,0]
	v_pk_add_f32 v[4:5], v[4:5], v[18:19]
	v_mov_b32_e32 v6, v79
	v_pk_add_f32 v[4:5], v[4:5], v[16:17]
	v_mov_b32_e32 v9, v7
	s_waitcnt lgkmcnt(0)
	v_pk_mul_f32 v[6:7], v[12:13], v[6:7] op_sel_hi:[1,0]
	v_pk_add_f32 v[4:5], v[4:5], v[8:9]
	v_pk_fma_f32 v[8:9], v[12:13], v[78:79], v[6:7] op_sel:[0,0,1] op_sel_hi:[1,1,0] neg_lo:[0,0,1] neg_hi:[0,0,1]
	v_pk_fma_f32 v[6:7], v[12:13], v[78:79], v[6:7] op_sel:[0,0,1] op_sel_hi:[1,0,0]
	v_mov_b32_e32 v6, v77
	v_mov_b32_e32 v9, v7
	v_pk_mul_f32 v[6:7], v[14:15], v[6:7] op_sel_hi:[1,0]
	v_pk_add_f32 v[4:5], v[4:5], v[8:9]
	v_pk_fma_f32 v[8:9], v[14:15], v[76:77], v[6:7] op_sel:[0,0,1] op_sel_hi:[1,1,0] neg_lo:[0,0,1] neg_hi:[0,0,1]
	v_pk_fma_f32 v[6:7], v[14:15], v[76:77], v[6:7] op_sel:[0,0,1] op_sel_hi:[1,0,0]
	v_mov_b32_e32 v9, v7
	v_pk_add_f32 v[4:5], v[4:5], v[8:9]
	v_pk_add_f32 v[2:3], v[2:3], v[4:5] neg_lo:[0,1] neg_hi:[0,1]
	buffer_store_dword v3, off, s[0:3], 0 offset:172
	buffer_store_dword v2, off, s[0:3], 0 offset:168
	s_and_saveexec_b64 s[4:5], vcc
	s_cbranch_execz .LBB55_309
; %bb.308:
	buffer_load_dword v2, off, s[0:3], 0 offset:160
	buffer_load_dword v3, off, s[0:3], 0 offset:164
	v_mov_b32_e32 v1, 0
	buffer_store_dword v1, off, s[0:3], 0 offset:160
	buffer_store_dword v1, off, s[0:3], 0 offset:164
	s_waitcnt vmcnt(2)
	ds_write_b64 v161, v[2:3]
.LBB55_309:
	s_or_b64 exec, exec, s[4:5]
	s_waitcnt lgkmcnt(0)
	; wave barrier
	s_waitcnt lgkmcnt(0)
	buffer_load_dword v60, off, s[0:3], 0 offset:172
	buffer_load_dword v62, off, s[0:3], 0 offset:180
	;; [unrolled: 1-line block ×56, first 2 shown]
	v_mov_b32_e32 v1, 0
	ds_read2_b64 v[4:7], v1 offset0:77 offset1:78
	ds_read2_b64 v[8:11], v1 offset0:79 offset1:80
	;; [unrolled: 1-line block ×6, first 2 shown]
	v_cmp_lt_u32_e32 vcc, 19, v0
	s_waitcnt vmcnt(55) lgkmcnt(5)
	v_mul_f32_e32 v28, v4, v60
	s_waitcnt vmcnt(54)
	v_mul_f32_e32 v29, v6, v62
	s_waitcnt vmcnt(53) lgkmcnt(4)
	v_mul_f32_e32 v30, v8, v64
	s_waitcnt vmcnt(52)
	v_mul_f32_e32 v31, v10, v82
	;; [unrolled: 4-line block ×4, first 2 shown]
	s_waitcnt vmcnt(47) lgkmcnt(1)
	v_mul_f32_e32 v36, v20, v87
	s_waitcnt vmcnt(46)
	v_fmac_f32_e32 v28, v5, v88
	s_waitcnt vmcnt(45)
	v_fmac_f32_e32 v29, v7, v89
	v_add_f32_e32 v28, 0, v28
	s_waitcnt vmcnt(44)
	v_fmac_f32_e32 v30, v9, v90
	v_add_f32_e32 v28, v28, v29
	s_waitcnt vmcnt(43)
	v_fmac_f32_e32 v31, v11, v91
	v_add_f32_e32 v28, v28, v30
	s_waitcnt vmcnt(42)
	v_fmac_f32_e32 v32, v13, v92
	v_add_f32_e32 v28, v28, v31
	s_waitcnt vmcnt(41)
	v_fmac_f32_e32 v33, v15, v93
	v_add_f32_e32 v28, v28, v32
	s_waitcnt vmcnt(40)
	v_fmac_f32_e32 v34, v17, v94
	v_add_f32_e32 v28, v28, v33
	s_waitcnt vmcnt(39)
	v_fmac_f32_e32 v35, v19, v95
	v_add_f32_e32 v28, v28, v34
	v_add_f32_e32 v28, v28, v35
	s_waitcnt vmcnt(38)
	v_fmac_f32_e32 v36, v21, v96
	s_waitcnt vmcnt(37)
	v_mul_f32_e32 v29, v22, v97
	v_add_f32_e32 v28, v28, v36
	s_waitcnt vmcnt(36)
	v_fmac_f32_e32 v29, v23, v98
	v_add_f32_e32 v28, v28, v29
	s_waitcnt vmcnt(35) lgkmcnt(0)
	v_mul_f32_e32 v29, v24, v99
	s_waitcnt vmcnt(34)
	v_fmac_f32_e32 v29, v25, v100
	v_add_f32_e32 v32, v28, v29
	ds_read2_b64 v[28:31], v1 offset0:89 offset1:90
	s_waitcnt vmcnt(33)
	v_mul_f32_e32 v33, v26, v101
	s_waitcnt vmcnt(32)
	v_fmac_f32_e32 v33, v27, v102
	v_add_f32_e32 v36, v32, v33
	ds_read2_b64 v[32:35], v1 offset0:91 offset1:92
	s_waitcnt vmcnt(31) lgkmcnt(1)
	v_mul_f32_e32 v37, v28, v103
	s_waitcnt vmcnt(30)
	v_fmac_f32_e32 v37, v29, v104
	v_add_f32_e32 v36, v36, v37
	s_waitcnt vmcnt(29)
	v_mul_f32_e32 v37, v30, v105
	s_waitcnt vmcnt(28)
	v_fmac_f32_e32 v37, v31, v106
	v_add_f32_e32 v36, v36, v37
	s_waitcnt vmcnt(27) lgkmcnt(0)
	v_mul_f32_e32 v37, v32, v107
	s_waitcnt vmcnt(26)
	v_fmac_f32_e32 v37, v33, v108
	v_add_f32_e32 v40, v36, v37
	ds_read2_b64 v[36:39], v1 offset0:93 offset1:94
	s_waitcnt vmcnt(24)
	v_mul_f32_e32 v41, v34, v110
	v_fmac_f32_e32 v41, v35, v109
	v_add_f32_e32 v44, v40, v41
	ds_read2_b64 v[40:43], v1 offset0:95 offset1:96
	s_waitcnt vmcnt(20) lgkmcnt(1)
	v_mul_f32_e32 v45, v36, v112
	v_fmac_f32_e32 v45, v37, v111
	v_add_f32_e32 v44, v44, v45
	s_waitcnt vmcnt(18)
	v_mul_f32_e32 v45, v38, v114
	v_fmac_f32_e32 v45, v39, v113
	v_add_f32_e32 v44, v44, v45
	s_waitcnt vmcnt(16) lgkmcnt(0)
	v_mul_f32_e32 v45, v40, v116
	v_fmac_f32_e32 v45, v41, v115
	v_add_f32_e32 v48, v44, v45
	ds_read2_b64 v[44:47], v1 offset0:97 offset1:98
	s_waitcnt vmcnt(14)
	v_mul_f32_e32 v49, v42, v118
	v_fmac_f32_e32 v49, v43, v117
	v_add_f32_e32 v52, v48, v49
	ds_read2_b64 v[48:51], v1 offset0:99 offset1:100
	s_waitcnt vmcnt(12) lgkmcnt(1)
	v_mul_f32_e32 v53, v44, v120
	v_fmac_f32_e32 v53, v45, v119
	v_add_f32_e32 v52, v52, v53
	s_waitcnt vmcnt(10)
	v_mul_f32_e32 v53, v46, v122
	v_fmac_f32_e32 v53, v47, v121
	v_add_f32_e32 v52, v52, v53
	s_waitcnt vmcnt(8) lgkmcnt(0)
	v_mul_f32_e32 v53, v48, v124
	v_fmac_f32_e32 v53, v49, v123
	s_waitcnt vmcnt(6)
	v_mul_f32_e32 v57, v50, v126
	v_add_f32_e32 v56, v52, v53
	v_fmac_f32_e32 v57, v51, v125
	ds_read2_b64 v[52:55], v1 offset0:101 offset1:102
	v_add_f32_e32 v61, v56, v57
	ds_read2_b64 v[56:59], v1 offset0:103 offset1:104
	buffer_load_dword v67, off, s[0:3], 0 offset:412
	buffer_load_dword v66, off, s[0:3], 0 offset:408
	buffer_load_dword v69, off, s[0:3], 0 offset:404
	buffer_load_dword v68, off, s[0:3], 0 offset:400
	buffer_load_dword v71, off, s[0:3], 0 offset:396
	buffer_load_dword v70, off, s[0:3], 0 offset:392
	buffer_load_dword v73, off, s[0:3], 0 offset:388
	buffer_load_dword v72, off, s[0:3], 0 offset:384
	buffer_load_dword v75, off, s[0:3], 0 offset:444
	buffer_load_dword v74, off, s[0:3], 0 offset:440
	buffer_load_dword v77, off, s[0:3], 0 offset:436
	buffer_load_dword v76, off, s[0:3], 0 offset:432
	buffer_load_dword v79, off, s[0:3], 0 offset:428
	buffer_load_dword v78, off, s[0:3], 0 offset:424
	buffer_load_dword v81, off, s[0:3], 0 offset:420
	buffer_load_dword v80, off, s[0:3], 0 offset:416
	v_mul_f32_e32 v5, v5, v60
	v_fma_f32 v4, v4, v88, -v5
	v_mul_f32_e32 v5, v7, v62
	v_add_f32_e32 v4, 0, v4
	v_fma_f32 v5, v6, v89, -v5
	v_add_f32_e32 v4, v4, v5
	v_mul_f32_e32 v5, v9, v64
	v_fma_f32 v5, v8, v90, -v5
	v_add_f32_e32 v4, v4, v5
	v_mul_f32_e32 v5, v11, v82
	;; [unrolled: 3-line block ×22, first 2 shown]
	v_fma_f32 v5, v50, v125, -v5
	v_add_f32_e32 v4, v4, v5
	s_waitcnt vmcnt(20) lgkmcnt(1)
	v_mul_f32_e32 v5, v53, v128
	v_mul_f32_e32 v63, v52, v128
	v_fma_f32 v5, v52, v127, -v5
	v_fmac_f32_e32 v63, v53, v127
	v_add_f32_e32 v60, v4, v5
	s_waitcnt vmcnt(18)
	v_mul_f32_e32 v4, v55, v130
	s_waitcnt vmcnt(9)
	v_mov_b32_e32 v20, v73
	v_add_f32_e32 v61, v61, v63
	v_mul_f32_e32 v63, v54, v130
	v_fma_f32 v62, v54, v129, -v4
	s_waitcnt lgkmcnt(0)
	v_mul_f32_e32 v4, v57, v132
	v_pk_mul_f32 v[20:21], v[58:59], v[20:21] op_sel_hi:[1,0]
	v_fmac_f32_e32 v63, v55, v129
	v_mul_f32_e32 v65, v56, v132
	v_fma_f32 v64, v56, v131, -v4
	ds_read2_b64 v[4:7], v1 offset0:105 offset1:106
	ds_read2_b64 v[8:11], v1 offset0:107 offset1:108
	;; [unrolled: 1-line block ×3, first 2 shown]
	ds_read_b64 v[16:17], v1 offset:888
	s_waitcnt vmcnt(8)
	v_pk_fma_f32 v[22:23], v[58:59], v[72:73], v[20:21] op_sel:[0,0,1] op_sel_hi:[1,1,0] neg_lo:[0,0,1] neg_hi:[0,0,1]
	v_pk_fma_f32 v[20:21], v[58:59], v[72:73], v[20:21] op_sel:[0,0,1] op_sel_hi:[1,0,0]
	v_fmac_f32_e32 v65, v57, v131
	v_pk_add_f32 v[18:19], v[60:61], v[62:63]
	v_mov_b32_e32 v20, v71
	v_pk_add_f32 v[18:19], v[18:19], v[64:65]
	v_mov_b32_e32 v23, v21
	s_waitcnt lgkmcnt(3)
	v_pk_mul_f32 v[20:21], v[4:5], v[20:21] op_sel_hi:[1,0]
	v_pk_add_f32 v[18:19], v[18:19], v[22:23]
	v_pk_fma_f32 v[22:23], v[4:5], v[70:71], v[20:21] op_sel:[0,0,1] op_sel_hi:[1,1,0] neg_lo:[0,0,1] neg_hi:[0,0,1]
	v_pk_fma_f32 v[4:5], v[4:5], v[70:71], v[20:21] op_sel:[0,0,1] op_sel_hi:[1,0,0]
	v_mov_b32_e32 v23, v5
	v_pk_add_f32 v[4:5], v[18:19], v[22:23]
	v_mov_b32_e32 v18, v69
	v_pk_mul_f32 v[18:19], v[6:7], v[18:19] op_sel_hi:[1,0]
	v_pk_fma_f32 v[20:21], v[6:7], v[68:69], v[18:19] op_sel:[0,0,1] op_sel_hi:[1,1,0] neg_lo:[0,0,1] neg_hi:[0,0,1]
	v_pk_fma_f32 v[6:7], v[6:7], v[68:69], v[18:19] op_sel:[0,0,1] op_sel_hi:[1,0,0]
	v_mov_b32_e32 v6, v67
	v_mov_b32_e32 v21, v7
	s_waitcnt lgkmcnt(2)
	v_pk_mul_f32 v[6:7], v[8:9], v[6:7] op_sel_hi:[1,0]
	v_pk_fma_f32 v[18:19], v[8:9], v[66:67], v[6:7] op_sel:[0,0,1] op_sel_hi:[1,1,0] neg_lo:[0,0,1] neg_hi:[0,0,1]
	v_pk_fma_f32 v[6:7], v[8:9], v[66:67], v[6:7] op_sel:[0,0,1] op_sel_hi:[1,0,0]
	s_waitcnt vmcnt(1)
	v_mov_b32_e32 v6, v81
	v_mov_b32_e32 v19, v7
	v_pk_mul_f32 v[6:7], v[10:11], v[6:7] op_sel_hi:[1,0]
	s_waitcnt vmcnt(0)
	v_pk_fma_f32 v[8:9], v[10:11], v[80:81], v[6:7] op_sel:[0,0,1] op_sel_hi:[1,1,0] neg_lo:[0,0,1] neg_hi:[0,0,1]
	v_pk_fma_f32 v[6:7], v[10:11], v[80:81], v[6:7] op_sel:[0,0,1] op_sel_hi:[1,0,0]
	v_pk_add_f32 v[4:5], v[4:5], v[20:21]
	v_mov_b32_e32 v6, v79
	v_pk_add_f32 v[4:5], v[4:5], v[18:19]
	v_mov_b32_e32 v9, v7
	s_waitcnt lgkmcnt(1)
	v_pk_mul_f32 v[6:7], v[12:13], v[6:7] op_sel_hi:[1,0]
	v_pk_add_f32 v[4:5], v[4:5], v[8:9]
	v_pk_fma_f32 v[8:9], v[12:13], v[78:79], v[6:7] op_sel:[0,0,1] op_sel_hi:[1,1,0] neg_lo:[0,0,1] neg_hi:[0,0,1]
	v_pk_fma_f32 v[6:7], v[12:13], v[78:79], v[6:7] op_sel:[0,0,1] op_sel_hi:[1,0,0]
	v_mov_b32_e32 v6, v77
	v_mov_b32_e32 v9, v7
	v_pk_mul_f32 v[6:7], v[14:15], v[6:7] op_sel_hi:[1,0]
	v_pk_add_f32 v[4:5], v[4:5], v[8:9]
	v_pk_fma_f32 v[8:9], v[14:15], v[76:77], v[6:7] op_sel:[0,0,1] op_sel_hi:[1,1,0] neg_lo:[0,0,1] neg_hi:[0,0,1]
	v_pk_fma_f32 v[6:7], v[14:15], v[76:77], v[6:7] op_sel:[0,0,1] op_sel_hi:[1,0,0]
	v_mov_b32_e32 v6, v75
	v_mov_b32_e32 v9, v7
	s_waitcnt lgkmcnt(0)
	v_pk_mul_f32 v[6:7], v[16:17], v[6:7] op_sel_hi:[1,0]
	v_pk_add_f32 v[4:5], v[4:5], v[8:9]
	v_pk_fma_f32 v[8:9], v[16:17], v[74:75], v[6:7] op_sel:[0,0,1] op_sel_hi:[1,1,0] neg_lo:[0,0,1] neg_hi:[0,0,1]
	v_pk_fma_f32 v[6:7], v[16:17], v[74:75], v[6:7] op_sel:[0,0,1] op_sel_hi:[1,0,0]
	v_mov_b32_e32 v9, v7
	v_pk_add_f32 v[4:5], v[4:5], v[8:9]
	v_pk_add_f32 v[2:3], v[2:3], v[4:5] neg_lo:[0,1] neg_hi:[0,1]
	buffer_store_dword v3, off, s[0:3], 0 offset:164
	buffer_store_dword v2, off, s[0:3], 0 offset:160
	s_and_saveexec_b64 s[4:5], vcc
	s_cbranch_execz .LBB55_311
; %bb.310:
	buffer_load_dword v2, off, s[0:3], 0 offset:152
	buffer_load_dword v3, off, s[0:3], 0 offset:156
	s_waitcnt vmcnt(0)
	ds_write_b64 v161, v[2:3]
	buffer_store_dword v1, off, s[0:3], 0 offset:152
	buffer_store_dword v1, off, s[0:3], 0 offset:156
.LBB55_311:
	s_or_b64 exec, exec, s[4:5]
	s_waitcnt lgkmcnt(0)
	; wave barrier
	s_waitcnt lgkmcnt(0)
	buffer_load_dword v60, off, s[0:3], 0 offset:164
	buffer_load_dword v62, off, s[0:3], 0 offset:172
	buffer_load_dword v70, off, s[0:3], 0 offset:180
	buffer_load_dword v82, off, s[0:3], 0 offset:188
	buffer_load_dword v83, off, s[0:3], 0 offset:196
	buffer_load_dword v84, off, s[0:3], 0 offset:204
	buffer_load_dword v85, off, s[0:3], 0 offset:212
	buffer_load_dword v86, off, s[0:3], 0 offset:220
	buffer_load_dword v87, off, s[0:3], 0 offset:160
	buffer_load_dword v88, off, s[0:3], 0 offset:168
	buffer_load_dword v89, off, s[0:3], 0 offset:176
	buffer_load_dword v90, off, s[0:3], 0 offset:184
	buffer_load_dword v91, off, s[0:3], 0 offset:192
	buffer_load_dword v92, off, s[0:3], 0 offset:200
	buffer_load_dword v93, off, s[0:3], 0 offset:208
	buffer_load_dword v94, off, s[0:3], 0 offset:216
	buffer_load_dword v95, off, s[0:3], 0 offset:228
	buffer_load_dword v96, off, s[0:3], 0 offset:224
	buffer_load_dword v97, off, s[0:3], 0 offset:236
	buffer_load_dword v98, off, s[0:3], 0 offset:232
	buffer_load_dword v99, off, s[0:3], 0 offset:244
	buffer_load_dword v100, off, s[0:3], 0 offset:240
	buffer_load_dword v101, off, s[0:3], 0 offset:252
	buffer_load_dword v102, off, s[0:3], 0 offset:248
	buffer_load_dword v103, off, s[0:3], 0 offset:260
	buffer_load_dword v104, off, s[0:3], 0 offset:256
	buffer_load_dword v105, off, s[0:3], 0 offset:268
	buffer_load_dword v106, off, s[0:3], 0 offset:264
	buffer_load_dword v107, off, s[0:3], 0 offset:276
	buffer_load_dword v108, off, s[0:3], 0 offset:272
	buffer_load_dword v2, off, s[0:3], 0 offset:152
	buffer_load_dword v3, off, s[0:3], 0 offset:156
	buffer_load_dword v109, off, s[0:3], 0 offset:284
	buffer_load_dword v110, off, s[0:3], 0 offset:280
	buffer_load_dword v111, off, s[0:3], 0 offset:288
	buffer_load_dword v112, off, s[0:3], 0 offset:292
	ds_read_b128 v[4:7], v1 offset:608
	ds_read_b128 v[8:11], v1 offset:624
	buffer_load_dword v113, off, s[0:3], 0 offset:296
	buffer_load_dword v114, off, s[0:3], 0 offset:300
	;; [unrolled: 1-line block ×4, first 2 shown]
	ds_read_b128 v[12:15], v1 offset:640
	ds_read_b128 v[16:19], v1 offset:656
	buffer_load_dword v117, off, s[0:3], 0 offset:312
	buffer_load_dword v118, off, s[0:3], 0 offset:316
	ds_read_b128 v[20:23], v1 offset:672
	ds_read_b128 v[24:27], v1 offset:688
	buffer_load_dword v119, off, s[0:3], 0 offset:320
	buffer_load_dword v120, off, s[0:3], 0 offset:324
	;; [unrolled: 1-line block ×16, first 2 shown]
	v_cmp_lt_u32_e32 vcc, 18, v0
	s_waitcnt vmcnt(57) lgkmcnt(5)
	v_mul_f32_e32 v28, v4, v60
	s_waitcnt vmcnt(56)
	v_mul_f32_e32 v29, v6, v62
	s_waitcnt vmcnt(55) lgkmcnt(4)
	v_mul_f32_e32 v30, v8, v70
	s_waitcnt vmcnt(54)
	v_mul_f32_e32 v31, v10, v82
	;; [unrolled: 4-line block ×4, first 2 shown]
	s_waitcnt vmcnt(49)
	v_fmac_f32_e32 v28, v5, v87
	s_waitcnt vmcnt(48)
	v_fmac_f32_e32 v29, v7, v88
	v_add_f32_e32 v28, 0, v28
	s_waitcnt vmcnt(47)
	v_fmac_f32_e32 v30, v9, v89
	v_add_f32_e32 v28, v28, v29
	;; [unrolled: 3-line block ×7, first 2 shown]
	s_waitcnt vmcnt(41) lgkmcnt(1)
	v_mul_f32_e32 v29, v20, v95
	v_add_f32_e32 v28, v28, v35
	s_waitcnt vmcnt(40)
	v_fmac_f32_e32 v29, v21, v96
	v_add_f32_e32 v28, v28, v29
	s_waitcnt vmcnt(39)
	v_mul_f32_e32 v29, v22, v97
	s_waitcnt vmcnt(38)
	v_fmac_f32_e32 v29, v23, v98
	v_add_f32_e32 v28, v28, v29
	s_waitcnt vmcnt(37) lgkmcnt(0)
	v_mul_f32_e32 v29, v24, v99
	s_waitcnt vmcnt(36)
	v_fmac_f32_e32 v29, v25, v100
	v_add_f32_e32 v32, v28, v29
	ds_read_b128 v[28:31], v1 offset:704
	s_waitcnt vmcnt(35)
	v_mul_f32_e32 v33, v26, v101
	s_waitcnt vmcnt(34)
	v_fmac_f32_e32 v33, v27, v102
	v_add_f32_e32 v36, v32, v33
	ds_read_b128 v[32:35], v1 offset:720
	s_waitcnt vmcnt(33) lgkmcnt(1)
	v_mul_f32_e32 v37, v28, v103
	s_waitcnt vmcnt(32)
	v_fmac_f32_e32 v37, v29, v104
	v_add_f32_e32 v36, v36, v37
	s_waitcnt vmcnt(31)
	v_mul_f32_e32 v37, v30, v105
	s_waitcnt vmcnt(30)
	v_fmac_f32_e32 v37, v31, v106
	v_add_f32_e32 v36, v36, v37
	s_waitcnt vmcnt(29) lgkmcnt(0)
	v_mul_f32_e32 v37, v32, v107
	s_waitcnt vmcnt(28)
	v_fmac_f32_e32 v37, v33, v108
	v_add_f32_e32 v40, v36, v37
	ds_read_b128 v[36:39], v1 offset:736
	s_waitcnt vmcnt(25)
	v_mul_f32_e32 v41, v34, v109
	s_waitcnt vmcnt(24)
	v_fmac_f32_e32 v41, v35, v110
	v_add_f32_e32 v44, v40, v41
	ds_read_b128 v[40:43], v1 offset:752
	s_waitcnt vmcnt(22) lgkmcnt(1)
	v_mul_f32_e32 v45, v36, v112
	v_fmac_f32_e32 v45, v37, v111
	v_add_f32_e32 v44, v44, v45
	s_waitcnt vmcnt(20)
	v_mul_f32_e32 v45, v38, v114
	v_fmac_f32_e32 v45, v39, v113
	v_add_f32_e32 v44, v44, v45
	s_waitcnt vmcnt(18) lgkmcnt(0)
	v_mul_f32_e32 v45, v40, v116
	v_fmac_f32_e32 v45, v41, v115
	v_add_f32_e32 v48, v44, v45
	ds_read_b128 v[44:47], v1 offset:768
	s_waitcnt vmcnt(16)
	v_mul_f32_e32 v49, v42, v118
	v_fmac_f32_e32 v49, v43, v117
	v_add_f32_e32 v52, v48, v49
	ds_read_b128 v[48:51], v1 offset:784
	s_waitcnt vmcnt(14) lgkmcnt(1)
	v_mul_f32_e32 v53, v44, v120
	v_fmac_f32_e32 v53, v45, v119
	v_add_f32_e32 v52, v52, v53
	s_waitcnt vmcnt(12)
	v_mul_f32_e32 v53, v46, v122
	v_fmac_f32_e32 v53, v47, v121
	v_add_f32_e32 v52, v52, v53
	s_waitcnt vmcnt(10) lgkmcnt(0)
	v_mul_f32_e32 v53, v48, v124
	v_fmac_f32_e32 v53, v49, v123
	s_waitcnt vmcnt(8)
	v_mul_f32_e32 v57, v50, v126
	v_add_f32_e32 v56, v52, v53
	v_fmac_f32_e32 v57, v51, v125
	ds_read_b128 v[52:55], v1 offset:800
	v_add_f32_e32 v61, v56, v57
	ds_read_b128 v[56:59], v1 offset:816
	buffer_load_dword v65, off, s[0:3], 0 offset:404
	buffer_load_dword v64, off, s[0:3], 0 offset:400
	;; [unrolled: 1-line block ×16, first 2 shown]
	v_mul_f32_e32 v5, v5, v60
	v_fma_f32 v4, v4, v87, -v5
	v_mul_f32_e32 v5, v7, v62
	v_add_f32_e32 v4, 0, v4
	v_fma_f32 v5, v6, v88, -v5
	v_add_f32_e32 v4, v4, v5
	v_mul_f32_e32 v5, v9, v70
	v_fma_f32 v5, v8, v89, -v5
	v_add_f32_e32 v4, v4, v5
	v_mul_f32_e32 v5, v11, v82
	;; [unrolled: 3-line block ×22, first 2 shown]
	v_fma_f32 v5, v50, v125, -v5
	v_add_f32_e32 v4, v4, v5
	s_waitcnt vmcnt(22) lgkmcnt(1)
	v_mul_f32_e32 v5, v53, v128
	v_fma_f32 v5, v52, v127, -v5
	v_add_f32_e32 v4, v4, v5
	s_waitcnt vmcnt(20)
	v_mul_f32_e32 v5, v55, v130
	v_mul_f32_e32 v63, v52, v128
	v_fma_f32 v5, v54, v129, -v5
	v_fmac_f32_e32 v63, v53, v127
	v_add_f32_e32 v60, v4, v5
	s_waitcnt vmcnt(18) lgkmcnt(0)
	v_mul_f32_e32 v4, v57, v132
	v_add_f32_e32 v61, v61, v63
	v_mul_f32_e32 v63, v54, v130
	v_fma_f32 v62, v56, v131, -v4
	s_waitcnt vmcnt(16)
	v_mul_f32_e32 v4, v59, v134
	v_fmac_f32_e32 v63, v55, v129
	v_fma_f32 v70, v58, v133, -v4
	ds_read_b128 v[4:7], v1 offset:832
	ds_read_b128 v[8:11], v1 offset:848
	;; [unrolled: 1-line block ×4, first 2 shown]
	v_add_f32_e32 v61, v61, v63
	v_mul_f32_e32 v63, v56, v132
	s_waitcnt vmcnt(11)
	v_mov_b32_e32 v22, v69
	v_fmac_f32_e32 v63, v57, v131
	v_mul_f32_e32 v71, v58, v134
	s_waitcnt lgkmcnt(3)
	v_pk_mul_f32 v[22:23], v[4:5], v[22:23] op_sel_hi:[1,0]
	v_fmac_f32_e32 v71, v59, v133
	v_pk_add_f32 v[20:21], v[60:61], v[62:63]
	s_waitcnt vmcnt(10)
	v_pk_fma_f32 v[24:25], v[4:5], v[68:69], v[22:23] op_sel:[0,0,1] op_sel_hi:[1,1,0] neg_lo:[0,0,1] neg_hi:[0,0,1]
	v_pk_fma_f32 v[4:5], v[4:5], v[68:69], v[22:23] op_sel:[0,0,1] op_sel_hi:[1,0,0]
	v_pk_add_f32 v[20:21], v[20:21], v[70:71]
	v_mov_b32_e32 v25, v5
	v_pk_add_f32 v[4:5], v[20:21], v[24:25]
	v_mov_b32_e32 v20, v67
	v_pk_mul_f32 v[20:21], v[6:7], v[20:21] op_sel_hi:[1,0]
	v_pk_fma_f32 v[22:23], v[6:7], v[66:67], v[20:21] op_sel:[0,0,1] op_sel_hi:[1,1,0] neg_lo:[0,0,1] neg_hi:[0,0,1]
	v_pk_fma_f32 v[6:7], v[6:7], v[66:67], v[20:21] op_sel:[0,0,1] op_sel_hi:[1,0,0]
	v_mov_b32_e32 v6, v65
	v_mov_b32_e32 v23, v7
	s_waitcnt lgkmcnt(2)
	v_pk_mul_f32 v[6:7], v[8:9], v[6:7] op_sel_hi:[1,0]
	v_pk_fma_f32 v[20:21], v[8:9], v[64:65], v[6:7] op_sel:[0,0,1] op_sel_hi:[1,1,0] neg_lo:[0,0,1] neg_hi:[0,0,1]
	v_pk_fma_f32 v[6:7], v[8:9], v[64:65], v[6:7] op_sel:[0,0,1] op_sel_hi:[1,0,0]
	s_waitcnt vmcnt(3)
	v_mov_b32_e32 v6, v79
	v_mov_b32_e32 v21, v7
	v_pk_mul_f32 v[6:7], v[10:11], v[6:7] op_sel_hi:[1,0]
	s_waitcnt vmcnt(2)
	v_pk_fma_f32 v[8:9], v[10:11], v[78:79], v[6:7] op_sel:[0,0,1] op_sel_hi:[1,1,0] neg_lo:[0,0,1] neg_hi:[0,0,1]
	v_pk_fma_f32 v[6:7], v[10:11], v[78:79], v[6:7] op_sel:[0,0,1] op_sel_hi:[1,0,0]
	v_pk_add_f32 v[4:5], v[4:5], v[22:23]
	v_mov_b32_e32 v6, v77
	v_pk_add_f32 v[4:5], v[4:5], v[20:21]
	v_mov_b32_e32 v9, v7
	s_waitcnt lgkmcnt(1)
	v_pk_mul_f32 v[6:7], v[12:13], v[6:7] op_sel_hi:[1,0]
	v_pk_add_f32 v[4:5], v[4:5], v[8:9]
	v_pk_fma_f32 v[8:9], v[12:13], v[76:77], v[6:7] op_sel:[0,0,1] op_sel_hi:[1,1,0] neg_lo:[0,0,1] neg_hi:[0,0,1]
	v_pk_fma_f32 v[6:7], v[12:13], v[76:77], v[6:7] op_sel:[0,0,1] op_sel_hi:[1,0,0]
	v_mov_b32_e32 v6, v75
	v_mov_b32_e32 v9, v7
	v_pk_mul_f32 v[6:7], v[14:15], v[6:7] op_sel_hi:[1,0]
	v_pk_add_f32 v[4:5], v[4:5], v[8:9]
	v_pk_fma_f32 v[8:9], v[14:15], v[74:75], v[6:7] op_sel:[0,0,1] op_sel_hi:[1,1,0] neg_lo:[0,0,1] neg_hi:[0,0,1]
	v_pk_fma_f32 v[6:7], v[14:15], v[74:75], v[6:7] op_sel:[0,0,1] op_sel_hi:[1,0,0]
	v_mov_b32_e32 v6, v73
	v_mov_b32_e32 v9, v7
	s_waitcnt lgkmcnt(0)
	v_pk_mul_f32 v[6:7], v[16:17], v[6:7] op_sel_hi:[1,0]
	v_pk_add_f32 v[4:5], v[4:5], v[8:9]
	v_pk_fma_f32 v[8:9], v[16:17], v[72:73], v[6:7] op_sel:[0,0,1] op_sel_hi:[1,1,0] neg_lo:[0,0,1] neg_hi:[0,0,1]
	v_pk_fma_f32 v[6:7], v[16:17], v[72:73], v[6:7] op_sel:[0,0,1] op_sel_hi:[1,0,0]
	s_waitcnt vmcnt(1)
	v_mov_b32_e32 v6, v81
	v_mov_b32_e32 v9, v7
	v_pk_mul_f32 v[6:7], v[18:19], v[6:7] op_sel_hi:[1,0]
	v_pk_add_f32 v[4:5], v[4:5], v[8:9]
	s_waitcnt vmcnt(0)
	v_pk_fma_f32 v[8:9], v[18:19], v[80:81], v[6:7] op_sel:[0,0,1] op_sel_hi:[1,1,0] neg_lo:[0,0,1] neg_hi:[0,0,1]
	v_pk_fma_f32 v[6:7], v[18:19], v[80:81], v[6:7] op_sel:[0,0,1] op_sel_hi:[1,0,0]
	v_mov_b32_e32 v9, v7
	v_pk_add_f32 v[4:5], v[4:5], v[8:9]
	v_pk_add_f32 v[2:3], v[2:3], v[4:5] neg_lo:[0,1] neg_hi:[0,1]
	buffer_store_dword v3, off, s[0:3], 0 offset:156
	buffer_store_dword v2, off, s[0:3], 0 offset:152
	s_and_saveexec_b64 s[4:5], vcc
	s_cbranch_execz .LBB55_313
; %bb.312:
	buffer_load_dword v2, off, s[0:3], 0 offset:144
	buffer_load_dword v3, off, s[0:3], 0 offset:148
	v_mov_b32_e32 v1, 0
	buffer_store_dword v1, off, s[0:3], 0 offset:144
	buffer_store_dword v1, off, s[0:3], 0 offset:148
	s_waitcnt vmcnt(2)
	ds_write_b64 v161, v[2:3]
.LBB55_313:
	s_or_b64 exec, exec, s[4:5]
	s_waitcnt lgkmcnt(0)
	; wave barrier
	s_waitcnt lgkmcnt(0)
	buffer_load_dword v32, off, s[0:3], 0 offset:156
	buffer_load_dword v34, off, s[0:3], 0 offset:164
	;; [unrolled: 1-line block ×60, first 2 shown]
	v_mov_b32_e32 v50, 0
	ds_read2_b64 v[22:25], v50 offset0:75 offset1:76
	ds_read2_b64 v[18:21], v50 offset0:77 offset1:78
	;; [unrolled: 1-line block ×14, first 2 shown]
	v_cmp_lt_u32_e32 vcc, 17, v0
	s_waitcnt vmcnt(59) lgkmcnt(13)
	v_mul_f32_e32 v2, v22, v32
	s_waitcnt vmcnt(58)
	v_mul_f32_e32 v3, v24, v34
	s_waitcnt vmcnt(57) lgkmcnt(12)
	v_mul_f32_e32 v4, v18, v1
	s_waitcnt vmcnt(56)
	v_mul_f32_e32 v5, v20, v51
	;; [unrolled: 4-line block ×3, first 2 shown]
	s_waitcnt vmcnt(53) lgkmcnt(10)
	v_mul_f32_e32 v31, v10, v30
	s_waitcnt vmcnt(52)
	v_fmac_f32_e32 v2, v23, v64
	s_waitcnt vmcnt(51)
	v_fmac_f32_e32 v3, v25, v58
	v_add_f32_e32 v2, 0, v2
	s_waitcnt vmcnt(50)
	v_fmac_f32_e32 v4, v19, v67
	v_add_f32_e32 v2, v2, v3
	s_waitcnt vmcnt(49)
	v_fmac_f32_e32 v5, v21, v65
	v_add_f32_e32 v2, v2, v4
	s_waitcnt vmcnt(48)
	v_fmac_f32_e32 v28, v15, v59
	v_add_f32_e32 v2, v2, v5
	s_waitcnt vmcnt(47)
	v_fmac_f32_e32 v29, v17, v54
	v_add_f32_e32 v2, v2, v28
	s_waitcnt vmcnt(46)
	v_fmac_f32_e32 v31, v11, v66
	v_add_f32_e32 v2, v2, v29
	s_waitcnt vmcnt(45)
	v_mul_f32_e32 v3, v12, v63
	v_add_f32_e32 v2, v2, v31
	s_waitcnt vmcnt(44)
	v_fmac_f32_e32 v3, v13, v62
	v_add_f32_e32 v2, v2, v3
	s_waitcnt vmcnt(43) lgkmcnt(9)
	v_mul_f32_e32 v3, v6, v61
	s_waitcnt vmcnt(42)
	v_fmac_f32_e32 v3, v7, v60
	v_add_f32_e32 v2, v2, v3
	s_waitcnt vmcnt(41)
	v_mul_f32_e32 v3, v8, v57
	s_waitcnt vmcnt(40)
	v_fmac_f32_e32 v3, v9, v56
	v_add_f32_e32 v2, v2, v3
	s_waitcnt vmcnt(39) lgkmcnt(8)
	v_mul_f32_e32 v3, v76, v55
	s_waitcnt vmcnt(38)
	v_fmac_f32_e32 v3, v77, v75
	v_add_f32_e32 v2, v2, v3
	s_waitcnt vmcnt(37)
	v_mul_f32_e32 v3, v78, v71
	;; [unrolled: 10-line block ×4, first 2 shown]
	v_fmac_f32_e32 v3, v87, v113
	v_add_f32_e32 v2, v2, v3
	s_waitcnt vmcnt(24) lgkmcnt(5)
	v_mul_f32_e32 v3, v88, v116
	v_fmac_f32_e32 v3, v89, v115
	v_add_f32_e32 v2, v2, v3
	s_waitcnt vmcnt(22)
	v_mul_f32_e32 v3, v90, v118
	v_fmac_f32_e32 v3, v91, v117
	v_add_f32_e32 v2, v2, v3
	s_waitcnt vmcnt(20) lgkmcnt(4)
	v_mul_f32_e32 v3, v92, v120
	v_fmac_f32_e32 v3, v93, v119
	v_add_f32_e32 v2, v2, v3
	s_waitcnt vmcnt(18)
	v_mul_f32_e32 v3, v94, v122
	;; [unrolled: 8-line block ×5, first 2 shown]
	v_fmac_f32_e32 v3, v107, v133
	v_add_f32_e32 v28, v2, v3
	ds_read2_b64 v[2:5], v50 offset0:103 offset1:104
	s_waitcnt vmcnt(4) lgkmcnt(1)
	v_mul_f32_e32 v29, v108, v136
	v_fmac_f32_e32 v29, v109, v135
	v_add_f32_e32 v33, v28, v29
	buffer_load_dword v29, off, s[0:3], 0 offset:388
	buffer_load_dword v28, off, s[0:3], 0 offset:384
	;; [unrolled: 1-line block ×16, first 2 shown]
	v_mul_f32_e32 v23, v23, v32
	v_fma_f32 v22, v22, v64, -v23
	v_mul_f32_e32 v23, v25, v34
	v_add_f32_e32 v22, 0, v22
	v_fma_f32 v23, v24, v58, -v23
	v_mul_f32_e32 v1, v19, v1
	v_add_f32_e32 v22, v22, v23
	;; [unrolled: 3-line block ×4, first 2 shown]
	v_fma_f32 v14, v14, v59, -v15
	v_add_f32_e32 v1, v1, v14
	v_mul_f32_e32 v14, v17, v53
	v_fma_f32 v14, v16, v54, -v14
	v_mul_f32_e32 v11, v11, v30
	v_add_f32_e32 v1, v1, v14
	v_fma_f32 v10, v10, v66, -v11
	v_add_f32_e32 v1, v1, v10
	v_mul_f32_e32 v10, v13, v63
	v_fma_f32 v10, v12, v62, -v10
	v_mul_f32_e32 v7, v7, v61
	v_add_f32_e32 v1, v1, v10
	v_fma_f32 v6, v6, v60, -v7
	v_add_f32_e32 v1, v1, v6
	v_mul_f32_e32 v6, v9, v57
	v_fma_f32 v6, v8, v56, -v6
	v_add_f32_e32 v1, v1, v6
	v_mul_f32_e32 v6, v77, v55
	;; [unrolled: 3-line block ×18, first 2 shown]
	v_fma_f32 v6, v108, v135, -v6
	s_waitcnt vmcnt(18)
	v_mul_f32_e32 v35, v110, v138
	v_add_f32_e32 v32, v1, v6
	v_mul_f32_e32 v1, v111, v138
	s_waitcnt vmcnt(15)
	v_mov_b32_e32 v20, v29
	v_fmac_f32_e32 v35, v111, v137
	s_waitcnt lgkmcnt(0)
	v_mul_f32_e32 v31, v2, v140
	v_fma_f32 v34, v110, v137, -v1
	v_mul_f32_e32 v1, v3, v140
	v_pk_mul_f32 v[20:21], v[4:5], v[20:21] op_sel_hi:[1,0]
	v_fmac_f32_e32 v31, v3, v139
	v_fma_f32 v30, v2, v139, -v1
	v_pk_add_f32 v[18:19], v[32:33], v[34:35]
	s_waitcnt vmcnt(14)
	v_pk_fma_f32 v[22:23], v[4:5], v[28:29], v[20:21] op_sel:[0,0,1] op_sel_hi:[1,1,0] neg_lo:[0,0,1] neg_hi:[0,0,1]
	v_pk_fma_f32 v[4:5], v[4:5], v[28:29], v[20:21] op_sel:[0,0,1] op_sel_hi:[1,0,0]
	ds_read2_b64 v[6:9], v50 offset0:105 offset1:106
	ds_read2_b64 v[10:13], v50 offset0:107 offset1:108
	;; [unrolled: 1-line block ×3, first 2 shown]
	ds_read_b64 v[2:3], v50 offset:888
	v_pk_add_f32 v[18:19], v[18:19], v[30:31]
	v_mov_b32_e32 v23, v5
	v_pk_add_f32 v[4:5], v[18:19], v[22:23]
	s_waitcnt vmcnt(13)
	v_mov_b32_e32 v18, v49
	s_waitcnt lgkmcnt(3)
	v_pk_mul_f32 v[18:19], v[6:7], v[18:19] op_sel_hi:[1,0]
	s_waitcnt vmcnt(12)
	v_pk_fma_f32 v[20:21], v[6:7], v[48:49], v[18:19] op_sel:[0,0,1] op_sel_hi:[1,1,0] neg_lo:[0,0,1] neg_hi:[0,0,1]
	v_pk_fma_f32 v[6:7], v[6:7], v[48:49], v[18:19] op_sel:[0,0,1] op_sel_hi:[1,0,0]
	s_waitcnt vmcnt(11)
	v_mov_b32_e32 v6, v47
	v_mov_b32_e32 v21, v7
	v_pk_mul_f32 v[6:7], v[8:9], v[6:7] op_sel_hi:[1,0]
	s_waitcnt vmcnt(10)
	v_pk_fma_f32 v[18:19], v[8:9], v[46:47], v[6:7] op_sel:[0,0,1] op_sel_hi:[1,1,0] neg_lo:[0,0,1] neg_hi:[0,0,1]
	v_pk_fma_f32 v[6:7], v[8:9], v[46:47], v[6:7] op_sel:[0,0,1] op_sel_hi:[1,0,0]
	s_waitcnt vmcnt(9)
	v_mov_b32_e32 v6, v45
	v_mov_b32_e32 v19, v7
	s_waitcnt lgkmcnt(2)
	v_pk_mul_f32 v[6:7], v[10:11], v[6:7] op_sel_hi:[1,0]
	s_waitcnt vmcnt(8)
	v_pk_fma_f32 v[8:9], v[10:11], v[44:45], v[6:7] op_sel:[0,0,1] op_sel_hi:[1,1,0] neg_lo:[0,0,1] neg_hi:[0,0,1]
	v_pk_fma_f32 v[6:7], v[10:11], v[44:45], v[6:7] op_sel:[0,0,1] op_sel_hi:[1,0,0]
	v_pk_add_f32 v[4:5], v[4:5], v[20:21]
	s_waitcnt vmcnt(7)
	v_mov_b32_e32 v6, v43
	v_pk_add_f32 v[4:5], v[4:5], v[18:19]
	v_mov_b32_e32 v9, v7
	v_pk_mul_f32 v[6:7], v[12:13], v[6:7] op_sel_hi:[1,0]
	v_pk_add_f32 v[4:5], v[4:5], v[8:9]
	s_waitcnt vmcnt(6)
	v_pk_fma_f32 v[8:9], v[12:13], v[42:43], v[6:7] op_sel:[0,0,1] op_sel_hi:[1,1,0] neg_lo:[0,0,1] neg_hi:[0,0,1]
	v_pk_fma_f32 v[6:7], v[12:13], v[42:43], v[6:7] op_sel:[0,0,1] op_sel_hi:[1,0,0]
	s_waitcnt vmcnt(5)
	v_mov_b32_e32 v6, v41
	v_mov_b32_e32 v9, v7
	s_waitcnt lgkmcnt(1)
	v_pk_mul_f32 v[6:7], v[14:15], v[6:7] op_sel_hi:[1,0]
	v_pk_add_f32 v[4:5], v[4:5], v[8:9]
	s_waitcnt vmcnt(4)
	v_pk_fma_f32 v[8:9], v[14:15], v[40:41], v[6:7] op_sel:[0,0,1] op_sel_hi:[1,1,0] neg_lo:[0,0,1] neg_hi:[0,0,1]
	v_pk_fma_f32 v[6:7], v[14:15], v[40:41], v[6:7] op_sel:[0,0,1] op_sel_hi:[1,0,0]
	s_waitcnt vmcnt(3)
	v_mov_b32_e32 v6, v39
	v_mov_b32_e32 v9, v7
	v_pk_mul_f32 v[6:7], v[16:17], v[6:7] op_sel_hi:[1,0]
	v_pk_add_f32 v[4:5], v[4:5], v[8:9]
	s_waitcnt vmcnt(2)
	v_pk_fma_f32 v[8:9], v[16:17], v[38:39], v[6:7] op_sel:[0,0,1] op_sel_hi:[1,1,0] neg_lo:[0,0,1] neg_hi:[0,0,1]
	v_pk_fma_f32 v[6:7], v[16:17], v[38:39], v[6:7] op_sel:[0,0,1] op_sel_hi:[1,0,0]
	s_waitcnt vmcnt(1)
	v_mov_b32_e32 v6, v37
	v_mov_b32_e32 v9, v7
	s_waitcnt lgkmcnt(0)
	v_pk_mul_f32 v[6:7], v[2:3], v[6:7] op_sel_hi:[1,0]
	v_pk_add_f32 v[4:5], v[4:5], v[8:9]
	s_waitcnt vmcnt(0)
	v_pk_fma_f32 v[8:9], v[2:3], v[36:37], v[6:7] op_sel:[0,0,1] op_sel_hi:[1,1,0] neg_lo:[0,0,1] neg_hi:[0,0,1]
	v_pk_fma_f32 v[2:3], v[2:3], v[36:37], v[6:7] op_sel:[0,0,1] op_sel_hi:[1,0,0]
	v_mov_b32_e32 v9, v3
	v_pk_add_f32 v[2:3], v[4:5], v[8:9]
	v_pk_add_f32 v[2:3], v[26:27], v[2:3] neg_lo:[0,1] neg_hi:[0,1]
	buffer_store_dword v3, off, s[0:3], 0 offset:148
	buffer_store_dword v2, off, s[0:3], 0 offset:144
	s_and_saveexec_b64 s[4:5], vcc
	s_cbranch_execz .LBB55_315
; %bb.314:
	buffer_load_dword v2, off, s[0:3], 0 offset:136
	buffer_load_dword v3, off, s[0:3], 0 offset:140
	s_waitcnt vmcnt(0)
	ds_write_b64 v161, v[2:3]
	buffer_store_dword v50, off, s[0:3], 0 offset:136
	buffer_store_dword v50, off, s[0:3], 0 offset:140
.LBB55_315:
	s_or_b64 exec, exec, s[4:5]
	s_waitcnt lgkmcnt(0)
	; wave barrier
	s_waitcnt lgkmcnt(0)
	buffer_load_dword v1, off, s[0:3], 0 offset:148
	buffer_load_dword v51, off, s[0:3], 0 offset:156
	;; [unrolled: 1-line block ×32, first 2 shown]
	ds_read_b128 v[16:19], v50 offset:592
	ds_read_b128 v[6:9], v50 offset:608
	buffer_load_dword v117, off, s[0:3], 0 offset:264
	buffer_load_dword v118, off, s[0:3], 0 offset:268
	ds_read_b128 v[10:13], v50 offset:624
	ds_read_b128 v[2:5], v50 offset:640
	buffer_load_dword v119, off, s[0:3], 0 offset:272
	buffer_load_dword v120, off, s[0:3], 0 offset:276
	;; [unrolled: 1-line block ×28, first 2 shown]
	ds_read_b128 v[56:59], v50 offset:784
	ds_read_b128 v[60:63], v50 offset:800
	v_cmp_lt_u32_e32 vcc, 16, v0
	ds_read_b128 v[52:55], v50 offset:768
	s_waitcnt vmcnt(61) lgkmcnt(6)
	v_mul_f32_e32 v20, v16, v1
	s_waitcnt vmcnt(60)
	v_mul_f32_e32 v21, v18, v51
	s_waitcnt vmcnt(59) lgkmcnt(5)
	v_mul_f32_e32 v23, v8, v72
	s_waitcnt vmcnt(58) lgkmcnt(4)
	v_mul_f32_e32 v24, v10, v74
	s_waitcnt vmcnt(57)
	v_mul_f32_e32 v25, v12, v76
	s_waitcnt vmcnt(56)
	v_mul_f32_e32 v22, v6, v92
	s_waitcnt vmcnt(55)
	v_fmac_f32_e32 v22, v7, v93
	s_waitcnt vmcnt(54)
	v_fmac_f32_e32 v21, v19, v94
	s_waitcnt vmcnt(53)
	v_fmac_f32_e32 v20, v17, v95
	v_add_f32_e32 v20, 0, v20
	v_add_f32_e32 v20, v20, v21
	;; [unrolled: 1-line block ×3, first 2 shown]
	s_waitcnt vmcnt(49)
	v_fmac_f32_e32 v24, v11, v99
	s_waitcnt vmcnt(48)
	v_fmac_f32_e32 v23, v9, v100
	v_add_f32_e32 v20, v20, v23
	s_waitcnt lgkmcnt(3)
	v_mul_f32_e32 v26, v2, v96
	v_fmac_f32_e32 v25, v13, v98
	v_add_f32_e32 v20, v20, v24
	v_fmac_f32_e32 v26, v3, v97
	v_add_f32_e32 v20, v20, v25
	v_add_f32_e32 v24, v20, v26
	ds_read_b128 v[20:23], v50 offset:656
	s_waitcnt vmcnt(44)
	v_mul_f32_e32 v25, v4, v104
	s_waitcnt vmcnt(43)
	v_fmac_f32_e32 v25, v5, v105
	v_add_f32_e32 v28, v24, v25
	ds_read_b128 v[24:27], v50 offset:672
	s_waitcnt vmcnt(42) lgkmcnt(1)
	v_mul_f32_e32 v29, v20, v106
	v_fmac_f32_e32 v29, v21, v103
	v_add_f32_e32 v28, v28, v29
	s_waitcnt vmcnt(41)
	v_mul_f32_e32 v29, v22, v107
	v_fmac_f32_e32 v29, v23, v102
	v_add_f32_e32 v28, v28, v29
	s_waitcnt vmcnt(40) lgkmcnt(0)
	v_mul_f32_e32 v29, v24, v108
	v_fmac_f32_e32 v29, v25, v101
	v_add_f32_e32 v32, v28, v29
	ds_read_b128 v[28:31], v50 offset:688
	s_waitcnt vmcnt(34)
	v_mul_f32_e32 v33, v26, v114
	s_waitcnt vmcnt(33)
	v_fmac_f32_e32 v33, v27, v115
	v_add_f32_e32 v36, v32, v33
	ds_read_b128 v[32:35], v50 offset:704
	s_waitcnt vmcnt(32) lgkmcnt(1)
	v_mul_f32_e32 v37, v28, v116
	v_fmac_f32_e32 v37, v29, v113
	v_add_f32_e32 v36, v36, v37
	v_mul_f32_e32 v37, v30, v110
	v_fmac_f32_e32 v37, v31, v109
	v_add_f32_e32 v36, v36, v37
	s_waitcnt lgkmcnt(0)
	v_mul_f32_e32 v37, v32, v112
	v_fmac_f32_e32 v37, v33, v111
	v_add_f32_e32 v40, v36, v37
	ds_read_b128 v[36:39], v50 offset:720
	s_waitcnt vmcnt(28)
	v_mul_f32_e32 v41, v34, v118
	v_fmac_f32_e32 v41, v35, v117
	v_add_f32_e32 v44, v40, v41
	ds_read_b128 v[40:43], v50 offset:736
	s_waitcnt vmcnt(26) lgkmcnt(1)
	v_mul_f32_e32 v45, v36, v120
	v_fmac_f32_e32 v45, v37, v119
	v_add_f32_e32 v44, v44, v45
	s_waitcnt vmcnt(24)
	v_mul_f32_e32 v45, v38, v122
	v_fmac_f32_e32 v45, v39, v121
	v_add_f32_e32 v44, v44, v45
	s_waitcnt vmcnt(22) lgkmcnt(0)
	v_mul_f32_e32 v45, v40, v124
	v_fmac_f32_e32 v45, v41, v123
	v_add_f32_e32 v48, v44, v45
	ds_read_b128 v[44:47], v50 offset:752
	s_waitcnt vmcnt(20)
	v_mul_f32_e32 v49, v42, v126
	v_fmac_f32_e32 v49, v43, v125
	v_add_f32_e32 v48, v48, v49
	s_waitcnt vmcnt(4)
	v_mul_f32_e32 v69, v62, v142
	s_waitcnt lgkmcnt(0)
	v_mul_f32_e32 v49, v44, v128
	v_fmac_f32_e32 v49, v45, v127
	v_add_f32_e32 v48, v48, v49
	v_mul_f32_e32 v49, v46, v130
	v_fmac_f32_e32 v49, v47, v129
	v_add_f32_e32 v48, v48, v49
	;; [unrolled: 3-line block ×7, first 2 shown]
	buffer_load_dword v49, off, s[0:3], 0 offset:388
	buffer_load_dword v48, off, s[0:3], 0 offset:384
	v_fmac_f32_e32 v69, v63, v141
	ds_read_b128 v[64:67], v50 offset:816
	v_add_f32_e32 v73, v68, v69
	ds_read_b128 v[68:71], v50 offset:832
	buffer_load_dword v79, off, s[0:3], 0 offset:420
	buffer_load_dword v78, off, s[0:3], 0 offset:416
	;; [unrolled: 1-line block ×14, first 2 shown]
	v_mul_f32_e32 v1, v17, v1
	v_fma_f32 v1, v16, v95, -v1
	v_mul_f32_e32 v16, v19, v51
	v_add_f32_e32 v1, 0, v1
	v_fma_f32 v16, v18, v94, -v16
	v_mul_f32_e32 v7, v7, v92
	v_add_f32_e32 v1, v1, v16
	v_fma_f32 v6, v6, v93, -v7
	v_add_f32_e32 v1, v1, v6
	v_mul_f32_e32 v6, v9, v72
	v_fma_f32 v6, v8, v100, -v6
	v_add_f32_e32 v1, v1, v6
	v_mul_f32_e32 v6, v11, v74
	v_fma_f32 v6, v10, v99, -v6
	v_add_f32_e32 v1, v1, v6
	v_mul_f32_e32 v6, v13, v76
	v_fma_f32 v6, v12, v98, -v6
	v_mul_f32_e32 v3, v3, v96
	v_add_f32_e32 v1, v1, v6
	v_fma_f32 v2, v2, v97, -v3
	v_add_f32_e32 v1, v1, v2
	v_mul_f32_e32 v2, v5, v104
	v_fma_f32 v2, v4, v105, -v2
	v_add_f32_e32 v1, v1, v2
	v_mul_f32_e32 v2, v21, v106
	;; [unrolled: 3-line block ×21, first 2 shown]
	v_fma_f32 v2, v62, v141, -v2
	s_waitcnt vmcnt(15)
	v_mov_b32_e32 v18, v49
	s_waitcnt lgkmcnt(1)
	v_mul_f32_e32 v75, v64, v206
	v_add_f32_e32 v72, v1, v2
	v_mul_f32_e32 v1, v65, v206
	s_waitcnt lgkmcnt(0)
	v_pk_mul_f32 v[18:19], v[68:69], v[18:19] op_sel_hi:[1,0]
	v_fmac_f32_e32 v75, v65, v143
	v_mul_f32_e32 v77, v66, v208
	v_fma_f32 v74, v64, v143, -v1
	v_mul_f32_e32 v1, v67, v208
	s_waitcnt vmcnt(14)
	v_pk_fma_f32 v[20:21], v[68:69], v[48:49], v[18:19] op_sel:[0,0,1] op_sel_hi:[1,1,0] neg_lo:[0,0,1] neg_hi:[0,0,1]
	v_pk_fma_f32 v[18:19], v[68:69], v[48:49], v[18:19] op_sel:[0,0,1] op_sel_hi:[1,0,0]
	v_fmac_f32_e32 v77, v67, v207
	v_fma_f32 v76, v66, v207, -v1
	v_pk_add_f32 v[16:17], v[72:73], v[74:75]
	s_waitcnt vmcnt(7)
	v_mov_b32_e32 v18, v85
	ds_read_b128 v[2:5], v50 offset:848
	ds_read_b128 v[6:9], v50 offset:864
	;; [unrolled: 1-line block ×3, first 2 shown]
	v_pk_add_f32 v[16:17], v[16:17], v[76:77]
	v_mov_b32_e32 v21, v19
	v_pk_mul_f32 v[18:19], v[70:71], v[18:19] op_sel_hi:[1,0]
	v_pk_add_f32 v[16:17], v[16:17], v[20:21]
	s_waitcnt vmcnt(6)
	v_pk_fma_f32 v[20:21], v[70:71], v[84:85], v[18:19] op_sel:[0,0,1] op_sel_hi:[1,1,0] neg_lo:[0,0,1] neg_hi:[0,0,1]
	v_pk_fma_f32 v[18:19], v[70:71], v[84:85], v[18:19] op_sel:[0,0,1] op_sel_hi:[1,0,0]
	v_mov_b32_e32 v18, v83
	v_mov_b32_e32 v21, v19
	s_waitcnt lgkmcnt(2)
	v_pk_mul_f32 v[18:19], v[2:3], v[18:19] op_sel_hi:[1,0]
	v_pk_add_f32 v[16:17], v[16:17], v[20:21]
	v_pk_fma_f32 v[20:21], v[2:3], v[82:83], v[18:19] op_sel:[0,0,1] op_sel_hi:[1,1,0] neg_lo:[0,0,1] neg_hi:[0,0,1]
	v_pk_fma_f32 v[2:3], v[2:3], v[82:83], v[18:19] op_sel:[0,0,1] op_sel_hi:[1,0,0]
	v_mov_b32_e32 v21, v3
	v_pk_add_f32 v[2:3], v[16:17], v[20:21]
	v_mov_b32_e32 v16, v81
	v_pk_mul_f32 v[16:17], v[4:5], v[16:17] op_sel_hi:[1,0]
	v_pk_fma_f32 v[18:19], v[4:5], v[80:81], v[16:17] op_sel:[0,0,1] op_sel_hi:[1,1,0] neg_lo:[0,0,1] neg_hi:[0,0,1]
	v_pk_fma_f32 v[4:5], v[4:5], v[80:81], v[16:17] op_sel:[0,0,1] op_sel_hi:[1,0,0]
	v_mov_b32_e32 v4, v79
	v_mov_b32_e32 v19, v5
	s_waitcnt lgkmcnt(1)
	v_pk_mul_f32 v[4:5], v[6:7], v[4:5] op_sel_hi:[1,0]
	v_pk_fma_f32 v[16:17], v[6:7], v[78:79], v[4:5] op_sel:[0,0,1] op_sel_hi:[1,1,0] neg_lo:[0,0,1] neg_hi:[0,0,1]
	v_pk_fma_f32 v[4:5], v[6:7], v[78:79], v[4:5] op_sel:[0,0,1] op_sel_hi:[1,0,0]
	s_waitcnt vmcnt(1)
	v_mov_b32_e32 v4, v91
	v_mov_b32_e32 v17, v5
	v_pk_mul_f32 v[4:5], v[8:9], v[4:5] op_sel_hi:[1,0]
	s_waitcnt vmcnt(0)
	v_pk_fma_f32 v[6:7], v[8:9], v[90:91], v[4:5] op_sel:[0,0,1] op_sel_hi:[1,1,0] neg_lo:[0,0,1] neg_hi:[0,0,1]
	v_pk_fma_f32 v[4:5], v[8:9], v[90:91], v[4:5] op_sel:[0,0,1] op_sel_hi:[1,0,0]
	v_pk_add_f32 v[2:3], v[2:3], v[18:19]
	v_mov_b32_e32 v4, v89
	v_pk_add_f32 v[2:3], v[2:3], v[16:17]
	v_mov_b32_e32 v7, v5
	s_waitcnt lgkmcnt(0)
	v_pk_mul_f32 v[4:5], v[10:11], v[4:5] op_sel_hi:[1,0]
	v_pk_add_f32 v[2:3], v[2:3], v[6:7]
	v_pk_fma_f32 v[6:7], v[10:11], v[88:89], v[4:5] op_sel:[0,0,1] op_sel_hi:[1,1,0] neg_lo:[0,0,1] neg_hi:[0,0,1]
	v_pk_fma_f32 v[4:5], v[10:11], v[88:89], v[4:5] op_sel:[0,0,1] op_sel_hi:[1,0,0]
	v_mov_b32_e32 v4, v87
	v_mov_b32_e32 v7, v5
	v_pk_mul_f32 v[4:5], v[12:13], v[4:5] op_sel_hi:[1,0]
	v_pk_add_f32 v[2:3], v[2:3], v[6:7]
	v_pk_fma_f32 v[6:7], v[12:13], v[86:87], v[4:5] op_sel:[0,0,1] op_sel_hi:[1,1,0] neg_lo:[0,0,1] neg_hi:[0,0,1]
	v_pk_fma_f32 v[4:5], v[12:13], v[86:87], v[4:5] op_sel:[0,0,1] op_sel_hi:[1,0,0]
	v_mov_b32_e32 v7, v5
	v_pk_add_f32 v[2:3], v[2:3], v[6:7]
	v_pk_add_f32 v[2:3], v[14:15], v[2:3] neg_lo:[0,1] neg_hi:[0,1]
	buffer_store_dword v3, off, s[0:3], 0 offset:140
	buffer_store_dword v2, off, s[0:3], 0 offset:136
	s_and_saveexec_b64 s[4:5], vcc
	s_cbranch_execz .LBB55_317
; %bb.316:
	buffer_load_dword v2, off, s[0:3], 0 offset:128
	buffer_load_dword v3, off, s[0:3], 0 offset:132
	v_mov_b32_e32 v1, 0
	buffer_store_dword v1, off, s[0:3], 0 offset:128
	buffer_store_dword v1, off, s[0:3], 0 offset:132
	s_waitcnt vmcnt(2)
	ds_write_b64 v161, v[2:3]
.LBB55_317:
	s_or_b64 exec, exec, s[4:5]
	s_waitcnt lgkmcnt(0)
	; wave barrier
	s_waitcnt lgkmcnt(0)
	buffer_load_dword v68, off, s[0:3], 0 offset:140
	buffer_load_dword v70, off, s[0:3], 0 offset:148
	;; [unrolled: 1-line block ×48, first 2 shown]
	v_mov_b32_e32 v1, 0
	ds_read2_b64 v[2:5], v1 offset0:73 offset1:74
	buffer_load_dword v133, off, s[0:3], 0 offset:320
	buffer_load_dword v134, off, s[0:3], 0 offset:324
	;; [unrolled: 1-line block ×8, first 2 shown]
	ds_read2_b64 v[8:11], v1 offset0:75 offset1:76
	ds_read2_b64 v[12:15], v1 offset0:77 offset1:78
	ds_read2_b64 v[16:19], v1 offset0:79 offset1:80
	buffer_load_dword v141, off, s[0:3], 0 offset:352
	buffer_load_dword v142, off, s[0:3], 0 offset:356
	;; [unrolled: 1-line block ×8, first 2 shown]
	v_cmp_lt_u32_e32 vcc, 15, v0
	s_waitcnt vmcnt(62) lgkmcnt(3)
	v_mul_f32_e32 v20, v2, v68
	v_mul_f32_e32 v21, v4, v70
	s_waitcnt vmcnt(61) lgkmcnt(2)
	v_mul_f32_e32 v23, v10, v72
	s_waitcnt vmcnt(60) lgkmcnt(1)
	v_mul_f32_e32 v24, v12, v90
	s_waitcnt vmcnt(59)
	v_mul_f32_e32 v25, v14, v91
	s_waitcnt vmcnt(58)
	;; [unrolled: 2-line block ×3, first 2 shown]
	v_fmac_f32_e32 v22, v9, v93
	s_waitcnt vmcnt(56)
	v_fmac_f32_e32 v21, v5, v94
	s_waitcnt vmcnt(55)
	v_fmac_f32_e32 v20, v3, v95
	v_add_f32_e32 v20, 0, v20
	v_add_f32_e32 v20, v20, v21
	;; [unrolled: 1-line block ×3, first 2 shown]
	s_waitcnt vmcnt(51)
	v_fmac_f32_e32 v24, v13, v99
	s_waitcnt vmcnt(50)
	v_fmac_f32_e32 v23, v11, v100
	v_add_f32_e32 v20, v20, v23
	s_waitcnt lgkmcnt(0)
	v_mul_f32_e32 v26, v16, v96
	v_fmac_f32_e32 v25, v15, v98
	v_add_f32_e32 v20, v20, v24
	v_fmac_f32_e32 v26, v17, v97
	v_add_f32_e32 v20, v20, v25
	v_add_f32_e32 v24, v20, v26
	ds_read2_b64 v[20:23], v1 offset0:81 offset1:82
	s_waitcnt vmcnt(45)
	v_mul_f32_e32 v25, v18, v105
	s_waitcnt vmcnt(44)
	v_fmac_f32_e32 v25, v19, v106
	v_add_f32_e32 v28, v24, v25
	ds_read2_b64 v[24:27], v1 offset0:83 offset1:84
	s_waitcnt vmcnt(43) lgkmcnt(1)
	v_mul_f32_e32 v29, v20, v107
	v_fmac_f32_e32 v29, v21, v104
	v_add_f32_e32 v28, v28, v29
	s_waitcnt vmcnt(42)
	v_mul_f32_e32 v29, v22, v108
	v_fmac_f32_e32 v29, v23, v103
	v_add_f32_e32 v28, v28, v29
	s_waitcnt lgkmcnt(0)
	v_mul_f32_e32 v29, v24, v102
	v_fmac_f32_e32 v29, v25, v101
	v_add_f32_e32 v32, v28, v29
	ds_read2_b64 v[28:31], v1 offset0:85 offset1:86
	s_waitcnt vmcnt(38)
	v_mul_f32_e32 v33, v26, v110
	v_fmac_f32_e32 v33, v27, v109
	v_add_f32_e32 v36, v32, v33
	ds_read2_b64 v[32:35], v1 offset0:87 offset1:88
	s_waitcnt vmcnt(36) lgkmcnt(1)
	v_mul_f32_e32 v37, v28, v112
	v_fmac_f32_e32 v37, v29, v111
	v_add_f32_e32 v36, v36, v37
	s_waitcnt vmcnt(34)
	v_mul_f32_e32 v37, v30, v114
	v_fmac_f32_e32 v37, v31, v113
	v_add_f32_e32 v36, v36, v37
	s_waitcnt vmcnt(32) lgkmcnt(0)
	v_mul_f32_e32 v37, v32, v116
	v_fmac_f32_e32 v37, v33, v115
	v_add_f32_e32 v40, v36, v37
	ds_read2_b64 v[36:39], v1 offset0:89 offset1:90
	s_waitcnt vmcnt(30)
	v_mul_f32_e32 v41, v34, v118
	v_fmac_f32_e32 v41, v35, v117
	v_add_f32_e32 v44, v40, v41
	ds_read2_b64 v[40:43], v1 offset0:91 offset1:92
	s_waitcnt vmcnt(28) lgkmcnt(1)
	v_mul_f32_e32 v45, v36, v120
	v_fmac_f32_e32 v45, v37, v119
	v_add_f32_e32 v44, v44, v45
	s_waitcnt vmcnt(26)
	v_mul_f32_e32 v45, v38, v122
	v_fmac_f32_e32 v45, v39, v121
	v_add_f32_e32 v44, v44, v45
	s_waitcnt vmcnt(24) lgkmcnt(0)
	v_mul_f32_e32 v45, v40, v124
	v_fmac_f32_e32 v45, v41, v123
	v_add_f32_e32 v48, v44, v45
	ds_read2_b64 v[44:47], v1 offset0:93 offset1:94
	s_waitcnt vmcnt(22)
	v_mul_f32_e32 v49, v42, v126
	v_fmac_f32_e32 v49, v43, v125
	v_add_f32_e32 v52, v48, v49
	ds_read2_b64 v[48:51], v1 offset0:95 offset1:96
	s_waitcnt vmcnt(20) lgkmcnt(1)
	v_mul_f32_e32 v53, v44, v128
	v_fmac_f32_e32 v53, v45, v127
	v_add_f32_e32 v52, v52, v53
	s_waitcnt vmcnt(18)
	v_mul_f32_e32 v53, v46, v130
	v_fmac_f32_e32 v53, v47, v129
	v_add_f32_e32 v52, v52, v53
	s_waitcnt vmcnt(16) lgkmcnt(0)
	v_mul_f32_e32 v53, v48, v132
	v_fmac_f32_e32 v53, v49, v131
	v_add_f32_e32 v56, v52, v53
	ds_read2_b64 v[52:55], v1 offset0:97 offset1:98
	s_waitcnt vmcnt(14)
	v_mul_f32_e32 v57, v50, v134
	v_fmac_f32_e32 v57, v51, v133
	v_add_f32_e32 v60, v56, v57
	ds_read2_b64 v[56:59], v1 offset0:99 offset1:100
	s_waitcnt vmcnt(12) lgkmcnt(1)
	v_mul_f32_e32 v61, v52, v136
	v_fmac_f32_e32 v61, v53, v135
	v_add_f32_e32 v60, v60, v61
	s_waitcnt vmcnt(10)
	v_mul_f32_e32 v61, v54, v138
	v_fmac_f32_e32 v61, v55, v137
	v_add_f32_e32 v60, v60, v61
	s_waitcnt vmcnt(8) lgkmcnt(0)
	v_mul_f32_e32 v61, v56, v140
	v_fmac_f32_e32 v61, v57, v139
	s_waitcnt vmcnt(6)
	v_mul_f32_e32 v65, v58, v142
	v_add_f32_e32 v64, v60, v61
	v_fmac_f32_e32 v65, v59, v141
	ds_read2_b64 v[60:63], v1 offset0:101 offset1:102
	v_add_f32_e32 v69, v64, v65
	ds_read2_b64 v[64:67], v1 offset0:103 offset1:104
	buffer_load_dword v75, off, s[0:3], 0 offset:412
	buffer_load_dword v74, off, s[0:3], 0 offset:408
	;; [unrolled: 1-line block ×16, first 2 shown]
	v_mul_f32_e32 v3, v3, v68
	v_fma_f32 v2, v2, v95, -v3
	v_mul_f32_e32 v3, v5, v70
	v_add_f32_e32 v2, 0, v2
	v_fma_f32 v3, v4, v94, -v3
	v_add_f32_e32 v2, v2, v3
	v_mul_f32_e32 v3, v9, v92
	v_fma_f32 v3, v8, v93, -v3
	v_add_f32_e32 v2, v2, v3
	v_mul_f32_e32 v3, v11, v72
	;; [unrolled: 3-line block ×26, first 2 shown]
	v_fma_f32 v3, v58, v141, -v3
	v_add_f32_e32 v2, v2, v3
	s_waitcnt vmcnt(20) lgkmcnt(1)
	v_mul_f32_e32 v3, v61, v206
	v_mul_f32_e32 v71, v60, v206
	v_fma_f32 v3, v60, v143, -v3
	v_fmac_f32_e32 v71, v61, v143
	v_add_f32_e32 v68, v2, v3
	s_waitcnt vmcnt(18)
	v_mul_f32_e32 v2, v63, v208
	s_waitcnt vmcnt(9)
	v_mov_b32_e32 v20, v81
	v_add_f32_e32 v69, v69, v71
	v_mul_f32_e32 v71, v62, v208
	v_fma_f32 v70, v62, v207, -v2
	s_waitcnt lgkmcnt(0)
	v_mul_f32_e32 v2, v65, v210
	v_pk_mul_f32 v[20:21], v[66:67], v[20:21] op_sel_hi:[1,0]
	v_fmac_f32_e32 v71, v63, v207
	v_mul_f32_e32 v73, v64, v210
	v_fma_f32 v72, v64, v209, -v2
	ds_read2_b64 v[2:5], v1 offset0:105 offset1:106
	ds_read2_b64 v[8:11], v1 offset0:107 offset1:108
	ds_read2_b64 v[12:15], v1 offset0:109 offset1:110
	ds_read_b64 v[16:17], v1 offset:888
	s_waitcnt vmcnt(8)
	v_pk_fma_f32 v[22:23], v[66:67], v[80:81], v[20:21] op_sel:[0,0,1] op_sel_hi:[1,1,0] neg_lo:[0,0,1] neg_hi:[0,0,1]
	v_pk_fma_f32 v[20:21], v[66:67], v[80:81], v[20:21] op_sel:[0,0,1] op_sel_hi:[1,0,0]
	v_fmac_f32_e32 v73, v65, v209
	v_pk_add_f32 v[18:19], v[68:69], v[70:71]
	v_mov_b32_e32 v20, v79
	v_pk_add_f32 v[18:19], v[18:19], v[72:73]
	v_mov_b32_e32 v23, v21
	s_waitcnt lgkmcnt(3)
	v_pk_mul_f32 v[20:21], v[2:3], v[20:21] op_sel_hi:[1,0]
	v_pk_add_f32 v[18:19], v[18:19], v[22:23]
	v_pk_fma_f32 v[22:23], v[2:3], v[78:79], v[20:21] op_sel:[0,0,1] op_sel_hi:[1,1,0] neg_lo:[0,0,1] neg_hi:[0,0,1]
	v_pk_fma_f32 v[2:3], v[2:3], v[78:79], v[20:21] op_sel:[0,0,1] op_sel_hi:[1,0,0]
	v_mov_b32_e32 v23, v3
	v_pk_add_f32 v[2:3], v[18:19], v[22:23]
	v_mov_b32_e32 v18, v77
	v_pk_mul_f32 v[18:19], v[4:5], v[18:19] op_sel_hi:[1,0]
	v_pk_fma_f32 v[20:21], v[4:5], v[76:77], v[18:19] op_sel:[0,0,1] op_sel_hi:[1,1,0] neg_lo:[0,0,1] neg_hi:[0,0,1]
	v_pk_fma_f32 v[4:5], v[4:5], v[76:77], v[18:19] op_sel:[0,0,1] op_sel_hi:[1,0,0]
	v_mov_b32_e32 v4, v75
	v_mov_b32_e32 v21, v5
	s_waitcnt lgkmcnt(2)
	v_pk_mul_f32 v[4:5], v[8:9], v[4:5] op_sel_hi:[1,0]
	v_pk_fma_f32 v[18:19], v[8:9], v[74:75], v[4:5] op_sel:[0,0,1] op_sel_hi:[1,1,0] neg_lo:[0,0,1] neg_hi:[0,0,1]
	v_pk_fma_f32 v[4:5], v[8:9], v[74:75], v[4:5] op_sel:[0,0,1] op_sel_hi:[1,0,0]
	s_waitcnt vmcnt(1)
	v_mov_b32_e32 v4, v89
	v_mov_b32_e32 v19, v5
	v_pk_mul_f32 v[4:5], v[10:11], v[4:5] op_sel_hi:[1,0]
	s_waitcnt vmcnt(0)
	v_pk_fma_f32 v[8:9], v[10:11], v[88:89], v[4:5] op_sel:[0,0,1] op_sel_hi:[1,1,0] neg_lo:[0,0,1] neg_hi:[0,0,1]
	v_pk_fma_f32 v[4:5], v[10:11], v[88:89], v[4:5] op_sel:[0,0,1] op_sel_hi:[1,0,0]
	v_pk_add_f32 v[2:3], v[2:3], v[20:21]
	v_mov_b32_e32 v4, v87
	v_pk_add_f32 v[2:3], v[2:3], v[18:19]
	v_mov_b32_e32 v9, v5
	s_waitcnt lgkmcnt(1)
	v_pk_mul_f32 v[4:5], v[12:13], v[4:5] op_sel_hi:[1,0]
	v_pk_add_f32 v[2:3], v[2:3], v[8:9]
	v_pk_fma_f32 v[8:9], v[12:13], v[86:87], v[4:5] op_sel:[0,0,1] op_sel_hi:[1,1,0] neg_lo:[0,0,1] neg_hi:[0,0,1]
	v_pk_fma_f32 v[4:5], v[12:13], v[86:87], v[4:5] op_sel:[0,0,1] op_sel_hi:[1,0,0]
	v_mov_b32_e32 v4, v85
	v_mov_b32_e32 v9, v5
	v_pk_mul_f32 v[4:5], v[14:15], v[4:5] op_sel_hi:[1,0]
	v_pk_add_f32 v[2:3], v[2:3], v[8:9]
	v_pk_fma_f32 v[8:9], v[14:15], v[84:85], v[4:5] op_sel:[0,0,1] op_sel_hi:[1,1,0] neg_lo:[0,0,1] neg_hi:[0,0,1]
	v_pk_fma_f32 v[4:5], v[14:15], v[84:85], v[4:5] op_sel:[0,0,1] op_sel_hi:[1,0,0]
	v_mov_b32_e32 v4, v83
	v_mov_b32_e32 v9, v5
	s_waitcnt lgkmcnt(0)
	v_pk_mul_f32 v[4:5], v[16:17], v[4:5] op_sel_hi:[1,0]
	v_pk_add_f32 v[2:3], v[2:3], v[8:9]
	v_pk_fma_f32 v[8:9], v[16:17], v[82:83], v[4:5] op_sel:[0,0,1] op_sel_hi:[1,1,0] neg_lo:[0,0,1] neg_hi:[0,0,1]
	v_pk_fma_f32 v[4:5], v[16:17], v[82:83], v[4:5] op_sel:[0,0,1] op_sel_hi:[1,0,0]
	v_mov_b32_e32 v9, v5
	v_pk_add_f32 v[2:3], v[2:3], v[8:9]
	v_pk_add_f32 v[2:3], v[6:7], v[2:3] neg_lo:[0,1] neg_hi:[0,1]
	buffer_store_dword v3, off, s[0:3], 0 offset:132
	buffer_store_dword v2, off, s[0:3], 0 offset:128
	s_and_saveexec_b64 s[4:5], vcc
	s_cbranch_execz .LBB55_319
; %bb.318:
	buffer_load_dword v2, off, s[0:3], 0 offset:120
	buffer_load_dword v3, off, s[0:3], 0 offset:124
	s_waitcnt vmcnt(0)
	ds_write_b64 v161, v[2:3]
	buffer_store_dword v1, off, s[0:3], 0 offset:120
	buffer_store_dword v1, off, s[0:3], 0 offset:124
.LBB55_319:
	s_or_b64 exec, exec, s[4:5]
	s_waitcnt lgkmcnt(0)
	; wave barrier
	s_waitcnt lgkmcnt(0)
	buffer_load_dword v68, off, s[0:3], 0 offset:132
	buffer_load_dword v70, off, s[0:3], 0 offset:140
	buffer_load_dword v78, off, s[0:3], 0 offset:156
	buffer_load_dword v90, off, s[0:3], 0 offset:164
	buffer_load_dword v91, off, s[0:3], 0 offset:172
	buffer_load_dword v92, off, s[0:3], 0 offset:148
	buffer_load_dword v93, off, s[0:3], 0 offset:180
	buffer_load_dword v94, off, s[0:3], 0 offset:188
	buffer_load_dword v95, off, s[0:3], 0 offset:144
	buffer_load_dword v96, off, s[0:3], 0 offset:136
	buffer_load_dword v97, off, s[0:3], 0 offset:128
	buffer_load_dword v98, off, s[0:3], 0 offset:176
	buffer_load_dword v99, off, s[0:3], 0 offset:168
	buffer_load_dword v100, off, s[0:3], 0 offset:160
	buffer_load_dword v101, off, s[0:3], 0 offset:152
	buffer_load_dword v102, off, s[0:3], 0 offset:208
	buffer_load_dword v103, off, s[0:3], 0 offset:200
	buffer_load_dword v104, off, s[0:3], 0 offset:192
	buffer_load_dword v105, off, s[0:3], 0 offset:184
	buffer_load_dword v106, off, s[0:3], 0 offset:196
	buffer_load_dword v107, off, s[0:3], 0 offset:204
	buffer_load_dword v108, off, s[0:3], 0 offset:212
	buffer_load_dword v18, off, s[0:3], 0 offset:120
	buffer_load_dword v19, off, s[0:3], 0 offset:124
	buffer_load_dword v109, off, s[0:3], 0 offset:216
	buffer_load_dword v110, off, s[0:3], 0 offset:220
	ds_read_b128 v[14:17], v1 offset:576
	ds_read_b128 v[6:9], v1 offset:592
	buffer_load_dword v111, off, s[0:3], 0 offset:224
	buffer_load_dword v112, off, s[0:3], 0 offset:228
	ds_read_b128 v[10:13], v1 offset:608
	ds_read_b128 v[2:5], v1 offset:624
	buffer_load_dword v113, off, s[0:3], 0 offset:232
	buffer_load_dword v114, off, s[0:3], 0 offset:236
	;; [unrolled: 1-line block ×32, first 2 shown]
	v_cmp_lt_u32_e32 vcc, 14, v0
	s_waitcnt vmcnt(59) lgkmcnt(3)
	v_mul_f32_e32 v20, v14, v68
	s_waitcnt vmcnt(58)
	v_mul_f32_e32 v21, v16, v70
	s_waitcnt vmcnt(57) lgkmcnt(2)
	v_mul_f32_e32 v23, v8, v78
	s_waitcnt vmcnt(56) lgkmcnt(1)
	v_mul_f32_e32 v24, v10, v90
	s_waitcnt vmcnt(55)
	v_mul_f32_e32 v25, v12, v91
	s_waitcnt vmcnt(54)
	v_mul_f32_e32 v22, v6, v92
	s_waitcnt vmcnt(53) lgkmcnt(0)
	v_mul_f32_e32 v26, v2, v93
	s_waitcnt vmcnt(52)
	v_mul_f32_e32 v27, v4, v94
	s_waitcnt vmcnt(51)
	v_fmac_f32_e32 v22, v7, v95
	s_waitcnt vmcnt(50)
	v_fmac_f32_e32 v21, v17, v96
	;; [unrolled: 2-line block ×3, first 2 shown]
	v_add_f32_e32 v20, 0, v20
	v_add_f32_e32 v20, v20, v21
	;; [unrolled: 1-line block ×3, first 2 shown]
	s_waitcnt vmcnt(45)
	v_fmac_f32_e32 v23, v9, v101
	v_fmac_f32_e32 v24, v11, v100
	v_add_f32_e32 v20, v20, v23
	v_fmac_f32_e32 v25, v13, v99
	v_add_f32_e32 v20, v20, v24
	;; [unrolled: 2-line block ×3, first 2 shown]
	v_add_f32_e32 v24, v20, v26
	ds_read_b128 v[20:23], v1 offset:640
	s_waitcnt vmcnt(41)
	v_fmac_f32_e32 v27, v5, v105
	buffer_load_dword v207, off, s[0:3], 0 offset:360
	buffer_load_dword v208, off, s[0:3], 0 offset:364
	v_add_f32_e32 v28, v24, v27
	buffer_load_dword v209, off, s[0:3], 0 offset:368
	buffer_load_dword v210, off, s[0:3], 0 offset:372
	ds_read_b128 v[24:27], v1 offset:656
	s_waitcnt vmcnt(44) lgkmcnt(1)
	v_mul_f32_e32 v29, v20, v106
	v_fmac_f32_e32 v29, v21, v104
	v_add_f32_e32 v28, v28, v29
	s_waitcnt vmcnt(43)
	v_mul_f32_e32 v29, v22, v107
	v_fmac_f32_e32 v29, v23, v103
	v_add_f32_e32 v28, v28, v29
	s_waitcnt vmcnt(42) lgkmcnt(0)
	v_mul_f32_e32 v29, v24, v108
	v_fmac_f32_e32 v29, v25, v102
	buffer_load_dword v211, off, s[0:3], 0 offset:376
	buffer_load_dword v212, off, s[0:3], 0 offset:380
	v_add_f32_e32 v32, v28, v29
	ds_read_b128 v[28:31], v1 offset:672
	s_waitcnt vmcnt(40)
	v_mul_f32_e32 v33, v26, v110
	v_fmac_f32_e32 v33, v27, v109
	v_add_f32_e32 v36, v32, v33
	ds_read_b128 v[32:35], v1 offset:688
	s_waitcnt vmcnt(38) lgkmcnt(1)
	v_mul_f32_e32 v37, v28, v112
	v_fmac_f32_e32 v37, v29, v111
	v_add_f32_e32 v36, v36, v37
	s_waitcnt vmcnt(36)
	v_mul_f32_e32 v37, v30, v114
	v_fmac_f32_e32 v37, v31, v113
	v_add_f32_e32 v36, v36, v37
	s_waitcnt vmcnt(34) lgkmcnt(0)
	v_mul_f32_e32 v37, v32, v116
	v_fmac_f32_e32 v37, v33, v115
	v_add_f32_e32 v40, v36, v37
	ds_read_b128 v[36:39], v1 offset:704
	s_waitcnt vmcnt(32)
	v_mul_f32_e32 v41, v34, v118
	v_fmac_f32_e32 v41, v35, v117
	v_add_f32_e32 v44, v40, v41
	ds_read_b128 v[40:43], v1 offset:720
	s_waitcnt vmcnt(30) lgkmcnt(1)
	v_mul_f32_e32 v45, v36, v120
	v_fmac_f32_e32 v45, v37, v119
	v_add_f32_e32 v44, v44, v45
	s_waitcnt vmcnt(28)
	v_mul_f32_e32 v45, v38, v122
	v_fmac_f32_e32 v45, v39, v121
	v_add_f32_e32 v44, v44, v45
	s_waitcnt vmcnt(26) lgkmcnt(0)
	v_mul_f32_e32 v45, v40, v124
	v_fmac_f32_e32 v45, v41, v123
	v_add_f32_e32 v48, v44, v45
	ds_read_b128 v[44:47], v1 offset:736
	s_waitcnt vmcnt(24)
	v_mul_f32_e32 v49, v42, v126
	v_fmac_f32_e32 v49, v43, v125
	v_add_f32_e32 v52, v48, v49
	ds_read_b128 v[48:51], v1 offset:752
	s_waitcnt vmcnt(22) lgkmcnt(1)
	v_mul_f32_e32 v53, v44, v128
	v_fmac_f32_e32 v53, v45, v127
	v_add_f32_e32 v52, v52, v53
	s_waitcnt vmcnt(20)
	v_mul_f32_e32 v53, v46, v130
	v_fmac_f32_e32 v53, v47, v129
	v_add_f32_e32 v52, v52, v53
	s_waitcnt vmcnt(18) lgkmcnt(0)
	v_mul_f32_e32 v53, v48, v132
	v_fmac_f32_e32 v53, v49, v131
	v_add_f32_e32 v56, v52, v53
	ds_read_b128 v[52:55], v1 offset:768
	s_waitcnt vmcnt(16)
	v_mul_f32_e32 v57, v50, v134
	v_fmac_f32_e32 v57, v51, v133
	v_add_f32_e32 v60, v56, v57
	ds_read_b128 v[56:59], v1 offset:784
	s_waitcnt vmcnt(14) lgkmcnt(1)
	v_mul_f32_e32 v61, v52, v136
	v_fmac_f32_e32 v61, v53, v135
	v_add_f32_e32 v60, v60, v61
	s_waitcnt vmcnt(12)
	v_mul_f32_e32 v61, v54, v138
	v_fmac_f32_e32 v61, v55, v137
	v_add_f32_e32 v60, v60, v61
	s_waitcnt vmcnt(10) lgkmcnt(0)
	v_mul_f32_e32 v61, v56, v140
	v_fmac_f32_e32 v61, v57, v139
	s_waitcnt vmcnt(8)
	v_mul_f32_e32 v65, v58, v142
	v_add_f32_e32 v64, v60, v61
	v_fmac_f32_e32 v65, v59, v141
	ds_read_b128 v[60:63], v1 offset:800
	v_add_f32_e32 v69, v64, v65
	ds_read_b128 v[64:67], v1 offset:816
	buffer_load_dword v73, off, s[0:3], 0 offset:404
	buffer_load_dword v72, off, s[0:3], 0 offset:400
	;; [unrolled: 1-line block ×16, first 2 shown]
	v_mul_f32_e32 v15, v15, v68
	v_fma_f32 v14, v14, v97, -v15
	v_mul_f32_e32 v15, v17, v70
	v_add_f32_e32 v14, 0, v14
	v_fma_f32 v15, v16, v96, -v15
	v_mul_f32_e32 v7, v7, v92
	v_add_f32_e32 v14, v14, v15
	;; [unrolled: 3-line block ×3, first 2 shown]
	v_fma_f32 v7, v8, v101, -v7
	v_add_f32_e32 v6, v6, v7
	v_mul_f32_e32 v7, v11, v90
	v_fma_f32 v7, v10, v100, -v7
	v_add_f32_e32 v6, v6, v7
	v_mul_f32_e32 v7, v13, v91
	v_fma_f32 v7, v12, v99, -v7
	v_mul_f32_e32 v3, v3, v93
	v_add_f32_e32 v6, v6, v7
	v_fma_f32 v2, v2, v98, -v3
	v_mul_f32_e32 v3, v5, v94
	v_add_f32_e32 v2, v6, v2
	v_fma_f32 v3, v4, v105, -v3
	v_add_f32_e32 v2, v2, v3
	v_mul_f32_e32 v3, v21, v106
	v_fma_f32 v3, v20, v104, -v3
	v_add_f32_e32 v2, v2, v3
	v_mul_f32_e32 v3, v23, v107
	;; [unrolled: 3-line block ×20, first 2 shown]
	v_fma_f32 v3, v58, v141, -v3
	v_add_f32_e32 v2, v2, v3
	s_waitcnt vmcnt(22) lgkmcnt(1)
	v_mul_f32_e32 v3, v61, v206
	v_fma_f32 v3, v60, v143, -v3
	v_add_f32_e32 v2, v2, v3
	s_waitcnt vmcnt(20)
	v_mul_f32_e32 v3, v63, v208
	v_mul_f32_e32 v71, v60, v206
	v_fma_f32 v3, v62, v207, -v3
	v_fmac_f32_e32 v71, v61, v143
	v_add_f32_e32 v68, v2, v3
	s_waitcnt vmcnt(18) lgkmcnt(0)
	v_mul_f32_e32 v2, v65, v210
	v_add_f32_e32 v69, v69, v71
	v_mul_f32_e32 v71, v62, v208
	v_fma_f32 v70, v64, v209, -v2
	s_waitcnt vmcnt(16)
	v_mul_f32_e32 v2, v67, v212
	v_fmac_f32_e32 v71, v63, v207
	v_fma_f32 v78, v66, v211, -v2
	ds_read_b128 v[2:5], v1 offset:832
	ds_read_b128 v[6:9], v1 offset:848
	;; [unrolled: 1-line block ×4, first 2 shown]
	v_add_f32_e32 v69, v69, v71
	v_mul_f32_e32 v71, v64, v210
	s_waitcnt vmcnt(11)
	v_mov_b32_e32 v22, v77
	v_fmac_f32_e32 v71, v65, v209
	v_mul_f32_e32 v79, v66, v212
	s_waitcnt lgkmcnt(3)
	v_pk_mul_f32 v[22:23], v[2:3], v[22:23] op_sel_hi:[1,0]
	v_fmac_f32_e32 v79, v67, v211
	v_pk_add_f32 v[20:21], v[68:69], v[70:71]
	s_waitcnt vmcnt(10)
	v_pk_fma_f32 v[24:25], v[2:3], v[76:77], v[22:23] op_sel:[0,0,1] op_sel_hi:[1,1,0] neg_lo:[0,0,1] neg_hi:[0,0,1]
	v_pk_fma_f32 v[2:3], v[2:3], v[76:77], v[22:23] op_sel:[0,0,1] op_sel_hi:[1,0,0]
	v_pk_add_f32 v[20:21], v[20:21], v[78:79]
	v_mov_b32_e32 v25, v3
	v_pk_add_f32 v[2:3], v[20:21], v[24:25]
	v_mov_b32_e32 v20, v75
	v_pk_mul_f32 v[20:21], v[4:5], v[20:21] op_sel_hi:[1,0]
	v_pk_fma_f32 v[22:23], v[4:5], v[74:75], v[20:21] op_sel:[0,0,1] op_sel_hi:[1,1,0] neg_lo:[0,0,1] neg_hi:[0,0,1]
	v_pk_fma_f32 v[4:5], v[4:5], v[74:75], v[20:21] op_sel:[0,0,1] op_sel_hi:[1,0,0]
	v_mov_b32_e32 v4, v73
	v_mov_b32_e32 v23, v5
	s_waitcnt lgkmcnt(2)
	v_pk_mul_f32 v[4:5], v[6:7], v[4:5] op_sel_hi:[1,0]
	v_pk_fma_f32 v[20:21], v[6:7], v[72:73], v[4:5] op_sel:[0,0,1] op_sel_hi:[1,1,0] neg_lo:[0,0,1] neg_hi:[0,0,1]
	v_pk_fma_f32 v[4:5], v[6:7], v[72:73], v[4:5] op_sel:[0,0,1] op_sel_hi:[1,0,0]
	s_waitcnt vmcnt(3)
	v_mov_b32_e32 v4, v87
	v_mov_b32_e32 v21, v5
	v_pk_mul_f32 v[4:5], v[8:9], v[4:5] op_sel_hi:[1,0]
	s_waitcnt vmcnt(2)
	v_pk_fma_f32 v[6:7], v[8:9], v[86:87], v[4:5] op_sel:[0,0,1] op_sel_hi:[1,1,0] neg_lo:[0,0,1] neg_hi:[0,0,1]
	v_pk_fma_f32 v[4:5], v[8:9], v[86:87], v[4:5] op_sel:[0,0,1] op_sel_hi:[1,0,0]
	v_pk_add_f32 v[2:3], v[2:3], v[22:23]
	v_mov_b32_e32 v4, v85
	v_pk_add_f32 v[2:3], v[2:3], v[20:21]
	v_mov_b32_e32 v7, v5
	s_waitcnt lgkmcnt(1)
	v_pk_mul_f32 v[4:5], v[10:11], v[4:5] op_sel_hi:[1,0]
	v_pk_add_f32 v[2:3], v[2:3], v[6:7]
	v_pk_fma_f32 v[6:7], v[10:11], v[84:85], v[4:5] op_sel:[0,0,1] op_sel_hi:[1,1,0] neg_lo:[0,0,1] neg_hi:[0,0,1]
	v_pk_fma_f32 v[4:5], v[10:11], v[84:85], v[4:5] op_sel:[0,0,1] op_sel_hi:[1,0,0]
	v_mov_b32_e32 v4, v83
	v_mov_b32_e32 v7, v5
	v_pk_mul_f32 v[4:5], v[12:13], v[4:5] op_sel_hi:[1,0]
	v_pk_add_f32 v[2:3], v[2:3], v[6:7]
	v_pk_fma_f32 v[6:7], v[12:13], v[82:83], v[4:5] op_sel:[0,0,1] op_sel_hi:[1,1,0] neg_lo:[0,0,1] neg_hi:[0,0,1]
	v_pk_fma_f32 v[4:5], v[12:13], v[82:83], v[4:5] op_sel:[0,0,1] op_sel_hi:[1,0,0]
	v_mov_b32_e32 v4, v81
	v_mov_b32_e32 v7, v5
	s_waitcnt lgkmcnt(0)
	v_pk_mul_f32 v[4:5], v[14:15], v[4:5] op_sel_hi:[1,0]
	v_pk_add_f32 v[2:3], v[2:3], v[6:7]
	v_pk_fma_f32 v[6:7], v[14:15], v[80:81], v[4:5] op_sel:[0,0,1] op_sel_hi:[1,1,0] neg_lo:[0,0,1] neg_hi:[0,0,1]
	v_pk_fma_f32 v[4:5], v[14:15], v[80:81], v[4:5] op_sel:[0,0,1] op_sel_hi:[1,0,0]
	s_waitcnt vmcnt(1)
	v_mov_b32_e32 v4, v89
	v_mov_b32_e32 v7, v5
	v_pk_mul_f32 v[4:5], v[16:17], v[4:5] op_sel_hi:[1,0]
	v_pk_add_f32 v[2:3], v[2:3], v[6:7]
	s_waitcnt vmcnt(0)
	v_pk_fma_f32 v[6:7], v[16:17], v[88:89], v[4:5] op_sel:[0,0,1] op_sel_hi:[1,1,0] neg_lo:[0,0,1] neg_hi:[0,0,1]
	v_pk_fma_f32 v[4:5], v[16:17], v[88:89], v[4:5] op_sel:[0,0,1] op_sel_hi:[1,0,0]
	v_mov_b32_e32 v7, v5
	v_pk_add_f32 v[2:3], v[2:3], v[6:7]
	v_pk_add_f32 v[2:3], v[18:19], v[2:3] neg_lo:[0,1] neg_hi:[0,1]
	buffer_store_dword v3, off, s[0:3], 0 offset:124
	buffer_store_dword v2, off, s[0:3], 0 offset:120
	s_and_saveexec_b64 s[4:5], vcc
	s_cbranch_execz .LBB55_321
; %bb.320:
	buffer_load_dword v2, off, s[0:3], 0 offset:112
	buffer_load_dword v3, off, s[0:3], 0 offset:116
	v_mov_b32_e32 v1, 0
	buffer_store_dword v1, off, s[0:3], 0 offset:112
	buffer_store_dword v1, off, s[0:3], 0 offset:116
	s_waitcnt vmcnt(2)
	ds_write_b64 v161, v[2:3]
.LBB55_321:
	s_or_b64 exec, exec, s[4:5]
	v_mov_b32_e32 v206, 0
	s_waitcnt lgkmcnt(0)
	; wave barrier
	s_waitcnt lgkmcnt(0)
	ds_read2_b64 v[2:5], v206 offset0:71 offset1:72
	buffer_load_dword v70, off, s[0:3], 0 offset:112
	buffer_load_dword v71, off, s[0:3], 0 offset:116
	;; [unrolled: 1-line block ×16, first 2 shown]
	v_cmp_lt_u32_e32 vcc, 13, v0
	s_waitcnt vmcnt(12) lgkmcnt(0)
	v_mul_f32_e32 v6, v2, v78
	v_fmac_f32_e32 v6, v3, v1
	s_waitcnt vmcnt(10)
	v_mul_f32_e32 v7, v4, v95
	v_add_f32_e32 v6, 0, v6
	v_fmac_f32_e32 v7, v5, v72
	v_add_f32_e32 v10, v6, v7
	ds_read2_b64 v[6:9], v206 offset0:73 offset1:74
	v_mul_f32_e32 v3, v3, v78
	v_fma_f32 v1, v2, v1, -v3
	v_mul_f32_e32 v2, v5, v95
	v_add_f32_e32 v1, 0, v1
	s_waitcnt vmcnt(8) lgkmcnt(0)
	v_mul_f32_e32 v11, v6, v97
	v_fmac_f32_e32 v11, v7, v74
	v_add_f32_e32 v10, v10, v11
	s_waitcnt vmcnt(6)
	v_mul_f32_e32 v11, v8, v99
	v_fmac_f32_e32 v11, v9, v94
	v_add_f32_e32 v14, v10, v11
	ds_read2_b64 v[10:13], v206 offset0:75 offset1:76
	v_fma_f32 v2, v4, v72, -v2
	v_add_f32_e32 v1, v1, v2
	v_mul_f32_e32 v2, v7, v97
	v_fma_f32 v2, v6, v74, -v2
	s_waitcnt vmcnt(4) lgkmcnt(0)
	v_mul_f32_e32 v15, v10, v101
	v_fmac_f32_e32 v15, v11, v96
	v_add_f32_e32 v14, v14, v15
	s_waitcnt vmcnt(2)
	v_mul_f32_e32 v15, v12, v102
	v_fmac_f32_e32 v15, v13, v98
	v_add_f32_e32 v18, v14, v15
	ds_read2_b64 v[14:17], v206 offset0:77 offset1:78
	buffer_load_dword v104, off, s[0:3], 0 offset:176
	buffer_load_dword v105, off, s[0:3], 0 offset:180
	v_add_f32_e32 v1, v1, v2
	v_mul_f32_e32 v2, v9, v99
	v_fma_f32 v2, v8, v94, -v2
	s_waitcnt vmcnt(2) lgkmcnt(0)
	v_mul_f32_e32 v19, v14, v103
	v_fmac_f32_e32 v19, v15, v100
	v_add_f32_e32 v18, v18, v19
	v_add_f32_e32 v1, v1, v2
	v_mul_f32_e32 v2, v11, v101
	v_fma_f32 v2, v10, v96, -v2
	v_add_f32_e32 v1, v1, v2
	v_mul_f32_e32 v2, v13, v102
	v_fma_f32 v2, v12, v98, -v2
	;; [unrolled: 3-line block ×3, first 2 shown]
	v_add_f32_e32 v1, v1, v2
	s_waitcnt vmcnt(0)
	v_mul_f32_e32 v19, v16, v105
	v_fmac_f32_e32 v19, v17, v104
	v_add_f32_e32 v22, v18, v19
	ds_read2_b64 v[18:21], v206 offset0:79 offset1:80
	buffer_load_dword v106, off, s[0:3], 0 offset:184
	buffer_load_dword v107, off, s[0:3], 0 offset:188
	buffer_load_dword v108, off, s[0:3], 0 offset:192
	buffer_load_dword v109, off, s[0:3], 0 offset:196
	ds_read2_b64 v[26:29], v206 offset0:81 offset1:82
	buffer_load_dword v110, off, s[0:3], 0 offset:200
	buffer_load_dword v111, off, s[0:3], 0 offset:204
	buffer_load_dword v112, off, s[0:3], 0 offset:208
	buffer_load_dword v113, off, s[0:3], 0 offset:212
	ds_read2_b64 v[30:33], v206 offset0:83 offset1:84
	buffer_load_dword v114, off, s[0:3], 0 offset:216
	buffer_load_dword v115, off, s[0:3], 0 offset:220
	buffer_load_dword v116, off, s[0:3], 0 offset:224
	buffer_load_dword v117, off, s[0:3], 0 offset:228
	ds_read2_b64 v[34:37], v206 offset0:85 offset1:86
	buffer_load_dword v118, off, s[0:3], 0 offset:232
	buffer_load_dword v119, off, s[0:3], 0 offset:236
	buffer_load_dword v120, off, s[0:3], 0 offset:240
	buffer_load_dword v121, off, s[0:3], 0 offset:244
	ds_read2_b64 v[38:41], v206 offset0:87 offset1:88
	buffer_load_dword v122, off, s[0:3], 0 offset:248
	buffer_load_dword v123, off, s[0:3], 0 offset:252
	buffer_load_dword v124, off, s[0:3], 0 offset:256
	buffer_load_dword v125, off, s[0:3], 0 offset:260
	ds_read2_b64 v[42:45], v206 offset0:89 offset1:90
	buffer_load_dword v126, off, s[0:3], 0 offset:264
	buffer_load_dword v127, off, s[0:3], 0 offset:268
	buffer_load_dword v128, off, s[0:3], 0 offset:272
	buffer_load_dword v129, off, s[0:3], 0 offset:276
	ds_read2_b64 v[46:49], v206 offset0:91 offset1:92
	buffer_load_dword v207, off, s[0:3], 0 offset:280
	buffer_load_dword v208, off, s[0:3], 0 offset:284
	buffer_load_dword v130, off, s[0:3], 0 offset:288
	buffer_load_dword v131, off, s[0:3], 0 offset:292
	ds_read2_b64 v[50:53], v206 offset0:93 offset1:94
	buffer_load_dword v132, off, s[0:3], 0 offset:296
	buffer_load_dword v133, off, s[0:3], 0 offset:300
	buffer_load_dword v209, off, s[0:3], 0 offset:304
	buffer_load_dword v134, off, s[0:3], 0 offset:308
	ds_read2_b64 v[54:57], v206 offset0:95 offset1:96
	buffer_load_dword v135, off, s[0:3], 0 offset:312
	buffer_load_dword v210, off, s[0:3], 0 offset:316
	buffer_load_dword v136, off, s[0:3], 0 offset:320
	buffer_load_dword v137, off, s[0:3], 0 offset:324
	ds_read2_b64 v[58:61], v206 offset0:97 offset1:98
	buffer_load_dword v211, off, s[0:3], 0 offset:328
	buffer_load_dword v138, off, s[0:3], 0 offset:332
	buffer_load_dword v139, off, s[0:3], 0 offset:336
	buffer_load_dword v140, off, s[0:3], 0 offset:340
	ds_read2_b64 v[62:65], v206 offset0:99 offset1:100
	buffer_load_dword v141, off, s[0:3], 0 offset:344
	buffer_load_dword v142, off, s[0:3], 0 offset:348
	buffer_load_dword v143, off, s[0:3], 0 offset:352
	buffer_load_dword v212, off, s[0:3], 0 offset:356
	ds_read2_b64 v[66:69], v206 offset0:101 offset1:102
	buffer_load_dword v213, off, s[0:3], 0 offset:360
	buffer_load_dword v214, off, s[0:3], 0 offset:364
	buffer_load_dword v215, off, s[0:3], 0 offset:368
	buffer_load_dword v216, off, s[0:3], 0 offset:372
	v_mul_f32_e32 v2, v17, v105
	v_fma_f32 v2, v16, v104, -v2
	v_add_f32_e32 v1, v1, v2
	s_waitcnt vmcnt(46) lgkmcnt(11)
	v_mul_f32_e32 v23, v18, v107
	v_fmac_f32_e32 v23, v19, v106
	v_add_f32_e32 v22, v22, v23
	s_waitcnt vmcnt(44)
	v_mul_f32_e32 v23, v20, v109
	v_fmac_f32_e32 v23, v21, v108
	v_add_f32_e32 v22, v22, v23
	s_waitcnt vmcnt(42) lgkmcnt(10)
	v_mul_f32_e32 v23, v26, v111
	v_fmac_f32_e32 v23, v27, v110
	v_add_f32_e32 v22, v22, v23
	s_waitcnt vmcnt(40)
	v_mul_f32_e32 v23, v28, v113
	v_fmac_f32_e32 v23, v29, v112
	;; [unrolled: 8-line block ×11, first 2 shown]
	v_add_f32_e32 v22, v22, v23
	s_waitcnt vmcnt(2) lgkmcnt(0)
	v_mul_f32_e32 v23, v66, v214
	v_fmac_f32_e32 v23, v67, v213
	v_add_f32_e32 v73, v22, v23
	ds_read2_b64 v[22:25], v206 offset0:103 offset1:104
	buffer_load_dword v217, off, s[0:3], 0 offset:376
	buffer_load_dword v218, off, s[0:3], 0 offset:380
	;; [unrolled: 1-line block ×18, first 2 shown]
	v_mul_f32_e32 v2, v19, v107
	v_fma_f32 v2, v18, v106, -v2
	v_add_f32_e32 v1, v1, v2
	v_mul_f32_e32 v2, v21, v109
	v_fma_f32 v2, v20, v108, -v2
	v_add_f32_e32 v1, v1, v2
	;; [unrolled: 3-line block ×22, first 2 shown]
	v_mul_f32_e32 v2, v67, v214
	v_fma_f32 v2, v66, v213, -v2
	s_waitcnt vmcnt(15)
	v_mov_b32_e32 v18, v77
	v_mul_f32_e32 v75, v68, v216
	v_add_f32_e32 v72, v1, v2
	v_mul_f32_e32 v1, v69, v216
	s_waitcnt lgkmcnt(0)
	v_pk_mul_f32 v[18:19], v[24:25], v[18:19] op_sel_hi:[1,0]
	v_fmac_f32_e32 v75, v69, v215
	v_fma_f32 v74, v68, v215, -v1
	ds_read2_b64 v[2:5], v206 offset0:105 offset1:106
	ds_read2_b64 v[6:9], v206 offset0:107 offset1:108
	;; [unrolled: 1-line block ×3, first 2 shown]
	ds_read_b64 v[14:15], v206 offset:888
	s_waitcnt vmcnt(14)
	v_pk_fma_f32 v[20:21], v[24:25], v[76:77], v[18:19] op_sel:[0,0,1] op_sel_hi:[1,1,0] neg_lo:[0,0,1] neg_hi:[0,0,1]
	v_pk_fma_f32 v[18:19], v[24:25], v[76:77], v[18:19] op_sel:[0,0,1] op_sel_hi:[1,0,0]
	v_mul_f32_e32 v79, v22, v218
	v_mul_f32_e32 v1, v23, v218
	v_fmac_f32_e32 v79, v23, v217
	v_fma_f32 v78, v22, v217, -v1
	v_pk_add_f32 v[16:17], v[72:73], v[74:75]
	s_waitcnt vmcnt(13)
	v_mov_b32_e32 v18, v93
	v_pk_add_f32 v[16:17], v[16:17], v[78:79]
	v_mov_b32_e32 v21, v19
	s_waitcnt lgkmcnt(3)
	v_pk_mul_f32 v[18:19], v[2:3], v[18:19] op_sel_hi:[1,0]
	v_pk_add_f32 v[16:17], v[16:17], v[20:21]
	s_waitcnt vmcnt(12)
	v_pk_fma_f32 v[20:21], v[2:3], v[92:93], v[18:19] op_sel:[0,0,1] op_sel_hi:[1,1,0] neg_lo:[0,0,1] neg_hi:[0,0,1]
	v_pk_fma_f32 v[2:3], v[2:3], v[92:93], v[18:19] op_sel:[0,0,1] op_sel_hi:[1,0,0]
	v_mov_b32_e32 v21, v3
	v_pk_add_f32 v[2:3], v[16:17], v[20:21]
	s_waitcnt vmcnt(11)
	v_mov_b32_e32 v16, v91
	v_pk_mul_f32 v[16:17], v[4:5], v[16:17] op_sel_hi:[1,0]
	s_waitcnt vmcnt(10)
	v_pk_fma_f32 v[18:19], v[4:5], v[90:91], v[16:17] op_sel:[0,0,1] op_sel_hi:[1,1,0] neg_lo:[0,0,1] neg_hi:[0,0,1]
	v_pk_fma_f32 v[4:5], v[4:5], v[90:91], v[16:17] op_sel:[0,0,1] op_sel_hi:[1,0,0]
	s_waitcnt vmcnt(9)
	v_mov_b32_e32 v4, v89
	v_mov_b32_e32 v19, v5
	s_waitcnt lgkmcnt(2)
	v_pk_mul_f32 v[4:5], v[6:7], v[4:5] op_sel_hi:[1,0]
	s_waitcnt vmcnt(8)
	v_pk_fma_f32 v[16:17], v[6:7], v[88:89], v[4:5] op_sel:[0,0,1] op_sel_hi:[1,1,0] neg_lo:[0,0,1] neg_hi:[0,0,1]
	v_pk_fma_f32 v[4:5], v[6:7], v[88:89], v[4:5] op_sel:[0,0,1] op_sel_hi:[1,0,0]
	s_waitcnt vmcnt(7)
	v_mov_b32_e32 v4, v87
	v_mov_b32_e32 v17, v5
	v_pk_mul_f32 v[4:5], v[8:9], v[4:5] op_sel_hi:[1,0]
	s_waitcnt vmcnt(6)
	v_pk_fma_f32 v[6:7], v[8:9], v[86:87], v[4:5] op_sel:[0,0,1] op_sel_hi:[1,1,0] neg_lo:[0,0,1] neg_hi:[0,0,1]
	v_pk_fma_f32 v[4:5], v[8:9], v[86:87], v[4:5] op_sel:[0,0,1] op_sel_hi:[1,0,0]
	v_pk_add_f32 v[2:3], v[2:3], v[18:19]
	s_waitcnt vmcnt(5)
	v_mov_b32_e32 v4, v85
	v_pk_add_f32 v[2:3], v[2:3], v[16:17]
	v_mov_b32_e32 v7, v5
	s_waitcnt lgkmcnt(1)
	v_pk_mul_f32 v[4:5], v[10:11], v[4:5] op_sel_hi:[1,0]
	v_pk_add_f32 v[2:3], v[2:3], v[6:7]
	s_waitcnt vmcnt(4)
	v_pk_fma_f32 v[6:7], v[10:11], v[84:85], v[4:5] op_sel:[0,0,1] op_sel_hi:[1,1,0] neg_lo:[0,0,1] neg_hi:[0,0,1]
	v_pk_fma_f32 v[4:5], v[10:11], v[84:85], v[4:5] op_sel:[0,0,1] op_sel_hi:[1,0,0]
	s_waitcnt vmcnt(3)
	v_mov_b32_e32 v4, v83
	v_mov_b32_e32 v7, v5
	v_pk_mul_f32 v[4:5], v[12:13], v[4:5] op_sel_hi:[1,0]
	v_pk_add_f32 v[2:3], v[2:3], v[6:7]
	s_waitcnt vmcnt(2)
	v_pk_fma_f32 v[6:7], v[12:13], v[82:83], v[4:5] op_sel:[0,0,1] op_sel_hi:[1,1,0] neg_lo:[0,0,1] neg_hi:[0,0,1]
	v_pk_fma_f32 v[4:5], v[12:13], v[82:83], v[4:5] op_sel:[0,0,1] op_sel_hi:[1,0,0]
	s_waitcnt vmcnt(1)
	v_mov_b32_e32 v4, v81
	v_mov_b32_e32 v7, v5
	s_waitcnt lgkmcnt(0)
	v_pk_mul_f32 v[4:5], v[14:15], v[4:5] op_sel_hi:[1,0]
	v_pk_add_f32 v[2:3], v[2:3], v[6:7]
	s_waitcnt vmcnt(0)
	v_pk_fma_f32 v[6:7], v[14:15], v[80:81], v[4:5] op_sel:[0,0,1] op_sel_hi:[1,1,0] neg_lo:[0,0,1] neg_hi:[0,0,1]
	v_pk_fma_f32 v[4:5], v[14:15], v[80:81], v[4:5] op_sel:[0,0,1] op_sel_hi:[1,0,0]
	v_mov_b32_e32 v7, v5
	v_pk_add_f32 v[2:3], v[2:3], v[6:7]
	v_pk_add_f32 v[2:3], v[70:71], v[2:3] neg_lo:[0,1] neg_hi:[0,1]
	buffer_store_dword v3, off, s[0:3], 0 offset:116
	buffer_store_dword v2, off, s[0:3], 0 offset:112
	s_and_saveexec_b64 s[4:5], vcc
	s_cbranch_execz .LBB55_323
; %bb.322:
	buffer_load_dword v2, off, s[0:3], 0 offset:104
	buffer_load_dword v3, off, s[0:3], 0 offset:108
	s_waitcnt vmcnt(0)
	ds_write_b64 v161, v[2:3]
	buffer_store_dword v206, off, s[0:3], 0 offset:104
	buffer_store_dword v206, off, s[0:3], 0 offset:108
.LBB55_323:
	s_or_b64 exec, exec, s[4:5]
	s_waitcnt lgkmcnt(0)
	; wave barrier
	s_waitcnt lgkmcnt(0)
	buffer_load_dword v1, off, s[0:3], 0 offset:116
	buffer_load_dword v78, off, s[0:3], 0 offset:124
	buffer_load_dword v80, off, s[0:3], 0 offset:140
	buffer_load_dword v82, off, s[0:3], 0 offset:148
	buffer_load_dword v98, off, s[0:3], 0 offset:156
	buffer_load_dword v99, off, s[0:3], 0 offset:132
	buffer_load_dword v100, off, s[0:3], 0 offset:164
	buffer_load_dword v101, off, s[0:3], 0 offset:172
	buffer_load_dword v102, off, s[0:3], 0 offset:128
	buffer_load_dword v103, off, s[0:3], 0 offset:120
	buffer_load_dword v104, off, s[0:3], 0 offset:112
	buffer_load_dword v105, off, s[0:3], 0 offset:160
	buffer_load_dword v106, off, s[0:3], 0 offset:152
	buffer_load_dword v107, off, s[0:3], 0 offset:144
	buffer_load_dword v108, off, s[0:3], 0 offset:136
	buffer_load_dword v109, off, s[0:3], 0 offset:192
	buffer_load_dword v110, off, s[0:3], 0 offset:184
	buffer_load_dword v111, off, s[0:3], 0 offset:176
	buffer_load_dword v112, off, s[0:3], 0 offset:168
	buffer_load_dword v113, off, s[0:3], 0 offset:180
	buffer_load_dword v114, off, s[0:3], 0 offset:188
	buffer_load_dword v115, off, s[0:3], 0 offset:196
	buffer_load_dword v26, off, s[0:3], 0 offset:104
	buffer_load_dword v27, off, s[0:3], 0 offset:108
	ds_read_b128 v[22:25], v206 offset:560
	ds_read_b128 v[18:21], v206 offset:576
	;; [unrolled: 1-line block ×4, first 2 shown]
	buffer_load_dword v116, off, s[0:3], 0 offset:200
	buffer_load_dword v117, off, s[0:3], 0 offset:204
	ds_read_b128 v[10:13], v206 offset:624
	ds_read_b128 v[2:5], v206 offset:640
	buffer_load_dword v118, off, s[0:3], 0 offset:208
	buffer_load_dword v119, off, s[0:3], 0 offset:212
	;; [unrolled: 1-line block ×44, first 2 shown]
	v_cmp_lt_u32_e32 vcc, 12, v0
	s_waitcnt vmcnt(62) lgkmcnt(5)
	v_mul_f32_e32 v28, v22, v1
	v_mul_f32_e32 v29, v24, v78
	s_waitcnt lgkmcnt(4)
	v_mul_f32_e32 v31, v20, v80
	s_waitcnt lgkmcnt(3)
	v_mul_f32_e32 v32, v14, v82
	v_mul_f32_e32 v33, v16, v98
	;; [unrolled: 1-line block ×3, first 2 shown]
	s_waitcnt lgkmcnt(2)
	v_mul_f32_e32 v34, v6, v100
	v_mul_f32_e32 v35, v8, v101
	s_waitcnt vmcnt(61)
	v_fmac_f32_e32 v30, v19, v102
	s_waitcnt vmcnt(60)
	v_fmac_f32_e32 v29, v25, v103
	;; [unrolled: 2-line block ×3, first 2 shown]
	v_add_f32_e32 v28, 0, v28
	v_add_f32_e32 v28, v28, v29
	;; [unrolled: 1-line block ×3, first 2 shown]
	s_waitcnt vmcnt(55)
	v_fmac_f32_e32 v31, v21, v108
	v_fmac_f32_e32 v32, v15, v107
	v_add_f32_e32 v28, v28, v31
	v_fmac_f32_e32 v33, v17, v106
	v_add_f32_e32 v28, v28, v32
	;; [unrolled: 2-line block ×3, first 2 shown]
	s_waitcnt vmcnt(51)
	v_fmac_f32_e32 v35, v9, v112
	v_add_f32_e32 v28, v28, v34
	s_waitcnt vmcnt(50) lgkmcnt(1)
	v_mul_f32_e32 v29, v10, v113
	v_add_f32_e32 v28, v28, v35
	v_fmac_f32_e32 v29, v11, v111
	v_add_f32_e32 v28, v28, v29
	s_waitcnt vmcnt(49)
	v_mul_f32_e32 v29, v12, v114
	v_fmac_f32_e32 v29, v13, v110
	v_add_f32_e32 v28, v28, v29
	s_waitcnt vmcnt(48) lgkmcnt(0)
	v_mul_f32_e32 v29, v2, v115
	v_fmac_f32_e32 v29, v3, v109
	v_add_f32_e32 v32, v28, v29
	ds_read_b128 v[28:31], v206 offset:656
	s_waitcnt vmcnt(44)
	v_mul_f32_e32 v33, v4, v117
	v_fmac_f32_e32 v33, v5, v116
	v_add_f32_e32 v36, v32, v33
	ds_read_b128 v[32:35], v206 offset:672
	s_waitcnt vmcnt(42) lgkmcnt(1)
	v_mul_f32_e32 v37, v28, v119
	v_fmac_f32_e32 v37, v29, v118
	v_add_f32_e32 v36, v36, v37
	s_waitcnt vmcnt(40)
	v_mul_f32_e32 v37, v30, v121
	v_fmac_f32_e32 v37, v31, v120
	v_add_f32_e32 v36, v36, v37
	s_waitcnt vmcnt(38) lgkmcnt(0)
	v_mul_f32_e32 v37, v32, v123
	v_fmac_f32_e32 v37, v33, v122
	v_add_f32_e32 v40, v36, v37
	ds_read_b128 v[36:39], v206 offset:688
	s_waitcnt vmcnt(36)
	v_mul_f32_e32 v41, v34, v125
	v_fmac_f32_e32 v41, v35, v124
	v_add_f32_e32 v44, v40, v41
	ds_read_b128 v[40:43], v206 offset:704
	s_waitcnt vmcnt(34) lgkmcnt(1)
	v_mul_f32_e32 v45, v36, v127
	;; [unrolled: 18-line block ×4, first 2 shown]
	v_fmac_f32_e32 v61, v53, v142
	v_add_f32_e32 v60, v60, v61
	s_waitcnt vmcnt(16)
	v_mul_f32_e32 v61, v54, v208
	v_fmac_f32_e32 v61, v55, v207
	v_add_f32_e32 v60, v60, v61
	s_waitcnt vmcnt(14) lgkmcnt(0)
	v_mul_f32_e32 v61, v56, v210
	v_fmac_f32_e32 v61, v57, v209
	v_add_f32_e32 v64, v60, v61
	ds_read_b128 v[60:63], v206 offset:784
	s_waitcnt vmcnt(12)
	v_mul_f32_e32 v65, v58, v212
	v_fmac_f32_e32 v65, v59, v211
	v_add_f32_e32 v68, v64, v65
	ds_read_b128 v[64:67], v206 offset:800
	buffer_load_dword v77, off, s[0:3], 0 offset:388
	buffer_load_dword v76, off, s[0:3], 0 offset:384
	s_waitcnt vmcnt(12) lgkmcnt(1)
	v_mul_f32_e32 v69, v60, v214
	v_fmac_f32_e32 v69, v61, v213
	v_add_f32_e32 v68, v68, v69
	s_waitcnt vmcnt(10)
	v_mul_f32_e32 v69, v62, v216
	v_fmac_f32_e32 v69, v63, v215
	v_add_f32_e32 v68, v68, v69
	s_waitcnt vmcnt(8) lgkmcnt(0)
	v_mul_f32_e32 v69, v64, v218
	v_fmac_f32_e32 v69, v65, v217
	s_waitcnt vmcnt(6)
	v_mul_f32_e32 v73, v66, v220
	v_add_f32_e32 v72, v68, v69
	v_fmac_f32_e32 v73, v67, v219
	ds_read_b128 v[68:71], v206 offset:816
	v_add_f32_e32 v79, v72, v73
	ds_read_b128 v[72:75], v206 offset:832
	buffer_load_dword v85, off, s[0:3], 0 offset:420
	buffer_load_dword v84, off, s[0:3], 0 offset:416
	;; [unrolled: 1-line block ×14, first 2 shown]
	v_mul_f32_e32 v1, v23, v1
	v_fma_f32 v1, v22, v104, -v1
	v_mul_f32_e32 v22, v25, v78
	v_add_f32_e32 v1, 0, v1
	v_fma_f32 v22, v24, v103, -v22
	v_mul_f32_e32 v19, v19, v99
	v_add_f32_e32 v1, v1, v22
	v_fma_f32 v18, v18, v102, -v19
	v_add_f32_e32 v1, v1, v18
	v_mul_f32_e32 v18, v21, v80
	v_fma_f32 v18, v20, v108, -v18
	v_mul_f32_e32 v15, v15, v82
	v_add_f32_e32 v1, v1, v18
	v_fma_f32 v14, v14, v107, -v15
	v_add_f32_e32 v1, v1, v14
	v_mul_f32_e32 v14, v17, v98
	;; [unrolled: 6-line block ×3, first 2 shown]
	v_fma_f32 v6, v8, v112, -v6
	v_add_f32_e32 v1, v1, v6
	v_mul_f32_e32 v6, v11, v113
	v_fma_f32 v6, v10, v111, -v6
	v_add_f32_e32 v1, v1, v6
	v_mul_f32_e32 v6, v13, v114
	v_fma_f32 v6, v12, v110, -v6
	v_mul_f32_e32 v3, v3, v115
	v_add_f32_e32 v1, v1, v6
	v_fma_f32 v2, v2, v109, -v3
	v_add_f32_e32 v1, v1, v2
	v_mul_f32_e32 v2, v5, v117
	v_fma_f32 v2, v4, v116, -v2
	v_add_f32_e32 v1, v1, v2
	v_mul_f32_e32 v2, v29, v119
	;; [unrolled: 3-line block ×21, first 2 shown]
	v_fma_f32 v2, v66, v219, -v2
	s_waitcnt vmcnt(15)
	v_mov_b32_e32 v16, v77
	s_waitcnt lgkmcnt(1)
	v_mul_f32_e32 v81, v68, v222
	v_add_f32_e32 v78, v1, v2
	v_mul_f32_e32 v1, v69, v222
	s_waitcnt lgkmcnt(0)
	v_pk_mul_f32 v[16:17], v[72:73], v[16:17] op_sel_hi:[1,0]
	v_fmac_f32_e32 v81, v69, v221
	v_mul_f32_e32 v83, v70, v224
	v_fma_f32 v80, v68, v221, -v1
	v_mul_f32_e32 v1, v71, v224
	s_waitcnt vmcnt(14)
	v_pk_fma_f32 v[18:19], v[72:73], v[76:77], v[16:17] op_sel:[0,0,1] op_sel_hi:[1,1,0] neg_lo:[0,0,1] neg_hi:[0,0,1]
	v_pk_fma_f32 v[16:17], v[72:73], v[76:77], v[16:17] op_sel:[0,0,1] op_sel_hi:[1,0,0]
	v_fmac_f32_e32 v83, v71, v223
	v_fma_f32 v82, v70, v223, -v1
	v_pk_add_f32 v[14:15], v[78:79], v[80:81]
	s_waitcnt vmcnt(7)
	v_mov_b32_e32 v16, v91
	ds_read_b128 v[2:5], v206 offset:848
	ds_read_b128 v[6:9], v206 offset:864
	;; [unrolled: 1-line block ×3, first 2 shown]
	v_pk_add_f32 v[14:15], v[14:15], v[82:83]
	v_mov_b32_e32 v19, v17
	v_pk_mul_f32 v[16:17], v[74:75], v[16:17] op_sel_hi:[1,0]
	v_pk_add_f32 v[14:15], v[14:15], v[18:19]
	s_waitcnt vmcnt(6)
	v_pk_fma_f32 v[18:19], v[74:75], v[90:91], v[16:17] op_sel:[0,0,1] op_sel_hi:[1,1,0] neg_lo:[0,0,1] neg_hi:[0,0,1]
	v_pk_fma_f32 v[16:17], v[74:75], v[90:91], v[16:17] op_sel:[0,0,1] op_sel_hi:[1,0,0]
	v_mov_b32_e32 v16, v89
	v_mov_b32_e32 v19, v17
	s_waitcnt lgkmcnt(2)
	v_pk_mul_f32 v[16:17], v[2:3], v[16:17] op_sel_hi:[1,0]
	v_pk_add_f32 v[14:15], v[14:15], v[18:19]
	v_pk_fma_f32 v[18:19], v[2:3], v[88:89], v[16:17] op_sel:[0,0,1] op_sel_hi:[1,1,0] neg_lo:[0,0,1] neg_hi:[0,0,1]
	v_pk_fma_f32 v[2:3], v[2:3], v[88:89], v[16:17] op_sel:[0,0,1] op_sel_hi:[1,0,0]
	v_mov_b32_e32 v19, v3
	v_pk_add_f32 v[2:3], v[14:15], v[18:19]
	v_mov_b32_e32 v14, v87
	v_pk_mul_f32 v[14:15], v[4:5], v[14:15] op_sel_hi:[1,0]
	v_pk_fma_f32 v[16:17], v[4:5], v[86:87], v[14:15] op_sel:[0,0,1] op_sel_hi:[1,1,0] neg_lo:[0,0,1] neg_hi:[0,0,1]
	v_pk_fma_f32 v[4:5], v[4:5], v[86:87], v[14:15] op_sel:[0,0,1] op_sel_hi:[1,0,0]
	v_mov_b32_e32 v4, v85
	v_mov_b32_e32 v17, v5
	s_waitcnt lgkmcnt(1)
	v_pk_mul_f32 v[4:5], v[6:7], v[4:5] op_sel_hi:[1,0]
	v_pk_fma_f32 v[14:15], v[6:7], v[84:85], v[4:5] op_sel:[0,0,1] op_sel_hi:[1,1,0] neg_lo:[0,0,1] neg_hi:[0,0,1]
	v_pk_fma_f32 v[4:5], v[6:7], v[84:85], v[4:5] op_sel:[0,0,1] op_sel_hi:[1,0,0]
	s_waitcnt vmcnt(1)
	v_mov_b32_e32 v4, v97
	v_mov_b32_e32 v15, v5
	v_pk_mul_f32 v[4:5], v[8:9], v[4:5] op_sel_hi:[1,0]
	s_waitcnt vmcnt(0)
	v_pk_fma_f32 v[6:7], v[8:9], v[96:97], v[4:5] op_sel:[0,0,1] op_sel_hi:[1,1,0] neg_lo:[0,0,1] neg_hi:[0,0,1]
	v_pk_fma_f32 v[4:5], v[8:9], v[96:97], v[4:5] op_sel:[0,0,1] op_sel_hi:[1,0,0]
	v_pk_add_f32 v[2:3], v[2:3], v[16:17]
	v_mov_b32_e32 v4, v95
	v_pk_add_f32 v[2:3], v[2:3], v[14:15]
	v_mov_b32_e32 v7, v5
	s_waitcnt lgkmcnt(0)
	v_pk_mul_f32 v[4:5], v[10:11], v[4:5] op_sel_hi:[1,0]
	v_pk_add_f32 v[2:3], v[2:3], v[6:7]
	v_pk_fma_f32 v[6:7], v[10:11], v[94:95], v[4:5] op_sel:[0,0,1] op_sel_hi:[1,1,0] neg_lo:[0,0,1] neg_hi:[0,0,1]
	v_pk_fma_f32 v[4:5], v[10:11], v[94:95], v[4:5] op_sel:[0,0,1] op_sel_hi:[1,0,0]
	v_mov_b32_e32 v4, v93
	v_mov_b32_e32 v7, v5
	v_pk_mul_f32 v[4:5], v[12:13], v[4:5] op_sel_hi:[1,0]
	v_pk_add_f32 v[2:3], v[2:3], v[6:7]
	v_pk_fma_f32 v[6:7], v[12:13], v[92:93], v[4:5] op_sel:[0,0,1] op_sel_hi:[1,1,0] neg_lo:[0,0,1] neg_hi:[0,0,1]
	v_pk_fma_f32 v[4:5], v[12:13], v[92:93], v[4:5] op_sel:[0,0,1] op_sel_hi:[1,0,0]
	v_mov_b32_e32 v7, v5
	v_pk_add_f32 v[2:3], v[2:3], v[6:7]
	v_pk_add_f32 v[2:3], v[26:27], v[2:3] neg_lo:[0,1] neg_hi:[0,1]
	buffer_store_dword v3, off, s[0:3], 0 offset:108
	buffer_store_dword v2, off, s[0:3], 0 offset:104
	s_and_saveexec_b64 s[4:5], vcc
	s_cbranch_execz .LBB55_325
; %bb.324:
	buffer_load_dword v2, off, s[0:3], 0 offset:96
	buffer_load_dword v3, off, s[0:3], 0 offset:100
	v_mov_b32_e32 v1, 0
	buffer_store_dword v1, off, s[0:3], 0 offset:96
	buffer_store_dword v1, off, s[0:3], 0 offset:100
	s_waitcnt vmcnt(2)
	ds_write_b64 v161, v[2:3]
.LBB55_325:
	s_or_b64 exec, exec, s[4:5]
	s_waitcnt lgkmcnt(0)
	; wave barrier
	s_waitcnt lgkmcnt(0)
	buffer_load_dword v76, off, s[0:3], 0 offset:108
	buffer_load_dword v78, off, s[0:3], 0 offset:116
	;; [unrolled: 1-line block ×56, first 2 shown]
	v_mov_b32_e32 v1, 0
	ds_read2_b64 v[4:7], v1 offset0:69 offset1:70
	ds_read2_b64 v[8:11], v1 offset0:71 offset1:72
	ds_read2_b64 v[12:15], v1 offset0:73 offset1:74
	ds_read2_b64 v[16:19], v1 offset0:75 offset1:76
	ds_read2_b64 v[20:23], v1 offset0:77 offset1:78
	ds_read2_b64 v[24:27], v1 offset0:79 offset1:80
	buffer_load_dword v211, off, s[0:3], 0 offset:320
	buffer_load_dword v212, off, s[0:3], 0 offset:324
	;; [unrolled: 1-line block ×16, first 2 shown]
	v_cmp_lt_u32_e32 vcc, 11, v0
	s_waitcnt vmcnt(62) lgkmcnt(5)
	v_mul_f32_e32 v28, v4, v76
	v_mul_f32_e32 v29, v6, v78
	s_waitcnt lgkmcnt(4)
	v_mul_f32_e32 v31, v10, v80
	s_waitcnt lgkmcnt(3)
	v_mul_f32_e32 v32, v12, v98
	v_mul_f32_e32 v33, v14, v99
	;; [unrolled: 1-line block ×3, first 2 shown]
	s_waitcnt lgkmcnt(2)
	v_mul_f32_e32 v34, v16, v101
	v_mul_f32_e32 v35, v18, v102
	s_waitcnt lgkmcnt(1)
	v_mul_f32_e32 v36, v20, v103
	v_fmac_f32_e32 v30, v9, v104
	s_waitcnt vmcnt(61)
	v_fmac_f32_e32 v29, v7, v105
	s_waitcnt vmcnt(60)
	v_fmac_f32_e32 v28, v5, v106
	v_add_f32_e32 v28, 0, v28
	v_add_f32_e32 v28, v28, v29
	;; [unrolled: 1-line block ×3, first 2 shown]
	s_waitcnt vmcnt(56)
	v_fmac_f32_e32 v31, v11, v110
	v_fmac_f32_e32 v32, v13, v109
	v_add_f32_e32 v28, v28, v31
	v_fmac_f32_e32 v33, v15, v108
	v_add_f32_e32 v28, v28, v32
	;; [unrolled: 2-line block ×3, first 2 shown]
	s_waitcnt vmcnt(52)
	v_fmac_f32_e32 v35, v19, v114
	v_add_f32_e32 v28, v28, v34
	v_add_f32_e32 v28, v28, v35
	v_fmac_f32_e32 v36, v21, v113
	s_waitcnt vmcnt(51)
	v_mul_f32_e32 v29, v22, v115
	v_add_f32_e32 v28, v28, v36
	v_fmac_f32_e32 v29, v23, v112
	v_add_f32_e32 v28, v28, v29
	s_waitcnt vmcnt(50) lgkmcnt(0)
	v_mul_f32_e32 v29, v24, v116
	v_fmac_f32_e32 v29, v25, v111
	v_add_f32_e32 v32, v28, v29
	ds_read2_b64 v[28:31], v1 offset0:81 offset1:82
	s_waitcnt vmcnt(46)
	v_mul_f32_e32 v33, v26, v118
	v_fmac_f32_e32 v33, v27, v117
	v_add_f32_e32 v36, v32, v33
	ds_read2_b64 v[32:35], v1 offset0:83 offset1:84
	s_waitcnt vmcnt(44) lgkmcnt(1)
	v_mul_f32_e32 v37, v28, v120
	v_fmac_f32_e32 v37, v29, v119
	v_add_f32_e32 v36, v36, v37
	s_waitcnt vmcnt(42)
	v_mul_f32_e32 v37, v30, v122
	v_fmac_f32_e32 v37, v31, v121
	v_add_f32_e32 v36, v36, v37
	s_waitcnt vmcnt(40) lgkmcnt(0)
	v_mul_f32_e32 v37, v32, v124
	v_fmac_f32_e32 v37, v33, v123
	v_add_f32_e32 v40, v36, v37
	ds_read2_b64 v[36:39], v1 offset0:85 offset1:86
	s_waitcnt vmcnt(38)
	v_mul_f32_e32 v41, v34, v126
	v_fmac_f32_e32 v41, v35, v125
	v_add_f32_e32 v44, v40, v41
	ds_read2_b64 v[40:43], v1 offset0:87 offset1:88
	s_waitcnt vmcnt(36) lgkmcnt(1)
	v_mul_f32_e32 v45, v36, v128
	v_fmac_f32_e32 v45, v37, v127
	v_add_f32_e32 v44, v44, v45
	s_waitcnt vmcnt(34)
	v_mul_f32_e32 v45, v38, v130
	;; [unrolled: 18-line block ×5, first 2 shown]
	v_fmac_f32_e32 v69, v63, v215
	v_add_f32_e32 v68, v68, v69
	s_waitcnt vmcnt(8) lgkmcnt(0)
	v_mul_f32_e32 v69, v64, v218
	v_fmac_f32_e32 v69, v65, v217
	s_waitcnt vmcnt(6)
	v_mul_f32_e32 v73, v66, v220
	v_add_f32_e32 v72, v68, v69
	v_fmac_f32_e32 v73, v67, v219
	ds_read2_b64 v[68:71], v1 offset0:101 offset1:102
	v_add_f32_e32 v77, v72, v73
	ds_read2_b64 v[72:75], v1 offset0:103 offset1:104
	buffer_load_dword v83, off, s[0:3], 0 offset:412
	buffer_load_dword v82, off, s[0:3], 0 offset:408
	;; [unrolled: 1-line block ×16, first 2 shown]
	v_mul_f32_e32 v5, v5, v76
	v_fma_f32 v4, v4, v106, -v5
	v_mul_f32_e32 v5, v7, v78
	v_add_f32_e32 v4, 0, v4
	v_fma_f32 v5, v6, v105, -v5
	v_add_f32_e32 v4, v4, v5
	v_mul_f32_e32 v5, v9, v100
	v_fma_f32 v5, v8, v104, -v5
	v_add_f32_e32 v4, v4, v5
	v_mul_f32_e32 v5, v11, v80
	;; [unrolled: 3-line block ×30, first 2 shown]
	v_fma_f32 v5, v66, v219, -v5
	v_add_f32_e32 v4, v4, v5
	s_waitcnt vmcnt(20) lgkmcnt(1)
	v_mul_f32_e32 v5, v69, v222
	v_mul_f32_e32 v79, v68, v222
	v_fma_f32 v5, v68, v221, -v5
	v_fmac_f32_e32 v79, v69, v221
	v_add_f32_e32 v76, v4, v5
	s_waitcnt vmcnt(18)
	v_mul_f32_e32 v4, v71, v224
	s_waitcnt vmcnt(9)
	v_mov_b32_e32 v20, v89
	v_add_f32_e32 v77, v77, v79
	v_mul_f32_e32 v79, v70, v224
	v_fma_f32 v78, v70, v223, -v4
	s_waitcnt lgkmcnt(0)
	v_mul_f32_e32 v4, v73, v226
	v_pk_mul_f32 v[20:21], v[74:75], v[20:21] op_sel_hi:[1,0]
	v_fmac_f32_e32 v79, v71, v223
	v_mul_f32_e32 v81, v72, v226
	v_fma_f32 v80, v72, v225, -v4
	ds_read2_b64 v[4:7], v1 offset0:105 offset1:106
	ds_read2_b64 v[8:11], v1 offset0:107 offset1:108
	;; [unrolled: 1-line block ×3, first 2 shown]
	ds_read_b64 v[16:17], v1 offset:888
	s_waitcnt vmcnt(8)
	v_pk_fma_f32 v[22:23], v[74:75], v[88:89], v[20:21] op_sel:[0,0,1] op_sel_hi:[1,1,0] neg_lo:[0,0,1] neg_hi:[0,0,1]
	v_pk_fma_f32 v[20:21], v[74:75], v[88:89], v[20:21] op_sel:[0,0,1] op_sel_hi:[1,0,0]
	v_fmac_f32_e32 v81, v73, v225
	v_pk_add_f32 v[18:19], v[76:77], v[78:79]
	v_mov_b32_e32 v20, v87
	v_pk_add_f32 v[18:19], v[18:19], v[80:81]
	v_mov_b32_e32 v23, v21
	s_waitcnt lgkmcnt(3)
	v_pk_mul_f32 v[20:21], v[4:5], v[20:21] op_sel_hi:[1,0]
	v_pk_add_f32 v[18:19], v[18:19], v[22:23]
	v_pk_fma_f32 v[22:23], v[4:5], v[86:87], v[20:21] op_sel:[0,0,1] op_sel_hi:[1,1,0] neg_lo:[0,0,1] neg_hi:[0,0,1]
	v_pk_fma_f32 v[4:5], v[4:5], v[86:87], v[20:21] op_sel:[0,0,1] op_sel_hi:[1,0,0]
	v_mov_b32_e32 v23, v5
	v_pk_add_f32 v[4:5], v[18:19], v[22:23]
	v_mov_b32_e32 v18, v85
	v_pk_mul_f32 v[18:19], v[6:7], v[18:19] op_sel_hi:[1,0]
	v_pk_fma_f32 v[20:21], v[6:7], v[84:85], v[18:19] op_sel:[0,0,1] op_sel_hi:[1,1,0] neg_lo:[0,0,1] neg_hi:[0,0,1]
	v_pk_fma_f32 v[6:7], v[6:7], v[84:85], v[18:19] op_sel:[0,0,1] op_sel_hi:[1,0,0]
	v_mov_b32_e32 v6, v83
	v_mov_b32_e32 v21, v7
	s_waitcnt lgkmcnt(2)
	v_pk_mul_f32 v[6:7], v[8:9], v[6:7] op_sel_hi:[1,0]
	v_pk_fma_f32 v[18:19], v[8:9], v[82:83], v[6:7] op_sel:[0,0,1] op_sel_hi:[1,1,0] neg_lo:[0,0,1] neg_hi:[0,0,1]
	v_pk_fma_f32 v[6:7], v[8:9], v[82:83], v[6:7] op_sel:[0,0,1] op_sel_hi:[1,0,0]
	s_waitcnt vmcnt(1)
	v_mov_b32_e32 v6, v97
	v_mov_b32_e32 v19, v7
	v_pk_mul_f32 v[6:7], v[10:11], v[6:7] op_sel_hi:[1,0]
	s_waitcnt vmcnt(0)
	v_pk_fma_f32 v[8:9], v[10:11], v[96:97], v[6:7] op_sel:[0,0,1] op_sel_hi:[1,1,0] neg_lo:[0,0,1] neg_hi:[0,0,1]
	v_pk_fma_f32 v[6:7], v[10:11], v[96:97], v[6:7] op_sel:[0,0,1] op_sel_hi:[1,0,0]
	v_pk_add_f32 v[4:5], v[4:5], v[20:21]
	v_mov_b32_e32 v6, v95
	v_pk_add_f32 v[4:5], v[4:5], v[18:19]
	v_mov_b32_e32 v9, v7
	s_waitcnt lgkmcnt(1)
	v_pk_mul_f32 v[6:7], v[12:13], v[6:7] op_sel_hi:[1,0]
	v_pk_add_f32 v[4:5], v[4:5], v[8:9]
	v_pk_fma_f32 v[8:9], v[12:13], v[94:95], v[6:7] op_sel:[0,0,1] op_sel_hi:[1,1,0] neg_lo:[0,0,1] neg_hi:[0,0,1]
	v_pk_fma_f32 v[6:7], v[12:13], v[94:95], v[6:7] op_sel:[0,0,1] op_sel_hi:[1,0,0]
	v_mov_b32_e32 v6, v93
	v_mov_b32_e32 v9, v7
	v_pk_mul_f32 v[6:7], v[14:15], v[6:7] op_sel_hi:[1,0]
	v_pk_add_f32 v[4:5], v[4:5], v[8:9]
	v_pk_fma_f32 v[8:9], v[14:15], v[92:93], v[6:7] op_sel:[0,0,1] op_sel_hi:[1,1,0] neg_lo:[0,0,1] neg_hi:[0,0,1]
	v_pk_fma_f32 v[6:7], v[14:15], v[92:93], v[6:7] op_sel:[0,0,1] op_sel_hi:[1,0,0]
	v_mov_b32_e32 v6, v91
	v_mov_b32_e32 v9, v7
	s_waitcnt lgkmcnt(0)
	v_pk_mul_f32 v[6:7], v[16:17], v[6:7] op_sel_hi:[1,0]
	v_pk_add_f32 v[4:5], v[4:5], v[8:9]
	v_pk_fma_f32 v[8:9], v[16:17], v[90:91], v[6:7] op_sel:[0,0,1] op_sel_hi:[1,1,0] neg_lo:[0,0,1] neg_hi:[0,0,1]
	v_pk_fma_f32 v[6:7], v[16:17], v[90:91], v[6:7] op_sel:[0,0,1] op_sel_hi:[1,0,0]
	v_mov_b32_e32 v9, v7
	v_pk_add_f32 v[4:5], v[4:5], v[8:9]
	v_pk_add_f32 v[2:3], v[2:3], v[4:5] neg_lo:[0,1] neg_hi:[0,1]
	buffer_store_dword v3, off, s[0:3], 0 offset:100
	buffer_store_dword v2, off, s[0:3], 0 offset:96
	s_and_saveexec_b64 s[4:5], vcc
	s_cbranch_execz .LBB55_327
; %bb.326:
	buffer_load_dword v2, off, s[0:3], 0 offset:88
	buffer_load_dword v3, off, s[0:3], 0 offset:92
	s_waitcnt vmcnt(0)
	ds_write_b64 v161, v[2:3]
	buffer_store_dword v1, off, s[0:3], 0 offset:88
	buffer_store_dword v1, off, s[0:3], 0 offset:92
.LBB55_327:
	s_or_b64 exec, exec, s[4:5]
	s_waitcnt lgkmcnt(0)
	; wave barrier
	s_waitcnt lgkmcnt(0)
	buffer_load_dword v76, off, s[0:3], 0 offset:100
	buffer_load_dword v78, off, s[0:3], 0 offset:108
	;; [unrolled: 1-line block ×26, first 2 shown]
	ds_read_b128 v[22:25], v1 offset:544
	ds_read_b128 v[18:21], v1 offset:560
	;; [unrolled: 1-line block ×6, first 2 shown]
	buffer_load_dword v119, off, s[0:3], 0 offset:192
	buffer_load_dword v120, off, s[0:3], 0 offset:196
	;; [unrolled: 1-line block ×42, first 2 shown]
	v_cmp_lt_u32_e32 vcc, 10, v0
	s_waitcnt vmcnt(62) lgkmcnt(5)
	v_mul_f32_e32 v28, v22, v76
	v_mul_f32_e32 v29, v24, v78
	s_waitcnt lgkmcnt(4)
	v_mul_f32_e32 v31, v20, v86
	s_waitcnt lgkmcnt(3)
	v_mul_f32_e32 v32, v14, v98
	v_mul_f32_e32 v33, v16, v99
	;; [unrolled: 1-line block ×3, first 2 shown]
	s_waitcnt vmcnt(61) lgkmcnt(2)
	v_mul_f32_e32 v34, v10, v101
	s_waitcnt vmcnt(60)
	v_mul_f32_e32 v35, v12, v102
	s_waitcnt vmcnt(59) lgkmcnt(1)
	v_mul_f32_e32 v36, v6, v103
	s_waitcnt vmcnt(58)
	v_fmac_f32_e32 v30, v19, v104
	s_waitcnt vmcnt(57)
	v_fmac_f32_e32 v29, v25, v105
	;; [unrolled: 2-line block ×3, first 2 shown]
	v_add_f32_e32 v28, 0, v28
	v_add_f32_e32 v28, v28, v29
	;; [unrolled: 1-line block ×3, first 2 shown]
	s_waitcnt vmcnt(52)
	v_fmac_f32_e32 v31, v21, v110
	v_fmac_f32_e32 v32, v15, v109
	v_add_f32_e32 v28, v28, v31
	v_fmac_f32_e32 v33, v17, v108
	v_add_f32_e32 v28, v28, v32
	;; [unrolled: 2-line block ×3, first 2 shown]
	s_waitcnt vmcnt(48)
	v_fmac_f32_e32 v35, v13, v114
	v_add_f32_e32 v28, v28, v34
	v_fmac_f32_e32 v36, v7, v113
	v_add_f32_e32 v28, v28, v35
	s_waitcnt vmcnt(47)
	v_mul_f32_e32 v29, v8, v115
	v_add_f32_e32 v28, v28, v36
	v_fmac_f32_e32 v29, v9, v112
	v_add_f32_e32 v28, v28, v29
	s_waitcnt vmcnt(46) lgkmcnt(0)
	v_mul_f32_e32 v29, v2, v116
	v_fmac_f32_e32 v29, v3, v111
	v_add_f32_e32 v32, v28, v29
	ds_read_b128 v[28:31], v1 offset:640
	s_waitcnt vmcnt(42)
	v_mul_f32_e32 v33, v4, v118
	v_fmac_f32_e32 v33, v5, v117
	buffer_load_dword v223, off, s[0:3], 0 offset:360
	buffer_load_dword v224, off, s[0:3], 0 offset:364
	v_add_f32_e32 v36, v32, v33
	buffer_load_dword v225, off, s[0:3], 0 offset:368
	buffer_load_dword v226, off, s[0:3], 0 offset:372
	ds_read_b128 v[32:35], v1 offset:656
	s_waitcnt vmcnt(44) lgkmcnt(1)
	v_mul_f32_e32 v37, v28, v120
	v_fmac_f32_e32 v37, v29, v119
	v_add_f32_e32 v36, v36, v37
	s_waitcnt vmcnt(42)
	v_mul_f32_e32 v37, v30, v122
	v_fmac_f32_e32 v37, v31, v121
	v_add_f32_e32 v36, v36, v37
	s_waitcnt vmcnt(40) lgkmcnt(0)
	v_mul_f32_e32 v37, v32, v124
	v_fmac_f32_e32 v37, v33, v123
	buffer_load_dword v227, off, s[0:3], 0 offset:376
	buffer_load_dword v228, off, s[0:3], 0 offset:380
	v_add_f32_e32 v40, v36, v37
	ds_read_b128 v[36:39], v1 offset:672
	s_waitcnt vmcnt(40)
	v_mul_f32_e32 v41, v34, v126
	v_fmac_f32_e32 v41, v35, v125
	v_add_f32_e32 v44, v40, v41
	ds_read_b128 v[40:43], v1 offset:688
	s_waitcnt vmcnt(38) lgkmcnt(1)
	v_mul_f32_e32 v45, v36, v128
	v_fmac_f32_e32 v45, v37, v127
	v_add_f32_e32 v44, v44, v45
	s_waitcnt vmcnt(36)
	v_mul_f32_e32 v45, v38, v130
	v_fmac_f32_e32 v45, v39, v129
	v_add_f32_e32 v44, v44, v45
	s_waitcnt vmcnt(34) lgkmcnt(0)
	v_mul_f32_e32 v45, v40, v132
	v_fmac_f32_e32 v45, v41, v131
	v_add_f32_e32 v48, v44, v45
	ds_read_b128 v[44:47], v1 offset:704
	s_waitcnt vmcnt(32)
	v_mul_f32_e32 v49, v42, v134
	v_fmac_f32_e32 v49, v43, v133
	v_add_f32_e32 v52, v48, v49
	ds_read_b128 v[48:51], v1 offset:720
	s_waitcnt vmcnt(30) lgkmcnt(1)
	v_mul_f32_e32 v53, v44, v136
	v_fmac_f32_e32 v53, v45, v135
	v_add_f32_e32 v52, v52, v53
	s_waitcnt vmcnt(28)
	v_mul_f32_e32 v53, v46, v138
	v_fmac_f32_e32 v53, v47, v137
	v_add_f32_e32 v52, v52, v53
	s_waitcnt vmcnt(26) lgkmcnt(0)
	v_mul_f32_e32 v53, v48, v140
	v_fmac_f32_e32 v53, v49, v139
	;; [unrolled: 18-line block ×4, first 2 shown]
	s_waitcnt vmcnt(8)
	v_mul_f32_e32 v73, v66, v220
	v_add_f32_e32 v72, v68, v69
	v_fmac_f32_e32 v73, v67, v219
	ds_read_b128 v[68:71], v1 offset:800
	v_add_f32_e32 v77, v72, v73
	ds_read_b128 v[72:75], v1 offset:816
	buffer_load_dword v81, off, s[0:3], 0 offset:404
	buffer_load_dword v80, off, s[0:3], 0 offset:400
	;; [unrolled: 1-line block ×16, first 2 shown]
	v_mul_f32_e32 v23, v23, v76
	v_fma_f32 v22, v22, v106, -v23
	v_mul_f32_e32 v23, v25, v78
	v_add_f32_e32 v22, 0, v22
	v_fma_f32 v23, v24, v105, -v23
	v_mul_f32_e32 v19, v19, v100
	v_add_f32_e32 v22, v22, v23
	;; [unrolled: 3-line block ×11, first 2 shown]
	v_fma_f32 v3, v4, v117, -v3
	v_add_f32_e32 v2, v2, v3
	v_mul_f32_e32 v3, v29, v120
	v_fma_f32 v3, v28, v119, -v3
	v_add_f32_e32 v2, v2, v3
	v_mul_f32_e32 v3, v31, v122
	;; [unrolled: 3-line block ×20, first 2 shown]
	v_fma_f32 v3, v66, v219, -v3
	v_add_f32_e32 v2, v2, v3
	s_waitcnt vmcnt(22) lgkmcnt(1)
	v_mul_f32_e32 v3, v69, v222
	v_fma_f32 v3, v68, v221, -v3
	v_add_f32_e32 v2, v2, v3
	s_waitcnt vmcnt(20)
	v_mul_f32_e32 v3, v71, v224
	v_mul_f32_e32 v79, v68, v222
	v_fma_f32 v3, v70, v223, -v3
	v_fmac_f32_e32 v79, v69, v221
	v_add_f32_e32 v76, v2, v3
	s_waitcnt vmcnt(18) lgkmcnt(0)
	v_mul_f32_e32 v2, v73, v226
	v_add_f32_e32 v77, v77, v79
	v_mul_f32_e32 v79, v70, v224
	v_fma_f32 v78, v72, v225, -v2
	s_waitcnt vmcnt(16)
	v_mul_f32_e32 v2, v75, v228
	v_fmac_f32_e32 v79, v71, v223
	v_fma_f32 v86, v74, v227, -v2
	ds_read_b128 v[2:5], v1 offset:832
	ds_read_b128 v[6:9], v1 offset:848
	;; [unrolled: 1-line block ×4, first 2 shown]
	v_add_f32_e32 v77, v77, v79
	v_mul_f32_e32 v79, v72, v226
	s_waitcnt vmcnt(11)
	v_mov_b32_e32 v20, v85
	v_fmac_f32_e32 v79, v73, v225
	v_mul_f32_e32 v87, v74, v228
	s_waitcnt lgkmcnt(3)
	v_pk_mul_f32 v[20:21], v[2:3], v[20:21] op_sel_hi:[1,0]
	v_fmac_f32_e32 v87, v75, v227
	v_pk_add_f32 v[18:19], v[76:77], v[78:79]
	s_waitcnt vmcnt(10)
	v_pk_fma_f32 v[22:23], v[2:3], v[84:85], v[20:21] op_sel:[0,0,1] op_sel_hi:[1,1,0] neg_lo:[0,0,1] neg_hi:[0,0,1]
	v_pk_fma_f32 v[2:3], v[2:3], v[84:85], v[20:21] op_sel:[0,0,1] op_sel_hi:[1,0,0]
	v_pk_add_f32 v[18:19], v[18:19], v[86:87]
	v_mov_b32_e32 v23, v3
	v_pk_add_f32 v[2:3], v[18:19], v[22:23]
	v_mov_b32_e32 v18, v83
	v_pk_mul_f32 v[18:19], v[4:5], v[18:19] op_sel_hi:[1,0]
	v_pk_fma_f32 v[20:21], v[4:5], v[82:83], v[18:19] op_sel:[0,0,1] op_sel_hi:[1,1,0] neg_lo:[0,0,1] neg_hi:[0,0,1]
	v_pk_fma_f32 v[4:5], v[4:5], v[82:83], v[18:19] op_sel:[0,0,1] op_sel_hi:[1,0,0]
	v_mov_b32_e32 v4, v81
	v_mov_b32_e32 v21, v5
	s_waitcnt lgkmcnt(2)
	v_pk_mul_f32 v[4:5], v[6:7], v[4:5] op_sel_hi:[1,0]
	v_pk_fma_f32 v[18:19], v[6:7], v[80:81], v[4:5] op_sel:[0,0,1] op_sel_hi:[1,1,0] neg_lo:[0,0,1] neg_hi:[0,0,1]
	v_pk_fma_f32 v[4:5], v[6:7], v[80:81], v[4:5] op_sel:[0,0,1] op_sel_hi:[1,0,0]
	s_waitcnt vmcnt(3)
	v_mov_b32_e32 v4, v95
	v_mov_b32_e32 v19, v5
	v_pk_mul_f32 v[4:5], v[8:9], v[4:5] op_sel_hi:[1,0]
	s_waitcnt vmcnt(2)
	v_pk_fma_f32 v[6:7], v[8:9], v[94:95], v[4:5] op_sel:[0,0,1] op_sel_hi:[1,1,0] neg_lo:[0,0,1] neg_hi:[0,0,1]
	v_pk_fma_f32 v[4:5], v[8:9], v[94:95], v[4:5] op_sel:[0,0,1] op_sel_hi:[1,0,0]
	v_pk_add_f32 v[2:3], v[2:3], v[20:21]
	v_mov_b32_e32 v4, v93
	v_pk_add_f32 v[2:3], v[2:3], v[18:19]
	v_mov_b32_e32 v7, v5
	s_waitcnt lgkmcnt(1)
	v_pk_mul_f32 v[4:5], v[10:11], v[4:5] op_sel_hi:[1,0]
	v_pk_add_f32 v[2:3], v[2:3], v[6:7]
	v_pk_fma_f32 v[6:7], v[10:11], v[92:93], v[4:5] op_sel:[0,0,1] op_sel_hi:[1,1,0] neg_lo:[0,0,1] neg_hi:[0,0,1]
	v_pk_fma_f32 v[4:5], v[10:11], v[92:93], v[4:5] op_sel:[0,0,1] op_sel_hi:[1,0,0]
	v_mov_b32_e32 v4, v91
	v_mov_b32_e32 v7, v5
	v_pk_mul_f32 v[4:5], v[12:13], v[4:5] op_sel_hi:[1,0]
	v_pk_add_f32 v[2:3], v[2:3], v[6:7]
	v_pk_fma_f32 v[6:7], v[12:13], v[90:91], v[4:5] op_sel:[0,0,1] op_sel_hi:[1,1,0] neg_lo:[0,0,1] neg_hi:[0,0,1]
	v_pk_fma_f32 v[4:5], v[12:13], v[90:91], v[4:5] op_sel:[0,0,1] op_sel_hi:[1,0,0]
	v_mov_b32_e32 v4, v89
	v_mov_b32_e32 v7, v5
	s_waitcnt lgkmcnt(0)
	v_pk_mul_f32 v[4:5], v[14:15], v[4:5] op_sel_hi:[1,0]
	v_pk_add_f32 v[2:3], v[2:3], v[6:7]
	v_pk_fma_f32 v[6:7], v[14:15], v[88:89], v[4:5] op_sel:[0,0,1] op_sel_hi:[1,1,0] neg_lo:[0,0,1] neg_hi:[0,0,1]
	v_pk_fma_f32 v[4:5], v[14:15], v[88:89], v[4:5] op_sel:[0,0,1] op_sel_hi:[1,0,0]
	s_waitcnt vmcnt(1)
	v_mov_b32_e32 v4, v97
	v_mov_b32_e32 v7, v5
	v_pk_mul_f32 v[4:5], v[16:17], v[4:5] op_sel_hi:[1,0]
	v_pk_add_f32 v[2:3], v[2:3], v[6:7]
	s_waitcnt vmcnt(0)
	v_pk_fma_f32 v[6:7], v[16:17], v[96:97], v[4:5] op_sel:[0,0,1] op_sel_hi:[1,1,0] neg_lo:[0,0,1] neg_hi:[0,0,1]
	v_pk_fma_f32 v[4:5], v[16:17], v[96:97], v[4:5] op_sel:[0,0,1] op_sel_hi:[1,0,0]
	v_mov_b32_e32 v7, v5
	v_pk_add_f32 v[2:3], v[2:3], v[6:7]
	v_pk_add_f32 v[2:3], v[26:27], v[2:3] neg_lo:[0,1] neg_hi:[0,1]
	buffer_store_dword v3, off, s[0:3], 0 offset:92
	buffer_store_dword v2, off, s[0:3], 0 offset:88
	s_and_saveexec_b64 s[4:5], vcc
	s_cbranch_execz .LBB55_329
; %bb.328:
	buffer_load_dword v2, off, s[0:3], 0 offset:80
	buffer_load_dword v3, off, s[0:3], 0 offset:84
	v_mov_b32_e32 v1, 0
	buffer_store_dword v1, off, s[0:3], 0 offset:80
	buffer_store_dword v1, off, s[0:3], 0 offset:84
	s_waitcnt vmcnt(2)
	ds_write_b64 v161, v[2:3]
.LBB55_329:
	s_or_b64 exec, exec, s[4:5]
	v_mov_b32_e32 v214, 0
	s_waitcnt lgkmcnt(0)
	; wave barrier
	s_waitcnt lgkmcnt(0)
	ds_read2_b64 v[2:5], v214 offset0:67 offset1:68
	buffer_load_dword v78, off, s[0:3], 0 offset:80
	buffer_load_dword v79, off, s[0:3], 0 offset:84
	;; [unrolled: 1-line block ×16, first 2 shown]
	v_cmp_lt_u32_e32 vcc, 9, v0
	s_waitcnt vmcnt(12) lgkmcnt(0)
	v_mul_f32_e32 v6, v2, v86
	v_fmac_f32_e32 v6, v3, v80
	s_waitcnt vmcnt(10)
	v_mul_f32_e32 v7, v4, v216
	v_add_f32_e32 v6, 0, v6
	v_fmac_f32_e32 v7, v5, v82
	v_add_f32_e32 v10, v6, v7
	ds_read2_b64 v[6:9], v214 offset0:69 offset1:70
	v_mul_f32_e32 v3, v3, v86
	v_fma_f32 v2, v2, v80, -v3
	v_mul_f32_e32 v3, v5, v216
	v_add_f32_e32 v2, 0, v2
	s_waitcnt vmcnt(8) lgkmcnt(0)
	v_mul_f32_e32 v11, v6, v218
	v_fmac_f32_e32 v11, v7, v1
	v_add_f32_e32 v10, v10, v11
	s_waitcnt vmcnt(6)
	v_mul_f32_e32 v11, v8, v220
	v_fmac_f32_e32 v11, v9, v215
	v_add_f32_e32 v14, v10, v11
	ds_read2_b64 v[10:13], v214 offset0:71 offset1:72
	v_fma_f32 v3, v4, v82, -v3
	v_add_f32_e32 v2, v2, v3
	v_mul_f32_e32 v3, v7, v218
	v_fma_f32 v1, v6, v1, -v3
	s_waitcnt vmcnt(4) lgkmcnt(0)
	v_mul_f32_e32 v15, v10, v222
	v_fmac_f32_e32 v15, v11, v217
	v_add_f32_e32 v14, v14, v15
	s_waitcnt vmcnt(2)
	v_mul_f32_e32 v15, v12, v223
	v_fmac_f32_e32 v15, v13, v219
	v_add_f32_e32 v18, v14, v15
	ds_read2_b64 v[14:17], v214 offset0:73 offset1:74
	buffer_load_dword v94, off, s[0:3], 0 offset:144
	buffer_load_dword v95, off, s[0:3], 0 offset:148
	v_add_f32_e32 v1, v2, v1
	v_mul_f32_e32 v2, v9, v220
	v_fma_f32 v2, v8, v215, -v2
	s_waitcnt vmcnt(2) lgkmcnt(0)
	v_mul_f32_e32 v19, v14, v224
	v_fmac_f32_e32 v19, v15, v221
	v_add_f32_e32 v18, v18, v19
	v_add_f32_e32 v1, v1, v2
	v_mul_f32_e32 v2, v11, v222
	v_fma_f32 v2, v10, v217, -v2
	v_add_f32_e32 v1, v1, v2
	v_mul_f32_e32 v2, v13, v223
	v_fma_f32 v2, v12, v219, -v2
	;; [unrolled: 3-line block ×3, first 2 shown]
	v_add_f32_e32 v1, v1, v2
	s_waitcnt vmcnt(0)
	v_mul_f32_e32 v19, v16, v95
	v_fmac_f32_e32 v19, v17, v94
	v_add_f32_e32 v22, v18, v19
	ds_read2_b64 v[18:21], v214 offset0:75 offset1:76
	buffer_load_dword v96, off, s[0:3], 0 offset:152
	buffer_load_dword v97, off, s[0:3], 0 offset:156
	;; [unrolled: 1-line block ×4, first 2 shown]
	v_mul_f32_e32 v2, v17, v95
	v_fma_f32 v2, v16, v94, -v2
	v_add_f32_e32 v1, v1, v2
	s_waitcnt vmcnt(2) lgkmcnt(0)
	v_mul_f32_e32 v23, v18, v97
	v_fmac_f32_e32 v23, v19, v96
	v_add_f32_e32 v22, v22, v23
	s_waitcnt vmcnt(0)
	v_mul_f32_e32 v23, v20, v99
	v_fmac_f32_e32 v23, v21, v98
	v_add_f32_e32 v26, v22, v23
	ds_read2_b64 v[22:25], v214 offset0:77 offset1:78
	buffer_load_dword v100, off, s[0:3], 0 offset:168
	buffer_load_dword v101, off, s[0:3], 0 offset:172
	buffer_load_dword v102, off, s[0:3], 0 offset:176
	buffer_load_dword v103, off, s[0:3], 0 offset:180
	ds_read2_b64 v[30:33], v214 offset0:79 offset1:80
	buffer_load_dword v104, off, s[0:3], 0 offset:184
	buffer_load_dword v105, off, s[0:3], 0 offset:188
	buffer_load_dword v106, off, s[0:3], 0 offset:192
	buffer_load_dword v107, off, s[0:3], 0 offset:196
	;; [unrolled: 5-line block ×13, first 2 shown]
	v_mul_f32_e32 v2, v19, v97
	v_fma_f32 v2, v18, v96, -v2
	v_add_f32_e32 v1, v1, v2
	v_mul_f32_e32 v2, v21, v99
	v_fma_f32 v2, v20, v98, -v2
	v_add_f32_e32 v1, v1, v2
	s_waitcnt vmcnt(50) lgkmcnt(12)
	v_mul_f32_e32 v27, v22, v101
	v_fmac_f32_e32 v27, v23, v100
	v_add_f32_e32 v26, v26, v27
	s_waitcnt vmcnt(48)
	v_mul_f32_e32 v27, v24, v103
	v_fmac_f32_e32 v27, v25, v102
	v_add_f32_e32 v26, v26, v27
	s_waitcnt vmcnt(46) lgkmcnt(11)
	v_mul_f32_e32 v27, v30, v105
	v_fmac_f32_e32 v27, v31, v104
	v_add_f32_e32 v26, v26, v27
	s_waitcnt vmcnt(44)
	v_mul_f32_e32 v27, v32, v107
	v_fmac_f32_e32 v27, v33, v106
	;; [unrolled: 8-line block ×12, first 2 shown]
	v_add_f32_e32 v26, v26, v27
	s_waitcnt vmcnt(2) lgkmcnt(0)
	v_mul_f32_e32 v27, v74, v230
	v_fmac_f32_e32 v27, v75, v229
	v_add_f32_e32 v81, v26, v27
	ds_read2_b64 v[26:29], v214 offset0:103 offset1:104
	buffer_load_dword v233, off, s[0:3], 0 offset:376
	buffer_load_dword v234, off, s[0:3], 0 offset:380
	;; [unrolled: 1-line block ×18, first 2 shown]
	v_mul_f32_e32 v2, v23, v101
	v_fma_f32 v2, v22, v100, -v2
	v_add_f32_e32 v1, v1, v2
	v_mul_f32_e32 v2, v25, v103
	v_fma_f32 v2, v24, v102, -v2
	v_add_f32_e32 v1, v1, v2
	v_mul_f32_e32 v2, v31, v105
	v_fma_f32 v2, v30, v104, -v2
	v_add_f32_e32 v1, v1, v2
	v_mul_f32_e32 v2, v33, v107
	v_fma_f32 v2, v32, v106, -v2
	v_add_f32_e32 v1, v1, v2
	v_mul_f32_e32 v2, v35, v109
	v_fma_f32 v2, v34, v108, -v2
	v_add_f32_e32 v1, v1, v2
	v_mul_f32_e32 v2, v37, v111
	v_fma_f32 v2, v36, v110, -v2
	v_add_f32_e32 v1, v1, v2
	v_mul_f32_e32 v2, v39, v113
	v_fma_f32 v2, v38, v112, -v2
	v_add_f32_e32 v1, v1, v2
	v_mul_f32_e32 v2, v41, v226
	v_fma_f32 v2, v40, v225, -v2
	v_add_f32_e32 v1, v1, v2
	v_mul_f32_e32 v2, v43, v115
	v_fma_f32 v2, v42, v114, -v2
	v_add_f32_e32 v1, v1, v2
	v_mul_f32_e32 v2, v45, v117
	v_fma_f32 v2, v44, v116, -v2
	v_add_f32_e32 v1, v1, v2
	v_mul_f32_e32 v2, v47, v119
	v_fma_f32 v2, v46, v118, -v2
	v_add_f32_e32 v1, v1, v2
	v_mul_f32_e32 v2, v49, v228
	v_fma_f32 v2, v48, v227, -v2
	v_add_f32_e32 v1, v1, v2
	v_mul_f32_e32 v2, v51, v121
	v_fma_f32 v2, v50, v120, -v2
	v_add_f32_e32 v1, v1, v2
	v_mul_f32_e32 v2, v53, v123
	v_fma_f32 v2, v52, v122, -v2
	v_add_f32_e32 v1, v1, v2
	v_mul_f32_e32 v2, v55, v125
	v_fma_f32 v2, v54, v124, -v2
	v_add_f32_e32 v1, v1, v2
	v_mul_f32_e32 v2, v57, v127
	v_fma_f32 v2, v56, v126, -v2
	v_add_f32_e32 v1, v1, v2
	v_mul_f32_e32 v2, v59, v129
	v_fma_f32 v2, v58, v128, -v2
	v_add_f32_e32 v1, v1, v2
	v_mul_f32_e32 v2, v61, v131
	v_fma_f32 v2, v60, v130, -v2
	v_add_f32_e32 v1, v1, v2
	v_mul_f32_e32 v2, v63, v133
	v_fma_f32 v2, v62, v132, -v2
	v_add_f32_e32 v1, v1, v2
	v_mul_f32_e32 v2, v65, v135
	v_fma_f32 v2, v64, v134, -v2
	v_add_f32_e32 v1, v1, v2
	v_mul_f32_e32 v2, v67, v137
	v_fma_f32 v2, v66, v136, -v2
	v_add_f32_e32 v1, v1, v2
	v_mul_f32_e32 v2, v69, v139
	v_fma_f32 v2, v68, v138, -v2
	v_add_f32_e32 v1, v1, v2
	v_mul_f32_e32 v2, v71, v141
	v_fma_f32 v2, v70, v140, -v2
	v_add_f32_e32 v1, v1, v2
	v_mul_f32_e32 v2, v73, v143
	v_fma_f32 v2, v72, v142, -v2
	v_add_f32_e32 v1, v1, v2
	v_mul_f32_e32 v2, v75, v230
	v_fma_f32 v2, v74, v229, -v2
	s_waitcnt vmcnt(15)
	v_mov_b32_e32 v18, v85
	v_mul_f32_e32 v83, v76, v232
	v_add_f32_e32 v80, v1, v2
	v_mul_f32_e32 v1, v77, v232
	s_waitcnt lgkmcnt(0)
	v_pk_mul_f32 v[18:19], v[28:29], v[18:19] op_sel_hi:[1,0]
	v_fmac_f32_e32 v83, v77, v231
	v_mul_f32_e32 v87, v26, v234
	v_fma_f32 v82, v76, v231, -v1
	v_mul_f32_e32 v1, v27, v234
	ds_read2_b64 v[2:5], v214 offset0:105 offset1:106
	ds_read2_b64 v[6:9], v214 offset0:107 offset1:108
	;; [unrolled: 1-line block ×3, first 2 shown]
	ds_read_b64 v[14:15], v214 offset:888
	s_waitcnt vmcnt(14)
	v_pk_fma_f32 v[20:21], v[28:29], v[84:85], v[18:19] op_sel:[0,0,1] op_sel_hi:[1,1,0] neg_lo:[0,0,1] neg_hi:[0,0,1]
	v_pk_fma_f32 v[18:19], v[28:29], v[84:85], v[18:19] op_sel:[0,0,1] op_sel_hi:[1,0,0]
	v_fmac_f32_e32 v87, v27, v233
	v_fma_f32 v86, v26, v233, -v1
	v_pk_add_f32 v[16:17], v[80:81], v[82:83]
	s_waitcnt vmcnt(13)
	v_mov_b32_e32 v18, v213
	v_pk_add_f32 v[16:17], v[16:17], v[86:87]
	v_mov_b32_e32 v21, v19
	s_waitcnt lgkmcnt(3)
	v_pk_mul_f32 v[18:19], v[2:3], v[18:19] op_sel_hi:[1,0]
	v_pk_add_f32 v[16:17], v[16:17], v[20:21]
	s_waitcnt vmcnt(12)
	v_pk_fma_f32 v[20:21], v[2:3], v[212:213], v[18:19] op_sel:[0,0,1] op_sel_hi:[1,1,0] neg_lo:[0,0,1] neg_hi:[0,0,1]
	v_pk_fma_f32 v[2:3], v[2:3], v[212:213], v[18:19] op_sel:[0,0,1] op_sel_hi:[1,0,0]
	v_mov_b32_e32 v21, v3
	v_pk_add_f32 v[2:3], v[16:17], v[20:21]
	s_waitcnt vmcnt(11)
	v_mov_b32_e32 v16, v211
	v_pk_mul_f32 v[16:17], v[4:5], v[16:17] op_sel_hi:[1,0]
	s_waitcnt vmcnt(10)
	v_pk_fma_f32 v[18:19], v[4:5], v[210:211], v[16:17] op_sel:[0,0,1] op_sel_hi:[1,1,0] neg_lo:[0,0,1] neg_hi:[0,0,1]
	v_pk_fma_f32 v[4:5], v[4:5], v[210:211], v[16:17] op_sel:[0,0,1] op_sel_hi:[1,0,0]
	s_waitcnt vmcnt(9)
	v_mov_b32_e32 v4, v209
	v_mov_b32_e32 v19, v5
	s_waitcnt lgkmcnt(2)
	v_pk_mul_f32 v[4:5], v[6:7], v[4:5] op_sel_hi:[1,0]
	s_waitcnt vmcnt(8)
	v_pk_fma_f32 v[16:17], v[6:7], v[208:209], v[4:5] op_sel:[0,0,1] op_sel_hi:[1,1,0] neg_lo:[0,0,1] neg_hi:[0,0,1]
	v_pk_fma_f32 v[4:5], v[6:7], v[208:209], v[4:5] op_sel:[0,0,1] op_sel_hi:[1,0,0]
	s_waitcnt vmcnt(7)
	v_mov_b32_e32 v4, v207
	v_mov_b32_e32 v17, v5
	v_pk_mul_f32 v[4:5], v[8:9], v[4:5] op_sel_hi:[1,0]
	s_waitcnt vmcnt(6)
	v_pk_fma_f32 v[6:7], v[8:9], v[206:207], v[4:5] op_sel:[0,0,1] op_sel_hi:[1,1,0] neg_lo:[0,0,1] neg_hi:[0,0,1]
	v_pk_fma_f32 v[4:5], v[8:9], v[206:207], v[4:5] op_sel:[0,0,1] op_sel_hi:[1,0,0]
	v_pk_add_f32 v[2:3], v[2:3], v[18:19]
	s_waitcnt vmcnt(5)
	v_mov_b32_e32 v4, v93
	v_pk_add_f32 v[2:3], v[2:3], v[16:17]
	v_mov_b32_e32 v7, v5
	s_waitcnt lgkmcnt(1)
	v_pk_mul_f32 v[4:5], v[10:11], v[4:5] op_sel_hi:[1,0]
	v_pk_add_f32 v[2:3], v[2:3], v[6:7]
	s_waitcnt vmcnt(4)
	v_pk_fma_f32 v[6:7], v[10:11], v[92:93], v[4:5] op_sel:[0,0,1] op_sel_hi:[1,1,0] neg_lo:[0,0,1] neg_hi:[0,0,1]
	v_pk_fma_f32 v[4:5], v[10:11], v[92:93], v[4:5] op_sel:[0,0,1] op_sel_hi:[1,0,0]
	s_waitcnt vmcnt(3)
	v_mov_b32_e32 v4, v91
	v_mov_b32_e32 v7, v5
	v_pk_mul_f32 v[4:5], v[12:13], v[4:5] op_sel_hi:[1,0]
	v_pk_add_f32 v[2:3], v[2:3], v[6:7]
	s_waitcnt vmcnt(2)
	v_pk_fma_f32 v[6:7], v[12:13], v[90:91], v[4:5] op_sel:[0,0,1] op_sel_hi:[1,1,0] neg_lo:[0,0,1] neg_hi:[0,0,1]
	v_pk_fma_f32 v[4:5], v[12:13], v[90:91], v[4:5] op_sel:[0,0,1] op_sel_hi:[1,0,0]
	s_waitcnt vmcnt(1)
	v_mov_b32_e32 v4, v89
	v_mov_b32_e32 v7, v5
	s_waitcnt lgkmcnt(0)
	v_pk_mul_f32 v[4:5], v[14:15], v[4:5] op_sel_hi:[1,0]
	v_pk_add_f32 v[2:3], v[2:3], v[6:7]
	s_waitcnt vmcnt(0)
	v_pk_fma_f32 v[6:7], v[14:15], v[88:89], v[4:5] op_sel:[0,0,1] op_sel_hi:[1,1,0] neg_lo:[0,0,1] neg_hi:[0,0,1]
	v_pk_fma_f32 v[4:5], v[14:15], v[88:89], v[4:5] op_sel:[0,0,1] op_sel_hi:[1,0,0]
	v_mov_b32_e32 v7, v5
	v_pk_add_f32 v[2:3], v[2:3], v[6:7]
	v_pk_add_f32 v[2:3], v[78:79], v[2:3] neg_lo:[0,1] neg_hi:[0,1]
	buffer_store_dword v3, off, s[0:3], 0 offset:84
	buffer_store_dword v2, off, s[0:3], 0 offset:80
	s_and_saveexec_b64 s[4:5], vcc
	s_cbranch_execz .LBB55_331
; %bb.330:
	buffer_load_dword v2, off, s[0:3], 0 offset:72
	buffer_load_dword v3, off, s[0:3], 0 offset:76
	s_waitcnt vmcnt(0)
	ds_write_b64 v161, v[2:3]
	buffer_store_dword v214, off, s[0:3], 0 offset:72
	buffer_store_dword v214, off, s[0:3], 0 offset:76
.LBB55_331:
	s_or_b64 exec, exec, s[4:5]
	s_waitcnt lgkmcnt(0)
	; wave barrier
	s_waitcnt lgkmcnt(0)
	buffer_load_dword v1, off, s[0:3], 0 offset:84
	buffer_load_dword v86, off, s[0:3], 0 offset:92
	buffer_load_dword v88, off, s[0:3], 0 offset:108
	buffer_load_dword v90, off, s[0:3], 0 offset:116
	buffer_load_dword v106, off, s[0:3], 0 offset:124
	buffer_load_dword v107, off, s[0:3], 0 offset:100
	buffer_load_dword v108, off, s[0:3], 0 offset:132
	buffer_load_dword v109, off, s[0:3], 0 offset:140
	buffer_load_dword v110, off, s[0:3], 0 offset:148
	buffer_load_dword v111, off, s[0:3], 0 offset:156
	buffer_load_dword v112, off, s[0:3], 0 offset:96
	buffer_load_dword v113, off, s[0:3], 0 offset:88
	buffer_load_dword v114, off, s[0:3], 0 offset:80
	buffer_load_dword v115, off, s[0:3], 0 offset:128
	buffer_load_dword v116, off, s[0:3], 0 offset:120
	buffer_load_dword v117, off, s[0:3], 0 offset:112
	buffer_load_dword v118, off, s[0:3], 0 offset:104
	buffer_load_dword v119, off, s[0:3], 0 offset:160
	buffer_load_dword v120, off, s[0:3], 0 offset:152
	buffer_load_dword v121, off, s[0:3], 0 offset:144
	buffer_load_dword v122, off, s[0:3], 0 offset:136
	buffer_load_dword v123, off, s[0:3], 0 offset:164
	buffer_load_dword v124, off, s[0:3], 0 offset:172
	buffer_load_dword v125, off, s[0:3], 0 offset:176
	buffer_load_dword v126, off, s[0:3], 0 offset:180
	buffer_load_dword v127, off, s[0:3], 0 offset:184
	buffer_load_dword v128, off, s[0:3], 0 offset:188
	buffer_load_dword v129, off, s[0:3], 0 offset:192
	buffer_load_dword v130, off, s[0:3], 0 offset:196
	buffer_load_dword v131, off, s[0:3], 0 offset:168
	buffer_load_dword v26, off, s[0:3], 0 offset:72
	buffer_load_dword v27, off, s[0:3], 0 offset:76
	ds_read_b128 v[22:25], v214 offset:528
	ds_read_b128 v[18:21], v214 offset:544
	;; [unrolled: 1-line block ×6, first 2 shown]
	buffer_load_dword v132, off, s[0:3], 0 offset:200
	buffer_load_dword v133, off, s[0:3], 0 offset:204
	;; [unrolled: 1-line block ×32, first 2 shown]
	v_cmp_lt_u32_e32 vcc, 8, v0
	s_waitcnt vmcnt(62) lgkmcnt(5)
	v_mul_f32_e32 v28, v22, v1
	v_mul_f32_e32 v29, v24, v86
	s_waitcnt vmcnt(61) lgkmcnt(4)
	v_mul_f32_e32 v31, v20, v88
	s_waitcnt vmcnt(60) lgkmcnt(3)
	v_mul_f32_e32 v32, v14, v90
	s_waitcnt vmcnt(59)
	v_mul_f32_e32 v33, v16, v106
	s_waitcnt vmcnt(58)
	v_mul_f32_e32 v30, v18, v107
	s_waitcnt vmcnt(57) lgkmcnt(2)
	v_mul_f32_e32 v34, v10, v108
	s_waitcnt vmcnt(56)
	v_mul_f32_e32 v35, v12, v109
	s_waitcnt vmcnt(55) lgkmcnt(1)
	v_mul_f32_e32 v36, v6, v110
	s_waitcnt vmcnt(54)
	v_mul_f32_e32 v37, v8, v111
	s_waitcnt vmcnt(53)
	v_fmac_f32_e32 v30, v19, v112
	s_waitcnt vmcnt(52)
	v_fmac_f32_e32 v29, v25, v113
	;; [unrolled: 2-line block ×3, first 2 shown]
	v_add_f32_e32 v28, 0, v28
	v_add_f32_e32 v28, v28, v29
	;; [unrolled: 1-line block ×3, first 2 shown]
	s_waitcnt vmcnt(47)
	v_fmac_f32_e32 v31, v21, v118
	v_fmac_f32_e32 v32, v15, v117
	v_add_f32_e32 v28, v28, v31
	v_fmac_f32_e32 v33, v17, v116
	v_add_f32_e32 v28, v28, v32
	;; [unrolled: 2-line block ×3, first 2 shown]
	s_waitcnt vmcnt(43)
	v_fmac_f32_e32 v35, v13, v122
	v_add_f32_e32 v28, v28, v34
	v_fmac_f32_e32 v36, v7, v121
	v_add_f32_e32 v28, v28, v35
	;; [unrolled: 2-line block ×3, first 2 shown]
	s_waitcnt vmcnt(42) lgkmcnt(0)
	v_mul_f32_e32 v29, v2, v123
	v_add_f32_e32 v28, v28, v37
	v_fmac_f32_e32 v29, v3, v119
	v_add_f32_e32 v32, v28, v29
	ds_read_b128 v[28:31], v214 offset:624
	buffer_load_dword v227, off, s[0:3], 0 offset:328
	buffer_load_dword v228, off, s[0:3], 0 offset:332
	s_waitcnt vmcnt(43)
	v_mul_f32_e32 v33, v4, v124
	s_waitcnt vmcnt(36)
	v_fmac_f32_e32 v33, v5, v131
	v_add_f32_e32 v36, v32, v33
	ds_read_b128 v[32:35], v214 offset:640
	buffer_load_dword v229, off, s[0:3], 0 offset:336
	buffer_load_dword v230, off, s[0:3], 0 offset:340
	;; [unrolled: 1-line block ×8, first 2 shown]
	s_waitcnt lgkmcnt(1)
	v_mul_f32_e32 v37, v28, v126
	v_fmac_f32_e32 v37, v29, v125
	v_add_f32_e32 v36, v36, v37
	v_mul_f32_e32 v37, v30, v128
	v_fmac_f32_e32 v37, v31, v127
	v_add_f32_e32 v36, v36, v37
	s_waitcnt lgkmcnt(0)
	v_mul_f32_e32 v37, v32, v130
	v_fmac_f32_e32 v37, v33, v129
	v_add_f32_e32 v40, v36, v37
	buffer_load_dword v237, off, s[0:3], 0 offset:368
	buffer_load_dword v238, off, s[0:3], 0 offset:372
	;; [unrolled: 1-line block ×4, first 2 shown]
	ds_read_b128 v[36:39], v214 offset:656
	s_waitcnt vmcnt(44)
	v_mul_f32_e32 v41, v34, v133
	v_fmac_f32_e32 v41, v35, v132
	v_add_f32_e32 v44, v40, v41
	ds_read_b128 v[40:43], v214 offset:672
	s_waitcnt vmcnt(42) lgkmcnt(1)
	v_mul_f32_e32 v45, v36, v135
	v_fmac_f32_e32 v45, v37, v134
	v_add_f32_e32 v44, v44, v45
	s_waitcnt vmcnt(40)
	v_mul_f32_e32 v45, v38, v137
	v_fmac_f32_e32 v45, v39, v136
	v_add_f32_e32 v44, v44, v45
	s_waitcnt vmcnt(38) lgkmcnt(0)
	v_mul_f32_e32 v45, v40, v139
	v_fmac_f32_e32 v45, v41, v138
	v_add_f32_e32 v48, v44, v45
	ds_read_b128 v[44:47], v214 offset:688
	s_waitcnt vmcnt(36)
	v_mul_f32_e32 v49, v42, v141
	v_fmac_f32_e32 v49, v43, v140
	v_add_f32_e32 v52, v48, v49
	ds_read_b128 v[48:51], v214 offset:704
	s_waitcnt vmcnt(34) lgkmcnt(1)
	v_mul_f32_e32 v53, v44, v143
	v_fmac_f32_e32 v53, v45, v142
	v_add_f32_e32 v52, v52, v53
	s_waitcnt vmcnt(32)
	v_mul_f32_e32 v53, v46, v207
	v_fmac_f32_e32 v53, v47, v206
	v_add_f32_e32 v52, v52, v53
	s_waitcnt vmcnt(30) lgkmcnt(0)
	v_mul_f32_e32 v53, v48, v209
	v_fmac_f32_e32 v53, v49, v208
	v_add_f32_e32 v56, v52, v53
	;; [unrolled: 18-line block ×4, first 2 shown]
	ds_read_b128 v[68:71], v214 offset:784
	v_mul_f32_e32 v1, v23, v1
	v_fma_f32 v1, v22, v114, -v1
	v_mul_f32_e32 v22, v25, v86
	v_add_f32_e32 v1, 0, v1
	s_waitcnt vmcnt(12)
	v_mul_f32_e32 v73, v66, v228
	v_fmac_f32_e32 v73, v67, v227
	v_add_f32_e32 v76, v72, v73
	ds_read_b128 v[72:75], v214 offset:800
	buffer_load_dword v85, off, s[0:3], 0 offset:388
	buffer_load_dword v84, off, s[0:3], 0 offset:384
	s_waitcnt vmcnt(12) lgkmcnt(1)
	v_mul_f32_e32 v77, v68, v230
	v_fmac_f32_e32 v77, v69, v229
	v_add_f32_e32 v76, v76, v77
	s_waitcnt vmcnt(10)
	v_mul_f32_e32 v77, v70, v232
	v_fmac_f32_e32 v77, v71, v231
	v_add_f32_e32 v76, v76, v77
	s_waitcnt vmcnt(8) lgkmcnt(0)
	v_mul_f32_e32 v77, v72, v234
	v_fmac_f32_e32 v77, v73, v233
	s_waitcnt vmcnt(6)
	v_mul_f32_e32 v81, v74, v236
	v_add_f32_e32 v80, v76, v77
	v_fmac_f32_e32 v81, v75, v235
	ds_read_b128 v[76:79], v214 offset:816
	v_add_f32_e32 v87, v80, v81
	ds_read_b128 v[80:83], v214 offset:832
	buffer_load_dword v93, off, s[0:3], 0 offset:420
	buffer_load_dword v92, off, s[0:3], 0 offset:416
	;; [unrolled: 1-line block ×14, first 2 shown]
	v_fma_f32 v22, v24, v113, -v22
	v_mul_f32_e32 v19, v19, v107
	v_add_f32_e32 v1, v1, v22
	v_fma_f32 v18, v18, v112, -v19
	v_add_f32_e32 v1, v1, v18
	v_mul_f32_e32 v18, v21, v88
	v_fma_f32 v18, v20, v118, -v18
	v_mul_f32_e32 v15, v15, v90
	v_add_f32_e32 v1, v1, v18
	v_fma_f32 v14, v14, v117, -v15
	v_add_f32_e32 v1, v1, v14
	v_mul_f32_e32 v14, v17, v106
	;; [unrolled: 6-line block ×5, first 2 shown]
	v_fma_f32 v2, v4, v131, -v2
	v_add_f32_e32 v1, v1, v2
	v_mul_f32_e32 v2, v29, v126
	v_fma_f32 v2, v28, v125, -v2
	v_add_f32_e32 v1, v1, v2
	v_mul_f32_e32 v2, v31, v128
	;; [unrolled: 3-line block ×24, first 2 shown]
	v_fma_f32 v2, v74, v235, -v2
	s_waitcnt vmcnt(15)
	v_mov_b32_e32 v16, v85
	s_waitcnt lgkmcnt(1)
	v_mul_f32_e32 v89, v76, v238
	v_add_f32_e32 v86, v1, v2
	v_mul_f32_e32 v1, v77, v238
	s_waitcnt lgkmcnt(0)
	v_pk_mul_f32 v[16:17], v[80:81], v[16:17] op_sel_hi:[1,0]
	v_fmac_f32_e32 v89, v77, v237
	v_mul_f32_e32 v91, v78, v240
	v_fma_f32 v88, v76, v237, -v1
	v_mul_f32_e32 v1, v79, v240
	s_waitcnt vmcnt(14)
	v_pk_fma_f32 v[18:19], v[80:81], v[84:85], v[16:17] op_sel:[0,0,1] op_sel_hi:[1,1,0] neg_lo:[0,0,1] neg_hi:[0,0,1]
	v_pk_fma_f32 v[16:17], v[80:81], v[84:85], v[16:17] op_sel:[0,0,1] op_sel_hi:[1,0,0]
	v_fmac_f32_e32 v91, v79, v239
	v_fma_f32 v90, v78, v239, -v1
	v_pk_add_f32 v[14:15], v[86:87], v[88:89]
	s_waitcnt vmcnt(7)
	v_mov_b32_e32 v16, v99
	ds_read_b128 v[2:5], v214 offset:848
	ds_read_b128 v[6:9], v214 offset:864
	;; [unrolled: 1-line block ×3, first 2 shown]
	v_pk_add_f32 v[14:15], v[14:15], v[90:91]
	v_mov_b32_e32 v19, v17
	v_pk_mul_f32 v[16:17], v[82:83], v[16:17] op_sel_hi:[1,0]
	v_pk_add_f32 v[14:15], v[14:15], v[18:19]
	s_waitcnt vmcnt(6)
	v_pk_fma_f32 v[18:19], v[82:83], v[98:99], v[16:17] op_sel:[0,0,1] op_sel_hi:[1,1,0] neg_lo:[0,0,1] neg_hi:[0,0,1]
	v_pk_fma_f32 v[16:17], v[82:83], v[98:99], v[16:17] op_sel:[0,0,1] op_sel_hi:[1,0,0]
	v_mov_b32_e32 v16, v97
	v_mov_b32_e32 v19, v17
	s_waitcnt lgkmcnt(2)
	v_pk_mul_f32 v[16:17], v[2:3], v[16:17] op_sel_hi:[1,0]
	v_pk_add_f32 v[14:15], v[14:15], v[18:19]
	v_pk_fma_f32 v[18:19], v[2:3], v[96:97], v[16:17] op_sel:[0,0,1] op_sel_hi:[1,1,0] neg_lo:[0,0,1] neg_hi:[0,0,1]
	v_pk_fma_f32 v[2:3], v[2:3], v[96:97], v[16:17] op_sel:[0,0,1] op_sel_hi:[1,0,0]
	v_mov_b32_e32 v19, v3
	v_pk_add_f32 v[2:3], v[14:15], v[18:19]
	v_mov_b32_e32 v14, v95
	v_pk_mul_f32 v[14:15], v[4:5], v[14:15] op_sel_hi:[1,0]
	v_pk_fma_f32 v[16:17], v[4:5], v[94:95], v[14:15] op_sel:[0,0,1] op_sel_hi:[1,1,0] neg_lo:[0,0,1] neg_hi:[0,0,1]
	v_pk_fma_f32 v[4:5], v[4:5], v[94:95], v[14:15] op_sel:[0,0,1] op_sel_hi:[1,0,0]
	v_mov_b32_e32 v4, v93
	v_mov_b32_e32 v17, v5
	s_waitcnt lgkmcnt(1)
	v_pk_mul_f32 v[4:5], v[6:7], v[4:5] op_sel_hi:[1,0]
	v_pk_fma_f32 v[14:15], v[6:7], v[92:93], v[4:5] op_sel:[0,0,1] op_sel_hi:[1,1,0] neg_lo:[0,0,1] neg_hi:[0,0,1]
	v_pk_fma_f32 v[4:5], v[6:7], v[92:93], v[4:5] op_sel:[0,0,1] op_sel_hi:[1,0,0]
	s_waitcnt vmcnt(1)
	v_mov_b32_e32 v4, v105
	v_mov_b32_e32 v15, v5
	v_pk_mul_f32 v[4:5], v[8:9], v[4:5] op_sel_hi:[1,0]
	s_waitcnt vmcnt(0)
	v_pk_fma_f32 v[6:7], v[8:9], v[104:105], v[4:5] op_sel:[0,0,1] op_sel_hi:[1,1,0] neg_lo:[0,0,1] neg_hi:[0,0,1]
	v_pk_fma_f32 v[4:5], v[8:9], v[104:105], v[4:5] op_sel:[0,0,1] op_sel_hi:[1,0,0]
	v_pk_add_f32 v[2:3], v[2:3], v[16:17]
	v_mov_b32_e32 v4, v103
	v_pk_add_f32 v[2:3], v[2:3], v[14:15]
	v_mov_b32_e32 v7, v5
	s_waitcnt lgkmcnt(0)
	v_pk_mul_f32 v[4:5], v[10:11], v[4:5] op_sel_hi:[1,0]
	v_pk_add_f32 v[2:3], v[2:3], v[6:7]
	v_pk_fma_f32 v[6:7], v[10:11], v[102:103], v[4:5] op_sel:[0,0,1] op_sel_hi:[1,1,0] neg_lo:[0,0,1] neg_hi:[0,0,1]
	v_pk_fma_f32 v[4:5], v[10:11], v[102:103], v[4:5] op_sel:[0,0,1] op_sel_hi:[1,0,0]
	v_mov_b32_e32 v4, v101
	v_mov_b32_e32 v7, v5
	v_pk_mul_f32 v[4:5], v[12:13], v[4:5] op_sel_hi:[1,0]
	v_pk_add_f32 v[2:3], v[2:3], v[6:7]
	v_pk_fma_f32 v[6:7], v[12:13], v[100:101], v[4:5] op_sel:[0,0,1] op_sel_hi:[1,1,0] neg_lo:[0,0,1] neg_hi:[0,0,1]
	v_pk_fma_f32 v[4:5], v[12:13], v[100:101], v[4:5] op_sel:[0,0,1] op_sel_hi:[1,0,0]
	v_mov_b32_e32 v7, v5
	v_pk_add_f32 v[2:3], v[2:3], v[6:7]
	v_pk_add_f32 v[2:3], v[26:27], v[2:3] neg_lo:[0,1] neg_hi:[0,1]
	buffer_store_dword v3, off, s[0:3], 0 offset:76
	buffer_store_dword v2, off, s[0:3], 0 offset:72
	s_and_saveexec_b64 s[4:5], vcc
	s_cbranch_execz .LBB55_333
; %bb.332:
	buffer_load_dword v2, off, s[0:3], 0 offset:64
	buffer_load_dword v3, off, s[0:3], 0 offset:68
	v_mov_b32_e32 v1, 0
	buffer_store_dword v1, off, s[0:3], 0 offset:64
	buffer_store_dword v1, off, s[0:3], 0 offset:68
	s_waitcnt vmcnt(2)
	ds_write_b64 v161, v[2:3]
.LBB55_333:
	s_or_b64 exec, exec, s[4:5]
	s_waitcnt lgkmcnt(0)
	; wave barrier
	s_waitcnt lgkmcnt(0)
	buffer_load_dword v32, off, s[0:3], 0 offset:76
	buffer_load_dword v31, off, s[0:3], 0 offset:84
	;; [unrolled: 1-line block ×48, first 2 shown]
	v_mov_b32_e32 v36, 0
	ds_read2_b64 v[22:25], v36 offset0:65 offset1:66
	ds_read2_b64 v[18:21], v36 offset0:67 offset1:68
	;; [unrolled: 1-line block ×6, first 2 shown]
	buffer_load_dword v211, off, s[0:3], 0 offset:256
	buffer_load_dword v212, off, s[0:3], 0 offset:260
	;; [unrolled: 1-line block ×12, first 2 shown]
	v_cmp_lt_u32_e32 vcc, 7, v0
	s_waitcnt vmcnt(59) lgkmcnt(5)
	v_mul_f32_e32 v35, v22, v32
	s_waitcnt vmcnt(58)
	v_mul_f32_e32 v38, v24, v31
	s_waitcnt vmcnt(57) lgkmcnt(4)
	v_mul_f32_e32 v40, v20, v30
	s_waitcnt vmcnt(56) lgkmcnt(3)
	v_mul_f32_e32 v41, v14, v29
	s_waitcnt vmcnt(55)
	v_mul_f32_e32 v42, v16, v1
	s_waitcnt vmcnt(54)
	v_mul_f32_e32 v39, v18, v33
	s_waitcnt vmcnt(53) lgkmcnt(2)
	v_mul_f32_e32 v43, v10, v28
	s_waitcnt vmcnt(52)
	v_mul_f32_e32 v44, v12, v34
	s_waitcnt vmcnt(51) lgkmcnt(1)
	v_mul_f32_e32 v45, v6, v37
	s_waitcnt vmcnt(50)
	v_mul_f32_e32 v46, v8, v94
	s_waitcnt vmcnt(49)
	v_fmac_f32_e32 v39, v19, v96
	s_waitcnt vmcnt(48)
	v_fmac_f32_e32 v38, v25, v114
	;; [unrolled: 2-line block ×3, first 2 shown]
	v_add_f32_e32 v35, 0, v35
	v_add_f32_e32 v35, v35, v38
	;; [unrolled: 1-line block ×3, first 2 shown]
	s_waitcnt vmcnt(43)
	v_fmac_f32_e32 v40, v21, v119
	v_fmac_f32_e32 v41, v15, v118
	v_add_f32_e32 v35, v35, v40
	v_fmac_f32_e32 v42, v17, v117
	v_add_f32_e32 v35, v35, v41
	;; [unrolled: 2-line block ×3, first 2 shown]
	s_waitcnt vmcnt(39)
	v_fmac_f32_e32 v44, v13, v123
	v_add_f32_e32 v35, v35, v43
	v_fmac_f32_e32 v45, v7, v122
	v_add_f32_e32 v35, v35, v44
	v_fmac_f32_e32 v46, v9, v121
	v_add_f32_e32 v35, v35, v45
	s_waitcnt vmcnt(38) lgkmcnt(0)
	v_mul_f32_e32 v38, v2, v124
	v_add_f32_e32 v35, v35, v46
	v_fmac_f32_e32 v38, v3, v120
	v_add_f32_e32 v35, v35, v38
	ds_read2_b64 v[38:41], v36 offset0:77 offset1:78
	buffer_load_dword v223, off, s[0:3], 0 offset:304
	buffer_load_dword v224, off, s[0:3], 0 offset:308
	;; [unrolled: 1-line block ×4, first 2 shown]
	s_waitcnt vmcnt(35)
	v_mul_f32_e32 v42, v4, v131
	s_waitcnt vmcnt(34)
	v_fmac_f32_e32 v42, v5, v132
	v_add_f32_e32 v35, v35, v42
	ds_read2_b64 v[42:45], v36 offset0:79 offset1:80
	buffer_load_dword v227, off, s[0:3], 0 offset:320
	buffer_load_dword v228, off, s[0:3], 0 offset:324
	;; [unrolled: 1-line block ×10, first 2 shown]
	s_waitcnt lgkmcnt(1)
	v_mul_f32_e32 v46, v38, v126
	v_fmac_f32_e32 v46, v39, v125
	v_add_f32_e32 v35, v35, v46
	v_mul_f32_e32 v46, v40, v128
	v_fmac_f32_e32 v46, v41, v127
	v_add_f32_e32 v35, v35, v46
	s_waitcnt lgkmcnt(0)
	v_mul_f32_e32 v46, v42, v130
	v_fmac_f32_e32 v46, v43, v129
	v_add_f32_e32 v35, v35, v46
	buffer_load_dword v237, off, s[0:3], 0 offset:360
	buffer_load_dword v238, off, s[0:3], 0 offset:364
	buffer_load_dword v239, off, s[0:3], 0 offset:368
	buffer_load_dword v240, off, s[0:3], 0 offset:372
	buffer_load_dword v241, off, s[0:3], 0 offset:376
	buffer_load_dword v242, off, s[0:3], 0 offset:380
	ds_read2_b64 v[46:49], v36 offset0:81 offset1:82
	s_waitcnt vmcnt(46)
	v_mul_f32_e32 v50, v44, v134
	v_fmac_f32_e32 v50, v45, v133
	v_add_f32_e32 v35, v35, v50
	ds_read2_b64 v[50:53], v36 offset0:83 offset1:84
	s_waitcnt vmcnt(44) lgkmcnt(1)
	v_mul_f32_e32 v54, v46, v136
	v_fmac_f32_e32 v54, v47, v135
	v_add_f32_e32 v35, v35, v54
	s_waitcnt vmcnt(42)
	v_mul_f32_e32 v54, v48, v138
	v_fmac_f32_e32 v54, v49, v137
	v_add_f32_e32 v35, v35, v54
	s_waitcnt vmcnt(40) lgkmcnt(0)
	v_mul_f32_e32 v54, v50, v140
	v_fmac_f32_e32 v54, v51, v139
	v_add_f32_e32 v35, v35, v54
	ds_read2_b64 v[54:57], v36 offset0:85 offset1:86
	s_waitcnt vmcnt(38)
	v_mul_f32_e32 v58, v52, v142
	v_fmac_f32_e32 v58, v53, v141
	v_add_f32_e32 v35, v35, v58
	ds_read2_b64 v[58:61], v36 offset0:87 offset1:88
	s_waitcnt vmcnt(36) lgkmcnt(1)
	v_mul_f32_e32 v62, v54, v206
	v_fmac_f32_e32 v62, v55, v143
	v_add_f32_e32 v35, v35, v62
	s_waitcnt vmcnt(34)
	v_mul_f32_e32 v62, v56, v208
	v_fmac_f32_e32 v62, v57, v207
	v_add_f32_e32 v35, v35, v62
	s_waitcnt vmcnt(32) lgkmcnt(0)
	v_mul_f32_e32 v62, v58, v210
	v_fmac_f32_e32 v62, v59, v209
	v_add_f32_e32 v35, v35, v62
	ds_read2_b64 v[62:65], v36 offset0:89 offset1:90
	s_waitcnt vmcnt(30)
	v_mul_f32_e32 v66, v60, v212
	v_fmac_f32_e32 v66, v61, v211
	v_add_f32_e32 v35, v35, v66
	ds_read2_b64 v[66:69], v36 offset0:91 offset1:92
	s_waitcnt vmcnt(28) lgkmcnt(1)
	v_mul_f32_e32 v70, v62, v214
	v_fmac_f32_e32 v70, v63, v213
	v_add_f32_e32 v35, v35, v70
	s_waitcnt vmcnt(26)
	v_mul_f32_e32 v70, v64, v216
	v_fmac_f32_e32 v70, v65, v215
	v_add_f32_e32 v35, v35, v70
	s_waitcnt vmcnt(24) lgkmcnt(0)
	v_mul_f32_e32 v70, v66, v218
	v_fmac_f32_e32 v70, v67, v217
	v_add_f32_e32 v35, v35, v70
	ds_read2_b64 v[70:73], v36 offset0:93 offset1:94
	s_waitcnt vmcnt(22)
	v_mul_f32_e32 v74, v68, v220
	v_fmac_f32_e32 v74, v69, v219
	v_add_f32_e32 v35, v35, v74
	ds_read2_b64 v[74:77], v36 offset0:95 offset1:96
	s_waitcnt vmcnt(20) lgkmcnt(1)
	v_mul_f32_e32 v78, v70, v222
	v_fmac_f32_e32 v78, v71, v221
	v_add_f32_e32 v35, v35, v78
	v_mul_f32_e32 v23, v23, v32
	v_fma_f32 v22, v22, v115, -v23
	v_mul_f32_e32 v23, v25, v31
	v_add_f32_e32 v22, 0, v22
	v_fma_f32 v23, v24, v114, -v23
	v_mul_f32_e32 v19, v19, v33
	v_add_f32_e32 v22, v22, v23
	v_fma_f32 v18, v18, v96, -v19
	v_mul_f32_e32 v19, v21, v30
	s_waitcnt vmcnt(18)
	v_mul_f32_e32 v78, v72, v224
	v_fmac_f32_e32 v78, v73, v223
	v_add_f32_e32 v35, v35, v78
	s_waitcnt vmcnt(16) lgkmcnt(0)
	v_mul_f32_e32 v78, v74, v226
	v_fmac_f32_e32 v78, v75, v225
	v_add_f32_e32 v35, v35, v78
	ds_read2_b64 v[78:81], v36 offset0:97 offset1:98
	s_waitcnt vmcnt(14)
	v_mul_f32_e32 v82, v76, v228
	v_fmac_f32_e32 v82, v77, v227
	v_add_f32_e32 v35, v35, v82
	ds_read2_b64 v[82:85], v36 offset0:99 offset1:100
	s_waitcnt vmcnt(12) lgkmcnt(1)
	v_mul_f32_e32 v86, v78, v230
	v_fmac_f32_e32 v86, v79, v229
	v_add_f32_e32 v35, v35, v86
	s_waitcnt vmcnt(10)
	v_mul_f32_e32 v86, v80, v232
	v_fmac_f32_e32 v86, v81, v231
	v_add_f32_e32 v35, v35, v86
	s_waitcnt vmcnt(8) lgkmcnt(0)
	v_mul_f32_e32 v86, v82, v234
	v_fmac_f32_e32 v86, v83, v233
	s_waitcnt vmcnt(6)
	v_mul_f32_e32 v90, v84, v236
	v_add_f32_e32 v35, v35, v86
	v_fmac_f32_e32 v90, v85, v235
	ds_read2_b64 v[86:89], v36 offset0:101 offset1:102
	v_add_f32_e32 v35, v35, v90
	ds_read2_b64 v[90:93], v36 offset0:103 offset1:104
	buffer_load_dword v99, off, s[0:3], 0 offset:412
	buffer_load_dword v98, off, s[0:3], 0 offset:408
	;; [unrolled: 1-line block ×16, first 2 shown]
	v_add_f32_e32 v18, v22, v18
	v_fma_f32 v19, v20, v119, -v19
	v_mul_f32_e32 v15, v15, v29
	v_add_f32_e32 v18, v18, v19
	v_fma_f32 v14, v14, v118, -v15
	v_mul_f32_e32 v1, v17, v1
	v_add_f32_e32 v14, v18, v14
	v_fma_f32 v1, v16, v117, -v1
	v_mul_f32_e32 v11, v11, v28
	v_add_f32_e32 v1, v14, v1
	v_fma_f32 v10, v10, v116, -v11
	v_add_f32_e32 v1, v1, v10
	v_mul_f32_e32 v10, v13, v34
	v_fma_f32 v10, v12, v123, -v10
	v_mul_f32_e32 v7, v7, v37
	v_add_f32_e32 v1, v1, v10
	v_fma_f32 v6, v6, v122, -v7
	v_add_f32_e32 v1, v1, v6
	v_mul_f32_e32 v6, v9, v94
	v_fma_f32 v6, v8, v121, -v6
	v_mul_f32_e32 v3, v3, v124
	v_add_f32_e32 v1, v1, v6
	v_fma_f32 v2, v2, v120, -v3
	v_add_f32_e32 v1, v1, v2
	v_mul_f32_e32 v2, v5, v131
	v_fma_f32 v2, v4, v132, -v2
	v_add_f32_e32 v1, v1, v2
	v_mul_f32_e32 v2, v39, v126
	;; [unrolled: 3-line block ×25, first 2 shown]
	v_fma_f32 v2, v84, v235, -v2
	s_waitcnt vmcnt(20) lgkmcnt(1)
	v_mul_f32_e32 v95, v86, v238
	v_add_f32_e32 v1, v1, v2
	v_mul_f32_e32 v2, v87, v238
	v_fmac_f32_e32 v95, v87, v237
	v_fma_f32 v2, v86, v237, -v2
	s_waitcnt vmcnt(9)
	v_mov_b32_e32 v18, v105
	v_add_f32_e32 v35, v35, v95
	v_mul_f32_e32 v95, v88, v240
	v_add_f32_e32 v34, v1, v2
	v_mul_f32_e32 v1, v89, v240
	s_waitcnt lgkmcnt(0)
	v_pk_mul_f32 v[18:19], v[92:93], v[18:19] op_sel_hi:[1,0]
	v_fmac_f32_e32 v95, v89, v239
	v_mul_f32_e32 v97, v90, v242
	v_fma_f32 v94, v88, v239, -v1
	v_mul_f32_e32 v1, v91, v242
	ds_read2_b64 v[2:5], v36 offset0:105 offset1:106
	ds_read2_b64 v[6:9], v36 offset0:107 offset1:108
	;; [unrolled: 1-line block ×3, first 2 shown]
	ds_read_b64 v[14:15], v36 offset:888
	s_waitcnt vmcnt(8)
	v_pk_fma_f32 v[20:21], v[92:93], v[104:105], v[18:19] op_sel:[0,0,1] op_sel_hi:[1,1,0] neg_lo:[0,0,1] neg_hi:[0,0,1]
	v_pk_fma_f32 v[18:19], v[92:93], v[104:105], v[18:19] op_sel:[0,0,1] op_sel_hi:[1,0,0]
	v_fmac_f32_e32 v97, v91, v241
	v_fma_f32 v96, v90, v241, -v1
	v_pk_add_f32 v[16:17], v[34:35], v[94:95]
	v_mov_b32_e32 v18, v103
	v_pk_add_f32 v[16:17], v[16:17], v[96:97]
	v_mov_b32_e32 v21, v19
	s_waitcnt lgkmcnt(3)
	v_pk_mul_f32 v[18:19], v[2:3], v[18:19] op_sel_hi:[1,0]
	v_pk_add_f32 v[16:17], v[16:17], v[20:21]
	v_pk_fma_f32 v[20:21], v[2:3], v[102:103], v[18:19] op_sel:[0,0,1] op_sel_hi:[1,1,0] neg_lo:[0,0,1] neg_hi:[0,0,1]
	v_pk_fma_f32 v[2:3], v[2:3], v[102:103], v[18:19] op_sel:[0,0,1] op_sel_hi:[1,0,0]
	v_mov_b32_e32 v21, v3
	v_pk_add_f32 v[2:3], v[16:17], v[20:21]
	v_mov_b32_e32 v16, v101
	v_pk_mul_f32 v[16:17], v[4:5], v[16:17] op_sel_hi:[1,0]
	v_pk_fma_f32 v[18:19], v[4:5], v[100:101], v[16:17] op_sel:[0,0,1] op_sel_hi:[1,1,0] neg_lo:[0,0,1] neg_hi:[0,0,1]
	v_pk_fma_f32 v[4:5], v[4:5], v[100:101], v[16:17] op_sel:[0,0,1] op_sel_hi:[1,0,0]
	v_mov_b32_e32 v4, v99
	v_mov_b32_e32 v19, v5
	s_waitcnt lgkmcnt(2)
	v_pk_mul_f32 v[4:5], v[6:7], v[4:5] op_sel_hi:[1,0]
	v_pk_fma_f32 v[16:17], v[6:7], v[98:99], v[4:5] op_sel:[0,0,1] op_sel_hi:[1,1,0] neg_lo:[0,0,1] neg_hi:[0,0,1]
	v_pk_fma_f32 v[4:5], v[6:7], v[98:99], v[4:5] op_sel:[0,0,1] op_sel_hi:[1,0,0]
	s_waitcnt vmcnt(1)
	v_mov_b32_e32 v4, v113
	v_mov_b32_e32 v17, v5
	v_pk_mul_f32 v[4:5], v[8:9], v[4:5] op_sel_hi:[1,0]
	s_waitcnt vmcnt(0)
	v_pk_fma_f32 v[6:7], v[8:9], v[112:113], v[4:5] op_sel:[0,0,1] op_sel_hi:[1,1,0] neg_lo:[0,0,1] neg_hi:[0,0,1]
	v_pk_fma_f32 v[4:5], v[8:9], v[112:113], v[4:5] op_sel:[0,0,1] op_sel_hi:[1,0,0]
	v_pk_add_f32 v[2:3], v[2:3], v[18:19]
	v_mov_b32_e32 v4, v111
	v_pk_add_f32 v[2:3], v[2:3], v[16:17]
	v_mov_b32_e32 v7, v5
	s_waitcnt lgkmcnt(1)
	v_pk_mul_f32 v[4:5], v[10:11], v[4:5] op_sel_hi:[1,0]
	v_pk_add_f32 v[2:3], v[2:3], v[6:7]
	v_pk_fma_f32 v[6:7], v[10:11], v[110:111], v[4:5] op_sel:[0,0,1] op_sel_hi:[1,1,0] neg_lo:[0,0,1] neg_hi:[0,0,1]
	v_pk_fma_f32 v[4:5], v[10:11], v[110:111], v[4:5] op_sel:[0,0,1] op_sel_hi:[1,0,0]
	v_mov_b32_e32 v4, v109
	v_mov_b32_e32 v7, v5
	v_pk_mul_f32 v[4:5], v[12:13], v[4:5] op_sel_hi:[1,0]
	v_pk_add_f32 v[2:3], v[2:3], v[6:7]
	v_pk_fma_f32 v[6:7], v[12:13], v[108:109], v[4:5] op_sel:[0,0,1] op_sel_hi:[1,1,0] neg_lo:[0,0,1] neg_hi:[0,0,1]
	v_pk_fma_f32 v[4:5], v[12:13], v[108:109], v[4:5] op_sel:[0,0,1] op_sel_hi:[1,0,0]
	v_mov_b32_e32 v4, v107
	v_mov_b32_e32 v7, v5
	s_waitcnt lgkmcnt(0)
	v_pk_mul_f32 v[4:5], v[14:15], v[4:5] op_sel_hi:[1,0]
	v_pk_add_f32 v[2:3], v[2:3], v[6:7]
	v_pk_fma_f32 v[6:7], v[14:15], v[106:107], v[4:5] op_sel:[0,0,1] op_sel_hi:[1,1,0] neg_lo:[0,0,1] neg_hi:[0,0,1]
	v_pk_fma_f32 v[4:5], v[14:15], v[106:107], v[4:5] op_sel:[0,0,1] op_sel_hi:[1,0,0]
	v_mov_b32_e32 v7, v5
	v_pk_add_f32 v[2:3], v[2:3], v[6:7]
	v_pk_add_f32 v[2:3], v[26:27], v[2:3] neg_lo:[0,1] neg_hi:[0,1]
	buffer_store_dword v3, off, s[0:3], 0 offset:68
	buffer_store_dword v2, off, s[0:3], 0 offset:64
	s_and_saveexec_b64 s[4:5], vcc
	s_cbranch_execz .LBB55_335
; %bb.334:
	buffer_load_dword v2, off, s[0:3], 0 offset:56
	buffer_load_dword v3, off, s[0:3], 0 offset:60
	s_waitcnt vmcnt(0)
	ds_write_b64 v161, v[2:3]
	buffer_store_dword v36, off, s[0:3], 0 offset:56
	buffer_store_dword v36, off, s[0:3], 0 offset:60
.LBB55_335:
	s_or_b64 exec, exec, s[4:5]
	s_waitcnt lgkmcnt(0)
	; wave barrier
	s_waitcnt lgkmcnt(0)
	buffer_load_dword v41, off, s[0:3], 0 offset:68
	buffer_load_dword v40, off, s[0:3], 0 offset:76
	;; [unrolled: 1-line block ×32, first 2 shown]
	ds_read_b128 v[22:25], v36 offset:512
	ds_read_b128 v[18:21], v36 offset:528
	ds_read_b128 v[14:17], v36 offset:544
	ds_read_b128 v[10:13], v36 offset:560
	ds_read_b128 v[6:9], v36 offset:576
	ds_read_b128 v[2:5], v36 offset:592
	buffer_load_dword v133, off, s[0:3], 0 offset:184
	buffer_load_dword v134, off, s[0:3], 0 offset:188
	;; [unrolled: 1-line block ×26, first 2 shown]
	v_cmp_lt_u32_e32 vcc, 6, v0
	s_waitcnt vmcnt(57) lgkmcnt(5)
	v_mul_f32_e32 v26, v22, v41
	s_waitcnt vmcnt(56)
	v_mul_f32_e32 v27, v24, v40
	s_waitcnt vmcnt(55) lgkmcnt(4)
	v_mul_f32_e32 v29, v20, v39
	s_waitcnt vmcnt(54) lgkmcnt(3)
	v_mul_f32_e32 v30, v14, v38
	s_waitcnt vmcnt(53)
	v_mul_f32_e32 v31, v16, v1
	s_waitcnt vmcnt(52)
	v_mul_f32_e32 v28, v18, v42
	s_waitcnt vmcnt(51) lgkmcnt(2)
	v_mul_f32_e32 v32, v10, v37
	s_waitcnt vmcnt(50)
	v_mul_f32_e32 v33, v12, v43
	s_waitcnt vmcnt(49) lgkmcnt(1)
	;; [unrolled: 4-line block ×3, first 2 shown]
	v_mul_f32_e32 v46, v2, v102
	s_waitcnt vmcnt(46)
	v_fmac_f32_e32 v28, v19, v114
	s_waitcnt vmcnt(45)
	v_fmac_f32_e32 v27, v25, v115
	s_waitcnt vmcnt(44)
	v_fmac_f32_e32 v26, v23, v116
	v_add_f32_e32 v26, 0, v26
	v_add_f32_e32 v26, v26, v27
	;; [unrolled: 1-line block ×3, first 2 shown]
	s_waitcnt vmcnt(40)
	v_fmac_f32_e32 v29, v21, v120
	v_fmac_f32_e32 v30, v15, v119
	v_add_f32_e32 v26, v26, v29
	v_fmac_f32_e32 v31, v17, v118
	v_add_f32_e32 v26, v26, v30
	;; [unrolled: 2-line block ×3, first 2 shown]
	s_waitcnt vmcnt(36)
	v_fmac_f32_e32 v33, v13, v124
	v_add_f32_e32 v26, v26, v32
	v_fmac_f32_e32 v44, v7, v123
	v_add_f32_e32 v26, v26, v33
	;; [unrolled: 2-line block ×4, first 2 shown]
	s_waitcnt vmcnt(30)
	v_mul_f32_e32 v27, v4, v130
	v_add_f32_e32 v26, v26, v46
	s_waitcnt vmcnt(29)
	v_fmac_f32_e32 v27, v5, v131
	v_add_f32_e32 v44, v26, v27
	ds_read_b128 v[26:29], v36 offset:608
	buffer_load_dword v221, off, s[0:3], 0 offset:288
	buffer_load_dword v222, off, s[0:3], 0 offset:292
	ds_read_b128 v[30:33], v36 offset:624
	buffer_load_dword v223, off, s[0:3], 0 offset:296
	buffer_load_dword v224, off, s[0:3], 0 offset:300
	;; [unrolled: 1-line block ×14, first 2 shown]
	s_waitcnt vmcnt(44) lgkmcnt(1)
	v_mul_f32_e32 v45, v26, v132
	v_fmac_f32_e32 v45, v27, v129
	v_add_f32_e32 v44, v44, v45
	v_mul_f32_e32 v45, v28, v126
	v_fmac_f32_e32 v45, v29, v125
	v_add_f32_e32 v44, v44, v45
	s_waitcnt lgkmcnt(0)
	v_mul_f32_e32 v45, v30, v128
	v_fmac_f32_e32 v45, v31, v127
	v_add_f32_e32 v48, v44, v45
	buffer_load_dword v237, off, s[0:3], 0 offset:352
	buffer_load_dword v238, off, s[0:3], 0 offset:356
	ds_read_b128 v[44:47], v36 offset:640
	s_waitcnt vmcnt(42)
	v_mul_f32_e32 v49, v32, v134
	v_fmac_f32_e32 v49, v33, v133
	buffer_load_dword v239, off, s[0:3], 0 offset:360
	buffer_load_dword v240, off, s[0:3], 0 offset:364
	v_add_f32_e32 v52, v48, v49
	buffer_load_dword v241, off, s[0:3], 0 offset:368
	buffer_load_dword v242, off, s[0:3], 0 offset:372
	ds_read_b128 v[48:51], v36 offset:656
	s_waitcnt vmcnt(44) lgkmcnt(1)
	v_mul_f32_e32 v53, v44, v136
	v_fmac_f32_e32 v53, v45, v135
	v_add_f32_e32 v52, v52, v53
	s_waitcnt vmcnt(42)
	v_mul_f32_e32 v53, v46, v138
	v_fmac_f32_e32 v53, v47, v137
	v_add_f32_e32 v52, v52, v53
	s_waitcnt vmcnt(40) lgkmcnt(0)
	v_mul_f32_e32 v53, v48, v140
	v_fmac_f32_e32 v53, v49, v139
	buffer_load_dword v243, off, s[0:3], 0 offset:376
	buffer_load_dword v244, off, s[0:3], 0 offset:380
	v_add_f32_e32 v56, v52, v53
	ds_read_b128 v[52:55], v36 offset:672
	s_waitcnt vmcnt(40)
	v_mul_f32_e32 v57, v50, v142
	v_fmac_f32_e32 v57, v51, v141
	v_add_f32_e32 v60, v56, v57
	ds_read_b128 v[56:59], v36 offset:688
	s_waitcnt vmcnt(38) lgkmcnt(1)
	v_mul_f32_e32 v61, v52, v206
	v_fmac_f32_e32 v61, v53, v143
	v_add_f32_e32 v60, v60, v61
	s_waitcnt vmcnt(36)
	v_mul_f32_e32 v61, v54, v208
	v_fmac_f32_e32 v61, v55, v207
	v_add_f32_e32 v60, v60, v61
	s_waitcnt vmcnt(34) lgkmcnt(0)
	v_mul_f32_e32 v61, v56, v210
	v_fmac_f32_e32 v61, v57, v209
	v_add_f32_e32 v64, v60, v61
	ds_read_b128 v[60:63], v36 offset:704
	s_waitcnt vmcnt(32)
	v_mul_f32_e32 v65, v58, v212
	v_fmac_f32_e32 v65, v59, v211
	v_add_f32_e32 v68, v64, v65
	ds_read_b128 v[64:67], v36 offset:720
	s_waitcnt vmcnt(30) lgkmcnt(1)
	v_mul_f32_e32 v69, v60, v214
	v_fmac_f32_e32 v69, v61, v213
	v_add_f32_e32 v68, v68, v69
	s_waitcnt vmcnt(28)
	v_mul_f32_e32 v69, v62, v216
	v_fmac_f32_e32 v69, v63, v215
	v_add_f32_e32 v68, v68, v69
	s_waitcnt vmcnt(26) lgkmcnt(0)
	v_mul_f32_e32 v69, v64, v218
	v_fmac_f32_e32 v69, v65, v217
	v_add_f32_e32 v72, v68, v69
	ds_read_b128 v[68:71], v36 offset:736
	s_waitcnt vmcnt(24)
	v_mul_f32_e32 v73, v66, v220
	v_fmac_f32_e32 v73, v67, v219
	v_add_f32_e32 v76, v72, v73
	ds_read_b128 v[72:75], v36 offset:752
	v_mul_f32_e32 v23, v23, v41
	v_fma_f32 v22, v22, v116, -v23
	v_mul_f32_e32 v23, v25, v40
	v_add_f32_e32 v22, 0, v22
	v_fma_f32 v23, v24, v115, -v23
	v_mul_f32_e32 v19, v19, v42
	v_add_f32_e32 v22, v22, v23
	;; [unrolled: 3-line block ×3, first 2 shown]
	v_fma_f32 v19, v20, v120, -v19
	s_waitcnt vmcnt(22) lgkmcnt(1)
	v_mul_f32_e32 v77, v68, v222
	v_fmac_f32_e32 v77, v69, v221
	v_add_f32_e32 v76, v76, v77
	s_waitcnt vmcnt(20)
	v_mul_f32_e32 v77, v70, v224
	v_fmac_f32_e32 v77, v71, v223
	v_add_f32_e32 v76, v76, v77
	s_waitcnt vmcnt(18) lgkmcnt(0)
	v_mul_f32_e32 v77, v72, v226
	v_fmac_f32_e32 v77, v73, v225
	v_add_f32_e32 v80, v76, v77
	ds_read_b128 v[76:79], v36 offset:768
	s_waitcnt vmcnt(16)
	v_mul_f32_e32 v81, v74, v228
	v_fmac_f32_e32 v81, v75, v227
	v_add_f32_e32 v84, v80, v81
	ds_read_b128 v[80:83], v36 offset:784
	s_waitcnt vmcnt(14) lgkmcnt(1)
	v_mul_f32_e32 v85, v76, v230
	v_fmac_f32_e32 v85, v77, v229
	v_add_f32_e32 v84, v84, v85
	s_waitcnt vmcnt(12)
	v_mul_f32_e32 v85, v78, v232
	v_fmac_f32_e32 v85, v79, v231
	v_add_f32_e32 v84, v84, v85
	s_waitcnt vmcnt(10) lgkmcnt(0)
	v_mul_f32_e32 v85, v80, v234
	v_fmac_f32_e32 v85, v81, v233
	s_waitcnt vmcnt(8)
	v_mul_f32_e32 v89, v82, v236
	v_add_f32_e32 v88, v84, v85
	v_fmac_f32_e32 v89, v83, v235
	ds_read_b128 v[84:87], v36 offset:800
	v_add_f32_e32 v93, v88, v89
	ds_read_b128 v[88:91], v36 offset:816
	buffer_load_dword v97, off, s[0:3], 0 offset:404
	buffer_load_dword v96, off, s[0:3], 0 offset:400
	;; [unrolled: 1-line block ×16, first 2 shown]
	v_mul_f32_e32 v15, v15, v38
	v_add_f32_e32 v18, v18, v19
	v_fma_f32 v14, v14, v119, -v15
	v_mul_f32_e32 v1, v17, v1
	v_add_f32_e32 v14, v18, v14
	v_fma_f32 v1, v16, v118, -v1
	;; [unrolled: 3-line block ×3, first 2 shown]
	v_add_f32_e32 v1, v1, v10
	v_mul_f32_e32 v10, v13, v43
	v_fma_f32 v10, v12, v124, -v10
	v_mul_f32_e32 v7, v7, v92
	v_add_f32_e32 v1, v1, v10
	v_fma_f32 v6, v6, v123, -v7
	v_add_f32_e32 v1, v1, v6
	v_mul_f32_e32 v6, v9, v94
	v_fma_f32 v6, v8, v122, -v6
	v_mul_f32_e32 v3, v3, v102
	v_add_f32_e32 v1, v1, v6
	v_fma_f32 v2, v2, v121, -v3
	v_add_f32_e32 v1, v1, v2
	v_mul_f32_e32 v2, v5, v130
	v_fma_f32 v2, v4, v131, -v2
	v_add_f32_e32 v1, v1, v2
	v_mul_f32_e32 v2, v27, v132
	;; [unrolled: 3-line block ×25, first 2 shown]
	v_fma_f32 v2, v82, v235, -v2
	v_add_f32_e32 v1, v1, v2
	s_waitcnt vmcnt(22) lgkmcnt(1)
	v_mul_f32_e32 v2, v85, v238
	v_mul_f32_e32 v95, v84, v238
	v_fma_f32 v2, v84, v237, -v2
	v_fmac_f32_e32 v95, v85, v237
	v_add_f32_e32 v1, v1, v2
	s_waitcnt vmcnt(20)
	v_mul_f32_e32 v2, v87, v240
	v_add_f32_e32 v93, v93, v95
	v_mul_f32_e32 v95, v86, v240
	v_fma_f32 v2, v86, v239, -v2
	v_fmac_f32_e32 v95, v87, v239
	v_add_f32_e32 v92, v1, v2
	ds_read_b128 v[2:5], v36 offset:832
	ds_read_b128 v[6:9], v36 offset:848
	;; [unrolled: 1-line block ×4, first 2 shown]
	v_add_f32_e32 v93, v93, v95
	s_waitcnt vmcnt(18) lgkmcnt(4)
	v_mul_f32_e32 v95, v88, v242
	v_mul_f32_e32 v1, v89, v242
	s_waitcnt vmcnt(11)
	v_mov_b32_e32 v20, v101
	v_fmac_f32_e32 v95, v89, v241
	v_mul_f32_e32 v103, v90, v244
	v_fma_f32 v94, v88, v241, -v1
	v_mul_f32_e32 v1, v91, v244
	s_waitcnt lgkmcnt(3)
	v_pk_mul_f32 v[20:21], v[2:3], v[20:21] op_sel_hi:[1,0]
	v_fmac_f32_e32 v103, v91, v243
	v_fma_f32 v102, v90, v243, -v1
	v_pk_add_f32 v[18:19], v[92:93], v[94:95]
	s_waitcnt vmcnt(10)
	v_pk_fma_f32 v[22:23], v[2:3], v[100:101], v[20:21] op_sel:[0,0,1] op_sel_hi:[1,1,0] neg_lo:[0,0,1] neg_hi:[0,0,1]
	v_pk_fma_f32 v[2:3], v[2:3], v[100:101], v[20:21] op_sel:[0,0,1] op_sel_hi:[1,0,0]
	v_pk_add_f32 v[18:19], v[18:19], v[102:103]
	v_mov_b32_e32 v23, v3
	v_pk_add_f32 v[2:3], v[18:19], v[22:23]
	v_mov_b32_e32 v18, v99
	v_pk_mul_f32 v[18:19], v[4:5], v[18:19] op_sel_hi:[1,0]
	v_pk_fma_f32 v[20:21], v[4:5], v[98:99], v[18:19] op_sel:[0,0,1] op_sel_hi:[1,1,0] neg_lo:[0,0,1] neg_hi:[0,0,1]
	v_pk_fma_f32 v[4:5], v[4:5], v[98:99], v[18:19] op_sel:[0,0,1] op_sel_hi:[1,0,0]
	v_mov_b32_e32 v4, v97
	v_mov_b32_e32 v21, v5
	s_waitcnt lgkmcnt(2)
	v_pk_mul_f32 v[4:5], v[6:7], v[4:5] op_sel_hi:[1,0]
	v_pk_fma_f32 v[18:19], v[6:7], v[96:97], v[4:5] op_sel:[0,0,1] op_sel_hi:[1,1,0] neg_lo:[0,0,1] neg_hi:[0,0,1]
	v_pk_fma_f32 v[4:5], v[6:7], v[96:97], v[4:5] op_sel:[0,0,1] op_sel_hi:[1,0,0]
	s_waitcnt vmcnt(3)
	v_mov_b32_e32 v4, v111
	v_mov_b32_e32 v19, v5
	v_pk_mul_f32 v[4:5], v[8:9], v[4:5] op_sel_hi:[1,0]
	s_waitcnt vmcnt(2)
	v_pk_fma_f32 v[6:7], v[8:9], v[110:111], v[4:5] op_sel:[0,0,1] op_sel_hi:[1,1,0] neg_lo:[0,0,1] neg_hi:[0,0,1]
	v_pk_fma_f32 v[4:5], v[8:9], v[110:111], v[4:5] op_sel:[0,0,1] op_sel_hi:[1,0,0]
	v_pk_add_f32 v[2:3], v[2:3], v[20:21]
	v_mov_b32_e32 v4, v109
	v_pk_add_f32 v[2:3], v[2:3], v[18:19]
	v_mov_b32_e32 v7, v5
	s_waitcnt lgkmcnt(1)
	v_pk_mul_f32 v[4:5], v[10:11], v[4:5] op_sel_hi:[1,0]
	v_pk_add_f32 v[2:3], v[2:3], v[6:7]
	v_pk_fma_f32 v[6:7], v[10:11], v[108:109], v[4:5] op_sel:[0,0,1] op_sel_hi:[1,1,0] neg_lo:[0,0,1] neg_hi:[0,0,1]
	v_pk_fma_f32 v[4:5], v[10:11], v[108:109], v[4:5] op_sel:[0,0,1] op_sel_hi:[1,0,0]
	v_mov_b32_e32 v4, v107
	v_mov_b32_e32 v7, v5
	v_pk_mul_f32 v[4:5], v[12:13], v[4:5] op_sel_hi:[1,0]
	v_pk_add_f32 v[2:3], v[2:3], v[6:7]
	v_pk_fma_f32 v[6:7], v[12:13], v[106:107], v[4:5] op_sel:[0,0,1] op_sel_hi:[1,1,0] neg_lo:[0,0,1] neg_hi:[0,0,1]
	v_pk_fma_f32 v[4:5], v[12:13], v[106:107], v[4:5] op_sel:[0,0,1] op_sel_hi:[1,0,0]
	v_mov_b32_e32 v4, v105
	v_mov_b32_e32 v7, v5
	s_waitcnt lgkmcnt(0)
	v_pk_mul_f32 v[4:5], v[14:15], v[4:5] op_sel_hi:[1,0]
	v_pk_add_f32 v[2:3], v[2:3], v[6:7]
	v_pk_fma_f32 v[6:7], v[14:15], v[104:105], v[4:5] op_sel:[0,0,1] op_sel_hi:[1,1,0] neg_lo:[0,0,1] neg_hi:[0,0,1]
	v_pk_fma_f32 v[4:5], v[14:15], v[104:105], v[4:5] op_sel:[0,0,1] op_sel_hi:[1,0,0]
	s_waitcnt vmcnt(1)
	v_mov_b32_e32 v4, v113
	v_mov_b32_e32 v7, v5
	v_pk_mul_f32 v[4:5], v[16:17], v[4:5] op_sel_hi:[1,0]
	v_pk_add_f32 v[2:3], v[2:3], v[6:7]
	s_waitcnt vmcnt(0)
	v_pk_fma_f32 v[6:7], v[16:17], v[112:113], v[4:5] op_sel:[0,0,1] op_sel_hi:[1,1,0] neg_lo:[0,0,1] neg_hi:[0,0,1]
	v_pk_fma_f32 v[4:5], v[16:17], v[112:113], v[4:5] op_sel:[0,0,1] op_sel_hi:[1,0,0]
	v_mov_b32_e32 v7, v5
	v_pk_add_f32 v[2:3], v[2:3], v[6:7]
	v_pk_add_f32 v[2:3], v[34:35], v[2:3] neg_lo:[0,1] neg_hi:[0,1]
	buffer_store_dword v3, off, s[0:3], 0 offset:60
	buffer_store_dword v2, off, s[0:3], 0 offset:56
	s_and_saveexec_b64 s[4:5], vcc
	s_cbranch_execz .LBB55_337
; %bb.336:
	buffer_load_dword v2, off, s[0:3], 0 offset:48
	buffer_load_dword v3, off, s[0:3], 0 offset:52
	v_mov_b32_e32 v1, 0
	buffer_store_dword v1, off, s[0:3], 0 offset:48
	buffer_store_dword v1, off, s[0:3], 0 offset:52
	s_waitcnt vmcnt(2)
	ds_write_b64 v161, v[2:3]
.LBB55_337:
	s_or_b64 exec, exec, s[4:5]
	v_mov_b32_e32 v222, 0
	s_waitcnt lgkmcnt(0)
	; wave barrier
	s_waitcnt lgkmcnt(0)
	ds_read2_b64 v[2:5], v222 offset0:63 offset1:64
	buffer_load_dword v86, off, s[0:3], 0 offset:48
	buffer_load_dword v87, off, s[0:3], 0 offset:52
	;; [unrolled: 1-line block ×16, first 2 shown]
	v_cmp_lt_u32_e32 vcc, 5, v0
	s_waitcnt vmcnt(12) lgkmcnt(0)
	v_mul_f32_e32 v1, v2, v223
	v_fmac_f32_e32 v1, v3, v88
	s_waitcnt vmcnt(10)
	v_mul_f32_e32 v6, v4, v225
	v_add_f32_e32 v1, 0, v1
	v_fmac_f32_e32 v6, v5, v90
	v_add_f32_e32 v1, v1, v6
	ds_read2_b64 v[6:9], v222 offset0:65 offset1:66
	v_mul_f32_e32 v3, v3, v223
	v_fma_f32 v2, v2, v88, -v3
	v_mul_f32_e32 v3, v5, v225
	v_add_f32_e32 v2, 0, v2
	s_waitcnt vmcnt(8) lgkmcnt(0)
	v_mul_f32_e32 v10, v6, v227
	v_fmac_f32_e32 v10, v7, v206
	v_add_f32_e32 v1, v1, v10
	s_waitcnt vmcnt(6)
	v_mul_f32_e32 v10, v8, v229
	v_fmac_f32_e32 v10, v9, v224
	v_add_f32_e32 v1, v1, v10
	ds_read2_b64 v[10:13], v222 offset0:67 offset1:68
	v_fma_f32 v3, v4, v90, -v3
	v_add_f32_e32 v2, v2, v3
	v_mul_f32_e32 v3, v7, v227
	v_fma_f32 v3, v6, v206, -v3
	s_waitcnt vmcnt(4) lgkmcnt(0)
	v_mul_f32_e32 v14, v10, v231
	v_fmac_f32_e32 v14, v11, v226
	v_add_f32_e32 v1, v1, v14
	s_waitcnt vmcnt(2)
	v_mul_f32_e32 v14, v12, v232
	v_fmac_f32_e32 v14, v13, v228
	v_add_f32_e32 v1, v1, v14
	ds_read2_b64 v[14:17], v222 offset0:69 offset1:70
	buffer_load_dword v234, off, s[0:3], 0 offset:112
	buffer_load_dword v235, off, s[0:3], 0 offset:116
	v_add_f32_e32 v2, v2, v3
	v_mul_f32_e32 v3, v9, v229
	v_fma_f32 v3, v8, v224, -v3
	s_waitcnt vmcnt(2) lgkmcnt(0)
	v_mul_f32_e32 v18, v14, v233
	v_fmac_f32_e32 v18, v15, v230
	v_add_f32_e32 v1, v1, v18
	v_add_f32_e32 v2, v2, v3
	v_mul_f32_e32 v3, v11, v231
	v_fma_f32 v3, v10, v226, -v3
	v_add_f32_e32 v2, v2, v3
	v_mul_f32_e32 v3, v13, v232
	v_fma_f32 v3, v12, v228, -v3
	;; [unrolled: 3-line block ×3, first 2 shown]
	v_add_f32_e32 v2, v2, v3
	s_waitcnt vmcnt(0)
	v_mul_f32_e32 v18, v16, v235
	v_fmac_f32_e32 v18, v17, v234
	v_add_f32_e32 v22, v1, v18
	ds_read2_b64 v[18:21], v222 offset0:71 offset1:72
	buffer_load_dword v236, off, s[0:3], 0 offset:120
	buffer_load_dword v1, off, s[0:3], 0 offset:124
	;; [unrolled: 1-line block ×4, first 2 shown]
	v_mul_f32_e32 v3, v17, v235
	v_fma_f32 v3, v16, v234, -v3
	v_add_f32_e32 v2, v2, v3
	s_waitcnt vmcnt(2) lgkmcnt(0)
	v_mul_f32_e32 v23, v18, v1
	v_fmac_f32_e32 v23, v19, v236
	v_add_f32_e32 v22, v22, v23
	s_waitcnt vmcnt(0)
	v_mul_f32_e32 v23, v20, v94
	v_fmac_f32_e32 v23, v21, v237
	v_add_f32_e32 v26, v22, v23
	ds_read2_b64 v[22:25], v222 offset0:73 offset1:74
	buffer_load_dword v95, off, s[0:3], 0 offset:136
	buffer_load_dword v238, off, s[0:3], 0 offset:140
	;; [unrolled: 1-line block ×4, first 2 shown]
	v_mul_f32_e32 v1, v19, v1
	v_fma_f32 v1, v18, v236, -v1
	v_add_f32_e32 v1, v2, v1
	v_mul_f32_e32 v2, v21, v94
	v_fma_f32 v2, v20, v237, -v2
	v_add_f32_e32 v1, v1, v2
	s_waitcnt vmcnt(2) lgkmcnt(0)
	v_mul_f32_e32 v27, v22, v238
	v_fmac_f32_e32 v27, v23, v95
	v_add_f32_e32 v26, v26, v27
	s_waitcnt vmcnt(0)
	v_mul_f32_e32 v27, v24, v96
	v_fmac_f32_e32 v27, v25, v239
	v_add_f32_e32 v30, v26, v27
	ds_read2_b64 v[26:29], v222 offset0:75 offset1:76
	buffer_load_dword v97, off, s[0:3], 0 offset:152
	buffer_load_dword v98, off, s[0:3], 0 offset:156
	;; [unrolled: 1-line block ×4, first 2 shown]
	v_mul_f32_e32 v2, v23, v238
	v_fma_f32 v2, v22, v95, -v2
	v_add_f32_e32 v1, v1, v2
	v_mul_f32_e32 v2, v25, v96
	v_fma_f32 v2, v24, v239, -v2
	v_add_f32_e32 v1, v1, v2
	s_waitcnt vmcnt(2) lgkmcnt(0)
	v_mul_f32_e32 v31, v26, v98
	v_fmac_f32_e32 v31, v27, v97
	v_add_f32_e32 v30, v30, v31
	s_waitcnt vmcnt(0)
	v_mul_f32_e32 v31, v28, v100
	v_fmac_f32_e32 v31, v29, v99
	v_add_f32_e32 v34, v30, v31
	ds_read2_b64 v[30:33], v222 offset0:77 offset1:78
	buffer_load_dword v101, off, s[0:3], 0 offset:168
	buffer_load_dword v102, off, s[0:3], 0 offset:172
	buffer_load_dword v103, off, s[0:3], 0 offset:176
	buffer_load_dword v104, off, s[0:3], 0 offset:180
	ds_read2_b64 v[38:41], v222 offset0:79 offset1:80
	buffer_load_dword v105, off, s[0:3], 0 offset:184
	buffer_load_dword v106, off, s[0:3], 0 offset:188
	buffer_load_dword v107, off, s[0:3], 0 offset:192
	buffer_load_dword v108, off, s[0:3], 0 offset:196
	;; [unrolled: 5-line block ×13, first 2 shown]
	v_mul_f32_e32 v2, v27, v98
	v_fma_f32 v2, v26, v97, -v2
	v_add_f32_e32 v1, v1, v2
	v_mul_f32_e32 v2, v29, v100
	v_fma_f32 v2, v28, v99, -v2
	v_add_f32_e32 v1, v1, v2
	s_waitcnt vmcnt(50) lgkmcnt(12)
	v_mul_f32_e32 v35, v30, v102
	v_fmac_f32_e32 v35, v31, v101
	v_add_f32_e32 v34, v34, v35
	s_waitcnt vmcnt(48)
	v_mul_f32_e32 v35, v32, v104
	v_fmac_f32_e32 v35, v33, v103
	v_add_f32_e32 v34, v34, v35
	s_waitcnt vmcnt(46) lgkmcnt(11)
	v_mul_f32_e32 v35, v38, v106
	v_fmac_f32_e32 v35, v39, v105
	v_add_f32_e32 v34, v34, v35
	s_waitcnt vmcnt(44)
	v_mul_f32_e32 v35, v40, v108
	v_fmac_f32_e32 v35, v41, v107
	;; [unrolled: 8-line block ×12, first 2 shown]
	v_add_f32_e32 v34, v34, v35
	s_waitcnt vmcnt(2) lgkmcnt(0)
	v_mul_f32_e32 v35, v82, v143
	v_fmac_f32_e32 v35, v83, v142
	v_add_f32_e32 v89, v34, v35
	ds_read2_b64 v[34:37], v222 offset0:103 offset1:104
	buffer_load_dword v249, off, s[0:3], 0 offset:376
	buffer_load_dword v250, off, s[0:3], 0 offset:380
	;; [unrolled: 1-line block ×18, first 2 shown]
	v_mul_f32_e32 v2, v31, v102
	v_fma_f32 v2, v30, v101, -v2
	v_add_f32_e32 v1, v1, v2
	v_mul_f32_e32 v2, v33, v104
	v_fma_f32 v2, v32, v103, -v2
	v_add_f32_e32 v1, v1, v2
	;; [unrolled: 3-line block ×24, first 2 shown]
	v_mul_f32_e32 v2, v83, v143
	v_fma_f32 v2, v82, v142, -v2
	s_waitcnt vmcnt(15)
	v_mov_b32_e32 v18, v93
	v_mul_f32_e32 v91, v84, v248
	v_add_f32_e32 v88, v1, v2
	v_mul_f32_e32 v1, v85, v248
	s_waitcnt lgkmcnt(0)
	v_pk_mul_f32 v[18:19], v[36:37], v[18:19] op_sel_hi:[1,0]
	v_fmac_f32_e32 v91, v85, v247
	v_mul_f32_e32 v207, v34, v250
	v_fma_f32 v90, v84, v247, -v1
	v_mul_f32_e32 v1, v35, v250
	ds_read2_b64 v[2:5], v222 offset0:105 offset1:106
	ds_read2_b64 v[6:9], v222 offset0:107 offset1:108
	;; [unrolled: 1-line block ×3, first 2 shown]
	ds_read_b64 v[14:15], v222 offset:888
	s_waitcnt vmcnt(14)
	v_pk_fma_f32 v[20:21], v[36:37], v[92:93], v[18:19] op_sel:[0,0,1] op_sel_hi:[1,1,0] neg_lo:[0,0,1] neg_hi:[0,0,1]
	v_pk_fma_f32 v[18:19], v[36:37], v[92:93], v[18:19] op_sel:[0,0,1] op_sel_hi:[1,0,0]
	v_fmac_f32_e32 v207, v35, v249
	v_fma_f32 v206, v34, v249, -v1
	v_pk_add_f32 v[16:17], v[88:89], v[90:91]
	s_waitcnt vmcnt(13)
	v_mov_b32_e32 v18, v221
	v_pk_add_f32 v[16:17], v[16:17], v[206:207]
	v_mov_b32_e32 v21, v19
	s_waitcnt lgkmcnt(3)
	v_pk_mul_f32 v[18:19], v[2:3], v[18:19] op_sel_hi:[1,0]
	v_pk_add_f32 v[16:17], v[16:17], v[20:21]
	s_waitcnt vmcnt(12)
	v_pk_fma_f32 v[20:21], v[2:3], v[220:221], v[18:19] op_sel:[0,0,1] op_sel_hi:[1,1,0] neg_lo:[0,0,1] neg_hi:[0,0,1]
	v_pk_fma_f32 v[2:3], v[2:3], v[220:221], v[18:19] op_sel:[0,0,1] op_sel_hi:[1,0,0]
	v_mov_b32_e32 v21, v3
	v_pk_add_f32 v[2:3], v[16:17], v[20:21]
	s_waitcnt vmcnt(11)
	v_mov_b32_e32 v16, v219
	v_pk_mul_f32 v[16:17], v[4:5], v[16:17] op_sel_hi:[1,0]
	s_waitcnt vmcnt(10)
	v_pk_fma_f32 v[18:19], v[4:5], v[218:219], v[16:17] op_sel:[0,0,1] op_sel_hi:[1,1,0] neg_lo:[0,0,1] neg_hi:[0,0,1]
	v_pk_fma_f32 v[4:5], v[4:5], v[218:219], v[16:17] op_sel:[0,0,1] op_sel_hi:[1,0,0]
	s_waitcnt vmcnt(9)
	v_mov_b32_e32 v4, v217
	v_mov_b32_e32 v19, v5
	s_waitcnt lgkmcnt(2)
	v_pk_mul_f32 v[4:5], v[6:7], v[4:5] op_sel_hi:[1,0]
	s_waitcnt vmcnt(8)
	v_pk_fma_f32 v[16:17], v[6:7], v[216:217], v[4:5] op_sel:[0,0,1] op_sel_hi:[1,1,0] neg_lo:[0,0,1] neg_hi:[0,0,1]
	v_pk_fma_f32 v[4:5], v[6:7], v[216:217], v[4:5] op_sel:[0,0,1] op_sel_hi:[1,0,0]
	s_waitcnt vmcnt(7)
	v_mov_b32_e32 v4, v215
	v_mov_b32_e32 v17, v5
	v_pk_mul_f32 v[4:5], v[8:9], v[4:5] op_sel_hi:[1,0]
	s_waitcnt vmcnt(6)
	v_pk_fma_f32 v[6:7], v[8:9], v[214:215], v[4:5] op_sel:[0,0,1] op_sel_hi:[1,1,0] neg_lo:[0,0,1] neg_hi:[0,0,1]
	v_pk_fma_f32 v[4:5], v[8:9], v[214:215], v[4:5] op_sel:[0,0,1] op_sel_hi:[1,0,0]
	v_pk_add_f32 v[2:3], v[2:3], v[18:19]
	s_waitcnt vmcnt(5)
	v_mov_b32_e32 v4, v213
	v_pk_add_f32 v[2:3], v[2:3], v[16:17]
	v_mov_b32_e32 v7, v5
	s_waitcnt lgkmcnt(1)
	v_pk_mul_f32 v[4:5], v[10:11], v[4:5] op_sel_hi:[1,0]
	v_pk_add_f32 v[2:3], v[2:3], v[6:7]
	s_waitcnt vmcnt(4)
	v_pk_fma_f32 v[6:7], v[10:11], v[212:213], v[4:5] op_sel:[0,0,1] op_sel_hi:[1,1,0] neg_lo:[0,0,1] neg_hi:[0,0,1]
	v_pk_fma_f32 v[4:5], v[10:11], v[212:213], v[4:5] op_sel:[0,0,1] op_sel_hi:[1,0,0]
	s_waitcnt vmcnt(3)
	v_mov_b32_e32 v4, v211
	v_mov_b32_e32 v7, v5
	v_pk_mul_f32 v[4:5], v[12:13], v[4:5] op_sel_hi:[1,0]
	v_pk_add_f32 v[2:3], v[2:3], v[6:7]
	s_waitcnt vmcnt(2)
	v_pk_fma_f32 v[6:7], v[12:13], v[210:211], v[4:5] op_sel:[0,0,1] op_sel_hi:[1,1,0] neg_lo:[0,0,1] neg_hi:[0,0,1]
	v_pk_fma_f32 v[4:5], v[12:13], v[210:211], v[4:5] op_sel:[0,0,1] op_sel_hi:[1,0,0]
	s_waitcnt vmcnt(1)
	v_mov_b32_e32 v4, v209
	v_mov_b32_e32 v7, v5
	s_waitcnt lgkmcnt(0)
	v_pk_mul_f32 v[4:5], v[14:15], v[4:5] op_sel_hi:[1,0]
	v_pk_add_f32 v[2:3], v[2:3], v[6:7]
	s_waitcnt vmcnt(0)
	v_pk_fma_f32 v[6:7], v[14:15], v[208:209], v[4:5] op_sel:[0,0,1] op_sel_hi:[1,1,0] neg_lo:[0,0,1] neg_hi:[0,0,1]
	v_pk_fma_f32 v[4:5], v[14:15], v[208:209], v[4:5] op_sel:[0,0,1] op_sel_hi:[1,0,0]
	v_mov_b32_e32 v7, v5
	v_pk_add_f32 v[2:3], v[2:3], v[6:7]
	v_pk_add_f32 v[2:3], v[86:87], v[2:3] neg_lo:[0,1] neg_hi:[0,1]
	buffer_store_dword v3, off, s[0:3], 0 offset:52
	buffer_store_dword v2, off, s[0:3], 0 offset:48
	s_and_saveexec_b64 s[4:5], vcc
	s_cbranch_execz .LBB55_339
; %bb.338:
	buffer_load_dword v2, off, s[0:3], 0 offset:40
	buffer_load_dword v3, off, s[0:3], 0 offset:44
	s_waitcnt vmcnt(0)
	ds_write_b64 v161, v[2:3]
	buffer_store_dword v222, off, s[0:3], 0 offset:40
	buffer_store_dword v222, off, s[0:3], 0 offset:44
.LBB55_339:
	s_or_b64 exec, exec, s[4:5]
	s_waitcnt lgkmcnt(0)
	; wave barrier
	s_waitcnt lgkmcnt(0)
	buffer_load_dword v40, off, s[0:3], 0 offset:52
	buffer_load_dword v39, off, s[0:3], 0 offset:60
	;; [unrolled: 1-line block ×32, first 2 shown]
	ds_read_b128 v[22:25], v222 offset:496
	ds_read_b128 v[18:21], v222 offset:512
	;; [unrolled: 1-line block ×6, first 2 shown]
	buffer_load_dword v140, off, s[0:3], 0 offset:168
	buffer_load_dword v141, off, s[0:3], 0 offset:172
	;; [unrolled: 1-line block ×20, first 2 shown]
	v_cmp_lt_u32_e32 vcc, 4, v0
	s_waitcnt vmcnt(51) lgkmcnt(5)
	v_mul_f32_e32 v26, v22, v40
	s_waitcnt vmcnt(50)
	v_mul_f32_e32 v27, v24, v39
	s_waitcnt vmcnt(49) lgkmcnt(4)
	v_mul_f32_e32 v29, v20, v38
	s_waitcnt vmcnt(48) lgkmcnt(3)
	v_mul_f32_e32 v30, v14, v37
	s_waitcnt vmcnt(47)
	v_mul_f32_e32 v31, v16, v36
	s_waitcnt vmcnt(46) lgkmcnt(2)
	v_mul_f32_e32 v32, v10, v1
	s_waitcnt vmcnt(45)
	v_mul_f32_e32 v28, v18, v41
	s_waitcnt vmcnt(44)
	v_mul_f32_e32 v33, v12, v42
	s_waitcnt vmcnt(43) lgkmcnt(1)
	v_mul_f32_e32 v47, v6, v43
	s_waitcnt vmcnt(42)
	v_mul_f32_e32 v48, v8, v44
	s_waitcnt vmcnt(41) lgkmcnt(0)
	v_mul_f32_e32 v49, v2, v45
	s_waitcnt vmcnt(40)
	v_mul_f32_e32 v50, v4, v46
	s_waitcnt vmcnt(39)
	v_fmac_f32_e32 v28, v19, v106
	s_waitcnt vmcnt(38)
	v_fmac_f32_e32 v27, v25, v108
	;; [unrolled: 2-line block ×3, first 2 shown]
	v_add_f32_e32 v26, 0, v26
	v_add_f32_e32 v26, v26, v27
	;; [unrolled: 1-line block ×3, first 2 shown]
	s_waitcnt vmcnt(33)
	v_fmac_f32_e32 v29, v21, v128
	v_fmac_f32_e32 v30, v15, v127
	v_add_f32_e32 v26, v26, v29
	v_fmac_f32_e32 v31, v17, v126
	v_add_f32_e32 v26, v26, v30
	v_fmac_f32_e32 v32, v11, v125
	v_add_f32_e32 v26, v26, v31
	s_waitcnt vmcnt(29)
	v_fmac_f32_e32 v33, v13, v132
	v_add_f32_e32 v26, v26, v32
	v_fmac_f32_e32 v47, v7, v131
	v_add_f32_e32 v26, v26, v33
	;; [unrolled: 2-line block ×4, first 2 shown]
	v_add_f32_e32 v30, v26, v49
	ds_read_b128 v[26:29], v222 offset:592
	buffer_load_dword v223, off, s[0:3], 0 offset:248
	buffer_load_dword v224, off, s[0:3], 0 offset:252
	;; [unrolled: 1-line block ×4, first 2 shown]
	s_waitcnt vmcnt(28)
	v_fmac_f32_e32 v50, v5, v137
	v_add_f32_e32 v47, v30, v50
	ds_read_b128 v[30:33], v222 offset:608
	buffer_load_dword v227, off, s[0:3], 0 offset:264
	buffer_load_dword v228, off, s[0:3], 0 offset:268
	;; [unrolled: 1-line block ×12, first 2 shown]
	s_waitcnt vmcnt(39) lgkmcnt(1)
	v_mul_f32_e32 v48, v26, v138
	v_fmac_f32_e32 v48, v27, v136
	buffer_load_dword v239, off, s[0:3], 0 offset:312
	buffer_load_dword v240, off, s[0:3], 0 offset:316
	v_add_f32_e32 v47, v47, v48
	s_waitcnt vmcnt(40)
	v_mul_f32_e32 v48, v28, v139
	v_fmac_f32_e32 v48, v29, v135
	buffer_load_dword v241, off, s[0:3], 0 offset:320
	buffer_load_dword v242, off, s[0:3], 0 offset:324
	v_add_f32_e32 v47, v47, v48
	s_waitcnt lgkmcnt(0)
	v_mul_f32_e32 v48, v30, v134
	v_fmac_f32_e32 v48, v31, v133
	v_add_f32_e32 v47, v47, v48
	ds_read_b128 v[48:51], v222 offset:624
	buffer_load_dword v243, off, s[0:3], 0 offset:328
	buffer_load_dword v244, off, s[0:3], 0 offset:332
	s_waitcnt vmcnt(40)
	v_mul_f32_e32 v52, v32, v141
	v_fmac_f32_e32 v52, v33, v140
	v_add_f32_e32 v47, v47, v52
	ds_read_b128 v[52:55], v222 offset:640
	buffer_load_dword v245, off, s[0:3], 0 offset:336
	buffer_load_dword v246, off, s[0:3], 0 offset:340
	;; [unrolled: 1-line block ×8, first 2 shown]
	s_waitcnt vmcnt(46) lgkmcnt(1)
	v_mul_f32_e32 v56, v48, v143
	v_fmac_f32_e32 v56, v49, v142
	v_add_f32_e32 v47, v47, v56
	s_waitcnt vmcnt(44)
	v_mul_f32_e32 v56, v50, v207
	v_fmac_f32_e32 v56, v51, v206
	v_add_f32_e32 v47, v47, v56
	s_waitcnt vmcnt(42) lgkmcnt(0)
	v_mul_f32_e32 v56, v52, v209
	v_fmac_f32_e32 v56, v53, v208
	v_add_f32_e32 v47, v47, v56
	buffer_load_dword v253, off, s[0:3], 0 offset:368
	buffer_load_dword v254, off, s[0:3], 0 offset:372
	buffer_load_dword v255, off, s[0:3], 0 offset:376
	buffer_load_dword v144, off, s[0:3], 0 offset:380
	ds_read_b128 v[56:59], v222 offset:656
	s_waitcnt vmcnt(44)
	v_mul_f32_e32 v60, v54, v211
	v_fmac_f32_e32 v60, v55, v210
	v_add_f32_e32 v47, v47, v60
	ds_read_b128 v[60:63], v222 offset:672
	s_waitcnt vmcnt(42) lgkmcnt(1)
	v_mul_f32_e32 v64, v56, v213
	v_fmac_f32_e32 v64, v57, v212
	v_add_f32_e32 v47, v47, v64
	s_waitcnt vmcnt(40)
	v_mul_f32_e32 v64, v58, v215
	v_fmac_f32_e32 v64, v59, v214
	v_add_f32_e32 v47, v47, v64
	s_waitcnt vmcnt(38) lgkmcnt(0)
	v_mul_f32_e32 v64, v60, v217
	v_fmac_f32_e32 v64, v61, v216
	v_add_f32_e32 v47, v47, v64
	ds_read_b128 v[64:67], v222 offset:688
	s_waitcnt vmcnt(36)
	v_mul_f32_e32 v68, v62, v219
	v_fmac_f32_e32 v68, v63, v218
	v_add_f32_e32 v47, v47, v68
	ds_read_b128 v[68:71], v222 offset:704
	s_waitcnt vmcnt(34) lgkmcnt(1)
	v_mul_f32_e32 v72, v64, v221
	v_fmac_f32_e32 v72, v65, v220
	v_add_f32_e32 v47, v47, v72
	v_mul_f32_e32 v23, v23, v40
	v_fma_f32 v22, v22, v124, -v23
	v_mul_f32_e32 v23, v25, v39
	v_add_f32_e32 v22, 0, v22
	v_fma_f32 v23, v24, v108, -v23
	v_mul_f32_e32 v19, v19, v41
	v_add_f32_e32 v22, v22, v23
	;; [unrolled: 3-line block ×5, first 2 shown]
	s_waitcnt vmcnt(32)
	v_mul_f32_e32 v72, v66, v224
	v_fmac_f32_e32 v72, v67, v223
	v_add_f32_e32 v47, v47, v72
	s_waitcnt vmcnt(30) lgkmcnt(0)
	v_mul_f32_e32 v72, v68, v226
	v_fmac_f32_e32 v72, v69, v225
	v_add_f32_e32 v47, v47, v72
	ds_read_b128 v[72:75], v222 offset:720
	s_waitcnt vmcnt(28)
	v_mul_f32_e32 v76, v70, v228
	v_fmac_f32_e32 v76, v71, v227
	v_add_f32_e32 v47, v47, v76
	ds_read_b128 v[76:79], v222 offset:736
	s_waitcnt vmcnt(26) lgkmcnt(1)
	v_mul_f32_e32 v80, v72, v230
	v_fmac_f32_e32 v80, v73, v229
	v_add_f32_e32 v47, v47, v80
	s_waitcnt vmcnt(24)
	v_mul_f32_e32 v80, v74, v232
	v_fmac_f32_e32 v80, v75, v231
	v_add_f32_e32 v47, v47, v80
	s_waitcnt vmcnt(22) lgkmcnt(0)
	v_mul_f32_e32 v80, v76, v234
	v_fmac_f32_e32 v80, v77, v233
	v_add_f32_e32 v47, v47, v80
	ds_read_b128 v[80:83], v222 offset:752
	s_waitcnt vmcnt(20)
	v_mul_f32_e32 v84, v78, v236
	v_fmac_f32_e32 v84, v79, v235
	v_add_f32_e32 v47, v47, v84
	ds_read_b128 v[84:87], v222 offset:768
	s_waitcnt vmcnt(18) lgkmcnt(1)
	v_mul_f32_e32 v88, v80, v238
	v_fmac_f32_e32 v88, v81, v237
	v_add_f32_e32 v47, v47, v88
	s_waitcnt vmcnt(16)
	v_mul_f32_e32 v88, v82, v240
	v_fmac_f32_e32 v88, v83, v239
	v_add_f32_e32 v47, v47, v88
	s_waitcnt vmcnt(14) lgkmcnt(0)
	v_mul_f32_e32 v88, v84, v242
	v_fmac_f32_e32 v88, v85, v241
	v_add_f32_e32 v47, v47, v88
	ds_read_b128 v[88:91], v222 offset:784
	s_waitcnt vmcnt(12)
	v_mul_f32_e32 v92, v86, v244
	v_fmac_f32_e32 v92, v87, v243
	v_add_f32_e32 v47, v47, v92
	ds_read_b128 v[92:95], v222 offset:800
	buffer_load_dword v105, off, s[0:3], 0 offset:388
	buffer_load_dword v104, off, s[0:3], 0 offset:384
	s_waitcnt vmcnt(12) lgkmcnt(1)
	v_mul_f32_e32 v96, v88, v246
	v_fmac_f32_e32 v96, v89, v245
	v_add_f32_e32 v47, v47, v96
	s_waitcnt vmcnt(10)
	v_mul_f32_e32 v96, v90, v248
	v_fmac_f32_e32 v96, v91, v247
	v_add_f32_e32 v47, v47, v96
	s_waitcnt vmcnt(8) lgkmcnt(0)
	v_mul_f32_e32 v96, v92, v250
	v_fmac_f32_e32 v96, v93, v249
	s_waitcnt vmcnt(6)
	v_mul_f32_e32 v100, v94, v252
	v_add_f32_e32 v47, v47, v96
	v_fmac_f32_e32 v100, v95, v251
	ds_read_b128 v[96:99], v222 offset:816
	v_add_f32_e32 v47, v47, v100
	ds_read_b128 v[100:103], v222 offset:832
	buffer_load_dword v111, off, s[0:3], 0 offset:420
	buffer_load_dword v110, off, s[0:3], 0 offset:416
	;; [unrolled: 1-line block ×14, first 2 shown]
	v_fma_f32 v15, v16, v126, -v15
	v_mul_f32_e32 v1, v11, v1
	v_add_f32_e32 v14, v14, v15
	v_fma_f32 v1, v10, v125, -v1
	v_mul_f32_e32 v10, v13, v42
	v_add_f32_e32 v1, v14, v1
	;; [unrolled: 3-line block ×3, first 2 shown]
	v_fma_f32 v6, v6, v131, -v7
	v_add_f32_e32 v1, v1, v6
	v_mul_f32_e32 v6, v9, v44
	v_fma_f32 v6, v8, v130, -v6
	v_mul_f32_e32 v3, v3, v45
	v_add_f32_e32 v1, v1, v6
	v_fma_f32 v2, v2, v129, -v3
	v_add_f32_e32 v1, v1, v2
	v_mul_f32_e32 v2, v5, v46
	v_fma_f32 v2, v4, v137, -v2
	v_add_f32_e32 v1, v1, v2
	v_mul_f32_e32 v2, v27, v138
	;; [unrolled: 3-line block ×29, first 2 shown]
	v_fma_f32 v2, v94, v251, -v2
	s_waitcnt vmcnt(15)
	v_mov_b32_e32 v16, v105
	s_waitcnt lgkmcnt(1)
	v_mul_f32_e32 v107, v96, v254
	v_add_f32_e32 v46, v1, v2
	v_mul_f32_e32 v1, v97, v254
	s_waitcnt lgkmcnt(0)
	v_pk_mul_f32 v[16:17], v[100:101], v[16:17] op_sel_hi:[1,0]
	v_fmac_f32_e32 v107, v97, v253
	v_mul_f32_e32 v109, v98, v144
	v_fma_f32 v106, v96, v253, -v1
	v_mul_f32_e32 v1, v99, v144
	s_waitcnt vmcnt(14)
	v_pk_fma_f32 v[18:19], v[100:101], v[104:105], v[16:17] op_sel:[0,0,1] op_sel_hi:[1,1,0] neg_lo:[0,0,1] neg_hi:[0,0,1]
	v_pk_fma_f32 v[16:17], v[100:101], v[104:105], v[16:17] op_sel:[0,0,1] op_sel_hi:[1,0,0]
	v_fmac_f32_e32 v109, v99, v255
	v_fma_f32 v108, v98, v255, -v1
	v_pk_add_f32 v[14:15], v[46:47], v[106:107]
	s_waitcnt vmcnt(7)
	v_mov_b32_e32 v16, v117
	ds_read_b128 v[2:5], v222 offset:848
	ds_read_b128 v[6:9], v222 offset:864
	;; [unrolled: 1-line block ×3, first 2 shown]
	v_pk_add_f32 v[14:15], v[14:15], v[108:109]
	v_mov_b32_e32 v19, v17
	v_pk_mul_f32 v[16:17], v[102:103], v[16:17] op_sel_hi:[1,0]
	v_pk_add_f32 v[14:15], v[14:15], v[18:19]
	s_waitcnt vmcnt(6)
	v_pk_fma_f32 v[18:19], v[102:103], v[116:117], v[16:17] op_sel:[0,0,1] op_sel_hi:[1,1,0] neg_lo:[0,0,1] neg_hi:[0,0,1]
	v_pk_fma_f32 v[16:17], v[102:103], v[116:117], v[16:17] op_sel:[0,0,1] op_sel_hi:[1,0,0]
	v_mov_b32_e32 v16, v115
	v_mov_b32_e32 v19, v17
	s_waitcnt lgkmcnt(2)
	v_pk_mul_f32 v[16:17], v[2:3], v[16:17] op_sel_hi:[1,0]
	v_pk_add_f32 v[14:15], v[14:15], v[18:19]
	v_pk_fma_f32 v[18:19], v[2:3], v[114:115], v[16:17] op_sel:[0,0,1] op_sel_hi:[1,1,0] neg_lo:[0,0,1] neg_hi:[0,0,1]
	v_pk_fma_f32 v[2:3], v[2:3], v[114:115], v[16:17] op_sel:[0,0,1] op_sel_hi:[1,0,0]
	v_mov_b32_e32 v19, v3
	v_pk_add_f32 v[2:3], v[14:15], v[18:19]
	v_mov_b32_e32 v14, v113
	v_pk_mul_f32 v[14:15], v[4:5], v[14:15] op_sel_hi:[1,0]
	v_pk_fma_f32 v[16:17], v[4:5], v[112:113], v[14:15] op_sel:[0,0,1] op_sel_hi:[1,1,0] neg_lo:[0,0,1] neg_hi:[0,0,1]
	v_pk_fma_f32 v[4:5], v[4:5], v[112:113], v[14:15] op_sel:[0,0,1] op_sel_hi:[1,0,0]
	v_mov_b32_e32 v4, v111
	v_mov_b32_e32 v17, v5
	s_waitcnt lgkmcnt(1)
	v_pk_mul_f32 v[4:5], v[6:7], v[4:5] op_sel_hi:[1,0]
	v_pk_fma_f32 v[14:15], v[6:7], v[110:111], v[4:5] op_sel:[0,0,1] op_sel_hi:[1,1,0] neg_lo:[0,0,1] neg_hi:[0,0,1]
	v_pk_fma_f32 v[4:5], v[6:7], v[110:111], v[4:5] op_sel:[0,0,1] op_sel_hi:[1,0,0]
	s_waitcnt vmcnt(1)
	v_mov_b32_e32 v4, v123
	v_mov_b32_e32 v15, v5
	v_pk_mul_f32 v[4:5], v[8:9], v[4:5] op_sel_hi:[1,0]
	s_waitcnt vmcnt(0)
	v_pk_fma_f32 v[6:7], v[8:9], v[122:123], v[4:5] op_sel:[0,0,1] op_sel_hi:[1,1,0] neg_lo:[0,0,1] neg_hi:[0,0,1]
	v_pk_fma_f32 v[4:5], v[8:9], v[122:123], v[4:5] op_sel:[0,0,1] op_sel_hi:[1,0,0]
	v_pk_add_f32 v[2:3], v[2:3], v[16:17]
	v_mov_b32_e32 v4, v121
	v_pk_add_f32 v[2:3], v[2:3], v[14:15]
	v_mov_b32_e32 v7, v5
	s_waitcnt lgkmcnt(0)
	v_pk_mul_f32 v[4:5], v[10:11], v[4:5] op_sel_hi:[1,0]
	v_pk_add_f32 v[2:3], v[2:3], v[6:7]
	v_pk_fma_f32 v[6:7], v[10:11], v[120:121], v[4:5] op_sel:[0,0,1] op_sel_hi:[1,1,0] neg_lo:[0,0,1] neg_hi:[0,0,1]
	v_pk_fma_f32 v[4:5], v[10:11], v[120:121], v[4:5] op_sel:[0,0,1] op_sel_hi:[1,0,0]
	v_mov_b32_e32 v4, v119
	v_mov_b32_e32 v7, v5
	v_pk_mul_f32 v[4:5], v[12:13], v[4:5] op_sel_hi:[1,0]
	v_pk_add_f32 v[2:3], v[2:3], v[6:7]
	v_pk_fma_f32 v[6:7], v[12:13], v[118:119], v[4:5] op_sel:[0,0,1] op_sel_hi:[1,1,0] neg_lo:[0,0,1] neg_hi:[0,0,1]
	v_pk_fma_f32 v[4:5], v[12:13], v[118:119], v[4:5] op_sel:[0,0,1] op_sel_hi:[1,0,0]
	v_mov_b32_e32 v7, v5
	v_pk_add_f32 v[2:3], v[2:3], v[6:7]
	v_pk_add_f32 v[2:3], v[34:35], v[2:3] neg_lo:[0,1] neg_hi:[0,1]
	buffer_store_dword v3, off, s[0:3], 0 offset:44
	buffer_store_dword v2, off, s[0:3], 0 offset:40
	s_and_saveexec_b64 s[4:5], vcc
	s_cbranch_execz .LBB55_341
; %bb.340:
	buffer_load_dword v2, off, s[0:3], 0 offset:32
	buffer_load_dword v3, off, s[0:3], 0 offset:36
	v_mov_b32_e32 v1, 0
	buffer_store_dword v1, off, s[0:3], 0 offset:32
	buffer_store_dword v1, off, s[0:3], 0 offset:36
	s_waitcnt vmcnt(2)
	ds_write_b64 v161, v[2:3]
.LBB55_341:
	s_or_b64 exec, exec, s[4:5]
	s_waitcnt lgkmcnt(0)
	; wave barrier
	s_waitcnt lgkmcnt(0)
	buffer_load_dword v45, off, s[0:3], 0 offset:44
	buffer_load_dword v43, off, s[0:3], 0 offset:52
	;; [unrolled: 1-line block ×48, first 2 shown]
	v_mov_b32_e32 v44, 0
	ds_read2_b64 v[22:25], v44 offset0:61 offset1:62
	ds_read2_b64 v[18:21], v44 offset0:63 offset1:64
	;; [unrolled: 1-line block ×6, first 2 shown]
	buffer_load_dword v217, off, s[0:3], 0 offset:224
	buffer_load_dword v218, off, s[0:3], 0 offset:228
	v_cmp_lt_u32_e32 vcc, 3, v0
	s_waitcnt vmcnt(49) lgkmcnt(5)
	v_mul_f32_e32 v26, v22, v45
	s_waitcnt vmcnt(48)
	v_mul_f32_e32 v27, v24, v43
	s_waitcnt vmcnt(47) lgkmcnt(4)
	v_mul_f32_e32 v29, v20, v42
	s_waitcnt vmcnt(46) lgkmcnt(3)
	v_mul_f32_e32 v30, v14, v41
	s_waitcnt vmcnt(45)
	v_mul_f32_e32 v31, v16, v40
	s_waitcnt vmcnt(44) lgkmcnt(2)
	v_mul_f32_e32 v32, v10, v1
	s_waitcnt vmcnt(43)
	v_mul_f32_e32 v28, v18, v46
	s_waitcnt vmcnt(42)
	v_mul_f32_e32 v33, v12, v47
	s_waitcnt vmcnt(41) lgkmcnt(1)
	v_mul_f32_e32 v34, v6, v48
	s_waitcnt vmcnt(40)
	v_mul_f32_e32 v35, v8, v49
	s_waitcnt vmcnt(39) lgkmcnt(0)
	v_mul_f32_e32 v36, v2, v50
	s_waitcnt vmcnt(38)
	v_mul_f32_e32 v37, v4, v51
	s_waitcnt vmcnt(37)
	v_fmac_f32_e32 v28, v19, v57
	s_waitcnt vmcnt(36)
	v_fmac_f32_e32 v27, v25, v60
	;; [unrolled: 2-line block ×3, first 2 shown]
	v_add_f32_e32 v26, 0, v26
	v_add_f32_e32 v26, v26, v27
	;; [unrolled: 1-line block ×3, first 2 shown]
	s_waitcnt vmcnt(31)
	v_fmac_f32_e32 v29, v21, v62
	v_fmac_f32_e32 v30, v15, v59
	v_add_f32_e32 v26, v26, v29
	v_fmac_f32_e32 v31, v17, v56
	v_add_f32_e32 v26, v26, v30
	;; [unrolled: 2-line block ×3, first 2 shown]
	s_waitcnt vmcnt(27)
	v_fmac_f32_e32 v33, v13, v58
	v_add_f32_e32 v26, v26, v32
	v_fmac_f32_e32 v34, v7, v55
	v_add_f32_e32 v26, v26, v33
	v_fmac_f32_e32 v35, v9, v53
	v_add_f32_e32 v26, v26, v34
	v_fmac_f32_e32 v36, v3, v52
	v_add_f32_e32 v26, v26, v35
	s_waitcnt vmcnt(22)
	v_fmac_f32_e32 v37, v5, v138
	v_add_f32_e32 v26, v26, v36
	v_add_f32_e32 v34, v26, v37
	ds_read2_b64 v[26:29], v44 offset0:73 offset1:74
	buffer_load_dword v219, off, s[0:3], 0 offset:232
	buffer_load_dword v220, off, s[0:3], 0 offset:236
	ds_read2_b64 v[30:33], v44 offset0:75 offset1:76
	buffer_load_dword v221, off, s[0:3], 0 offset:240
	buffer_load_dword v222, off, s[0:3], 0 offset:244
	;; [unrolled: 1-line block ×12, first 2 shown]
	s_waitcnt vmcnt(35) lgkmcnt(1)
	v_mul_f32_e32 v35, v26, v139
	v_fmac_f32_e32 v35, v27, v137
	buffer_load_dword v233, off, s[0:3], 0 offset:288
	buffer_load_dword v234, off, s[0:3], 0 offset:292
	v_add_f32_e32 v34, v34, v35
	s_waitcnt vmcnt(36)
	v_mul_f32_e32 v35, v28, v140
	v_fmac_f32_e32 v35, v29, v136
	v_add_f32_e32 v34, v34, v35
	s_waitcnt lgkmcnt(0)
	v_mul_f32_e32 v35, v30, v118
	buffer_load_dword v235, off, s[0:3], 0 offset:296
	buffer_load_dword v236, off, s[0:3], 0 offset:300
	v_fmac_f32_e32 v35, v31, v61
	v_add_f32_e32 v63, v34, v35
	ds_read2_b64 v[34:37], v44 offset0:77 offset1:78
	buffer_load_dword v237, off, s[0:3], 0 offset:304
	buffer_load_dword v238, off, s[0:3], 0 offset:308
	;; [unrolled: 1-line block ×4, first 2 shown]
	s_waitcnt vmcnt(38)
	v_mul_f32_e32 v64, v32, v142
	v_fmac_f32_e32 v64, v33, v141
	v_add_f32_e32 v63, v63, v64
	ds_read2_b64 v[64:67], v44 offset0:79 offset1:80
	buffer_load_dword v241, off, s[0:3], 0 offset:320
	buffer_load_dword v242, off, s[0:3], 0 offset:324
	;; [unrolled: 1-line block ×10, first 2 shown]
	s_waitcnt vmcnt(46) lgkmcnt(1)
	v_mul_f32_e32 v68, v34, v144
	v_fmac_f32_e32 v68, v35, v143
	v_add_f32_e32 v63, v63, v68
	s_waitcnt vmcnt(44)
	v_mul_f32_e32 v68, v36, v206
	v_fmac_f32_e32 v68, v37, v145
	v_add_f32_e32 v63, v63, v68
	s_waitcnt vmcnt(42) lgkmcnt(0)
	v_mul_f32_e32 v68, v64, v208
	v_fmac_f32_e32 v68, v65, v207
	v_add_f32_e32 v63, v63, v68
	buffer_load_dword v251, off, s[0:3], 0 offset:360
	buffer_load_dword v252, off, s[0:3], 0 offset:364
	;; [unrolled: 1-line block ×6, first 2 shown]
	ds_read2_b64 v[68:71], v44 offset0:81 offset1:82
	s_waitcnt vmcnt(46)
	v_mul_f32_e32 v72, v66, v210
	v_fmac_f32_e32 v72, v67, v209
	v_add_f32_e32 v63, v63, v72
	ds_read2_b64 v[72:75], v44 offset0:83 offset1:84
	s_waitcnt vmcnt(44) lgkmcnt(1)
	v_mul_f32_e32 v76, v68, v212
	v_fmac_f32_e32 v76, v69, v211
	v_add_f32_e32 v63, v63, v76
	s_waitcnt vmcnt(42)
	v_mul_f32_e32 v76, v70, v214
	v_fmac_f32_e32 v76, v71, v213
	v_add_f32_e32 v63, v63, v76
	s_waitcnt vmcnt(40) lgkmcnt(0)
	v_mul_f32_e32 v76, v72, v216
	v_fmac_f32_e32 v76, v73, v215
	v_add_f32_e32 v63, v63, v76
	ds_read2_b64 v[76:79], v44 offset0:85 offset1:86
	s_waitcnt vmcnt(38)
	v_mul_f32_e32 v80, v74, v218
	v_fmac_f32_e32 v80, v75, v217
	v_add_f32_e32 v63, v63, v80
	ds_read2_b64 v[80:83], v44 offset0:87 offset1:88
	v_mul_f32_e32 v23, v23, v45
	v_fma_f32 v22, v22, v116, -v23
	v_mul_f32_e32 v23, v25, v43
	v_add_f32_e32 v22, 0, v22
	v_fma_f32 v23, v24, v60, -v23
	v_mul_f32_e32 v19, v19, v46
	v_add_f32_e32 v22, v22, v23
	;; [unrolled: 3-line block ×6, first 2 shown]
	v_fma_f32 v1, v10, v54, -v1
	s_waitcnt vmcnt(36) lgkmcnt(1)
	v_mul_f32_e32 v84, v76, v220
	v_fmac_f32_e32 v84, v77, v219
	v_add_f32_e32 v63, v63, v84
	s_waitcnt vmcnt(34)
	v_mul_f32_e32 v84, v78, v222
	v_fmac_f32_e32 v84, v79, v221
	v_add_f32_e32 v63, v63, v84
	s_waitcnt vmcnt(32) lgkmcnt(0)
	v_mul_f32_e32 v84, v80, v224
	v_fmac_f32_e32 v84, v81, v223
	v_add_f32_e32 v63, v63, v84
	ds_read2_b64 v[84:87], v44 offset0:89 offset1:90
	s_waitcnt vmcnt(30)
	v_mul_f32_e32 v88, v82, v226
	v_fmac_f32_e32 v88, v83, v225
	v_add_f32_e32 v63, v63, v88
	ds_read2_b64 v[88:91], v44 offset0:91 offset1:92
	s_waitcnt vmcnt(28) lgkmcnt(1)
	v_mul_f32_e32 v92, v84, v228
	v_fmac_f32_e32 v92, v85, v227
	v_add_f32_e32 v63, v63, v92
	s_waitcnt vmcnt(26)
	v_mul_f32_e32 v92, v86, v230
	v_fmac_f32_e32 v92, v87, v229
	v_add_f32_e32 v63, v63, v92
	s_waitcnt vmcnt(24) lgkmcnt(0)
	v_mul_f32_e32 v92, v88, v232
	v_fmac_f32_e32 v92, v89, v231
	v_add_f32_e32 v63, v63, v92
	ds_read2_b64 v[92:95], v44 offset0:93 offset1:94
	s_waitcnt vmcnt(22)
	v_mul_f32_e32 v96, v90, v234
	v_fmac_f32_e32 v96, v91, v233
	v_add_f32_e32 v63, v63, v96
	ds_read2_b64 v[96:99], v44 offset0:95 offset1:96
	;; [unrolled: 18-line block ×3, first 2 shown]
	s_waitcnt vmcnt(12) lgkmcnt(1)
	v_mul_f32_e32 v108, v100, v244
	v_fmac_f32_e32 v108, v101, v243
	v_add_f32_e32 v63, v63, v108
	s_waitcnt vmcnt(10)
	v_mul_f32_e32 v108, v102, v246
	v_fmac_f32_e32 v108, v103, v245
	v_add_f32_e32 v63, v63, v108
	s_waitcnt vmcnt(8) lgkmcnt(0)
	v_mul_f32_e32 v108, v104, v248
	v_fmac_f32_e32 v108, v105, v247
	s_waitcnt vmcnt(6)
	v_mul_f32_e32 v112, v106, v250
	v_add_f32_e32 v63, v63, v108
	v_fmac_f32_e32 v112, v107, v249
	ds_read2_b64 v[108:111], v44 offset0:101 offset1:102
	v_add_f32_e32 v63, v63, v112
	ds_read2_b64 v[112:115], v44 offset0:103 offset1:104
	buffer_load_dword v121, off, s[0:3], 0 offset:412
	buffer_load_dword v120, off, s[0:3], 0 offset:408
	;; [unrolled: 1-line block ×16, first 2 shown]
	v_mul_f32_e32 v10, v13, v47
	v_add_f32_e32 v1, v14, v1
	v_fma_f32 v10, v12, v58, -v10
	v_mul_f32_e32 v7, v7, v48
	v_add_f32_e32 v1, v1, v10
	v_fma_f32 v6, v6, v55, -v7
	v_add_f32_e32 v1, v1, v6
	v_mul_f32_e32 v6, v9, v49
	v_fma_f32 v6, v8, v53, -v6
	v_mul_f32_e32 v3, v3, v50
	v_add_f32_e32 v1, v1, v6
	v_fma_f32 v2, v2, v52, -v3
	v_add_f32_e32 v1, v1, v2
	v_mul_f32_e32 v2, v5, v51
	v_fma_f32 v2, v4, v138, -v2
	v_add_f32_e32 v1, v1, v2
	v_mul_f32_e32 v2, v27, v139
	;; [unrolled: 3-line block ×29, first 2 shown]
	v_fma_f32 v2, v106, v249, -v2
	s_waitcnt vmcnt(20) lgkmcnt(1)
	v_mul_f32_e32 v117, v108, v252
	v_add_f32_e32 v1, v1, v2
	v_mul_f32_e32 v2, v109, v252
	v_fmac_f32_e32 v117, v109, v251
	v_fma_f32 v2, v108, v251, -v2
	s_waitcnt vmcnt(9)
	v_mov_b32_e32 v18, v127
	v_add_f32_e32 v63, v63, v117
	v_mul_f32_e32 v117, v110, v254
	v_add_f32_e32 v62, v1, v2
	v_mul_f32_e32 v1, v111, v254
	s_waitcnt lgkmcnt(0)
	v_pk_mul_f32 v[18:19], v[114:115], v[18:19] op_sel_hi:[1,0]
	v_fmac_f32_e32 v117, v111, v253
	v_mul_f32_e32 v119, v112, v146
	v_fma_f32 v116, v110, v253, -v1
	v_mul_f32_e32 v1, v113, v146
	ds_read2_b64 v[2:5], v44 offset0:105 offset1:106
	ds_read2_b64 v[6:9], v44 offset0:107 offset1:108
	;; [unrolled: 1-line block ×3, first 2 shown]
	ds_read_b64 v[14:15], v44 offset:888
	s_waitcnt vmcnt(8)
	v_pk_fma_f32 v[20:21], v[114:115], v[126:127], v[18:19] op_sel:[0,0,1] op_sel_hi:[1,1,0] neg_lo:[0,0,1] neg_hi:[0,0,1]
	v_pk_fma_f32 v[18:19], v[114:115], v[126:127], v[18:19] op_sel:[0,0,1] op_sel_hi:[1,0,0]
	v_fmac_f32_e32 v119, v113, v255
	v_fma_f32 v118, v112, v255, -v1
	v_pk_add_f32 v[16:17], v[62:63], v[116:117]
	v_mov_b32_e32 v18, v125
	v_pk_add_f32 v[16:17], v[16:17], v[118:119]
	v_mov_b32_e32 v21, v19
	s_waitcnt lgkmcnt(3)
	v_pk_mul_f32 v[18:19], v[2:3], v[18:19] op_sel_hi:[1,0]
	v_pk_add_f32 v[16:17], v[16:17], v[20:21]
	v_pk_fma_f32 v[20:21], v[2:3], v[124:125], v[18:19] op_sel:[0,0,1] op_sel_hi:[1,1,0] neg_lo:[0,0,1] neg_hi:[0,0,1]
	v_pk_fma_f32 v[2:3], v[2:3], v[124:125], v[18:19] op_sel:[0,0,1] op_sel_hi:[1,0,0]
	v_mov_b32_e32 v21, v3
	v_pk_add_f32 v[2:3], v[16:17], v[20:21]
	v_mov_b32_e32 v16, v123
	v_pk_mul_f32 v[16:17], v[4:5], v[16:17] op_sel_hi:[1,0]
	v_pk_fma_f32 v[18:19], v[4:5], v[122:123], v[16:17] op_sel:[0,0,1] op_sel_hi:[1,1,0] neg_lo:[0,0,1] neg_hi:[0,0,1]
	v_pk_fma_f32 v[4:5], v[4:5], v[122:123], v[16:17] op_sel:[0,0,1] op_sel_hi:[1,0,0]
	v_mov_b32_e32 v4, v121
	v_mov_b32_e32 v19, v5
	s_waitcnt lgkmcnt(2)
	v_pk_mul_f32 v[4:5], v[6:7], v[4:5] op_sel_hi:[1,0]
	v_pk_fma_f32 v[16:17], v[6:7], v[120:121], v[4:5] op_sel:[0,0,1] op_sel_hi:[1,1,0] neg_lo:[0,0,1] neg_hi:[0,0,1]
	v_pk_fma_f32 v[4:5], v[6:7], v[120:121], v[4:5] op_sel:[0,0,1] op_sel_hi:[1,0,0]
	s_waitcnt vmcnt(1)
	v_mov_b32_e32 v4, v135
	v_mov_b32_e32 v17, v5
	v_pk_mul_f32 v[4:5], v[8:9], v[4:5] op_sel_hi:[1,0]
	s_waitcnt vmcnt(0)
	v_pk_fma_f32 v[6:7], v[8:9], v[134:135], v[4:5] op_sel:[0,0,1] op_sel_hi:[1,1,0] neg_lo:[0,0,1] neg_hi:[0,0,1]
	v_pk_fma_f32 v[4:5], v[8:9], v[134:135], v[4:5] op_sel:[0,0,1] op_sel_hi:[1,0,0]
	v_pk_add_f32 v[2:3], v[2:3], v[18:19]
	v_mov_b32_e32 v4, v133
	v_pk_add_f32 v[2:3], v[2:3], v[16:17]
	v_mov_b32_e32 v7, v5
	s_waitcnt lgkmcnt(1)
	v_pk_mul_f32 v[4:5], v[10:11], v[4:5] op_sel_hi:[1,0]
	v_pk_add_f32 v[2:3], v[2:3], v[6:7]
	v_pk_fma_f32 v[6:7], v[10:11], v[132:133], v[4:5] op_sel:[0,0,1] op_sel_hi:[1,1,0] neg_lo:[0,0,1] neg_hi:[0,0,1]
	v_pk_fma_f32 v[4:5], v[10:11], v[132:133], v[4:5] op_sel:[0,0,1] op_sel_hi:[1,0,0]
	v_mov_b32_e32 v4, v131
	v_mov_b32_e32 v7, v5
	v_pk_mul_f32 v[4:5], v[12:13], v[4:5] op_sel_hi:[1,0]
	v_pk_add_f32 v[2:3], v[2:3], v[6:7]
	v_pk_fma_f32 v[6:7], v[12:13], v[130:131], v[4:5] op_sel:[0,0,1] op_sel_hi:[1,1,0] neg_lo:[0,0,1] neg_hi:[0,0,1]
	v_pk_fma_f32 v[4:5], v[12:13], v[130:131], v[4:5] op_sel:[0,0,1] op_sel_hi:[1,0,0]
	v_mov_b32_e32 v4, v129
	v_mov_b32_e32 v7, v5
	s_waitcnt lgkmcnt(0)
	v_pk_mul_f32 v[4:5], v[14:15], v[4:5] op_sel_hi:[1,0]
	v_pk_add_f32 v[2:3], v[2:3], v[6:7]
	v_pk_fma_f32 v[6:7], v[14:15], v[128:129], v[4:5] op_sel:[0,0,1] op_sel_hi:[1,1,0] neg_lo:[0,0,1] neg_hi:[0,0,1]
	v_pk_fma_f32 v[4:5], v[14:15], v[128:129], v[4:5] op_sel:[0,0,1] op_sel_hi:[1,0,0]
	v_mov_b32_e32 v7, v5
	v_pk_add_f32 v[2:3], v[2:3], v[6:7]
	v_pk_add_f32 v[2:3], v[38:39], v[2:3] neg_lo:[0,1] neg_hi:[0,1]
	buffer_store_dword v3, off, s[0:3], 0 offset:36
	buffer_store_dword v2, off, s[0:3], 0 offset:32
	s_and_saveexec_b64 s[4:5], vcc
	s_cbranch_execz .LBB55_343
; %bb.342:
	buffer_load_dword v2, off, s[0:3], 0 offset:24
	buffer_load_dword v3, off, s[0:3], 0 offset:28
	s_waitcnt vmcnt(0)
	ds_write_b64 v161, v[2:3]
	buffer_store_dword v44, off, s[0:3], 0 offset:24
	buffer_store_dword v44, off, s[0:3], 0 offset:28
.LBB55_343:
	s_or_b64 exec, exec, s[4:5]
	s_waitcnt lgkmcnt(0)
	; wave barrier
	s_waitcnt lgkmcnt(0)
	buffer_load_dword v49, off, s[0:3], 0 offset:36
	buffer_load_dword v48, off, s[0:3], 0 offset:44
	;; [unrolled: 1-line block ×32, first 2 shown]
	ds_read_b128 v[26:29], v44 offset:480
	ds_read_b128 v[22:25], v44 offset:496
	;; [unrolled: 1-line block ×4, first 2 shown]
	buffer_load_dword v141, off, s[0:3], 0 offset:152
	buffer_load_dword v142, off, s[0:3], 0 offset:156
	ds_read_b128 v[14:17], v44 offset:544
	ds_read_b128 v[6:9], v44 offset:560
	;; [unrolled: 1-line block ×3, first 2 shown]
	buffer_load_dword v143, off, s[0:3], 0 offset:160
	buffer_load_dword v144, off, s[0:3], 0 offset:164
	;; [unrolled: 1-line block ×16, first 2 shown]
	v_cmp_lt_u32_e32 vcc, 2, v0
	s_waitcnt vmcnt(49) lgkmcnt(6)
	v_mul_f32_e32 v30, v26, v49
	s_waitcnt vmcnt(48)
	v_mul_f32_e32 v31, v28, v48
	s_waitcnt vmcnt(47) lgkmcnt(5)
	v_mul_f32_e32 v33, v24, v47
	s_waitcnt vmcnt(46) lgkmcnt(4)
	v_mul_f32_e32 v34, v18, v46
	s_waitcnt vmcnt(45)
	v_mul_f32_e32 v35, v20, v1
	s_waitcnt vmcnt(44)
	v_mul_f32_e32 v32, v22, v50
	s_waitcnt vmcnt(43) lgkmcnt(3)
	v_mul_f32_e32 v36, v10, v45
	s_waitcnt vmcnt(42)
	v_mul_f32_e32 v37, v12, v51
	s_waitcnt vmcnt(41) lgkmcnt(2)
	;; [unrolled: 4-line block ×3, first 2 shown]
	v_mul_f32_e32 v40, v6, v54
	s_waitcnt vmcnt(38)
	v_mul_f32_e32 v41, v8, v55
	s_waitcnt vmcnt(37)
	v_fmac_f32_e32 v32, v23, v61
	s_waitcnt vmcnt(36)
	v_fmac_f32_e32 v31, v29, v64
	;; [unrolled: 2-line block ×3, first 2 shown]
	v_add_f32_e32 v30, 0, v30
	v_add_f32_e32 v30, v30, v31
	;; [unrolled: 1-line block ×3, first 2 shown]
	s_waitcnt vmcnt(31)
	v_fmac_f32_e32 v33, v25, v65
	v_fmac_f32_e32 v34, v19, v63
	v_add_f32_e32 v30, v30, v33
	v_fmac_f32_e32 v35, v21, v60
	v_add_f32_e32 v30, v30, v34
	;; [unrolled: 2-line block ×3, first 2 shown]
	s_waitcnt vmcnt(27)
	v_fmac_f32_e32 v37, v13, v62
	v_add_f32_e32 v30, v30, v36
	v_fmac_f32_e32 v38, v15, v59
	v_add_f32_e32 v30, v30, v37
	;; [unrolled: 2-line block ×4, first 2 shown]
	s_waitcnt vmcnt(23)
	v_fmac_f32_e32 v41, v9, v137
	v_add_f32_e32 v30, v30, v40
	v_add_f32_e32 v34, v30, v41
	ds_read_b128 v[30:33], v44 offset:592
	buffer_load_dword v217, off, s[0:3], 0 offset:224
	buffer_load_dword v218, off, s[0:3], 0 offset:228
	;; [unrolled: 1-line block ×12, first 2 shown]
	s_waitcnt vmcnt(34) lgkmcnt(1)
	v_mul_f32_e32 v35, v2, v138
	v_fmac_f32_e32 v35, v3, v136
	buffer_load_dword v229, off, s[0:3], 0 offset:272
	buffer_load_dword v230, off, s[0:3], 0 offset:276
	v_add_f32_e32 v34, v34, v35
	s_waitcnt vmcnt(35)
	v_mul_f32_e32 v35, v4, v139
	v_fmac_f32_e32 v35, v5, v124
	v_add_f32_e32 v34, v34, v35
	s_waitcnt vmcnt(34) lgkmcnt(0)
	v_mul_f32_e32 v35, v30, v140
	v_fmac_f32_e32 v35, v31, v66
	buffer_load_dword v231, off, s[0:3], 0 offset:280
	buffer_load_dword v232, off, s[0:3], 0 offset:284
	v_add_f32_e32 v34, v34, v35
	s_waitcnt vmcnt(32)
	v_mul_f32_e32 v35, v32, v142
	v_fmac_f32_e32 v35, v33, v141
	v_add_f32_e32 v67, v34, v35
	ds_read_b128 v[34:37], v44 offset:608
	buffer_load_dword v233, off, s[0:3], 0 offset:288
	buffer_load_dword v234, off, s[0:3], 0 offset:292
	ds_read_b128 v[38:41], v44 offset:624
	buffer_load_dword v235, off, s[0:3], 0 offset:296
	buffer_load_dword v236, off, s[0:3], 0 offset:300
	;; [unrolled: 1-line block ×14, first 2 shown]
	s_waitcnt vmcnt(46) lgkmcnt(1)
	v_mul_f32_e32 v68, v34, v144
	v_fmac_f32_e32 v68, v35, v143
	v_add_f32_e32 v67, v67, v68
	s_waitcnt vmcnt(44)
	v_mul_f32_e32 v68, v36, v146
	v_fmac_f32_e32 v68, v37, v145
	v_add_f32_e32 v67, v67, v68
	s_waitcnt vmcnt(42) lgkmcnt(0)
	v_mul_f32_e32 v68, v38, v206
	v_fmac_f32_e32 v68, v39, v147
	v_add_f32_e32 v67, v67, v68
	buffer_load_dword v249, off, s[0:3], 0 offset:352
	buffer_load_dword v250, off, s[0:3], 0 offset:356
	ds_read_b128 v[68:71], v44 offset:640
	s_waitcnt vmcnt(42)
	v_mul_f32_e32 v72, v40, v208
	v_fmac_f32_e32 v72, v41, v207
	buffer_load_dword v251, off, s[0:3], 0 offset:360
	buffer_load_dword v252, off, s[0:3], 0 offset:364
	v_add_f32_e32 v67, v67, v72
	buffer_load_dword v253, off, s[0:3], 0 offset:368
	buffer_load_dword v254, off, s[0:3], 0 offset:372
	ds_read_b128 v[72:75], v44 offset:656
	s_waitcnt vmcnt(44) lgkmcnt(1)
	v_mul_f32_e32 v76, v68, v210
	v_fmac_f32_e32 v76, v69, v209
	v_add_f32_e32 v67, v67, v76
	s_waitcnt vmcnt(42)
	v_mul_f32_e32 v76, v70, v212
	v_fmac_f32_e32 v76, v71, v211
	v_add_f32_e32 v67, v67, v76
	s_waitcnt vmcnt(40) lgkmcnt(0)
	v_mul_f32_e32 v76, v72, v214
	v_fmac_f32_e32 v76, v73, v213
	buffer_load_dword v255, off, s[0:3], 0 offset:376
	buffer_load_dword v148, off, s[0:3], 0 offset:380
	v_add_f32_e32 v67, v67, v76
	ds_read_b128 v[76:79], v44 offset:672
	s_waitcnt vmcnt(40)
	v_mul_f32_e32 v80, v74, v216
	v_fmac_f32_e32 v80, v75, v215
	v_add_f32_e32 v67, v67, v80
	ds_read_b128 v[80:83], v44 offset:688
	v_mul_f32_e32 v27, v27, v49
	v_fma_f32 v26, v26, v116, -v27
	v_mul_f32_e32 v27, v29, v48
	v_add_f32_e32 v26, 0, v26
	v_fma_f32 v27, v28, v64, -v27
	v_mul_f32_e32 v23, v23, v50
	v_add_f32_e32 v26, v26, v27
	;; [unrolled: 3-line block ×5, first 2 shown]
	v_fma_f32 v1, v20, v60, -v1
	v_mul_f32_e32 v11, v11, v45
	s_waitcnt vmcnt(38) lgkmcnt(1)
	v_mul_f32_e32 v84, v76, v218
	v_fmac_f32_e32 v84, v77, v217
	v_add_f32_e32 v67, v67, v84
	s_waitcnt vmcnt(36)
	v_mul_f32_e32 v84, v78, v220
	v_fmac_f32_e32 v84, v79, v219
	v_add_f32_e32 v67, v67, v84
	s_waitcnt vmcnt(34) lgkmcnt(0)
	v_mul_f32_e32 v84, v80, v222
	v_fmac_f32_e32 v84, v81, v221
	v_add_f32_e32 v67, v67, v84
	ds_read_b128 v[84:87], v44 offset:704
	s_waitcnt vmcnt(32)
	v_mul_f32_e32 v88, v82, v224
	v_fmac_f32_e32 v88, v83, v223
	v_add_f32_e32 v67, v67, v88
	ds_read_b128 v[88:91], v44 offset:720
	s_waitcnt vmcnt(30) lgkmcnt(1)
	v_mul_f32_e32 v92, v84, v226
	v_fmac_f32_e32 v92, v85, v225
	v_add_f32_e32 v67, v67, v92
	s_waitcnt vmcnt(28)
	v_mul_f32_e32 v92, v86, v228
	v_fmac_f32_e32 v92, v87, v227
	v_add_f32_e32 v67, v67, v92
	s_waitcnt vmcnt(26) lgkmcnt(0)
	v_mul_f32_e32 v92, v88, v230
	v_fmac_f32_e32 v92, v89, v229
	v_add_f32_e32 v67, v67, v92
	ds_read_b128 v[92:95], v44 offset:736
	s_waitcnt vmcnt(24)
	v_mul_f32_e32 v96, v90, v232
	v_fmac_f32_e32 v96, v91, v231
	v_add_f32_e32 v67, v67, v96
	ds_read_b128 v[96:99], v44 offset:752
	;; [unrolled: 18-line block ×3, first 2 shown]
	s_waitcnt vmcnt(14) lgkmcnt(1)
	v_mul_f32_e32 v108, v100, v242
	v_fmac_f32_e32 v108, v101, v241
	v_add_f32_e32 v67, v67, v108
	s_waitcnt vmcnt(12)
	v_mul_f32_e32 v108, v102, v244
	v_fmac_f32_e32 v108, v103, v243
	v_add_f32_e32 v67, v67, v108
	s_waitcnt vmcnt(10) lgkmcnt(0)
	v_mul_f32_e32 v108, v104, v246
	v_fmac_f32_e32 v108, v105, v245
	s_waitcnt vmcnt(8)
	v_mul_f32_e32 v112, v106, v248
	v_add_f32_e32 v67, v67, v108
	v_fmac_f32_e32 v112, v107, v247
	ds_read_b128 v[108:111], v44 offset:800
	v_add_f32_e32 v67, v67, v112
	ds_read_b128 v[112:115], v44 offset:816
	buffer_load_dword v119, off, s[0:3], 0 offset:404
	buffer_load_dword v118, off, s[0:3], 0 offset:400
	;; [unrolled: 1-line block ×6, first 2 shown]
	v_add_f32_e32 v1, v18, v1
	v_fma_f32 v10, v10, v58, -v11
	v_add_f32_e32 v1, v1, v10
	v_mul_f32_e32 v10, v13, v51
	v_fma_f32 v10, v12, v62, -v10
	buffer_load_dword v127, off, s[0:3], 0 offset:436
	buffer_load_dword v126, off, s[0:3], 0 offset:432
	;; [unrolled: 1-line block ×10, first 2 shown]
	v_add_f32_e32 v1, v1, v10
	v_mul_f32_e32 v10, v15, v52
	v_fma_f32 v10, v14, v59, -v10
	v_add_f32_e32 v1, v1, v10
	v_mul_f32_e32 v10, v17, v53
	v_fma_f32 v10, v16, v57, -v10
	v_mul_f32_e32 v7, v7, v54
	v_add_f32_e32 v1, v1, v10
	v_fma_f32 v6, v6, v56, -v7
	v_add_f32_e32 v1, v1, v6
	v_mul_f32_e32 v6, v9, v55
	v_fma_f32 v6, v8, v137, -v6
	v_mul_f32_e32 v3, v3, v138
	v_add_f32_e32 v1, v1, v6
	v_fma_f32 v2, v2, v136, -v3
	v_add_f32_e32 v1, v1, v2
	v_mul_f32_e32 v2, v5, v139
	v_fma_f32 v2, v4, v124, -v2
	v_add_f32_e32 v1, v1, v2
	v_mul_f32_e32 v2, v31, v140
	;; [unrolled: 3-line block ×27, first 2 shown]
	v_fma_f32 v2, v106, v247, -v2
	v_add_f32_e32 v1, v1, v2
	s_waitcnt vmcnt(22) lgkmcnt(1)
	v_mul_f32_e32 v2, v109, v250
	v_mul_f32_e32 v117, v108, v250
	v_fma_f32 v2, v108, v249, -v2
	v_fmac_f32_e32 v117, v109, v249
	v_add_f32_e32 v1, v1, v2
	s_waitcnt vmcnt(20)
	v_mul_f32_e32 v2, v111, v252
	v_add_f32_e32 v67, v67, v117
	v_mul_f32_e32 v117, v110, v252
	v_fma_f32 v2, v110, v251, -v2
	v_fmac_f32_e32 v117, v111, v251
	v_add_f32_e32 v66, v1, v2
	ds_read_b128 v[2:5], v44 offset:832
	ds_read_b128 v[6:9], v44 offset:848
	;; [unrolled: 1-line block ×4, first 2 shown]
	v_add_f32_e32 v67, v67, v117
	s_waitcnt vmcnt(18) lgkmcnt(4)
	v_mul_f32_e32 v117, v112, v254
	v_mul_f32_e32 v1, v113, v254
	s_waitcnt vmcnt(11)
	v_mov_b32_e32 v20, v123
	v_fmac_f32_e32 v117, v113, v253
	v_mul_f32_e32 v125, v114, v148
	v_fma_f32 v116, v112, v253, -v1
	v_mul_f32_e32 v1, v115, v148
	s_waitcnt lgkmcnt(3)
	v_pk_mul_f32 v[20:21], v[2:3], v[20:21] op_sel_hi:[1,0]
	v_fmac_f32_e32 v125, v115, v255
	v_fma_f32 v124, v114, v255, -v1
	v_pk_add_f32 v[18:19], v[66:67], v[116:117]
	s_waitcnt vmcnt(10)
	v_pk_fma_f32 v[22:23], v[2:3], v[122:123], v[20:21] op_sel:[0,0,1] op_sel_hi:[1,1,0] neg_lo:[0,0,1] neg_hi:[0,0,1]
	v_pk_fma_f32 v[2:3], v[2:3], v[122:123], v[20:21] op_sel:[0,0,1] op_sel_hi:[1,0,0]
	v_pk_add_f32 v[18:19], v[18:19], v[124:125]
	v_mov_b32_e32 v23, v3
	v_pk_add_f32 v[2:3], v[18:19], v[22:23]
	v_mov_b32_e32 v18, v121
	v_pk_mul_f32 v[18:19], v[4:5], v[18:19] op_sel_hi:[1,0]
	v_pk_fma_f32 v[20:21], v[4:5], v[120:121], v[18:19] op_sel:[0,0,1] op_sel_hi:[1,1,0] neg_lo:[0,0,1] neg_hi:[0,0,1]
	v_pk_fma_f32 v[4:5], v[4:5], v[120:121], v[18:19] op_sel:[0,0,1] op_sel_hi:[1,0,0]
	v_mov_b32_e32 v4, v119
	v_mov_b32_e32 v21, v5
	s_waitcnt lgkmcnt(2)
	v_pk_mul_f32 v[4:5], v[6:7], v[4:5] op_sel_hi:[1,0]
	v_pk_fma_f32 v[18:19], v[6:7], v[118:119], v[4:5] op_sel:[0,0,1] op_sel_hi:[1,1,0] neg_lo:[0,0,1] neg_hi:[0,0,1]
	v_pk_fma_f32 v[4:5], v[6:7], v[118:119], v[4:5] op_sel:[0,0,1] op_sel_hi:[1,0,0]
	s_waitcnt vmcnt(3)
	v_mov_b32_e32 v4, v133
	v_mov_b32_e32 v19, v5
	v_pk_mul_f32 v[4:5], v[8:9], v[4:5] op_sel_hi:[1,0]
	s_waitcnt vmcnt(2)
	v_pk_fma_f32 v[6:7], v[8:9], v[132:133], v[4:5] op_sel:[0,0,1] op_sel_hi:[1,1,0] neg_lo:[0,0,1] neg_hi:[0,0,1]
	v_pk_fma_f32 v[4:5], v[8:9], v[132:133], v[4:5] op_sel:[0,0,1] op_sel_hi:[1,0,0]
	v_pk_add_f32 v[2:3], v[2:3], v[20:21]
	v_mov_b32_e32 v4, v131
	v_pk_add_f32 v[2:3], v[2:3], v[18:19]
	v_mov_b32_e32 v7, v5
	s_waitcnt lgkmcnt(1)
	v_pk_mul_f32 v[4:5], v[10:11], v[4:5] op_sel_hi:[1,0]
	v_pk_add_f32 v[2:3], v[2:3], v[6:7]
	v_pk_fma_f32 v[6:7], v[10:11], v[130:131], v[4:5] op_sel:[0,0,1] op_sel_hi:[1,1,0] neg_lo:[0,0,1] neg_hi:[0,0,1]
	v_pk_fma_f32 v[4:5], v[10:11], v[130:131], v[4:5] op_sel:[0,0,1] op_sel_hi:[1,0,0]
	v_mov_b32_e32 v4, v129
	v_mov_b32_e32 v7, v5
	v_pk_mul_f32 v[4:5], v[12:13], v[4:5] op_sel_hi:[1,0]
	v_pk_add_f32 v[2:3], v[2:3], v[6:7]
	v_pk_fma_f32 v[6:7], v[12:13], v[128:129], v[4:5] op_sel:[0,0,1] op_sel_hi:[1,1,0] neg_lo:[0,0,1] neg_hi:[0,0,1]
	v_pk_fma_f32 v[4:5], v[12:13], v[128:129], v[4:5] op_sel:[0,0,1] op_sel_hi:[1,0,0]
	v_mov_b32_e32 v4, v127
	v_mov_b32_e32 v7, v5
	s_waitcnt lgkmcnt(0)
	v_pk_mul_f32 v[4:5], v[14:15], v[4:5] op_sel_hi:[1,0]
	v_pk_add_f32 v[2:3], v[2:3], v[6:7]
	v_pk_fma_f32 v[6:7], v[14:15], v[126:127], v[4:5] op_sel:[0,0,1] op_sel_hi:[1,1,0] neg_lo:[0,0,1] neg_hi:[0,0,1]
	v_pk_fma_f32 v[4:5], v[14:15], v[126:127], v[4:5] op_sel:[0,0,1] op_sel_hi:[1,0,0]
	s_waitcnt vmcnt(1)
	v_mov_b32_e32 v4, v135
	v_mov_b32_e32 v7, v5
	v_pk_mul_f32 v[4:5], v[16:17], v[4:5] op_sel_hi:[1,0]
	v_pk_add_f32 v[2:3], v[2:3], v[6:7]
	s_waitcnt vmcnt(0)
	v_pk_fma_f32 v[6:7], v[16:17], v[134:135], v[4:5] op_sel:[0,0,1] op_sel_hi:[1,1,0] neg_lo:[0,0,1] neg_hi:[0,0,1]
	v_pk_fma_f32 v[4:5], v[16:17], v[134:135], v[4:5] op_sel:[0,0,1] op_sel_hi:[1,0,0]
	v_mov_b32_e32 v7, v5
	v_pk_add_f32 v[2:3], v[2:3], v[6:7]
	v_pk_add_f32 v[2:3], v[42:43], v[2:3] neg_lo:[0,1] neg_hi:[0,1]
	buffer_store_dword v3, off, s[0:3], 0 offset:28
	buffer_store_dword v2, off, s[0:3], 0 offset:24
	s_and_saveexec_b64 s[4:5], vcc
	s_cbranch_execz .LBB55_345
; %bb.344:
	buffer_load_dword v2, off, s[0:3], 0 offset:16
	buffer_load_dword v3, off, s[0:3], 0 offset:20
	v_mov_b32_e32 v1, 0
	buffer_store_dword v1, off, s[0:3], 0 offset:16
	buffer_store_dword v1, off, s[0:3], 0 offset:20
	s_waitcnt vmcnt(2)
	ds_write_b64 v161, v[2:3]
.LBB55_345:
	s_or_b64 exec, exec, s[4:5]
	v_mov_b32_e32 v230, 0
	s_waitcnt lgkmcnt(0)
	; wave barrier
	s_waitcnt lgkmcnt(0)
	ds_read2_b64 v[2:5], v230 offset0:59 offset1:60
	buffer_load_dword v206, off, s[0:3], 0 offset:16
	buffer_load_dword v207, off, s[0:3], 0 offset:20
	;; [unrolled: 1-line block ×16, first 2 shown]
	v_cmp_lt_u32_e32 vcc, 1, v0
	s_waitcnt vmcnt(12) lgkmcnt(0)
	v_mul_f32_e32 v1, v2, v231
	v_fmac_f32_e32 v1, v3, v208
	s_waitcnt vmcnt(10)
	v_mul_f32_e32 v6, v4, v233
	v_add_f32_e32 v1, 0, v1
	v_fmac_f32_e32 v6, v5, v210
	v_add_f32_e32 v1, v1, v6
	ds_read2_b64 v[6:9], v230 offset0:61 offset1:62
	v_mul_f32_e32 v3, v3, v231
	v_fma_f32 v2, v2, v208, -v3
	v_mul_f32_e32 v3, v5, v233
	v_add_f32_e32 v2, 0, v2
	s_waitcnt vmcnt(8) lgkmcnt(0)
	v_mul_f32_e32 v10, v6, v235
	v_fmac_f32_e32 v10, v7, v214
	v_add_f32_e32 v1, v1, v10
	s_waitcnt vmcnt(6)
	v_mul_f32_e32 v10, v8, v237
	v_fmac_f32_e32 v10, v9, v232
	v_add_f32_e32 v1, v1, v10
	ds_read2_b64 v[10:13], v230 offset0:63 offset1:64
	v_fma_f32 v3, v4, v210, -v3
	v_add_f32_e32 v2, v2, v3
	v_mul_f32_e32 v3, v7, v235
	v_fma_f32 v3, v6, v214, -v3
	s_waitcnt vmcnt(4) lgkmcnt(0)
	v_mul_f32_e32 v14, v10, v239
	v_fmac_f32_e32 v14, v11, v234
	v_add_f32_e32 v1, v1, v14
	s_waitcnt vmcnt(2)
	v_mul_f32_e32 v14, v12, v240
	v_fmac_f32_e32 v14, v13, v236
	v_add_f32_e32 v1, v1, v14
	ds_read2_b64 v[14:17], v230 offset0:65 offset1:66
	buffer_load_dword v242, off, s[0:3], 0 offset:80
	buffer_load_dword v243, off, s[0:3], 0 offset:84
	v_add_f32_e32 v2, v2, v3
	v_mul_f32_e32 v3, v9, v237
	v_fma_f32 v3, v8, v232, -v3
	s_waitcnt vmcnt(2) lgkmcnt(0)
	v_mul_f32_e32 v18, v14, v241
	v_fmac_f32_e32 v18, v15, v238
	v_add_f32_e32 v1, v1, v18
	v_add_f32_e32 v2, v2, v3
	v_mul_f32_e32 v3, v11, v239
	v_fma_f32 v3, v10, v234, -v3
	v_add_f32_e32 v2, v2, v3
	v_mul_f32_e32 v3, v13, v240
	v_fma_f32 v3, v12, v236, -v3
	;; [unrolled: 3-line block ×3, first 2 shown]
	v_add_f32_e32 v2, v2, v3
	s_waitcnt vmcnt(0)
	v_mul_f32_e32 v18, v16, v243
	v_fmac_f32_e32 v18, v17, v242
	v_add_f32_e32 v1, v1, v18
	ds_read2_b64 v[18:21], v230 offset0:67 offset1:68
	buffer_load_dword v244, off, s[0:3], 0 offset:88
	buffer_load_dword v245, off, s[0:3], 0 offset:92
	;; [unrolled: 1-line block ×4, first 2 shown]
	v_mul_f32_e32 v3, v17, v243
	v_fma_f32 v3, v16, v242, -v3
	v_add_f32_e32 v2, v2, v3
	s_waitcnt vmcnt(2) lgkmcnt(0)
	v_mul_f32_e32 v22, v18, v245
	v_fmac_f32_e32 v22, v19, v244
	v_add_f32_e32 v1, v1, v22
	s_waitcnt vmcnt(0)
	v_mul_f32_e32 v22, v20, v247
	v_fmac_f32_e32 v22, v21, v246
	v_add_f32_e32 v1, v1, v22
	ds_read2_b64 v[22:25], v230 offset0:69 offset1:70
	buffer_load_dword v248, off, s[0:3], 0 offset:104
	buffer_load_dword v249, off, s[0:3], 0 offset:108
	buffer_load_dword v250, off, s[0:3], 0 offset:112
	buffer_load_dword v251, off, s[0:3], 0 offset:116
	v_mul_f32_e32 v3, v19, v245
	v_fma_f32 v3, v18, v244, -v3
	v_add_f32_e32 v2, v2, v3
	v_mul_f32_e32 v3, v21, v247
	v_fma_f32 v3, v20, v246, -v3
	v_add_f32_e32 v2, v2, v3
	s_waitcnt vmcnt(2) lgkmcnt(0)
	v_mul_f32_e32 v26, v22, v249
	v_fmac_f32_e32 v26, v23, v248
	v_add_f32_e32 v1, v1, v26
	s_waitcnt vmcnt(0)
	v_mul_f32_e32 v26, v24, v251
	v_fmac_f32_e32 v26, v25, v250
	v_add_f32_e32 v1, v1, v26
	ds_read2_b64 v[26:29], v230 offset0:71 offset1:72
	buffer_load_dword v252, off, s[0:3], 0 offset:120
	buffer_load_dword v253, off, s[0:3], 0 offset:124
	buffer_load_dword v254, off, s[0:3], 0 offset:128
	buffer_load_dword v255, off, s[0:3], 0 offset:132
	v_mul_f32_e32 v3, v23, v249
	v_fma_f32 v3, v22, v248, -v3
	v_add_f32_e32 v2, v2, v3
	;; [unrolled: 19-line block ×4, first 2 shown]
	v_mul_f32_e32 v2, v33, v96
	v_fma_f32 v2, v32, v95, -v2
	v_add_f32_e32 v1, v1, v2
	s_waitcnt vmcnt(2) lgkmcnt(0)
	v_mul_f32_e32 v39, v34, v98
	v_fmac_f32_e32 v39, v35, v97
	v_add_f32_e32 v38, v38, v39
	s_waitcnt vmcnt(0)
	v_mul_f32_e32 v39, v36, v100
	v_fmac_f32_e32 v39, v37, v99
	v_add_f32_e32 v42, v38, v39
	ds_read2_b64 v[38:41], v230 offset0:77 offset1:78
	buffer_load_dword v101, off, s[0:3], 0 offset:168
	buffer_load_dword v102, off, s[0:3], 0 offset:172
	buffer_load_dword v103, off, s[0:3], 0 offset:176
	buffer_load_dword v104, off, s[0:3], 0 offset:180
	ds_read2_b64 v[46:49], v230 offset0:79 offset1:80
	buffer_load_dword v105, off, s[0:3], 0 offset:184
	buffer_load_dword v106, off, s[0:3], 0 offset:188
	buffer_load_dword v107, off, s[0:3], 0 offset:192
	buffer_load_dword v108, off, s[0:3], 0 offset:196
	;; [unrolled: 5-line block ×13, first 2 shown]
	v_mul_f32_e32 v2, v35, v98
	v_fma_f32 v2, v34, v97, -v2
	v_add_f32_e32 v1, v1, v2
	v_mul_f32_e32 v2, v37, v100
	v_fma_f32 v2, v36, v99, -v2
	v_add_f32_e32 v1, v1, v2
	s_waitcnt vmcnt(50) lgkmcnt(12)
	v_mul_f32_e32 v43, v38, v102
	v_fmac_f32_e32 v43, v39, v101
	v_add_f32_e32 v42, v42, v43
	s_waitcnt vmcnt(48)
	v_mul_f32_e32 v43, v40, v104
	v_fmac_f32_e32 v43, v41, v103
	v_add_f32_e32 v42, v42, v43
	s_waitcnt vmcnt(46) lgkmcnt(11)
	v_mul_f32_e32 v43, v46, v106
	v_fmac_f32_e32 v43, v47, v105
	v_add_f32_e32 v42, v42, v43
	s_waitcnt vmcnt(44)
	v_mul_f32_e32 v43, v48, v108
	v_fmac_f32_e32 v43, v49, v107
	;; [unrolled: 8-line block ×12, first 2 shown]
	v_add_f32_e32 v42, v42, v43
	s_waitcnt vmcnt(2) lgkmcnt(0)
	v_mul_f32_e32 v43, v90, v150
	v_fmac_f32_e32 v43, v91, v149
	v_add_f32_e32 v209, v42, v43
	ds_read2_b64 v[42:45], v230 offset0:103 offset1:104
	buffer_load_dword v153, off, s[0:3], 0 offset:376
	buffer_load_dword v154, off, s[0:3], 0 offset:380
	;; [unrolled: 1-line block ×18, first 2 shown]
	v_mul_f32_e32 v2, v39, v102
	v_fma_f32 v2, v38, v101, -v2
	v_add_f32_e32 v1, v1, v2
	v_mul_f32_e32 v2, v41, v104
	v_fma_f32 v2, v40, v103, -v2
	v_add_f32_e32 v1, v1, v2
	;; [unrolled: 3-line block ×24, first 2 shown]
	v_mul_f32_e32 v2, v91, v150
	v_fma_f32 v2, v90, v149, -v2
	s_waitcnt vmcnt(15)
	v_mov_b32_e32 v18, v213
	v_mul_f32_e32 v211, v92, v152
	v_add_f32_e32 v208, v1, v2
	v_mul_f32_e32 v1, v93, v152
	s_waitcnt lgkmcnt(0)
	v_pk_mul_f32 v[18:19], v[44:45], v[18:19] op_sel_hi:[1,0]
	v_fmac_f32_e32 v211, v93, v151
	v_mul_f32_e32 v215, v42, v154
	v_fma_f32 v210, v92, v151, -v1
	v_mul_f32_e32 v1, v43, v154
	ds_read2_b64 v[2:5], v230 offset0:105 offset1:106
	ds_read2_b64 v[6:9], v230 offset0:107 offset1:108
	;; [unrolled: 1-line block ×3, first 2 shown]
	ds_read_b64 v[14:15], v230 offset:888
	s_waitcnt vmcnt(14)
	v_pk_fma_f32 v[20:21], v[44:45], v[212:213], v[18:19] op_sel:[0,0,1] op_sel_hi:[1,1,0] neg_lo:[0,0,1] neg_hi:[0,0,1]
	v_pk_fma_f32 v[18:19], v[44:45], v[212:213], v[18:19] op_sel:[0,0,1] op_sel_hi:[1,0,0]
	v_fmac_f32_e32 v215, v43, v153
	v_fma_f32 v214, v42, v153, -v1
	v_pk_add_f32 v[16:17], v[208:209], v[210:211]
	s_waitcnt vmcnt(13)
	v_mov_b32_e32 v18, v229
	v_pk_add_f32 v[16:17], v[16:17], v[214:215]
	v_mov_b32_e32 v21, v19
	s_waitcnt lgkmcnt(3)
	v_pk_mul_f32 v[18:19], v[2:3], v[18:19] op_sel_hi:[1,0]
	v_pk_add_f32 v[16:17], v[16:17], v[20:21]
	s_waitcnt vmcnt(12)
	v_pk_fma_f32 v[20:21], v[2:3], v[228:229], v[18:19] op_sel:[0,0,1] op_sel_hi:[1,1,0] neg_lo:[0,0,1] neg_hi:[0,0,1]
	v_pk_fma_f32 v[2:3], v[2:3], v[228:229], v[18:19] op_sel:[0,0,1] op_sel_hi:[1,0,0]
	v_mov_b32_e32 v21, v3
	v_pk_add_f32 v[2:3], v[16:17], v[20:21]
	s_waitcnt vmcnt(11)
	v_mov_b32_e32 v16, v227
	v_pk_mul_f32 v[16:17], v[4:5], v[16:17] op_sel_hi:[1,0]
	s_waitcnt vmcnt(10)
	v_pk_fma_f32 v[18:19], v[4:5], v[226:227], v[16:17] op_sel:[0,0,1] op_sel_hi:[1,1,0] neg_lo:[0,0,1] neg_hi:[0,0,1]
	v_pk_fma_f32 v[4:5], v[4:5], v[226:227], v[16:17] op_sel:[0,0,1] op_sel_hi:[1,0,0]
	s_waitcnt vmcnt(9)
	v_mov_b32_e32 v4, v225
	v_mov_b32_e32 v19, v5
	s_waitcnt lgkmcnt(2)
	v_pk_mul_f32 v[4:5], v[6:7], v[4:5] op_sel_hi:[1,0]
	s_waitcnt vmcnt(8)
	v_pk_fma_f32 v[16:17], v[6:7], v[224:225], v[4:5] op_sel:[0,0,1] op_sel_hi:[1,1,0] neg_lo:[0,0,1] neg_hi:[0,0,1]
	v_pk_fma_f32 v[4:5], v[6:7], v[224:225], v[4:5] op_sel:[0,0,1] op_sel_hi:[1,0,0]
	s_waitcnt vmcnt(7)
	v_mov_b32_e32 v4, v223
	v_mov_b32_e32 v17, v5
	v_pk_mul_f32 v[4:5], v[8:9], v[4:5] op_sel_hi:[1,0]
	s_waitcnt vmcnt(6)
	v_pk_fma_f32 v[6:7], v[8:9], v[222:223], v[4:5] op_sel:[0,0,1] op_sel_hi:[1,1,0] neg_lo:[0,0,1] neg_hi:[0,0,1]
	v_pk_fma_f32 v[4:5], v[8:9], v[222:223], v[4:5] op_sel:[0,0,1] op_sel_hi:[1,0,0]
	v_pk_add_f32 v[2:3], v[2:3], v[18:19]
	s_waitcnt vmcnt(5)
	v_mov_b32_e32 v4, v221
	v_pk_add_f32 v[2:3], v[2:3], v[16:17]
	v_mov_b32_e32 v7, v5
	s_waitcnt lgkmcnt(1)
	v_pk_mul_f32 v[4:5], v[10:11], v[4:5] op_sel_hi:[1,0]
	v_pk_add_f32 v[2:3], v[2:3], v[6:7]
	s_waitcnt vmcnt(4)
	v_pk_fma_f32 v[6:7], v[10:11], v[220:221], v[4:5] op_sel:[0,0,1] op_sel_hi:[1,1,0] neg_lo:[0,0,1] neg_hi:[0,0,1]
	v_pk_fma_f32 v[4:5], v[10:11], v[220:221], v[4:5] op_sel:[0,0,1] op_sel_hi:[1,0,0]
	s_waitcnt vmcnt(3)
	v_mov_b32_e32 v4, v219
	v_mov_b32_e32 v7, v5
	v_pk_mul_f32 v[4:5], v[12:13], v[4:5] op_sel_hi:[1,0]
	v_pk_add_f32 v[2:3], v[2:3], v[6:7]
	s_waitcnt vmcnt(2)
	v_pk_fma_f32 v[6:7], v[12:13], v[218:219], v[4:5] op_sel:[0,0,1] op_sel_hi:[1,1,0] neg_lo:[0,0,1] neg_hi:[0,0,1]
	v_pk_fma_f32 v[4:5], v[12:13], v[218:219], v[4:5] op_sel:[0,0,1] op_sel_hi:[1,0,0]
	s_waitcnt vmcnt(1)
	v_mov_b32_e32 v4, v217
	v_mov_b32_e32 v7, v5
	s_waitcnt lgkmcnt(0)
	v_pk_mul_f32 v[4:5], v[14:15], v[4:5] op_sel_hi:[1,0]
	v_pk_add_f32 v[2:3], v[2:3], v[6:7]
	s_waitcnt vmcnt(0)
	v_pk_fma_f32 v[6:7], v[14:15], v[216:217], v[4:5] op_sel:[0,0,1] op_sel_hi:[1,1,0] neg_lo:[0,0,1] neg_hi:[0,0,1]
	v_pk_fma_f32 v[4:5], v[14:15], v[216:217], v[4:5] op_sel:[0,0,1] op_sel_hi:[1,0,0]
	v_mov_b32_e32 v7, v5
	v_pk_add_f32 v[2:3], v[2:3], v[6:7]
	v_pk_add_f32 v[2:3], v[206:207], v[2:3] neg_lo:[0,1] neg_hi:[0,1]
	buffer_store_dword v3, off, s[0:3], 0 offset:20
	buffer_store_dword v2, off, s[0:3], 0 offset:16
	s_and_saveexec_b64 s[4:5], vcc
	s_cbranch_execz .LBB55_347
; %bb.346:
	buffer_load_dword v2, off, s[0:3], 0 offset:8
	buffer_load_dword v3, off, s[0:3], 0 offset:12
	s_waitcnt vmcnt(0)
	ds_write_b64 v161, v[2:3]
	buffer_store_dword v230, off, s[0:3], 0 offset:8
	buffer_store_dword v230, off, s[0:3], 0 offset:12
.LBB55_347:
	s_or_b64 exec, exec, s[4:5]
	s_waitcnt lgkmcnt(0)
	; wave barrier
	s_waitcnt lgkmcnt(0)
	buffer_load_dword v48, off, s[0:3], 0 offset:20
	buffer_load_dword v47, off, s[0:3], 0 offset:28
	;; [unrolled: 1-line block ×34, first 2 shown]
	ds_read_b128 v[30:33], v230 offset:464
	ds_read_b128 v[26:29], v230 offset:480
	;; [unrolled: 1-line block ×6, first 2 shown]
	buffer_load_dword v150, off, s[0:3], 0 offset:144
	buffer_load_dword v151, off, s[0:3], 0 offset:148
	ds_read_b128 v[10:13], v230 offset:560
	ds_read_b128 v[2:5], v230 offset:576
	buffer_load_dword v152, off, s[0:3], 0 offset:152
	buffer_load_dword v153, off, s[0:3], 0 offset:156
	buffer_load_dword v154, off, s[0:3], 0 offset:160
	buffer_load_dword v155, off, s[0:3], 0 offset:164
	buffer_load_dword v206, off, s[0:3], 0 offset:168
	buffer_load_dword v207, off, s[0:3], 0 offset:172
	buffer_load_dword v208, off, s[0:3], 0 offset:176
	buffer_load_dword v209, off, s[0:3], 0 offset:180
	buffer_load_dword v210, off, s[0:3], 0 offset:184
	buffer_load_dword v211, off, s[0:3], 0 offset:188
	buffer_load_dword v212, off, s[0:3], 0 offset:192
	buffer_load_dword v213, off, s[0:3], 0 offset:196
	buffer_load_dword v214, off, s[0:3], 0 offset:200
	buffer_load_dword v215, off, s[0:3], 0 offset:204
	buffer_load_dword v216, off, s[0:3], 0 offset:208
	buffer_load_dword v217, off, s[0:3], 0 offset:212
	buffer_load_dword v218, off, s[0:3], 0 offset:216
	buffer_load_dword v219, off, s[0:3], 0 offset:220
	buffer_load_dword v220, off, s[0:3], 0 offset:224
	buffer_load_dword v221, off, s[0:3], 0 offset:228
	buffer_load_dword v222, off, s[0:3], 0 offset:232
	buffer_load_dword v223, off, s[0:3], 0 offset:236
	buffer_load_dword v224, off, s[0:3], 0 offset:240
	buffer_load_dword v225, off, s[0:3], 0 offset:244
	v_cmp_ne_u32_e32 vcc, 0, v0
	s_waitcnt vmcnt(59) lgkmcnt(7)
	v_mul_f32_e32 v34, v30, v48
	s_waitcnt vmcnt(58)
	v_mul_f32_e32 v35, v32, v47
	s_waitcnt vmcnt(57) lgkmcnt(6)
	v_mul_f32_e32 v37, v28, v46
	s_waitcnt vmcnt(56) lgkmcnt(5)
	v_mul_f32_e32 v38, v22, v45
	s_waitcnt vmcnt(55)
	v_mul_f32_e32 v39, v24, v1
	s_waitcnt vmcnt(54)
	v_mul_f32_e32 v36, v26, v49
	s_waitcnt vmcnt(53) lgkmcnt(4)
	v_mul_f32_e32 v40, v18, v44
	s_waitcnt vmcnt(52)
	v_mul_f32_e32 v41, v20, v108
	s_waitcnt vmcnt(51) lgkmcnt(3)
	;; [unrolled: 4-line block ×3, first 2 shown]
	v_mul_f32_e32 v52, v6, v128
	s_waitcnt vmcnt(48)
	v_mul_f32_e32 v53, v8, v129
	s_waitcnt vmcnt(47)
	v_fmac_f32_e32 v36, v27, v130
	s_waitcnt vmcnt(46)
	v_fmac_f32_e32 v35, v33, v131
	s_waitcnt vmcnt(45)
	v_fmac_f32_e32 v34, v31, v132
	v_add_f32_e32 v34, 0, v34
	v_add_f32_e32 v34, v34, v35
	;; [unrolled: 1-line block ×3, first 2 shown]
	s_waitcnt vmcnt(41)
	v_fmac_f32_e32 v37, v29, v136
	v_fmac_f32_e32 v38, v23, v135
	v_add_f32_e32 v34, v34, v37
	v_fmac_f32_e32 v39, v25, v134
	v_add_f32_e32 v34, v34, v38
	;; [unrolled: 2-line block ×3, first 2 shown]
	s_waitcnt vmcnt(37)
	v_fmac_f32_e32 v41, v21, v140
	v_add_f32_e32 v34, v34, v40
	v_fmac_f32_e32 v50, v15, v139
	v_add_f32_e32 v34, v34, v41
	;; [unrolled: 2-line block ×4, first 2 shown]
	s_waitcnt vmcnt(33)
	v_fmac_f32_e32 v53, v9, v144
	v_add_f32_e32 v34, v34, v52
	s_waitcnt vmcnt(32) lgkmcnt(1)
	v_mul_f32_e32 v35, v10, v145
	v_add_f32_e32 v34, v34, v53
	v_fmac_f32_e32 v35, v11, v143
	v_add_f32_e32 v34, v34, v35
	s_waitcnt vmcnt(31)
	v_mul_f32_e32 v35, v12, v146
	v_fmac_f32_e32 v35, v13, v142
	v_add_f32_e32 v34, v34, v35
	s_waitcnt vmcnt(30) lgkmcnt(0)
	v_mul_f32_e32 v35, v2, v147
	v_fmac_f32_e32 v35, v3, v141
	v_add_f32_e32 v38, v34, v35
	ds_read_b128 v[34:37], v230 offset:592
	buffer_load_dword v226, off, s[0:3], 0 offset:248
	buffer_load_dword v227, off, s[0:3], 0 offset:252
	buffer_load_dword v228, off, s[0:3], 0 offset:256
	buffer_load_dword v229, off, s[0:3], 0 offset:260
	s_waitcnt vmcnt(32)
	v_mul_f32_e32 v39, v4, v149
	v_fmac_f32_e32 v39, v5, v148
	v_add_f32_e32 v50, v38, v39
	ds_read_b128 v[38:41], v230 offset:608
	buffer_load_dword v231, off, s[0:3], 0 offset:264
	buffer_load_dword v232, off, s[0:3], 0 offset:268
	;; [unrolled: 1-line block ×12, first 2 shown]
	s_waitcnt vmcnt(40) lgkmcnt(1)
	v_mul_f32_e32 v51, v34, v151
	v_fmac_f32_e32 v51, v35, v150
	buffer_load_dword v243, off, s[0:3], 0 offset:312
	buffer_load_dword v244, off, s[0:3], 0 offset:316
	v_add_f32_e32 v50, v50, v51
	s_waitcnt vmcnt(40)
	v_mul_f32_e32 v51, v36, v153
	v_fmac_f32_e32 v51, v37, v152
	buffer_load_dword v245, off, s[0:3], 0 offset:320
	buffer_load_dword v246, off, s[0:3], 0 offset:324
	v_add_f32_e32 v50, v50, v51
	s_waitcnt vmcnt(40) lgkmcnt(0)
	v_mul_f32_e32 v51, v38, v155
	v_fmac_f32_e32 v51, v39, v154
	v_add_f32_e32 v54, v50, v51
	ds_read_b128 v[50:53], v230 offset:624
	buffer_load_dword v247, off, s[0:3], 0 offset:328
	buffer_load_dword v248, off, s[0:3], 0 offset:332
	s_waitcnt vmcnt(40)
	v_mul_f32_e32 v55, v40, v207
	v_fmac_f32_e32 v55, v41, v206
	v_add_f32_e32 v58, v54, v55
	ds_read_b128 v[54:57], v230 offset:640
	buffer_load_dword v249, off, s[0:3], 0 offset:336
	buffer_load_dword v250, off, s[0:3], 0 offset:340
	;; [unrolled: 1-line block ×8, first 2 shown]
	s_waitcnt vmcnt(46) lgkmcnt(1)
	v_mul_f32_e32 v59, v50, v209
	v_fmac_f32_e32 v59, v51, v208
	v_add_f32_e32 v58, v58, v59
	s_waitcnt vmcnt(44)
	v_mul_f32_e32 v59, v52, v211
	v_fmac_f32_e32 v59, v53, v210
	v_add_f32_e32 v58, v58, v59
	s_waitcnt vmcnt(42) lgkmcnt(0)
	v_mul_f32_e32 v59, v54, v213
	v_fmac_f32_e32 v59, v55, v212
	v_add_f32_e32 v62, v58, v59
	buffer_load_dword v157, off, s[0:3], 0 offset:368
	buffer_load_dword v158, off, s[0:3], 0 offset:372
	;; [unrolled: 1-line block ×4, first 2 shown]
	ds_read_b128 v[58:61], v230 offset:656
	s_waitcnt vmcnt(44)
	v_mul_f32_e32 v63, v56, v215
	v_fmac_f32_e32 v63, v57, v214
	v_add_f32_e32 v66, v62, v63
	ds_read_b128 v[62:65], v230 offset:672
	s_waitcnt vmcnt(42) lgkmcnt(1)
	v_mul_f32_e32 v67, v58, v217
	v_fmac_f32_e32 v67, v59, v216
	v_add_f32_e32 v66, v66, v67
	s_waitcnt vmcnt(40)
	v_mul_f32_e32 v67, v60, v219
	v_fmac_f32_e32 v67, v61, v218
	v_add_f32_e32 v66, v66, v67
	s_waitcnt vmcnt(38) lgkmcnt(0)
	v_mul_f32_e32 v67, v62, v221
	v_fmac_f32_e32 v67, v63, v220
	v_add_f32_e32 v70, v66, v67
	ds_read_b128 v[66:69], v230 offset:688
	s_waitcnt vmcnt(36)
	v_mul_f32_e32 v71, v64, v223
	v_fmac_f32_e32 v71, v65, v222
	v_add_f32_e32 v74, v70, v71
	ds_read_b128 v[70:73], v230 offset:704
	s_waitcnt vmcnt(34) lgkmcnt(1)
	v_mul_f32_e32 v75, v66, v225
	v_fmac_f32_e32 v75, v67, v224
	v_add_f32_e32 v74, v74, v75
	v_mul_f32_e32 v31, v31, v48
	v_fma_f32 v30, v30, v132, -v31
	v_mul_f32_e32 v31, v33, v47
	v_add_f32_e32 v30, 0, v30
	v_fma_f32 v31, v32, v131, -v31
	v_mul_f32_e32 v27, v27, v49
	v_add_f32_e32 v30, v30, v31
	v_fma_f32 v26, v26, v130, -v27
	v_mul_f32_e32 v27, v29, v46
	v_add_f32_e32 v26, v30, v26
	v_fma_f32 v27, v28, v136, -v27
	v_mul_f32_e32 v23, v23, v45
	v_add_f32_e32 v26, v26, v27
	v_fma_f32 v22, v22, v135, -v23
	v_mul_f32_e32 v1, v25, v1
	s_waitcnt vmcnt(32)
	v_mul_f32_e32 v75, v68, v227
	v_fmac_f32_e32 v75, v69, v226
	v_add_f32_e32 v74, v74, v75
	s_waitcnt vmcnt(30) lgkmcnt(0)
	v_mul_f32_e32 v75, v70, v229
	v_fmac_f32_e32 v75, v71, v228
	v_add_f32_e32 v78, v74, v75
	ds_read_b128 v[74:77], v230 offset:720
	s_waitcnt vmcnt(28)
	v_mul_f32_e32 v79, v72, v232
	v_fmac_f32_e32 v79, v73, v231
	v_add_f32_e32 v82, v78, v79
	ds_read_b128 v[78:81], v230 offset:736
	s_waitcnt vmcnt(26) lgkmcnt(1)
	v_mul_f32_e32 v83, v74, v234
	v_fmac_f32_e32 v83, v75, v233
	v_add_f32_e32 v82, v82, v83
	s_waitcnt vmcnt(24)
	v_mul_f32_e32 v83, v76, v236
	v_fmac_f32_e32 v83, v77, v235
	v_add_f32_e32 v82, v82, v83
	s_waitcnt vmcnt(22) lgkmcnt(0)
	v_mul_f32_e32 v83, v78, v238
	v_fmac_f32_e32 v83, v79, v237
	v_add_f32_e32 v86, v82, v83
	ds_read_b128 v[82:85], v230 offset:752
	s_waitcnt vmcnt(20)
	v_mul_f32_e32 v87, v80, v240
	v_fmac_f32_e32 v87, v81, v239
	v_add_f32_e32 v90, v86, v87
	ds_read_b128 v[86:89], v230 offset:768
	s_waitcnt vmcnt(18) lgkmcnt(1)
	v_mul_f32_e32 v91, v82, v242
	v_fmac_f32_e32 v91, v83, v241
	v_add_f32_e32 v90, v90, v91
	s_waitcnt vmcnt(16)
	v_mul_f32_e32 v91, v84, v244
	v_fmac_f32_e32 v91, v85, v243
	v_add_f32_e32 v90, v90, v91
	s_waitcnt vmcnt(14) lgkmcnt(0)
	v_mul_f32_e32 v91, v86, v246
	v_fmac_f32_e32 v91, v87, v245
	v_add_f32_e32 v94, v90, v91
	ds_read_b128 v[90:93], v230 offset:784
	s_waitcnt vmcnt(12)
	v_mul_f32_e32 v95, v88, v248
	v_fmac_f32_e32 v95, v89, v247
	v_add_f32_e32 v98, v94, v95
	ds_read_b128 v[94:97], v230 offset:800
	buffer_load_dword v107, off, s[0:3], 0 offset:388
	buffer_load_dword v106, off, s[0:3], 0 offset:384
	s_waitcnt vmcnt(12) lgkmcnt(1)
	v_mul_f32_e32 v99, v90, v250
	v_fmac_f32_e32 v99, v91, v249
	v_add_f32_e32 v98, v98, v99
	s_waitcnt vmcnt(10)
	v_mul_f32_e32 v99, v92, v252
	v_fmac_f32_e32 v99, v93, v251
	v_add_f32_e32 v98, v98, v99
	s_waitcnt vmcnt(8) lgkmcnt(0)
	v_mul_f32_e32 v99, v94, v254
	v_fmac_f32_e32 v99, v95, v253
	s_waitcnt vmcnt(6)
	v_mul_f32_e32 v103, v96, v156
	v_add_f32_e32 v22, v26, v22
	v_fma_f32 v1, v24, v134, -v1
	v_mul_f32_e32 v19, v19, v44
	v_add_f32_e32 v102, v98, v99
	v_fmac_f32_e32 v103, v97, v255
	v_add_f32_e32 v1, v22, v1
	v_fma_f32 v18, v18, v133, -v19
	ds_read_b128 v[98:101], v230 offset:816
	v_add_f32_e32 v109, v102, v103
	ds_read_b128 v[102:105], v230 offset:832
	buffer_load_dword v115, off, s[0:3], 0 offset:420
	buffer_load_dword v114, off, s[0:3], 0 offset:416
	;; [unrolled: 1-line block ×14, first 2 shown]
	v_add_f32_e32 v1, v1, v18
	v_mul_f32_e32 v18, v21, v108
	v_fma_f32 v18, v20, v140, -v18
	v_mul_f32_e32 v15, v15, v110
	v_add_f32_e32 v1, v1, v18
	v_fma_f32 v14, v14, v139, -v15
	v_add_f32_e32 v1, v1, v14
	v_mul_f32_e32 v14, v17, v112
	v_fma_f32 v14, v16, v138, -v14
	v_mul_f32_e32 v7, v7, v128
	v_add_f32_e32 v1, v1, v14
	v_fma_f32 v6, v6, v137, -v7
	v_add_f32_e32 v1, v1, v6
	v_mul_f32_e32 v6, v9, v129
	v_fma_f32 v6, v8, v144, -v6
	v_add_f32_e32 v1, v1, v6
	v_mul_f32_e32 v6, v11, v145
	;; [unrolled: 3-line block ×3, first 2 shown]
	v_fma_f32 v6, v12, v142, -v6
	v_mul_f32_e32 v3, v3, v147
	v_add_f32_e32 v1, v1, v6
	v_fma_f32 v2, v2, v141, -v3
	v_add_f32_e32 v1, v1, v2
	v_mul_f32_e32 v2, v5, v149
	v_fma_f32 v2, v4, v148, -v2
	v_add_f32_e32 v1, v1, v2
	v_mul_f32_e32 v2, v35, v151
	;; [unrolled: 3-line block ×29, first 2 shown]
	v_fma_f32 v2, v96, v255, -v2
	s_waitcnt vmcnt(15)
	v_mov_b32_e32 v16, v107
	s_waitcnt lgkmcnt(1)
	v_mul_f32_e32 v111, v98, v158
	v_add_f32_e32 v108, v1, v2
	v_mul_f32_e32 v1, v99, v158
	s_waitcnt lgkmcnt(0)
	v_pk_mul_f32 v[16:17], v[102:103], v[16:17] op_sel_hi:[1,0]
	v_fmac_f32_e32 v111, v99, v157
	v_mul_f32_e32 v113, v100, v160
	v_fma_f32 v110, v98, v157, -v1
	v_mul_f32_e32 v1, v101, v160
	s_waitcnt vmcnt(14)
	v_pk_fma_f32 v[18:19], v[102:103], v[106:107], v[16:17] op_sel:[0,0,1] op_sel_hi:[1,1,0] neg_lo:[0,0,1] neg_hi:[0,0,1]
	v_pk_fma_f32 v[16:17], v[102:103], v[106:107], v[16:17] op_sel:[0,0,1] op_sel_hi:[1,0,0]
	v_fmac_f32_e32 v113, v101, v159
	v_fma_f32 v112, v100, v159, -v1
	v_pk_add_f32 v[14:15], v[108:109], v[110:111]
	s_waitcnt vmcnt(7)
	v_mov_b32_e32 v16, v121
	ds_read_b128 v[2:5], v230 offset:848
	ds_read_b128 v[6:9], v230 offset:864
	;; [unrolled: 1-line block ×3, first 2 shown]
	v_pk_add_f32 v[14:15], v[14:15], v[112:113]
	v_mov_b32_e32 v19, v17
	v_pk_mul_f32 v[16:17], v[104:105], v[16:17] op_sel_hi:[1,0]
	v_pk_add_f32 v[14:15], v[14:15], v[18:19]
	s_waitcnt vmcnt(6)
	v_pk_fma_f32 v[18:19], v[104:105], v[120:121], v[16:17] op_sel:[0,0,1] op_sel_hi:[1,1,0] neg_lo:[0,0,1] neg_hi:[0,0,1]
	v_pk_fma_f32 v[16:17], v[104:105], v[120:121], v[16:17] op_sel:[0,0,1] op_sel_hi:[1,0,0]
	v_mov_b32_e32 v16, v119
	v_mov_b32_e32 v19, v17
	s_waitcnt lgkmcnt(2)
	v_pk_mul_f32 v[16:17], v[2:3], v[16:17] op_sel_hi:[1,0]
	v_pk_add_f32 v[14:15], v[14:15], v[18:19]
	v_pk_fma_f32 v[18:19], v[2:3], v[118:119], v[16:17] op_sel:[0,0,1] op_sel_hi:[1,1,0] neg_lo:[0,0,1] neg_hi:[0,0,1]
	v_pk_fma_f32 v[2:3], v[2:3], v[118:119], v[16:17] op_sel:[0,0,1] op_sel_hi:[1,0,0]
	v_mov_b32_e32 v19, v3
	v_pk_add_f32 v[2:3], v[14:15], v[18:19]
	v_mov_b32_e32 v14, v117
	v_pk_mul_f32 v[14:15], v[4:5], v[14:15] op_sel_hi:[1,0]
	v_pk_fma_f32 v[16:17], v[4:5], v[116:117], v[14:15] op_sel:[0,0,1] op_sel_hi:[1,1,0] neg_lo:[0,0,1] neg_hi:[0,0,1]
	v_pk_fma_f32 v[4:5], v[4:5], v[116:117], v[14:15] op_sel:[0,0,1] op_sel_hi:[1,0,0]
	v_mov_b32_e32 v4, v115
	v_mov_b32_e32 v17, v5
	s_waitcnt lgkmcnt(1)
	v_pk_mul_f32 v[4:5], v[6:7], v[4:5] op_sel_hi:[1,0]
	v_pk_fma_f32 v[14:15], v[6:7], v[114:115], v[4:5] op_sel:[0,0,1] op_sel_hi:[1,1,0] neg_lo:[0,0,1] neg_hi:[0,0,1]
	v_pk_fma_f32 v[4:5], v[6:7], v[114:115], v[4:5] op_sel:[0,0,1] op_sel_hi:[1,0,0]
	s_waitcnt vmcnt(1)
	v_mov_b32_e32 v4, v127
	v_mov_b32_e32 v15, v5
	v_pk_mul_f32 v[4:5], v[8:9], v[4:5] op_sel_hi:[1,0]
	s_waitcnt vmcnt(0)
	v_pk_fma_f32 v[6:7], v[8:9], v[126:127], v[4:5] op_sel:[0,0,1] op_sel_hi:[1,1,0] neg_lo:[0,0,1] neg_hi:[0,0,1]
	v_pk_fma_f32 v[4:5], v[8:9], v[126:127], v[4:5] op_sel:[0,0,1] op_sel_hi:[1,0,0]
	v_pk_add_f32 v[2:3], v[2:3], v[16:17]
	v_mov_b32_e32 v4, v125
	v_pk_add_f32 v[2:3], v[2:3], v[14:15]
	v_mov_b32_e32 v7, v5
	s_waitcnt lgkmcnt(0)
	v_pk_mul_f32 v[4:5], v[10:11], v[4:5] op_sel_hi:[1,0]
	v_pk_add_f32 v[2:3], v[2:3], v[6:7]
	v_pk_fma_f32 v[6:7], v[10:11], v[124:125], v[4:5] op_sel:[0,0,1] op_sel_hi:[1,1,0] neg_lo:[0,0,1] neg_hi:[0,0,1]
	v_pk_fma_f32 v[4:5], v[10:11], v[124:125], v[4:5] op_sel:[0,0,1] op_sel_hi:[1,0,0]
	v_mov_b32_e32 v4, v123
	v_mov_b32_e32 v7, v5
	v_pk_mul_f32 v[4:5], v[12:13], v[4:5] op_sel_hi:[1,0]
	v_pk_add_f32 v[2:3], v[2:3], v[6:7]
	v_pk_fma_f32 v[6:7], v[12:13], v[122:123], v[4:5] op_sel:[0,0,1] op_sel_hi:[1,1,0] neg_lo:[0,0,1] neg_hi:[0,0,1]
	v_pk_fma_f32 v[4:5], v[12:13], v[122:123], v[4:5] op_sel:[0,0,1] op_sel_hi:[1,0,0]
	v_mov_b32_e32 v7, v5
	v_pk_add_f32 v[2:3], v[2:3], v[6:7]
	v_pk_add_f32 v[2:3], v[42:43], v[2:3] neg_lo:[0,1] neg_hi:[0,1]
	buffer_store_dword v3, off, s[0:3], 0 offset:12
	buffer_store_dword v2, off, s[0:3], 0 offset:8
	s_and_saveexec_b64 s[4:5], vcc
	s_cbranch_execz .LBB55_349
; %bb.348:
	buffer_load_dword v0, off, s[0:3], 0
	buffer_load_dword v1, off, s[0:3], 0 offset:4
	v_mov_b32_e32 v2, 0
	buffer_store_dword v2, off, s[0:3], 0
	buffer_store_dword v2, off, s[0:3], 0 offset:4
	s_waitcnt vmcnt(2)
	ds_write_b64 v161, v[0:1]
.LBB55_349:
	s_or_b64 exec, exec, s[4:5]
	s_waitcnt lgkmcnt(0)
	; wave barrier
	s_waitcnt lgkmcnt(0)
	buffer_load_dword v55, off, s[0:3], 0 offset:12
	buffer_load_dword v54, off, s[0:3], 0 offset:20
	;; [unrolled: 1-line block ×38, first 2 shown]
	buffer_load_dword v48, off, s[0:3], 0
	buffer_load_dword v49, off, s[0:3], 0 offset:4
	buffer_load_dword v87, off, s[0:3], 0 offset:160
	;; [unrolled: 1-line block ×9, first 2 shown]
	v_mov_b32_e32 v56, 0
	ds_read2_b64 v[20:23], v56 offset0:57 offset1:58
	ds_read2_b64 v[16:19], v56 offset0:59 offset1:60
	;; [unrolled: 1-line block ×6, first 2 shown]
	s_and_b64 vcc, exec, s[20:21]
	s_waitcnt vmcnt(47) lgkmcnt(5)
	v_mul_f32_e32 v24, v20, v55
	s_waitcnt vmcnt(46)
	v_mul_f32_e32 v25, v22, v54
	s_waitcnt vmcnt(45) lgkmcnt(4)
	v_mul_f32_e32 v27, v18, v53
	s_waitcnt vmcnt(44) lgkmcnt(3)
	v_mul_f32_e32 v28, v12, v52
	s_waitcnt vmcnt(43)
	v_mul_f32_e32 v29, v14, v50
	s_waitcnt vmcnt(42)
	v_mul_f32_e32 v26, v16, v57
	s_waitcnt vmcnt(41) lgkmcnt(2)
	v_mul_f32_e32 v30, v8, v51
	s_waitcnt vmcnt(40)
	v_mul_f32_e32 v31, v10, v58
	s_waitcnt vmcnt(39) lgkmcnt(1)
	;; [unrolled: 4-line block ×3, first 2 shown]
	v_mul_f32_e32 v34, v0, v61
	s_waitcnt vmcnt(36)
	v_mul_f32_e32 v35, v2, v62
	s_waitcnt vmcnt(35)
	v_fmac_f32_e32 v26, v17, v68
	s_waitcnt vmcnt(34)
	v_fmac_f32_e32 v25, v23, v71
	;; [unrolled: 2-line block ×3, first 2 shown]
	v_add_f32_e32 v24, 0, v24
	v_add_f32_e32 v24, v24, v25
	;; [unrolled: 1-line block ×3, first 2 shown]
	s_waitcnt vmcnt(29)
	v_fmac_f32_e32 v27, v19, v73
	v_fmac_f32_e32 v28, v13, v70
	v_add_f32_e32 v24, v24, v27
	v_fmac_f32_e32 v29, v15, v67
	v_add_f32_e32 v24, v24, v28
	;; [unrolled: 2-line block ×3, first 2 shown]
	s_waitcnt vmcnt(25)
	v_fmac_f32_e32 v31, v11, v69
	v_add_f32_e32 v24, v24, v30
	v_fmac_f32_e32 v32, v5, v66
	v_add_f32_e32 v24, v24, v31
	;; [unrolled: 2-line block ×4, first 2 shown]
	s_waitcnt vmcnt(21)
	v_fmac_f32_e32 v35, v3, v80
	v_add_f32_e32 v28, v28, v34
	ds_read2_b64 v[24:27], v56 offset0:69 offset1:70
	v_add_f32_e32 v32, v28, v35
	ds_read2_b64 v[28:31], v56 offset0:71 offset1:72
	buffer_load_dword v150, off, s[0:3], 0 offset:192
	buffer_load_dword v151, off, s[0:3], 0 offset:196
	buffer_load_dword v152, off, s[0:3], 0 offset:200
	buffer_load_dword v153, off, s[0:3], 0 offset:204
	buffer_load_dword v154, off, s[0:3], 0 offset:208
	buffer_load_dword v155, off, s[0:3], 0 offset:212
	s_waitcnt vmcnt(26) lgkmcnt(1)
	v_mul_f32_e32 v33, v24, v79
	v_fmac_f32_e32 v33, v25, v77
	buffer_load_dword v156, off, s[0:3], 0 offset:216
	buffer_load_dword v157, off, s[0:3], 0 offset:220
	v_add_f32_e32 v32, v32, v33
	s_waitcnt vmcnt(27)
	v_mul_f32_e32 v33, v26, v78
	v_fmac_f32_e32 v33, v27, v75
	v_add_f32_e32 v32, v32, v33
	s_waitcnt vmcnt(26) lgkmcnt(0)
	v_mul_f32_e32 v33, v28, v76
	v_fmac_f32_e32 v33, v29, v72
	buffer_load_dword v158, off, s[0:3], 0 offset:224
	buffer_load_dword v159, off, s[0:3], 0 offset:228
	v_add_f32_e32 v32, v32, v33
	s_waitcnt vmcnt(21)
	v_mul_f32_e32 v33, v30, v136
	s_waitcnt vmcnt(20)
	v_fmac_f32_e32 v33, v31, v138
	v_add_f32_e32 v40, v32, v33
	ds_read2_b64 v[32:35], v56 offset0:73 offset1:74
	buffer_load_dword v160, off, s[0:3], 0 offset:232
	buffer_load_dword v161, off, s[0:3], 0 offset:236
	ds_read2_b64 v[36:39], v56 offset0:75 offset1:76
	buffer_load_dword v220, off, s[0:3], 0 offset:240
	buffer_load_dword v221, off, s[0:3], 0 offset:244
	;; [unrolled: 1-line block ×12, first 2 shown]
	s_waitcnt lgkmcnt(1)
	v_mul_f32_e32 v41, v32, v82
	v_fmac_f32_e32 v41, v33, v81
	buffer_load_dword v232, off, s[0:3], 0 offset:288
	buffer_load_dword v233, off, s[0:3], 0 offset:292
	v_add_f32_e32 v40, v40, v41
	v_mul_f32_e32 v41, v34, v84
	v_fmac_f32_e32 v41, v35, v83
	v_add_f32_e32 v40, v40, v41
	s_waitcnt lgkmcnt(0)
	v_mul_f32_e32 v41, v36, v86
	buffer_load_dword v234, off, s[0:3], 0 offset:296
	buffer_load_dword v235, off, s[0:3], 0 offset:300
	v_fmac_f32_e32 v41, v37, v85
	v_add_f32_e32 v44, v40, v41
	ds_read2_b64 v[40:43], v56 offset0:77 offset1:78
	buffer_load_dword v236, off, s[0:3], 0 offset:304
	buffer_load_dword v237, off, s[0:3], 0 offset:308
	;; [unrolled: 1-line block ×4, first 2 shown]
	s_waitcnt vmcnt(38)
	v_mul_f32_e32 v45, v38, v140
	v_fmac_f32_e32 v45, v39, v87
	v_add_f32_e32 v88, v44, v45
	ds_read2_b64 v[44:47], v56 offset0:79 offset1:80
	buffer_load_dword v240, off, s[0:3], 0 offset:320
	buffer_load_dword v241, off, s[0:3], 0 offset:324
	;; [unrolled: 1-line block ×10, first 2 shown]
	s_waitcnt vmcnt(46) lgkmcnt(1)
	v_mul_f32_e32 v89, v40, v145
	v_fmac_f32_e32 v89, v41, v144
	v_add_f32_e32 v88, v88, v89
	s_waitcnt vmcnt(44)
	v_mul_f32_e32 v89, v42, v147
	v_fmac_f32_e32 v89, v43, v146
	v_add_f32_e32 v88, v88, v89
	s_waitcnt vmcnt(42) lgkmcnt(0)
	v_mul_f32_e32 v89, v44, v149
	v_fmac_f32_e32 v89, v45, v148
	v_add_f32_e32 v92, v88, v89
	buffer_load_dword v250, off, s[0:3], 0 offset:360
	buffer_load_dword v251, off, s[0:3], 0 offset:364
	;; [unrolled: 1-line block ×6, first 2 shown]
	ds_read2_b64 v[88:91], v56 offset0:81 offset1:82
	v_mul_f32_e32 v21, v21, v55
	v_fma_f32 v20, v20, v74, -v21
	v_mul_f32_e32 v21, v23, v54
	v_add_f32_e32 v20, 0, v20
	v_fma_f32 v21, v22, v71, -v21
	v_mul_f32_e32 v17, v17, v57
	v_add_f32_e32 v20, v20, v21
	;; [unrolled: 3-line block ×6, first 2 shown]
	v_fma_f32 v8, v8, v65, -v9
	s_waitcnt vmcnt(46)
	v_mul_f32_e32 v93, v46, v151
	v_fmac_f32_e32 v93, v47, v150
	v_add_f32_e32 v96, v92, v93
	ds_read2_b64 v[92:95], v56 offset0:83 offset1:84
	s_waitcnt vmcnt(44) lgkmcnt(1)
	v_mul_f32_e32 v97, v88, v153
	v_fmac_f32_e32 v97, v89, v152
	v_add_f32_e32 v96, v96, v97
	s_waitcnt vmcnt(42)
	v_mul_f32_e32 v97, v90, v155
	v_fmac_f32_e32 v97, v91, v154
	v_add_f32_e32 v96, v96, v97
	s_waitcnt vmcnt(40) lgkmcnt(0)
	v_mul_f32_e32 v97, v92, v157
	v_fmac_f32_e32 v97, v93, v156
	v_add_f32_e32 v100, v96, v97
	ds_read2_b64 v[96:99], v56 offset0:85 offset1:86
	s_waitcnt vmcnt(38)
	v_mul_f32_e32 v101, v94, v159
	v_fmac_f32_e32 v101, v95, v158
	v_add_f32_e32 v104, v100, v101
	ds_read2_b64 v[100:103], v56 offset0:87 offset1:88
	s_waitcnt vmcnt(36) lgkmcnt(1)
	v_mul_f32_e32 v105, v96, v161
	v_fmac_f32_e32 v105, v97, v160
	v_add_f32_e32 v104, v104, v105
	s_waitcnt vmcnt(34)
	v_mul_f32_e32 v105, v98, v221
	v_fmac_f32_e32 v105, v99, v220
	v_add_f32_e32 v104, v104, v105
	s_waitcnt vmcnt(32) lgkmcnt(0)
	v_mul_f32_e32 v105, v100, v223
	v_fmac_f32_e32 v105, v101, v222
	v_add_f32_e32 v108, v104, v105
	ds_read2_b64 v[104:107], v56 offset0:89 offset1:90
	s_waitcnt vmcnt(30)
	v_mul_f32_e32 v109, v102, v225
	v_fmac_f32_e32 v109, v103, v224
	v_add_f32_e32 v112, v108, v109
	ds_read2_b64 v[108:111], v56 offset0:91 offset1:92
	s_waitcnt vmcnt(28) lgkmcnt(1)
	v_mul_f32_e32 v113, v104, v227
	v_fmac_f32_e32 v113, v105, v226
	v_add_f32_e32 v112, v112, v113
	s_waitcnt vmcnt(26)
	v_mul_f32_e32 v113, v106, v229
	v_fmac_f32_e32 v113, v107, v228
	v_add_f32_e32 v112, v112, v113
	s_waitcnt vmcnt(24) lgkmcnt(0)
	v_mul_f32_e32 v113, v108, v231
	v_fmac_f32_e32 v113, v109, v230
	v_add_f32_e32 v116, v112, v113
	ds_read2_b64 v[112:115], v56 offset0:93 offset1:94
	s_waitcnt vmcnt(22)
	v_mul_f32_e32 v117, v110, v233
	v_fmac_f32_e32 v117, v111, v232
	v_add_f32_e32 v120, v116, v117
	ds_read2_b64 v[116:119], v56 offset0:95 offset1:96
	s_waitcnt vmcnt(20) lgkmcnt(1)
	v_mul_f32_e32 v121, v112, v235
	v_fmac_f32_e32 v121, v113, v234
	v_add_f32_e32 v120, v120, v121
	s_waitcnt vmcnt(18)
	v_mul_f32_e32 v121, v114, v237
	v_fmac_f32_e32 v121, v115, v236
	v_add_f32_e32 v120, v120, v121
	s_waitcnt vmcnt(16) lgkmcnt(0)
	v_mul_f32_e32 v121, v116, v239
	v_fmac_f32_e32 v121, v117, v238
	v_add_f32_e32 v124, v120, v121
	ds_read2_b64 v[120:123], v56 offset0:97 offset1:98
	s_waitcnt vmcnt(14)
	v_mul_f32_e32 v125, v118, v241
	v_fmac_f32_e32 v125, v119, v240
	v_add_f32_e32 v128, v124, v125
	ds_read2_b64 v[124:127], v56 offset0:99 offset1:100
	s_waitcnt vmcnt(12) lgkmcnt(1)
	v_mul_f32_e32 v129, v120, v243
	v_fmac_f32_e32 v129, v121, v242
	v_add_f32_e32 v128, v128, v129
	s_waitcnt vmcnt(10)
	v_mul_f32_e32 v129, v122, v245
	v_fmac_f32_e32 v129, v123, v244
	v_add_f32_e32 v128, v128, v129
	s_waitcnt vmcnt(8) lgkmcnt(0)
	v_mul_f32_e32 v129, v124, v247
	v_fmac_f32_e32 v129, v125, v246
	s_waitcnt vmcnt(6)
	v_mul_f32_e32 v133, v126, v249
	v_add_f32_e32 v132, v128, v129
	v_fmac_f32_e32 v133, v127, v248
	v_mul_f32_e32 v9, v11, v58
	ds_read2_b64 v[128:131], v56 offset0:101 offset1:102
	v_add_f32_e32 v137, v132, v133
	ds_read2_b64 v[132:135], v56 offset0:103 offset1:104
	buffer_load_dword v143, off, s[0:3], 0 offset:412
	buffer_load_dword v142, off, s[0:3], 0 offset:408
	;; [unrolled: 1-line block ×16, first 2 shown]
	v_add_f32_e32 v8, v12, v8
	v_fma_f32 v9, v10, v69, -v9
	v_mul_f32_e32 v5, v5, v59
	v_add_f32_e32 v8, v8, v9
	v_fma_f32 v4, v4, v66, -v5
	v_mul_f32_e32 v5, v7, v60
	;; [unrolled: 3-line block ×4, first 2 shown]
	v_add_f32_e32 v0, v4, v0
	v_fma_f32 v1, v2, v80, -v1
	v_add_f32_e32 v0, v0, v1
	v_mul_f32_e32 v1, v25, v79
	v_fma_f32 v1, v24, v77, -v1
	v_add_f32_e32 v0, v0, v1
	v_mul_f32_e32 v1, v27, v78
	;; [unrolled: 3-line block ×32, first 2 shown]
	v_fma_f32 v1, v126, v248, -v1
	v_add_f32_e32 v0, v0, v1
	s_waitcnt vmcnt(20) lgkmcnt(1)
	v_mul_f32_e32 v1, v129, v251
	v_mul_f32_e32 v139, v128, v251
	v_fma_f32 v1, v128, v250, -v1
	v_fmac_f32_e32 v139, v129, v250
	v_add_f32_e32 v136, v0, v1
	s_waitcnt vmcnt(18)
	v_mul_f32_e32 v0, v131, v253
	s_waitcnt vmcnt(9)
	v_mov_b32_e32 v16, v211
	v_add_f32_e32 v137, v137, v139
	v_mul_f32_e32 v139, v130, v253
	v_fma_f32 v138, v130, v252, -v0
	s_waitcnt lgkmcnt(0)
	v_mul_f32_e32 v0, v133, v255
	v_pk_mul_f32 v[16:17], v[134:135], v[16:17] op_sel_hi:[1,0]
	v_fmac_f32_e32 v139, v131, v252
	v_mul_f32_e32 v141, v132, v255
	v_fma_f32 v140, v132, v254, -v0
	ds_read2_b64 v[0:3], v56 offset0:105 offset1:106
	ds_read2_b64 v[4:7], v56 offset0:107 offset1:108
	;; [unrolled: 1-line block ×3, first 2 shown]
	ds_read_b64 v[12:13], v56 offset:888
	s_waitcnt vmcnt(8)
	v_pk_fma_f32 v[18:19], v[134:135], v[210:211], v[16:17] op_sel:[0,0,1] op_sel_hi:[1,1,0] neg_lo:[0,0,1] neg_hi:[0,0,1]
	v_pk_fma_f32 v[16:17], v[134:135], v[210:211], v[16:17] op_sel:[0,0,1] op_sel_hi:[1,0,0]
	v_fmac_f32_e32 v141, v133, v254
	v_pk_add_f32 v[14:15], v[136:137], v[138:139]
	v_mov_b32_e32 v16, v209
	v_pk_add_f32 v[14:15], v[14:15], v[140:141]
	v_mov_b32_e32 v19, v17
	s_waitcnt lgkmcnt(3)
	v_pk_mul_f32 v[16:17], v[0:1], v[16:17] op_sel_hi:[1,0]
	v_pk_add_f32 v[14:15], v[14:15], v[18:19]
	v_pk_fma_f32 v[18:19], v[0:1], v[208:209], v[16:17] op_sel:[0,0,1] op_sel_hi:[1,1,0] neg_lo:[0,0,1] neg_hi:[0,0,1]
	v_pk_fma_f32 v[0:1], v[0:1], v[208:209], v[16:17] op_sel:[0,0,1] op_sel_hi:[1,0,0]
	v_mov_b32_e32 v19, v1
	v_pk_add_f32 v[0:1], v[14:15], v[18:19]
	v_mov_b32_e32 v14, v207
	v_pk_mul_f32 v[14:15], v[2:3], v[14:15] op_sel_hi:[1,0]
	v_pk_fma_f32 v[16:17], v[2:3], v[206:207], v[14:15] op_sel:[0,0,1] op_sel_hi:[1,1,0] neg_lo:[0,0,1] neg_hi:[0,0,1]
	v_pk_fma_f32 v[2:3], v[2:3], v[206:207], v[14:15] op_sel:[0,0,1] op_sel_hi:[1,0,0]
	v_mov_b32_e32 v2, v143
	v_mov_b32_e32 v17, v3
	s_waitcnt lgkmcnt(2)
	v_pk_mul_f32 v[2:3], v[4:5], v[2:3] op_sel_hi:[1,0]
	v_pk_fma_f32 v[14:15], v[4:5], v[142:143], v[2:3] op_sel:[0,0,1] op_sel_hi:[1,1,0] neg_lo:[0,0,1] neg_hi:[0,0,1]
	v_pk_fma_f32 v[2:3], v[4:5], v[142:143], v[2:3] op_sel:[0,0,1] op_sel_hi:[1,0,0]
	s_waitcnt vmcnt(1)
	v_mov_b32_e32 v2, v219
	v_mov_b32_e32 v15, v3
	v_pk_mul_f32 v[2:3], v[6:7], v[2:3] op_sel_hi:[1,0]
	s_waitcnt vmcnt(0)
	v_pk_fma_f32 v[4:5], v[6:7], v[218:219], v[2:3] op_sel:[0,0,1] op_sel_hi:[1,1,0] neg_lo:[0,0,1] neg_hi:[0,0,1]
	v_pk_fma_f32 v[2:3], v[6:7], v[218:219], v[2:3] op_sel:[0,0,1] op_sel_hi:[1,0,0]
	v_pk_add_f32 v[0:1], v[0:1], v[16:17]
	v_mov_b32_e32 v2, v217
	v_pk_add_f32 v[0:1], v[0:1], v[14:15]
	v_mov_b32_e32 v5, v3
	s_waitcnt lgkmcnt(1)
	v_pk_mul_f32 v[2:3], v[8:9], v[2:3] op_sel_hi:[1,0]
	v_pk_add_f32 v[0:1], v[0:1], v[4:5]
	v_pk_fma_f32 v[4:5], v[8:9], v[216:217], v[2:3] op_sel:[0,0,1] op_sel_hi:[1,1,0] neg_lo:[0,0,1] neg_hi:[0,0,1]
	v_pk_fma_f32 v[2:3], v[8:9], v[216:217], v[2:3] op_sel:[0,0,1] op_sel_hi:[1,0,0]
	v_mov_b32_e32 v2, v215
	v_mov_b32_e32 v5, v3
	v_pk_mul_f32 v[2:3], v[10:11], v[2:3] op_sel_hi:[1,0]
	v_pk_add_f32 v[0:1], v[0:1], v[4:5]
	v_pk_fma_f32 v[4:5], v[10:11], v[214:215], v[2:3] op_sel:[0,0,1] op_sel_hi:[1,1,0] neg_lo:[0,0,1] neg_hi:[0,0,1]
	v_pk_fma_f32 v[2:3], v[10:11], v[214:215], v[2:3] op_sel:[0,0,1] op_sel_hi:[1,0,0]
	v_mov_b32_e32 v2, v213
	v_mov_b32_e32 v5, v3
	s_waitcnt lgkmcnt(0)
	v_pk_mul_f32 v[2:3], v[12:13], v[2:3] op_sel_hi:[1,0]
	v_pk_add_f32 v[0:1], v[0:1], v[4:5]
	v_pk_fma_f32 v[4:5], v[12:13], v[212:213], v[2:3] op_sel:[0,0,1] op_sel_hi:[1,1,0] neg_lo:[0,0,1] neg_hi:[0,0,1]
	v_pk_fma_f32 v[2:3], v[12:13], v[212:213], v[2:3] op_sel:[0,0,1] op_sel_hi:[1,0,0]
	v_mov_b32_e32 v5, v3
	v_pk_add_f32 v[0:1], v[0:1], v[4:5]
	v_pk_add_f32 v[0:1], v[48:49], v[0:1] neg_lo:[0,1] neg_hi:[0,1]
	buffer_store_dword v1, off, s[0:3], 0 offset:4
	buffer_store_dword v0, off, s[0:3], 0
	s_cbranch_vccz .LBB55_461
; %bb.350:
	v_pk_mov_b32 v[0:1], s[10:11], s[10:11] op_sel:[0,1]
	flat_load_dword v0, v[0:1] offset:216
	s_waitcnt vmcnt(0) lgkmcnt(0)
	v_add_u32_e32 v0, -1, v0
	v_cmp_ne_u32_e32 vcc, 54, v0
	s_and_saveexec_b64 s[4:5], vcc
	s_cbranch_execz .LBB55_352
; %bb.351:
	v_mov_b32_e32 v1, 0
	v_lshl_add_u32 v0, v0, 3, v1
	buffer_load_dword v1, v0, s[0:3], 0 offen
	buffer_load_dword v2, v0, s[0:3], 0 offen offset:4
	buffer_load_dword v3, off, s[0:3], 0 offset:436
	buffer_load_dword v4, off, s[0:3], 0 offset:432
	s_waitcnt vmcnt(3)
	buffer_store_dword v1, off, s[0:3], 0 offset:432
	s_waitcnt vmcnt(3)
	buffer_store_dword v2, off, s[0:3], 0 offset:436
	s_waitcnt vmcnt(3)
	buffer_store_dword v3, v0, s[0:3], 0 offen offset:4
	s_waitcnt vmcnt(3)
	buffer_store_dword v4, v0, s[0:3], 0 offen
.LBB55_352:
	s_or_b64 exec, exec, s[4:5]
	v_pk_mov_b32 v[0:1], s[10:11], s[10:11] op_sel:[0,1]
	flat_load_dword v0, v[0:1] offset:212
	s_waitcnt vmcnt(0) lgkmcnt(0)
	v_add_u32_e32 v0, -1, v0
	v_cmp_ne_u32_e32 vcc, 53, v0
	s_and_saveexec_b64 s[4:5], vcc
	s_cbranch_execz .LBB55_354
; %bb.353:
	v_mov_b32_e32 v1, 0
	v_lshl_add_u32 v0, v0, 3, v1
	buffer_load_dword v1, v0, s[0:3], 0 offen
	buffer_load_dword v2, v0, s[0:3], 0 offen offset:4
	buffer_load_dword v3, off, s[0:3], 0 offset:424
	buffer_load_dword v4, off, s[0:3], 0 offset:428
	s_waitcnt vmcnt(3)
	buffer_store_dword v1, off, s[0:3], 0 offset:424
	s_waitcnt vmcnt(3)
	buffer_store_dword v2, off, s[0:3], 0 offset:428
	s_waitcnt vmcnt(3)
	buffer_store_dword v3, v0, s[0:3], 0 offen
	s_waitcnt vmcnt(3)
	buffer_store_dword v4, v0, s[0:3], 0 offen offset:4
.LBB55_354:
	s_or_b64 exec, exec, s[4:5]
	v_pk_mov_b32 v[0:1], s[10:11], s[10:11] op_sel:[0,1]
	flat_load_dword v0, v[0:1] offset:208
	s_waitcnt vmcnt(0) lgkmcnt(0)
	v_add_u32_e32 v0, -1, v0
	v_cmp_ne_u32_e32 vcc, 52, v0
	s_and_saveexec_b64 s[4:5], vcc
	s_cbranch_execz .LBB55_356
; %bb.355:
	v_mov_b32_e32 v1, 0
	v_lshl_add_u32 v0, v0, 3, v1
	buffer_load_dword v1, v0, s[0:3], 0 offen
	buffer_load_dword v2, v0, s[0:3], 0 offen offset:4
	buffer_load_dword v3, off, s[0:3], 0 offset:420
	buffer_load_dword v4, off, s[0:3], 0 offset:416
	s_waitcnt vmcnt(3)
	buffer_store_dword v1, off, s[0:3], 0 offset:416
	s_waitcnt vmcnt(3)
	buffer_store_dword v2, off, s[0:3], 0 offset:420
	s_waitcnt vmcnt(3)
	buffer_store_dword v3, v0, s[0:3], 0 offen offset:4
	s_waitcnt vmcnt(3)
	buffer_store_dword v4, v0, s[0:3], 0 offen
.LBB55_356:
	s_or_b64 exec, exec, s[4:5]
	v_pk_mov_b32 v[0:1], s[10:11], s[10:11] op_sel:[0,1]
	flat_load_dword v0, v[0:1] offset:204
	s_waitcnt vmcnt(0) lgkmcnt(0)
	v_add_u32_e32 v0, -1, v0
	v_cmp_ne_u32_e32 vcc, 51, v0
	s_and_saveexec_b64 s[4:5], vcc
	s_cbranch_execz .LBB55_358
; %bb.357:
	v_mov_b32_e32 v1, 0
	v_lshl_add_u32 v0, v0, 3, v1
	buffer_load_dword v1, v0, s[0:3], 0 offen
	buffer_load_dword v2, v0, s[0:3], 0 offen offset:4
	buffer_load_dword v3, off, s[0:3], 0 offset:408
	buffer_load_dword v4, off, s[0:3], 0 offset:412
	s_waitcnt vmcnt(3)
	buffer_store_dword v1, off, s[0:3], 0 offset:408
	s_waitcnt vmcnt(3)
	buffer_store_dword v2, off, s[0:3], 0 offset:412
	s_waitcnt vmcnt(3)
	buffer_store_dword v3, v0, s[0:3], 0 offen
	s_waitcnt vmcnt(3)
	buffer_store_dword v4, v0, s[0:3], 0 offen offset:4
.LBB55_358:
	s_or_b64 exec, exec, s[4:5]
	;; [unrolled: 48-line block ×27, first 2 shown]
	v_pk_mov_b32 v[0:1], s[10:11], s[10:11] op_sel:[0,1]
	flat_load_dword v2, v[0:1]
	s_nop 0
	buffer_load_dword v0, off, s[0:3], 0
	buffer_load_dword v1, off, s[0:3], 0 offset:4
	s_waitcnt vmcnt(0) lgkmcnt(0)
	v_add_u32_e32 v2, -1, v2
	v_cmp_ne_u32_e32 vcc, 0, v2
	s_and_saveexec_b64 s[4:5], vcc
	s_cbranch_execz .LBB55_460
; %bb.459:
	v_mov_b32_e32 v3, 0
	v_lshl_add_u32 v2, v2, 3, v3
	buffer_load_dword v3, v2, s[0:3], 0 offen offset:4
	buffer_load_dword v4, v2, s[0:3], 0 offen
	s_waitcnt vmcnt(1)
	buffer_store_dword v3, off, s[0:3], 0 offset:4
	s_waitcnt vmcnt(1)
	buffer_store_dword v4, off, s[0:3], 0
	buffer_store_dword v1, v2, s[0:3], 0 offen offset:4
	buffer_store_dword v0, v2, s[0:3], 0 offen
	buffer_load_dword v0, off, s[0:3], 0
	s_nop 0
	buffer_load_dword v1, off, s[0:3], 0 offset:4
.LBB55_460:
	s_or_b64 exec, exec, s[4:5]
.LBB55_461:
	buffer_load_dword v2, off, s[0:3], 0 offset:8
	buffer_load_dword v3, off, s[0:3], 0 offset:12
	buffer_load_dword v4, off, s[0:3], 0 offset:16
	buffer_load_dword v5, off, s[0:3], 0 offset:20
	buffer_load_dword v6, off, s[0:3], 0 offset:24
	buffer_load_dword v7, off, s[0:3], 0 offset:28
	buffer_load_dword v8, off, s[0:3], 0 offset:32
	buffer_load_dword v9, off, s[0:3], 0 offset:36
	buffer_load_dword v10, off, s[0:3], 0 offset:40
	buffer_load_dword v11, off, s[0:3], 0 offset:44
	buffer_load_dword v12, off, s[0:3], 0 offset:48
	buffer_load_dword v13, off, s[0:3], 0 offset:52
	buffer_load_dword v14, off, s[0:3], 0 offset:56
	buffer_load_dword v15, off, s[0:3], 0 offset:60
	buffer_load_dword v16, off, s[0:3], 0 offset:64
	buffer_load_dword v17, off, s[0:3], 0 offset:68
	buffer_load_dword v18, off, s[0:3], 0 offset:72
	buffer_load_dword v19, off, s[0:3], 0 offset:76
	buffer_load_dword v20, off, s[0:3], 0 offset:80
	buffer_load_dword v21, off, s[0:3], 0 offset:84
	buffer_load_dword v22, off, s[0:3], 0 offset:88
	buffer_load_dword v23, off, s[0:3], 0 offset:92
	buffer_load_dword v24, off, s[0:3], 0 offset:96
	buffer_load_dword v25, off, s[0:3], 0 offset:100
	buffer_load_dword v26, off, s[0:3], 0 offset:104
	buffer_load_dword v27, off, s[0:3], 0 offset:108
	buffer_load_dword v28, off, s[0:3], 0 offset:112
	buffer_load_dword v29, off, s[0:3], 0 offset:116
	buffer_load_dword v30, off, s[0:3], 0 offset:120
	buffer_load_dword v31, off, s[0:3], 0 offset:124
	buffer_load_dword v32, off, s[0:3], 0 offset:128
	buffer_load_dword v33, off, s[0:3], 0 offset:132
	buffer_load_dword v34, off, s[0:3], 0 offset:136
	buffer_load_dword v35, off, s[0:3], 0 offset:140
	buffer_load_dword v36, off, s[0:3], 0 offset:144
	buffer_load_dword v37, off, s[0:3], 0 offset:148
	buffer_load_dword v38, off, s[0:3], 0 offset:152
	buffer_load_dword v39, off, s[0:3], 0 offset:156
	buffer_load_dword v40, off, s[0:3], 0 offset:160
	buffer_load_dword v41, off, s[0:3], 0 offset:164
	buffer_load_dword v42, off, s[0:3], 0 offset:168
	buffer_load_dword v43, off, s[0:3], 0 offset:172
	buffer_load_dword v44, off, s[0:3], 0 offset:176
	buffer_load_dword v45, off, s[0:3], 0 offset:180
	buffer_load_dword v46, off, s[0:3], 0 offset:184
	buffer_load_dword v47, off, s[0:3], 0 offset:188
	buffer_load_dword v48, off, s[0:3], 0 offset:192
	buffer_load_dword v49, off, s[0:3], 0 offset:196
	buffer_load_dword v50, off, s[0:3], 0 offset:200
	buffer_load_dword v51, off, s[0:3], 0 offset:204
	buffer_load_dword v52, off, s[0:3], 0 offset:208
	buffer_load_dword v53, off, s[0:3], 0 offset:212
	buffer_load_dword v54, off, s[0:3], 0 offset:216
	buffer_load_dword v55, off, s[0:3], 0 offset:220
	buffer_load_dword v56, off, s[0:3], 0 offset:224
	buffer_load_dword v57, off, s[0:3], 0 offset:228
	buffer_load_dword v58, off, s[0:3], 0 offset:232
	buffer_load_dword v59, off, s[0:3], 0 offset:236
	buffer_load_dword v60, off, s[0:3], 0 offset:240
	buffer_load_dword v61, off, s[0:3], 0 offset:244
	buffer_load_dword v62, off, s[0:3], 0 offset:248
	buffer_load_dword v63, off, s[0:3], 0 offset:252
	buffer_load_dword v64, off, s[0:3], 0 offset:256
	buffer_load_dword v65, off, s[0:3], 0 offset:260
	buffer_load_dword v66, off, s[0:3], 0 offset:264
	buffer_load_dword v67, off, s[0:3], 0 offset:268
	buffer_load_dword v68, off, s[0:3], 0 offset:272
	buffer_load_dword v69, off, s[0:3], 0 offset:276
	buffer_load_dword v70, off, s[0:3], 0 offset:280
	buffer_load_dword v71, off, s[0:3], 0 offset:284
	buffer_load_dword v72, off, s[0:3], 0 offset:288
	buffer_load_dword v73, off, s[0:3], 0 offset:292
	buffer_load_dword v74, off, s[0:3], 0 offset:296
	buffer_load_dword v75, off, s[0:3], 0 offset:300
	buffer_load_dword v76, off, s[0:3], 0 offset:304
	buffer_load_dword v77, off, s[0:3], 0 offset:308
	buffer_load_dword v78, off, s[0:3], 0 offset:312
	buffer_load_dword v79, off, s[0:3], 0 offset:316
	buffer_load_dword v80, off, s[0:3], 0 offset:320
	buffer_load_dword v81, off, s[0:3], 0 offset:324
	buffer_load_dword v82, off, s[0:3], 0 offset:328
	buffer_load_dword v83, off, s[0:3], 0 offset:332
	buffer_load_dword v84, off, s[0:3], 0 offset:336
	buffer_load_dword v85, off, s[0:3], 0 offset:340
	buffer_load_dword v86, off, s[0:3], 0 offset:344
	buffer_load_dword v87, off, s[0:3], 0 offset:348
	buffer_load_dword v88, off, s[0:3], 0 offset:352
	buffer_load_dword v89, off, s[0:3], 0 offset:356
	buffer_load_dword v90, off, s[0:3], 0 offset:360
	buffer_load_dword v91, off, s[0:3], 0 offset:364
	buffer_load_dword v92, off, s[0:3], 0 offset:368
	buffer_load_dword v93, off, s[0:3], 0 offset:372
	buffer_load_dword v94, off, s[0:3], 0 offset:376
	buffer_load_dword v95, off, s[0:3], 0 offset:380
	buffer_load_dword v96, off, s[0:3], 0 offset:384
	buffer_load_dword v97, off, s[0:3], 0 offset:388
	buffer_load_dword v98, off, s[0:3], 0 offset:392
	buffer_load_dword v99, off, s[0:3], 0 offset:396
	buffer_load_dword v100, off, s[0:3], 0 offset:400
	buffer_load_dword v101, off, s[0:3], 0 offset:404
	buffer_load_dword v102, off, s[0:3], 0 offset:408
	buffer_load_dword v103, off, s[0:3], 0 offset:412
	buffer_load_dword v104, off, s[0:3], 0 offset:416
	buffer_load_dword v105, off, s[0:3], 0 offset:420
	buffer_load_dword v106, off, s[0:3], 0 offset:424
	buffer_load_dword v107, off, s[0:3], 0 offset:428
	buffer_load_dword v108, off, s[0:3], 0 offset:432
	buffer_load_dword v109, off, s[0:3], 0 offset:436
	buffer_load_dword v110, off, s[0:3], 0 offset:440
	buffer_load_dword v111, off, s[0:3], 0 offset:444
	s_waitcnt vmcnt(62)
	global_store_dwordx2 v[196:197], v[0:1], off
	global_store_dwordx2 v[198:199], v[2:3], off
	v_accvgpr_read_b32 v0, a0
	v_accvgpr_read_b32 v1, a1
	global_store_dwordx2 v[0:1], v[4:5], off
	v_accvgpr_read_b32 v0, a2
	v_accvgpr_read_b32 v1, a3
	;; [unrolled: 3-line block ×24, first 2 shown]
	s_waitcnt vmcnt(62)
	global_store_dwordx2 v[0:1], v[50:51], off
	v_accvgpr_read_b32 v0, a48
	v_accvgpr_read_b32 v1, a49
	global_store_dwordx2 v[0:1], v[52:53], off
	v_accvgpr_read_b32 v0, a50
	v_accvgpr_read_b32 v1, a51
	;; [unrolled: 3-line block ×10, first 2 shown]
	global_store_dwordx2 v[0:1], v[70:71], off
	global_store_dwordx2 v[162:163], v[72:73], off
	s_waitcnt vmcnt(62)
	global_store_dwordx2 v[164:165], v[74:75], off
	global_store_dwordx2 v[166:167], v[76:77], off
	;; [unrolled: 1-line block ×6, first 2 shown]
	s_waitcnt vmcnt(62)
	global_store_dwordx2 v[176:177], v[86:87], off
	global_store_dwordx2 v[178:179], v[88:89], off
	;; [unrolled: 1-line block ×3, first 2 shown]
	s_waitcnt vmcnt(62)
	global_store_dwordx2 v[182:183], v[92:93], off
	global_store_dwordx2 v[184:185], v[94:95], off
	s_waitcnt vmcnt(62)
	global_store_dwordx2 v[186:187], v[96:97], off
	s_waitcnt vmcnt(61)
	;; [unrolled: 2-line block ×8, first 2 shown]
	global_store_dwordx2 v[204:205], v[110:111], off
	s_endpgm
	.section	.rodata,"a",@progbits
	.p2align	6, 0x0
	.amdhsa_kernel _ZN9rocsolver6v33100L18getri_kernel_smallILi56E19rocblas_complex_numIfEPS3_EEvT1_iilPiilS6_bb
		.amdhsa_group_segment_fixed_size 900
		.amdhsa_private_segment_fixed_size 464
		.amdhsa_kernarg_size 60
		.amdhsa_user_sgpr_count 8
		.amdhsa_user_sgpr_private_segment_buffer 1
		.amdhsa_user_sgpr_dispatch_ptr 0
		.amdhsa_user_sgpr_queue_ptr 0
		.amdhsa_user_sgpr_kernarg_segment_ptr 1
		.amdhsa_user_sgpr_dispatch_id 0
		.amdhsa_user_sgpr_flat_scratch_init 1
		.amdhsa_user_sgpr_kernarg_preload_length 0
		.amdhsa_user_sgpr_kernarg_preload_offset 0
		.amdhsa_user_sgpr_private_segment_size 0
		.amdhsa_uses_dynamic_stack 0
		.amdhsa_system_sgpr_private_segment_wavefront_offset 1
		.amdhsa_system_sgpr_workgroup_id_x 1
		.amdhsa_system_sgpr_workgroup_id_y 0
		.amdhsa_system_sgpr_workgroup_id_z 0
		.amdhsa_system_sgpr_workgroup_info 0
		.amdhsa_system_vgpr_workitem_id 0
		.amdhsa_next_free_vgpr 324
		.amdhsa_next_free_sgpr 23
		.amdhsa_accum_offset 256
		.amdhsa_reserve_vcc 1
		.amdhsa_reserve_flat_scratch 1
		.amdhsa_float_round_mode_32 0
		.amdhsa_float_round_mode_16_64 0
		.amdhsa_float_denorm_mode_32 3
		.amdhsa_float_denorm_mode_16_64 3
		.amdhsa_dx10_clamp 1
		.amdhsa_ieee_mode 1
		.amdhsa_fp16_overflow 0
		.amdhsa_tg_split 0
		.amdhsa_exception_fp_ieee_invalid_op 0
		.amdhsa_exception_fp_denorm_src 0
		.amdhsa_exception_fp_ieee_div_zero 0
		.amdhsa_exception_fp_ieee_overflow 0
		.amdhsa_exception_fp_ieee_underflow 0
		.amdhsa_exception_fp_ieee_inexact 0
		.amdhsa_exception_int_div_zero 0
	.end_amdhsa_kernel
	.section	.text._ZN9rocsolver6v33100L18getri_kernel_smallILi56E19rocblas_complex_numIfEPS3_EEvT1_iilPiilS6_bb,"axG",@progbits,_ZN9rocsolver6v33100L18getri_kernel_smallILi56E19rocblas_complex_numIfEPS3_EEvT1_iilPiilS6_bb,comdat
.Lfunc_end55:
	.size	_ZN9rocsolver6v33100L18getri_kernel_smallILi56E19rocblas_complex_numIfEPS3_EEvT1_iilPiilS6_bb, .Lfunc_end55-_ZN9rocsolver6v33100L18getri_kernel_smallILi56E19rocblas_complex_numIfEPS3_EEvT1_iilPiilS6_bb
                                        ; -- End function
	.section	.AMDGPU.csdata,"",@progbits
; Kernel info:
; codeLenInByte = 119652
; NumSgprs: 29
; NumVgprs: 256
; NumAgprs: 68
; TotalNumVgprs: 324
; ScratchSize: 464
; MemoryBound: 0
; FloatMode: 240
; IeeeMode: 1
; LDSByteSize: 900 bytes/workgroup (compile time only)
; SGPRBlocks: 3
; VGPRBlocks: 40
; NumSGPRsForWavesPerEU: 29
; NumVGPRsForWavesPerEU: 324
; AccumOffset: 256
; Occupancy: 1
; WaveLimiterHint : 1
; COMPUTE_PGM_RSRC2:SCRATCH_EN: 1
; COMPUTE_PGM_RSRC2:USER_SGPR: 8
; COMPUTE_PGM_RSRC2:TRAP_HANDLER: 0
; COMPUTE_PGM_RSRC2:TGID_X_EN: 1
; COMPUTE_PGM_RSRC2:TGID_Y_EN: 0
; COMPUTE_PGM_RSRC2:TGID_Z_EN: 0
; COMPUTE_PGM_RSRC2:TIDIG_COMP_CNT: 0
; COMPUTE_PGM_RSRC3_GFX90A:ACCUM_OFFSET: 63
; COMPUTE_PGM_RSRC3_GFX90A:TG_SPLIT: 0
	.section	.text._ZN9rocsolver6v33100L18getri_kernel_smallILi57E19rocblas_complex_numIfEPS3_EEvT1_iilPiilS6_bb,"axG",@progbits,_ZN9rocsolver6v33100L18getri_kernel_smallILi57E19rocblas_complex_numIfEPS3_EEvT1_iilPiilS6_bb,comdat
	.globl	_ZN9rocsolver6v33100L18getri_kernel_smallILi57E19rocblas_complex_numIfEPS3_EEvT1_iilPiilS6_bb ; -- Begin function _ZN9rocsolver6v33100L18getri_kernel_smallILi57E19rocblas_complex_numIfEPS3_EEvT1_iilPiilS6_bb
	.p2align	8
	.type	_ZN9rocsolver6v33100L18getri_kernel_smallILi57E19rocblas_complex_numIfEPS3_EEvT1_iilPiilS6_bb,@function
_ZN9rocsolver6v33100L18getri_kernel_smallILi57E19rocblas_complex_numIfEPS3_EEvT1_iilPiilS6_bb: ; @_ZN9rocsolver6v33100L18getri_kernel_smallILi57E19rocblas_complex_numIfEPS3_EEvT1_iilPiilS6_bb
; %bb.0:
	s_add_u32 flat_scratch_lo, s6, s9
	s_addc_u32 flat_scratch_hi, s7, 0
	s_add_u32 s0, s0, s9
	s_addc_u32 s1, s1, 0
	v_cmp_gt_u32_e32 vcc, 57, v0
	s_and_saveexec_b64 s[6:7], vcc
	s_cbranch_execz .LBB56_242
; %bb.1:
	s_load_dword s22, s[4:5], 0x38
	s_load_dwordx4 s[16:19], s[4:5], 0x10
	s_load_dwordx4 s[12:15], s[4:5], 0x28
                                        ; implicit-def: $sgpr10_sgpr11
	s_waitcnt lgkmcnt(0)
	s_bitcmp1_b32 s22, 8
	s_cselect_b64 s[20:21], -1, 0
	s_ashr_i32 s9, s8, 31
	s_bfe_u32 s6, s22, 0x10008
	s_cmp_eq_u32 s6, 0
	s_cbranch_scc1 .LBB56_3
; %bb.2:
	s_load_dword s6, s[4:5], 0x20
	s_mul_i32 s7, s8, s13
	s_mul_hi_u32 s10, s8, s12
	s_mul_i32 s11, s9, s12
	s_add_i32 s10, s10, s7
	s_add_i32 s11, s10, s11
	s_mul_i32 s10, s8, s12
	s_waitcnt lgkmcnt(0)
	s_ashr_i32 s7, s6, 31
	s_lshl_b64 s[10:11], s[10:11], 2
	s_add_u32 s10, s18, s10
	s_addc_u32 s11, s19, s11
	s_lshl_b64 s[6:7], s[6:7], 2
	s_add_u32 s10, s10, s6
	s_addc_u32 s11, s11, s7
.LBB56_3:
	s_load_dwordx4 s[4:7], s[4:5], 0x0
	s_mul_i32 s12, s8, s17
	s_mul_hi_u32 s13, s8, s16
	s_add_i32 s17, s13, s12
	v_lshlrev_b32_e32 v6, 3, v0
	s_waitcnt lgkmcnt(0)
	s_ashr_i32 s13, s6, 31
	s_mov_b32 s12, s6
	s_mul_i32 s6, s9, s16
	s_add_i32 s17, s17, s6
	s_mul_i32 s16, s8, s16
	s_lshl_b64 s[16:17], s[16:17], 3
	s_add_u32 s6, s4, s16
	s_addc_u32 s16, s5, s17
	s_lshl_b64 s[4:5], s[12:13], 3
	s_add_u32 s4, s6, s4
	s_addc_u32 s5, s16, s5
	s_add_i32 s6, s7, s7
	v_add_u32_e32 v2, s6, v0
	v_ashrrev_i32_e32 v3, 31, v2
	v_lshlrev_b64 v[4:5], 3, v[2:3]
	v_add_u32_e32 v2, s7, v2
	v_mov_b32_e32 v1, s5
	v_add_co_u32_e32 v12, vcc, s4, v4
	v_ashrrev_i32_e32 v3, 31, v2
	v_addc_co_u32_e32 v13, vcc, v1, v5, vcc
	v_lshlrev_b64 v[4:5], 3, v[2:3]
	v_add_u32_e32 v2, s7, v2
	v_add_co_u32_e32 v14, vcc, s4, v4
	v_ashrrev_i32_e32 v3, 31, v2
	v_addc_co_u32_e32 v15, vcc, v1, v5, vcc
	v_lshlrev_b64 v[4:5], 3, v[2:3]
	v_add_u32_e32 v2, s7, v2
	;; [unrolled: 5-line block ×46, first 2 shown]
	v_add_co_u32_e32 v186, vcc, s4, v4
	v_ashrrev_i32_e32 v3, 31, v2
	v_addc_co_u32_e32 v187, vcc, v1, v5, vcc
	v_lshlrev_b64 v[4:5], 3, v[2:3]
	v_add_co_u32_e32 v188, vcc, s4, v4
	v_addc_co_u32_e32 v189, vcc, v1, v5, vcc
	v_mov_b32_e32 v7, s5
	v_add_co_u32_e32 v196, vcc, s4, v6
	s_ashr_i32 s13, s7, 31
	s_mov_b32 s12, s7
	v_add_u32_e32 v2, s7, v2
	v_addc_co_u32_e32 v197, vcc, 0, v7, vcc
	s_lshl_b64 s[12:13], s[12:13], 3
	v_ashrrev_i32_e32 v3, 31, v2
	v_mov_b32_e32 v7, s13
	v_add_co_u32_e32 v200, vcc, s12, v196
	v_addc_co_u32_e32 v201, vcc, v197, v7, vcc
	v_lshlrev_b64 v[10:11], 3, v[2:3]
	v_add_u32_e32 v2, s7, v2
	v_accvgpr_write_b32 a0, v12
	v_add_co_u32_e32 v190, vcc, s4, v10
	v_accvgpr_write_b32 a2, v14
	v_ashrrev_i32_e32 v3, 31, v2
	v_accvgpr_write_b32 a4, v16
	global_load_dwordx2 v[4:5], v6, s[4:5]
	v_accvgpr_write_b32 a1, v13
	global_load_dwordx2 v[12:13], v[12:13], off
	v_addc_co_u32_e32 v191, vcc, v1, v11, vcc
	global_load_dwordx2 v[10:11], v[14:15], off
	v_accvgpr_write_b32 a3, v15
	v_accvgpr_write_b32 a5, v17
	global_load_dwordx2 v[16:17], v[16:17], off
	v_lshlrev_b64 v[14:15], 3, v[2:3]
	v_accvgpr_write_b32 a6, v18
	v_add_co_u32_e32 v192, vcc, s4, v14
	v_accvgpr_write_b32 a10, v22
	v_accvgpr_write_b32 a7, v19
	global_load_dwordx2 v[18:19], v[18:19], off
	v_addc_co_u32_e32 v193, vcc, v1, v15, vcc
	global_load_dwordx2 v[14:15], v[20:21], off
	v_accvgpr_write_b32 a11, v23
	global_load_dwordx2 v[22:23], v[22:23], off
	v_add_u32_e32 v2, s7, v2
	v_ashrrev_i32_e32 v3, 31, v2
	v_accvgpr_write_b32 a8, v20
	v_accvgpr_write_b32 a16, v28
	;; [unrolled: 1-line block ×4, first 2 shown]
	global_load_dwordx2 v[28:29], v[28:29], off
	v_lshlrev_b64 v[20:21], 3, v[2:3]
	v_add_co_u32_e32 v194, vcc, s4, v20
	global_load_dwordx2 v[8:9], v[200:201], off
	v_addc_co_u32_e32 v195, vcc, v1, v21, vcc
	global_load_dwordx2 v[20:21], v[24:25], off
	v_accvgpr_write_b32 a12, v24
	v_accvgpr_write_b32 a20, v32
	;; [unrolled: 1-line block ×4, first 2 shown]
	global_load_dwordx2 v[32:33], v[32:33], off
	v_accvgpr_write_b32 a22, v34
	v_add_u32_e32 v2, s7, v2
	v_accvgpr_write_b32 a23, v35
	global_load_dwordx2 v[34:35], v[34:35], off
	v_ashrrev_i32_e32 v3, 31, v2
	v_accvgpr_write_b32 a14, v26
	v_accvgpr_write_b32 a15, v27
	;; [unrolled: 1-line block ×7, first 2 shown]
	global_load_dwordx2 v[38:39], v[38:39], off
	v_accvgpr_write_b32 a47, v59
	v_accvgpr_write_b32 a24, v36
	;; [unrolled: 1-line block ×27, first 2 shown]
	s_waitcnt vmcnt(12)
	buffer_store_dword v5, off, s[0:3], 0 offset:4
	buffer_store_dword v4, off, s[0:3], 0
	global_load_dwordx2 v[4:5], v[58:59], off
	v_accvgpr_write_b32 a51, v63
	s_waitcnt vmcnt(14)
	buffer_store_dword v13, off, s[0:3], 0 offset:20
	buffer_store_dword v12, off, s[0:3], 0 offset:16
	global_load_dwordx2 v[12:13], v[66:67], off
	v_accvgpr_write_b32 a63, v75
	s_waitcnt vmcnt(16)
	buffer_store_dword v11, off, s[0:3], 0 offset:28
	buffer_store_dword v10, off, s[0:3], 0 offset:24
	;; [unrolled: 5-line block ×3, first 2 shown]
	global_load_dwordx2 v[16:17], v[74:75], off
	v_accvgpr_write_b32 a64, v76
	v_accvgpr_write_b32 a41, v53
	s_waitcnt vmcnt(20)
	buffer_store_dword v19, off, s[0:3], 0 offset:44
	s_waitcnt vmcnt(20)
	buffer_store_dword v15, off, s[0:3], 0 offset:52
	buffer_store_dword v14, off, s[0:3], 0 offset:48
	s_waitcnt vmcnt(21)
	buffer_store_dword v23, off, s[0:3], 0 offset:60
	buffer_store_dword v22, off, s[0:3], 0 offset:56
	global_load_dwordx2 v[22:23], v[168:169], off
	v_accvgpr_write_b32 a65, v77
	global_load_dwordx2 v[24:25], v[26:27], off
	global_load_dwordx2 v[58:59], v[68:69], off
	;; [unrolled: 1-line block ×3, first 2 shown]
	v_accvgpr_write_b32 a44, v56
	s_waitcnt vmcnt(26)
	buffer_store_dword v28, off, s[0:3], 0 offset:80
	buffer_store_dword v29, off, s[0:3], 0 offset:84
	global_load_dwordx2 v[28:29], v[180:181], off
	v_accvgpr_write_b32 a54, v66
	s_waitcnt vmcnt(28)
	buffer_store_dword v9, off, s[0:3], 0 offset:12
	buffer_store_dword v8, off, s[0:3], 0 offset:8
	global_load_dwordx2 v[8:9], v[62:63], off
	v_accvgpr_write_b32 a45, v57
	s_waitcnt vmcnt(30)
	buffer_store_dword v21, off, s[0:3], 0 offset:68
	buffer_store_dword v20, off, s[0:3], 0 offset:64
	global_load_dwordx2 v[20:21], v[172:173], off
	v_lshlrev_b64 v[26:27], 3, v[2:3]
	v_add_co_u32_e32 v198, vcc, s4, v26
	v_addc_co_u32_e32 v199, vcc, v1, v27, vcc
	global_load_dwordx2 v[26:27], v[30:31], off
	v_add_u32_e32 v2, s7, v2
	v_ashrrev_i32_e32 v3, 31, v2
	v_lshlrev_b64 v[30:31], 3, v[2:3]
	v_add_co_u32_e32 v202, vcc, s4, v30
	v_addc_co_u32_e32 v203, vcc, v1, v31, vcc
	global_load_dwordx2 v[30:31], v[36:37], off
	v_add_u32_e32 v2, s7, v2
	v_ashrrev_i32_e32 v3, 31, v2
	s_waitcnt vmcnt(33)
	buffer_store_dword v34, off, s[0:3], 0 offset:104
	buffer_store_dword v35, off, s[0:3], 0 offset:108
	global_load_dwordx2 v[34:35], v[192:193], off
	v_accvgpr_write_b32 a55, v67
	global_load_dwordx2 v[68:69], v[170:171], off
	global_load_dwordx2 v[82:83], v[202:203], off
	;; [unrolled: 1-line block ×3, first 2 shown]
	v_accvgpr_write_b32 a52, v64
	buffer_store_dword v32, off, s[0:3], 0 offset:96
	buffer_store_dword v33, off, s[0:3], 0 offset:100
	global_load_dwordx2 v[32:33], v[188:189], off
	v_accvgpr_write_b32 a58, v70
	buffer_store_dword v18, off, s[0:3], 0 offset:40
	global_load_dwordx2 v[18:19], v[78:79], off
	v_accvgpr_write_b32 a53, v65
	v_accvgpr_write_b32 a59, v71
	s_waitcnt vmcnt(43)
	buffer_store_dword v38, off, s[0:3], 0 offset:120
	buffer_store_dword v39, off, s[0:3], 0 offset:124
	v_accvgpr_write_b32 a66, v78
	v_accvgpr_write_b32 a67, v79
	;; [unrolled: 1-line block ×4, first 2 shown]
	s_bitcmp0_b32 s22, 0
	s_waitcnt vmcnt(26)
	buffer_store_dword v24, off, s[0:3], 0 offset:72
	buffer_store_dword v25, off, s[0:3], 0 offset:76
	global_load_dwordx2 v[24:25], v[176:177], off
	v_lshlrev_b64 v[36:37], 3, v[2:3]
	v_add_u32_e32 v2, s7, v2
	v_add_co_u32_e32 v204, vcc, s4, v36
	v_ashrrev_i32_e32 v3, 31, v2
	v_addc_co_u32_e32 v205, vcc, v1, v37, vcc
	v_lshlrev_b64 v[2:3], 3, v[2:3]
	global_load_dwordx2 v[36:37], v[40:41], off
	v_add_co_u32_e32 v206, vcc, s4, v2
	v_addc_co_u32_e32 v207, vcc, v1, v3, vcc
	global_load_dwordx2 v[2:3], v[54:55], off
	global_load_dwordx2 v[40:41], v[42:43], off
	;; [unrolled: 1-line block ×5, first 2 shown]
	s_mov_b64 s[6:7], -1
	global_load_dwordx2 v[54:55], v[60:61], off
	global_load_dwordx2 v[42:43], v[44:45], off
	s_waitcnt vmcnt(25)
	buffer_store_dword v26, off, s[0:3], 0 offset:88
	buffer_store_dword v27, off, s[0:3], 0 offset:92
	global_load_dwordx2 v[26:27], v[184:185], off
	s_nop 0
	global_load_dwordx2 v[44:45], v[46:47], off
	global_load_dwordx2 v[60:61], v[72:73], off
	;; [unrolled: 1-line block ×3, first 2 shown]
	s_nop 0
	global_load_dwordx2 v[46:47], v[48:49], off
	global_load_dwordx2 v[72:73], v[178:179], off
	;; [unrolled: 1-line block ×5, first 2 shown]
	s_nop 0
	global_load_dwordx2 v[48:49], v[50:51], off
	s_nop 0
	global_load_dwordx2 v[50:51], v[52:53], off
	;; [unrolled: 2-line block ×3, first 2 shown]
	s_waitcnt vmcnt(38)
	buffer_store_dword v31, off, s[0:3], 0 offset:116
	buffer_store_dword v30, off, s[0:3], 0 offset:112
	global_load_dwordx2 v[30:31], v[198:199], off
	s_nop 0
	global_load_dwordx2 v[56:57], v[64:65], off
	s_nop 0
	;; [unrolled: 2-line block ×3, first 2 shown]
	global_load_dwordx2 v[80:81], v[194:195], off
	s_waitcnt vmcnt(27)
	buffer_store_dword v36, off, s[0:3], 0 offset:128
	buffer_store_dword v37, off, s[0:3], 0 offset:132
	s_waitcnt vmcnt(27)
	buffer_store_dword v40, off, s[0:3], 0 offset:136
	buffer_store_dword v41, off, s[0:3], 0 offset:140
	;; [unrolled: 3-line block ×7, first 2 shown]
	buffer_store_dword v2, off, s[0:3], 0 offset:184
	buffer_store_dword v3, off, s[0:3], 0 offset:188
	s_waitcnt vmcnt(22)
	buffer_store_dword v52, off, s[0:3], 0 offset:192
	buffer_store_dword v53, off, s[0:3], 0 offset:196
	;; [unrolled: 1-line block ×8, first 2 shown]
	s_waitcnt vmcnt(26)
	buffer_store_dword v56, off, s[0:3], 0 offset:224
	buffer_store_dword v57, off, s[0:3], 0 offset:228
	;; [unrolled: 1-line block ×16, first 2 shown]
	s_waitcnt vmcnt(41)
	buffer_store_dword v64, off, s[0:3], 0 offset:288
	buffer_store_dword v65, off, s[0:3], 0 offset:292
	;; [unrolled: 1-line block ×32, first 2 shown]
	s_waitcnt vmcnt(62)
	buffer_store_dword v80, off, s[0:3], 0 offset:416
	buffer_store_dword v81, off, s[0:3], 0 offset:420
	;; [unrolled: 1-line block ×10, first 2 shown]
	s_cbranch_scc1 .LBB56_240
; %bb.4:
	v_cmp_eq_u32_e64 s[4:5], 0, v0
	s_and_saveexec_b64 s[6:7], s[4:5]
	s_cbranch_execz .LBB56_6
; %bb.5:
	v_mov_b32_e32 v1, 0
	ds_write_b32 v1, v1 offset:456
.LBB56_6:
	s_or_b64 exec, exec, s[6:7]
	v_mov_b32_e32 v1, 0
	v_lshl_add_u32 v7, v0, 3, v1
	s_waitcnt lgkmcnt(0)
	; wave barrier
	s_waitcnt lgkmcnt(0)
	buffer_load_dword v1, v7, s[0:3], 0 offen
	buffer_load_dword v2, v7, s[0:3], 0 offen offset:4
	s_waitcnt vmcnt(1)
	v_cmp_eq_f32_e32 vcc, 0, v1
	s_waitcnt vmcnt(0)
	v_cmp_eq_f32_e64 s[6:7], 0, v2
	s_and_b64 s[6:7], vcc, s[6:7]
	s_and_saveexec_b64 s[12:13], s[6:7]
	s_cbranch_execz .LBB56_10
; %bb.7:
	v_mov_b32_e32 v1, 0
	ds_read_b32 v3, v1 offset:456
	v_add_u32_e32 v2, 1, v0
	s_waitcnt lgkmcnt(0)
	v_readfirstlane_b32 s6, v3
	s_cmp_eq_u32 s6, 0
	s_cselect_b64 s[16:17], -1, 0
	v_cmp_gt_i32_e32 vcc, s6, v2
	s_or_b64 s[16:17], s[16:17], vcc
	s_and_b64 exec, exec, s[16:17]
	s_cbranch_execz .LBB56_10
; %bb.8:
	s_mov_b64 s[16:17], 0
	v_mov_b32_e32 v3, s6
.LBB56_9:                               ; =>This Inner Loop Header: Depth=1
	ds_cmpst_rtn_b32 v3, v1, v3, v2 offset:456
	s_waitcnt lgkmcnt(0)
	v_cmp_ne_u32_e32 vcc, 0, v3
	v_cmp_le_i32_e64 s[6:7], v3, v2
	s_and_b64 s[6:7], vcc, s[6:7]
	s_and_b64 s[6:7], exec, s[6:7]
	s_or_b64 s[16:17], s[6:7], s[16:17]
	s_andn2_b64 exec, exec, s[16:17]
	s_cbranch_execnz .LBB56_9
.LBB56_10:
	s_or_b64 exec, exec, s[12:13]
	v_mov_b32_e32 v2, 0
	s_waitcnt lgkmcnt(0)
	; wave barrier
	ds_read_b32 v1, v2 offset:456
	s_and_saveexec_b64 s[6:7], s[4:5]
	s_cbranch_execz .LBB56_12
; %bb.11:
	s_lshl_b64 s[12:13], s[8:9], 2
	s_add_u32 s12, s14, s12
	s_addc_u32 s13, s15, s13
	s_waitcnt lgkmcnt(0)
	global_store_dword v2, v1, s[12:13]
.LBB56_12:
	s_or_b64 exec, exec, s[6:7]
	s_waitcnt lgkmcnt(0)
	v_cmp_ne_u32_e32 vcc, 0, v1
	s_mov_b64 s[6:7], 0
	s_cbranch_vccnz .LBB56_240
; %bb.13:
	buffer_load_dword v8, v7, s[0:3], 0 offen offset:4
	buffer_load_dword v3, v7, s[0:3], 0 offen
	s_waitcnt vmcnt(1)
	v_cmp_gt_f32_e32 vcc, 0, v8
	v_cndmask_b32_e64 v1, v8, -v8, vcc
	s_waitcnt vmcnt(0)
	v_cmp_gt_f32_e32 vcc, 0, v3
	v_cndmask_b32_e64 v2, v3, -v3, vcc
	v_cmp_ngt_f32_e32 vcc, v2, v1
                                        ; implicit-def: $vgpr1
                                        ; implicit-def: $vgpr2
	s_and_saveexec_b64 s[6:7], vcc
	s_xor_b64 s[6:7], exec, s[6:7]
                                        ; implicit-def: $vgpr4_vgpr5
	s_cbranch_execz .LBB56_15
; %bb.14:
	v_div_scale_f32 v1, s[12:13], v8, v8, v3
	v_rcp_f32_e32 v2, v1
	v_div_scale_f32 v4, vcc, v3, v8, v3
	v_fma_f32 v5, -v1, v2, 1.0
	v_fmac_f32_e32 v2, v5, v2
	v_mul_f32_e32 v5, v4, v2
	v_fma_f32 v9, -v1, v5, v4
	v_fmac_f32_e32 v5, v9, v2
	v_fma_f32 v1, -v1, v5, v4
	v_div_fmas_f32 v1, v1, v2, v5
	v_div_fixup_f32 v2, v1, v8, v3
	v_fmac_f32_e32 v8, v3, v2
	v_div_scale_f32 v1, s[12:13], v8, v8, -1.0
	v_rcp_f32_e32 v3, v1
	v_fma_f32 v4, -v1, v3, 1.0
	v_fmac_f32_e32 v3, v4, v3
	v_div_scale_f32 v4, vcc, -1.0, v8, -1.0
	v_mul_f32_e32 v5, v4, v3
	v_fma_f32 v9, -v1, v5, v4
	v_fmac_f32_e32 v5, v9, v3
	v_fma_f32 v1, -v1, v5, v4
	v_div_fmas_f32 v1, v1, v3, v5
	v_div_fixup_f32 v1, v1, v8, -1.0
	v_mul_f32_e32 v2, v2, v1
	v_xor_b32_e32 v4, 0x80000000, v2
                                        ; implicit-def: $vgpr3
                                        ; implicit-def: $vgpr8
.LBB56_15:
	s_andn2_saveexec_b64 s[6:7], s[6:7]
	s_cbranch_execz .LBB56_17
; %bb.16:
	v_div_scale_f32 v1, s[12:13], v3, v3, v8
	v_rcp_f32_e32 v2, v1
	v_div_scale_f32 v4, vcc, v8, v3, v8
	v_fma_f32 v5, -v1, v2, 1.0
	v_fmac_f32_e32 v2, v5, v2
	v_mul_f32_e32 v5, v4, v2
	v_fma_f32 v9, -v1, v5, v4
	v_fmac_f32_e32 v5, v9, v2
	v_fma_f32 v1, -v1, v5, v4
	v_div_fmas_f32 v1, v1, v2, v5
	v_div_fixup_f32 v1, v1, v3, v8
	v_fmac_f32_e32 v3, v8, v1
	v_div_scale_f32 v2, s[12:13], v3, v3, 1.0
	v_rcp_f32_e32 v4, v2
	v_fma_f32 v5, -v2, v4, 1.0
	v_fmac_f32_e32 v4, v5, v4
	v_div_scale_f32 v5, vcc, 1.0, v3, 1.0
	v_mul_f32_e32 v8, v5, v4
	v_fma_f32 v9, -v2, v8, v5
	v_fmac_f32_e32 v8, v9, v4
	v_fma_f32 v2, -v2, v8, v5
	v_div_fmas_f32 v2, v2, v4, v8
	v_div_fixup_f32 v4, v2, v3, 1.0
	v_xor_b32_e32 v2, 0x80000000, v4
	v_mul_f32_e64 v1, v1, -v4
.LBB56_17:
	s_or_b64 exec, exec, s[6:7]
	buffer_store_dword v1, v7, s[0:3], 0 offen offset:4
	buffer_store_dword v4, v7, s[0:3], 0 offen
	buffer_load_dword v5, off, s[0:3], 0 offset:12
	s_nop 0
	buffer_load_dword v4, off, s[0:3], 0 offset:8
	v_xor_b32_e32 v3, 0x80000000, v1
	v_add_u32_e32 v1, 0x1d0, v6
	s_waitcnt vmcnt(0)
	ds_write2_b64 v6, v[2:3], v[4:5] offset1:58
	s_waitcnt lgkmcnt(0)
	; wave barrier
	s_waitcnt lgkmcnt(0)
	s_and_saveexec_b64 s[6:7], s[4:5]
	s_cbranch_execz .LBB56_19
; %bb.18:
	buffer_load_dword v8, v7, s[0:3], 0 offen offset:4
	buffer_load_dword v9, v7, s[0:3], 0 offen
	ds_read_b64 v[2:3], v1
	v_mov_b32_e32 v4, 0
	ds_read_b64 v[4:5], v4 offset:8
	s_waitcnt vmcnt(1) lgkmcnt(1)
	v_mul_f32_e32 v10, v3, v8
	v_mul_f32_e32 v8, v2, v8
	s_waitcnt vmcnt(0)
	v_fmac_f32_e32 v8, v3, v9
	v_fma_f32 v2, v2, v9, -v10
	v_add_f32_e32 v3, 0, v8
	v_add_f32_e32 v2, 0, v2
	s_waitcnt lgkmcnt(0)
	v_mul_f32_e32 v8, v3, v5
	v_mul_f32_e32 v5, v2, v5
	v_fma_f32 v2, v2, v4, -v8
	v_fmac_f32_e32 v5, v3, v4
	buffer_store_dword v2, off, s[0:3], 0 offset:8
	buffer_store_dword v5, off, s[0:3], 0 offset:12
.LBB56_19:
	s_or_b64 exec, exec, s[6:7]
	s_waitcnt lgkmcnt(0)
	; wave barrier
	buffer_load_dword v2, off, s[0:3], 0 offset:16
	buffer_load_dword v3, off, s[0:3], 0 offset:20
	v_cmp_gt_u32_e32 vcc, 2, v0
	s_waitcnt vmcnt(0)
	ds_write_b64 v1, v[2:3]
	s_waitcnt lgkmcnt(0)
	; wave barrier
	s_waitcnt lgkmcnt(0)
	s_and_saveexec_b64 s[6:7], vcc
	s_cbranch_execz .LBB56_23
; %bb.20:
	buffer_load_dword v4, v7, s[0:3], 0 offen offset:4
	buffer_load_dword v5, v7, s[0:3], 0 offen
	ds_read_b64 v[2:3], v1
	s_waitcnt vmcnt(1) lgkmcnt(0)
	v_mul_f32_e32 v7, v3, v4
	v_mul_f32_e32 v4, v2, v4
	s_waitcnt vmcnt(0)
	v_fma_f32 v2, v2, v5, -v7
	v_fmac_f32_e32 v4, v3, v5
	v_add_f32_e32 v3, 0, v2
	v_add_f32_e32 v2, 0, v4
	s_and_saveexec_b64 s[12:13], s[4:5]
	s_cbranch_execz .LBB56_22
; %bb.21:
	buffer_load_dword v7, off, s[0:3], 0 offset:12
	buffer_load_dword v8, off, s[0:3], 0 offset:8
	v_mov_b32_e32 v4, 0
	ds_read_b64 v[4:5], v4 offset:472
	s_waitcnt vmcnt(1) lgkmcnt(0)
	v_mul_f32_e32 v9, v4, v7
	v_mul_f32_e32 v7, v5, v7
	s_waitcnt vmcnt(0)
	v_fmac_f32_e32 v9, v5, v8
	v_fma_f32 v4, v4, v8, -v7
	v_add_f32_e32 v2, v2, v9
	v_add_f32_e32 v3, v3, v4
.LBB56_22:
	s_or_b64 exec, exec, s[12:13]
	v_mov_b32_e32 v4, 0
	ds_read_b64 v[4:5], v4 offset:16
	s_waitcnt lgkmcnt(0)
	v_mul_f32_e32 v7, v2, v5
	v_mul_f32_e32 v5, v3, v5
	v_fma_f32 v3, v3, v4, -v7
	v_fmac_f32_e32 v5, v2, v4
	buffer_store_dword v3, off, s[0:3], 0 offset:16
	buffer_store_dword v5, off, s[0:3], 0 offset:20
.LBB56_23:
	s_or_b64 exec, exec, s[6:7]
	s_waitcnt lgkmcnt(0)
	; wave barrier
	buffer_load_dword v2, off, s[0:3], 0 offset:24
	buffer_load_dword v3, off, s[0:3], 0 offset:28
	v_cmp_gt_u32_e32 vcc, 3, v0
	s_waitcnt vmcnt(0)
	ds_write_b64 v1, v[2:3]
	v_add_u32_e32 v2, -1, v0
	s_waitcnt lgkmcnt(0)
	; wave barrier
	s_waitcnt lgkmcnt(0)
	s_and_saveexec_b64 s[4:5], vcc
	s_cbranch_execz .LBB56_27
; %bb.24:
	v_add_u32_e32 v4, -1, v0
	v_add_u32_e32 v5, 0x1d0, v6
	v_add_u32_e32 v7, 0, v6
	s_mov_b64 s[6:7], 0
	v_mov_b32_e32 v3, 0
	v_mov_b32_e32 v8, 0
.LBB56_25:                              ; =>This Inner Loop Header: Depth=1
	buffer_load_dword v9, v7, s[0:3], 0 offen offset:4
	buffer_load_dword v12, v7, s[0:3], 0 offen
	ds_read_b64 v[10:11], v5
	v_add_u32_e32 v4, 1, v4
	v_cmp_lt_u32_e32 vcc, 1, v4
	v_add_u32_e32 v5, 8, v5
	v_add_u32_e32 v7, 8, v7
	s_or_b64 s[6:7], vcc, s[6:7]
	s_waitcnt vmcnt(1) lgkmcnt(0)
	v_mul_f32_e32 v13, v11, v9
	v_mul_f32_e32 v9, v10, v9
	s_waitcnt vmcnt(0)
	v_fma_f32 v10, v10, v12, -v13
	v_fmac_f32_e32 v9, v11, v12
	v_add_f32_e32 v8, v8, v10
	v_add_f32_e32 v3, v3, v9
	s_andn2_b64 exec, exec, s[6:7]
	s_cbranch_execnz .LBB56_25
; %bb.26:
	s_or_b64 exec, exec, s[6:7]
	v_mov_b32_e32 v4, 0
	ds_read_b64 v[4:5], v4 offset:24
	s_waitcnt lgkmcnt(0)
	v_mul_f32_e32 v7, v3, v5
	v_mul_f32_e32 v5, v8, v5
	v_fma_f32 v7, v8, v4, -v7
	v_fmac_f32_e32 v5, v3, v4
	buffer_store_dword v7, off, s[0:3], 0 offset:24
	buffer_store_dword v5, off, s[0:3], 0 offset:28
.LBB56_27:
	s_or_b64 exec, exec, s[4:5]
	s_waitcnt lgkmcnt(0)
	; wave barrier
	buffer_load_dword v4, off, s[0:3], 0 offset:32
	buffer_load_dword v5, off, s[0:3], 0 offset:36
	v_cmp_gt_u32_e32 vcc, 4, v0
	s_waitcnt vmcnt(0)
	ds_write_b64 v1, v[4:5]
	s_waitcnt lgkmcnt(0)
	; wave barrier
	s_waitcnt lgkmcnt(0)
	s_and_saveexec_b64 s[4:5], vcc
	s_cbranch_execz .LBB56_31
; %bb.28:
	v_add_u32_e32 v4, -1, v0
	v_add_u32_e32 v5, 0x1d0, v6
	v_add_u32_e32 v7, 0, v6
	s_mov_b64 s[6:7], 0
	v_mov_b32_e32 v3, 0
	v_mov_b32_e32 v8, 0
.LBB56_29:                              ; =>This Inner Loop Header: Depth=1
	buffer_load_dword v9, v7, s[0:3], 0 offen offset:4
	buffer_load_dword v12, v7, s[0:3], 0 offen
	ds_read_b64 v[10:11], v5
	v_add_u32_e32 v4, 1, v4
	v_cmp_lt_u32_e32 vcc, 2, v4
	v_add_u32_e32 v5, 8, v5
	v_add_u32_e32 v7, 8, v7
	s_or_b64 s[6:7], vcc, s[6:7]
	s_waitcnt vmcnt(1) lgkmcnt(0)
	v_mul_f32_e32 v13, v11, v9
	v_mul_f32_e32 v9, v10, v9
	s_waitcnt vmcnt(0)
	v_fma_f32 v10, v10, v12, -v13
	v_fmac_f32_e32 v9, v11, v12
	v_add_f32_e32 v8, v8, v10
	v_add_f32_e32 v3, v3, v9
	s_andn2_b64 exec, exec, s[6:7]
	s_cbranch_execnz .LBB56_29
; %bb.30:
	s_or_b64 exec, exec, s[6:7]
	v_mov_b32_e32 v4, 0
	ds_read_b64 v[4:5], v4 offset:32
	s_waitcnt lgkmcnt(0)
	v_mul_f32_e32 v7, v3, v5
	v_mul_f32_e32 v5, v8, v5
	v_fma_f32 v7, v8, v4, -v7
	v_fmac_f32_e32 v5, v3, v4
	buffer_store_dword v7, off, s[0:3], 0 offset:32
	buffer_store_dword v5, off, s[0:3], 0 offset:36
.LBB56_31:
	s_or_b64 exec, exec, s[4:5]
	s_waitcnt lgkmcnt(0)
	; wave barrier
	buffer_load_dword v4, off, s[0:3], 0 offset:40
	buffer_load_dword v5, off, s[0:3], 0 offset:44
	v_cmp_gt_u32_e32 vcc, 5, v0
	s_waitcnt vmcnt(0)
	ds_write_b64 v1, v[4:5]
	;; [unrolled: 51-line block ×19, first 2 shown]
	s_waitcnt lgkmcnt(0)
	; wave barrier
	s_waitcnt lgkmcnt(0)
	s_and_saveexec_b64 s[4:5], vcc
	s_cbranch_execz .LBB56_103
; %bb.100:
	v_add_u32_e32 v4, -1, v0
	v_add_u32_e32 v5, 0x1d0, v6
	v_add_u32_e32 v7, 0, v6
	s_mov_b64 s[6:7], 0
	v_mov_b32_e32 v3, 0
	v_mov_b32_e32 v8, 0
.LBB56_101:                             ; =>This Inner Loop Header: Depth=1
	buffer_load_dword v9, v7, s[0:3], 0 offen offset:4
	buffer_load_dword v12, v7, s[0:3], 0 offen
	ds_read_b64 v[10:11], v5
	v_add_u32_e32 v4, 1, v4
	v_cmp_lt_u32_e32 vcc, 20, v4
	v_add_u32_e32 v5, 8, v5
	v_add_u32_e32 v7, 8, v7
	s_or_b64 s[6:7], vcc, s[6:7]
	s_waitcnt vmcnt(1) lgkmcnt(0)
	v_mul_f32_e32 v13, v11, v9
	v_mul_f32_e32 v9, v10, v9
	s_waitcnt vmcnt(0)
	v_fma_f32 v10, v10, v12, -v13
	v_fmac_f32_e32 v9, v11, v12
	v_add_f32_e32 v8, v8, v10
	v_add_f32_e32 v3, v3, v9
	s_andn2_b64 exec, exec, s[6:7]
	s_cbranch_execnz .LBB56_101
; %bb.102:
	s_or_b64 exec, exec, s[6:7]
	v_mov_b32_e32 v4, 0
	ds_read_b64 v[4:5], v4 offset:176
	s_waitcnt lgkmcnt(0)
	v_mul_f32_e32 v7, v3, v5
	v_mul_f32_e32 v5, v8, v5
	v_fma_f32 v7, v8, v4, -v7
	v_fmac_f32_e32 v5, v3, v4
	buffer_store_dword v7, off, s[0:3], 0 offset:176
	buffer_store_dword v5, off, s[0:3], 0 offset:180
.LBB56_103:
	s_or_b64 exec, exec, s[4:5]
	s_waitcnt lgkmcnt(0)
	; wave barrier
	buffer_load_dword v4, off, s[0:3], 0 offset:184
	buffer_load_dword v5, off, s[0:3], 0 offset:188
	v_cmp_gt_u32_e32 vcc, 23, v0
	s_waitcnt vmcnt(0)
	ds_write_b64 v1, v[4:5]
	s_waitcnt lgkmcnt(0)
	; wave barrier
	s_waitcnt lgkmcnt(0)
	s_and_saveexec_b64 s[4:5], vcc
	s_cbranch_execz .LBB56_107
; %bb.104:
	v_add_u32_e32 v4, -1, v0
	v_add_u32_e32 v5, 0x1d0, v6
	v_add_u32_e32 v7, 0, v6
	s_mov_b64 s[6:7], 0
	v_mov_b32_e32 v3, 0
	v_mov_b32_e32 v8, 0
.LBB56_105:                             ; =>This Inner Loop Header: Depth=1
	buffer_load_dword v9, v7, s[0:3], 0 offen offset:4
	buffer_load_dword v12, v7, s[0:3], 0 offen
	ds_read_b64 v[10:11], v5
	v_add_u32_e32 v4, 1, v4
	v_cmp_lt_u32_e32 vcc, 21, v4
	v_add_u32_e32 v5, 8, v5
	v_add_u32_e32 v7, 8, v7
	s_or_b64 s[6:7], vcc, s[6:7]
	s_waitcnt vmcnt(1) lgkmcnt(0)
	v_mul_f32_e32 v13, v11, v9
	v_mul_f32_e32 v9, v10, v9
	s_waitcnt vmcnt(0)
	v_fma_f32 v10, v10, v12, -v13
	v_fmac_f32_e32 v9, v11, v12
	v_add_f32_e32 v8, v8, v10
	v_add_f32_e32 v3, v3, v9
	s_andn2_b64 exec, exec, s[6:7]
	s_cbranch_execnz .LBB56_105
; %bb.106:
	s_or_b64 exec, exec, s[6:7]
	v_mov_b32_e32 v4, 0
	ds_read_b64 v[4:5], v4 offset:184
	s_waitcnt lgkmcnt(0)
	v_mul_f32_e32 v7, v3, v5
	v_mul_f32_e32 v5, v8, v5
	v_fma_f32 v7, v8, v4, -v7
	v_fmac_f32_e32 v5, v3, v4
	buffer_store_dword v7, off, s[0:3], 0 offset:184
	buffer_store_dword v5, off, s[0:3], 0 offset:188
.LBB56_107:
	s_or_b64 exec, exec, s[4:5]
	s_waitcnt lgkmcnt(0)
	; wave barrier
	buffer_load_dword v4, off, s[0:3], 0 offset:192
	buffer_load_dword v5, off, s[0:3], 0 offset:196
	v_cmp_gt_u32_e32 vcc, 24, v0
	s_waitcnt vmcnt(0)
	ds_write_b64 v1, v[4:5]
	;; [unrolled: 51-line block ×33, first 2 shown]
	s_waitcnt lgkmcnt(0)
	; wave barrier
	s_waitcnt lgkmcnt(0)
	s_and_saveexec_b64 s[4:5], vcc
	s_cbranch_execz .LBB56_235
; %bb.232:
	v_add_u32_e32 v4, -1, v0
	v_add_u32_e32 v5, 0x1d0, v6
	v_add_u32_e32 v7, 0, v6
	s_mov_b64 s[6:7], 0
	v_mov_b32_e32 v3, 0
	v_mov_b32_e32 v8, 0
.LBB56_233:                             ; =>This Inner Loop Header: Depth=1
	buffer_load_dword v9, v7, s[0:3], 0 offen offset:4
	buffer_load_dword v12, v7, s[0:3], 0 offen
	ds_read_b64 v[10:11], v5
	v_add_u32_e32 v4, 1, v4
	v_cmp_lt_u32_e32 vcc, 53, v4
	v_add_u32_e32 v5, 8, v5
	v_add_u32_e32 v7, 8, v7
	s_or_b64 s[6:7], vcc, s[6:7]
	s_waitcnt vmcnt(1) lgkmcnt(0)
	v_mul_f32_e32 v13, v11, v9
	v_mul_f32_e32 v9, v10, v9
	s_waitcnt vmcnt(0)
	v_fma_f32 v10, v10, v12, -v13
	v_fmac_f32_e32 v9, v11, v12
	v_add_f32_e32 v8, v8, v10
	v_add_f32_e32 v3, v3, v9
	s_andn2_b64 exec, exec, s[6:7]
	s_cbranch_execnz .LBB56_233
; %bb.234:
	s_or_b64 exec, exec, s[6:7]
	v_mov_b32_e32 v4, 0
	ds_read_b64 v[4:5], v4 offset:440
	s_waitcnt lgkmcnt(0)
	v_mul_f32_e32 v7, v3, v5
	v_mul_f32_e32 v5, v8, v5
	v_fma_f32 v7, v8, v4, -v7
	v_fmac_f32_e32 v5, v3, v4
	buffer_store_dword v7, off, s[0:3], 0 offset:440
	buffer_store_dword v5, off, s[0:3], 0 offset:444
.LBB56_235:
	s_or_b64 exec, exec, s[4:5]
	s_waitcnt lgkmcnt(0)
	; wave barrier
	buffer_load_dword v4, off, s[0:3], 0 offset:448
	buffer_load_dword v5, off, s[0:3], 0 offset:452
	v_cmp_ne_u32_e32 vcc, 56, v0
	s_waitcnt vmcnt(0)
	ds_write_b64 v1, v[4:5]
	s_waitcnt lgkmcnt(0)
	; wave barrier
	s_waitcnt lgkmcnt(0)
	s_and_saveexec_b64 s[4:5], vcc
	s_cbranch_execz .LBB56_239
; %bb.236:
	v_add_u32_e32 v3, 0x1d0, v6
	v_add_u32_e32 v4, 0, v6
	s_mov_b64 s[6:7], 0
	v_mov_b32_e32 v1, 0
	v_mov_b32_e32 v5, 0
.LBB56_237:                             ; =>This Inner Loop Header: Depth=1
	buffer_load_dword v8, v4, s[0:3], 0 offen offset:4
	buffer_load_dword v9, v4, s[0:3], 0 offen
	ds_read_b64 v[6:7], v3
	v_add_u32_e32 v2, 1, v2
	v_cmp_lt_u32_e32 vcc, 54, v2
	v_add_u32_e32 v3, 8, v3
	v_add_u32_e32 v4, 8, v4
	s_or_b64 s[6:7], vcc, s[6:7]
	s_waitcnt vmcnt(1) lgkmcnt(0)
	v_mul_f32_e32 v10, v7, v8
	v_mul_f32_e32 v8, v6, v8
	s_waitcnt vmcnt(0)
	v_fma_f32 v6, v6, v9, -v10
	v_fmac_f32_e32 v8, v7, v9
	v_add_f32_e32 v5, v5, v6
	v_add_f32_e32 v1, v1, v8
	s_andn2_b64 exec, exec, s[6:7]
	s_cbranch_execnz .LBB56_237
; %bb.238:
	s_or_b64 exec, exec, s[6:7]
	v_mov_b32_e32 v2, 0
	ds_read_b64 v[2:3], v2 offset:448
	s_waitcnt lgkmcnt(0)
	v_mul_f32_e32 v4, v1, v3
	v_mul_f32_e32 v3, v5, v3
	v_fma_f32 v4, v5, v2, -v4
	v_fmac_f32_e32 v3, v1, v2
	buffer_store_dword v4, off, s[0:3], 0 offset:448
	buffer_store_dword v3, off, s[0:3], 0 offset:452
.LBB56_239:
	s_or_b64 exec, exec, s[4:5]
	s_mov_b64 s[6:7], -1
	s_waitcnt lgkmcnt(0)
	; wave barrier
.LBB56_240:
	s_and_b64 vcc, exec, s[6:7]
	s_cbranch_vccz .LBB56_242
; %bb.241:
	s_lshl_b64 s[4:5], s[8:9], 2
	s_add_u32 s4, s14, s4
	s_addc_u32 s5, s15, s5
	v_mov_b32_e32 v1, 0
	global_load_dword v1, v1, s[4:5]
	s_waitcnt vmcnt(0)
	v_cmp_ne_u32_e32 vcc, 0, v1
	s_cbranch_vccz .LBB56_243
.LBB56_242:
	s_endpgm
.LBB56_243:
	v_mov_b32_e32 v1, 0x1d0
	v_lshl_add_u32 v165, v0, 3, v1
	v_cmp_eq_u32_e32 vcc, 56, v0
	s_and_saveexec_b64 s[4:5], vcc
	s_cbranch_execz .LBB56_245
; %bb.244:
	buffer_load_dword v2, off, s[0:3], 0 offset:440
	buffer_load_dword v3, off, s[0:3], 0 offset:444
	v_mov_b32_e32 v1, 0
	buffer_store_dword v1, off, s[0:3], 0 offset:440
	buffer_store_dword v1, off, s[0:3], 0 offset:444
	s_waitcnt vmcnt(2)
	ds_write_b64 v165, v[2:3]
.LBB56_245:
	s_or_b64 exec, exec, s[4:5]
	s_waitcnt lgkmcnt(0)
	; wave barrier
	s_waitcnt lgkmcnt(0)
	buffer_load_dword v3, off, s[0:3], 0 offset:452
	buffer_load_dword v2, off, s[0:3], 0 offset:448
	;; [unrolled: 1-line block ×4, first 2 shown]
	v_mov_b32_e32 v1, 0
	ds_read_b64 v[6:7], v1 offset:912
	v_cmp_lt_u32_e32 vcc, 54, v0
	s_waitcnt vmcnt(3)
	v_mov_b32_e32 v8, v3
	s_waitcnt lgkmcnt(0)
	v_pk_mul_f32 v[8:9], v[6:7], v[8:9] op_sel_hi:[1,0]
	s_waitcnt vmcnt(2)
	v_pk_fma_f32 v[10:11], v[6:7], v[2:3], v[8:9] op_sel:[0,0,1] op_sel_hi:[1,1,0] neg_lo:[0,0,1] neg_hi:[0,0,1]
	v_pk_fma_f32 v[2:3], v[6:7], v[2:3], v[8:9] op_sel:[0,0,1] op_sel_hi:[1,0,0]
	v_mov_b32_e32 v11, v3
	v_pk_add_f32 v[2:3], v[10:11], 0 op_sel_hi:[1,0]
	s_waitcnt vmcnt(0)
	v_pk_add_f32 v[2:3], v[4:5], v[2:3] neg_lo:[0,1] neg_hi:[0,1]
	buffer_store_dword v2, off, s[0:3], 0 offset:440
	buffer_store_dword v3, off, s[0:3], 0 offset:444
	s_and_saveexec_b64 s[4:5], vcc
	s_cbranch_execz .LBB56_247
; %bb.246:
	buffer_load_dword v2, off, s[0:3], 0 offset:432
	buffer_load_dword v3, off, s[0:3], 0 offset:436
	s_waitcnt vmcnt(0)
	ds_write_b64 v165, v[2:3]
	buffer_store_dword v1, off, s[0:3], 0 offset:432
	buffer_store_dword v1, off, s[0:3], 0 offset:436
.LBB56_247:
	s_or_b64 exec, exec, s[4:5]
	s_waitcnt lgkmcnt(0)
	; wave barrier
	s_waitcnt lgkmcnt(0)
	buffer_load_dword v7, off, s[0:3], 0 offset:444
	buffer_load_dword v9, off, s[0:3], 0 offset:452
	;; [unrolled: 1-line block ×6, first 2 shown]
	ds_read2_b64 v[2:5], v1 offset0:113 offset1:114
	v_cmp_lt_u32_e32 vcc, 53, v0
	s_waitcnt vmcnt(5)
	v_mov_b32_e32 v12, v7
	s_waitcnt vmcnt(4)
	v_mov_b32_e32 v14, v9
	s_waitcnt lgkmcnt(0)
	v_pk_mul_f32 v[12:13], v[2:3], v[12:13] op_sel_hi:[1,0]
	v_pk_mul_f32 v[14:15], v[4:5], v[14:15] op_sel_hi:[1,0]
	s_waitcnt vmcnt(3)
	v_pk_fma_f32 v[16:17], v[2:3], v[6:7], v[12:13] op_sel:[0,0,1] op_sel_hi:[1,1,0] neg_lo:[0,0,1] neg_hi:[0,0,1]
	v_pk_fma_f32 v[2:3], v[2:3], v[6:7], v[12:13] op_sel:[0,0,1] op_sel_hi:[1,0,0]
	s_waitcnt vmcnt(2)
	v_pk_fma_f32 v[6:7], v[4:5], v[8:9], v[14:15] op_sel:[0,0,1] op_sel_hi:[1,1,0] neg_lo:[0,0,1] neg_hi:[0,0,1]
	v_pk_fma_f32 v[4:5], v[4:5], v[8:9], v[14:15] op_sel:[0,0,1] op_sel_hi:[1,0,0]
	v_mov_b32_e32 v17, v3
	v_mov_b32_e32 v7, v5
	v_pk_add_f32 v[2:3], v[16:17], 0 op_sel_hi:[1,0]
	v_pk_add_f32 v[2:3], v[2:3], v[6:7]
	s_waitcnt vmcnt(0)
	v_pk_add_f32 v[2:3], v[10:11], v[2:3] neg_lo:[0,1] neg_hi:[0,1]
	buffer_store_dword v2, off, s[0:3], 0 offset:432
	buffer_store_dword v3, off, s[0:3], 0 offset:436
	s_and_saveexec_b64 s[4:5], vcc
	s_cbranch_execz .LBB56_249
; %bb.248:
	buffer_load_dword v2, off, s[0:3], 0 offset:424
	buffer_load_dword v3, off, s[0:3], 0 offset:428
	v_mov_b32_e32 v1, 0
	buffer_store_dword v1, off, s[0:3], 0 offset:424
	buffer_store_dword v1, off, s[0:3], 0 offset:428
	s_waitcnt vmcnt(2)
	ds_write_b64 v165, v[2:3]
.LBB56_249:
	s_or_b64 exec, exec, s[4:5]
	s_waitcnt lgkmcnt(0)
	; wave barrier
	s_waitcnt lgkmcnt(0)
	buffer_load_dword v7, off, s[0:3], 0 offset:436
	buffer_load_dword v9, off, s[0:3], 0 offset:444
	;; [unrolled: 1-line block ×8, first 2 shown]
	v_mov_b32_e32 v1, 0
	ds_read_b128 v[2:5], v1 offset:896
	ds_read_b64 v[14:15], v1 offset:912
	v_cmp_lt_u32_e32 vcc, 52, v0
	s_waitcnt vmcnt(7)
	v_mov_b32_e32 v16, v7
	s_waitcnt vmcnt(6)
	v_mov_b32_e32 v18, v9
	s_waitcnt lgkmcnt(1)
	v_pk_mul_f32 v[16:17], v[2:3], v[16:17] op_sel_hi:[1,0]
	s_waitcnt vmcnt(5)
	v_mov_b32_e32 v20, v11
	v_pk_mul_f32 v[18:19], v[4:5], v[18:19] op_sel_hi:[1,0]
	s_waitcnt vmcnt(4)
	v_pk_fma_f32 v[22:23], v[2:3], v[6:7], v[16:17] op_sel:[0,0,1] op_sel_hi:[1,1,0] neg_lo:[0,0,1] neg_hi:[0,0,1]
	v_pk_fma_f32 v[2:3], v[2:3], v[6:7], v[16:17] op_sel:[0,0,1] op_sel_hi:[1,0,0]
	s_waitcnt lgkmcnt(0)
	v_pk_mul_f32 v[20:21], v[14:15], v[20:21] op_sel_hi:[1,0]
	s_waitcnt vmcnt(3)
	v_pk_fma_f32 v[6:7], v[4:5], v[8:9], v[18:19] op_sel:[0,0,1] op_sel_hi:[1,1,0] neg_lo:[0,0,1] neg_hi:[0,0,1]
	v_pk_fma_f32 v[4:5], v[4:5], v[8:9], v[18:19] op_sel:[0,0,1] op_sel_hi:[1,0,0]
	v_mov_b32_e32 v23, v3
	s_waitcnt vmcnt(2)
	v_pk_fma_f32 v[8:9], v[14:15], v[10:11], v[20:21] op_sel:[0,0,1] op_sel_hi:[1,1,0] neg_lo:[0,0,1] neg_hi:[0,0,1]
	v_pk_fma_f32 v[10:11], v[14:15], v[10:11], v[20:21] op_sel:[0,0,1] op_sel_hi:[1,0,0]
	v_mov_b32_e32 v7, v5
	v_pk_add_f32 v[2:3], v[22:23], 0 op_sel_hi:[1,0]
	v_mov_b32_e32 v9, v11
	v_pk_add_f32 v[2:3], v[2:3], v[6:7]
	v_pk_add_f32 v[2:3], v[2:3], v[8:9]
	s_waitcnt vmcnt(0)
	v_pk_add_f32 v[2:3], v[12:13], v[2:3] neg_lo:[0,1] neg_hi:[0,1]
	buffer_store_dword v2, off, s[0:3], 0 offset:424
	buffer_store_dword v3, off, s[0:3], 0 offset:428
	s_and_saveexec_b64 s[4:5], vcc
	s_cbranch_execz .LBB56_251
; %bb.250:
	buffer_load_dword v2, off, s[0:3], 0 offset:416
	buffer_load_dword v3, off, s[0:3], 0 offset:420
	s_waitcnt vmcnt(0)
	ds_write_b64 v165, v[2:3]
	buffer_store_dword v1, off, s[0:3], 0 offset:416
	buffer_store_dword v1, off, s[0:3], 0 offset:420
.LBB56_251:
	s_or_b64 exec, exec, s[4:5]
	s_waitcnt lgkmcnt(0)
	; wave barrier
	s_waitcnt lgkmcnt(0)
	buffer_load_dword v11, off, s[0:3], 0 offset:428
	buffer_load_dword v13, off, s[0:3], 0 offset:436
	;; [unrolled: 1-line block ×10, first 2 shown]
	ds_read2_b64 v[2:5], v1 offset0:111 offset1:112
	ds_read2_b64 v[6:9], v1 offset0:113 offset1:114
	v_cmp_lt_u32_e32 vcc, 51, v0
	s_waitcnt vmcnt(9)
	v_mov_b32_e32 v20, v11
	s_waitcnt vmcnt(8)
	v_mov_b32_e32 v22, v13
	s_waitcnt lgkmcnt(1)
	v_pk_mul_f32 v[20:21], v[2:3], v[20:21] op_sel_hi:[1,0]
	s_waitcnt vmcnt(7)
	v_mov_b32_e32 v24, v15
	v_pk_mul_f32 v[22:23], v[4:5], v[22:23] op_sel_hi:[1,0]
	s_waitcnt vmcnt(5)
	v_pk_fma_f32 v[28:29], v[2:3], v[10:11], v[20:21] op_sel:[0,0,1] op_sel_hi:[1,1,0] neg_lo:[0,0,1] neg_hi:[0,0,1]
	v_pk_fma_f32 v[2:3], v[2:3], v[10:11], v[20:21] op_sel:[0,0,1] op_sel_hi:[1,0,0]
	v_mov_b32_e32 v26, v17
	s_waitcnt lgkmcnt(0)
	v_pk_mul_f32 v[24:25], v[6:7], v[24:25] op_sel_hi:[1,0]
	s_waitcnt vmcnt(4)
	v_pk_fma_f32 v[10:11], v[4:5], v[12:13], v[22:23] op_sel:[0,0,1] op_sel_hi:[1,1,0] neg_lo:[0,0,1] neg_hi:[0,0,1]
	v_pk_fma_f32 v[4:5], v[4:5], v[12:13], v[22:23] op_sel:[0,0,1] op_sel_hi:[1,0,0]
	v_mov_b32_e32 v29, v3
	v_pk_mul_f32 v[26:27], v[8:9], v[26:27] op_sel_hi:[1,0]
	s_waitcnt vmcnt(3)
	v_pk_fma_f32 v[12:13], v[6:7], v[14:15], v[24:25] op_sel:[0,0,1] op_sel_hi:[1,1,0] neg_lo:[0,0,1] neg_hi:[0,0,1]
	v_pk_fma_f32 v[6:7], v[6:7], v[14:15], v[24:25] op_sel:[0,0,1] op_sel_hi:[1,0,0]
	v_mov_b32_e32 v11, v5
	v_pk_add_f32 v[2:3], v[28:29], 0 op_sel_hi:[1,0]
	s_waitcnt vmcnt(2)
	v_pk_fma_f32 v[14:15], v[8:9], v[16:17], v[26:27] op_sel:[0,0,1] op_sel_hi:[1,1,0] neg_lo:[0,0,1] neg_hi:[0,0,1]
	v_pk_fma_f32 v[8:9], v[8:9], v[16:17], v[26:27] op_sel:[0,0,1] op_sel_hi:[1,0,0]
	v_mov_b32_e32 v13, v7
	v_pk_add_f32 v[2:3], v[2:3], v[10:11]
	v_mov_b32_e32 v15, v9
	v_pk_add_f32 v[2:3], v[2:3], v[12:13]
	v_pk_add_f32 v[2:3], v[2:3], v[14:15]
	s_waitcnt vmcnt(0)
	v_pk_add_f32 v[2:3], v[18:19], v[2:3] neg_lo:[0,1] neg_hi:[0,1]
	buffer_store_dword v2, off, s[0:3], 0 offset:416
	buffer_store_dword v3, off, s[0:3], 0 offset:420
	s_and_saveexec_b64 s[4:5], vcc
	s_cbranch_execz .LBB56_253
; %bb.252:
	buffer_load_dword v2, off, s[0:3], 0 offset:408
	buffer_load_dword v3, off, s[0:3], 0 offset:412
	v_mov_b32_e32 v1, 0
	buffer_store_dword v1, off, s[0:3], 0 offset:408
	buffer_store_dword v1, off, s[0:3], 0 offset:412
	s_waitcnt vmcnt(2)
	ds_write_b64 v165, v[2:3]
.LBB56_253:
	s_or_b64 exec, exec, s[4:5]
	s_waitcnt lgkmcnt(0)
	; wave barrier
	s_waitcnt lgkmcnt(0)
	buffer_load_dword v11, off, s[0:3], 0 offset:420
	buffer_load_dword v13, off, s[0:3], 0 offset:428
	;; [unrolled: 1-line block ×12, first 2 shown]
	v_mov_b32_e32 v1, 0
	ds_read_b128 v[2:5], v1 offset:880
	ds_read_b128 v[6:9], v1 offset:896
	ds_read_b64 v[22:23], v1 offset:912
	v_cmp_lt_u32_e32 vcc, 50, v0
	s_waitcnt vmcnt(11)
	v_mov_b32_e32 v24, v11
	s_waitcnt vmcnt(10)
	v_mov_b32_e32 v26, v13
	s_waitcnt lgkmcnt(2)
	v_pk_mul_f32 v[24:25], v[2:3], v[24:25] op_sel_hi:[1,0]
	s_waitcnt vmcnt(9)
	v_mov_b32_e32 v28, v15
	v_pk_mul_f32 v[26:27], v[4:5], v[26:27] op_sel_hi:[1,0]
	s_waitcnt vmcnt(6)
	v_pk_fma_f32 v[34:35], v[2:3], v[10:11], v[24:25] op_sel:[0,0,1] op_sel_hi:[1,1,0] neg_lo:[0,0,1] neg_hi:[0,0,1]
	v_pk_fma_f32 v[2:3], v[2:3], v[10:11], v[24:25] op_sel:[0,0,1] op_sel_hi:[1,0,0]
	v_mov_b32_e32 v30, v17
	s_waitcnt lgkmcnt(1)
	v_pk_mul_f32 v[28:29], v[6:7], v[28:29] op_sel_hi:[1,0]
	s_waitcnt vmcnt(5)
	v_pk_fma_f32 v[10:11], v[4:5], v[12:13], v[26:27] op_sel:[0,0,1] op_sel_hi:[1,1,0] neg_lo:[0,0,1] neg_hi:[0,0,1]
	v_pk_fma_f32 v[4:5], v[4:5], v[12:13], v[26:27] op_sel:[0,0,1] op_sel_hi:[1,0,0]
	v_mov_b32_e32 v35, v3
	v_mov_b32_e32 v32, v19
	v_pk_mul_f32 v[30:31], v[8:9], v[30:31] op_sel_hi:[1,0]
	s_waitcnt vmcnt(4)
	v_pk_fma_f32 v[12:13], v[6:7], v[14:15], v[28:29] op_sel:[0,0,1] op_sel_hi:[1,1,0] neg_lo:[0,0,1] neg_hi:[0,0,1]
	v_pk_fma_f32 v[6:7], v[6:7], v[14:15], v[28:29] op_sel:[0,0,1] op_sel_hi:[1,0,0]
	v_mov_b32_e32 v11, v5
	v_pk_add_f32 v[2:3], v[34:35], 0 op_sel_hi:[1,0]
	s_waitcnt lgkmcnt(0)
	v_pk_mul_f32 v[32:33], v[22:23], v[32:33] op_sel_hi:[1,0]
	s_waitcnt vmcnt(3)
	v_pk_fma_f32 v[14:15], v[8:9], v[16:17], v[30:31] op_sel:[0,0,1] op_sel_hi:[1,1,0] neg_lo:[0,0,1] neg_hi:[0,0,1]
	v_pk_fma_f32 v[8:9], v[8:9], v[16:17], v[30:31] op_sel:[0,0,1] op_sel_hi:[1,0,0]
	v_mov_b32_e32 v13, v7
	v_pk_add_f32 v[2:3], v[2:3], v[10:11]
	s_waitcnt vmcnt(2)
	v_pk_fma_f32 v[16:17], v[22:23], v[18:19], v[32:33] op_sel:[0,0,1] op_sel_hi:[1,1,0] neg_lo:[0,0,1] neg_hi:[0,0,1]
	v_pk_fma_f32 v[18:19], v[22:23], v[18:19], v[32:33] op_sel:[0,0,1] op_sel_hi:[1,0,0]
	v_mov_b32_e32 v15, v9
	v_pk_add_f32 v[2:3], v[2:3], v[12:13]
	v_mov_b32_e32 v17, v19
	v_pk_add_f32 v[2:3], v[2:3], v[14:15]
	v_pk_add_f32 v[2:3], v[2:3], v[16:17]
	s_waitcnt vmcnt(0)
	v_pk_add_f32 v[2:3], v[20:21], v[2:3] neg_lo:[0,1] neg_hi:[0,1]
	buffer_store_dword v2, off, s[0:3], 0 offset:408
	buffer_store_dword v3, off, s[0:3], 0 offset:412
	s_and_saveexec_b64 s[4:5], vcc
	s_cbranch_execz .LBB56_255
; %bb.254:
	buffer_load_dword v2, off, s[0:3], 0 offset:400
	buffer_load_dword v3, off, s[0:3], 0 offset:404
	s_waitcnt vmcnt(0)
	ds_write_b64 v165, v[2:3]
	buffer_store_dword v1, off, s[0:3], 0 offset:400
	buffer_store_dword v1, off, s[0:3], 0 offset:404
.LBB56_255:
	s_or_b64 exec, exec, s[4:5]
	s_waitcnt lgkmcnt(0)
	; wave barrier
	s_waitcnt lgkmcnt(0)
	buffer_load_dword v15, off, s[0:3], 0 offset:412
	buffer_load_dword v17, off, s[0:3], 0 offset:420
	;; [unrolled: 1-line block ×14, first 2 shown]
	ds_read2_b64 v[2:5], v1 offset0:109 offset1:110
	ds_read2_b64 v[6:9], v1 offset0:111 offset1:112
	;; [unrolled: 1-line block ×3, first 2 shown]
	v_cmp_lt_u32_e32 vcc, 49, v0
	s_waitcnt vmcnt(13)
	v_mov_b32_e32 v28, v15
	s_waitcnt vmcnt(12)
	v_mov_b32_e32 v30, v17
	s_waitcnt lgkmcnt(2)
	v_pk_mul_f32 v[28:29], v[2:3], v[28:29] op_sel_hi:[1,0]
	s_waitcnt vmcnt(11)
	v_mov_b32_e32 v32, v19
	v_pk_mul_f32 v[30:31], v[4:5], v[30:31] op_sel_hi:[1,0]
	s_waitcnt vmcnt(10)
	v_mov_b32_e32 v34, v21
	s_waitcnt vmcnt(7)
	v_pk_fma_f32 v[40:41], v[2:3], v[14:15], v[28:29] op_sel:[0,0,1] op_sel_hi:[1,1,0] neg_lo:[0,0,1] neg_hi:[0,0,1]
	v_pk_fma_f32 v[2:3], v[2:3], v[14:15], v[28:29] op_sel:[0,0,1] op_sel_hi:[1,0,0]
	s_waitcnt lgkmcnt(1)
	v_pk_mul_f32 v[32:33], v[6:7], v[32:33] op_sel_hi:[1,0]
	s_waitcnt vmcnt(6)
	v_pk_fma_f32 v[14:15], v[4:5], v[16:17], v[30:31] op_sel:[0,0,1] op_sel_hi:[1,1,0] neg_lo:[0,0,1] neg_hi:[0,0,1]
	v_pk_fma_f32 v[4:5], v[4:5], v[16:17], v[30:31] op_sel:[0,0,1] op_sel_hi:[1,0,0]
	v_mov_b32_e32 v41, v3
	v_mov_b32_e32 v36, v23
	v_pk_mul_f32 v[34:35], v[8:9], v[34:35] op_sel_hi:[1,0]
	s_waitcnt vmcnt(5)
	v_pk_fma_f32 v[16:17], v[6:7], v[18:19], v[32:33] op_sel:[0,0,1] op_sel_hi:[1,1,0] neg_lo:[0,0,1] neg_hi:[0,0,1]
	v_pk_fma_f32 v[6:7], v[6:7], v[18:19], v[32:33] op_sel:[0,0,1] op_sel_hi:[1,0,0]
	v_mov_b32_e32 v15, v5
	v_pk_add_f32 v[2:3], v[40:41], 0 op_sel_hi:[1,0]
	v_mov_b32_e32 v38, v25
	s_waitcnt lgkmcnt(0)
	v_pk_mul_f32 v[36:37], v[10:11], v[36:37] op_sel_hi:[1,0]
	s_waitcnt vmcnt(4)
	v_pk_fma_f32 v[18:19], v[8:9], v[20:21], v[34:35] op_sel:[0,0,1] op_sel_hi:[1,1,0] neg_lo:[0,0,1] neg_hi:[0,0,1]
	v_pk_fma_f32 v[8:9], v[8:9], v[20:21], v[34:35] op_sel:[0,0,1] op_sel_hi:[1,0,0]
	v_mov_b32_e32 v17, v7
	v_pk_add_f32 v[2:3], v[2:3], v[14:15]
	v_pk_mul_f32 v[38:39], v[12:13], v[38:39] op_sel_hi:[1,0]
	s_waitcnt vmcnt(3)
	v_pk_fma_f32 v[20:21], v[10:11], v[22:23], v[36:37] op_sel:[0,0,1] op_sel_hi:[1,1,0] neg_lo:[0,0,1] neg_hi:[0,0,1]
	v_pk_fma_f32 v[10:11], v[10:11], v[22:23], v[36:37] op_sel:[0,0,1] op_sel_hi:[1,0,0]
	v_mov_b32_e32 v19, v9
	v_pk_add_f32 v[2:3], v[2:3], v[16:17]
	s_waitcnt vmcnt(2)
	v_pk_fma_f32 v[22:23], v[12:13], v[24:25], v[38:39] op_sel:[0,0,1] op_sel_hi:[1,1,0] neg_lo:[0,0,1] neg_hi:[0,0,1]
	v_pk_fma_f32 v[12:13], v[12:13], v[24:25], v[38:39] op_sel:[0,0,1] op_sel_hi:[1,0,0]
	v_mov_b32_e32 v21, v11
	v_pk_add_f32 v[2:3], v[2:3], v[18:19]
	v_mov_b32_e32 v23, v13
	v_pk_add_f32 v[2:3], v[2:3], v[20:21]
	v_pk_add_f32 v[2:3], v[2:3], v[22:23]
	s_waitcnt vmcnt(0)
	v_pk_add_f32 v[2:3], v[26:27], v[2:3] neg_lo:[0,1] neg_hi:[0,1]
	buffer_store_dword v2, off, s[0:3], 0 offset:400
	buffer_store_dword v3, off, s[0:3], 0 offset:404
	s_and_saveexec_b64 s[4:5], vcc
	s_cbranch_execz .LBB56_257
; %bb.256:
	buffer_load_dword v2, off, s[0:3], 0 offset:392
	buffer_load_dword v3, off, s[0:3], 0 offset:396
	v_mov_b32_e32 v1, 0
	buffer_store_dword v1, off, s[0:3], 0 offset:392
	buffer_store_dword v1, off, s[0:3], 0 offset:396
	s_waitcnt vmcnt(2)
	ds_write_b64 v165, v[2:3]
.LBB56_257:
	s_or_b64 exec, exec, s[4:5]
	s_waitcnt lgkmcnt(0)
	; wave barrier
	s_waitcnt lgkmcnt(0)
	buffer_load_dword v15, off, s[0:3], 0 offset:404
	buffer_load_dword v17, off, s[0:3], 0 offset:412
	;; [unrolled: 1-line block ×16, first 2 shown]
	v_mov_b32_e32 v1, 0
	ds_read_b128 v[2:5], v1 offset:864
	ds_read_b128 v[6:9], v1 offset:880
	;; [unrolled: 1-line block ×3, first 2 shown]
	ds_read_b64 v[30:31], v1 offset:912
	v_cmp_lt_u32_e32 vcc, 48, v0
	s_waitcnt vmcnt(15)
	v_mov_b32_e32 v32, v15
	s_waitcnt vmcnt(14)
	v_mov_b32_e32 v34, v17
	s_waitcnt lgkmcnt(3)
	v_pk_mul_f32 v[32:33], v[2:3], v[32:33] op_sel_hi:[1,0]
	s_waitcnt vmcnt(13)
	v_mov_b32_e32 v36, v19
	v_pk_mul_f32 v[34:35], v[4:5], v[34:35] op_sel_hi:[1,0]
	s_waitcnt vmcnt(12)
	v_mov_b32_e32 v38, v21
	s_waitcnt lgkmcnt(2)
	v_pk_mul_f32 v[36:37], v[6:7], v[36:37] op_sel_hi:[1,0]
	s_waitcnt vmcnt(8)
	v_pk_fma_f32 v[46:47], v[2:3], v[14:15], v[32:33] op_sel:[0,0,1] op_sel_hi:[1,1,0] neg_lo:[0,0,1] neg_hi:[0,0,1]
	v_pk_fma_f32 v[2:3], v[2:3], v[14:15], v[32:33] op_sel:[0,0,1] op_sel_hi:[1,0,0]
	s_waitcnt vmcnt(7)
	v_pk_fma_f32 v[14:15], v[4:5], v[16:17], v[34:35] op_sel:[0,0,1] op_sel_hi:[1,1,0] neg_lo:[0,0,1] neg_hi:[0,0,1]
	v_pk_fma_f32 v[4:5], v[4:5], v[16:17], v[34:35] op_sel:[0,0,1] op_sel_hi:[1,0,0]
	v_mov_b32_e32 v47, v3
	v_mov_b32_e32 v40, v23
	v_pk_mul_f32 v[38:39], v[8:9], v[38:39] op_sel_hi:[1,0]
	s_waitcnt vmcnt(6)
	v_pk_fma_f32 v[16:17], v[6:7], v[18:19], v[36:37] op_sel:[0,0,1] op_sel_hi:[1,1,0] neg_lo:[0,0,1] neg_hi:[0,0,1]
	v_pk_fma_f32 v[6:7], v[6:7], v[18:19], v[36:37] op_sel:[0,0,1] op_sel_hi:[1,0,0]
	v_mov_b32_e32 v15, v5
	v_pk_add_f32 v[2:3], v[46:47], 0 op_sel_hi:[1,0]
	v_mov_b32_e32 v42, v25
	s_waitcnt lgkmcnt(1)
	v_pk_mul_f32 v[40:41], v[10:11], v[40:41] op_sel_hi:[1,0]
	s_waitcnt vmcnt(5)
	v_pk_fma_f32 v[18:19], v[8:9], v[20:21], v[38:39] op_sel:[0,0,1] op_sel_hi:[1,1,0] neg_lo:[0,0,1] neg_hi:[0,0,1]
	v_pk_fma_f32 v[8:9], v[8:9], v[20:21], v[38:39] op_sel:[0,0,1] op_sel_hi:[1,0,0]
	v_mov_b32_e32 v17, v7
	v_pk_add_f32 v[2:3], v[2:3], v[14:15]
	v_mov_b32_e32 v44, v27
	v_pk_mul_f32 v[42:43], v[12:13], v[42:43] op_sel_hi:[1,0]
	s_waitcnt vmcnt(4)
	v_pk_fma_f32 v[20:21], v[10:11], v[22:23], v[40:41] op_sel:[0,0,1] op_sel_hi:[1,1,0] neg_lo:[0,0,1] neg_hi:[0,0,1]
	v_pk_fma_f32 v[10:11], v[10:11], v[22:23], v[40:41] op_sel:[0,0,1] op_sel_hi:[1,0,0]
	v_mov_b32_e32 v19, v9
	v_pk_add_f32 v[2:3], v[2:3], v[16:17]
	s_waitcnt lgkmcnt(0)
	v_pk_mul_f32 v[44:45], v[30:31], v[44:45] op_sel_hi:[1,0]
	s_waitcnt vmcnt(3)
	v_pk_fma_f32 v[22:23], v[12:13], v[24:25], v[42:43] op_sel:[0,0,1] op_sel_hi:[1,1,0] neg_lo:[0,0,1] neg_hi:[0,0,1]
	v_pk_fma_f32 v[12:13], v[12:13], v[24:25], v[42:43] op_sel:[0,0,1] op_sel_hi:[1,0,0]
	v_mov_b32_e32 v21, v11
	v_pk_add_f32 v[2:3], v[2:3], v[18:19]
	s_waitcnt vmcnt(2)
	v_pk_fma_f32 v[24:25], v[30:31], v[26:27], v[44:45] op_sel:[0,0,1] op_sel_hi:[1,1,0] neg_lo:[0,0,1] neg_hi:[0,0,1]
	v_pk_fma_f32 v[26:27], v[30:31], v[26:27], v[44:45] op_sel:[0,0,1] op_sel_hi:[1,0,0]
	v_mov_b32_e32 v23, v13
	v_pk_add_f32 v[2:3], v[2:3], v[20:21]
	v_mov_b32_e32 v25, v27
	v_pk_add_f32 v[2:3], v[2:3], v[22:23]
	v_pk_add_f32 v[2:3], v[2:3], v[24:25]
	s_waitcnt vmcnt(0)
	v_pk_add_f32 v[2:3], v[28:29], v[2:3] neg_lo:[0,1] neg_hi:[0,1]
	buffer_store_dword v2, off, s[0:3], 0 offset:392
	buffer_store_dword v3, off, s[0:3], 0 offset:396
	s_and_saveexec_b64 s[4:5], vcc
	s_cbranch_execz .LBB56_259
; %bb.258:
	buffer_load_dword v2, off, s[0:3], 0 offset:384
	buffer_load_dword v3, off, s[0:3], 0 offset:388
	s_waitcnt vmcnt(0)
	ds_write_b64 v165, v[2:3]
	buffer_store_dword v1, off, s[0:3], 0 offset:384
	buffer_store_dword v1, off, s[0:3], 0 offset:388
.LBB56_259:
	s_or_b64 exec, exec, s[4:5]
	s_waitcnt lgkmcnt(0)
	; wave barrier
	s_waitcnt lgkmcnt(0)
	buffer_load_dword v19, off, s[0:3], 0 offset:396
	buffer_load_dword v21, off, s[0:3], 0 offset:404
	;; [unrolled: 1-line block ×18, first 2 shown]
	ds_read2_b64 v[2:5], v1 offset0:107 offset1:108
	ds_read2_b64 v[6:9], v1 offset0:109 offset1:110
	;; [unrolled: 1-line block ×4, first 2 shown]
	v_cmp_lt_u32_e32 vcc, 47, v0
	s_waitcnt vmcnt(17)
	v_mov_b32_e32 v36, v19
	s_waitcnt vmcnt(16)
	v_mov_b32_e32 v38, v21
	s_waitcnt lgkmcnt(3)
	v_pk_mul_f32 v[36:37], v[2:3], v[36:37] op_sel_hi:[1,0]
	s_waitcnt vmcnt(15)
	v_mov_b32_e32 v40, v23
	v_pk_mul_f32 v[38:39], v[4:5], v[38:39] op_sel_hi:[1,0]
	s_waitcnt vmcnt(14)
	v_mov_b32_e32 v42, v25
	s_waitcnt lgkmcnt(2)
	v_pk_mul_f32 v[40:41], v[6:7], v[40:41] op_sel_hi:[1,0]
	s_waitcnt vmcnt(13)
	v_mov_b32_e32 v44, v27
	s_waitcnt vmcnt(9)
	v_pk_fma_f32 v[52:53], v[2:3], v[18:19], v[36:37] op_sel:[0,0,1] op_sel_hi:[1,1,0] neg_lo:[0,0,1] neg_hi:[0,0,1]
	v_pk_fma_f32 v[2:3], v[2:3], v[18:19], v[36:37] op_sel:[0,0,1] op_sel_hi:[1,0,0]
	s_waitcnt vmcnt(8)
	v_pk_fma_f32 v[18:19], v[4:5], v[20:21], v[38:39] op_sel:[0,0,1] op_sel_hi:[1,1,0] neg_lo:[0,0,1] neg_hi:[0,0,1]
	v_pk_fma_f32 v[4:5], v[4:5], v[20:21], v[38:39] op_sel:[0,0,1] op_sel_hi:[1,0,0]
	v_mov_b32_e32 v53, v3
	v_pk_mul_f32 v[42:43], v[8:9], v[42:43] op_sel_hi:[1,0]
	s_waitcnt vmcnt(7)
	v_pk_fma_f32 v[20:21], v[6:7], v[22:23], v[40:41] op_sel:[0,0,1] op_sel_hi:[1,1,0] neg_lo:[0,0,1] neg_hi:[0,0,1]
	v_pk_fma_f32 v[6:7], v[6:7], v[22:23], v[40:41] op_sel:[0,0,1] op_sel_hi:[1,0,0]
	v_mov_b32_e32 v19, v5
	v_pk_add_f32 v[2:3], v[52:53], 0 op_sel_hi:[1,0]
	v_mov_b32_e32 v46, v29
	s_waitcnt lgkmcnt(1)
	v_pk_mul_f32 v[44:45], v[10:11], v[44:45] op_sel_hi:[1,0]
	s_waitcnt vmcnt(6)
	v_pk_fma_f32 v[22:23], v[8:9], v[24:25], v[42:43] op_sel:[0,0,1] op_sel_hi:[1,1,0] neg_lo:[0,0,1] neg_hi:[0,0,1]
	v_pk_fma_f32 v[8:9], v[8:9], v[24:25], v[42:43] op_sel:[0,0,1] op_sel_hi:[1,0,0]
	v_mov_b32_e32 v21, v7
	v_pk_add_f32 v[2:3], v[2:3], v[18:19]
	v_mov_b32_e32 v48, v31
	v_pk_mul_f32 v[46:47], v[12:13], v[46:47] op_sel_hi:[1,0]
	s_waitcnt vmcnt(5)
	v_pk_fma_f32 v[24:25], v[10:11], v[26:27], v[44:45] op_sel:[0,0,1] op_sel_hi:[1,1,0] neg_lo:[0,0,1] neg_hi:[0,0,1]
	v_pk_fma_f32 v[10:11], v[10:11], v[26:27], v[44:45] op_sel:[0,0,1] op_sel_hi:[1,0,0]
	v_mov_b32_e32 v23, v9
	v_pk_add_f32 v[2:3], v[2:3], v[20:21]
	v_mov_b32_e32 v50, v33
	s_waitcnt lgkmcnt(0)
	v_pk_mul_f32 v[48:49], v[14:15], v[48:49] op_sel_hi:[1,0]
	s_waitcnt vmcnt(4)
	v_pk_fma_f32 v[26:27], v[12:13], v[28:29], v[46:47] op_sel:[0,0,1] op_sel_hi:[1,1,0] neg_lo:[0,0,1] neg_hi:[0,0,1]
	v_pk_fma_f32 v[12:13], v[12:13], v[28:29], v[46:47] op_sel:[0,0,1] op_sel_hi:[1,0,0]
	v_mov_b32_e32 v25, v11
	v_pk_add_f32 v[2:3], v[2:3], v[22:23]
	v_pk_mul_f32 v[50:51], v[16:17], v[50:51] op_sel_hi:[1,0]
	s_waitcnt vmcnt(3)
	v_pk_fma_f32 v[28:29], v[14:15], v[30:31], v[48:49] op_sel:[0,0,1] op_sel_hi:[1,1,0] neg_lo:[0,0,1] neg_hi:[0,0,1]
	v_pk_fma_f32 v[14:15], v[14:15], v[30:31], v[48:49] op_sel:[0,0,1] op_sel_hi:[1,0,0]
	v_mov_b32_e32 v27, v13
	v_pk_add_f32 v[2:3], v[2:3], v[24:25]
	s_waitcnt vmcnt(2)
	v_pk_fma_f32 v[30:31], v[16:17], v[32:33], v[50:51] op_sel:[0,0,1] op_sel_hi:[1,1,0] neg_lo:[0,0,1] neg_hi:[0,0,1]
	v_pk_fma_f32 v[16:17], v[16:17], v[32:33], v[50:51] op_sel:[0,0,1] op_sel_hi:[1,0,0]
	v_mov_b32_e32 v29, v15
	v_pk_add_f32 v[2:3], v[2:3], v[26:27]
	v_mov_b32_e32 v31, v17
	v_pk_add_f32 v[2:3], v[2:3], v[28:29]
	v_pk_add_f32 v[2:3], v[2:3], v[30:31]
	s_waitcnt vmcnt(0)
	v_pk_add_f32 v[2:3], v[34:35], v[2:3] neg_lo:[0,1] neg_hi:[0,1]
	buffer_store_dword v2, off, s[0:3], 0 offset:384
	buffer_store_dword v3, off, s[0:3], 0 offset:388
	s_and_saveexec_b64 s[4:5], vcc
	s_cbranch_execz .LBB56_261
; %bb.260:
	buffer_load_dword v2, off, s[0:3], 0 offset:376
	buffer_load_dword v3, off, s[0:3], 0 offset:380
	v_mov_b32_e32 v1, 0
	buffer_store_dword v1, off, s[0:3], 0 offset:376
	buffer_store_dword v1, off, s[0:3], 0 offset:380
	s_waitcnt vmcnt(2)
	ds_write_b64 v165, v[2:3]
.LBB56_261:
	s_or_b64 exec, exec, s[4:5]
	v_mov_b32_e32 v1, 0
	s_waitcnt lgkmcnt(0)
	; wave barrier
	s_waitcnt lgkmcnt(0)
	ds_read_b128 v[2:5], v1 offset:848
	ds_read_b128 v[6:9], v1 offset:864
	ds_read_b128 v[10:13], v1 offset:880
	ds_read_b128 v[14:17], v1 offset:896
	buffer_load_dword v18, off, s[0:3], 0 offset:376
	buffer_load_dword v19, off, s[0:3], 0 offset:380
	;; [unrolled: 1-line block ×20, first 2 shown]
	v_cmp_lt_u32_e32 vcc, 46, v0
	s_waitcnt vmcnt(16) lgkmcnt(3)
	v_mul_f32_e32 v33, v2, v38
	v_fmac_f32_e32 v33, v3, v32
	v_mul_f32_e32 v3, v3, v38
	s_waitcnt vmcnt(14)
	v_mov_b32_e32 v38, v21
	v_pk_mul_f32 v[38:39], v[4:5], v[38:39] op_sel_hi:[1,0]
	v_fma_f32 v32, v2, v32, -v3
	v_pk_fma_f32 v[40:41], v[4:5], v[20:21], v[38:39] op_sel:[0,0,1] op_sel_hi:[1,1,0] neg_lo:[0,0,1] neg_hi:[0,0,1]
	v_pk_fma_f32 v[4:5], v[4:5], v[20:21], v[38:39] op_sel:[0,0,1] op_sel_hi:[1,0,0]
	s_waitcnt vmcnt(12)
	v_mov_b32_e32 v20, v23
	v_pk_add_f32 v[32:33], v[32:33], 0 op_sel_hi:[1,0]
	v_mov_b32_e32 v41, v5
	s_waitcnt lgkmcnt(2)
	v_pk_mul_f32 v[20:21], v[6:7], v[20:21] op_sel_hi:[1,0]
	v_pk_add_f32 v[4:5], v[32:33], v[40:41]
	v_pk_fma_f32 v[32:33], v[6:7], v[22:23], v[20:21] op_sel:[0,0,1] op_sel_hi:[1,1,0] neg_lo:[0,0,1] neg_hi:[0,0,1]
	v_pk_fma_f32 v[6:7], v[6:7], v[22:23], v[20:21] op_sel:[0,0,1] op_sel_hi:[1,0,0]
	s_waitcnt vmcnt(10)
	v_mov_b32_e32 v6, v25
	v_mov_b32_e32 v33, v7
	v_pk_mul_f32 v[6:7], v[8:9], v[6:7] op_sel_hi:[1,0]
	v_pk_fma_f32 v[20:21], v[8:9], v[24:25], v[6:7] op_sel:[0,0,1] op_sel_hi:[1,1,0] neg_lo:[0,0,1] neg_hi:[0,0,1]
	v_pk_fma_f32 v[6:7], v[8:9], v[24:25], v[6:7] op_sel:[0,0,1] op_sel_hi:[1,0,0]
	s_waitcnt vmcnt(8)
	v_mov_b32_e32 v6, v27
	v_mov_b32_e32 v21, v7
	s_waitcnt lgkmcnt(1)
	v_pk_mul_f32 v[6:7], v[10:11], v[6:7] op_sel_hi:[1,0]
	v_pk_fma_f32 v[8:9], v[10:11], v[26:27], v[6:7] op_sel:[0,0,1] op_sel_hi:[1,1,0] neg_lo:[0,0,1] neg_hi:[0,0,1]
	v_pk_fma_f32 v[6:7], v[10:11], v[26:27], v[6:7] op_sel:[0,0,1] op_sel_hi:[1,0,0]
	v_pk_add_f32 v[4:5], v[4:5], v[32:33]
	s_waitcnt vmcnt(6)
	v_mov_b32_e32 v6, v29
	v_pk_add_f32 v[4:5], v[4:5], v[20:21]
	v_mov_b32_e32 v9, v7
	v_pk_mul_f32 v[6:7], v[12:13], v[6:7] op_sel_hi:[1,0]
	v_pk_add_f32 v[4:5], v[4:5], v[8:9]
	v_pk_fma_f32 v[8:9], v[12:13], v[28:29], v[6:7] op_sel:[0,0,1] op_sel_hi:[1,1,0] neg_lo:[0,0,1] neg_hi:[0,0,1]
	v_pk_fma_f32 v[6:7], v[12:13], v[28:29], v[6:7] op_sel:[0,0,1] op_sel_hi:[1,0,0]
	s_waitcnt vmcnt(4)
	v_mov_b32_e32 v6, v31
	v_mov_b32_e32 v9, v7
	s_waitcnt lgkmcnt(0)
	v_pk_mul_f32 v[6:7], v[14:15], v[6:7] op_sel_hi:[1,0]
	ds_read_b64 v[2:3], v1 offset:912
	v_pk_add_f32 v[4:5], v[4:5], v[8:9]
	v_pk_fma_f32 v[8:9], v[14:15], v[30:31], v[6:7] op_sel:[0,0,1] op_sel_hi:[1,1,0] neg_lo:[0,0,1] neg_hi:[0,0,1]
	v_pk_fma_f32 v[6:7], v[14:15], v[30:31], v[6:7] op_sel:[0,0,1] op_sel_hi:[1,0,0]
	s_waitcnt vmcnt(3)
	v_mov_b32_e32 v6, v35
	v_mov_b32_e32 v9, v7
	v_pk_mul_f32 v[6:7], v[16:17], v[6:7] op_sel_hi:[1,0]
	v_pk_add_f32 v[4:5], v[4:5], v[8:9]
	s_waitcnt vmcnt(2)
	v_pk_fma_f32 v[8:9], v[16:17], v[34:35], v[6:7] op_sel:[0,0,1] op_sel_hi:[1,1,0] neg_lo:[0,0,1] neg_hi:[0,0,1]
	v_pk_fma_f32 v[6:7], v[16:17], v[34:35], v[6:7] op_sel:[0,0,1] op_sel_hi:[1,0,0]
	s_waitcnt vmcnt(1)
	v_mov_b32_e32 v6, v37
	v_mov_b32_e32 v9, v7
	s_waitcnt lgkmcnt(0)
	v_pk_mul_f32 v[6:7], v[2:3], v[6:7] op_sel_hi:[1,0]
	v_pk_add_f32 v[4:5], v[4:5], v[8:9]
	s_waitcnt vmcnt(0)
	v_pk_fma_f32 v[8:9], v[2:3], v[36:37], v[6:7] op_sel:[0,0,1] op_sel_hi:[1,1,0] neg_lo:[0,0,1] neg_hi:[0,0,1]
	v_pk_fma_f32 v[2:3], v[2:3], v[36:37], v[6:7] op_sel:[0,0,1] op_sel_hi:[1,0,0]
	v_mov_b32_e32 v9, v3
	v_pk_add_f32 v[2:3], v[4:5], v[8:9]
	v_pk_add_f32 v[2:3], v[18:19], v[2:3] neg_lo:[0,1] neg_hi:[0,1]
	buffer_store_dword v2, off, s[0:3], 0 offset:376
	buffer_store_dword v3, off, s[0:3], 0 offset:380
	s_and_saveexec_b64 s[4:5], vcc
	s_cbranch_execz .LBB56_263
; %bb.262:
	buffer_load_dword v2, off, s[0:3], 0 offset:368
	buffer_load_dword v3, off, s[0:3], 0 offset:372
	s_waitcnt vmcnt(0)
	ds_write_b64 v165, v[2:3]
	buffer_store_dword v1, off, s[0:3], 0 offset:368
	buffer_store_dword v1, off, s[0:3], 0 offset:372
.LBB56_263:
	s_or_b64 exec, exec, s[4:5]
	s_waitcnt lgkmcnt(0)
	; wave barrier
	s_waitcnt lgkmcnt(0)
	ds_read2_b64 v[2:5], v1 offset0:105 offset1:106
	buffer_load_dword v18, off, s[0:3], 0 offset:368
	buffer_load_dword v19, off, s[0:3], 0 offset:372
	buffer_load_dword v10, off, s[0:3], 0 offset:376
	buffer_load_dword v11, off, s[0:3], 0 offset:380
	buffer_load_dword v12, off, s[0:3], 0 offset:384
	buffer_load_dword v13, off, s[0:3], 0 offset:388
	buffer_load_dword v20, off, s[0:3], 0 offset:392
	buffer_load_dword v21, off, s[0:3], 0 offset:396
	buffer_load_dword v22, off, s[0:3], 0 offset:400
	buffer_load_dword v23, off, s[0:3], 0 offset:404
	buffer_load_dword v24, off, s[0:3], 0 offset:408
	buffer_load_dword v25, off, s[0:3], 0 offset:412
	buffer_load_dword v26, off, s[0:3], 0 offset:416
	buffer_load_dword v27, off, s[0:3], 0 offset:420
	buffer_load_dword v28, off, s[0:3], 0 offset:424
	buffer_load_dword v29, off, s[0:3], 0 offset:428
	ds_read2_b64 v[6:9], v1 offset0:107 offset1:108
	buffer_load_dword v35, off, s[0:3], 0 offset:436
	buffer_load_dword v34, off, s[0:3], 0 offset:432
	;; [unrolled: 1-line block ×6, first 2 shown]
	v_cmp_lt_u32_e32 vcc, 45, v0
	s_waitcnt vmcnt(18) lgkmcnt(1)
	v_mul_f32_e32 v31, v2, v11
	v_fmac_f32_e32 v31, v3, v10
	v_mul_f32_e32 v3, v3, v11
	s_waitcnt vmcnt(16)
	v_mul_f32_e32 v33, v4, v13
	v_fma_f32 v30, v2, v10, -v3
	v_mul_f32_e32 v2, v5, v13
	v_fmac_f32_e32 v33, v5, v12
	v_fma_f32 v32, v4, v12, -v2
	v_pk_add_f32 v[30:31], v[30:31], 0 op_sel_hi:[1,0]
	v_pk_add_f32 v[30:31], v[30:31], v[32:33]
	s_waitcnt vmcnt(14)
	v_mov_b32_e32 v32, v21
	s_waitcnt lgkmcnt(0)
	v_pk_mul_f32 v[32:33], v[6:7], v[32:33] op_sel_hi:[1,0]
	v_pk_fma_f32 v[40:41], v[6:7], v[20:21], v[32:33] op_sel:[0,0,1] op_sel_hi:[1,1,0] neg_lo:[0,0,1] neg_hi:[0,0,1]
	v_pk_fma_f32 v[6:7], v[6:7], v[20:21], v[32:33] op_sel:[0,0,1] op_sel_hi:[1,0,0]
	s_waitcnt vmcnt(12)
	v_mov_b32_e32 v20, v23
	ds_read2_b64 v[2:5], v1 offset0:109 offset1:110
	ds_read2_b64 v[10:13], v1 offset0:111 offset1:112
	;; [unrolled: 1-line block ×3, first 2 shown]
	v_mov_b32_e32 v41, v7
	v_pk_mul_f32 v[20:21], v[8:9], v[20:21] op_sel_hi:[1,0]
	v_pk_add_f32 v[6:7], v[30:31], v[40:41]
	v_pk_fma_f32 v[30:31], v[8:9], v[22:23], v[20:21] op_sel:[0,0,1] op_sel_hi:[1,1,0] neg_lo:[0,0,1] neg_hi:[0,0,1]
	v_pk_fma_f32 v[8:9], v[8:9], v[22:23], v[20:21] op_sel:[0,0,1] op_sel_hi:[1,0,0]
	s_waitcnt vmcnt(10)
	v_mov_b32_e32 v8, v25
	v_mov_b32_e32 v31, v9
	s_waitcnt lgkmcnt(2)
	v_pk_mul_f32 v[8:9], v[2:3], v[8:9] op_sel_hi:[1,0]
	v_pk_fma_f32 v[20:21], v[2:3], v[24:25], v[8:9] op_sel:[0,0,1] op_sel_hi:[1,1,0] neg_lo:[0,0,1] neg_hi:[0,0,1]
	v_pk_fma_f32 v[2:3], v[2:3], v[24:25], v[8:9] op_sel:[0,0,1] op_sel_hi:[1,0,0]
	v_pk_add_f32 v[6:7], v[6:7], v[30:31]
	v_mov_b32_e32 v21, v3
	v_pk_add_f32 v[2:3], v[6:7], v[20:21]
	s_waitcnt vmcnt(8)
	v_mov_b32_e32 v6, v27
	v_pk_mul_f32 v[6:7], v[4:5], v[6:7] op_sel_hi:[1,0]
	v_pk_fma_f32 v[8:9], v[4:5], v[26:27], v[6:7] op_sel:[0,0,1] op_sel_hi:[1,1,0] neg_lo:[0,0,1] neg_hi:[0,0,1]
	v_pk_fma_f32 v[4:5], v[4:5], v[26:27], v[6:7] op_sel:[0,0,1] op_sel_hi:[1,0,0]
	s_waitcnt vmcnt(6)
	v_mov_b32_e32 v4, v29
	v_mov_b32_e32 v9, v5
	s_waitcnt lgkmcnt(1)
	v_pk_mul_f32 v[4:5], v[10:11], v[4:5] op_sel_hi:[1,0]
	v_pk_fma_f32 v[6:7], v[10:11], v[28:29], v[4:5] op_sel:[0,0,1] op_sel_hi:[1,1,0] neg_lo:[0,0,1] neg_hi:[0,0,1]
	v_pk_fma_f32 v[4:5], v[10:11], v[28:29], v[4:5] op_sel:[0,0,1] op_sel_hi:[1,0,0]
	s_waitcnt vmcnt(5)
	v_mov_b32_e32 v4, v35
	v_pk_add_f32 v[2:3], v[2:3], v[8:9]
	v_mov_b32_e32 v7, v5
	v_pk_mul_f32 v[4:5], v[12:13], v[4:5] op_sel_hi:[1,0]
	v_pk_add_f32 v[2:3], v[2:3], v[6:7]
	s_waitcnt vmcnt(4)
	v_pk_fma_f32 v[6:7], v[12:13], v[34:35], v[4:5] op_sel:[0,0,1] op_sel_hi:[1,1,0] neg_lo:[0,0,1] neg_hi:[0,0,1]
	v_pk_fma_f32 v[4:5], v[12:13], v[34:35], v[4:5] op_sel:[0,0,1] op_sel_hi:[1,0,0]
	s_waitcnt vmcnt(3)
	v_mov_b32_e32 v4, v37
	v_mov_b32_e32 v7, v5
	s_waitcnt lgkmcnt(0)
	v_pk_mul_f32 v[4:5], v[14:15], v[4:5] op_sel_hi:[1,0]
	v_pk_add_f32 v[2:3], v[2:3], v[6:7]
	s_waitcnt vmcnt(2)
	v_pk_fma_f32 v[6:7], v[14:15], v[36:37], v[4:5] op_sel:[0,0,1] op_sel_hi:[1,1,0] neg_lo:[0,0,1] neg_hi:[0,0,1]
	v_pk_fma_f32 v[4:5], v[14:15], v[36:37], v[4:5] op_sel:[0,0,1] op_sel_hi:[1,0,0]
	s_waitcnt vmcnt(1)
	v_mov_b32_e32 v4, v39
	v_mov_b32_e32 v7, v5
	v_pk_mul_f32 v[4:5], v[16:17], v[4:5] op_sel_hi:[1,0]
	v_pk_add_f32 v[2:3], v[2:3], v[6:7]
	s_waitcnt vmcnt(0)
	v_pk_fma_f32 v[6:7], v[16:17], v[38:39], v[4:5] op_sel:[0,0,1] op_sel_hi:[1,1,0] neg_lo:[0,0,1] neg_hi:[0,0,1]
	v_pk_fma_f32 v[4:5], v[16:17], v[38:39], v[4:5] op_sel:[0,0,1] op_sel_hi:[1,0,0]
	v_mov_b32_e32 v7, v5
	v_pk_add_f32 v[2:3], v[2:3], v[6:7]
	v_pk_add_f32 v[2:3], v[18:19], v[2:3] neg_lo:[0,1] neg_hi:[0,1]
	buffer_store_dword v2, off, s[0:3], 0 offset:368
	buffer_store_dword v3, off, s[0:3], 0 offset:372
	s_and_saveexec_b64 s[4:5], vcc
	s_cbranch_execz .LBB56_265
; %bb.264:
	buffer_load_dword v2, off, s[0:3], 0 offset:360
	buffer_load_dword v3, off, s[0:3], 0 offset:364
	v_mov_b32_e32 v1, 0
	buffer_store_dword v1, off, s[0:3], 0 offset:360
	buffer_store_dword v1, off, s[0:3], 0 offset:364
	s_waitcnt vmcnt(2)
	ds_write_b64 v165, v[2:3]
.LBB56_265:
	s_or_b64 exec, exec, s[4:5]
	v_mov_b32_e32 v1, 0
	s_waitcnt lgkmcnt(0)
	; wave barrier
	s_waitcnt lgkmcnt(0)
	ds_read_b128 v[4:7], v1 offset:832
	ds_read_b128 v[8:11], v1 offset:848
	;; [unrolled: 1-line block ×4, first 2 shown]
	buffer_load_dword v2, off, s[0:3], 0 offset:360
	buffer_load_dword v3, off, s[0:3], 0 offset:364
	;; [unrolled: 1-line block ×24, first 2 shown]
	v_cmp_lt_u32_e32 vcc, 44, v0
	s_waitcnt vmcnt(20) lgkmcnt(3)
	v_mul_f32_e32 v29, v4, v30
	v_fmac_f32_e32 v29, v5, v28
	v_mul_f32_e32 v5, v5, v30
	v_fma_f32 v4, v4, v28, -v5
	s_waitcnt vmcnt(18)
	v_mul_f32_e32 v31, v6, v42
	v_add_f32_e32 v28, 0, v4
	v_mul_f32_e32 v4, v7, v42
	v_add_f32_e32 v29, 0, v29
	v_fmac_f32_e32 v31, v7, v32
	v_fma_f32 v30, v6, v32, -v4
	s_waitcnt vmcnt(16) lgkmcnt(2)
	v_mul_f32_e32 v33, v8, v44
	v_mul_f32_e32 v4, v9, v44
	v_pk_add_f32 v[28:29], v[28:29], v[30:31]
	s_waitcnt vmcnt(14)
	v_mov_b32_e32 v30, v21
	v_fmac_f32_e32 v33, v9, v43
	v_fma_f32 v32, v8, v43, -v4
	v_pk_mul_f32 v[30:31], v[10:11], v[30:31] op_sel_hi:[1,0]
	v_pk_add_f32 v[28:29], v[28:29], v[32:33]
	v_pk_fma_f32 v[32:33], v[10:11], v[20:21], v[30:31] op_sel:[0,0,1] op_sel_hi:[1,1,0] neg_lo:[0,0,1] neg_hi:[0,0,1]
	v_pk_fma_f32 v[10:11], v[10:11], v[20:21], v[30:31] op_sel:[0,0,1] op_sel_hi:[1,0,0]
	s_waitcnt vmcnt(12)
	v_mov_b32_e32 v20, v23
	v_mov_b32_e32 v33, v11
	s_waitcnt lgkmcnt(1)
	v_pk_mul_f32 v[20:21], v[12:13], v[20:21] op_sel_hi:[1,0]
	v_pk_add_f32 v[10:11], v[28:29], v[32:33]
	v_pk_fma_f32 v[28:29], v[12:13], v[22:23], v[20:21] op_sel:[0,0,1] op_sel_hi:[1,1,0] neg_lo:[0,0,1] neg_hi:[0,0,1]
	v_pk_fma_f32 v[12:13], v[12:13], v[22:23], v[20:21] op_sel:[0,0,1] op_sel_hi:[1,0,0]
	s_waitcnt vmcnt(10)
	v_mov_b32_e32 v12, v25
	v_mov_b32_e32 v29, v13
	v_pk_mul_f32 v[12:13], v[14:15], v[12:13] op_sel_hi:[1,0]
	v_pk_fma_f32 v[20:21], v[14:15], v[24:25], v[12:13] op_sel:[0,0,1] op_sel_hi:[1,1,0] neg_lo:[0,0,1] neg_hi:[0,0,1]
	v_pk_fma_f32 v[12:13], v[14:15], v[24:25], v[12:13] op_sel:[0,0,1] op_sel_hi:[1,0,0]
	s_waitcnt vmcnt(8)
	v_mov_b32_e32 v12, v27
	v_mov_b32_e32 v21, v13
	s_waitcnt lgkmcnt(0)
	v_pk_mul_f32 v[12:13], v[16:17], v[12:13] op_sel_hi:[1,0]
	v_pk_fma_f32 v[14:15], v[16:17], v[26:27], v[12:13] op_sel:[0,0,1] op_sel_hi:[1,1,0] neg_lo:[0,0,1] neg_hi:[0,0,1]
	v_pk_fma_f32 v[12:13], v[16:17], v[26:27], v[12:13] op_sel:[0,0,1] op_sel_hi:[1,0,0]
	ds_read_b128 v[4:7], v1 offset:896
	ds_read_b64 v[8:9], v1 offset:912
	v_pk_add_f32 v[10:11], v[10:11], v[28:29]
	s_waitcnt vmcnt(7)
	v_mov_b32_e32 v12, v35
	v_pk_add_f32 v[10:11], v[10:11], v[20:21]
	v_mov_b32_e32 v15, v13
	v_pk_mul_f32 v[12:13], v[18:19], v[12:13] op_sel_hi:[1,0]
	v_pk_add_f32 v[10:11], v[10:11], v[14:15]
	s_waitcnt vmcnt(6)
	v_pk_fma_f32 v[14:15], v[18:19], v[34:35], v[12:13] op_sel:[0,0,1] op_sel_hi:[1,1,0] neg_lo:[0,0,1] neg_hi:[0,0,1]
	v_pk_fma_f32 v[12:13], v[18:19], v[34:35], v[12:13] op_sel:[0,0,1] op_sel_hi:[1,0,0]
	s_waitcnt vmcnt(5)
	v_mov_b32_e32 v12, v37
	v_mov_b32_e32 v15, v13
	s_waitcnt lgkmcnt(1)
	v_pk_mul_f32 v[12:13], v[4:5], v[12:13] op_sel_hi:[1,0]
	v_pk_add_f32 v[10:11], v[10:11], v[14:15]
	s_waitcnt vmcnt(4)
	v_pk_fma_f32 v[14:15], v[4:5], v[36:37], v[12:13] op_sel:[0,0,1] op_sel_hi:[1,1,0] neg_lo:[0,0,1] neg_hi:[0,0,1]
	v_pk_fma_f32 v[4:5], v[4:5], v[36:37], v[12:13] op_sel:[0,0,1] op_sel_hi:[1,0,0]
	v_mov_b32_e32 v15, v5
	v_pk_add_f32 v[4:5], v[10:11], v[14:15]
	s_waitcnt vmcnt(3)
	v_mov_b32_e32 v10, v39
	v_pk_mul_f32 v[10:11], v[6:7], v[10:11] op_sel_hi:[1,0]
	s_waitcnt vmcnt(2)
	v_pk_fma_f32 v[12:13], v[6:7], v[38:39], v[10:11] op_sel:[0,0,1] op_sel_hi:[1,1,0] neg_lo:[0,0,1] neg_hi:[0,0,1]
	v_pk_fma_f32 v[6:7], v[6:7], v[38:39], v[10:11] op_sel:[0,0,1] op_sel_hi:[1,0,0]
	s_waitcnt vmcnt(1)
	v_mov_b32_e32 v6, v41
	v_mov_b32_e32 v13, v7
	s_waitcnt lgkmcnt(0)
	v_pk_mul_f32 v[6:7], v[8:9], v[6:7] op_sel_hi:[1,0]
	s_waitcnt vmcnt(0)
	v_pk_fma_f32 v[10:11], v[8:9], v[40:41], v[6:7] op_sel:[0,0,1] op_sel_hi:[1,1,0] neg_lo:[0,0,1] neg_hi:[0,0,1]
	v_pk_fma_f32 v[6:7], v[8:9], v[40:41], v[6:7] op_sel:[0,0,1] op_sel_hi:[1,0,0]
	v_pk_add_f32 v[4:5], v[4:5], v[12:13]
	v_mov_b32_e32 v11, v7
	v_pk_add_f32 v[4:5], v[4:5], v[10:11]
	v_pk_add_f32 v[2:3], v[2:3], v[4:5] neg_lo:[0,1] neg_hi:[0,1]
	buffer_store_dword v3, off, s[0:3], 0 offset:364
	buffer_store_dword v2, off, s[0:3], 0 offset:360
	s_and_saveexec_b64 s[4:5], vcc
	s_cbranch_execz .LBB56_267
; %bb.266:
	buffer_load_dword v2, off, s[0:3], 0 offset:352
	buffer_load_dword v3, off, s[0:3], 0 offset:356
	s_waitcnt vmcnt(0)
	ds_write_b64 v165, v[2:3]
	buffer_store_dword v1, off, s[0:3], 0 offset:352
	buffer_store_dword v1, off, s[0:3], 0 offset:356
.LBB56_267:
	s_or_b64 exec, exec, s[4:5]
	s_waitcnt lgkmcnt(0)
	; wave barrier
	s_waitcnt lgkmcnt(0)
	ds_read2_b64 v[4:7], v1 offset0:103 offset1:104
	buffer_load_dword v2, off, s[0:3], 0 offset:352
	buffer_load_dword v3, off, s[0:3], 0 offset:356
	;; [unrolled: 1-line block ×16, first 2 shown]
	v_cmp_lt_u32_e32 vcc, 43, v0
	ds_read2_b64 v[12:15], v1 offset0:107 offset1:108
	s_waitcnt vmcnt(12) lgkmcnt(1)
	v_mul_f32_e32 v8, v4, v17
	v_fmac_f32_e32 v8, v5, v16
	s_waitcnt vmcnt(10)
	v_mul_f32_e32 v9, v6, v19
	v_add_f32_e32 v8, 0, v8
	v_fmac_f32_e32 v9, v7, v18
	v_add_f32_e32 v27, v8, v9
	ds_read2_b64 v[8:11], v1 offset0:105 offset1:106
	buffer_load_dword v33, off, s[0:3], 0 offset:420
	buffer_load_dword v32, off, s[0:3], 0 offset:416
	;; [unrolled: 1-line block ×10, first 2 shown]
	v_mul_f32_e32 v5, v5, v17
	v_fma_f32 v4, v4, v16, -v5
	v_mul_f32_e32 v5, v7, v19
	v_add_f32_e32 v4, 0, v4
	v_fma_f32 v5, v6, v18, -v5
	s_waitcnt vmcnt(18) lgkmcnt(0)
	v_mul_f32_e32 v29, v8, v30
	v_add_f32_e32 v26, v4, v5
	v_mul_f32_e32 v4, v9, v30
	v_fmac_f32_e32 v29, v9, v28
	v_fma_f32 v28, v8, v28, -v4
	s_waitcnt vmcnt(16)
	v_mul_f32_e32 v31, v10, v43
	v_mul_f32_e32 v4, v11, v43
	v_pk_add_f32 v[26:27], v[26:27], v[28:29]
	s_waitcnt vmcnt(14)
	v_mov_b32_e32 v28, v21
	v_fmac_f32_e32 v31, v11, v42
	v_fma_f32 v30, v10, v42, -v4
	v_pk_mul_f32 v[28:29], v[12:13], v[28:29] op_sel_hi:[1,0]
	v_pk_add_f32 v[26:27], v[26:27], v[30:31]
	v_pk_fma_f32 v[30:31], v[12:13], v[20:21], v[28:29] op_sel:[0,0,1] op_sel_hi:[1,1,0] neg_lo:[0,0,1] neg_hi:[0,0,1]
	v_pk_fma_f32 v[12:13], v[12:13], v[20:21], v[28:29] op_sel:[0,0,1] op_sel_hi:[1,0,0]
	s_waitcnt vmcnt(12)
	v_mov_b32_e32 v20, v23
	ds_read2_b64 v[4:7], v1 offset0:109 offset1:110
	ds_read2_b64 v[8:11], v1 offset0:111 offset1:112
	ds_read2_b64 v[16:19], v1 offset0:113 offset1:114
	v_mov_b32_e32 v31, v13
	v_pk_mul_f32 v[20:21], v[14:15], v[20:21] op_sel_hi:[1,0]
	v_pk_add_f32 v[12:13], v[26:27], v[30:31]
	v_pk_fma_f32 v[26:27], v[14:15], v[22:23], v[20:21] op_sel:[0,0,1] op_sel_hi:[1,1,0] neg_lo:[0,0,1] neg_hi:[0,0,1]
	v_pk_fma_f32 v[14:15], v[14:15], v[22:23], v[20:21] op_sel:[0,0,1] op_sel_hi:[1,0,0]
	s_waitcnt vmcnt(10)
	v_mov_b32_e32 v14, v25
	v_mov_b32_e32 v27, v15
	s_waitcnt lgkmcnt(2)
	v_pk_mul_f32 v[14:15], v[4:5], v[14:15] op_sel_hi:[1,0]
	v_pk_fma_f32 v[20:21], v[4:5], v[24:25], v[14:15] op_sel:[0,0,1] op_sel_hi:[1,1,0] neg_lo:[0,0,1] neg_hi:[0,0,1]
	v_pk_fma_f32 v[4:5], v[4:5], v[24:25], v[14:15] op_sel:[0,0,1] op_sel_hi:[1,0,0]
	v_pk_add_f32 v[12:13], v[12:13], v[26:27]
	v_mov_b32_e32 v21, v5
	v_pk_add_f32 v[4:5], v[12:13], v[20:21]
	s_waitcnt vmcnt(9)
	v_mov_b32_e32 v12, v33
	v_pk_mul_f32 v[12:13], v[6:7], v[12:13] op_sel_hi:[1,0]
	s_waitcnt vmcnt(8)
	v_pk_fma_f32 v[14:15], v[6:7], v[32:33], v[12:13] op_sel:[0,0,1] op_sel_hi:[1,1,0] neg_lo:[0,0,1] neg_hi:[0,0,1]
	v_pk_fma_f32 v[6:7], v[6:7], v[32:33], v[12:13] op_sel:[0,0,1] op_sel_hi:[1,0,0]
	s_waitcnt vmcnt(7)
	v_mov_b32_e32 v6, v35
	v_mov_b32_e32 v15, v7
	s_waitcnt lgkmcnt(1)
	v_pk_mul_f32 v[6:7], v[8:9], v[6:7] op_sel_hi:[1,0]
	s_waitcnt vmcnt(6)
	v_pk_fma_f32 v[12:13], v[8:9], v[34:35], v[6:7] op_sel:[0,0,1] op_sel_hi:[1,1,0] neg_lo:[0,0,1] neg_hi:[0,0,1]
	v_pk_fma_f32 v[6:7], v[8:9], v[34:35], v[6:7] op_sel:[0,0,1] op_sel_hi:[1,0,0]
	s_waitcnt vmcnt(5)
	v_mov_b32_e32 v6, v37
	v_mov_b32_e32 v13, v7
	v_pk_mul_f32 v[6:7], v[10:11], v[6:7] op_sel_hi:[1,0]
	s_waitcnt vmcnt(4)
	v_pk_fma_f32 v[8:9], v[10:11], v[36:37], v[6:7] op_sel:[0,0,1] op_sel_hi:[1,1,0] neg_lo:[0,0,1] neg_hi:[0,0,1]
	v_pk_fma_f32 v[6:7], v[10:11], v[36:37], v[6:7] op_sel:[0,0,1] op_sel_hi:[1,0,0]
	v_pk_add_f32 v[4:5], v[4:5], v[14:15]
	s_waitcnt vmcnt(3)
	v_mov_b32_e32 v6, v39
	v_pk_add_f32 v[4:5], v[4:5], v[12:13]
	v_mov_b32_e32 v9, v7
	s_waitcnt lgkmcnt(0)
	v_pk_mul_f32 v[6:7], v[16:17], v[6:7] op_sel_hi:[1,0]
	v_pk_add_f32 v[4:5], v[4:5], v[8:9]
	s_waitcnt vmcnt(2)
	v_pk_fma_f32 v[8:9], v[16:17], v[38:39], v[6:7] op_sel:[0,0,1] op_sel_hi:[1,1,0] neg_lo:[0,0,1] neg_hi:[0,0,1]
	v_pk_fma_f32 v[6:7], v[16:17], v[38:39], v[6:7] op_sel:[0,0,1] op_sel_hi:[1,0,0]
	s_waitcnt vmcnt(1)
	v_mov_b32_e32 v6, v41
	v_mov_b32_e32 v9, v7
	v_pk_mul_f32 v[6:7], v[18:19], v[6:7] op_sel_hi:[1,0]
	v_pk_add_f32 v[4:5], v[4:5], v[8:9]
	s_waitcnt vmcnt(0)
	v_pk_fma_f32 v[8:9], v[18:19], v[40:41], v[6:7] op_sel:[0,0,1] op_sel_hi:[1,1,0] neg_lo:[0,0,1] neg_hi:[0,0,1]
	v_pk_fma_f32 v[6:7], v[18:19], v[40:41], v[6:7] op_sel:[0,0,1] op_sel_hi:[1,0,0]
	v_mov_b32_e32 v9, v7
	v_pk_add_f32 v[4:5], v[4:5], v[8:9]
	v_pk_add_f32 v[2:3], v[2:3], v[4:5] neg_lo:[0,1] neg_hi:[0,1]
	buffer_store_dword v3, off, s[0:3], 0 offset:356
	buffer_store_dword v2, off, s[0:3], 0 offset:352
	s_and_saveexec_b64 s[4:5], vcc
	s_cbranch_execz .LBB56_269
; %bb.268:
	buffer_load_dword v2, off, s[0:3], 0 offset:344
	buffer_load_dword v3, off, s[0:3], 0 offset:348
	v_mov_b32_e32 v1, 0
	buffer_store_dword v1, off, s[0:3], 0 offset:344
	buffer_store_dword v1, off, s[0:3], 0 offset:348
	s_waitcnt vmcnt(2)
	ds_write_b64 v165, v[2:3]
.LBB56_269:
	s_or_b64 exec, exec, s[4:5]
	v_mov_b32_e32 v1, 0
	s_waitcnt lgkmcnt(0)
	; wave barrier
	s_waitcnt lgkmcnt(0)
	ds_read_b128 v[4:7], v1 offset:816
	ds_read_b128 v[8:11], v1 offset:832
	;; [unrolled: 1-line block ×4, first 2 shown]
	buffer_load_dword v2, off, s[0:3], 0 offset:344
	buffer_load_dword v3, off, s[0:3], 0 offset:348
	;; [unrolled: 1-line block ×28, first 2 shown]
	v_cmp_lt_u32_e32 vcc, 42, v0
	s_waitcnt vmcnt(24) lgkmcnt(3)
	v_mul_f32_e32 v25, v4, v26
	v_fmac_f32_e32 v25, v5, v24
	v_mul_f32_e32 v5, v5, v26
	s_waitcnt vmcnt(22)
	v_mul_f32_e32 v27, v6, v42
	v_fma_f32 v4, v4, v24, -v5
	v_mul_f32_e32 v5, v7, v42
	v_add_f32_e32 v25, 0, v25
	v_fmac_f32_e32 v27, v7, v28
	v_add_f32_e32 v4, 0, v4
	v_fma_f32 v5, v6, v28, -v5
	v_add_f32_e32 v25, v25, v27
	s_waitcnt vmcnt(20) lgkmcnt(2)
	v_mul_f32_e32 v27, v8, v44
	v_add_f32_e32 v4, v4, v5
	v_mul_f32_e32 v5, v9, v44
	v_fmac_f32_e32 v27, v9, v43
	v_fma_f32 v5, v8, v43, -v5
	v_add_f32_e32 v25, v25, v27
	s_waitcnt vmcnt(18)
	v_mul_f32_e32 v27, v10, v46
	v_add_f32_e32 v24, v4, v5
	v_mul_f32_e32 v4, v11, v46
	v_fmac_f32_e32 v27, v11, v45
	v_fma_f32 v26, v10, v45, -v4
	s_waitcnt vmcnt(16) lgkmcnt(1)
	v_mul_f32_e32 v29, v12, v48
	v_mul_f32_e32 v4, v13, v48
	v_pk_add_f32 v[24:25], v[24:25], v[26:27]
	s_waitcnt vmcnt(14)
	v_mov_b32_e32 v26, v21
	v_fmac_f32_e32 v29, v13, v47
	v_fma_f32 v28, v12, v47, -v4
	v_pk_mul_f32 v[26:27], v[14:15], v[26:27] op_sel_hi:[1,0]
	v_pk_add_f32 v[24:25], v[24:25], v[28:29]
	v_pk_fma_f32 v[28:29], v[14:15], v[20:21], v[26:27] op_sel:[0,0,1] op_sel_hi:[1,1,0] neg_lo:[0,0,1] neg_hi:[0,0,1]
	v_pk_fma_f32 v[14:15], v[14:15], v[20:21], v[26:27] op_sel:[0,0,1] op_sel_hi:[1,0,0]
	s_waitcnt vmcnt(12)
	v_mov_b32_e32 v20, v23
	v_mov_b32_e32 v29, v15
	s_waitcnt lgkmcnt(0)
	v_pk_mul_f32 v[20:21], v[16:17], v[20:21] op_sel_hi:[1,0]
	v_pk_add_f32 v[14:15], v[24:25], v[28:29]
	v_pk_fma_f32 v[24:25], v[16:17], v[22:23], v[20:21] op_sel:[0,0,1] op_sel_hi:[1,1,0] neg_lo:[0,0,1] neg_hi:[0,0,1]
	v_pk_fma_f32 v[16:17], v[16:17], v[22:23], v[20:21] op_sel:[0,0,1] op_sel_hi:[1,0,0]
	s_waitcnt vmcnt(11)
	v_mov_b32_e32 v16, v31
	ds_read_b128 v[4:7], v1 offset:880
	ds_read_b128 v[8:11], v1 offset:896
	ds_read_b64 v[12:13], v1 offset:912
	v_mov_b32_e32 v25, v17
	v_pk_mul_f32 v[16:17], v[18:19], v[16:17] op_sel_hi:[1,0]
	s_waitcnt vmcnt(10)
	v_pk_fma_f32 v[20:21], v[18:19], v[30:31], v[16:17] op_sel:[0,0,1] op_sel_hi:[1,1,0] neg_lo:[0,0,1] neg_hi:[0,0,1]
	v_pk_fma_f32 v[16:17], v[18:19], v[30:31], v[16:17] op_sel:[0,0,1] op_sel_hi:[1,0,0]
	s_waitcnt vmcnt(9)
	v_mov_b32_e32 v16, v33
	v_mov_b32_e32 v21, v17
	s_waitcnt lgkmcnt(2)
	v_pk_mul_f32 v[16:17], v[4:5], v[16:17] op_sel_hi:[1,0]
	v_pk_add_f32 v[14:15], v[14:15], v[24:25]
	s_waitcnt vmcnt(8)
	v_pk_fma_f32 v[18:19], v[4:5], v[32:33], v[16:17] op_sel:[0,0,1] op_sel_hi:[1,1,0] neg_lo:[0,0,1] neg_hi:[0,0,1]
	v_pk_fma_f32 v[4:5], v[4:5], v[32:33], v[16:17] op_sel:[0,0,1] op_sel_hi:[1,0,0]
	v_pk_add_f32 v[14:15], v[14:15], v[20:21]
	v_mov_b32_e32 v19, v5
	v_pk_add_f32 v[4:5], v[14:15], v[18:19]
	s_waitcnt vmcnt(7)
	v_mov_b32_e32 v14, v35
	v_pk_mul_f32 v[14:15], v[6:7], v[14:15] op_sel_hi:[1,0]
	s_waitcnt vmcnt(6)
	v_pk_fma_f32 v[16:17], v[6:7], v[34:35], v[14:15] op_sel:[0,0,1] op_sel_hi:[1,1,0] neg_lo:[0,0,1] neg_hi:[0,0,1]
	v_pk_fma_f32 v[6:7], v[6:7], v[34:35], v[14:15] op_sel:[0,0,1] op_sel_hi:[1,0,0]
	s_waitcnt vmcnt(5)
	v_mov_b32_e32 v6, v37
	v_mov_b32_e32 v17, v7
	s_waitcnt lgkmcnt(1)
	v_pk_mul_f32 v[6:7], v[8:9], v[6:7] op_sel_hi:[1,0]
	s_waitcnt vmcnt(4)
	v_pk_fma_f32 v[14:15], v[8:9], v[36:37], v[6:7] op_sel:[0,0,1] op_sel_hi:[1,1,0] neg_lo:[0,0,1] neg_hi:[0,0,1]
	v_pk_fma_f32 v[6:7], v[8:9], v[36:37], v[6:7] op_sel:[0,0,1] op_sel_hi:[1,0,0]
	s_waitcnt vmcnt(3)
	v_mov_b32_e32 v6, v39
	v_mov_b32_e32 v15, v7
	v_pk_mul_f32 v[6:7], v[10:11], v[6:7] op_sel_hi:[1,0]
	s_waitcnt vmcnt(2)
	v_pk_fma_f32 v[8:9], v[10:11], v[38:39], v[6:7] op_sel:[0,0,1] op_sel_hi:[1,1,0] neg_lo:[0,0,1] neg_hi:[0,0,1]
	v_pk_fma_f32 v[6:7], v[10:11], v[38:39], v[6:7] op_sel:[0,0,1] op_sel_hi:[1,0,0]
	v_pk_add_f32 v[4:5], v[4:5], v[16:17]
	s_waitcnt vmcnt(1)
	v_mov_b32_e32 v6, v41
	v_pk_add_f32 v[4:5], v[4:5], v[14:15]
	v_mov_b32_e32 v9, v7
	s_waitcnt lgkmcnt(0)
	v_pk_mul_f32 v[6:7], v[12:13], v[6:7] op_sel_hi:[1,0]
	v_pk_add_f32 v[4:5], v[4:5], v[8:9]
	s_waitcnt vmcnt(0)
	v_pk_fma_f32 v[8:9], v[12:13], v[40:41], v[6:7] op_sel:[0,0,1] op_sel_hi:[1,1,0] neg_lo:[0,0,1] neg_hi:[0,0,1]
	v_pk_fma_f32 v[6:7], v[12:13], v[40:41], v[6:7] op_sel:[0,0,1] op_sel_hi:[1,0,0]
	v_mov_b32_e32 v9, v7
	v_pk_add_f32 v[4:5], v[4:5], v[8:9]
	v_pk_add_f32 v[2:3], v[2:3], v[4:5] neg_lo:[0,1] neg_hi:[0,1]
	buffer_store_dword v3, off, s[0:3], 0 offset:348
	buffer_store_dword v2, off, s[0:3], 0 offset:344
	s_and_saveexec_b64 s[4:5], vcc
	s_cbranch_execz .LBB56_271
; %bb.270:
	buffer_load_dword v2, off, s[0:3], 0 offset:336
	buffer_load_dword v3, off, s[0:3], 0 offset:340
	s_waitcnt vmcnt(0)
	ds_write_b64 v165, v[2:3]
	buffer_store_dword v1, off, s[0:3], 0 offset:336
	buffer_store_dword v1, off, s[0:3], 0 offset:340
.LBB56_271:
	s_or_b64 exec, exec, s[4:5]
	s_waitcnt lgkmcnt(0)
	; wave barrier
	s_waitcnt lgkmcnt(0)
	ds_read2_b64 v[4:7], v1 offset0:101 offset1:102
	buffer_load_dword v2, off, s[0:3], 0 offset:336
	buffer_load_dword v3, off, s[0:3], 0 offset:340
	;; [unrolled: 1-line block ×16, first 2 shown]
	v_cmp_lt_u32_e32 vcc, 41, v0
	ds_read2_b64 v[16:19], v1 offset0:107 offset1:108
	s_waitcnt vmcnt(12) lgkmcnt(1)
	v_mul_f32_e32 v8, v4, v24
	v_fmac_f32_e32 v8, v5, v22
	s_waitcnt vmcnt(10)
	v_mul_f32_e32 v9, v6, v42
	v_add_f32_e32 v8, 0, v8
	v_fmac_f32_e32 v9, v7, v26
	v_add_f32_e32 v12, v8, v9
	ds_read2_b64 v[8:11], v1 offset0:103 offset1:104
	v_mul_f32_e32 v5, v5, v24
	v_fma_f32 v4, v4, v22, -v5
	v_mul_f32_e32 v5, v7, v42
	v_add_f32_e32 v4, 0, v4
	s_waitcnt vmcnt(8) lgkmcnt(0)
	v_mul_f32_e32 v13, v8, v44
	v_fmac_f32_e32 v13, v9, v43
	v_add_f32_e32 v12, v12, v13
	s_waitcnt vmcnt(6)
	v_mul_f32_e32 v13, v10, v46
	v_fmac_f32_e32 v13, v11, v45
	v_add_f32_e32 v23, v12, v13
	ds_read2_b64 v[12:15], v1 offset0:105 offset1:106
	buffer_load_dword v29, off, s[0:3], 0 offset:404
	buffer_load_dword v28, off, s[0:3], 0 offset:400
	;; [unrolled: 1-line block ×14, first 2 shown]
	v_fma_f32 v5, v6, v26, -v5
	v_add_f32_e32 v4, v4, v5
	v_mul_f32_e32 v5, v9, v44
	v_fma_f32 v5, v8, v43, -v5
	v_add_f32_e32 v4, v4, v5
	v_mul_f32_e32 v5, v11, v46
	v_fma_f32 v5, v10, v45, -v5
	s_waitcnt vmcnt(18) lgkmcnt(0)
	v_mul_f32_e32 v25, v12, v48
	v_add_f32_e32 v22, v4, v5
	v_mul_f32_e32 v4, v13, v48
	v_fmac_f32_e32 v25, v13, v47
	v_fma_f32 v24, v12, v47, -v4
	s_waitcnt vmcnt(16)
	v_mul_f32_e32 v27, v14, v50
	v_mul_f32_e32 v4, v15, v50
	v_pk_add_f32 v[22:23], v[22:23], v[24:25]
	s_waitcnt vmcnt(14)
	v_mov_b32_e32 v24, v21
	v_fmac_f32_e32 v27, v15, v49
	v_fma_f32 v26, v14, v49, -v4
	v_pk_mul_f32 v[24:25], v[16:17], v[24:25] op_sel_hi:[1,0]
	v_pk_add_f32 v[22:23], v[22:23], v[26:27]
	v_pk_fma_f32 v[26:27], v[16:17], v[20:21], v[24:25] op_sel:[0,0,1] op_sel_hi:[1,1,0] neg_lo:[0,0,1] neg_hi:[0,0,1]
	v_pk_fma_f32 v[16:17], v[16:17], v[20:21], v[24:25] op_sel:[0,0,1] op_sel_hi:[1,0,0]
	ds_read2_b64 v[4:7], v1 offset0:109 offset1:110
	ds_read2_b64 v[8:11], v1 offset0:111 offset1:112
	;; [unrolled: 1-line block ×3, first 2 shown]
	v_mov_b32_e32 v27, v17
	v_pk_add_f32 v[16:17], v[22:23], v[26:27]
	s_waitcnt vmcnt(13)
	v_mov_b32_e32 v20, v29
	v_pk_mul_f32 v[20:21], v[18:19], v[20:21] op_sel_hi:[1,0]
	s_waitcnt vmcnt(12)
	v_pk_fma_f32 v[22:23], v[18:19], v[28:29], v[20:21] op_sel:[0,0,1] op_sel_hi:[1,1,0] neg_lo:[0,0,1] neg_hi:[0,0,1]
	v_pk_fma_f32 v[18:19], v[18:19], v[28:29], v[20:21] op_sel:[0,0,1] op_sel_hi:[1,0,0]
	s_waitcnt vmcnt(11)
	v_mov_b32_e32 v18, v31
	v_mov_b32_e32 v23, v19
	s_waitcnt lgkmcnt(2)
	v_pk_mul_f32 v[18:19], v[4:5], v[18:19] op_sel_hi:[1,0]
	s_waitcnt vmcnt(10)
	v_pk_fma_f32 v[20:21], v[4:5], v[30:31], v[18:19] op_sel:[0,0,1] op_sel_hi:[1,1,0] neg_lo:[0,0,1] neg_hi:[0,0,1]
	v_pk_fma_f32 v[4:5], v[4:5], v[30:31], v[18:19] op_sel:[0,0,1] op_sel_hi:[1,0,0]
	v_pk_add_f32 v[16:17], v[16:17], v[22:23]
	v_mov_b32_e32 v21, v5
	v_pk_add_f32 v[4:5], v[16:17], v[20:21]
	s_waitcnt vmcnt(9)
	v_mov_b32_e32 v16, v33
	v_pk_mul_f32 v[16:17], v[6:7], v[16:17] op_sel_hi:[1,0]
	s_waitcnt vmcnt(8)
	v_pk_fma_f32 v[18:19], v[6:7], v[32:33], v[16:17] op_sel:[0,0,1] op_sel_hi:[1,1,0] neg_lo:[0,0,1] neg_hi:[0,0,1]
	v_pk_fma_f32 v[6:7], v[6:7], v[32:33], v[16:17] op_sel:[0,0,1] op_sel_hi:[1,0,0]
	s_waitcnt vmcnt(7)
	v_mov_b32_e32 v6, v35
	v_mov_b32_e32 v19, v7
	s_waitcnt lgkmcnt(1)
	v_pk_mul_f32 v[6:7], v[8:9], v[6:7] op_sel_hi:[1,0]
	s_waitcnt vmcnt(6)
	v_pk_fma_f32 v[16:17], v[8:9], v[34:35], v[6:7] op_sel:[0,0,1] op_sel_hi:[1,1,0] neg_lo:[0,0,1] neg_hi:[0,0,1]
	v_pk_fma_f32 v[6:7], v[8:9], v[34:35], v[6:7] op_sel:[0,0,1] op_sel_hi:[1,0,0]
	s_waitcnt vmcnt(5)
	v_mov_b32_e32 v6, v37
	v_mov_b32_e32 v17, v7
	v_pk_mul_f32 v[6:7], v[10:11], v[6:7] op_sel_hi:[1,0]
	s_waitcnt vmcnt(4)
	v_pk_fma_f32 v[8:9], v[10:11], v[36:37], v[6:7] op_sel:[0,0,1] op_sel_hi:[1,1,0] neg_lo:[0,0,1] neg_hi:[0,0,1]
	v_pk_fma_f32 v[6:7], v[10:11], v[36:37], v[6:7] op_sel:[0,0,1] op_sel_hi:[1,0,0]
	v_pk_add_f32 v[4:5], v[4:5], v[18:19]
	s_waitcnt vmcnt(3)
	v_mov_b32_e32 v6, v39
	v_pk_add_f32 v[4:5], v[4:5], v[16:17]
	v_mov_b32_e32 v9, v7
	s_waitcnt lgkmcnt(0)
	v_pk_mul_f32 v[6:7], v[12:13], v[6:7] op_sel_hi:[1,0]
	v_pk_add_f32 v[4:5], v[4:5], v[8:9]
	s_waitcnt vmcnt(2)
	v_pk_fma_f32 v[8:9], v[12:13], v[38:39], v[6:7] op_sel:[0,0,1] op_sel_hi:[1,1,0] neg_lo:[0,0,1] neg_hi:[0,0,1]
	v_pk_fma_f32 v[6:7], v[12:13], v[38:39], v[6:7] op_sel:[0,0,1] op_sel_hi:[1,0,0]
	s_waitcnt vmcnt(1)
	v_mov_b32_e32 v6, v41
	v_mov_b32_e32 v9, v7
	v_pk_mul_f32 v[6:7], v[14:15], v[6:7] op_sel_hi:[1,0]
	v_pk_add_f32 v[4:5], v[4:5], v[8:9]
	s_waitcnt vmcnt(0)
	v_pk_fma_f32 v[8:9], v[14:15], v[40:41], v[6:7] op_sel:[0,0,1] op_sel_hi:[1,1,0] neg_lo:[0,0,1] neg_hi:[0,0,1]
	v_pk_fma_f32 v[6:7], v[14:15], v[40:41], v[6:7] op_sel:[0,0,1] op_sel_hi:[1,0,0]
	v_mov_b32_e32 v9, v7
	v_pk_add_f32 v[4:5], v[4:5], v[8:9]
	v_pk_add_f32 v[2:3], v[2:3], v[4:5] neg_lo:[0,1] neg_hi:[0,1]
	buffer_store_dword v3, off, s[0:3], 0 offset:340
	buffer_store_dword v2, off, s[0:3], 0 offset:336
	s_and_saveexec_b64 s[4:5], vcc
	s_cbranch_execz .LBB56_273
; %bb.272:
	buffer_load_dword v2, off, s[0:3], 0 offset:328
	buffer_load_dword v3, off, s[0:3], 0 offset:332
	v_mov_b32_e32 v1, 0
	buffer_store_dword v1, off, s[0:3], 0 offset:328
	buffer_store_dword v1, off, s[0:3], 0 offset:332
	s_waitcnt vmcnt(2)
	ds_write_b64 v165, v[2:3]
.LBB56_273:
	s_or_b64 exec, exec, s[4:5]
	s_waitcnt lgkmcnt(0)
	; wave barrier
	s_waitcnt lgkmcnt(0)
	buffer_load_dword v50, off, s[0:3], 0 offset:340
	buffer_load_dword v52, off, s[0:3], 0 offset:348
	;; [unrolled: 1-line block ×32, first 2 shown]
	v_mov_b32_e32 v1, 0
	ds_read_b128 v[2:5], v1 offset:800
	ds_read_b128 v[6:9], v1 offset:816
	;; [unrolled: 1-line block ×7, first 2 shown]
	ds_read_b64 v[48:49], v1 offset:912
	v_cmp_lt_u32_e32 vcc, 40, v0
	s_waitcnt vmcnt(31) lgkmcnt(7)
	v_mul_f32_e32 v66, v2, v50
	s_waitcnt vmcnt(30)
	v_mul_f32_e32 v67, v4, v52
	s_waitcnt vmcnt(29) lgkmcnt(6)
	v_mul_f32_e32 v68, v6, v54
	s_waitcnt vmcnt(28)
	v_mul_f32_e32 v69, v8, v55
	v_mul_f32_e32 v50, v3, v50
	;; [unrolled: 1-line block ×4, first 2 shown]
	s_waitcnt vmcnt(24)
	v_mov_b32_e32 v54, v31
	s_waitcnt lgkmcnt(5)
	v_mul_f32_e32 v70, v10, v56
	v_mul_f32_e32 v52, v5, v52
	;; [unrolled: 1-line block ×3, first 2 shown]
	s_waitcnt vmcnt(22)
	v_fmac_f32_e32 v66, v3, v59
	s_waitcnt vmcnt(21)
	v_fmac_f32_e32 v67, v5, v60
	v_fma_f32 v5, v2, v59, -v50
	s_waitcnt lgkmcnt(4)
	v_pk_mul_f32 v[2:3], v[16:17], v[54:55] op_sel_hi:[1,0]
	s_waitcnt vmcnt(20)
	v_fmac_f32_e32 v68, v7, v61
	s_waitcnt vmcnt(19)
	v_fmac_f32_e32 v69, v9, v62
	;; [unrolled: 2-line block ×3, first 2 shown]
	v_fma_f32 v7, v4, v60, -v52
	v_fma_f32 v9, v10, v63, -v72
	v_add_f32_e32 v10, 0, v66
	v_add_f32_e32 v11, 0, v5
	s_waitcnt vmcnt(12)
	v_pk_fma_f32 v[4:5], v[16:17], v[30:31], v[2:3] op_sel:[0,0,1] op_sel_hi:[1,1,0] neg_lo:[0,0,1] neg_hi:[0,0,1]
	v_pk_fma_f32 v[2:3], v[16:17], v[30:31], v[2:3] op_sel:[0,0,1] op_sel_hi:[1,0,0]
	v_fma_f32 v6, v6, v61, -v71
	v_add_f32_e32 v2, v10, v67
	v_add_f32_e32 v7, v11, v7
	v_fma_f32 v8, v8, v62, -v55
	v_mov_b32_e32 v5, v3
	v_add_f32_e32 v2, v2, v68
	v_add_f32_e32 v3, v7, v6
	v_mul_f32_e32 v51, v12, v57
	v_mul_f32_e32 v57, v13, v57
	v_add_f32_e32 v2, v2, v69
	v_add_f32_e32 v6, v3, v8
	v_mul_f32_e32 v53, v14, v58
	v_mul_f32_e32 v58, v15, v58
	v_fmac_f32_e32 v51, v13, v64
	v_fma_f32 v50, v12, v64, -v57
	v_add_f32_e32 v3, v2, v70
	v_add_f32_e32 v2, v6, v9
	v_fmac_f32_e32 v53, v15, v65
	v_fma_f32 v52, v14, v65, -v58
	v_pk_add_f32 v[2:3], v[2:3], v[50:51]
	v_mov_b32_e32 v56, v33
	v_pk_add_f32 v[2:3], v[2:3], v[52:53]
	v_pk_add_f32 v[2:3], v[2:3], v[4:5]
	s_waitcnt lgkmcnt(3)
	v_pk_mul_f32 v[4:5], v[18:19], v[56:57] op_sel_hi:[1,0]
	v_pk_fma_f32 v[6:7], v[18:19], v[32:33], v[4:5] op_sel:[0,0,1] op_sel_hi:[1,1,0] neg_lo:[0,0,1] neg_hi:[0,0,1]
	v_pk_fma_f32 v[4:5], v[18:19], v[32:33], v[4:5] op_sel:[0,0,1] op_sel_hi:[1,0,0]
	s_waitcnt vmcnt(11)
	v_mov_b32_e32 v4, v37
	v_mov_b32_e32 v7, v5
	v_pk_mul_f32 v[4:5], v[20:21], v[4:5] op_sel_hi:[1,0]
	v_pk_add_f32 v[2:3], v[2:3], v[6:7]
	v_pk_fma_f32 v[6:7], v[20:21], v[36:37], v[4:5] op_sel:[0,0,1] op_sel_hi:[1,1,0] neg_lo:[0,0,1] neg_hi:[0,0,1]
	v_pk_fma_f32 v[4:5], v[20:21], v[36:37], v[4:5] op_sel:[0,0,1] op_sel_hi:[1,0,0]
	s_waitcnt vmcnt(10)
	v_mov_b32_e32 v4, v35
	v_mov_b32_e32 v7, v5
	s_waitcnt lgkmcnt(2)
	v_pk_mul_f32 v[4:5], v[22:23], v[4:5] op_sel_hi:[1,0]
	v_pk_add_f32 v[2:3], v[2:3], v[6:7]
	v_pk_fma_f32 v[6:7], v[22:23], v[34:35], v[4:5] op_sel:[0,0,1] op_sel_hi:[1,1,0] neg_lo:[0,0,1] neg_hi:[0,0,1]
	v_pk_fma_f32 v[4:5], v[22:23], v[34:35], v[4:5] op_sel:[0,0,1] op_sel_hi:[1,0,0]
	s_waitcnt vmcnt(9)
	v_mov_b32_e32 v4, v39
	v_mov_b32_e32 v7, v5
	v_pk_mul_f32 v[4:5], v[24:25], v[4:5] op_sel_hi:[1,0]
	v_pk_add_f32 v[2:3], v[2:3], v[6:7]
	s_waitcnt vmcnt(4)
	v_pk_fma_f32 v[6:7], v[24:25], v[38:39], v[4:5] op_sel:[0,0,1] op_sel_hi:[1,1,0] neg_lo:[0,0,1] neg_hi:[0,0,1]
	v_pk_fma_f32 v[4:5], v[24:25], v[38:39], v[4:5] op_sel:[0,0,1] op_sel_hi:[1,0,0]
	v_mov_b32_e32 v4, v45
	v_mov_b32_e32 v7, v5
	s_waitcnt lgkmcnt(1)
	v_pk_mul_f32 v[4:5], v[26:27], v[4:5] op_sel_hi:[1,0]
	v_pk_add_f32 v[2:3], v[2:3], v[6:7]
	v_pk_fma_f32 v[6:7], v[26:27], v[44:45], v[4:5] op_sel:[0,0,1] op_sel_hi:[1,1,0] neg_lo:[0,0,1] neg_hi:[0,0,1]
	v_pk_fma_f32 v[4:5], v[26:27], v[44:45], v[4:5] op_sel:[0,0,1] op_sel_hi:[1,0,0]
	s_waitcnt vmcnt(3)
	v_mov_b32_e32 v4, v43
	v_mov_b32_e32 v7, v5
	v_pk_mul_f32 v[4:5], v[28:29], v[4:5] op_sel_hi:[1,0]
	v_pk_add_f32 v[2:3], v[2:3], v[6:7]
	v_pk_fma_f32 v[6:7], v[28:29], v[42:43], v[4:5] op_sel:[0,0,1] op_sel_hi:[1,1,0] neg_lo:[0,0,1] neg_hi:[0,0,1]
	v_pk_fma_f32 v[4:5], v[28:29], v[42:43], v[4:5] op_sel:[0,0,1] op_sel_hi:[1,0,0]
	s_waitcnt vmcnt(0)
	v_mov_b32_e32 v4, v41
	v_mov_b32_e32 v7, v5
	s_waitcnt lgkmcnt(0)
	v_pk_mul_f32 v[4:5], v[48:49], v[4:5] op_sel_hi:[1,0]
	v_pk_add_f32 v[2:3], v[2:3], v[6:7]
	v_pk_fma_f32 v[6:7], v[48:49], v[40:41], v[4:5] op_sel:[0,0,1] op_sel_hi:[1,1,0] neg_lo:[0,0,1] neg_hi:[0,0,1]
	v_pk_fma_f32 v[4:5], v[48:49], v[40:41], v[4:5] op_sel:[0,0,1] op_sel_hi:[1,0,0]
	v_mov_b32_e32 v7, v5
	v_pk_add_f32 v[2:3], v[2:3], v[6:7]
	v_pk_add_f32 v[2:3], v[46:47], v[2:3] neg_lo:[0,1] neg_hi:[0,1]
	buffer_store_dword v3, off, s[0:3], 0 offset:332
	buffer_store_dword v2, off, s[0:3], 0 offset:328
	s_and_saveexec_b64 s[4:5], vcc
	s_cbranch_execz .LBB56_275
; %bb.274:
	buffer_load_dword v2, off, s[0:3], 0 offset:320
	buffer_load_dword v3, off, s[0:3], 0 offset:324
	s_waitcnt vmcnt(0)
	ds_write_b64 v165, v[2:3]
	buffer_store_dword v1, off, s[0:3], 0 offset:320
	buffer_store_dword v1, off, s[0:3], 0 offset:324
.LBB56_275:
	s_or_b64 exec, exec, s[4:5]
	s_waitcnt lgkmcnt(0)
	; wave barrier
	s_waitcnt lgkmcnt(0)
	buffer_load_dword v52, off, s[0:3], 0 offset:332
	buffer_load_dword v54, off, s[0:3], 0 offset:340
	;; [unrolled: 1-line block ×32, first 2 shown]
	ds_read2_b64 v[2:5], v1 offset0:99 offset1:100
	ds_read2_b64 v[6:9], v1 offset0:101 offset1:102
	;; [unrolled: 1-line block ×4, first 2 shown]
	buffer_load_dword v51, off, s[0:3], 0 offset:452
	buffer_load_dword v50, off, s[0:3], 0 offset:448
	ds_read2_b64 v[18:21], v1 offset0:107 offset1:108
	ds_read2_b64 v[22:25], v1 offset0:109 offset1:110
	;; [unrolled: 1-line block ×4, first 2 shown]
	v_cmp_lt_u32_e32 vcc, 39, v0
	s_waitcnt vmcnt(33) lgkmcnt(7)
	v_mul_f32_e32 v1, v2, v52
	v_mul_f32_e32 v52, v3, v52
	s_waitcnt vmcnt(32)
	v_mul_f32_e32 v70, v4, v54
	v_mul_f32_e32 v54, v5, v54
	s_waitcnt vmcnt(31) lgkmcnt(6)
	v_mul_f32_e32 v71, v6, v56
	v_mul_f32_e32 v56, v7, v56
	s_waitcnt vmcnt(30)
	v_mul_f32_e32 v72, v8, v57
	v_mul_f32_e32 v57, v9, v57
	s_waitcnt vmcnt(25)
	v_fmac_f32_e32 v1, v3, v62
	v_fma_f32 v2, v2, v62, -v52
	s_waitcnt vmcnt(24)
	v_fmac_f32_e32 v70, v5, v63
	v_fma_f32 v3, v4, v63, -v54
	v_add_f32_e32 v1, 0, v1
	v_add_f32_e32 v2, 0, v2
	s_waitcnt vmcnt(23)
	v_fmac_f32_e32 v71, v7, v64
	v_fma_f32 v4, v6, v64, -v56
	v_add_f32_e32 v1, v1, v70
	v_add_f32_e32 v2, v2, v3
	s_waitcnt lgkmcnt(5)
	v_mul_f32_e32 v73, v10, v58
	v_mul_f32_e32 v58, v11, v58
	s_waitcnt vmcnt(22)
	v_fmac_f32_e32 v72, v9, v65
	v_fma_f32 v5, v8, v65, -v57
	v_add_f32_e32 v1, v1, v71
	v_add_f32_e32 v2, v2, v4
	v_mul_f32_e32 v74, v12, v59
	v_mul_f32_e32 v59, v13, v59
	s_waitcnt vmcnt(21)
	v_fmac_f32_e32 v73, v11, v66
	v_fma_f32 v6, v10, v66, -v58
	v_add_f32_e32 v1, v1, v72
	v_add_f32_e32 v2, v2, v5
	s_waitcnt vmcnt(17)
	v_mov_b32_e32 v4, v35
	s_waitcnt lgkmcnt(4)
	v_mul_f32_e32 v53, v14, v60
	v_mul_f32_e32 v60, v15, v60
	v_fmac_f32_e32 v74, v13, v67
	v_fma_f32 v7, v12, v67, -v59
	v_add_f32_e32 v1, v1, v73
	v_add_f32_e32 v2, v2, v6
	s_waitcnt lgkmcnt(3)
	v_pk_mul_f32 v[4:5], v[18:19], v[4:5] op_sel_hi:[1,0]
	v_mul_f32_e32 v55, v16, v61
	v_mul_f32_e32 v61, v17, v61
	v_fmac_f32_e32 v53, v15, v68
	v_fma_f32 v52, v14, v68, -v60
	v_add_f32_e32 v3, v1, v74
	v_add_f32_e32 v2, v2, v7
	s_waitcnt vmcnt(14)
	v_pk_fma_f32 v[6:7], v[18:19], v[34:35], v[4:5] op_sel:[0,0,1] op_sel_hi:[1,1,0] neg_lo:[0,0,1] neg_hi:[0,0,1]
	v_pk_fma_f32 v[4:5], v[18:19], v[34:35], v[4:5] op_sel:[0,0,1] op_sel_hi:[1,0,0]
	v_fmac_f32_e32 v55, v17, v69
	v_fma_f32 v54, v16, v69, -v61
	v_pk_add_f32 v[2:3], v[2:3], v[52:53]
	s_waitcnt vmcnt(13)
	v_mov_b32_e32 v4, v39
	v_pk_add_f32 v[2:3], v[2:3], v[54:55]
	v_mov_b32_e32 v7, v5
	v_pk_mul_f32 v[4:5], v[20:21], v[4:5] op_sel_hi:[1,0]
	v_pk_add_f32 v[2:3], v[2:3], v[6:7]
	v_pk_fma_f32 v[6:7], v[20:21], v[38:39], v[4:5] op_sel:[0,0,1] op_sel_hi:[1,1,0] neg_lo:[0,0,1] neg_hi:[0,0,1]
	v_pk_fma_f32 v[4:5], v[20:21], v[38:39], v[4:5] op_sel:[0,0,1] op_sel_hi:[1,0,0]
	s_waitcnt vmcnt(12)
	v_mov_b32_e32 v4, v37
	v_mov_b32_e32 v7, v5
	s_waitcnt lgkmcnt(2)
	v_pk_mul_f32 v[4:5], v[22:23], v[4:5] op_sel_hi:[1,0]
	v_pk_add_f32 v[2:3], v[2:3], v[6:7]
	v_pk_fma_f32 v[6:7], v[22:23], v[36:37], v[4:5] op_sel:[0,0,1] op_sel_hi:[1,1,0] neg_lo:[0,0,1] neg_hi:[0,0,1]
	v_pk_fma_f32 v[4:5], v[22:23], v[36:37], v[4:5] op_sel:[0,0,1] op_sel_hi:[1,0,0]
	s_waitcnt vmcnt(11)
	v_mov_b32_e32 v4, v41
	v_mov_b32_e32 v7, v5
	v_pk_mul_f32 v[4:5], v[24:25], v[4:5] op_sel_hi:[1,0]
	v_pk_add_f32 v[2:3], v[2:3], v[6:7]
	s_waitcnt vmcnt(5)
	v_pk_fma_f32 v[6:7], v[24:25], v[40:41], v[4:5] op_sel:[0,0,1] op_sel_hi:[1,1,0] neg_lo:[0,0,1] neg_hi:[0,0,1]
	v_pk_fma_f32 v[4:5], v[24:25], v[40:41], v[4:5] op_sel:[0,0,1] op_sel_hi:[1,0,0]
	v_mov_b32_e32 v4, v47
	v_mov_b32_e32 v7, v5
	s_waitcnt lgkmcnt(1)
	v_pk_mul_f32 v[4:5], v[26:27], v[4:5] op_sel_hi:[1,0]
	v_pk_add_f32 v[2:3], v[2:3], v[6:7]
	v_pk_fma_f32 v[6:7], v[26:27], v[46:47], v[4:5] op_sel:[0,0,1] op_sel_hi:[1,1,0] neg_lo:[0,0,1] neg_hi:[0,0,1]
	v_pk_fma_f32 v[4:5], v[26:27], v[46:47], v[4:5] op_sel:[0,0,1] op_sel_hi:[1,0,0]
	v_mov_b32_e32 v4, v45
	v_mov_b32_e32 v7, v5
	v_pk_mul_f32 v[4:5], v[28:29], v[4:5] op_sel_hi:[1,0]
	v_pk_add_f32 v[2:3], v[2:3], v[6:7]
	v_pk_fma_f32 v[6:7], v[28:29], v[44:45], v[4:5] op_sel:[0,0,1] op_sel_hi:[1,1,0] neg_lo:[0,0,1] neg_hi:[0,0,1]
	v_pk_fma_f32 v[4:5], v[28:29], v[44:45], v[4:5] op_sel:[0,0,1] op_sel_hi:[1,0,0]
	s_waitcnt vmcnt(2)
	v_mov_b32_e32 v4, v43
	v_mov_b32_e32 v7, v5
	s_waitcnt lgkmcnt(0)
	v_pk_mul_f32 v[4:5], v[30:31], v[4:5] op_sel_hi:[1,0]
	v_pk_add_f32 v[2:3], v[2:3], v[6:7]
	v_pk_fma_f32 v[6:7], v[30:31], v[42:43], v[4:5] op_sel:[0,0,1] op_sel_hi:[1,1,0] neg_lo:[0,0,1] neg_hi:[0,0,1]
	v_pk_fma_f32 v[4:5], v[30:31], v[42:43], v[4:5] op_sel:[0,0,1] op_sel_hi:[1,0,0]
	s_waitcnt vmcnt(1)
	v_mov_b32_e32 v4, v51
	v_mov_b32_e32 v7, v5
	v_pk_mul_f32 v[4:5], v[32:33], v[4:5] op_sel_hi:[1,0]
	v_pk_add_f32 v[2:3], v[2:3], v[6:7]
	s_waitcnt vmcnt(0)
	v_pk_fma_f32 v[6:7], v[32:33], v[50:51], v[4:5] op_sel:[0,0,1] op_sel_hi:[1,1,0] neg_lo:[0,0,1] neg_hi:[0,0,1]
	v_pk_fma_f32 v[4:5], v[32:33], v[50:51], v[4:5] op_sel:[0,0,1] op_sel_hi:[1,0,0]
	v_mov_b32_e32 v7, v5
	v_pk_add_f32 v[2:3], v[2:3], v[6:7]
	v_pk_add_f32 v[2:3], v[48:49], v[2:3] neg_lo:[0,1] neg_hi:[0,1]
	buffer_store_dword v3, off, s[0:3], 0 offset:324
	buffer_store_dword v2, off, s[0:3], 0 offset:320
	s_and_saveexec_b64 s[4:5], vcc
	s_cbranch_execz .LBB56_277
; %bb.276:
	buffer_load_dword v2, off, s[0:3], 0 offset:312
	buffer_load_dword v3, off, s[0:3], 0 offset:316
	v_mov_b32_e32 v1, 0
	buffer_store_dword v1, off, s[0:3], 0 offset:312
	buffer_store_dword v1, off, s[0:3], 0 offset:316
	s_waitcnt vmcnt(2)
	ds_write_b64 v165, v[2:3]
.LBB56_277:
	s_or_b64 exec, exec, s[4:5]
	s_waitcnt lgkmcnt(0)
	; wave barrier
	s_waitcnt lgkmcnt(0)
	buffer_load_dword v44, off, s[0:3], 0 offset:324
	buffer_load_dword v46, off, s[0:3], 0 offset:332
	;; [unrolled: 1-line block ×36, first 2 shown]
	v_mov_b32_e32 v1, 0
	ds_read_b128 v[2:5], v1 offset:784
	ds_read_b128 v[6:9], v1 offset:800
	;; [unrolled: 1-line block ×6, first 2 shown]
	v_cmp_lt_u32_e32 vcc, 38, v0
	s_waitcnt vmcnt(35) lgkmcnt(5)
	v_mul_f32_e32 v64, v2, v44
	s_waitcnt vmcnt(34)
	v_mul_f32_e32 v65, v4, v46
	v_mul_f32_e32 v44, v3, v44
	s_waitcnt vmcnt(32) lgkmcnt(4)
	v_mul_f32_e32 v67, v8, v49
	v_mul_f32_e32 v49, v9, v49
	;; [unrolled: 1-line block ×5, first 2 shown]
	s_waitcnt vmcnt(31) lgkmcnt(3)
	v_mul_f32_e32 v68, v10, v50
	s_waitcnt vmcnt(26)
	v_fmac_f32_e32 v64, v3, v55
	s_waitcnt vmcnt(25)
	v_fmac_f32_e32 v65, v5, v56
	v_fma_f32 v2, v2, v55, -v44
	s_waitcnt vmcnt(23)
	v_fma_f32 v5, v8, v58, -v49
	v_add_f32_e32 v8, 0, v64
	v_fmac_f32_e32 v66, v7, v57
	v_fma_f32 v3, v4, v56, -v46
	v_add_f32_e32 v2, 0, v2
	v_add_f32_e32 v8, v8, v65
	v_fmac_f32_e32 v67, v9, v58
	v_fma_f32 v4, v6, v57, -v48
	v_add_f32_e32 v2, v2, v3
	v_add_f32_e32 v3, v8, v66
	v_mul_f32_e32 v69, v12, v51
	v_mul_f32_e32 v50, v11, v50
	s_waitcnt vmcnt(22)
	v_fmac_f32_e32 v68, v11, v59
	v_add_f32_e32 v2, v2, v4
	v_add_f32_e32 v3, v3, v67
	s_waitcnt lgkmcnt(2)
	v_mul_f32_e32 v70, v14, v52
	v_mul_f32_e32 v51, v13, v51
	s_waitcnt vmcnt(21)
	v_fmac_f32_e32 v69, v13, v60
	v_fma_f32 v6, v10, v59, -v50
	v_add_f32_e32 v2, v2, v5
	v_add_f32_e32 v3, v3, v68
	v_mul_f32_e32 v52, v15, v52
	s_waitcnt vmcnt(20)
	v_fmac_f32_e32 v70, v15, v61
	v_fma_f32 v7, v12, v60, -v51
	v_add_f32_e32 v2, v2, v6
	v_add_f32_e32 v3, v3, v69
	;; [unrolled: 1-line block ×4, first 2 shown]
	v_fma_f32 v3, v14, v61, -v52
	s_waitcnt vmcnt(17)
	v_mov_b32_e32 v14, v27
	v_mul_f32_e32 v45, v16, v53
	v_add_f32_e32 v10, v2, v3
	v_mul_f32_e32 v2, v17, v53
	s_waitcnt lgkmcnt(1)
	v_pk_mul_f32 v[14:15], v[20:21], v[14:15] op_sel_hi:[1,0]
	v_mul_f32_e32 v47, v18, v54
	v_fmac_f32_e32 v45, v17, v62
	v_fma_f32 v44, v16, v62, -v2
	v_mul_f32_e32 v2, v19, v54
	s_waitcnt vmcnt(15)
	v_pk_fma_f32 v[16:17], v[20:21], v[26:27], v[14:15] op_sel:[0,0,1] op_sel_hi:[1,1,0] neg_lo:[0,0,1] neg_hi:[0,0,1]
	v_pk_fma_f32 v[14:15], v[20:21], v[26:27], v[14:15] op_sel:[0,0,1] op_sel_hi:[1,0,0]
	v_fmac_f32_e32 v47, v19, v63
	v_fma_f32 v46, v18, v63, -v2
	v_pk_add_f32 v[10:11], v[10:11], v[44:45]
	s_waitcnt vmcnt(12)
	v_mov_b32_e32 v14, v29
	v_pk_add_f32 v[10:11], v[10:11], v[46:47]
	v_mov_b32_e32 v17, v15
	s_waitcnt lgkmcnt(0)
	v_pk_mul_f32 v[14:15], v[22:23], v[14:15] op_sel_hi:[1,0]
	v_pk_add_f32 v[10:11], v[10:11], v[16:17]
	v_pk_fma_f32 v[16:17], v[22:23], v[28:29], v[14:15] op_sel:[0,0,1] op_sel_hi:[1,1,0] neg_lo:[0,0,1] neg_hi:[0,0,1]
	v_pk_fma_f32 v[14:15], v[22:23], v[28:29], v[14:15] op_sel:[0,0,1] op_sel_hi:[1,0,0]
	s_waitcnt vmcnt(11)
	v_mov_b32_e32 v14, v33
	ds_read_b128 v[2:5], v1 offset:880
	ds_read_b128 v[6:9], v1 offset:896
	ds_read_b64 v[12:13], v1 offset:912
	v_mov_b32_e32 v17, v15
	v_pk_mul_f32 v[14:15], v[24:25], v[14:15] op_sel_hi:[1,0]
	v_pk_add_f32 v[10:11], v[10:11], v[16:17]
	s_waitcnt vmcnt(4)
	v_pk_fma_f32 v[16:17], v[24:25], v[32:33], v[14:15] op_sel:[0,0,1] op_sel_hi:[1,1,0] neg_lo:[0,0,1] neg_hi:[0,0,1]
	v_pk_fma_f32 v[14:15], v[24:25], v[32:33], v[14:15] op_sel:[0,0,1] op_sel_hi:[1,0,0]
	v_mov_b32_e32 v14, v39
	v_mov_b32_e32 v17, v15
	s_waitcnt lgkmcnt(2)
	v_pk_mul_f32 v[14:15], v[2:3], v[14:15] op_sel_hi:[1,0]
	v_pk_add_f32 v[10:11], v[10:11], v[16:17]
	v_pk_fma_f32 v[16:17], v[2:3], v[38:39], v[14:15] op_sel:[0,0,1] op_sel_hi:[1,1,0] neg_lo:[0,0,1] neg_hi:[0,0,1]
	v_pk_fma_f32 v[2:3], v[2:3], v[38:39], v[14:15] op_sel:[0,0,1] op_sel_hi:[1,0,0]
	v_mov_b32_e32 v17, v3
	v_pk_add_f32 v[2:3], v[10:11], v[16:17]
	v_mov_b32_e32 v10, v37
	v_pk_mul_f32 v[10:11], v[4:5], v[10:11] op_sel_hi:[1,0]
	v_pk_fma_f32 v[14:15], v[4:5], v[36:37], v[10:11] op_sel:[0,0,1] op_sel_hi:[1,1,0] neg_lo:[0,0,1] neg_hi:[0,0,1]
	v_pk_fma_f32 v[4:5], v[4:5], v[36:37], v[10:11] op_sel:[0,0,1] op_sel_hi:[1,0,0]
	v_mov_b32_e32 v4, v35
	v_mov_b32_e32 v15, v5
	s_waitcnt lgkmcnt(1)
	v_pk_mul_f32 v[4:5], v[6:7], v[4:5] op_sel_hi:[1,0]
	v_pk_fma_f32 v[10:11], v[6:7], v[34:35], v[4:5] op_sel:[0,0,1] op_sel_hi:[1,1,0] neg_lo:[0,0,1] neg_hi:[0,0,1]
	v_pk_fma_f32 v[4:5], v[6:7], v[34:35], v[4:5] op_sel:[0,0,1] op_sel_hi:[1,0,0]
	s_waitcnt vmcnt(1)
	v_mov_b32_e32 v4, v43
	v_mov_b32_e32 v11, v5
	v_pk_mul_f32 v[4:5], v[8:9], v[4:5] op_sel_hi:[1,0]
	s_waitcnt vmcnt(0)
	v_pk_fma_f32 v[6:7], v[8:9], v[42:43], v[4:5] op_sel:[0,0,1] op_sel_hi:[1,1,0] neg_lo:[0,0,1] neg_hi:[0,0,1]
	v_pk_fma_f32 v[4:5], v[8:9], v[42:43], v[4:5] op_sel:[0,0,1] op_sel_hi:[1,0,0]
	v_pk_add_f32 v[2:3], v[2:3], v[14:15]
	v_mov_b32_e32 v4, v41
	v_pk_add_f32 v[2:3], v[2:3], v[10:11]
	v_mov_b32_e32 v7, v5
	s_waitcnt lgkmcnt(0)
	v_pk_mul_f32 v[4:5], v[12:13], v[4:5] op_sel_hi:[1,0]
	v_pk_add_f32 v[2:3], v[2:3], v[6:7]
	v_pk_fma_f32 v[6:7], v[12:13], v[40:41], v[4:5] op_sel:[0,0,1] op_sel_hi:[1,1,0] neg_lo:[0,0,1] neg_hi:[0,0,1]
	v_pk_fma_f32 v[4:5], v[12:13], v[40:41], v[4:5] op_sel:[0,0,1] op_sel_hi:[1,0,0]
	v_mov_b32_e32 v7, v5
	v_pk_add_f32 v[2:3], v[2:3], v[6:7]
	v_pk_add_f32 v[2:3], v[30:31], v[2:3] neg_lo:[0,1] neg_hi:[0,1]
	buffer_store_dword v3, off, s[0:3], 0 offset:316
	buffer_store_dword v2, off, s[0:3], 0 offset:312
	s_and_saveexec_b64 s[4:5], vcc
	s_cbranch_execz .LBB56_279
; %bb.278:
	buffer_load_dword v2, off, s[0:3], 0 offset:304
	buffer_load_dword v3, off, s[0:3], 0 offset:308
	s_waitcnt vmcnt(0)
	ds_write_b64 v165, v[2:3]
	buffer_store_dword v1, off, s[0:3], 0 offset:304
	buffer_store_dword v1, off, s[0:3], 0 offset:308
.LBB56_279:
	s_or_b64 exec, exec, s[4:5]
	s_waitcnt lgkmcnt(0)
	; wave barrier
	s_waitcnt lgkmcnt(0)
	buffer_load_dword v44, off, s[0:3], 0 offset:316
	buffer_load_dword v46, off, s[0:3], 0 offset:324
	buffer_load_dword v48, off, s[0:3], 0 offset:332
	buffer_load_dword v49, off, s[0:3], 0 offset:340
	buffer_load_dword v50, off, s[0:3], 0 offset:348
	buffer_load_dword v51, off, s[0:3], 0 offset:356
	buffer_load_dword v52, off, s[0:3], 0 offset:364
	buffer_load_dword v53, off, s[0:3], 0 offset:372
	buffer_load_dword v54, off, s[0:3], 0 offset:380
	buffer_load_dword v55, off, s[0:3], 0 offset:388
	buffer_load_dword v56, off, s[0:3], 0 offset:312
	buffer_load_dword v57, off, s[0:3], 0 offset:320
	buffer_load_dword v58, off, s[0:3], 0 offset:328
	buffer_load_dword v59, off, s[0:3], 0 offset:336
	buffer_load_dword v60, off, s[0:3], 0 offset:344
	buffer_load_dword v61, off, s[0:3], 0 offset:352
	buffer_load_dword v62, off, s[0:3], 0 offset:360
	buffer_load_dword v63, off, s[0:3], 0 offset:368
	buffer_load_dword v64, off, s[0:3], 0 offset:376
	buffer_load_dword v65, off, s[0:3], 0 offset:384
	buffer_load_dword v26, off, s[0:3], 0 offset:304
	buffer_load_dword v27, off, s[0:3], 0 offset:308
	ds_read2_b64 v[2:5], v1 offset0:97 offset1:98
	ds_read2_b64 v[6:9], v1 offset0:99 offset1:100
	buffer_load_dword v29, off, s[0:3], 0 offset:396
	buffer_load_dword v28, off, s[0:3], 0 offset:392
	;; [unrolled: 1-line block ×10, first 2 shown]
	ds_read2_b64 v[10:13], v1 offset0:101 offset1:102
	ds_read2_b64 v[14:17], v1 offset0:103 offset1:104
	ds_read2_b64 v[18:21], v1 offset0:105 offset1:106
	ds_read2_b64 v[22:25], v1 offset0:107 offset1:108
	buffer_load_dword v39, off, s[0:3], 0 offset:452
	buffer_load_dword v38, off, s[0:3], 0 offset:448
	;; [unrolled: 1-line block ×6, first 2 shown]
	v_cmp_lt_u32_e32 vcc, 37, v0
	s_waitcnt vmcnt(37) lgkmcnt(5)
	v_mul_f32_e32 v66, v2, v44
	s_waitcnt vmcnt(36)
	v_mul_f32_e32 v67, v4, v46
	s_waitcnt vmcnt(35) lgkmcnt(4)
	v_mul_f32_e32 v68, v6, v48
	v_mul_f32_e32 v44, v3, v44
	;; [unrolled: 1-line block ×4, first 2 shown]
	s_waitcnt vmcnt(34)
	v_mul_f32_e32 v69, v8, v49
	s_waitcnt vmcnt(33) lgkmcnt(3)
	v_mul_f32_e32 v70, v10, v50
	s_waitcnt vmcnt(32)
	v_mul_f32_e32 v71, v12, v51
	s_waitcnt vmcnt(31) lgkmcnt(2)
	v_mul_f32_e32 v72, v14, v52
	s_waitcnt vmcnt(27)
	v_fmac_f32_e32 v66, v3, v56
	s_waitcnt vmcnt(26)
	v_fmac_f32_e32 v67, v5, v57
	;; [unrolled: 2-line block ×3, first 2 shown]
	v_fma_f32 v2, v2, v56, -v44
	v_add_f32_e32 v7, 0, v66
	v_fma_f32 v3, v4, v57, -v46
	v_add_f32_e32 v2, 0, v2
	v_add_f32_e32 v7, v7, v67
	s_waitcnt vmcnt(24)
	v_fmac_f32_e32 v69, v9, v59
	v_add_f32_e32 v2, v2, v3
	v_add_f32_e32 v3, v7, v68
	s_waitcnt vmcnt(23)
	v_fmac_f32_e32 v70, v11, v60
	v_add_f32_e32 v3, v3, v69
	v_mul_f32_e32 v49, v9, v49
	s_waitcnt vmcnt(22)
	v_fmac_f32_e32 v71, v13, v61
	v_fma_f32 v4, v6, v58, -v48
	v_add_f32_e32 v3, v3, v70
	v_mul_f32_e32 v73, v16, v53
	v_mul_f32_e32 v50, v11, v50
	s_waitcnt vmcnt(21)
	v_fmac_f32_e32 v72, v15, v62
	v_fma_f32 v5, v8, v59, -v49
	v_add_f32_e32 v2, v2, v4
	v_add_f32_e32 v3, v3, v71
	v_mul_f32_e32 v51, v13, v51
	s_waitcnt vmcnt(20)
	v_fmac_f32_e32 v73, v17, v63
	v_fma_f32 v6, v10, v60, -v50
	v_add_f32_e32 v2, v2, v5
	v_add_f32_e32 v3, v3, v72
	;; [unrolled: 1-line block ×4, first 2 shown]
	v_fma_f32 v3, v12, v61, -v51
	v_add_f32_e32 v2, v2, v3
	v_mul_f32_e32 v3, v15, v52
	v_fma_f32 v3, v14, v62, -v3
	v_add_f32_e32 v2, v2, v3
	v_mul_f32_e32 v3, v17, v53
	v_fma_f32 v3, v16, v63, -v3
	s_waitcnt vmcnt(15)
	v_mov_b32_e32 v16, v29
	s_waitcnt lgkmcnt(1)
	v_mul_f32_e32 v45, v18, v54
	v_add_f32_e32 v48, v2, v3
	v_mul_f32_e32 v2, v19, v54
	s_waitcnt lgkmcnt(0)
	v_pk_mul_f32 v[16:17], v[22:23], v[16:17] op_sel_hi:[1,0]
	v_mul_f32_e32 v47, v20, v55
	v_fmac_f32_e32 v45, v19, v64
	v_fma_f32 v44, v18, v64, -v2
	v_mul_f32_e32 v2, v21, v55
	s_waitcnt vmcnt(14)
	v_pk_fma_f32 v[18:19], v[22:23], v[28:29], v[16:17] op_sel:[0,0,1] op_sel_hi:[1,1,0] neg_lo:[0,0,1] neg_hi:[0,0,1]
	v_pk_fma_f32 v[16:17], v[22:23], v[28:29], v[16:17] op_sel:[0,0,1] op_sel_hi:[1,0,0]
	v_fmac_f32_e32 v47, v21, v65
	v_fma_f32 v46, v20, v65, -v2
	v_pk_add_f32 v[14:15], v[48:49], v[44:45]
	s_waitcnt vmcnt(13)
	v_mov_b32_e32 v16, v31
	ds_read2_b64 v[2:5], v1 offset0:109 offset1:110
	ds_read2_b64 v[6:9], v1 offset0:111 offset1:112
	;; [unrolled: 1-line block ×3, first 2 shown]
	v_pk_add_f32 v[14:15], v[14:15], v[46:47]
	v_mov_b32_e32 v19, v17
	v_pk_mul_f32 v[16:17], v[24:25], v[16:17] op_sel_hi:[1,0]
	v_pk_add_f32 v[14:15], v[14:15], v[18:19]
	s_waitcnt vmcnt(6)
	v_pk_fma_f32 v[18:19], v[24:25], v[30:31], v[16:17] op_sel:[0,0,1] op_sel_hi:[1,1,0] neg_lo:[0,0,1] neg_hi:[0,0,1]
	v_pk_fma_f32 v[16:17], v[24:25], v[30:31], v[16:17] op_sel:[0,0,1] op_sel_hi:[1,0,0]
	v_mov_b32_e32 v16, v37
	v_mov_b32_e32 v19, v17
	s_waitcnt lgkmcnt(2)
	v_pk_mul_f32 v[16:17], v[2:3], v[16:17] op_sel_hi:[1,0]
	v_pk_add_f32 v[14:15], v[14:15], v[18:19]
	v_pk_fma_f32 v[18:19], v[2:3], v[36:37], v[16:17] op_sel:[0,0,1] op_sel_hi:[1,1,0] neg_lo:[0,0,1] neg_hi:[0,0,1]
	v_pk_fma_f32 v[2:3], v[2:3], v[36:37], v[16:17] op_sel:[0,0,1] op_sel_hi:[1,0,0]
	v_mov_b32_e32 v19, v3
	v_pk_add_f32 v[2:3], v[14:15], v[18:19]
	v_mov_b32_e32 v14, v35
	v_pk_mul_f32 v[14:15], v[4:5], v[14:15] op_sel_hi:[1,0]
	v_pk_fma_f32 v[16:17], v[4:5], v[34:35], v[14:15] op_sel:[0,0,1] op_sel_hi:[1,1,0] neg_lo:[0,0,1] neg_hi:[0,0,1]
	v_pk_fma_f32 v[4:5], v[4:5], v[34:35], v[14:15] op_sel:[0,0,1] op_sel_hi:[1,0,0]
	v_mov_b32_e32 v4, v33
	v_mov_b32_e32 v17, v5
	s_waitcnt lgkmcnt(1)
	v_pk_mul_f32 v[4:5], v[6:7], v[4:5] op_sel_hi:[1,0]
	v_pk_fma_f32 v[14:15], v[6:7], v[32:33], v[4:5] op_sel:[0,0,1] op_sel_hi:[1,1,0] neg_lo:[0,0,1] neg_hi:[0,0,1]
	v_pk_fma_f32 v[4:5], v[6:7], v[32:33], v[4:5] op_sel:[0,0,1] op_sel_hi:[1,0,0]
	s_waitcnt vmcnt(1)
	v_mov_b32_e32 v4, v43
	v_mov_b32_e32 v15, v5
	v_pk_mul_f32 v[4:5], v[8:9], v[4:5] op_sel_hi:[1,0]
	s_waitcnt vmcnt(0)
	v_pk_fma_f32 v[6:7], v[8:9], v[42:43], v[4:5] op_sel:[0,0,1] op_sel_hi:[1,1,0] neg_lo:[0,0,1] neg_hi:[0,0,1]
	v_pk_fma_f32 v[4:5], v[8:9], v[42:43], v[4:5] op_sel:[0,0,1] op_sel_hi:[1,0,0]
	v_pk_add_f32 v[2:3], v[2:3], v[16:17]
	v_mov_b32_e32 v4, v41
	v_pk_add_f32 v[2:3], v[2:3], v[14:15]
	v_mov_b32_e32 v7, v5
	s_waitcnt lgkmcnt(0)
	v_pk_mul_f32 v[4:5], v[10:11], v[4:5] op_sel_hi:[1,0]
	v_pk_add_f32 v[2:3], v[2:3], v[6:7]
	v_pk_fma_f32 v[6:7], v[10:11], v[40:41], v[4:5] op_sel:[0,0,1] op_sel_hi:[1,1,0] neg_lo:[0,0,1] neg_hi:[0,0,1]
	v_pk_fma_f32 v[4:5], v[10:11], v[40:41], v[4:5] op_sel:[0,0,1] op_sel_hi:[1,0,0]
	v_mov_b32_e32 v4, v39
	v_mov_b32_e32 v7, v5
	v_pk_mul_f32 v[4:5], v[12:13], v[4:5] op_sel_hi:[1,0]
	v_pk_add_f32 v[2:3], v[2:3], v[6:7]
	v_pk_fma_f32 v[6:7], v[12:13], v[38:39], v[4:5] op_sel:[0,0,1] op_sel_hi:[1,1,0] neg_lo:[0,0,1] neg_hi:[0,0,1]
	v_pk_fma_f32 v[4:5], v[12:13], v[38:39], v[4:5] op_sel:[0,0,1] op_sel_hi:[1,0,0]
	v_mov_b32_e32 v7, v5
	v_pk_add_f32 v[2:3], v[2:3], v[6:7]
	v_pk_add_f32 v[2:3], v[26:27], v[2:3] neg_lo:[0,1] neg_hi:[0,1]
	buffer_store_dword v3, off, s[0:3], 0 offset:308
	buffer_store_dword v2, off, s[0:3], 0 offset:304
	s_and_saveexec_b64 s[4:5], vcc
	s_cbranch_execz .LBB56_281
; %bb.280:
	buffer_load_dword v2, off, s[0:3], 0 offset:296
	buffer_load_dword v3, off, s[0:3], 0 offset:300
	v_mov_b32_e32 v1, 0
	buffer_store_dword v1, off, s[0:3], 0 offset:296
	buffer_store_dword v1, off, s[0:3], 0 offset:300
	s_waitcnt vmcnt(2)
	ds_write_b64 v165, v[2:3]
.LBB56_281:
	s_or_b64 exec, exec, s[4:5]
	s_waitcnt lgkmcnt(0)
	; wave barrier
	s_waitcnt lgkmcnt(0)
	buffer_load_dword v44, off, s[0:3], 0 offset:308
	buffer_load_dword v46, off, s[0:3], 0 offset:316
	;; [unrolled: 1-line block ×40, first 2 shown]
	v_mov_b32_e32 v1, 0
	ds_read_b128 v[2:5], v1 offset:768
	ds_read_b128 v[6:9], v1 offset:784
	;; [unrolled: 1-line block ×6, first 2 shown]
	v_cmp_lt_u32_e32 vcc, 36, v0
	s_waitcnt vmcnt(39) lgkmcnt(5)
	v_mul_f32_e32 v68, v2, v44
	s_waitcnt vmcnt(38)
	v_mul_f32_e32 v69, v4, v46
	s_waitcnt vmcnt(37) lgkmcnt(4)
	v_mul_f32_e32 v70, v6, v48
	v_mul_f32_e32 v44, v3, v44
	;; [unrolled: 1-line block ×4, first 2 shown]
	s_waitcnt vmcnt(36)
	v_mul_f32_e32 v71, v8, v49
	s_waitcnt vmcnt(35) lgkmcnt(3)
	v_mul_f32_e32 v72, v10, v50
	s_waitcnt vmcnt(34)
	v_mul_f32_e32 v73, v12, v51
	s_waitcnt vmcnt(33) lgkmcnt(2)
	v_mul_f32_e32 v74, v14, v52
	s_waitcnt vmcnt(32)
	v_mul_f32_e32 v75, v16, v53
	s_waitcnt vmcnt(28)
	v_fmac_f32_e32 v68, v3, v57
	s_waitcnt vmcnt(27)
	v_fmac_f32_e32 v69, v5, v58
	v_fma_f32 v2, v2, v57, -v44
	v_fma_f32 v3, v4, v58, -v46
	s_waitcnt vmcnt(26)
	v_fma_f32 v4, v6, v59, -v48
	v_add_f32_e32 v6, 0, v68
	v_fmac_f32_e32 v70, v7, v59
	v_add_f32_e32 v2, 0, v2
	v_add_f32_e32 v6, v6, v69
	s_waitcnt vmcnt(25)
	v_fmac_f32_e32 v71, v9, v60
	v_add_f32_e32 v2, v2, v3
	v_add_f32_e32 v3, v6, v70
	s_waitcnt vmcnt(24)
	v_fmac_f32_e32 v72, v11, v61
	v_add_f32_e32 v3, v3, v71
	s_waitcnt vmcnt(23)
	v_fmac_f32_e32 v73, v13, v62
	;; [unrolled: 3-line block ×3, first 2 shown]
	v_add_f32_e32 v3, v3, v73
	s_waitcnt lgkmcnt(1)
	v_mul_f32_e32 v76, v18, v54
	s_waitcnt vmcnt(21)
	v_fmac_f32_e32 v75, v17, v64
	v_add_f32_e32 v3, v3, v74
	v_mul_f32_e32 v49, v9, v49
	s_waitcnt vmcnt(20)
	v_fmac_f32_e32 v76, v19, v65
	v_add_f32_e32 v3, v3, v75
	v_fma_f32 v5, v8, v60, -v49
	v_add_f32_e32 v2, v2, v4
	v_add_f32_e32 v49, v3, v76
	v_mul_f32_e32 v3, v11, v50
	v_add_f32_e32 v2, v2, v5
	v_fma_f32 v3, v10, v61, -v3
	v_add_f32_e32 v2, v2, v3
	v_mul_f32_e32 v3, v13, v51
	v_fma_f32 v3, v12, v62, -v3
	v_add_f32_e32 v2, v2, v3
	v_mul_f32_e32 v3, v15, v52
	;; [unrolled: 3-line block ×5, first 2 shown]
	s_waitcnt vmcnt(9)
	v_mov_b32_e32 v18, v35
	v_mul_f32_e32 v45, v20, v55
	v_fma_f32 v44, v20, v66, -v2
	s_waitcnt lgkmcnt(0)
	v_mul_f32_e32 v2, v23, v56
	v_pk_mul_f32 v[18:19], v[24:25], v[18:19] op_sel_hi:[1,0]
	v_mul_f32_e32 v47, v22, v56
	v_fmac_f32_e32 v45, v21, v66
	v_fma_f32 v46, v22, v67, -v2
	ds_read_b128 v[2:5], v1 offset:864
	ds_read_b128 v[6:9], v1 offset:880
	;; [unrolled: 1-line block ×3, first 2 shown]
	ds_read_b64 v[14:15], v1 offset:912
	s_waitcnt vmcnt(8)
	v_pk_fma_f32 v[20:21], v[24:25], v[34:35], v[18:19] op_sel:[0,0,1] op_sel_hi:[1,1,0] neg_lo:[0,0,1] neg_hi:[0,0,1]
	v_pk_fma_f32 v[18:19], v[24:25], v[34:35], v[18:19] op_sel:[0,0,1] op_sel_hi:[1,0,0]
	v_fmac_f32_e32 v47, v23, v67
	v_pk_add_f32 v[16:17], v[48:49], v[44:45]
	v_mov_b32_e32 v18, v33
	v_pk_add_f32 v[16:17], v[16:17], v[46:47]
	v_mov_b32_e32 v21, v19
	s_waitcnt lgkmcnt(3)
	v_pk_mul_f32 v[18:19], v[2:3], v[18:19] op_sel_hi:[1,0]
	v_pk_add_f32 v[16:17], v[16:17], v[20:21]
	v_pk_fma_f32 v[20:21], v[2:3], v[32:33], v[18:19] op_sel:[0,0,1] op_sel_hi:[1,1,0] neg_lo:[0,0,1] neg_hi:[0,0,1]
	v_pk_fma_f32 v[2:3], v[2:3], v[32:33], v[18:19] op_sel:[0,0,1] op_sel_hi:[1,0,0]
	v_mov_b32_e32 v21, v3
	v_pk_add_f32 v[2:3], v[16:17], v[20:21]
	v_mov_b32_e32 v16, v31
	v_pk_mul_f32 v[16:17], v[4:5], v[16:17] op_sel_hi:[1,0]
	v_pk_fma_f32 v[18:19], v[4:5], v[30:31], v[16:17] op_sel:[0,0,1] op_sel_hi:[1,1,0] neg_lo:[0,0,1] neg_hi:[0,0,1]
	v_pk_fma_f32 v[4:5], v[4:5], v[30:31], v[16:17] op_sel:[0,0,1] op_sel_hi:[1,0,0]
	v_mov_b32_e32 v4, v29
	v_mov_b32_e32 v19, v5
	s_waitcnt lgkmcnt(2)
	v_pk_mul_f32 v[4:5], v[6:7], v[4:5] op_sel_hi:[1,0]
	v_pk_fma_f32 v[16:17], v[6:7], v[28:29], v[4:5] op_sel:[0,0,1] op_sel_hi:[1,1,0] neg_lo:[0,0,1] neg_hi:[0,0,1]
	v_pk_fma_f32 v[4:5], v[6:7], v[28:29], v[4:5] op_sel:[0,0,1] op_sel_hi:[1,0,0]
	s_waitcnt vmcnt(1)
	v_mov_b32_e32 v4, v43
	v_mov_b32_e32 v17, v5
	v_pk_mul_f32 v[4:5], v[8:9], v[4:5] op_sel_hi:[1,0]
	s_waitcnt vmcnt(0)
	v_pk_fma_f32 v[6:7], v[8:9], v[42:43], v[4:5] op_sel:[0,0,1] op_sel_hi:[1,1,0] neg_lo:[0,0,1] neg_hi:[0,0,1]
	v_pk_fma_f32 v[4:5], v[8:9], v[42:43], v[4:5] op_sel:[0,0,1] op_sel_hi:[1,0,0]
	v_pk_add_f32 v[2:3], v[2:3], v[18:19]
	v_mov_b32_e32 v4, v41
	v_pk_add_f32 v[2:3], v[2:3], v[16:17]
	v_mov_b32_e32 v7, v5
	s_waitcnt lgkmcnt(1)
	v_pk_mul_f32 v[4:5], v[10:11], v[4:5] op_sel_hi:[1,0]
	v_pk_add_f32 v[2:3], v[2:3], v[6:7]
	v_pk_fma_f32 v[6:7], v[10:11], v[40:41], v[4:5] op_sel:[0,0,1] op_sel_hi:[1,1,0] neg_lo:[0,0,1] neg_hi:[0,0,1]
	v_pk_fma_f32 v[4:5], v[10:11], v[40:41], v[4:5] op_sel:[0,0,1] op_sel_hi:[1,0,0]
	v_mov_b32_e32 v4, v39
	v_mov_b32_e32 v7, v5
	v_pk_mul_f32 v[4:5], v[12:13], v[4:5] op_sel_hi:[1,0]
	v_pk_add_f32 v[2:3], v[2:3], v[6:7]
	v_pk_fma_f32 v[6:7], v[12:13], v[38:39], v[4:5] op_sel:[0,0,1] op_sel_hi:[1,1,0] neg_lo:[0,0,1] neg_hi:[0,0,1]
	v_pk_fma_f32 v[4:5], v[12:13], v[38:39], v[4:5] op_sel:[0,0,1] op_sel_hi:[1,0,0]
	v_mov_b32_e32 v4, v37
	v_mov_b32_e32 v7, v5
	s_waitcnt lgkmcnt(0)
	v_pk_mul_f32 v[4:5], v[14:15], v[4:5] op_sel_hi:[1,0]
	v_pk_add_f32 v[2:3], v[2:3], v[6:7]
	v_pk_fma_f32 v[6:7], v[14:15], v[36:37], v[4:5] op_sel:[0,0,1] op_sel_hi:[1,1,0] neg_lo:[0,0,1] neg_hi:[0,0,1]
	v_pk_fma_f32 v[4:5], v[14:15], v[36:37], v[4:5] op_sel:[0,0,1] op_sel_hi:[1,0,0]
	v_mov_b32_e32 v7, v5
	v_pk_add_f32 v[2:3], v[2:3], v[6:7]
	v_pk_add_f32 v[2:3], v[26:27], v[2:3] neg_lo:[0,1] neg_hi:[0,1]
	buffer_store_dword v3, off, s[0:3], 0 offset:300
	buffer_store_dword v2, off, s[0:3], 0 offset:296
	s_and_saveexec_b64 s[4:5], vcc
	s_cbranch_execz .LBB56_283
; %bb.282:
	buffer_load_dword v2, off, s[0:3], 0 offset:288
	buffer_load_dword v3, off, s[0:3], 0 offset:292
	s_waitcnt vmcnt(0)
	ds_write_b64 v165, v[2:3]
	buffer_store_dword v1, off, s[0:3], 0 offset:288
	buffer_store_dword v1, off, s[0:3], 0 offset:292
.LBB56_283:
	s_or_b64 exec, exec, s[4:5]
	s_waitcnt lgkmcnt(0)
	; wave barrier
	s_waitcnt lgkmcnt(0)
	buffer_load_dword v44, off, s[0:3], 0 offset:300
	buffer_load_dword v46, off, s[0:3], 0 offset:308
	;; [unrolled: 1-line block ×26, first 2 shown]
	ds_read2_b64 v[2:5], v1 offset0:95 offset1:96
	ds_read2_b64 v[6:9], v1 offset0:97 offset1:98
	;; [unrolled: 1-line block ×6, first 2 shown]
	buffer_load_dword v29, off, s[0:3], 0 offset:412
	buffer_load_dword v28, off, s[0:3], 0 offset:408
	;; [unrolled: 1-line block ×16, first 2 shown]
	v_cmp_lt_u32_e32 vcc, 35, v0
	s_waitcnt vmcnt(41) lgkmcnt(5)
	v_mul_f32_e32 v70, v2, v44
	s_waitcnt vmcnt(40)
	v_mul_f32_e32 v71, v4, v46
	v_mul_f32_e32 v44, v3, v44
	s_waitcnt vmcnt(39) lgkmcnt(4)
	v_mul_f32_e32 v72, v6, v48
	v_mul_f32_e32 v46, v5, v46
	s_waitcnt vmcnt(38)
	v_mul_f32_e32 v73, v8, v50
	s_waitcnt vmcnt(37) lgkmcnt(3)
	v_mul_f32_e32 v74, v10, v51
	s_waitcnt vmcnt(36)
	v_mul_f32_e32 v75, v12, v52
	s_waitcnt vmcnt(35) lgkmcnt(2)
	;; [unrolled: 4-line block ×3, first 2 shown]
	v_mul_f32_e32 v78, v18, v55
	s_waitcnt vmcnt(32)
	v_mul_f32_e32 v79, v20, v56
	s_waitcnt vmcnt(29)
	v_fmac_f32_e32 v70, v3, v49
	s_waitcnt vmcnt(28)
	v_fmac_f32_e32 v71, v5, v59
	v_fma_f32 v2, v2, v49, -v44
	v_add_f32_e32 v5, 0, v70
	s_waitcnt vmcnt(27)
	v_fmac_f32_e32 v72, v7, v60
	v_fma_f32 v3, v4, v59, -v46
	v_add_f32_e32 v2, 0, v2
	v_add_f32_e32 v5, v5, v71
	s_waitcnt vmcnt(26)
	v_fmac_f32_e32 v73, v9, v61
	v_add_f32_e32 v2, v2, v3
	v_add_f32_e32 v3, v5, v72
	s_waitcnt vmcnt(25)
	v_fmac_f32_e32 v74, v11, v62
	v_add_f32_e32 v3, v3, v73
	s_waitcnt vmcnt(24)
	v_fmac_f32_e32 v75, v13, v63
	;; [unrolled: 3-line block ×5, first 2 shown]
	v_add_f32_e32 v3, v3, v77
	v_mul_f32_e32 v48, v7, v48
	s_waitcnt vmcnt(20)
	v_fmac_f32_e32 v79, v21, v67
	v_add_f32_e32 v3, v3, v78
	v_fma_f32 v4, v6, v60, -v48
	v_add_f32_e32 v49, v3, v79
	v_mul_f32_e32 v3, v9, v50
	v_add_f32_e32 v2, v2, v4
	v_fma_f32 v3, v8, v61, -v3
	v_add_f32_e32 v2, v2, v3
	v_mul_f32_e32 v3, v11, v51
	v_fma_f32 v3, v10, v62, -v3
	v_add_f32_e32 v2, v2, v3
	v_mul_f32_e32 v3, v13, v52
	v_fma_f32 v3, v12, v63, -v3
	v_add_f32_e32 v2, v2, v3
	v_mul_f32_e32 v3, v15, v53
	v_fma_f32 v3, v14, v64, -v3
	v_add_f32_e32 v2, v2, v3
	v_mul_f32_e32 v3, v17, v54
	v_fma_f32 v3, v16, v65, -v3
	v_add_f32_e32 v2, v2, v3
	v_mul_f32_e32 v3, v19, v55
	v_fma_f32 v3, v18, v66, -v3
	v_add_f32_e32 v2, v2, v3
	v_mul_f32_e32 v3, v21, v56
	v_fma_f32 v3, v20, v67, -v3
	v_add_f32_e32 v48, v2, v3
	s_waitcnt lgkmcnt(0)
	v_mul_f32_e32 v2, v23, v57
	s_waitcnt vmcnt(19)
	v_fma_f32 v44, v22, v68, -v2
	v_mul_f32_e32 v2, v25, v58
	s_waitcnt vmcnt(18)
	v_fma_f32 v46, v24, v69, -v2
	ds_read2_b64 v[2:5], v1 offset0:107 offset1:108
	ds_read2_b64 v[6:9], v1 offset0:109 offset1:110
	;; [unrolled: 1-line block ×4, first 2 shown]
	v_mul_f32_e32 v45, v22, v57
	s_waitcnt vmcnt(11)
	v_mov_b32_e32 v20, v33
	v_mul_f32_e32 v47, v24, v58
	v_fmac_f32_e32 v45, v23, v68
	s_waitcnt lgkmcnt(3)
	v_pk_mul_f32 v[20:21], v[2:3], v[20:21] op_sel_hi:[1,0]
	v_fmac_f32_e32 v47, v25, v69
	v_pk_add_f32 v[18:19], v[48:49], v[44:45]
	s_waitcnt vmcnt(10)
	v_pk_fma_f32 v[22:23], v[2:3], v[32:33], v[20:21] op_sel:[0,0,1] op_sel_hi:[1,1,0] neg_lo:[0,0,1] neg_hi:[0,0,1]
	v_pk_fma_f32 v[2:3], v[2:3], v[32:33], v[20:21] op_sel:[0,0,1] op_sel_hi:[1,0,0]
	v_pk_add_f32 v[18:19], v[18:19], v[46:47]
	v_mov_b32_e32 v23, v3
	v_pk_add_f32 v[2:3], v[18:19], v[22:23]
	v_mov_b32_e32 v18, v31
	v_pk_mul_f32 v[18:19], v[4:5], v[18:19] op_sel_hi:[1,0]
	v_pk_fma_f32 v[20:21], v[4:5], v[30:31], v[18:19] op_sel:[0,0,1] op_sel_hi:[1,1,0] neg_lo:[0,0,1] neg_hi:[0,0,1]
	v_pk_fma_f32 v[4:5], v[4:5], v[30:31], v[18:19] op_sel:[0,0,1] op_sel_hi:[1,0,0]
	v_mov_b32_e32 v4, v29
	v_mov_b32_e32 v21, v5
	s_waitcnt lgkmcnt(2)
	v_pk_mul_f32 v[4:5], v[6:7], v[4:5] op_sel_hi:[1,0]
	v_pk_fma_f32 v[18:19], v[6:7], v[28:29], v[4:5] op_sel:[0,0,1] op_sel_hi:[1,1,0] neg_lo:[0,0,1] neg_hi:[0,0,1]
	v_pk_fma_f32 v[4:5], v[6:7], v[28:29], v[4:5] op_sel:[0,0,1] op_sel_hi:[1,0,0]
	s_waitcnt vmcnt(3)
	v_mov_b32_e32 v4, v41
	v_mov_b32_e32 v19, v5
	v_pk_mul_f32 v[4:5], v[8:9], v[4:5] op_sel_hi:[1,0]
	s_waitcnt vmcnt(2)
	v_pk_fma_f32 v[6:7], v[8:9], v[40:41], v[4:5] op_sel:[0,0,1] op_sel_hi:[1,1,0] neg_lo:[0,0,1] neg_hi:[0,0,1]
	v_pk_fma_f32 v[4:5], v[8:9], v[40:41], v[4:5] op_sel:[0,0,1] op_sel_hi:[1,0,0]
	v_pk_add_f32 v[2:3], v[2:3], v[20:21]
	v_mov_b32_e32 v4, v39
	v_pk_add_f32 v[2:3], v[2:3], v[18:19]
	v_mov_b32_e32 v7, v5
	s_waitcnt lgkmcnt(1)
	v_pk_mul_f32 v[4:5], v[10:11], v[4:5] op_sel_hi:[1,0]
	v_pk_add_f32 v[2:3], v[2:3], v[6:7]
	v_pk_fma_f32 v[6:7], v[10:11], v[38:39], v[4:5] op_sel:[0,0,1] op_sel_hi:[1,1,0] neg_lo:[0,0,1] neg_hi:[0,0,1]
	v_pk_fma_f32 v[4:5], v[10:11], v[38:39], v[4:5] op_sel:[0,0,1] op_sel_hi:[1,0,0]
	v_mov_b32_e32 v4, v37
	v_mov_b32_e32 v7, v5
	v_pk_mul_f32 v[4:5], v[12:13], v[4:5] op_sel_hi:[1,0]
	v_pk_add_f32 v[2:3], v[2:3], v[6:7]
	v_pk_fma_f32 v[6:7], v[12:13], v[36:37], v[4:5] op_sel:[0,0,1] op_sel_hi:[1,1,0] neg_lo:[0,0,1] neg_hi:[0,0,1]
	v_pk_fma_f32 v[4:5], v[12:13], v[36:37], v[4:5] op_sel:[0,0,1] op_sel_hi:[1,0,0]
	v_mov_b32_e32 v4, v35
	v_mov_b32_e32 v7, v5
	s_waitcnt lgkmcnt(0)
	v_pk_mul_f32 v[4:5], v[14:15], v[4:5] op_sel_hi:[1,0]
	v_pk_add_f32 v[2:3], v[2:3], v[6:7]
	v_pk_fma_f32 v[6:7], v[14:15], v[34:35], v[4:5] op_sel:[0,0,1] op_sel_hi:[1,1,0] neg_lo:[0,0,1] neg_hi:[0,0,1]
	v_pk_fma_f32 v[4:5], v[14:15], v[34:35], v[4:5] op_sel:[0,0,1] op_sel_hi:[1,0,0]
	s_waitcnt vmcnt(1)
	v_mov_b32_e32 v4, v43
	v_mov_b32_e32 v7, v5
	v_pk_mul_f32 v[4:5], v[16:17], v[4:5] op_sel_hi:[1,0]
	v_pk_add_f32 v[2:3], v[2:3], v[6:7]
	s_waitcnt vmcnt(0)
	v_pk_fma_f32 v[6:7], v[16:17], v[42:43], v[4:5] op_sel:[0,0,1] op_sel_hi:[1,1,0] neg_lo:[0,0,1] neg_hi:[0,0,1]
	v_pk_fma_f32 v[4:5], v[16:17], v[42:43], v[4:5] op_sel:[0,0,1] op_sel_hi:[1,0,0]
	v_mov_b32_e32 v7, v5
	v_pk_add_f32 v[2:3], v[2:3], v[6:7]
	v_pk_add_f32 v[2:3], v[26:27], v[2:3] neg_lo:[0,1] neg_hi:[0,1]
	buffer_store_dword v3, off, s[0:3], 0 offset:292
	buffer_store_dword v2, off, s[0:3], 0 offset:288
	s_and_saveexec_b64 s[4:5], vcc
	s_cbranch_execz .LBB56_285
; %bb.284:
	buffer_load_dword v2, off, s[0:3], 0 offset:280
	buffer_load_dword v3, off, s[0:3], 0 offset:284
	v_mov_b32_e32 v1, 0
	buffer_store_dword v1, off, s[0:3], 0 offset:280
	buffer_store_dword v1, off, s[0:3], 0 offset:284
	s_waitcnt vmcnt(2)
	ds_write_b64 v165, v[2:3]
.LBB56_285:
	s_or_b64 exec, exec, s[4:5]
	s_waitcnt lgkmcnt(0)
	; wave barrier
	s_waitcnt lgkmcnt(0)
	buffer_load_dword v52, off, s[0:3], 0 offset:292
	buffer_load_dword v54, off, s[0:3], 0 offset:300
	;; [unrolled: 1-line block ×44, first 2 shown]
	v_mov_b32_e32 v1, 0
	ds_read_b128 v[2:5], v1 offset:752
	ds_read_b128 v[6:9], v1 offset:768
	;; [unrolled: 1-line block ×8, first 2 shown]
	v_cmp_lt_u32_e32 vcc, 34, v0
	s_waitcnt vmcnt(43) lgkmcnt(7)
	v_mul_f32_e32 v57, v2, v52
	s_waitcnt vmcnt(42)
	v_mul_f32_e32 v81, v4, v54
	s_waitcnt vmcnt(41) lgkmcnt(6)
	v_mul_f32_e32 v82, v6, v56
	v_mul_f32_e32 v52, v3, v52
	s_waitcnt vmcnt(40)
	v_mul_f32_e32 v83, v8, v58
	s_waitcnt vmcnt(39) lgkmcnt(5)
	v_mul_f32_e32 v84, v10, v59
	s_waitcnt vmcnt(38)
	v_mul_f32_e32 v85, v12, v60
	s_waitcnt vmcnt(37) lgkmcnt(4)
	;; [unrolled: 4-line block ×4, first 2 shown]
	v_mul_f32_e32 v90, v22, v65
	s_waitcnt vmcnt(32)
	v_mul_f32_e32 v53, v24, v66
	s_waitcnt vmcnt(30)
	v_fmac_f32_e32 v57, v3, v68
	s_waitcnt vmcnt(29)
	v_fmac_f32_e32 v81, v5, v69
	v_add_f32_e32 v3, 0, v57
	s_waitcnt vmcnt(28)
	v_fmac_f32_e32 v82, v7, v70
	v_add_f32_e32 v3, v3, v81
	;; [unrolled: 3-line block ×10, first 2 shown]
	v_add_f32_e32 v57, v3, v90
	v_fma_f32 v2, v2, v68, -v52
	v_mul_f32_e32 v3, v5, v54
	v_add_f32_e32 v2, 0, v2
	v_fma_f32 v3, v4, v69, -v3
	v_add_f32_e32 v2, v2, v3
	v_mul_f32_e32 v3, v7, v56
	v_fma_f32 v3, v6, v70, -v3
	v_add_f32_e32 v2, v2, v3
	v_mul_f32_e32 v3, v9, v58
	;; [unrolled: 3-line block ×9, first 2 shown]
	v_fma_f32 v3, v22, v78, -v3
	s_waitcnt vmcnt(13)
	v_mov_b32_e32 v14, v39
	v_add_f32_e32 v56, v2, v3
	v_mul_f32_e32 v2, v25, v66
	s_waitcnt lgkmcnt(1)
	v_pk_mul_f32 v[14:15], v[28:29], v[14:15] op_sel_hi:[1,0]
	v_mul_f32_e32 v55, v26, v67
	v_fmac_f32_e32 v53, v25, v79
	v_fma_f32 v52, v24, v79, -v2
	v_mul_f32_e32 v2, v27, v67
	s_waitcnt vmcnt(12)
	v_pk_fma_f32 v[16:17], v[28:29], v[38:39], v[14:15] op_sel:[0,0,1] op_sel_hi:[1,1,0] neg_lo:[0,0,1] neg_hi:[0,0,1]
	v_pk_fma_f32 v[14:15], v[28:29], v[38:39], v[14:15] op_sel:[0,0,1] op_sel_hi:[1,0,0]
	v_fmac_f32_e32 v55, v27, v80
	v_fma_f32 v54, v26, v80, -v2
	v_pk_add_f32 v[12:13], v[56:57], v[52:53]
	v_mov_b32_e32 v14, v37
	v_pk_add_f32 v[12:13], v[12:13], v[54:55]
	v_mov_b32_e32 v17, v15
	s_waitcnt lgkmcnt(0)
	v_pk_mul_f32 v[14:15], v[30:31], v[14:15] op_sel_hi:[1,0]
	v_pk_add_f32 v[12:13], v[12:13], v[16:17]
	v_pk_fma_f32 v[16:17], v[30:31], v[36:37], v[14:15] op_sel:[0,0,1] op_sel_hi:[1,1,0] neg_lo:[0,0,1] neg_hi:[0,0,1]
	v_pk_fma_f32 v[14:15], v[30:31], v[36:37], v[14:15] op_sel:[0,0,1] op_sel_hi:[1,0,0]
	s_waitcnt vmcnt(5)
	v_mov_b32_e32 v14, v47
	ds_read_b128 v[2:5], v1 offset:880
	ds_read_b128 v[6:9], v1 offset:896
	ds_read_b64 v[10:11], v1 offset:912
	v_mov_b32_e32 v17, v15
	v_pk_mul_f32 v[14:15], v[32:33], v[14:15] op_sel_hi:[1,0]
	v_pk_add_f32 v[12:13], v[12:13], v[16:17]
	s_waitcnt vmcnt(4)
	v_pk_fma_f32 v[16:17], v[32:33], v[46:47], v[14:15] op_sel:[0,0,1] op_sel_hi:[1,1,0] neg_lo:[0,0,1] neg_hi:[0,0,1]
	v_pk_fma_f32 v[14:15], v[32:33], v[46:47], v[14:15] op_sel:[0,0,1] op_sel_hi:[1,0,0]
	v_mov_b32_e32 v14, v45
	v_mov_b32_e32 v17, v15
	s_waitcnt lgkmcnt(2)
	v_pk_mul_f32 v[14:15], v[2:3], v[14:15] op_sel_hi:[1,0]
	v_pk_add_f32 v[12:13], v[12:13], v[16:17]
	v_pk_fma_f32 v[16:17], v[2:3], v[44:45], v[14:15] op_sel:[0,0,1] op_sel_hi:[1,1,0] neg_lo:[0,0,1] neg_hi:[0,0,1]
	v_pk_fma_f32 v[2:3], v[2:3], v[44:45], v[14:15] op_sel:[0,0,1] op_sel_hi:[1,0,0]
	v_mov_b32_e32 v17, v3
	v_pk_add_f32 v[2:3], v[12:13], v[16:17]
	v_mov_b32_e32 v12, v43
	v_pk_mul_f32 v[12:13], v[4:5], v[12:13] op_sel_hi:[1,0]
	v_pk_fma_f32 v[14:15], v[4:5], v[42:43], v[12:13] op_sel:[0,0,1] op_sel_hi:[1,1,0] neg_lo:[0,0,1] neg_hi:[0,0,1]
	v_pk_fma_f32 v[4:5], v[4:5], v[42:43], v[12:13] op_sel:[0,0,1] op_sel_hi:[1,0,0]
	v_mov_b32_e32 v4, v41
	v_mov_b32_e32 v15, v5
	s_waitcnt lgkmcnt(1)
	v_pk_mul_f32 v[4:5], v[6:7], v[4:5] op_sel_hi:[1,0]
	v_pk_fma_f32 v[12:13], v[6:7], v[40:41], v[4:5] op_sel:[0,0,1] op_sel_hi:[1,1,0] neg_lo:[0,0,1] neg_hi:[0,0,1]
	v_pk_fma_f32 v[4:5], v[6:7], v[40:41], v[4:5] op_sel:[0,0,1] op_sel_hi:[1,0,0]
	s_waitcnt vmcnt(1)
	v_mov_b32_e32 v4, v51
	v_mov_b32_e32 v13, v5
	v_pk_mul_f32 v[4:5], v[8:9], v[4:5] op_sel_hi:[1,0]
	s_waitcnt vmcnt(0)
	v_pk_fma_f32 v[6:7], v[8:9], v[50:51], v[4:5] op_sel:[0,0,1] op_sel_hi:[1,1,0] neg_lo:[0,0,1] neg_hi:[0,0,1]
	v_pk_fma_f32 v[4:5], v[8:9], v[50:51], v[4:5] op_sel:[0,0,1] op_sel_hi:[1,0,0]
	v_pk_add_f32 v[2:3], v[2:3], v[14:15]
	v_mov_b32_e32 v4, v49
	v_pk_add_f32 v[2:3], v[2:3], v[12:13]
	v_mov_b32_e32 v7, v5
	s_waitcnt lgkmcnt(0)
	v_pk_mul_f32 v[4:5], v[10:11], v[4:5] op_sel_hi:[1,0]
	v_pk_add_f32 v[2:3], v[2:3], v[6:7]
	v_pk_fma_f32 v[6:7], v[10:11], v[48:49], v[4:5] op_sel:[0,0,1] op_sel_hi:[1,1,0] neg_lo:[0,0,1] neg_hi:[0,0,1]
	v_pk_fma_f32 v[4:5], v[10:11], v[48:49], v[4:5] op_sel:[0,0,1] op_sel_hi:[1,0,0]
	v_mov_b32_e32 v7, v5
	v_pk_add_f32 v[2:3], v[2:3], v[6:7]
	v_pk_add_f32 v[2:3], v[34:35], v[2:3] neg_lo:[0,1] neg_hi:[0,1]
	buffer_store_dword v3, off, s[0:3], 0 offset:284
	buffer_store_dword v2, off, s[0:3], 0 offset:280
	s_and_saveexec_b64 s[4:5], vcc
	s_cbranch_execz .LBB56_287
; %bb.286:
	buffer_load_dword v2, off, s[0:3], 0 offset:272
	buffer_load_dword v3, off, s[0:3], 0 offset:276
	s_waitcnt vmcnt(0)
	ds_write_b64 v165, v[2:3]
	buffer_store_dword v1, off, s[0:3], 0 offset:272
	buffer_store_dword v1, off, s[0:3], 0 offset:276
.LBB56_287:
	s_or_b64 exec, exec, s[4:5]
	s_waitcnt lgkmcnt(0)
	; wave barrier
	s_waitcnt lgkmcnt(0)
	buffer_load_dword v52, off, s[0:3], 0 offset:284
	buffer_load_dword v54, off, s[0:3], 0 offset:292
	;; [unrolled: 1-line block ×30, first 2 shown]
	ds_read2_b64 v[2:5], v1 offset0:93 offset1:94
	ds_read2_b64 v[6:9], v1 offset0:95 offset1:96
	;; [unrolled: 1-line block ×6, first 2 shown]
	buffer_load_dword v37, off, s[0:3], 0 offset:396
	buffer_load_dword v36, off, s[0:3], 0 offset:392
	ds_read2_b64 v[26:29], v1 offset0:105 offset1:106
	ds_read2_b64 v[30:33], v1 offset0:107 offset1:108
	buffer_load_dword v39, off, s[0:3], 0 offset:428
	buffer_load_dword v38, off, s[0:3], 0 offset:424
	;; [unrolled: 1-line block ×14, first 2 shown]
	v_cmp_lt_u32_e32 vcc, 33, v0
	s_waitcnt vmcnt(45) lgkmcnt(7)
	v_mul_f32_e32 v55, v2, v52
	s_waitcnt vmcnt(44)
	v_mul_f32_e32 v57, v4, v54
	s_waitcnt vmcnt(43) lgkmcnt(6)
	v_mul_f32_e32 v83, v6, v56
	s_waitcnt vmcnt(42)
	v_mul_f32_e32 v84, v8, v58
	;; [unrolled: 4-line block ×6, first 2 shown]
	s_waitcnt vmcnt(33) lgkmcnt(1)
	v_mul_f32_e32 v53, v26, v67
	s_waitcnt vmcnt(32)
	v_fmac_f32_e32 v55, v3, v68
	v_mul_f32_e32 v3, v3, v52
	v_fma_f32 v2, v2, v68, -v3
	v_mul_f32_e32 v3, v5, v54
	v_add_f32_e32 v2, 0, v2
	s_waitcnt vmcnt(31)
	v_fma_f32 v3, v4, v69, -v3
	v_add_f32_e32 v2, v2, v3
	v_mul_f32_e32 v3, v7, v56
	s_waitcnt vmcnt(30)
	v_fma_f32 v3, v6, v70, -v3
	v_add_f32_e32 v2, v2, v3
	v_mul_f32_e32 v3, v9, v58
	;; [unrolled: 4-line block ×5, first 2 shown]
	s_waitcnt vmcnt(26)
	v_fma_f32 v3, v14, v74, -v3
	v_fmac_f32_e32 v57, v5, v69
	v_add_f32_e32 v55, 0, v55
	v_add_f32_e32 v2, v2, v3
	v_mul_f32_e32 v3, v17, v62
	v_fmac_f32_e32 v83, v7, v70
	v_add_f32_e32 v55, v55, v57
	s_waitcnt vmcnt(25)
	v_fma_f32 v3, v16, v75, -v3
	v_fmac_f32_e32 v84, v9, v71
	v_add_f32_e32 v55, v55, v83
	v_add_f32_e32 v2, v2, v3
	v_mul_f32_e32 v3, v19, v63
	v_fmac_f32_e32 v85, v11, v72
	v_add_f32_e32 v55, v55, v84
	;; [unrolled: 8-line block ×5, first 2 shown]
	s_waitcnt vmcnt(21)
	v_fma_f32 v3, v24, v79, -v3
	s_waitcnt vmcnt(15)
	v_mov_b32_e32 v16, v37
	v_fmac_f32_e32 v92, v25, v79
	v_add_f32_e32 v55, v55, v91
	v_add_f32_e32 v54, v2, v3
	v_mul_f32_e32 v2, v27, v67
	s_waitcnt lgkmcnt(0)
	v_pk_mul_f32 v[16:17], v[30:31], v[16:17] op_sel_hi:[1,0]
	v_fmac_f32_e32 v53, v27, v80
	v_add_f32_e32 v55, v55, v92
	v_mul_f32_e32 v57, v28, v81
	v_fma_f32 v52, v26, v80, -v2
	v_mul_f32_e32 v2, v29, v81
	s_waitcnt vmcnt(14)
	v_pk_fma_f32 v[18:19], v[30:31], v[36:37], v[16:17] op_sel:[0,0,1] op_sel_hi:[1,1,0] neg_lo:[0,0,1] neg_hi:[0,0,1]
	v_pk_fma_f32 v[16:17], v[30:31], v[36:37], v[16:17] op_sel:[0,0,1] op_sel_hi:[1,0,0]
	v_fmac_f32_e32 v57, v29, v82
	v_fma_f32 v56, v28, v82, -v2
	v_pk_add_f32 v[14:15], v[54:55], v[52:53]
	s_waitcnt vmcnt(7)
	v_mov_b32_e32 v16, v45
	ds_read2_b64 v[2:5], v1 offset0:109 offset1:110
	ds_read2_b64 v[6:9], v1 offset0:111 offset1:112
	;; [unrolled: 1-line block ×3, first 2 shown]
	v_pk_add_f32 v[14:15], v[14:15], v[56:57]
	v_mov_b32_e32 v19, v17
	v_pk_mul_f32 v[16:17], v[32:33], v[16:17] op_sel_hi:[1,0]
	v_pk_add_f32 v[14:15], v[14:15], v[18:19]
	s_waitcnt vmcnt(6)
	v_pk_fma_f32 v[18:19], v[32:33], v[44:45], v[16:17] op_sel:[0,0,1] op_sel_hi:[1,1,0] neg_lo:[0,0,1] neg_hi:[0,0,1]
	v_pk_fma_f32 v[16:17], v[32:33], v[44:45], v[16:17] op_sel:[0,0,1] op_sel_hi:[1,0,0]
	v_mov_b32_e32 v16, v43
	v_mov_b32_e32 v19, v17
	s_waitcnt lgkmcnt(2)
	v_pk_mul_f32 v[16:17], v[2:3], v[16:17] op_sel_hi:[1,0]
	v_pk_add_f32 v[14:15], v[14:15], v[18:19]
	v_pk_fma_f32 v[18:19], v[2:3], v[42:43], v[16:17] op_sel:[0,0,1] op_sel_hi:[1,1,0] neg_lo:[0,0,1] neg_hi:[0,0,1]
	v_pk_fma_f32 v[2:3], v[2:3], v[42:43], v[16:17] op_sel:[0,0,1] op_sel_hi:[1,0,0]
	v_mov_b32_e32 v19, v3
	v_pk_add_f32 v[2:3], v[14:15], v[18:19]
	v_mov_b32_e32 v14, v41
	v_pk_mul_f32 v[14:15], v[4:5], v[14:15] op_sel_hi:[1,0]
	v_pk_fma_f32 v[16:17], v[4:5], v[40:41], v[14:15] op_sel:[0,0,1] op_sel_hi:[1,1,0] neg_lo:[0,0,1] neg_hi:[0,0,1]
	v_pk_fma_f32 v[4:5], v[4:5], v[40:41], v[14:15] op_sel:[0,0,1] op_sel_hi:[1,0,0]
	v_mov_b32_e32 v4, v39
	v_mov_b32_e32 v17, v5
	s_waitcnt lgkmcnt(1)
	v_pk_mul_f32 v[4:5], v[6:7], v[4:5] op_sel_hi:[1,0]
	v_pk_fma_f32 v[14:15], v[6:7], v[38:39], v[4:5] op_sel:[0,0,1] op_sel_hi:[1,1,0] neg_lo:[0,0,1] neg_hi:[0,0,1]
	v_pk_fma_f32 v[4:5], v[6:7], v[38:39], v[4:5] op_sel:[0,0,1] op_sel_hi:[1,0,0]
	s_waitcnt vmcnt(1)
	v_mov_b32_e32 v4, v51
	v_mov_b32_e32 v15, v5
	v_pk_mul_f32 v[4:5], v[8:9], v[4:5] op_sel_hi:[1,0]
	s_waitcnt vmcnt(0)
	v_pk_fma_f32 v[6:7], v[8:9], v[50:51], v[4:5] op_sel:[0,0,1] op_sel_hi:[1,1,0] neg_lo:[0,0,1] neg_hi:[0,0,1]
	v_pk_fma_f32 v[4:5], v[8:9], v[50:51], v[4:5] op_sel:[0,0,1] op_sel_hi:[1,0,0]
	v_pk_add_f32 v[2:3], v[2:3], v[16:17]
	v_mov_b32_e32 v4, v49
	v_pk_add_f32 v[2:3], v[2:3], v[14:15]
	v_mov_b32_e32 v7, v5
	s_waitcnt lgkmcnt(0)
	v_pk_mul_f32 v[4:5], v[10:11], v[4:5] op_sel_hi:[1,0]
	v_pk_add_f32 v[2:3], v[2:3], v[6:7]
	v_pk_fma_f32 v[6:7], v[10:11], v[48:49], v[4:5] op_sel:[0,0,1] op_sel_hi:[1,1,0] neg_lo:[0,0,1] neg_hi:[0,0,1]
	v_pk_fma_f32 v[4:5], v[10:11], v[48:49], v[4:5] op_sel:[0,0,1] op_sel_hi:[1,0,0]
	v_mov_b32_e32 v4, v47
	v_mov_b32_e32 v7, v5
	v_pk_mul_f32 v[4:5], v[12:13], v[4:5] op_sel_hi:[1,0]
	v_pk_add_f32 v[2:3], v[2:3], v[6:7]
	v_pk_fma_f32 v[6:7], v[12:13], v[46:47], v[4:5] op_sel:[0,0,1] op_sel_hi:[1,1,0] neg_lo:[0,0,1] neg_hi:[0,0,1]
	v_pk_fma_f32 v[4:5], v[12:13], v[46:47], v[4:5] op_sel:[0,0,1] op_sel_hi:[1,0,0]
	v_mov_b32_e32 v7, v5
	v_pk_add_f32 v[2:3], v[2:3], v[6:7]
	v_pk_add_f32 v[2:3], v[34:35], v[2:3] neg_lo:[0,1] neg_hi:[0,1]
	buffer_store_dword v3, off, s[0:3], 0 offset:276
	buffer_store_dword v2, off, s[0:3], 0 offset:272
	s_and_saveexec_b64 s[4:5], vcc
	s_cbranch_execz .LBB56_289
; %bb.288:
	buffer_load_dword v2, off, s[0:3], 0 offset:264
	buffer_load_dword v3, off, s[0:3], 0 offset:268
	v_mov_b32_e32 v1, 0
	buffer_store_dword v1, off, s[0:3], 0 offset:264
	buffer_store_dword v1, off, s[0:3], 0 offset:268
	s_waitcnt vmcnt(2)
	ds_write_b64 v165, v[2:3]
.LBB56_289:
	s_or_b64 exec, exec, s[4:5]
	s_waitcnt lgkmcnt(0)
	; wave barrier
	s_waitcnt lgkmcnt(0)
	buffer_load_dword v50, off, s[0:3], 0 offset:276
	buffer_load_dword v54, off, s[0:3], 0 offset:284
	;; [unrolled: 1-line block ×32, first 2 shown]
	v_mov_b32_e32 v1, 0
	buffer_load_dword v37, off, s[0:3], 0 offset:420
	buffer_load_dword v36, off, s[0:3], 0 offset:416
	;; [unrolled: 1-line block ×13, first 2 shown]
	ds_read_b128 v[2:5], v1 offset:736
	ds_read_b128 v[6:9], v1 offset:752
	;; [unrolled: 1-line block ×8, first 2 shown]
	v_cmp_lt_u32_e32 vcc, 32, v0
	s_waitcnt vmcnt(44) lgkmcnt(7)
	v_mul_f32_e32 v44, v2, v50
	s_waitcnt vmcnt(43)
	v_mul_f32_e32 v51, v4, v54
	s_waitcnt vmcnt(42) lgkmcnt(6)
	v_mul_f32_e32 v52, v6, v56
	s_waitcnt vmcnt(41)
	v_mul_f32_e32 v53, v8, v58
	;; [unrolled: 4-line block ×6, first 2 shown]
	s_waitcnt vmcnt(32) lgkmcnt(1)
	v_mul_f32_e32 v91, v26, v67
	s_waitcnt vmcnt(31)
	v_fmac_f32_e32 v44, v3, v68
	s_waitcnt vmcnt(30)
	v_fmac_f32_e32 v51, v5, v69
	v_add_f32_e32 v44, 0, v44
	s_waitcnt vmcnt(29)
	v_fmac_f32_e32 v52, v7, v70
	v_add_f32_e32 v44, v44, v51
	;; [unrolled: 3-line block ×12, first 2 shown]
	v_add_f32_e32 v51, v44, v91
	buffer_load_dword v53, off, s[0:3], 0 offset:436
	buffer_load_dword v52, off, s[0:3], 0 offset:432
	;; [unrolled: 1-line block ×3, first 2 shown]
	v_mul_f32_e32 v3, v3, v50
	v_fma_f32 v2, v2, v68, -v3
	v_mul_f32_e32 v3, v5, v54
	v_add_f32_e32 v2, 0, v2
	v_fma_f32 v3, v4, v69, -v3
	v_add_f32_e32 v2, v2, v3
	v_mul_f32_e32 v3, v7, v56
	v_fma_f32 v3, v6, v70, -v3
	v_add_f32_e32 v2, v2, v3
	v_mul_f32_e32 v3, v9, v58
	v_fma_f32 v3, v8, v71, -v3
	v_add_f32_e32 v2, v2, v3
	v_mul_f32_e32 v3, v11, v59
	v_fma_f32 v3, v10, v72, -v3
	v_add_f32_e32 v2, v2, v3
	v_mul_f32_e32 v3, v13, v60
	v_fma_f32 v3, v12, v73, -v3
	v_add_f32_e32 v2, v2, v3
	v_mul_f32_e32 v3, v15, v61
	v_fma_f32 v3, v14, v74, -v3
	v_add_f32_e32 v2, v2, v3
	v_mul_f32_e32 v3, v17, v62
	v_fma_f32 v3, v16, v75, -v3
	v_add_f32_e32 v2, v2, v3
	v_mul_f32_e32 v3, v19, v63
	v_fma_f32 v3, v18, v76, -v3
	v_add_f32_e32 v2, v2, v3
	v_mul_f32_e32 v3, v21, v64
	v_fma_f32 v3, v20, v77, -v3
	v_add_f32_e32 v2, v2, v3
	v_mul_f32_e32 v3, v23, v65
	v_fma_f32 v3, v22, v78, -v3
	v_add_f32_e32 v2, v2, v3
	v_mul_f32_e32 v3, v25, v66
	v_fma_f32 v3, v24, v79, -v3
	v_add_f32_e32 v2, v2, v3
	v_mul_f32_e32 v3, v27, v67
	v_fma_f32 v3, v26, v80, -v3
	v_add_f32_e32 v50, v2, v3
	s_waitcnt vmcnt(21)
	v_mul_f32_e32 v2, v29, v81
	s_waitcnt vmcnt(9)
	v_mov_b32_e32 v18, v43
	v_mul_f32_e32 v55, v28, v81
	v_fma_f32 v54, v28, v82, -v2
	s_waitcnt lgkmcnt(0)
	v_mul_f32_e32 v2, v31, v83
	v_pk_mul_f32 v[18:19], v[32:33], v[18:19] op_sel_hi:[1,0]
	v_fmac_f32_e32 v55, v29, v82
	v_mul_f32_e32 v57, v30, v83
	v_fma_f32 v56, v30, v84, -v2
	ds_read_b128 v[2:5], v1 offset:864
	ds_read_b128 v[6:9], v1 offset:880
	;; [unrolled: 1-line block ×3, first 2 shown]
	ds_read_b64 v[14:15], v1 offset:912
	s_waitcnt vmcnt(8)
	v_pk_fma_f32 v[20:21], v[32:33], v[42:43], v[18:19] op_sel:[0,0,1] op_sel_hi:[1,1,0] neg_lo:[0,0,1] neg_hi:[0,0,1]
	v_pk_fma_f32 v[18:19], v[32:33], v[42:43], v[18:19] op_sel:[0,0,1] op_sel_hi:[1,0,0]
	v_fmac_f32_e32 v57, v31, v84
	v_pk_add_f32 v[16:17], v[50:51], v[54:55]
	v_mov_b32_e32 v18, v41
	v_pk_add_f32 v[16:17], v[16:17], v[56:57]
	v_mov_b32_e32 v21, v19
	s_waitcnt lgkmcnt(3)
	v_pk_mul_f32 v[18:19], v[2:3], v[18:19] op_sel_hi:[1,0]
	v_pk_add_f32 v[16:17], v[16:17], v[20:21]
	v_pk_fma_f32 v[20:21], v[2:3], v[40:41], v[18:19] op_sel:[0,0,1] op_sel_hi:[1,1,0] neg_lo:[0,0,1] neg_hi:[0,0,1]
	v_pk_fma_f32 v[2:3], v[2:3], v[40:41], v[18:19] op_sel:[0,0,1] op_sel_hi:[1,0,0]
	v_mov_b32_e32 v21, v3
	v_pk_add_f32 v[2:3], v[16:17], v[20:21]
	v_mov_b32_e32 v16, v39
	v_pk_mul_f32 v[16:17], v[4:5], v[16:17] op_sel_hi:[1,0]
	v_pk_fma_f32 v[18:19], v[4:5], v[38:39], v[16:17] op_sel:[0,0,1] op_sel_hi:[1,1,0] neg_lo:[0,0,1] neg_hi:[0,0,1]
	v_pk_fma_f32 v[4:5], v[4:5], v[38:39], v[16:17] op_sel:[0,0,1] op_sel_hi:[1,0,0]
	v_mov_b32_e32 v4, v37
	v_mov_b32_e32 v19, v5
	s_waitcnt lgkmcnt(2)
	v_pk_mul_f32 v[4:5], v[6:7], v[4:5] op_sel_hi:[1,0]
	v_pk_fma_f32 v[16:17], v[6:7], v[36:37], v[4:5] op_sel:[0,0,1] op_sel_hi:[1,1,0] neg_lo:[0,0,1] neg_hi:[0,0,1]
	v_pk_fma_f32 v[4:5], v[6:7], v[36:37], v[4:5] op_sel:[0,0,1] op_sel_hi:[1,0,0]
	s_waitcnt vmcnt(7)
	v_mov_b32_e32 v4, v45
	v_mov_b32_e32 v17, v5
	v_pk_mul_f32 v[4:5], v[8:9], v[4:5] op_sel_hi:[1,0]
	v_pk_add_f32 v[2:3], v[2:3], v[18:19]
	v_pk_add_f32 v[2:3], v[2:3], v[16:17]
	s_waitcnt vmcnt(0)
	v_pk_fma_f32 v[6:7], v[8:9], v[44:45], v[4:5] op_sel:[0,0,1] op_sel_hi:[1,1,0] neg_lo:[0,0,1] neg_hi:[0,0,1]
	v_pk_fma_f32 v[4:5], v[8:9], v[44:45], v[4:5] op_sel:[0,0,1] op_sel_hi:[1,0,0]
	v_mov_b32_e32 v4, v53
	v_mov_b32_e32 v7, v5
	s_waitcnt lgkmcnt(1)
	v_pk_mul_f32 v[4:5], v[10:11], v[4:5] op_sel_hi:[1,0]
	v_pk_add_f32 v[2:3], v[2:3], v[6:7]
	v_pk_fma_f32 v[6:7], v[10:11], v[52:53], v[4:5] op_sel:[0,0,1] op_sel_hi:[1,1,0] neg_lo:[0,0,1] neg_hi:[0,0,1]
	v_pk_fma_f32 v[4:5], v[10:11], v[52:53], v[4:5] op_sel:[0,0,1] op_sel_hi:[1,0,0]
	v_mov_b32_e32 v4, v49
	v_mov_b32_e32 v7, v5
	v_pk_mul_f32 v[4:5], v[12:13], v[4:5] op_sel_hi:[1,0]
	v_pk_add_f32 v[2:3], v[2:3], v[6:7]
	v_pk_fma_f32 v[6:7], v[12:13], v[48:49], v[4:5] op_sel:[0,0,1] op_sel_hi:[1,1,0] neg_lo:[0,0,1] neg_hi:[0,0,1]
	v_pk_fma_f32 v[4:5], v[12:13], v[48:49], v[4:5] op_sel:[0,0,1] op_sel_hi:[1,0,0]
	v_mov_b32_e32 v4, v47
	v_mov_b32_e32 v7, v5
	s_waitcnt lgkmcnt(0)
	v_pk_mul_f32 v[4:5], v[14:15], v[4:5] op_sel_hi:[1,0]
	v_pk_add_f32 v[2:3], v[2:3], v[6:7]
	v_pk_fma_f32 v[6:7], v[14:15], v[46:47], v[4:5] op_sel:[0,0,1] op_sel_hi:[1,1,0] neg_lo:[0,0,1] neg_hi:[0,0,1]
	v_pk_fma_f32 v[4:5], v[14:15], v[46:47], v[4:5] op_sel:[0,0,1] op_sel_hi:[1,0,0]
	v_mov_b32_e32 v7, v5
	v_pk_add_f32 v[2:3], v[2:3], v[6:7]
	v_pk_add_f32 v[2:3], v[34:35], v[2:3] neg_lo:[0,1] neg_hi:[0,1]
	buffer_store_dword v3, off, s[0:3], 0 offset:268
	buffer_store_dword v2, off, s[0:3], 0 offset:264
	s_and_saveexec_b64 s[4:5], vcc
	s_cbranch_execz .LBB56_291
; %bb.290:
	buffer_load_dword v2, off, s[0:3], 0 offset:256
	buffer_load_dword v3, off, s[0:3], 0 offset:260
	s_waitcnt vmcnt(0)
	ds_write_b64 v165, v[2:3]
	buffer_store_dword v1, off, s[0:3], 0 offset:256
	buffer_store_dword v1, off, s[0:3], 0 offset:260
.LBB56_291:
	s_or_b64 exec, exec, s[4:5]
	s_waitcnt lgkmcnt(0)
	; wave barrier
	s_waitcnt lgkmcnt(0)
	buffer_load_dword v50, off, s[0:3], 0 offset:268
	buffer_load_dword v52, off, s[0:3], 0 offset:276
	;; [unrolled: 1-line block ×34, first 2 shown]
	ds_read2_b64 v[2:5], v1 offset0:91 offset1:92
	ds_read2_b64 v[6:9], v1 offset0:93 offset1:94
	;; [unrolled: 1-line block ×8, first 2 shown]
	buffer_load_dword v37, off, s[0:3], 0 offset:412
	buffer_load_dword v36, off, s[0:3], 0 offset:408
	;; [unrolled: 1-line block ×9, first 2 shown]
	v_cmp_lt_u32_e32 vcc, 31, v0
	s_waitcnt vmcnt(42) lgkmcnt(7)
	v_mul_f32_e32 v42, v2, v50
	s_waitcnt vmcnt(41)
	v_mul_f32_e32 v46, v4, v52
	s_waitcnt vmcnt(40) lgkmcnt(6)
	v_mul_f32_e32 v47, v6, v54
	s_waitcnt vmcnt(39)
	v_mul_f32_e32 v48, v8, v58
	;; [unrolled: 4-line block ×7, first 2 shown]
	s_waitcnt vmcnt(28)
	v_fmac_f32_e32 v42, v3, v69
	s_waitcnt vmcnt(27)
	v_fmac_f32_e32 v46, v5, v70
	v_add_f32_e32 v42, 0, v42
	s_waitcnt vmcnt(26)
	v_fmac_f32_e32 v47, v7, v71
	v_add_f32_e32 v42, v42, v46
	;; [unrolled: 3-line block ×12, first 2 shown]
	v_add_f32_e32 v51, v42, v89
	buffer_load_dword v47, off, s[0:3], 0 offset:436
	buffer_load_dword v46, off, s[0:3], 0 offset:432
	;; [unrolled: 1-line block ×7, first 2 shown]
	v_mul_f32_e32 v3, v3, v50
	v_fma_f32 v2, v2, v69, -v3
	v_mul_f32_e32 v3, v5, v52
	v_add_f32_e32 v2, 0, v2
	v_fma_f32 v3, v4, v70, -v3
	v_add_f32_e32 v2, v2, v3
	v_mul_f32_e32 v3, v7, v54
	v_fma_f32 v3, v6, v71, -v3
	v_add_f32_e32 v2, v2, v3
	v_mul_f32_e32 v3, v9, v58
	;; [unrolled: 3-line block ×12, first 2 shown]
	s_waitcnt vmcnt(22)
	v_fma_f32 v3, v28, v82, -v3
	v_add_f32_e32 v50, v2, v3
	s_waitcnt vmcnt(21) lgkmcnt(0)
	v_mul_f32_e32 v2, v31, v83
	s_waitcnt vmcnt(20)
	v_fma_f32 v52, v30, v84, -v2
	s_waitcnt vmcnt(19)
	v_mul_f32_e32 v2, v33, v85
	s_waitcnt vmcnt(18)
	v_fma_f32 v54, v32, v86, -v2
	ds_read2_b64 v[2:5], v1 offset0:107 offset1:108
	ds_read2_b64 v[6:9], v1 offset0:109 offset1:110
	;; [unrolled: 1-line block ×4, first 2 shown]
	v_fmac_f32_e32 v90, v29, v82
	v_mul_f32_e32 v53, v30, v83
	s_waitcnt vmcnt(11)
	v_mov_b32_e32 v20, v41
	v_add_f32_e32 v51, v51, v90
	v_fmac_f32_e32 v53, v31, v84
	v_mul_f32_e32 v55, v32, v85
	s_waitcnt lgkmcnt(3)
	v_pk_mul_f32 v[20:21], v[2:3], v[20:21] op_sel_hi:[1,0]
	v_fmac_f32_e32 v55, v33, v86
	v_pk_add_f32 v[18:19], v[50:51], v[52:53]
	s_waitcnt vmcnt(10)
	v_pk_fma_f32 v[22:23], v[2:3], v[40:41], v[20:21] op_sel:[0,0,1] op_sel_hi:[1,1,0] neg_lo:[0,0,1] neg_hi:[0,0,1]
	v_pk_fma_f32 v[2:3], v[2:3], v[40:41], v[20:21] op_sel:[0,0,1] op_sel_hi:[1,0,0]
	v_pk_add_f32 v[18:19], v[18:19], v[54:55]
	v_mov_b32_e32 v23, v3
	v_pk_add_f32 v[2:3], v[18:19], v[22:23]
	v_mov_b32_e32 v18, v39
	v_pk_mul_f32 v[18:19], v[4:5], v[18:19] op_sel_hi:[1,0]
	v_pk_fma_f32 v[20:21], v[4:5], v[38:39], v[18:19] op_sel:[0,0,1] op_sel_hi:[1,1,0] neg_lo:[0,0,1] neg_hi:[0,0,1]
	v_pk_fma_f32 v[4:5], v[4:5], v[38:39], v[18:19] op_sel:[0,0,1] op_sel_hi:[1,0,0]
	v_mov_b32_e32 v4, v37
	v_mov_b32_e32 v21, v5
	s_waitcnt lgkmcnt(2)
	v_pk_mul_f32 v[4:5], v[6:7], v[4:5] op_sel_hi:[1,0]
	v_pk_fma_f32 v[18:19], v[6:7], v[36:37], v[4:5] op_sel:[0,0,1] op_sel_hi:[1,1,0] neg_lo:[0,0,1] neg_hi:[0,0,1]
	v_pk_fma_f32 v[4:5], v[6:7], v[36:37], v[4:5] op_sel:[0,0,1] op_sel_hi:[1,0,0]
	s_waitcnt vmcnt(9)
	v_mov_b32_e32 v4, v43
	v_mov_b32_e32 v19, v5
	v_pk_mul_f32 v[4:5], v[8:9], v[4:5] op_sel_hi:[1,0]
	v_pk_add_f32 v[2:3], v[2:3], v[20:21]
	v_pk_add_f32 v[2:3], v[2:3], v[18:19]
	s_waitcnt vmcnt(2)
	v_pk_fma_f32 v[6:7], v[8:9], v[42:43], v[4:5] op_sel:[0,0,1] op_sel_hi:[1,1,0] neg_lo:[0,0,1] neg_hi:[0,0,1]
	v_pk_fma_f32 v[4:5], v[8:9], v[42:43], v[4:5] op_sel:[0,0,1] op_sel_hi:[1,0,0]
	v_mov_b32_e32 v4, v49
	v_mov_b32_e32 v7, v5
	s_waitcnt lgkmcnt(1)
	v_pk_mul_f32 v[4:5], v[10:11], v[4:5] op_sel_hi:[1,0]
	v_pk_add_f32 v[2:3], v[2:3], v[6:7]
	v_pk_fma_f32 v[6:7], v[10:11], v[48:49], v[4:5] op_sel:[0,0,1] op_sel_hi:[1,1,0] neg_lo:[0,0,1] neg_hi:[0,0,1]
	v_pk_fma_f32 v[4:5], v[10:11], v[48:49], v[4:5] op_sel:[0,0,1] op_sel_hi:[1,0,0]
	v_mov_b32_e32 v4, v47
	v_mov_b32_e32 v7, v5
	v_pk_mul_f32 v[4:5], v[12:13], v[4:5] op_sel_hi:[1,0]
	v_pk_add_f32 v[2:3], v[2:3], v[6:7]
	v_pk_fma_f32 v[6:7], v[12:13], v[46:47], v[4:5] op_sel:[0,0,1] op_sel_hi:[1,1,0] neg_lo:[0,0,1] neg_hi:[0,0,1]
	v_pk_fma_f32 v[4:5], v[12:13], v[46:47], v[4:5] op_sel:[0,0,1] op_sel_hi:[1,0,0]
	v_mov_b32_e32 v4, v45
	v_mov_b32_e32 v7, v5
	s_waitcnt lgkmcnt(0)
	v_pk_mul_f32 v[4:5], v[14:15], v[4:5] op_sel_hi:[1,0]
	v_pk_add_f32 v[2:3], v[2:3], v[6:7]
	v_pk_fma_f32 v[6:7], v[14:15], v[44:45], v[4:5] op_sel:[0,0,1] op_sel_hi:[1,1,0] neg_lo:[0,0,1] neg_hi:[0,0,1]
	v_pk_fma_f32 v[4:5], v[14:15], v[44:45], v[4:5] op_sel:[0,0,1] op_sel_hi:[1,0,0]
	s_waitcnt vmcnt(1)
	v_mov_b32_e32 v4, v57
	v_mov_b32_e32 v7, v5
	v_pk_mul_f32 v[4:5], v[16:17], v[4:5] op_sel_hi:[1,0]
	v_pk_add_f32 v[2:3], v[2:3], v[6:7]
	s_waitcnt vmcnt(0)
	v_pk_fma_f32 v[6:7], v[16:17], v[56:57], v[4:5] op_sel:[0,0,1] op_sel_hi:[1,1,0] neg_lo:[0,0,1] neg_hi:[0,0,1]
	v_pk_fma_f32 v[4:5], v[16:17], v[56:57], v[4:5] op_sel:[0,0,1] op_sel_hi:[1,0,0]
	v_mov_b32_e32 v7, v5
	v_pk_add_f32 v[2:3], v[2:3], v[6:7]
	v_pk_add_f32 v[2:3], v[34:35], v[2:3] neg_lo:[0,1] neg_hi:[0,1]
	buffer_store_dword v3, off, s[0:3], 0 offset:260
	buffer_store_dword v2, off, s[0:3], 0 offset:256
	s_and_saveexec_b64 s[4:5], vcc
	s_cbranch_execz .LBB56_293
; %bb.292:
	buffer_load_dword v2, off, s[0:3], 0 offset:248
	buffer_load_dword v3, off, s[0:3], 0 offset:252
	v_mov_b32_e32 v1, 0
	buffer_store_dword v1, off, s[0:3], 0 offset:248
	buffer_store_dword v1, off, s[0:3], 0 offset:252
	s_waitcnt vmcnt(2)
	ds_write_b64 v165, v[2:3]
.LBB56_293:
	s_or_b64 exec, exec, s[4:5]
	s_waitcnt lgkmcnt(0)
	; wave barrier
	s_waitcnt lgkmcnt(0)
	buffer_load_dword v56, off, s[0:3], 0 offset:260
	buffer_load_dword v58, off, s[0:3], 0 offset:268
	;; [unrolled: 1-line block ×36, first 2 shown]
	v_mov_b32_e32 v1, 0
	buffer_load_dword v45, off, s[0:3], 0 offset:404
	buffer_load_dword v44, off, s[0:3], 0 offset:400
	;; [unrolled: 1-line block ×5, first 2 shown]
	ds_read_b128 v[4:7], v1 offset:720
	ds_read_b128 v[8:11], v1 offset:736
	;; [unrolled: 1-line block ×8, first 2 shown]
	v_cmp_lt_u32_e32 vcc, 30, v0
	s_waitcnt vmcnt(40) lgkmcnt(7)
	v_mul_f32_e32 v36, v4, v56
	s_waitcnt vmcnt(39)
	v_mul_f32_e32 v37, v6, v58
	s_waitcnt vmcnt(38) lgkmcnt(6)
	v_mul_f32_e32 v38, v8, v60
	s_waitcnt vmcnt(37)
	v_mul_f32_e32 v39, v10, v66
	s_waitcnt vmcnt(36) lgkmcnt(5)
	v_mul_f32_e32 v40, v12, v67
	s_waitcnt vmcnt(35)
	v_mul_f32_e32 v41, v14, v68
	s_waitcnt vmcnt(34) lgkmcnt(4)
	v_mul_f32_e32 v42, v16, v69
	s_waitcnt vmcnt(33)
	v_mul_f32_e32 v43, v18, v70
	s_waitcnt vmcnt(32) lgkmcnt(3)
	v_mul_f32_e32 v48, v20, v71
	s_waitcnt vmcnt(31)
	v_mul_f32_e32 v50, v22, v72
	s_waitcnt vmcnt(30) lgkmcnt(2)
	v_mul_f32_e32 v51, v24, v73
	s_waitcnt vmcnt(29)
	v_mul_f32_e32 v52, v26, v74
	s_waitcnt vmcnt(28) lgkmcnt(1)
	v_mul_f32_e32 v53, v28, v75
	s_waitcnt vmcnt(27)
	v_mul_f32_e32 v54, v30, v76
	s_waitcnt vmcnt(26) lgkmcnt(0)
	v_mul_f32_e32 v57, v32, v77
	s_waitcnt vmcnt(25)
	v_fmac_f32_e32 v36, v5, v78
	s_waitcnt vmcnt(24)
	v_fmac_f32_e32 v37, v7, v79
	v_add_f32_e32 v36, 0, v36
	s_waitcnt vmcnt(23)
	v_fmac_f32_e32 v38, v9, v80
	v_add_f32_e32 v36, v36, v37
	;; [unrolled: 3-line block ×13, first 2 shown]
	v_add_f32_e32 v40, v36, v54
	buffer_load_dword v51, off, s[0:3], 0 offset:436
	buffer_load_dword v50, off, s[0:3], 0 offset:432
	;; [unrolled: 1-line block ×7, first 2 shown]
	s_waitcnt vmcnt(18)
	v_fmac_f32_e32 v57, v33, v92
	ds_read_b128 v[36:39], v1 offset:848
	v_add_f32_e32 v57, v40, v57
	ds_read_b128 v[40:43], v1 offset:864
	buffer_load_dword v63, off, s[0:3], 0 offset:452
	buffer_load_dword v62, off, s[0:3], 0 offset:448
	;; [unrolled: 1-line block ×4, first 2 shown]
	v_mul_f32_e32 v5, v5, v56
	v_fma_f32 v4, v4, v78, -v5
	v_mul_f32_e32 v5, v7, v58
	v_add_f32_e32 v4, 0, v4
	v_fma_f32 v5, v6, v79, -v5
	v_add_f32_e32 v4, v4, v5
	v_mul_f32_e32 v5, v9, v60
	v_fma_f32 v5, v8, v80, -v5
	v_add_f32_e32 v4, v4, v5
	v_mul_f32_e32 v5, v11, v66
	;; [unrolled: 3-line block ×13, first 2 shown]
	v_fma_f32 v5, v32, v92, -v5
	s_waitcnt vmcnt(13)
	v_mov_b32_e32 v16, v47
	v_mul_f32_e32 v59, v34, v93
	v_add_f32_e32 v56, v4, v5
	v_mul_f32_e32 v4, v35, v93
	s_waitcnt lgkmcnt(1)
	v_pk_mul_f32 v[16:17], v[38:39], v[16:17] op_sel_hi:[1,0]
	v_fmac_f32_e32 v59, v35, v94
	v_mul_f32_e32 v61, v36, v95
	v_fma_f32 v58, v34, v94, -v4
	v_mul_f32_e32 v4, v37, v95
	s_waitcnt vmcnt(12)
	v_pk_fma_f32 v[18:19], v[38:39], v[46:47], v[16:17] op_sel:[0,0,1] op_sel_hi:[1,1,0] neg_lo:[0,0,1] neg_hi:[0,0,1]
	v_pk_fma_f32 v[16:17], v[38:39], v[46:47], v[16:17] op_sel:[0,0,1] op_sel_hi:[1,0,0]
	v_fmac_f32_e32 v61, v37, v96
	v_fma_f32 v60, v36, v96, -v4
	v_pk_add_f32 v[14:15], v[56:57], v[58:59]
	v_mov_b32_e32 v16, v45
	v_pk_add_f32 v[14:15], v[14:15], v[60:61]
	v_mov_b32_e32 v19, v17
	s_waitcnt lgkmcnt(0)
	v_pk_mul_f32 v[16:17], v[40:41], v[16:17] op_sel_hi:[1,0]
	v_pk_add_f32 v[14:15], v[14:15], v[18:19]
	v_pk_fma_f32 v[18:19], v[40:41], v[44:45], v[16:17] op_sel:[0,0,1] op_sel_hi:[1,1,0] neg_lo:[0,0,1] neg_hi:[0,0,1]
	v_pk_fma_f32 v[16:17], v[40:41], v[44:45], v[16:17] op_sel:[0,0,1] op_sel_hi:[1,0,0]
	s_waitcnt vmcnt(11)
	v_mov_b32_e32 v16, v49
	ds_read_b128 v[4:7], v1 offset:880
	ds_read_b128 v[8:11], v1 offset:896
	ds_read_b64 v[12:13], v1 offset:912
	v_mov_b32_e32 v19, v17
	v_pk_mul_f32 v[16:17], v[42:43], v[16:17] op_sel_hi:[1,0]
	v_pk_add_f32 v[14:15], v[14:15], v[18:19]
	s_waitcnt vmcnt(4)
	v_pk_fma_f32 v[18:19], v[42:43], v[48:49], v[16:17] op_sel:[0,0,1] op_sel_hi:[1,1,0] neg_lo:[0,0,1] neg_hi:[0,0,1]
	v_pk_fma_f32 v[16:17], v[42:43], v[48:49], v[16:17] op_sel:[0,0,1] op_sel_hi:[1,0,0]
	v_mov_b32_e32 v16, v55
	v_mov_b32_e32 v19, v17
	s_waitcnt lgkmcnt(2)
	v_pk_mul_f32 v[16:17], v[4:5], v[16:17] op_sel_hi:[1,0]
	v_pk_add_f32 v[14:15], v[14:15], v[18:19]
	v_pk_fma_f32 v[18:19], v[4:5], v[54:55], v[16:17] op_sel:[0,0,1] op_sel_hi:[1,1,0] neg_lo:[0,0,1] neg_hi:[0,0,1]
	v_pk_fma_f32 v[4:5], v[4:5], v[54:55], v[16:17] op_sel:[0,0,1] op_sel_hi:[1,0,0]
	v_mov_b32_e32 v19, v5
	v_pk_add_f32 v[4:5], v[14:15], v[18:19]
	v_mov_b32_e32 v14, v53
	v_pk_mul_f32 v[14:15], v[6:7], v[14:15] op_sel_hi:[1,0]
	v_pk_fma_f32 v[16:17], v[6:7], v[52:53], v[14:15] op_sel:[0,0,1] op_sel_hi:[1,1,0] neg_lo:[0,0,1] neg_hi:[0,0,1]
	v_pk_fma_f32 v[6:7], v[6:7], v[52:53], v[14:15] op_sel:[0,0,1] op_sel_hi:[1,0,0]
	v_mov_b32_e32 v6, v51
	v_mov_b32_e32 v17, v7
	s_waitcnt lgkmcnt(1)
	v_pk_mul_f32 v[6:7], v[8:9], v[6:7] op_sel_hi:[1,0]
	v_pk_fma_f32 v[14:15], v[8:9], v[50:51], v[6:7] op_sel:[0,0,1] op_sel_hi:[1,1,0] neg_lo:[0,0,1] neg_hi:[0,0,1]
	v_pk_fma_f32 v[6:7], v[8:9], v[50:51], v[6:7] op_sel:[0,0,1] op_sel_hi:[1,0,0]
	s_waitcnt vmcnt(1)
	v_mov_b32_e32 v6, v65
	v_mov_b32_e32 v15, v7
	v_pk_mul_f32 v[6:7], v[10:11], v[6:7] op_sel_hi:[1,0]
	s_waitcnt vmcnt(0)
	v_pk_fma_f32 v[8:9], v[10:11], v[64:65], v[6:7] op_sel:[0,0,1] op_sel_hi:[1,1,0] neg_lo:[0,0,1] neg_hi:[0,0,1]
	v_pk_fma_f32 v[6:7], v[10:11], v[64:65], v[6:7] op_sel:[0,0,1] op_sel_hi:[1,0,0]
	v_pk_add_f32 v[4:5], v[4:5], v[16:17]
	v_mov_b32_e32 v6, v63
	v_pk_add_f32 v[4:5], v[4:5], v[14:15]
	v_mov_b32_e32 v9, v7
	s_waitcnt lgkmcnt(0)
	v_pk_mul_f32 v[6:7], v[12:13], v[6:7] op_sel_hi:[1,0]
	v_pk_add_f32 v[4:5], v[4:5], v[8:9]
	v_pk_fma_f32 v[8:9], v[12:13], v[62:63], v[6:7] op_sel:[0,0,1] op_sel_hi:[1,1,0] neg_lo:[0,0,1] neg_hi:[0,0,1]
	v_pk_fma_f32 v[6:7], v[12:13], v[62:63], v[6:7] op_sel:[0,0,1] op_sel_hi:[1,0,0]
	v_mov_b32_e32 v9, v7
	v_pk_add_f32 v[4:5], v[4:5], v[8:9]
	v_pk_add_f32 v[2:3], v[2:3], v[4:5] neg_lo:[0,1] neg_hi:[0,1]
	buffer_store_dword v3, off, s[0:3], 0 offset:252
	buffer_store_dword v2, off, s[0:3], 0 offset:248
	s_and_saveexec_b64 s[4:5], vcc
	s_cbranch_execz .LBB56_295
; %bb.294:
	buffer_load_dword v2, off, s[0:3], 0 offset:240
	buffer_load_dword v3, off, s[0:3], 0 offset:244
	s_waitcnt vmcnt(0)
	ds_write_b64 v165, v[2:3]
	buffer_store_dword v1, off, s[0:3], 0 offset:240
	buffer_store_dword v1, off, s[0:3], 0 offset:244
.LBB56_295:
	s_or_b64 exec, exec, s[4:5]
	s_waitcnt lgkmcnt(0)
	; wave barrier
	s_waitcnt lgkmcnt(0)
	buffer_load_dword v54, off, s[0:3], 0 offset:252
	buffer_load_dword v56, off, s[0:3], 0 offset:260
	;; [unrolled: 1-line block ×38, first 2 shown]
	ds_read2_b64 v[2:5], v1 offset0:89 offset1:90
	ds_read2_b64 v[6:9], v1 offset0:91 offset1:92
	;; [unrolled: 1-line block ×8, first 2 shown]
	buffer_load_dword v45, off, s[0:3], 0 offset:396
	buffer_load_dword v44, off, s[0:3], 0 offset:392
	;; [unrolled: 1-line block ×4, first 2 shown]
	v_cmp_lt_u32_e32 vcc, 29, v0
	s_waitcnt vmcnt(41) lgkmcnt(7)
	v_mul_f32_e32 v34, v2, v54
	s_waitcnt vmcnt(40)
	v_mul_f32_e32 v35, v4, v56
	s_waitcnt vmcnt(39) lgkmcnt(6)
	v_mul_f32_e32 v36, v6, v58
	s_waitcnt vmcnt(38)
	v_mul_f32_e32 v37, v8, v66
	;; [unrolled: 4-line block ×7, first 2 shown]
	s_waitcnt vmcnt(27) lgkmcnt(0)
	v_mul_f32_e32 v55, v30, v77
	s_waitcnt vmcnt(26)
	v_fmac_f32_e32 v34, v3, v78
	s_waitcnt vmcnt(25)
	v_fmac_f32_e32 v35, v5, v79
	v_add_f32_e32 v34, 0, v34
	s_waitcnt vmcnt(24)
	v_fmac_f32_e32 v36, v7, v80
	v_add_f32_e32 v34, v34, v35
	;; [unrolled: 3-line block ×13, first 2 shown]
	v_add_f32_e32 v34, v34, v53
	buffer_load_dword v49, off, s[0:3], 0 offset:420
	buffer_load_dword v48, off, s[0:3], 0 offset:416
	;; [unrolled: 1-line block ×6, first 2 shown]
	s_waitcnt vmcnt(18)
	v_fmac_f32_e32 v55, v31, v92
	s_waitcnt vmcnt(17)
	v_mul_f32_e32 v39, v32, v93
	v_add_f32_e32 v38, v34, v55
	s_waitcnt vmcnt(16)
	v_fmac_f32_e32 v39, v33, v94
	ds_read2_b64 v[34:37], v1 offset0:105 offset1:106
	v_add_f32_e32 v55, v38, v39
	ds_read2_b64 v[38:41], v1 offset0:107 offset1:108
	buffer_load_dword v61, off, s[0:3], 0 offset:452
	buffer_load_dword v60, off, s[0:3], 0 offset:448
	;; [unrolled: 1-line block ×6, first 2 shown]
	v_mul_f32_e32 v3, v3, v54
	v_fma_f32 v2, v2, v78, -v3
	v_mul_f32_e32 v3, v5, v56
	v_add_f32_e32 v2, 0, v2
	v_fma_f32 v3, v4, v79, -v3
	v_add_f32_e32 v2, v2, v3
	v_mul_f32_e32 v3, v7, v58
	v_fma_f32 v3, v6, v80, -v3
	v_add_f32_e32 v2, v2, v3
	v_mul_f32_e32 v3, v9, v66
	;; [unrolled: 3-line block ×14, first 2 shown]
	v_fma_f32 v3, v32, v94, -v3
	s_waitcnt vmcnt(15)
	v_mov_b32_e32 v16, v45
	s_waitcnt lgkmcnt(1)
	v_mul_f32_e32 v57, v34, v95
	v_add_f32_e32 v54, v2, v3
	v_mul_f32_e32 v2, v35, v95
	s_waitcnt lgkmcnt(0)
	v_pk_mul_f32 v[16:17], v[38:39], v[16:17] op_sel_hi:[1,0]
	v_fmac_f32_e32 v57, v35, v96
	v_mul_f32_e32 v59, v36, v97
	v_fma_f32 v56, v34, v96, -v2
	v_mul_f32_e32 v2, v37, v97
	s_waitcnt vmcnt(14)
	v_pk_fma_f32 v[18:19], v[38:39], v[44:45], v[16:17] op_sel:[0,0,1] op_sel_hi:[1,1,0] neg_lo:[0,0,1] neg_hi:[0,0,1]
	v_pk_fma_f32 v[16:17], v[38:39], v[44:45], v[16:17] op_sel:[0,0,1] op_sel_hi:[1,0,0]
	v_fmac_f32_e32 v59, v37, v98
	v_fma_f32 v58, v36, v98, -v2
	v_pk_add_f32 v[14:15], v[54:55], v[56:57]
	ds_read2_b64 v[2:5], v1 offset0:109 offset1:110
	ds_read2_b64 v[6:9], v1 offset0:111 offset1:112
	;; [unrolled: 1-line block ×3, first 2 shown]
	v_pk_add_f32 v[14:15], v[14:15], v[58:59]
	v_mov_b32_e32 v19, v17
	v_pk_add_f32 v[14:15], v[14:15], v[18:19]
	s_waitcnt vmcnt(7)
	v_mov_b32_e32 v16, v53
	v_pk_mul_f32 v[16:17], v[40:41], v[16:17] op_sel_hi:[1,0]
	s_waitcnt vmcnt(6)
	v_pk_fma_f32 v[18:19], v[40:41], v[52:53], v[16:17] op_sel:[0,0,1] op_sel_hi:[1,1,0] neg_lo:[0,0,1] neg_hi:[0,0,1]
	v_pk_fma_f32 v[16:17], v[40:41], v[52:53], v[16:17] op_sel:[0,0,1] op_sel_hi:[1,0,0]
	v_mov_b32_e32 v16, v51
	v_mov_b32_e32 v19, v17
	s_waitcnt lgkmcnt(2)
	v_pk_mul_f32 v[16:17], v[2:3], v[16:17] op_sel_hi:[1,0]
	v_pk_add_f32 v[14:15], v[14:15], v[18:19]
	v_pk_fma_f32 v[18:19], v[2:3], v[50:51], v[16:17] op_sel:[0,0,1] op_sel_hi:[1,1,0] neg_lo:[0,0,1] neg_hi:[0,0,1]
	v_pk_fma_f32 v[2:3], v[2:3], v[50:51], v[16:17] op_sel:[0,0,1] op_sel_hi:[1,0,0]
	v_mov_b32_e32 v19, v3
	v_pk_add_f32 v[2:3], v[14:15], v[18:19]
	v_mov_b32_e32 v14, v49
	v_pk_mul_f32 v[14:15], v[4:5], v[14:15] op_sel_hi:[1,0]
	v_pk_fma_f32 v[16:17], v[4:5], v[48:49], v[14:15] op_sel:[0,0,1] op_sel_hi:[1,1,0] neg_lo:[0,0,1] neg_hi:[0,0,1]
	v_pk_fma_f32 v[4:5], v[4:5], v[48:49], v[14:15] op_sel:[0,0,1] op_sel_hi:[1,0,0]
	v_mov_b32_e32 v4, v47
	v_mov_b32_e32 v17, v5
	s_waitcnt lgkmcnt(1)
	v_pk_mul_f32 v[4:5], v[6:7], v[4:5] op_sel_hi:[1,0]
	v_pk_fma_f32 v[14:15], v[6:7], v[46:47], v[4:5] op_sel:[0,0,1] op_sel_hi:[1,1,0] neg_lo:[0,0,1] neg_hi:[0,0,1]
	v_pk_fma_f32 v[4:5], v[6:7], v[46:47], v[4:5] op_sel:[0,0,1] op_sel_hi:[1,0,0]
	s_waitcnt vmcnt(1)
	v_mov_b32_e32 v4, v65
	v_mov_b32_e32 v15, v5
	v_pk_mul_f32 v[4:5], v[8:9], v[4:5] op_sel_hi:[1,0]
	s_waitcnt vmcnt(0)
	v_pk_fma_f32 v[6:7], v[8:9], v[64:65], v[4:5] op_sel:[0,0,1] op_sel_hi:[1,1,0] neg_lo:[0,0,1] neg_hi:[0,0,1]
	v_pk_fma_f32 v[4:5], v[8:9], v[64:65], v[4:5] op_sel:[0,0,1] op_sel_hi:[1,0,0]
	v_pk_add_f32 v[2:3], v[2:3], v[16:17]
	v_mov_b32_e32 v4, v63
	v_pk_add_f32 v[2:3], v[2:3], v[14:15]
	v_mov_b32_e32 v7, v5
	s_waitcnt lgkmcnt(0)
	v_pk_mul_f32 v[4:5], v[10:11], v[4:5] op_sel_hi:[1,0]
	v_pk_add_f32 v[2:3], v[2:3], v[6:7]
	v_pk_fma_f32 v[6:7], v[10:11], v[62:63], v[4:5] op_sel:[0,0,1] op_sel_hi:[1,1,0] neg_lo:[0,0,1] neg_hi:[0,0,1]
	v_pk_fma_f32 v[4:5], v[10:11], v[62:63], v[4:5] op_sel:[0,0,1] op_sel_hi:[1,0,0]
	v_mov_b32_e32 v4, v61
	v_mov_b32_e32 v7, v5
	v_pk_mul_f32 v[4:5], v[12:13], v[4:5] op_sel_hi:[1,0]
	v_pk_add_f32 v[2:3], v[2:3], v[6:7]
	v_pk_fma_f32 v[6:7], v[12:13], v[60:61], v[4:5] op_sel:[0,0,1] op_sel_hi:[1,1,0] neg_lo:[0,0,1] neg_hi:[0,0,1]
	v_pk_fma_f32 v[4:5], v[12:13], v[60:61], v[4:5] op_sel:[0,0,1] op_sel_hi:[1,0,0]
	v_mov_b32_e32 v7, v5
	v_pk_add_f32 v[2:3], v[2:3], v[6:7]
	v_pk_add_f32 v[2:3], v[42:43], v[2:3] neg_lo:[0,1] neg_hi:[0,1]
	buffer_store_dword v3, off, s[0:3], 0 offset:244
	buffer_store_dword v2, off, s[0:3], 0 offset:240
	s_and_saveexec_b64 s[4:5], vcc
	s_cbranch_execz .LBB56_297
; %bb.296:
	buffer_load_dword v2, off, s[0:3], 0 offset:232
	buffer_load_dword v3, off, s[0:3], 0 offset:236
	v_mov_b32_e32 v1, 0
	buffer_store_dword v1, off, s[0:3], 0 offset:232
	buffer_store_dword v1, off, s[0:3], 0 offset:236
	s_waitcnt vmcnt(2)
	ds_write_b64 v165, v[2:3]
.LBB56_297:
	s_or_b64 exec, exec, s[4:5]
	s_waitcnt lgkmcnt(0)
	; wave barrier
	s_waitcnt lgkmcnt(0)
	buffer_load_dword v52, off, s[0:3], 0 offset:244
	buffer_load_dword v54, off, s[0:3], 0 offset:252
	;; [unrolled: 1-line block ×40, first 2 shown]
	v_mov_b32_e32 v1, 0
	ds_read_b128 v[4:7], v1 offset:704
	ds_read_b128 v[8:11], v1 offset:720
	;; [unrolled: 1-line block ×8, first 2 shown]
	v_cmp_lt_u32_e32 vcc, 28, v0
	s_waitcnt vmcnt(39) lgkmcnt(7)
	v_mul_f32_e32 v36, v4, v52
	s_waitcnt vmcnt(38)
	v_mul_f32_e32 v37, v6, v54
	s_waitcnt vmcnt(37) lgkmcnt(6)
	v_mul_f32_e32 v38, v8, v56
	s_waitcnt vmcnt(36)
	v_mul_f32_e32 v39, v10, v66
	;; [unrolled: 4-line block ×8, first 2 shown]
	s_waitcnt vmcnt(23)
	v_fmac_f32_e32 v36, v5, v79
	s_waitcnt vmcnt(22)
	v_fmac_f32_e32 v37, v7, v80
	v_add_f32_e32 v36, 0, v36
	s_waitcnt vmcnt(21)
	v_fmac_f32_e32 v38, v9, v81
	v_add_f32_e32 v36, v36, v37
	;; [unrolled: 3-line block ×14, first 2 shown]
	v_add_f32_e32 v36, v36, v50
	s_waitcnt vmcnt(8)
	v_fmac_f32_e32 v51, v35, v94
	v_add_f32_e32 v53, v36, v51
	ds_read_b128 v[36:39], v1 offset:832
	buffer_load_dword v45, off, s[0:3], 0 offset:396
	buffer_load_dword v47, off, s[0:3], 0 offset:420
	;; [unrolled: 1-line block ×8, first 2 shown]
	ds_read_b128 v[40:43], v1 offset:848
	buffer_load_dword v59, off, s[0:3], 0 offset:452
	buffer_load_dword v58, off, s[0:3], 0 offset:448
	buffer_load_dword v61, off, s[0:3], 0 offset:444
	buffer_load_dword v60, off, s[0:3], 0 offset:440
	buffer_load_dword v63, off, s[0:3], 0 offset:436
	buffer_load_dword v62, off, s[0:3], 0 offset:432
	buffer_load_dword v65, off, s[0:3], 0 offset:428
	buffer_load_dword v64, off, s[0:3], 0 offset:424
	v_mul_f32_e32 v5, v5, v52
	v_fma_f32 v4, v4, v79, -v5
	v_mul_f32_e32 v5, v7, v54
	v_add_f32_e32 v4, 0, v4
	v_fma_f32 v5, v6, v80, -v5
	v_add_f32_e32 v4, v4, v5
	v_mul_f32_e32 v5, v9, v56
	v_fma_f32 v5, v8, v81, -v5
	v_add_f32_e32 v4, v4, v5
	v_mul_f32_e32 v5, v11, v66
	;; [unrolled: 3-line block ×14, first 2 shown]
	v_fma_f32 v5, v34, v94, -v5
	v_add_f32_e32 v4, v4, v5
	s_waitcnt vmcnt(23) lgkmcnt(1)
	v_mul_f32_e32 v5, v37, v95
	v_mul_f32_e32 v55, v36, v95
	s_waitcnt vmcnt(22)
	v_fma_f32 v5, v36, v96, -v5
	v_fmac_f32_e32 v55, v37, v96
	v_add_f32_e32 v52, v4, v5
	s_waitcnt vmcnt(21)
	v_mul_f32_e32 v4, v39, v97
	v_add_f32_e32 v53, v53, v55
	v_mul_f32_e32 v55, v38, v97
	s_waitcnt vmcnt(20)
	v_fma_f32 v54, v38, v98, -v4
	s_waitcnt vmcnt(19) lgkmcnt(0)
	v_mul_f32_e32 v4, v41, v99
	v_fmac_f32_e32 v55, v39, v98
	v_mul_f32_e32 v57, v40, v99
	s_waitcnt vmcnt(18)
	v_fma_f32 v56, v40, v100, -v4
	ds_read_b128 v[4:7], v1 offset:864
	ds_read_b128 v[8:11], v1 offset:880
	;; [unrolled: 1-line block ×3, first 2 shown]
	ds_read_b64 v[16:17], v1 offset:912
	v_fmac_f32_e32 v57, v41, v100
	v_pk_add_f32 v[18:19], v[52:53], v[54:55]
	v_pk_add_f32 v[18:19], v[18:19], v[56:57]
	s_waitcnt vmcnt(15)
	v_mov_b32_e32 v20, v45
	v_pk_mul_f32 v[20:21], v[42:43], v[20:21] op_sel_hi:[1,0]
	s_waitcnt vmcnt(8)
	v_pk_fma_f32 v[22:23], v[42:43], v[44:45], v[20:21] op_sel:[0,0,1] op_sel_hi:[1,1,0] neg_lo:[0,0,1] neg_hi:[0,0,1]
	v_pk_fma_f32 v[20:21], v[42:43], v[44:45], v[20:21] op_sel:[0,0,1] op_sel_hi:[1,0,0]
	v_mov_b32_e32 v20, v51
	v_mov_b32_e32 v23, v21
	s_waitcnt lgkmcnt(3)
	v_pk_mul_f32 v[20:21], v[4:5], v[20:21] op_sel_hi:[1,0]
	v_pk_add_f32 v[18:19], v[18:19], v[22:23]
	v_pk_fma_f32 v[22:23], v[4:5], v[50:51], v[20:21] op_sel:[0,0,1] op_sel_hi:[1,1,0] neg_lo:[0,0,1] neg_hi:[0,0,1]
	v_pk_fma_f32 v[4:5], v[4:5], v[50:51], v[20:21] op_sel:[0,0,1] op_sel_hi:[1,0,0]
	v_mov_b32_e32 v23, v5
	v_pk_add_f32 v[4:5], v[18:19], v[22:23]
	v_mov_b32_e32 v18, v49
	v_pk_mul_f32 v[18:19], v[6:7], v[18:19] op_sel_hi:[1,0]
	v_pk_fma_f32 v[20:21], v[6:7], v[48:49], v[18:19] op_sel:[0,0,1] op_sel_hi:[1,1,0] neg_lo:[0,0,1] neg_hi:[0,0,1]
	v_pk_fma_f32 v[6:7], v[6:7], v[48:49], v[18:19] op_sel:[0,0,1] op_sel_hi:[1,0,0]
	v_mov_b32_e32 v6, v47
	v_mov_b32_e32 v21, v7
	s_waitcnt lgkmcnt(2)
	v_pk_mul_f32 v[6:7], v[8:9], v[6:7] op_sel_hi:[1,0]
	v_pk_fma_f32 v[18:19], v[8:9], v[46:47], v[6:7] op_sel:[0,0,1] op_sel_hi:[1,1,0] neg_lo:[0,0,1] neg_hi:[0,0,1]
	v_pk_fma_f32 v[6:7], v[8:9], v[46:47], v[6:7] op_sel:[0,0,1] op_sel_hi:[1,0,0]
	s_waitcnt vmcnt(1)
	v_mov_b32_e32 v6, v65
	v_mov_b32_e32 v19, v7
	v_pk_mul_f32 v[6:7], v[10:11], v[6:7] op_sel_hi:[1,0]
	s_waitcnt vmcnt(0)
	v_pk_fma_f32 v[8:9], v[10:11], v[64:65], v[6:7] op_sel:[0,0,1] op_sel_hi:[1,1,0] neg_lo:[0,0,1] neg_hi:[0,0,1]
	v_pk_fma_f32 v[6:7], v[10:11], v[64:65], v[6:7] op_sel:[0,0,1] op_sel_hi:[1,0,0]
	v_pk_add_f32 v[4:5], v[4:5], v[20:21]
	v_mov_b32_e32 v6, v63
	v_pk_add_f32 v[4:5], v[4:5], v[18:19]
	v_mov_b32_e32 v9, v7
	s_waitcnt lgkmcnt(1)
	v_pk_mul_f32 v[6:7], v[12:13], v[6:7] op_sel_hi:[1,0]
	v_pk_add_f32 v[4:5], v[4:5], v[8:9]
	v_pk_fma_f32 v[8:9], v[12:13], v[62:63], v[6:7] op_sel:[0,0,1] op_sel_hi:[1,1,0] neg_lo:[0,0,1] neg_hi:[0,0,1]
	v_pk_fma_f32 v[6:7], v[12:13], v[62:63], v[6:7] op_sel:[0,0,1] op_sel_hi:[1,0,0]
	v_mov_b32_e32 v6, v61
	v_mov_b32_e32 v9, v7
	v_pk_mul_f32 v[6:7], v[14:15], v[6:7] op_sel_hi:[1,0]
	v_pk_add_f32 v[4:5], v[4:5], v[8:9]
	v_pk_fma_f32 v[8:9], v[14:15], v[60:61], v[6:7] op_sel:[0,0,1] op_sel_hi:[1,1,0] neg_lo:[0,0,1] neg_hi:[0,0,1]
	v_pk_fma_f32 v[6:7], v[14:15], v[60:61], v[6:7] op_sel:[0,0,1] op_sel_hi:[1,0,0]
	v_mov_b32_e32 v6, v59
	v_mov_b32_e32 v9, v7
	s_waitcnt lgkmcnt(0)
	v_pk_mul_f32 v[6:7], v[16:17], v[6:7] op_sel_hi:[1,0]
	v_pk_add_f32 v[4:5], v[4:5], v[8:9]
	v_pk_fma_f32 v[8:9], v[16:17], v[58:59], v[6:7] op_sel:[0,0,1] op_sel_hi:[1,1,0] neg_lo:[0,0,1] neg_hi:[0,0,1]
	v_pk_fma_f32 v[6:7], v[16:17], v[58:59], v[6:7] op_sel:[0,0,1] op_sel_hi:[1,0,0]
	v_mov_b32_e32 v9, v7
	v_pk_add_f32 v[4:5], v[4:5], v[8:9]
	v_pk_add_f32 v[2:3], v[2:3], v[4:5] neg_lo:[0,1] neg_hi:[0,1]
	buffer_store_dword v3, off, s[0:3], 0 offset:236
	buffer_store_dword v2, off, s[0:3], 0 offset:232
	s_and_saveexec_b64 s[4:5], vcc
	s_cbranch_execz .LBB56_299
; %bb.298:
	buffer_load_dword v2, off, s[0:3], 0 offset:224
	buffer_load_dword v3, off, s[0:3], 0 offset:228
	s_waitcnt vmcnt(0)
	ds_write_b64 v165, v[2:3]
	buffer_store_dword v1, off, s[0:3], 0 offset:224
	buffer_store_dword v1, off, s[0:3], 0 offset:228
.LBB56_299:
	s_or_b64 exec, exec, s[4:5]
	s_waitcnt lgkmcnt(0)
	; wave barrier
	s_waitcnt lgkmcnt(0)
	buffer_load_dword v44, off, s[0:3], 0 offset:236
	buffer_load_dword v46, off, s[0:3], 0 offset:244
	;; [unrolled: 1-line block ×42, first 2 shown]
	ds_read2_b64 v[4:7], v1 offset0:87 offset1:88
	ds_read2_b64 v[8:11], v1 offset0:89 offset1:90
	;; [unrolled: 1-line block ×8, first 2 shown]
	v_cmp_lt_u32_e32 vcc, 27, v0
	s_waitcnt vmcnt(41) lgkmcnt(7)
	v_mul_f32_e32 v36, v4, v44
	s_waitcnt vmcnt(40)
	v_mul_f32_e32 v37, v6, v46
	s_waitcnt vmcnt(39) lgkmcnt(6)
	v_mul_f32_e32 v38, v8, v54
	s_waitcnt vmcnt(38)
	v_mul_f32_e32 v39, v10, v66
	;; [unrolled: 4-line block ×7, first 2 shown]
	s_waitcnt vmcnt(27) lgkmcnt(0)
	v_mul_f32_e32 v52, v32, v77
	s_waitcnt vmcnt(26)
	v_fmac_f32_e32 v36, v5, v78
	s_waitcnt vmcnt(25)
	v_fmac_f32_e32 v37, v7, v79
	v_add_f32_e32 v36, 0, v36
	s_waitcnt vmcnt(24)
	v_fmac_f32_e32 v38, v9, v80
	v_add_f32_e32 v36, v36, v37
	s_waitcnt vmcnt(23)
	v_fmac_f32_e32 v39, v11, v81
	v_add_f32_e32 v36, v36, v38
	s_waitcnt vmcnt(22)
	v_fmac_f32_e32 v40, v13, v82
	v_add_f32_e32 v36, v36, v39
	s_waitcnt vmcnt(21)
	v_fmac_f32_e32 v41, v15, v83
	v_add_f32_e32 v36, v36, v40
	s_waitcnt vmcnt(20)
	v_fmac_f32_e32 v42, v17, v84
	v_add_f32_e32 v36, v36, v41
	s_waitcnt vmcnt(19)
	v_fmac_f32_e32 v43, v19, v85
	v_add_f32_e32 v36, v36, v42
	s_waitcnt vmcnt(18)
	v_fmac_f32_e32 v45, v21, v86
	v_add_f32_e32 v36, v36, v43
	s_waitcnt vmcnt(17)
	v_fmac_f32_e32 v47, v23, v87
	v_add_f32_e32 v36, v36, v45
	s_waitcnt vmcnt(16)
	v_fmac_f32_e32 v48, v25, v88
	v_add_f32_e32 v36, v36, v47
	s_waitcnt vmcnt(15)
	v_fmac_f32_e32 v49, v27, v89
	v_add_f32_e32 v36, v36, v48
	s_waitcnt vmcnt(14)
	v_fmac_f32_e32 v50, v29, v90
	v_add_f32_e32 v36, v36, v49
	s_waitcnt vmcnt(13)
	v_fmac_f32_e32 v51, v31, v91
	v_add_f32_e32 v36, v36, v50
	s_waitcnt vmcnt(12)
	v_fmac_f32_e32 v52, v33, v92
	v_add_f32_e32 v36, v36, v51
	s_waitcnt vmcnt(11)
	v_mul_f32_e32 v41, v34, v93
	v_add_f32_e32 v40, v36, v52
	s_waitcnt vmcnt(10)
	v_fmac_f32_e32 v41, v35, v94
	ds_read2_b64 v[36:39], v1 offset0:103 offset1:104
	v_add_f32_e32 v45, v40, v41
	ds_read2_b64 v[40:43], v1 offset0:105 offset1:106
	buffer_load_dword v49, off, s[0:3], 0 offset:396
	buffer_load_dword v51, off, s[0:3], 0 offset:412
	;; [unrolled: 1-line block ×16, first 2 shown]
	v_mul_f32_e32 v5, v5, v44
	v_fma_f32 v4, v4, v78, -v5
	v_mul_f32_e32 v5, v7, v46
	v_add_f32_e32 v4, 0, v4
	v_fma_f32 v5, v6, v79, -v5
	v_add_f32_e32 v4, v4, v5
	v_mul_f32_e32 v5, v9, v54
	v_fma_f32 v5, v8, v80, -v5
	v_add_f32_e32 v4, v4, v5
	v_mul_f32_e32 v5, v11, v66
	;; [unrolled: 3-line block ×14, first 2 shown]
	v_fma_f32 v5, v34, v94, -v5
	v_add_f32_e32 v4, v4, v5
	s_waitcnt vmcnt(25) lgkmcnt(1)
	v_mul_f32_e32 v5, v37, v95
	s_waitcnt vmcnt(24)
	v_fma_f32 v5, v36, v96, -v5
	v_add_f32_e32 v4, v4, v5
	s_waitcnt vmcnt(23)
	v_mul_f32_e32 v5, v39, v97
	v_mul_f32_e32 v47, v36, v95
	s_waitcnt vmcnt(22)
	v_fma_f32 v5, v38, v98, -v5
	v_fmac_f32_e32 v47, v37, v96
	v_add_f32_e32 v44, v4, v5
	s_waitcnt vmcnt(21) lgkmcnt(0)
	v_mul_f32_e32 v4, v41, v99
	v_add_f32_e32 v45, v45, v47
	v_mul_f32_e32 v47, v38, v97
	s_waitcnt vmcnt(20)
	v_fma_f32 v46, v40, v100, -v4
	s_waitcnt vmcnt(19)
	v_mul_f32_e32 v4, v43, v101
	v_fmac_f32_e32 v47, v39, v98
	s_waitcnt vmcnt(18)
	v_fma_f32 v54, v42, v102, -v4
	ds_read2_b64 v[4:7], v1 offset0:107 offset1:108
	ds_read2_b64 v[8:11], v1 offset0:109 offset1:110
	;; [unrolled: 1-line block ×4, first 2 shown]
	v_add_f32_e32 v45, v45, v47
	v_mul_f32_e32 v47, v40, v99
	v_fmac_f32_e32 v47, v41, v100
	v_mul_f32_e32 v55, v42, v101
	v_fmac_f32_e32 v55, v43, v102
	v_pk_add_f32 v[20:21], v[44:45], v[46:47]
	v_pk_add_f32 v[20:21], v[20:21], v[54:55]
	s_waitcnt vmcnt(15)
	v_mov_b32_e32 v22, v49
	s_waitcnt lgkmcnt(3)
	v_pk_mul_f32 v[22:23], v[4:5], v[22:23] op_sel_hi:[1,0]
	s_waitcnt vmcnt(10)
	v_pk_fma_f32 v[24:25], v[4:5], v[48:49], v[22:23] op_sel:[0,0,1] op_sel_hi:[1,1,0] neg_lo:[0,0,1] neg_hi:[0,0,1]
	v_pk_fma_f32 v[4:5], v[4:5], v[48:49], v[22:23] op_sel:[0,0,1] op_sel_hi:[1,0,0]
	v_mov_b32_e32 v25, v5
	v_pk_add_f32 v[4:5], v[20:21], v[24:25]
	v_mov_b32_e32 v20, v53
	v_pk_mul_f32 v[20:21], v[6:7], v[20:21] op_sel_hi:[1,0]
	v_pk_fma_f32 v[22:23], v[6:7], v[52:53], v[20:21] op_sel:[0,0,1] op_sel_hi:[1,1,0] neg_lo:[0,0,1] neg_hi:[0,0,1]
	v_pk_fma_f32 v[6:7], v[6:7], v[52:53], v[20:21] op_sel:[0,0,1] op_sel_hi:[1,0,0]
	v_mov_b32_e32 v6, v51
	v_mov_b32_e32 v23, v7
	s_waitcnt lgkmcnt(2)
	v_pk_mul_f32 v[6:7], v[8:9], v[6:7] op_sel_hi:[1,0]
	v_pk_fma_f32 v[20:21], v[8:9], v[50:51], v[6:7] op_sel:[0,0,1] op_sel_hi:[1,1,0] neg_lo:[0,0,1] neg_hi:[0,0,1]
	v_pk_fma_f32 v[6:7], v[8:9], v[50:51], v[6:7] op_sel:[0,0,1] op_sel_hi:[1,0,0]
	s_waitcnt vmcnt(3)
	v_mov_b32_e32 v6, v63
	v_mov_b32_e32 v21, v7
	v_pk_mul_f32 v[6:7], v[10:11], v[6:7] op_sel_hi:[1,0]
	s_waitcnt vmcnt(2)
	v_pk_fma_f32 v[8:9], v[10:11], v[62:63], v[6:7] op_sel:[0,0,1] op_sel_hi:[1,1,0] neg_lo:[0,0,1] neg_hi:[0,0,1]
	v_pk_fma_f32 v[6:7], v[10:11], v[62:63], v[6:7] op_sel:[0,0,1] op_sel_hi:[1,0,0]
	v_pk_add_f32 v[4:5], v[4:5], v[22:23]
	v_mov_b32_e32 v6, v61
	v_pk_add_f32 v[4:5], v[4:5], v[20:21]
	v_mov_b32_e32 v9, v7
	s_waitcnt lgkmcnt(1)
	v_pk_mul_f32 v[6:7], v[12:13], v[6:7] op_sel_hi:[1,0]
	v_pk_add_f32 v[4:5], v[4:5], v[8:9]
	v_pk_fma_f32 v[8:9], v[12:13], v[60:61], v[6:7] op_sel:[0,0,1] op_sel_hi:[1,1,0] neg_lo:[0,0,1] neg_hi:[0,0,1]
	v_pk_fma_f32 v[6:7], v[12:13], v[60:61], v[6:7] op_sel:[0,0,1] op_sel_hi:[1,0,0]
	v_mov_b32_e32 v6, v59
	v_mov_b32_e32 v9, v7
	v_pk_mul_f32 v[6:7], v[14:15], v[6:7] op_sel_hi:[1,0]
	v_pk_add_f32 v[4:5], v[4:5], v[8:9]
	v_pk_fma_f32 v[8:9], v[14:15], v[58:59], v[6:7] op_sel:[0,0,1] op_sel_hi:[1,1,0] neg_lo:[0,0,1] neg_hi:[0,0,1]
	v_pk_fma_f32 v[6:7], v[14:15], v[58:59], v[6:7] op_sel:[0,0,1] op_sel_hi:[1,0,0]
	v_mov_b32_e32 v6, v57
	v_mov_b32_e32 v9, v7
	s_waitcnt lgkmcnt(0)
	v_pk_mul_f32 v[6:7], v[16:17], v[6:7] op_sel_hi:[1,0]
	v_pk_add_f32 v[4:5], v[4:5], v[8:9]
	v_pk_fma_f32 v[8:9], v[16:17], v[56:57], v[6:7] op_sel:[0,0,1] op_sel_hi:[1,1,0] neg_lo:[0,0,1] neg_hi:[0,0,1]
	v_pk_fma_f32 v[6:7], v[16:17], v[56:57], v[6:7] op_sel:[0,0,1] op_sel_hi:[1,0,0]
	s_waitcnt vmcnt(1)
	v_mov_b32_e32 v6, v65
	v_mov_b32_e32 v9, v7
	v_pk_mul_f32 v[6:7], v[18:19], v[6:7] op_sel_hi:[1,0]
	v_pk_add_f32 v[4:5], v[4:5], v[8:9]
	s_waitcnt vmcnt(0)
	v_pk_fma_f32 v[8:9], v[18:19], v[64:65], v[6:7] op_sel:[0,0,1] op_sel_hi:[1,1,0] neg_lo:[0,0,1] neg_hi:[0,0,1]
	v_pk_fma_f32 v[6:7], v[18:19], v[64:65], v[6:7] op_sel:[0,0,1] op_sel_hi:[1,0,0]
	v_mov_b32_e32 v9, v7
	v_pk_add_f32 v[4:5], v[4:5], v[8:9]
	v_pk_add_f32 v[2:3], v[2:3], v[4:5] neg_lo:[0,1] neg_hi:[0,1]
	buffer_store_dword v3, off, s[0:3], 0 offset:228
	buffer_store_dword v2, off, s[0:3], 0 offset:224
	s_and_saveexec_b64 s[4:5], vcc
	s_cbranch_execz .LBB56_301
; %bb.300:
	buffer_load_dword v2, off, s[0:3], 0 offset:216
	buffer_load_dword v3, off, s[0:3], 0 offset:220
	v_mov_b32_e32 v1, 0
	buffer_store_dword v1, off, s[0:3], 0 offset:216
	buffer_store_dword v1, off, s[0:3], 0 offset:220
	s_waitcnt vmcnt(2)
	ds_write_b64 v165, v[2:3]
.LBB56_301:
	s_or_b64 exec, exec, s[4:5]
	s_waitcnt lgkmcnt(0)
	; wave barrier
	s_waitcnt lgkmcnt(0)
	buffer_load_dword v52, off, s[0:3], 0 offset:228
	buffer_load_dword v58, off, s[0:3], 0 offset:236
	;; [unrolled: 1-line block ×44, first 2 shown]
	v_mov_b32_e32 v1, 0
	ds_read_b128 v[4:7], v1 offset:688
	ds_read_b128 v[8:11], v1 offset:704
	;; [unrolled: 1-line block ×8, first 2 shown]
	v_cmp_lt_u32_e32 vcc, 26, v0
	s_waitcnt vmcnt(43) lgkmcnt(7)
	v_mul_f32_e32 v36, v4, v52
	s_waitcnt vmcnt(42)
	v_mul_f32_e32 v37, v6, v58
	s_waitcnt vmcnt(41) lgkmcnt(6)
	v_mul_f32_e32 v38, v8, v60
	s_waitcnt vmcnt(40)
	v_mul_f32_e32 v39, v10, v74
	;; [unrolled: 4-line block ×7, first 2 shown]
	s_waitcnt vmcnt(29)
	v_fmac_f32_e32 v36, v5, v85
	s_waitcnt vmcnt(28)
	v_fmac_f32_e32 v37, v7, v86
	v_add_f32_e32 v36, 0, v36
	s_waitcnt vmcnt(27)
	v_fmac_f32_e32 v38, v9, v87
	v_add_f32_e32 v36, v36, v37
	;; [unrolled: 3-line block ×12, first 2 shown]
	v_add_f32_e32 v36, v36, v48
	s_waitcnt vmcnt(16)
	v_fmac_f32_e32 v49, v31, v98
	s_waitcnt vmcnt(15) lgkmcnt(0)
	v_mul_f32_e32 v37, v32, v99
	v_add_f32_e32 v36, v36, v49
	s_waitcnt vmcnt(14)
	v_fmac_f32_e32 v37, v33, v100
	v_add_f32_e32 v40, v36, v37
	ds_read_b128 v[36:39], v1 offset:816
	s_waitcnt vmcnt(13)
	v_mul_f32_e32 v41, v34, v101
	s_waitcnt vmcnt(12)
	v_fmac_f32_e32 v41, v35, v102
	v_add_f32_e32 v44, v40, v41
	ds_read_b128 v[40:43], v1 offset:832
	s_waitcnt vmcnt(11) lgkmcnt(1)
	v_mul_f32_e32 v45, v36, v103
	s_waitcnt vmcnt(10)
	v_fmac_f32_e32 v45, v37, v104
	v_add_f32_e32 v44, v44, v45
	s_waitcnt vmcnt(9)
	v_mul_f32_e32 v45, v38, v105
	s_waitcnt vmcnt(8)
	v_fmac_f32_e32 v45, v39, v106
	v_add_f32_e32 v44, v44, v45
	s_waitcnt vmcnt(7) lgkmcnt(0)
	v_mul_f32_e32 v45, v40, v107
	s_waitcnt vmcnt(6)
	v_fmac_f32_e32 v45, v41, v108
	v_add_f32_e32 v53, v44, v45
	ds_read_b128 v[44:47], v1 offset:848
	buffer_load_dword v55, off, s[0:3], 0 offset:404
	buffer_load_dword v54, off, s[0:3], 0 offset:400
	buffer_load_dword v57, off, s[0:3], 0 offset:396
	buffer_load_dword v56, off, s[0:3], 0 offset:392
	ds_read_b128 v[48:51], v1 offset:864
	buffer_load_dword v63, off, s[0:3], 0 offset:436
	buffer_load_dword v62, off, s[0:3], 0 offset:432
	;; [unrolled: 1-line block ×12, first 2 shown]
	v_mul_f32_e32 v5, v5, v52
	v_fma_f32 v4, v4, v85, -v5
	v_mul_f32_e32 v5, v7, v58
	v_add_f32_e32 v4, 0, v4
	v_fma_f32 v5, v6, v86, -v5
	v_add_f32_e32 v4, v4, v5
	v_mul_f32_e32 v5, v9, v60
	v_fma_f32 v5, v8, v87, -v5
	v_add_f32_e32 v4, v4, v5
	v_mul_f32_e32 v5, v11, v74
	;; [unrolled: 3-line block ×17, first 2 shown]
	v_fma_f32 v5, v40, v108, -v5
	s_waitcnt vmcnt(21)
	v_mul_f32_e32 v59, v42, v109
	v_add_f32_e32 v52, v4, v5
	v_mul_f32_e32 v4, v43, v109
	s_waitcnt vmcnt(20)
	v_fmac_f32_e32 v59, v43, v110
	s_waitcnt vmcnt(19) lgkmcnt(1)
	v_mul_f32_e32 v61, v44, v111
	v_fma_f32 v58, v42, v110, -v4
	v_mul_f32_e32 v4, v45, v111
	s_waitcnt vmcnt(18)
	v_fmac_f32_e32 v61, v45, v112
	v_fma_f32 v60, v44, v112, -v4
	v_pk_add_f32 v[14:15], v[52:53], v[58:59]
	v_pk_add_f32 v[14:15], v[14:15], v[60:61]
	ds_read_b128 v[4:7], v1 offset:880
	ds_read_b128 v[8:11], v1 offset:896
	ds_read_b64 v[12:13], v1 offset:912
	s_waitcnt vmcnt(13)
	v_mov_b32_e32 v16, v57
	v_pk_mul_f32 v[16:17], v[46:47], v[16:17] op_sel_hi:[1,0]
	s_waitcnt vmcnt(12)
	v_pk_fma_f32 v[18:19], v[46:47], v[56:57], v[16:17] op_sel:[0,0,1] op_sel_hi:[1,1,0] neg_lo:[0,0,1] neg_hi:[0,0,1]
	v_pk_fma_f32 v[16:17], v[46:47], v[56:57], v[16:17] op_sel:[0,0,1] op_sel_hi:[1,0,0]
	v_mov_b32_e32 v16, v55
	v_mov_b32_e32 v19, v17
	s_waitcnt lgkmcnt(3)
	v_pk_mul_f32 v[16:17], v[48:49], v[16:17] op_sel_hi:[1,0]
	v_pk_add_f32 v[14:15], v[14:15], v[18:19]
	v_pk_fma_f32 v[18:19], v[48:49], v[54:55], v[16:17] op_sel:[0,0,1] op_sel_hi:[1,1,0] neg_lo:[0,0,1] neg_hi:[0,0,1]
	v_pk_fma_f32 v[16:17], v[48:49], v[54:55], v[16:17] op_sel:[0,0,1] op_sel_hi:[1,0,0]
	s_waitcnt vmcnt(5)
	v_mov_b32_e32 v16, v69
	v_mov_b32_e32 v19, v17
	v_pk_mul_f32 v[16:17], v[50:51], v[16:17] op_sel_hi:[1,0]
	v_pk_add_f32 v[14:15], v[14:15], v[18:19]
	s_waitcnt vmcnt(4)
	v_pk_fma_f32 v[18:19], v[50:51], v[68:69], v[16:17] op_sel:[0,0,1] op_sel_hi:[1,1,0] neg_lo:[0,0,1] neg_hi:[0,0,1]
	v_pk_fma_f32 v[16:17], v[50:51], v[68:69], v[16:17] op_sel:[0,0,1] op_sel_hi:[1,0,0]
	v_mov_b32_e32 v16, v67
	v_mov_b32_e32 v19, v17
	s_waitcnt lgkmcnt(2)
	v_pk_mul_f32 v[16:17], v[4:5], v[16:17] op_sel_hi:[1,0]
	v_pk_add_f32 v[14:15], v[14:15], v[18:19]
	v_pk_fma_f32 v[18:19], v[4:5], v[66:67], v[16:17] op_sel:[0,0,1] op_sel_hi:[1,1,0] neg_lo:[0,0,1] neg_hi:[0,0,1]
	v_pk_fma_f32 v[4:5], v[4:5], v[66:67], v[16:17] op_sel:[0,0,1] op_sel_hi:[1,0,0]
	v_mov_b32_e32 v19, v5
	v_pk_add_f32 v[4:5], v[14:15], v[18:19]
	v_mov_b32_e32 v14, v65
	v_pk_mul_f32 v[14:15], v[6:7], v[14:15] op_sel_hi:[1,0]
	v_pk_fma_f32 v[16:17], v[6:7], v[64:65], v[14:15] op_sel:[0,0,1] op_sel_hi:[1,1,0] neg_lo:[0,0,1] neg_hi:[0,0,1]
	v_pk_fma_f32 v[6:7], v[6:7], v[64:65], v[14:15] op_sel:[0,0,1] op_sel_hi:[1,0,0]
	v_mov_b32_e32 v6, v63
	v_mov_b32_e32 v17, v7
	s_waitcnt lgkmcnt(1)
	v_pk_mul_f32 v[6:7], v[8:9], v[6:7] op_sel_hi:[1,0]
	v_pk_fma_f32 v[14:15], v[8:9], v[62:63], v[6:7] op_sel:[0,0,1] op_sel_hi:[1,1,0] neg_lo:[0,0,1] neg_hi:[0,0,1]
	v_pk_fma_f32 v[6:7], v[8:9], v[62:63], v[6:7] op_sel:[0,0,1] op_sel_hi:[1,0,0]
	s_waitcnt vmcnt(1)
	v_mov_b32_e32 v6, v73
	v_mov_b32_e32 v15, v7
	v_pk_mul_f32 v[6:7], v[10:11], v[6:7] op_sel_hi:[1,0]
	s_waitcnt vmcnt(0)
	v_pk_fma_f32 v[8:9], v[10:11], v[72:73], v[6:7] op_sel:[0,0,1] op_sel_hi:[1,1,0] neg_lo:[0,0,1] neg_hi:[0,0,1]
	v_pk_fma_f32 v[6:7], v[10:11], v[72:73], v[6:7] op_sel:[0,0,1] op_sel_hi:[1,0,0]
	v_pk_add_f32 v[4:5], v[4:5], v[16:17]
	v_mov_b32_e32 v6, v71
	v_pk_add_f32 v[4:5], v[4:5], v[14:15]
	v_mov_b32_e32 v9, v7
	s_waitcnt lgkmcnt(0)
	v_pk_mul_f32 v[6:7], v[12:13], v[6:7] op_sel_hi:[1,0]
	v_pk_add_f32 v[4:5], v[4:5], v[8:9]
	v_pk_fma_f32 v[8:9], v[12:13], v[70:71], v[6:7] op_sel:[0,0,1] op_sel_hi:[1,1,0] neg_lo:[0,0,1] neg_hi:[0,0,1]
	v_pk_fma_f32 v[6:7], v[12:13], v[70:71], v[6:7] op_sel:[0,0,1] op_sel_hi:[1,0,0]
	v_mov_b32_e32 v9, v7
	v_pk_add_f32 v[4:5], v[4:5], v[8:9]
	v_pk_add_f32 v[2:3], v[2:3], v[4:5] neg_lo:[0,1] neg_hi:[0,1]
	buffer_store_dword v3, off, s[0:3], 0 offset:220
	buffer_store_dword v2, off, s[0:3], 0 offset:216
	s_and_saveexec_b64 s[4:5], vcc
	s_cbranch_execz .LBB56_303
; %bb.302:
	buffer_load_dword v2, off, s[0:3], 0 offset:208
	buffer_load_dword v3, off, s[0:3], 0 offset:212
	s_waitcnt vmcnt(0)
	ds_write_b64 v165, v[2:3]
	buffer_store_dword v1, off, s[0:3], 0 offset:208
	buffer_store_dword v1, off, s[0:3], 0 offset:212
.LBB56_303:
	s_or_b64 exec, exec, s[4:5]
	s_waitcnt lgkmcnt(0)
	; wave barrier
	s_waitcnt lgkmcnt(0)
	buffer_load_dword v54, off, s[0:3], 0 offset:220
	buffer_load_dword v56, off, s[0:3], 0 offset:228
	;; [unrolled: 1-line block ×46, first 2 shown]
	ds_read2_b64 v[4:7], v1 offset0:85 offset1:86
	ds_read2_b64 v[8:11], v1 offset0:87 offset1:88
	;; [unrolled: 1-line block ×8, first 2 shown]
	v_cmp_lt_u32_e32 vcc, 25, v0
	s_waitcnt vmcnt(45) lgkmcnt(7)
	v_mul_f32_e32 v36, v4, v54
	s_waitcnt vmcnt(44)
	v_mul_f32_e32 v37, v6, v56
	s_waitcnt vmcnt(43) lgkmcnt(6)
	v_mul_f32_e32 v38, v8, v58
	s_waitcnt vmcnt(42)
	v_mul_f32_e32 v39, v10, v74
	;; [unrolled: 4-line block ×6, first 2 shown]
	s_waitcnt vmcnt(33) lgkmcnt(1)
	v_mul_f32_e32 v48, v28, v83
	s_waitcnt vmcnt(32)
	v_fmac_f32_e32 v36, v5, v84
	s_waitcnt vmcnt(31)
	v_fmac_f32_e32 v37, v7, v85
	v_add_f32_e32 v36, 0, v36
	s_waitcnt vmcnt(30)
	v_fmac_f32_e32 v38, v9, v86
	v_add_f32_e32 v36, v36, v37
	;; [unrolled: 3-line block ×12, first 2 shown]
	s_waitcnt vmcnt(19)
	v_mul_f32_e32 v37, v30, v97
	v_add_f32_e32 v36, v36, v48
	s_waitcnt vmcnt(18)
	v_fmac_f32_e32 v37, v31, v98
	v_add_f32_e32 v36, v36, v37
	s_waitcnt vmcnt(17) lgkmcnt(0)
	v_mul_f32_e32 v37, v32, v99
	s_waitcnt vmcnt(16)
	v_fmac_f32_e32 v37, v33, v100
	v_add_f32_e32 v40, v36, v37
	ds_read2_b64 v[36:39], v1 offset0:101 offset1:102
	s_waitcnt vmcnt(15)
	v_mul_f32_e32 v41, v34, v101
	s_waitcnt vmcnt(14)
	v_fmac_f32_e32 v41, v35, v102
	v_add_f32_e32 v44, v40, v41
	ds_read2_b64 v[40:43], v1 offset0:103 offset1:104
	buffer_load_dword v53, off, s[0:3], 0 offset:396
	buffer_load_dword v52, off, s[0:3], 0 offset:392
	s_waitcnt vmcnt(15) lgkmcnt(1)
	v_mul_f32_e32 v45, v36, v103
	s_waitcnt vmcnt(14)
	v_fmac_f32_e32 v45, v37, v104
	v_add_f32_e32 v44, v44, v45
	s_waitcnt vmcnt(13)
	v_mul_f32_e32 v45, v38, v105
	s_waitcnt vmcnt(12)
	v_fmac_f32_e32 v45, v39, v106
	v_add_f32_e32 v44, v44, v45
	s_waitcnt vmcnt(11) lgkmcnt(0)
	v_mul_f32_e32 v45, v40, v107
	s_waitcnt vmcnt(10)
	v_fmac_f32_e32 v45, v41, v108
	s_waitcnt vmcnt(9)
	v_mul_f32_e32 v49, v42, v109
	v_add_f32_e32 v48, v44, v45
	s_waitcnt vmcnt(8)
	v_fmac_f32_e32 v49, v43, v110
	ds_read2_b64 v[44:47], v1 offset0:105 offset1:106
	v_add_f32_e32 v55, v48, v49
	ds_read2_b64 v[48:51], v1 offset0:107 offset1:108
	buffer_load_dword v61, off, s[0:3], 0 offset:428
	buffer_load_dword v60, off, s[0:3], 0 offset:424
	;; [unrolled: 1-line block ×14, first 2 shown]
	v_mul_f32_e32 v5, v5, v54
	v_fma_f32 v4, v4, v84, -v5
	v_mul_f32_e32 v5, v7, v56
	v_add_f32_e32 v4, 0, v4
	v_fma_f32 v5, v6, v85, -v5
	v_add_f32_e32 v4, v4, v5
	v_mul_f32_e32 v5, v9, v58
	v_fma_f32 v5, v8, v86, -v5
	v_add_f32_e32 v4, v4, v5
	v_mul_f32_e32 v5, v11, v74
	;; [unrolled: 3-line block ×18, first 2 shown]
	v_fma_f32 v5, v42, v110, -v5
	s_waitcnt vmcnt(21) lgkmcnt(1)
	v_mul_f32_e32 v57, v44, v111
	v_add_f32_e32 v54, v4, v5
	v_mul_f32_e32 v4, v45, v111
	s_waitcnt vmcnt(20)
	v_fmac_f32_e32 v57, v45, v112
	s_waitcnt vmcnt(15)
	v_mov_b32_e32 v18, v53
	s_waitcnt lgkmcnt(0)
	v_pk_mul_f32 v[18:19], v[48:49], v[18:19] op_sel_hi:[1,0]
	v_mul_f32_e32 v59, v46, v113
	v_fma_f32 v56, v44, v112, -v4
	v_mul_f32_e32 v4, v47, v113
	s_waitcnt vmcnt(14)
	v_pk_fma_f32 v[20:21], v[48:49], v[52:53], v[18:19] op_sel:[0,0,1] op_sel_hi:[1,1,0] neg_lo:[0,0,1] neg_hi:[0,0,1]
	v_pk_fma_f32 v[18:19], v[48:49], v[52:53], v[18:19] op_sel:[0,0,1] op_sel_hi:[1,0,0]
	v_fmac_f32_e32 v59, v47, v114
	v_fma_f32 v58, v46, v114, -v4
	v_pk_add_f32 v[16:17], v[54:55], v[56:57]
	s_waitcnt vmcnt(7)
	v_mov_b32_e32 v18, v67
	ds_read2_b64 v[4:7], v1 offset0:109 offset1:110
	ds_read2_b64 v[8:11], v1 offset0:111 offset1:112
	;; [unrolled: 1-line block ×3, first 2 shown]
	v_pk_add_f32 v[16:17], v[16:17], v[58:59]
	v_mov_b32_e32 v21, v19
	v_pk_mul_f32 v[18:19], v[50:51], v[18:19] op_sel_hi:[1,0]
	v_pk_add_f32 v[16:17], v[16:17], v[20:21]
	s_waitcnt vmcnt(6)
	v_pk_fma_f32 v[20:21], v[50:51], v[66:67], v[18:19] op_sel:[0,0,1] op_sel_hi:[1,1,0] neg_lo:[0,0,1] neg_hi:[0,0,1]
	v_pk_fma_f32 v[18:19], v[50:51], v[66:67], v[18:19] op_sel:[0,0,1] op_sel_hi:[1,0,0]
	v_mov_b32_e32 v18, v65
	v_mov_b32_e32 v21, v19
	s_waitcnt lgkmcnt(2)
	v_pk_mul_f32 v[18:19], v[4:5], v[18:19] op_sel_hi:[1,0]
	v_pk_add_f32 v[16:17], v[16:17], v[20:21]
	v_pk_fma_f32 v[20:21], v[4:5], v[64:65], v[18:19] op_sel:[0,0,1] op_sel_hi:[1,1,0] neg_lo:[0,0,1] neg_hi:[0,0,1]
	v_pk_fma_f32 v[4:5], v[4:5], v[64:65], v[18:19] op_sel:[0,0,1] op_sel_hi:[1,0,0]
	v_mov_b32_e32 v21, v5
	v_pk_add_f32 v[4:5], v[16:17], v[20:21]
	v_mov_b32_e32 v16, v63
	v_pk_mul_f32 v[16:17], v[6:7], v[16:17] op_sel_hi:[1,0]
	v_pk_fma_f32 v[18:19], v[6:7], v[62:63], v[16:17] op_sel:[0,0,1] op_sel_hi:[1,1,0] neg_lo:[0,0,1] neg_hi:[0,0,1]
	v_pk_fma_f32 v[6:7], v[6:7], v[62:63], v[16:17] op_sel:[0,0,1] op_sel_hi:[1,0,0]
	v_mov_b32_e32 v6, v61
	v_mov_b32_e32 v19, v7
	s_waitcnt lgkmcnt(1)
	v_pk_mul_f32 v[6:7], v[8:9], v[6:7] op_sel_hi:[1,0]
	v_pk_fma_f32 v[16:17], v[8:9], v[60:61], v[6:7] op_sel:[0,0,1] op_sel_hi:[1,1,0] neg_lo:[0,0,1] neg_hi:[0,0,1]
	v_pk_fma_f32 v[6:7], v[8:9], v[60:61], v[6:7] op_sel:[0,0,1] op_sel_hi:[1,0,0]
	s_waitcnt vmcnt(1)
	v_mov_b32_e32 v6, v73
	v_mov_b32_e32 v17, v7
	v_pk_mul_f32 v[6:7], v[10:11], v[6:7] op_sel_hi:[1,0]
	s_waitcnt vmcnt(0)
	v_pk_fma_f32 v[8:9], v[10:11], v[72:73], v[6:7] op_sel:[0,0,1] op_sel_hi:[1,1,0] neg_lo:[0,0,1] neg_hi:[0,0,1]
	v_pk_fma_f32 v[6:7], v[10:11], v[72:73], v[6:7] op_sel:[0,0,1] op_sel_hi:[1,0,0]
	v_pk_add_f32 v[4:5], v[4:5], v[18:19]
	v_mov_b32_e32 v6, v71
	v_pk_add_f32 v[4:5], v[4:5], v[16:17]
	v_mov_b32_e32 v9, v7
	s_waitcnt lgkmcnt(0)
	v_pk_mul_f32 v[6:7], v[12:13], v[6:7] op_sel_hi:[1,0]
	v_pk_add_f32 v[4:5], v[4:5], v[8:9]
	v_pk_fma_f32 v[8:9], v[12:13], v[70:71], v[6:7] op_sel:[0,0,1] op_sel_hi:[1,1,0] neg_lo:[0,0,1] neg_hi:[0,0,1]
	v_pk_fma_f32 v[6:7], v[12:13], v[70:71], v[6:7] op_sel:[0,0,1] op_sel_hi:[1,0,0]
	v_mov_b32_e32 v6, v69
	v_mov_b32_e32 v9, v7
	v_pk_mul_f32 v[6:7], v[14:15], v[6:7] op_sel_hi:[1,0]
	v_pk_add_f32 v[4:5], v[4:5], v[8:9]
	v_pk_fma_f32 v[8:9], v[14:15], v[68:69], v[6:7] op_sel:[0,0,1] op_sel_hi:[1,1,0] neg_lo:[0,0,1] neg_hi:[0,0,1]
	v_pk_fma_f32 v[6:7], v[14:15], v[68:69], v[6:7] op_sel:[0,0,1] op_sel_hi:[1,0,0]
	v_mov_b32_e32 v9, v7
	v_pk_add_f32 v[4:5], v[4:5], v[8:9]
	v_pk_add_f32 v[2:3], v[2:3], v[4:5] neg_lo:[0,1] neg_hi:[0,1]
	buffer_store_dword v3, off, s[0:3], 0 offset:212
	buffer_store_dword v2, off, s[0:3], 0 offset:208
	s_and_saveexec_b64 s[4:5], vcc
	s_cbranch_execz .LBB56_305
; %bb.304:
	buffer_load_dword v2, off, s[0:3], 0 offset:200
	buffer_load_dword v3, off, s[0:3], 0 offset:204
	v_mov_b32_e32 v1, 0
	buffer_store_dword v1, off, s[0:3], 0 offset:200
	buffer_store_dword v1, off, s[0:3], 0 offset:204
	s_waitcnt vmcnt(2)
	ds_write_b64 v165, v[2:3]
.LBB56_305:
	s_or_b64 exec, exec, s[4:5]
	s_waitcnt lgkmcnt(0)
	; wave barrier
	s_waitcnt lgkmcnt(0)
	buffer_load_dword v52, off, s[0:3], 0 offset:212
	buffer_load_dword v54, off, s[0:3], 0 offset:220
	;; [unrolled: 1-line block ×48, first 2 shown]
	v_mov_b32_e32 v1, 0
	ds_read_b128 v[4:7], v1 offset:672
	ds_read_b128 v[8:11], v1 offset:688
	;; [unrolled: 1-line block ×6, first 2 shown]
	v_cmp_lt_u32_e32 vcc, 24, v0
	s_waitcnt vmcnt(47) lgkmcnt(5)
	v_mul_f32_e32 v28, v4, v52
	s_waitcnt vmcnt(46)
	v_mul_f32_e32 v29, v6, v54
	s_waitcnt vmcnt(45) lgkmcnt(4)
	v_mul_f32_e32 v30, v8, v56
	s_waitcnt vmcnt(44)
	v_mul_f32_e32 v31, v10, v74
	;; [unrolled: 4-line block ×6, first 2 shown]
	s_waitcnt vmcnt(35)
	v_fmac_f32_e32 v28, v5, v83
	s_waitcnt vmcnt(34)
	v_fmac_f32_e32 v29, v7, v84
	v_add_f32_e32 v28, 0, v28
	s_waitcnt vmcnt(33)
	v_fmac_f32_e32 v30, v9, v85
	v_add_f32_e32 v28, v28, v29
	;; [unrolled: 3-line block ×8, first 2 shown]
	v_add_f32_e32 v32, v28, v36
	ds_read_b128 v[28:31], v1 offset:768
	s_waitcnt vmcnt(26)
	v_fmac_f32_e32 v37, v23, v92
	s_waitcnt vmcnt(25)
	v_fmac_f32_e32 v38, v25, v93
	v_add_f32_e32 v32, v32, v37
	s_waitcnt vmcnt(24)
	v_fmac_f32_e32 v39, v27, v94
	v_add_f32_e32 v32, v32, v38
	v_add_f32_e32 v36, v32, v39
	ds_read_b128 v[32:35], v1 offset:784
	s_waitcnt vmcnt(23) lgkmcnt(1)
	v_mul_f32_e32 v37, v28, v95
	s_waitcnt vmcnt(22)
	v_fmac_f32_e32 v37, v29, v96
	v_add_f32_e32 v36, v36, v37
	s_waitcnt vmcnt(21)
	v_mul_f32_e32 v37, v30, v97
	s_waitcnt vmcnt(20)
	v_fmac_f32_e32 v37, v31, v98
	v_add_f32_e32 v36, v36, v37
	s_waitcnt vmcnt(19) lgkmcnt(0)
	v_mul_f32_e32 v37, v32, v99
	s_waitcnt vmcnt(18)
	v_fmac_f32_e32 v37, v33, v100
	v_add_f32_e32 v40, v36, v37
	ds_read_b128 v[36:39], v1 offset:800
	s_waitcnt vmcnt(17)
	v_mul_f32_e32 v41, v34, v101
	s_waitcnt vmcnt(16)
	v_fmac_f32_e32 v41, v35, v102
	v_add_f32_e32 v44, v40, v41
	ds_read_b128 v[40:43], v1 offset:816
	s_waitcnt vmcnt(15) lgkmcnt(1)
	v_mul_f32_e32 v45, v36, v103
	s_waitcnt vmcnt(14)
	v_fmac_f32_e32 v45, v37, v104
	v_add_f32_e32 v44, v44, v45
	s_waitcnt vmcnt(13)
	v_mul_f32_e32 v45, v38, v105
	s_waitcnt vmcnt(12)
	v_fmac_f32_e32 v45, v39, v106
	v_add_f32_e32 v44, v44, v45
	s_waitcnt vmcnt(11) lgkmcnt(0)
	v_mul_f32_e32 v45, v40, v107
	s_waitcnt vmcnt(10)
	v_fmac_f32_e32 v45, v41, v108
	s_waitcnt vmcnt(9)
	v_mul_f32_e32 v49, v42, v109
	v_add_f32_e32 v48, v44, v45
	s_waitcnt vmcnt(8)
	v_fmac_f32_e32 v49, v43, v110
	ds_read_b128 v[44:47], v1 offset:832
	v_add_f32_e32 v53, v48, v49
	ds_read_b128 v[48:51], v1 offset:848
	buffer_load_dword v59, off, s[0:3], 0 offset:420
	buffer_load_dword v58, off, s[0:3], 0 offset:416
	;; [unrolled: 1-line block ×16, first 2 shown]
	v_mul_f32_e32 v5, v5, v52
	v_fma_f32 v4, v4, v83, -v5
	v_mul_f32_e32 v5, v7, v54
	v_add_f32_e32 v4, 0, v4
	v_fma_f32 v5, v6, v84, -v5
	v_add_f32_e32 v4, v4, v5
	v_mul_f32_e32 v5, v9, v56
	v_fma_f32 v5, v8, v85, -v5
	v_add_f32_e32 v4, v4, v5
	v_mul_f32_e32 v5, v11, v74
	;; [unrolled: 3-line block ×18, first 2 shown]
	v_fma_f32 v5, v42, v110, -v5
	v_add_f32_e32 v4, v4, v5
	s_waitcnt vmcnt(22) lgkmcnt(1)
	v_mul_f32_e32 v5, v45, v112
	v_mul_f32_e32 v55, v44, v112
	v_fma_f32 v5, v44, v111, -v5
	v_fmac_f32_e32 v55, v45, v111
	v_add_f32_e32 v52, v4, v5
	s_waitcnt vmcnt(19)
	v_mul_f32_e32 v4, v47, v113
	v_add_f32_e32 v53, v53, v55
	v_mul_f32_e32 v55, v46, v113
	s_waitcnt vmcnt(18)
	v_fma_f32 v54, v46, v114, -v4
	s_waitcnt vmcnt(17) lgkmcnt(0)
	v_mul_f32_e32 v4, v49, v115
	s_waitcnt vmcnt(9)
	v_mov_b32_e32 v20, v65
	v_pk_mul_f32 v[20:21], v[50:51], v[20:21] op_sel_hi:[1,0]
	v_fmac_f32_e32 v55, v47, v114
	v_mul_f32_e32 v57, v48, v115
	v_fma_f32 v56, v48, v116, -v4
	ds_read_b128 v[4:7], v1 offset:864
	ds_read_b128 v[8:11], v1 offset:880
	;; [unrolled: 1-line block ×3, first 2 shown]
	ds_read_b64 v[16:17], v1 offset:912
	s_waitcnt vmcnt(8)
	v_pk_fma_f32 v[22:23], v[50:51], v[64:65], v[20:21] op_sel:[0,0,1] op_sel_hi:[1,1,0] neg_lo:[0,0,1] neg_hi:[0,0,1]
	v_pk_fma_f32 v[20:21], v[50:51], v[64:65], v[20:21] op_sel:[0,0,1] op_sel_hi:[1,0,0]
	v_fmac_f32_e32 v57, v49, v116
	v_pk_add_f32 v[18:19], v[52:53], v[54:55]
	v_mov_b32_e32 v20, v63
	v_pk_add_f32 v[18:19], v[18:19], v[56:57]
	v_mov_b32_e32 v23, v21
	s_waitcnt lgkmcnt(3)
	v_pk_mul_f32 v[20:21], v[4:5], v[20:21] op_sel_hi:[1,0]
	v_pk_add_f32 v[18:19], v[18:19], v[22:23]
	v_pk_fma_f32 v[22:23], v[4:5], v[62:63], v[20:21] op_sel:[0,0,1] op_sel_hi:[1,1,0] neg_lo:[0,0,1] neg_hi:[0,0,1]
	v_pk_fma_f32 v[4:5], v[4:5], v[62:63], v[20:21] op_sel:[0,0,1] op_sel_hi:[1,0,0]
	v_mov_b32_e32 v23, v5
	v_pk_add_f32 v[4:5], v[18:19], v[22:23]
	v_mov_b32_e32 v18, v61
	v_pk_mul_f32 v[18:19], v[6:7], v[18:19] op_sel_hi:[1,0]
	v_pk_fma_f32 v[20:21], v[6:7], v[60:61], v[18:19] op_sel:[0,0,1] op_sel_hi:[1,1,0] neg_lo:[0,0,1] neg_hi:[0,0,1]
	v_pk_fma_f32 v[6:7], v[6:7], v[60:61], v[18:19] op_sel:[0,0,1] op_sel_hi:[1,0,0]
	v_mov_b32_e32 v6, v59
	v_mov_b32_e32 v21, v7
	s_waitcnt lgkmcnt(2)
	v_pk_mul_f32 v[6:7], v[8:9], v[6:7] op_sel_hi:[1,0]
	v_pk_fma_f32 v[18:19], v[8:9], v[58:59], v[6:7] op_sel:[0,0,1] op_sel_hi:[1,1,0] neg_lo:[0,0,1] neg_hi:[0,0,1]
	v_pk_fma_f32 v[6:7], v[8:9], v[58:59], v[6:7] op_sel:[0,0,1] op_sel_hi:[1,0,0]
	s_waitcnt vmcnt(1)
	v_mov_b32_e32 v6, v73
	v_mov_b32_e32 v19, v7
	v_pk_mul_f32 v[6:7], v[10:11], v[6:7] op_sel_hi:[1,0]
	s_waitcnt vmcnt(0)
	v_pk_fma_f32 v[8:9], v[10:11], v[72:73], v[6:7] op_sel:[0,0,1] op_sel_hi:[1,1,0] neg_lo:[0,0,1] neg_hi:[0,0,1]
	v_pk_fma_f32 v[6:7], v[10:11], v[72:73], v[6:7] op_sel:[0,0,1] op_sel_hi:[1,0,0]
	v_pk_add_f32 v[4:5], v[4:5], v[20:21]
	v_mov_b32_e32 v6, v71
	v_pk_add_f32 v[4:5], v[4:5], v[18:19]
	v_mov_b32_e32 v9, v7
	s_waitcnt lgkmcnt(1)
	v_pk_mul_f32 v[6:7], v[12:13], v[6:7] op_sel_hi:[1,0]
	v_pk_add_f32 v[4:5], v[4:5], v[8:9]
	v_pk_fma_f32 v[8:9], v[12:13], v[70:71], v[6:7] op_sel:[0,0,1] op_sel_hi:[1,1,0] neg_lo:[0,0,1] neg_hi:[0,0,1]
	v_pk_fma_f32 v[6:7], v[12:13], v[70:71], v[6:7] op_sel:[0,0,1] op_sel_hi:[1,0,0]
	v_mov_b32_e32 v6, v69
	v_mov_b32_e32 v9, v7
	v_pk_mul_f32 v[6:7], v[14:15], v[6:7] op_sel_hi:[1,0]
	v_pk_add_f32 v[4:5], v[4:5], v[8:9]
	v_pk_fma_f32 v[8:9], v[14:15], v[68:69], v[6:7] op_sel:[0,0,1] op_sel_hi:[1,1,0] neg_lo:[0,0,1] neg_hi:[0,0,1]
	v_pk_fma_f32 v[6:7], v[14:15], v[68:69], v[6:7] op_sel:[0,0,1] op_sel_hi:[1,0,0]
	v_mov_b32_e32 v6, v67
	v_mov_b32_e32 v9, v7
	s_waitcnt lgkmcnt(0)
	v_pk_mul_f32 v[6:7], v[16:17], v[6:7] op_sel_hi:[1,0]
	v_pk_add_f32 v[4:5], v[4:5], v[8:9]
	v_pk_fma_f32 v[8:9], v[16:17], v[66:67], v[6:7] op_sel:[0,0,1] op_sel_hi:[1,1,0] neg_lo:[0,0,1] neg_hi:[0,0,1]
	v_pk_fma_f32 v[6:7], v[16:17], v[66:67], v[6:7] op_sel:[0,0,1] op_sel_hi:[1,0,0]
	v_mov_b32_e32 v9, v7
	v_pk_add_f32 v[4:5], v[4:5], v[8:9]
	v_pk_add_f32 v[2:3], v[2:3], v[4:5] neg_lo:[0,1] neg_hi:[0,1]
	buffer_store_dword v3, off, s[0:3], 0 offset:204
	buffer_store_dword v2, off, s[0:3], 0 offset:200
	s_and_saveexec_b64 s[4:5], vcc
	s_cbranch_execz .LBB56_307
; %bb.306:
	buffer_load_dword v2, off, s[0:3], 0 offset:192
	buffer_load_dword v3, off, s[0:3], 0 offset:196
	s_waitcnt vmcnt(0)
	ds_write_b64 v165, v[2:3]
	buffer_store_dword v1, off, s[0:3], 0 offset:192
	buffer_store_dword v1, off, s[0:3], 0 offset:196
.LBB56_307:
	s_or_b64 exec, exec, s[4:5]
	s_waitcnt lgkmcnt(0)
	; wave barrier
	s_waitcnt lgkmcnt(0)
	buffer_load_dword v52, off, s[0:3], 0 offset:204
	buffer_load_dword v54, off, s[0:3], 0 offset:212
	;; [unrolled: 1-line block ×48, first 2 shown]
	ds_read2_b64 v[4:7], v1 offset0:83 offset1:84
	ds_read2_b64 v[8:11], v1 offset0:85 offset1:86
	;; [unrolled: 1-line block ×6, first 2 shown]
	buffer_load_dword v117, off, s[0:3], 0 offset:384
	buffer_load_dword v118, off, s[0:3], 0 offset:388
	v_cmp_lt_u32_e32 vcc, 23, v0
	s_waitcnt vmcnt(49) lgkmcnt(5)
	v_mul_f32_e32 v28, v4, v52
	s_waitcnt vmcnt(48)
	v_mul_f32_e32 v29, v6, v54
	s_waitcnt vmcnt(47) lgkmcnt(4)
	v_mul_f32_e32 v30, v8, v62
	s_waitcnt vmcnt(46)
	v_mul_f32_e32 v31, v10, v74
	;; [unrolled: 4-line block ×6, first 2 shown]
	s_waitcnt vmcnt(37)
	v_fmac_f32_e32 v28, v5, v83
	s_waitcnt vmcnt(36)
	v_fmac_f32_e32 v29, v7, v84
	v_add_f32_e32 v28, 0, v28
	s_waitcnt vmcnt(35)
	v_fmac_f32_e32 v30, v9, v85
	v_add_f32_e32 v28, v28, v29
	;; [unrolled: 3-line block ×9, first 2 shown]
	v_add_f32_e32 v32, v28, v37
	ds_read2_b64 v[28:31], v1 offset0:95 offset1:96
	s_waitcnt vmcnt(27)
	v_fmac_f32_e32 v38, v25, v93
	v_add_f32_e32 v32, v32, v38
	s_waitcnt vmcnt(26)
	v_fmac_f32_e32 v39, v27, v94
	v_add_f32_e32 v36, v32, v39
	ds_read2_b64 v[32:35], v1 offset0:97 offset1:98
	s_waitcnt vmcnt(25) lgkmcnt(1)
	v_mul_f32_e32 v37, v28, v95
	s_waitcnt vmcnt(24)
	v_fmac_f32_e32 v37, v29, v96
	v_add_f32_e32 v36, v36, v37
	s_waitcnt vmcnt(23)
	v_mul_f32_e32 v37, v30, v97
	s_waitcnt vmcnt(22)
	v_fmac_f32_e32 v37, v31, v98
	v_add_f32_e32 v36, v36, v37
	s_waitcnt vmcnt(21) lgkmcnt(0)
	v_mul_f32_e32 v37, v32, v99
	s_waitcnt vmcnt(20)
	v_fmac_f32_e32 v37, v33, v100
	v_add_f32_e32 v40, v36, v37
	ds_read2_b64 v[36:39], v1 offset0:99 offset1:100
	s_waitcnt vmcnt(19)
	v_mul_f32_e32 v41, v34, v101
	s_waitcnt vmcnt(18)
	v_fmac_f32_e32 v41, v35, v102
	v_add_f32_e32 v44, v40, v41
	ds_read2_b64 v[40:43], v1 offset0:101 offset1:102
	s_waitcnt vmcnt(17) lgkmcnt(1)
	v_mul_f32_e32 v45, v36, v103
	s_waitcnt vmcnt(16)
	v_fmac_f32_e32 v45, v37, v104
	v_add_f32_e32 v44, v44, v45
	s_waitcnt vmcnt(15)
	v_mul_f32_e32 v45, v38, v105
	s_waitcnt vmcnt(14)
	v_fmac_f32_e32 v45, v39, v106
	v_add_f32_e32 v44, v44, v45
	s_waitcnt vmcnt(13) lgkmcnt(0)
	v_mul_f32_e32 v45, v40, v107
	s_waitcnt vmcnt(12)
	v_fmac_f32_e32 v45, v41, v108
	s_waitcnt vmcnt(11)
	v_mul_f32_e32 v49, v42, v109
	v_add_f32_e32 v48, v44, v45
	s_waitcnt vmcnt(10)
	v_fmac_f32_e32 v49, v43, v110
	ds_read2_b64 v[44:47], v1 offset0:103 offset1:104
	v_add_f32_e32 v53, v48, v49
	ds_read2_b64 v[48:51], v1 offset0:105 offset1:106
	buffer_load_dword v57, off, s[0:3], 0 offset:412
	buffer_load_dword v56, off, s[0:3], 0 offset:408
	;; [unrolled: 1-line block ×16, first 2 shown]
	v_mul_f32_e32 v5, v5, v52
	v_fma_f32 v4, v4, v83, -v5
	v_mul_f32_e32 v5, v7, v54
	v_add_f32_e32 v4, 0, v4
	v_fma_f32 v5, v6, v84, -v5
	v_add_f32_e32 v4, v4, v5
	v_mul_f32_e32 v5, v9, v62
	v_fma_f32 v5, v8, v85, -v5
	v_add_f32_e32 v4, v4, v5
	v_mul_f32_e32 v5, v11, v74
	;; [unrolled: 3-line block ×18, first 2 shown]
	v_fma_f32 v5, v42, v110, -v5
	v_add_f32_e32 v4, v4, v5
	s_waitcnt vmcnt(23) lgkmcnt(1)
	v_mul_f32_e32 v5, v45, v111
	s_waitcnt vmcnt(22)
	v_fma_f32 v5, v44, v112, -v5
	v_add_f32_e32 v4, v4, v5
	s_waitcnt vmcnt(20)
	v_mul_f32_e32 v5, v47, v114
	v_mul_f32_e32 v55, v44, v111
	v_fma_f32 v5, v46, v113, -v5
	v_fmac_f32_e32 v55, v45, v112
	v_add_f32_e32 v52, v4, v5
	s_waitcnt vmcnt(18) lgkmcnt(0)
	v_mul_f32_e32 v4, v49, v116
	v_add_f32_e32 v53, v53, v55
	v_mul_f32_e32 v55, v46, v114
	v_fma_f32 v54, v48, v115, -v4
	s_waitcnt vmcnt(16)
	v_mul_f32_e32 v4, v51, v118
	v_fmac_f32_e32 v55, v47, v113
	v_fma_f32 v62, v50, v117, -v4
	ds_read2_b64 v[4:7], v1 offset0:107 offset1:108
	ds_read2_b64 v[8:11], v1 offset0:109 offset1:110
	;; [unrolled: 1-line block ×4, first 2 shown]
	v_add_f32_e32 v53, v53, v55
	v_mul_f32_e32 v55, v48, v116
	s_waitcnt vmcnt(11)
	v_mov_b32_e32 v22, v61
	v_fmac_f32_e32 v55, v49, v115
	v_mul_f32_e32 v63, v50, v118
	s_waitcnt lgkmcnt(3)
	v_pk_mul_f32 v[22:23], v[4:5], v[22:23] op_sel_hi:[1,0]
	v_fmac_f32_e32 v63, v51, v117
	v_pk_add_f32 v[20:21], v[52:53], v[54:55]
	s_waitcnt vmcnt(10)
	v_pk_fma_f32 v[24:25], v[4:5], v[60:61], v[22:23] op_sel:[0,0,1] op_sel_hi:[1,1,0] neg_lo:[0,0,1] neg_hi:[0,0,1]
	v_pk_fma_f32 v[4:5], v[4:5], v[60:61], v[22:23] op_sel:[0,0,1] op_sel_hi:[1,0,0]
	v_pk_add_f32 v[20:21], v[20:21], v[62:63]
	v_mov_b32_e32 v25, v5
	v_pk_add_f32 v[4:5], v[20:21], v[24:25]
	v_mov_b32_e32 v20, v59
	v_pk_mul_f32 v[20:21], v[6:7], v[20:21] op_sel_hi:[1,0]
	v_pk_fma_f32 v[22:23], v[6:7], v[58:59], v[20:21] op_sel:[0,0,1] op_sel_hi:[1,1,0] neg_lo:[0,0,1] neg_hi:[0,0,1]
	v_pk_fma_f32 v[6:7], v[6:7], v[58:59], v[20:21] op_sel:[0,0,1] op_sel_hi:[1,0,0]
	v_mov_b32_e32 v6, v57
	v_mov_b32_e32 v23, v7
	s_waitcnt lgkmcnt(2)
	v_pk_mul_f32 v[6:7], v[8:9], v[6:7] op_sel_hi:[1,0]
	v_pk_fma_f32 v[20:21], v[8:9], v[56:57], v[6:7] op_sel:[0,0,1] op_sel_hi:[1,1,0] neg_lo:[0,0,1] neg_hi:[0,0,1]
	v_pk_fma_f32 v[6:7], v[8:9], v[56:57], v[6:7] op_sel:[0,0,1] op_sel_hi:[1,0,0]
	s_waitcnt vmcnt(3)
	v_mov_b32_e32 v6, v71
	v_mov_b32_e32 v21, v7
	v_pk_mul_f32 v[6:7], v[10:11], v[6:7] op_sel_hi:[1,0]
	s_waitcnt vmcnt(2)
	v_pk_fma_f32 v[8:9], v[10:11], v[70:71], v[6:7] op_sel:[0,0,1] op_sel_hi:[1,1,0] neg_lo:[0,0,1] neg_hi:[0,0,1]
	v_pk_fma_f32 v[6:7], v[10:11], v[70:71], v[6:7] op_sel:[0,0,1] op_sel_hi:[1,0,0]
	v_pk_add_f32 v[4:5], v[4:5], v[22:23]
	v_mov_b32_e32 v6, v69
	v_pk_add_f32 v[4:5], v[4:5], v[20:21]
	v_mov_b32_e32 v9, v7
	s_waitcnt lgkmcnt(1)
	v_pk_mul_f32 v[6:7], v[12:13], v[6:7] op_sel_hi:[1,0]
	v_pk_add_f32 v[4:5], v[4:5], v[8:9]
	v_pk_fma_f32 v[8:9], v[12:13], v[68:69], v[6:7] op_sel:[0,0,1] op_sel_hi:[1,1,0] neg_lo:[0,0,1] neg_hi:[0,0,1]
	v_pk_fma_f32 v[6:7], v[12:13], v[68:69], v[6:7] op_sel:[0,0,1] op_sel_hi:[1,0,0]
	v_mov_b32_e32 v6, v67
	v_mov_b32_e32 v9, v7
	v_pk_mul_f32 v[6:7], v[14:15], v[6:7] op_sel_hi:[1,0]
	v_pk_add_f32 v[4:5], v[4:5], v[8:9]
	v_pk_fma_f32 v[8:9], v[14:15], v[66:67], v[6:7] op_sel:[0,0,1] op_sel_hi:[1,1,0] neg_lo:[0,0,1] neg_hi:[0,0,1]
	v_pk_fma_f32 v[6:7], v[14:15], v[66:67], v[6:7] op_sel:[0,0,1] op_sel_hi:[1,0,0]
	v_mov_b32_e32 v6, v65
	v_mov_b32_e32 v9, v7
	s_waitcnt lgkmcnt(0)
	v_pk_mul_f32 v[6:7], v[16:17], v[6:7] op_sel_hi:[1,0]
	v_pk_add_f32 v[4:5], v[4:5], v[8:9]
	v_pk_fma_f32 v[8:9], v[16:17], v[64:65], v[6:7] op_sel:[0,0,1] op_sel_hi:[1,1,0] neg_lo:[0,0,1] neg_hi:[0,0,1]
	v_pk_fma_f32 v[6:7], v[16:17], v[64:65], v[6:7] op_sel:[0,0,1] op_sel_hi:[1,0,0]
	s_waitcnt vmcnt(1)
	v_mov_b32_e32 v6, v73
	v_mov_b32_e32 v9, v7
	v_pk_mul_f32 v[6:7], v[18:19], v[6:7] op_sel_hi:[1,0]
	v_pk_add_f32 v[4:5], v[4:5], v[8:9]
	s_waitcnt vmcnt(0)
	v_pk_fma_f32 v[8:9], v[18:19], v[72:73], v[6:7] op_sel:[0,0,1] op_sel_hi:[1,1,0] neg_lo:[0,0,1] neg_hi:[0,0,1]
	v_pk_fma_f32 v[6:7], v[18:19], v[72:73], v[6:7] op_sel:[0,0,1] op_sel_hi:[1,0,0]
	v_mov_b32_e32 v9, v7
	v_pk_add_f32 v[4:5], v[4:5], v[8:9]
	v_pk_add_f32 v[2:3], v[2:3], v[4:5] neg_lo:[0,1] neg_hi:[0,1]
	buffer_store_dword v3, off, s[0:3], 0 offset:196
	buffer_store_dword v2, off, s[0:3], 0 offset:192
	s_and_saveexec_b64 s[4:5], vcc
	s_cbranch_execz .LBB56_309
; %bb.308:
	buffer_load_dword v2, off, s[0:3], 0 offset:184
	buffer_load_dword v3, off, s[0:3], 0 offset:188
	v_mov_b32_e32 v1, 0
	buffer_store_dword v1, off, s[0:3], 0 offset:184
	buffer_store_dword v1, off, s[0:3], 0 offset:188
	s_waitcnt vmcnt(2)
	ds_write_b64 v165, v[2:3]
.LBB56_309:
	s_or_b64 exec, exec, s[4:5]
	s_waitcnt lgkmcnt(0)
	; wave barrier
	s_waitcnt lgkmcnt(0)
	buffer_load_dword v60, off, s[0:3], 0 offset:196
	buffer_load_dword v66, off, s[0:3], 0 offset:204
	buffer_load_dword v68, off, s[0:3], 0 offset:212
	buffer_load_dword v82, off, s[0:3], 0 offset:220
	buffer_load_dword v83, off, s[0:3], 0 offset:228
	buffer_load_dword v84, off, s[0:3], 0 offset:236
	buffer_load_dword v85, off, s[0:3], 0 offset:244
	buffer_load_dword v86, off, s[0:3], 0 offset:252
	buffer_load_dword v87, off, s[0:3], 0 offset:260
	buffer_load_dword v88, off, s[0:3], 0 offset:268
	buffer_load_dword v89, off, s[0:3], 0 offset:276
	buffer_load_dword v90, off, s[0:3], 0 offset:192
	buffer_load_dword v91, off, s[0:3], 0 offset:200
	buffer_load_dword v92, off, s[0:3], 0 offset:208
	buffer_load_dword v93, off, s[0:3], 0 offset:216
	buffer_load_dword v94, off, s[0:3], 0 offset:224
	buffer_load_dword v95, off, s[0:3], 0 offset:232
	buffer_load_dword v96, off, s[0:3], 0 offset:240
	buffer_load_dword v97, off, s[0:3], 0 offset:248
	buffer_load_dword v98, off, s[0:3], 0 offset:256
	buffer_load_dword v99, off, s[0:3], 0 offset:264
	buffer_load_dword v100, off, s[0:3], 0 offset:272
	buffer_load_dword v101, off, s[0:3], 0 offset:284
	buffer_load_dword v102, off, s[0:3], 0 offset:280
	buffer_load_dword v103, off, s[0:3], 0 offset:292
	buffer_load_dword v104, off, s[0:3], 0 offset:288
	buffer_load_dword v105, off, s[0:3], 0 offset:300
	buffer_load_dword v106, off, s[0:3], 0 offset:296
	buffer_load_dword v107, off, s[0:3], 0 offset:308
	buffer_load_dword v108, off, s[0:3], 0 offset:304
	buffer_load_dword v109, off, s[0:3], 0 offset:316
	buffer_load_dword v110, off, s[0:3], 0 offset:312
	buffer_load_dword v111, off, s[0:3], 0 offset:324
	buffer_load_dword v112, off, s[0:3], 0 offset:320
	buffer_load_dword v113, off, s[0:3], 0 offset:332
	buffer_load_dword v114, off, s[0:3], 0 offset:328
	buffer_load_dword v115, off, s[0:3], 0 offset:336
	buffer_load_dword v116, off, s[0:3], 0 offset:340
	buffer_load_dword v2, off, s[0:3], 0 offset:184
	buffer_load_dword v3, off, s[0:3], 0 offset:188
	buffer_load_dword v117, off, s[0:3], 0 offset:344
	buffer_load_dword v118, off, s[0:3], 0 offset:348
	buffer_load_dword v119, off, s[0:3], 0 offset:352
	buffer_load_dword v120, off, s[0:3], 0 offset:356
	buffer_load_dword v121, off, s[0:3], 0 offset:360
	buffer_load_dword v122, off, s[0:3], 0 offset:364
	buffer_load_dword v123, off, s[0:3], 0 offset:368
	buffer_load_dword v124, off, s[0:3], 0 offset:372
	buffer_load_dword v125, off, s[0:3], 0 offset:376
	buffer_load_dword v126, off, s[0:3], 0 offset:380
	buffer_load_dword v127, off, s[0:3], 0 offset:384
	buffer_load_dword v128, off, s[0:3], 0 offset:388
	v_mov_b32_e32 v1, 0
	ds_read_b128 v[4:7], v1 offset:656
	ds_read_b128 v[8:11], v1 offset:672
	;; [unrolled: 1-line block ×6, first 2 shown]
	v_cmp_lt_u32_e32 vcc, 22, v0
	s_waitcnt vmcnt(51) lgkmcnt(5)
	v_mul_f32_e32 v28, v4, v60
	s_waitcnt vmcnt(50)
	v_mul_f32_e32 v29, v6, v66
	s_waitcnt vmcnt(49) lgkmcnt(4)
	v_mul_f32_e32 v30, v8, v68
	s_waitcnt vmcnt(48)
	v_mul_f32_e32 v31, v10, v82
	;; [unrolled: 4-line block ×5, first 2 shown]
	s_waitcnt vmcnt(41) lgkmcnt(0)
	v_mul_f32_e32 v38, v24, v89
	s_waitcnt vmcnt(40)
	v_fmac_f32_e32 v28, v5, v90
	s_waitcnt vmcnt(39)
	v_fmac_f32_e32 v29, v7, v91
	v_add_f32_e32 v28, 0, v28
	s_waitcnt vmcnt(38)
	v_fmac_f32_e32 v30, v9, v92
	v_add_f32_e32 v28, v28, v29
	;; [unrolled: 3-line block ×9, first 2 shown]
	v_add_f32_e32 v28, v28, v37
	s_waitcnt vmcnt(30)
	v_fmac_f32_e32 v38, v25, v100
	v_add_f32_e32 v32, v28, v38
	ds_read_b128 v[28:31], v1 offset:752
	s_waitcnt vmcnt(29)
	v_mul_f32_e32 v33, v26, v101
	s_waitcnt vmcnt(28)
	v_fmac_f32_e32 v33, v27, v102
	v_add_f32_e32 v36, v32, v33
	ds_read_b128 v[32:35], v1 offset:768
	s_waitcnt vmcnt(27) lgkmcnt(1)
	v_mul_f32_e32 v37, v28, v103
	s_waitcnt vmcnt(26)
	v_fmac_f32_e32 v37, v29, v104
	v_add_f32_e32 v36, v36, v37
	s_waitcnt vmcnt(25)
	v_mul_f32_e32 v37, v30, v105
	s_waitcnt vmcnt(24)
	v_fmac_f32_e32 v37, v31, v106
	v_add_f32_e32 v36, v36, v37
	s_waitcnt vmcnt(23) lgkmcnt(0)
	v_mul_f32_e32 v37, v32, v107
	s_waitcnt vmcnt(22)
	v_fmac_f32_e32 v37, v33, v108
	v_add_f32_e32 v40, v36, v37
	ds_read_b128 v[36:39], v1 offset:784
	s_waitcnt vmcnt(21)
	v_mul_f32_e32 v41, v34, v109
	s_waitcnt vmcnt(20)
	v_fmac_f32_e32 v41, v35, v110
	v_add_f32_e32 v44, v40, v41
	ds_read_b128 v[40:43], v1 offset:800
	s_waitcnt vmcnt(19) lgkmcnt(1)
	v_mul_f32_e32 v45, v36, v111
	s_waitcnt vmcnt(18)
	v_fmac_f32_e32 v45, v37, v112
	v_add_f32_e32 v44, v44, v45
	s_waitcnt vmcnt(17)
	v_mul_f32_e32 v45, v38, v113
	s_waitcnt vmcnt(16)
	v_fmac_f32_e32 v45, v39, v114
	v_add_f32_e32 v44, v44, v45
	s_waitcnt vmcnt(14) lgkmcnt(0)
	v_mul_f32_e32 v45, v40, v116
	v_fmac_f32_e32 v45, v41, v115
	v_add_f32_e32 v48, v44, v45
	ds_read_b128 v[44:47], v1 offset:816
	s_waitcnt vmcnt(10)
	v_mul_f32_e32 v49, v42, v118
	v_fmac_f32_e32 v49, v43, v117
	v_add_f32_e32 v52, v48, v49
	ds_read_b128 v[48:51], v1 offset:832
	s_waitcnt vmcnt(8) lgkmcnt(1)
	v_mul_f32_e32 v53, v44, v120
	v_fmac_f32_e32 v53, v45, v119
	v_add_f32_e32 v52, v52, v53
	s_waitcnt vmcnt(6)
	v_mul_f32_e32 v53, v46, v122
	v_fmac_f32_e32 v53, v47, v121
	v_add_f32_e32 v52, v52, v53
	s_waitcnt vmcnt(4) lgkmcnt(0)
	v_mul_f32_e32 v53, v48, v124
	v_fmac_f32_e32 v53, v49, v123
	v_add_f32_e32 v61, v52, v53
	ds_read_b128 v[52:55], v1 offset:848
	buffer_load_dword v63, off, s[0:3], 0 offset:404
	buffer_load_dword v62, off, s[0:3], 0 offset:400
	;; [unrolled: 1-line block ×4, first 2 shown]
	ds_read_b128 v[56:59], v1 offset:864
	buffer_load_dword v71, off, s[0:3], 0 offset:436
	buffer_load_dword v70, off, s[0:3], 0 offset:432
	;; [unrolled: 1-line block ×12, first 2 shown]
	v_mul_f32_e32 v5, v5, v60
	v_fma_f32 v4, v4, v90, -v5
	v_mul_f32_e32 v5, v7, v66
	v_add_f32_e32 v4, 0, v4
	v_fma_f32 v5, v6, v91, -v5
	v_add_f32_e32 v4, v4, v5
	v_mul_f32_e32 v5, v9, v68
	v_fma_f32 v5, v8, v92, -v5
	v_add_f32_e32 v4, v4, v5
	v_mul_f32_e32 v5, v11, v82
	v_fma_f32 v5, v10, v93, -v5
	v_add_f32_e32 v4, v4, v5
	v_mul_f32_e32 v5, v13, v83
	v_fma_f32 v5, v12, v94, -v5
	v_add_f32_e32 v4, v4, v5
	v_mul_f32_e32 v5, v15, v84
	v_fma_f32 v5, v14, v95, -v5
	v_add_f32_e32 v4, v4, v5
	v_mul_f32_e32 v5, v17, v85
	v_fma_f32 v5, v16, v96, -v5
	v_add_f32_e32 v4, v4, v5
	v_mul_f32_e32 v5, v19, v86
	v_fma_f32 v5, v18, v97, -v5
	v_add_f32_e32 v4, v4, v5
	v_mul_f32_e32 v5, v21, v87
	v_fma_f32 v5, v20, v98, -v5
	v_add_f32_e32 v4, v4, v5
	v_mul_f32_e32 v5, v23, v88
	v_fma_f32 v5, v22, v99, -v5
	v_add_f32_e32 v4, v4, v5
	v_mul_f32_e32 v5, v25, v89
	v_fma_f32 v5, v24, v100, -v5
	v_add_f32_e32 v4, v4, v5
	v_mul_f32_e32 v5, v27, v101
	v_fma_f32 v5, v26, v102, -v5
	v_add_f32_e32 v4, v4, v5
	v_mul_f32_e32 v5, v29, v103
	v_fma_f32 v5, v28, v104, -v5
	v_add_f32_e32 v4, v4, v5
	v_mul_f32_e32 v5, v31, v105
	v_fma_f32 v5, v30, v106, -v5
	v_add_f32_e32 v4, v4, v5
	v_mul_f32_e32 v5, v33, v107
	v_fma_f32 v5, v32, v108, -v5
	v_add_f32_e32 v4, v4, v5
	v_mul_f32_e32 v5, v35, v109
	v_fma_f32 v5, v34, v110, -v5
	v_add_f32_e32 v4, v4, v5
	v_mul_f32_e32 v5, v37, v111
	v_fma_f32 v5, v36, v112, -v5
	v_add_f32_e32 v4, v4, v5
	v_mul_f32_e32 v5, v39, v113
	v_fma_f32 v5, v38, v114, -v5
	v_add_f32_e32 v4, v4, v5
	v_mul_f32_e32 v5, v41, v116
	v_fma_f32 v5, v40, v115, -v5
	v_add_f32_e32 v4, v4, v5
	v_mul_f32_e32 v5, v43, v118
	v_fma_f32 v5, v42, v117, -v5
	v_add_f32_e32 v4, v4, v5
	v_mul_f32_e32 v5, v45, v120
	v_fma_f32 v5, v44, v119, -v5
	v_add_f32_e32 v4, v4, v5
	v_mul_f32_e32 v5, v47, v122
	v_fma_f32 v5, v46, v121, -v5
	v_add_f32_e32 v4, v4, v5
	v_mul_f32_e32 v5, v49, v124
	v_fma_f32 v5, v48, v123, -v5
	s_waitcnt vmcnt(18)
	v_mul_f32_e32 v67, v50, v126
	v_add_f32_e32 v60, v4, v5
	v_mul_f32_e32 v4, v51, v126
	v_fmac_f32_e32 v67, v51, v125
	s_waitcnt vmcnt(16) lgkmcnt(1)
	v_mul_f32_e32 v69, v52, v128
	v_fma_f32 v66, v50, v125, -v4
	v_mul_f32_e32 v4, v53, v128
	v_fmac_f32_e32 v69, v53, v127
	s_waitcnt vmcnt(13)
	v_mov_b32_e32 v16, v65
	v_pk_mul_f32 v[16:17], v[54:55], v[16:17] op_sel_hi:[1,0]
	s_waitcnt vmcnt(12)
	v_pk_fma_f32 v[18:19], v[54:55], v[64:65], v[16:17] op_sel:[0,0,1] op_sel_hi:[1,1,0] neg_lo:[0,0,1] neg_hi:[0,0,1]
	v_pk_fma_f32 v[16:17], v[54:55], v[64:65], v[16:17] op_sel:[0,0,1] op_sel_hi:[1,0,0]
	v_fma_f32 v68, v52, v127, -v4
	v_pk_add_f32 v[14:15], v[60:61], v[66:67]
	v_mov_b32_e32 v16, v63
	v_pk_add_f32 v[14:15], v[14:15], v[68:69]
	v_mov_b32_e32 v19, v17
	s_waitcnt lgkmcnt(0)
	v_pk_mul_f32 v[16:17], v[56:57], v[16:17] op_sel_hi:[1,0]
	v_pk_add_f32 v[14:15], v[14:15], v[18:19]
	v_pk_fma_f32 v[18:19], v[56:57], v[62:63], v[16:17] op_sel:[0,0,1] op_sel_hi:[1,1,0] neg_lo:[0,0,1] neg_hi:[0,0,1]
	v_pk_fma_f32 v[16:17], v[56:57], v[62:63], v[16:17] op_sel:[0,0,1] op_sel_hi:[1,0,0]
	s_waitcnt vmcnt(5)
	v_mov_b32_e32 v16, v77
	ds_read_b128 v[4:7], v1 offset:880
	ds_read_b128 v[8:11], v1 offset:896
	ds_read_b64 v[12:13], v1 offset:912
	v_mov_b32_e32 v19, v17
	v_pk_mul_f32 v[16:17], v[58:59], v[16:17] op_sel_hi:[1,0]
	v_pk_add_f32 v[14:15], v[14:15], v[18:19]
	s_waitcnt vmcnt(4)
	v_pk_fma_f32 v[18:19], v[58:59], v[76:77], v[16:17] op_sel:[0,0,1] op_sel_hi:[1,1,0] neg_lo:[0,0,1] neg_hi:[0,0,1]
	v_pk_fma_f32 v[16:17], v[58:59], v[76:77], v[16:17] op_sel:[0,0,1] op_sel_hi:[1,0,0]
	v_mov_b32_e32 v16, v75
	v_mov_b32_e32 v19, v17
	s_waitcnt lgkmcnt(2)
	v_pk_mul_f32 v[16:17], v[4:5], v[16:17] op_sel_hi:[1,0]
	v_pk_add_f32 v[14:15], v[14:15], v[18:19]
	v_pk_fma_f32 v[18:19], v[4:5], v[74:75], v[16:17] op_sel:[0,0,1] op_sel_hi:[1,1,0] neg_lo:[0,0,1] neg_hi:[0,0,1]
	v_pk_fma_f32 v[4:5], v[4:5], v[74:75], v[16:17] op_sel:[0,0,1] op_sel_hi:[1,0,0]
	v_mov_b32_e32 v19, v5
	v_pk_add_f32 v[4:5], v[14:15], v[18:19]
	v_mov_b32_e32 v14, v73
	v_pk_mul_f32 v[14:15], v[6:7], v[14:15] op_sel_hi:[1,0]
	v_pk_fma_f32 v[16:17], v[6:7], v[72:73], v[14:15] op_sel:[0,0,1] op_sel_hi:[1,1,0] neg_lo:[0,0,1] neg_hi:[0,0,1]
	v_pk_fma_f32 v[6:7], v[6:7], v[72:73], v[14:15] op_sel:[0,0,1] op_sel_hi:[1,0,0]
	v_mov_b32_e32 v6, v71
	v_mov_b32_e32 v17, v7
	s_waitcnt lgkmcnt(1)
	v_pk_mul_f32 v[6:7], v[8:9], v[6:7] op_sel_hi:[1,0]
	v_pk_fma_f32 v[14:15], v[8:9], v[70:71], v[6:7] op_sel:[0,0,1] op_sel_hi:[1,1,0] neg_lo:[0,0,1] neg_hi:[0,0,1]
	v_pk_fma_f32 v[6:7], v[8:9], v[70:71], v[6:7] op_sel:[0,0,1] op_sel_hi:[1,0,0]
	s_waitcnt vmcnt(1)
	v_mov_b32_e32 v6, v81
	v_mov_b32_e32 v15, v7
	v_pk_mul_f32 v[6:7], v[10:11], v[6:7] op_sel_hi:[1,0]
	s_waitcnt vmcnt(0)
	v_pk_fma_f32 v[8:9], v[10:11], v[80:81], v[6:7] op_sel:[0,0,1] op_sel_hi:[1,1,0] neg_lo:[0,0,1] neg_hi:[0,0,1]
	v_pk_fma_f32 v[6:7], v[10:11], v[80:81], v[6:7] op_sel:[0,0,1] op_sel_hi:[1,0,0]
	v_pk_add_f32 v[4:5], v[4:5], v[16:17]
	v_mov_b32_e32 v6, v79
	v_pk_add_f32 v[4:5], v[4:5], v[14:15]
	v_mov_b32_e32 v9, v7
	s_waitcnt lgkmcnt(0)
	v_pk_mul_f32 v[6:7], v[12:13], v[6:7] op_sel_hi:[1,0]
	v_pk_add_f32 v[4:5], v[4:5], v[8:9]
	v_pk_fma_f32 v[8:9], v[12:13], v[78:79], v[6:7] op_sel:[0,0,1] op_sel_hi:[1,1,0] neg_lo:[0,0,1] neg_hi:[0,0,1]
	v_pk_fma_f32 v[6:7], v[12:13], v[78:79], v[6:7] op_sel:[0,0,1] op_sel_hi:[1,0,0]
	v_mov_b32_e32 v9, v7
	v_pk_add_f32 v[4:5], v[4:5], v[8:9]
	v_pk_add_f32 v[2:3], v[2:3], v[4:5] neg_lo:[0,1] neg_hi:[0,1]
	buffer_store_dword v3, off, s[0:3], 0 offset:188
	buffer_store_dword v2, off, s[0:3], 0 offset:184
	s_and_saveexec_b64 s[4:5], vcc
	s_cbranch_execz .LBB56_311
; %bb.310:
	buffer_load_dword v2, off, s[0:3], 0 offset:176
	buffer_load_dword v3, off, s[0:3], 0 offset:180
	s_waitcnt vmcnt(0)
	ds_write_b64 v165, v[2:3]
	buffer_store_dword v1, off, s[0:3], 0 offset:176
	buffer_store_dword v1, off, s[0:3], 0 offset:180
.LBB56_311:
	s_or_b64 exec, exec, s[4:5]
	s_waitcnt lgkmcnt(0)
	; wave barrier
	s_waitcnt lgkmcnt(0)
	buffer_load_dword v62, off, s[0:3], 0 offset:188
	buffer_load_dword v64, off, s[0:3], 0 offset:196
	buffer_load_dword v66, off, s[0:3], 0 offset:204
	buffer_load_dword v82, off, s[0:3], 0 offset:212
	buffer_load_dword v83, off, s[0:3], 0 offset:220
	buffer_load_dword v84, off, s[0:3], 0 offset:228
	buffer_load_dword v85, off, s[0:3], 0 offset:236
	buffer_load_dword v86, off, s[0:3], 0 offset:244
	buffer_load_dword v87, off, s[0:3], 0 offset:252
	buffer_load_dword v88, off, s[0:3], 0 offset:260
	buffer_load_dword v89, off, s[0:3], 0 offset:184
	buffer_load_dword v90, off, s[0:3], 0 offset:192
	buffer_load_dword v91, off, s[0:3], 0 offset:200
	buffer_load_dword v92, off, s[0:3], 0 offset:208
	buffer_load_dword v93, off, s[0:3], 0 offset:216
	buffer_load_dword v94, off, s[0:3], 0 offset:224
	buffer_load_dword v95, off, s[0:3], 0 offset:232
	buffer_load_dword v96, off, s[0:3], 0 offset:240
	buffer_load_dword v97, off, s[0:3], 0 offset:248
	buffer_load_dword v98, off, s[0:3], 0 offset:256
	buffer_load_dword v99, off, s[0:3], 0 offset:268
	buffer_load_dword v100, off, s[0:3], 0 offset:264
	buffer_load_dword v101, off, s[0:3], 0 offset:276
	buffer_load_dword v102, off, s[0:3], 0 offset:272
	buffer_load_dword v103, off, s[0:3], 0 offset:284
	buffer_load_dword v104, off, s[0:3], 0 offset:280
	buffer_load_dword v105, off, s[0:3], 0 offset:292
	buffer_load_dword v106, off, s[0:3], 0 offset:288
	buffer_load_dword v107, off, s[0:3], 0 offset:300
	buffer_load_dword v108, off, s[0:3], 0 offset:296
	buffer_load_dword v109, off, s[0:3], 0 offset:308
	buffer_load_dword v110, off, s[0:3], 0 offset:304
	buffer_load_dword v111, off, s[0:3], 0 offset:316
	buffer_load_dword v112, off, s[0:3], 0 offset:312
	buffer_load_dword v113, off, s[0:3], 0 offset:320
	buffer_load_dword v114, off, s[0:3], 0 offset:324
	buffer_load_dword v2, off, s[0:3], 0 offset:176
	buffer_load_dword v3, off, s[0:3], 0 offset:180
	buffer_load_dword v115, off, s[0:3], 0 offset:332
	buffer_load_dword v116, off, s[0:3], 0 offset:328
	buffer_load_dword v117, off, s[0:3], 0 offset:336
	buffer_load_dword v118, off, s[0:3], 0 offset:340
	ds_read2_b64 v[4:7], v1 offset0:81 offset1:82
	ds_read2_b64 v[8:11], v1 offset0:83 offset1:84
	buffer_load_dword v119, off, s[0:3], 0 offset:344
	buffer_load_dword v120, off, s[0:3], 0 offset:348
	ds_read2_b64 v[12:15], v1 offset0:85 offset1:86
	ds_read2_b64 v[16:19], v1 offset0:87 offset1:88
	buffer_load_dword v121, off, s[0:3], 0 offset:352
	buffer_load_dword v122, off, s[0:3], 0 offset:356
	;; [unrolled: 1-line block ×4, first 2 shown]
	ds_read2_b64 v[20:23], v1 offset0:89 offset1:90
	ds_read2_b64 v[24:27], v1 offset0:91 offset1:92
	buffer_load_dword v125, off, s[0:3], 0 offset:368
	buffer_load_dword v126, off, s[0:3], 0 offset:372
	;; [unrolled: 1-line block ×6, first 2 shown]
	v_cmp_lt_u32_e32 vcc, 21, v0
	s_waitcnt vmcnt(53) lgkmcnt(5)
	v_mul_f32_e32 v28, v4, v62
	s_waitcnt vmcnt(52)
	v_mul_f32_e32 v29, v6, v64
	s_waitcnt vmcnt(51) lgkmcnt(4)
	v_mul_f32_e32 v30, v8, v66
	s_waitcnt vmcnt(50)
	v_mul_f32_e32 v31, v10, v82
	;; [unrolled: 4-line block ×5, first 2 shown]
	s_waitcnt vmcnt(43)
	v_fmac_f32_e32 v28, v5, v89
	s_waitcnt vmcnt(42)
	v_fmac_f32_e32 v29, v7, v90
	v_add_f32_e32 v28, 0, v28
	s_waitcnt vmcnt(41)
	v_fmac_f32_e32 v30, v9, v91
	v_add_f32_e32 v28, v28, v29
	;; [unrolled: 3-line block ×9, first 2 shown]
	s_waitcnt vmcnt(33) lgkmcnt(0)
	v_mul_f32_e32 v29, v24, v99
	v_add_f32_e32 v28, v28, v37
	s_waitcnt vmcnt(32)
	v_fmac_f32_e32 v29, v25, v100
	v_add_f32_e32 v32, v28, v29
	ds_read2_b64 v[28:31], v1 offset0:93 offset1:94
	s_waitcnt vmcnt(31)
	v_mul_f32_e32 v33, v26, v101
	s_waitcnt vmcnt(30)
	v_fmac_f32_e32 v33, v27, v102
	v_add_f32_e32 v36, v32, v33
	ds_read2_b64 v[32:35], v1 offset0:95 offset1:96
	s_waitcnt vmcnt(29) lgkmcnt(1)
	v_mul_f32_e32 v37, v28, v103
	s_waitcnt vmcnt(28)
	v_fmac_f32_e32 v37, v29, v104
	v_add_f32_e32 v36, v36, v37
	s_waitcnt vmcnt(27)
	v_mul_f32_e32 v37, v30, v105
	s_waitcnt vmcnt(26)
	v_fmac_f32_e32 v37, v31, v106
	v_add_f32_e32 v36, v36, v37
	s_waitcnt vmcnt(25) lgkmcnt(0)
	v_mul_f32_e32 v37, v32, v107
	s_waitcnt vmcnt(24)
	v_fmac_f32_e32 v37, v33, v108
	v_add_f32_e32 v40, v36, v37
	ds_read2_b64 v[36:39], v1 offset0:97 offset1:98
	s_waitcnt vmcnt(23)
	v_mul_f32_e32 v41, v34, v109
	s_waitcnt vmcnt(22)
	v_fmac_f32_e32 v41, v35, v110
	v_add_f32_e32 v44, v40, v41
	ds_read2_b64 v[40:43], v1 offset0:99 offset1:100
	s_waitcnt vmcnt(21) lgkmcnt(1)
	v_mul_f32_e32 v45, v36, v111
	s_waitcnt vmcnt(20)
	v_fmac_f32_e32 v45, v37, v112
	v_add_f32_e32 v44, v44, v45
	s_waitcnt vmcnt(18)
	v_mul_f32_e32 v45, v38, v114
	v_fmac_f32_e32 v45, v39, v113
	v_add_f32_e32 v44, v44, v45
	s_waitcnt vmcnt(15) lgkmcnt(0)
	v_mul_f32_e32 v45, v40, v115
	s_waitcnt vmcnt(14)
	v_fmac_f32_e32 v45, v41, v116
	v_add_f32_e32 v48, v44, v45
	ds_read2_b64 v[44:47], v1 offset0:101 offset1:102
	s_waitcnt vmcnt(12)
	v_mul_f32_e32 v49, v42, v118
	v_fmac_f32_e32 v49, v43, v117
	v_add_f32_e32 v52, v48, v49
	ds_read2_b64 v[48:51], v1 offset0:103 offset1:104
	buffer_load_dword v61, off, s[0:3], 0 offset:396
	buffer_load_dword v60, off, s[0:3], 0 offset:392
	s_waitcnt vmcnt(12) lgkmcnt(1)
	v_mul_f32_e32 v53, v44, v120
	v_fmac_f32_e32 v53, v45, v119
	v_add_f32_e32 v52, v52, v53
	s_waitcnt vmcnt(10)
	v_mul_f32_e32 v53, v46, v122
	v_fmac_f32_e32 v53, v47, v121
	v_add_f32_e32 v52, v52, v53
	s_waitcnt vmcnt(8) lgkmcnt(0)
	v_mul_f32_e32 v53, v48, v124
	v_fmac_f32_e32 v53, v49, v123
	s_waitcnt vmcnt(6)
	v_mul_f32_e32 v57, v50, v126
	v_add_f32_e32 v56, v52, v53
	v_fmac_f32_e32 v57, v51, v125
	ds_read2_b64 v[52:55], v1 offset0:105 offset1:106
	v_add_f32_e32 v63, v56, v57
	ds_read2_b64 v[56:59], v1 offset0:107 offset1:108
	buffer_load_dword v69, off, s[0:3], 0 offset:428
	buffer_load_dword v68, off, s[0:3], 0 offset:424
	;; [unrolled: 1-line block ×14, first 2 shown]
	v_mul_f32_e32 v5, v5, v62
	v_fma_f32 v4, v4, v89, -v5
	v_mul_f32_e32 v5, v7, v64
	v_add_f32_e32 v4, 0, v4
	v_fma_f32 v5, v6, v90, -v5
	v_add_f32_e32 v4, v4, v5
	v_mul_f32_e32 v5, v9, v66
	v_fma_f32 v5, v8, v91, -v5
	v_add_f32_e32 v4, v4, v5
	v_mul_f32_e32 v5, v11, v82
	;; [unrolled: 3-line block ×22, first 2 shown]
	v_fma_f32 v5, v50, v125, -v5
	s_waitcnt vmcnt(15)
	v_mov_b32_e32 v18, v61
	s_waitcnt lgkmcnt(1)
	v_mul_f32_e32 v65, v52, v128
	v_add_f32_e32 v62, v4, v5
	v_mul_f32_e32 v4, v53, v128
	s_waitcnt lgkmcnt(0)
	v_pk_mul_f32 v[18:19], v[56:57], v[18:19] op_sel_hi:[1,0]
	v_fmac_f32_e32 v65, v53, v127
	v_mul_f32_e32 v67, v54, v130
	v_fma_f32 v64, v52, v127, -v4
	v_mul_f32_e32 v4, v55, v130
	s_waitcnt vmcnt(14)
	v_pk_fma_f32 v[20:21], v[56:57], v[60:61], v[18:19] op_sel:[0,0,1] op_sel_hi:[1,1,0] neg_lo:[0,0,1] neg_hi:[0,0,1]
	v_pk_fma_f32 v[18:19], v[56:57], v[60:61], v[18:19] op_sel:[0,0,1] op_sel_hi:[1,0,0]
	v_fmac_f32_e32 v67, v55, v129
	v_fma_f32 v66, v54, v129, -v4
	v_pk_add_f32 v[16:17], v[62:63], v[64:65]
	s_waitcnt vmcnt(7)
	v_mov_b32_e32 v18, v75
	ds_read2_b64 v[4:7], v1 offset0:109 offset1:110
	ds_read2_b64 v[8:11], v1 offset0:111 offset1:112
	;; [unrolled: 1-line block ×3, first 2 shown]
	v_pk_add_f32 v[16:17], v[16:17], v[66:67]
	v_mov_b32_e32 v21, v19
	v_pk_mul_f32 v[18:19], v[58:59], v[18:19] op_sel_hi:[1,0]
	v_pk_add_f32 v[16:17], v[16:17], v[20:21]
	s_waitcnt vmcnt(6)
	v_pk_fma_f32 v[20:21], v[58:59], v[74:75], v[18:19] op_sel:[0,0,1] op_sel_hi:[1,1,0] neg_lo:[0,0,1] neg_hi:[0,0,1]
	v_pk_fma_f32 v[18:19], v[58:59], v[74:75], v[18:19] op_sel:[0,0,1] op_sel_hi:[1,0,0]
	v_mov_b32_e32 v18, v73
	v_mov_b32_e32 v21, v19
	s_waitcnt lgkmcnt(2)
	v_pk_mul_f32 v[18:19], v[4:5], v[18:19] op_sel_hi:[1,0]
	v_pk_add_f32 v[16:17], v[16:17], v[20:21]
	v_pk_fma_f32 v[20:21], v[4:5], v[72:73], v[18:19] op_sel:[0,0,1] op_sel_hi:[1,1,0] neg_lo:[0,0,1] neg_hi:[0,0,1]
	v_pk_fma_f32 v[4:5], v[4:5], v[72:73], v[18:19] op_sel:[0,0,1] op_sel_hi:[1,0,0]
	v_mov_b32_e32 v21, v5
	v_pk_add_f32 v[4:5], v[16:17], v[20:21]
	v_mov_b32_e32 v16, v71
	v_pk_mul_f32 v[16:17], v[6:7], v[16:17] op_sel_hi:[1,0]
	v_pk_fma_f32 v[18:19], v[6:7], v[70:71], v[16:17] op_sel:[0,0,1] op_sel_hi:[1,1,0] neg_lo:[0,0,1] neg_hi:[0,0,1]
	v_pk_fma_f32 v[6:7], v[6:7], v[70:71], v[16:17] op_sel:[0,0,1] op_sel_hi:[1,0,0]
	v_mov_b32_e32 v6, v69
	v_mov_b32_e32 v19, v7
	s_waitcnt lgkmcnt(1)
	v_pk_mul_f32 v[6:7], v[8:9], v[6:7] op_sel_hi:[1,0]
	v_pk_fma_f32 v[16:17], v[8:9], v[68:69], v[6:7] op_sel:[0,0,1] op_sel_hi:[1,1,0] neg_lo:[0,0,1] neg_hi:[0,0,1]
	v_pk_fma_f32 v[6:7], v[8:9], v[68:69], v[6:7] op_sel:[0,0,1] op_sel_hi:[1,0,0]
	s_waitcnt vmcnt(1)
	v_mov_b32_e32 v6, v81
	v_mov_b32_e32 v17, v7
	v_pk_mul_f32 v[6:7], v[10:11], v[6:7] op_sel_hi:[1,0]
	s_waitcnt vmcnt(0)
	v_pk_fma_f32 v[8:9], v[10:11], v[80:81], v[6:7] op_sel:[0,0,1] op_sel_hi:[1,1,0] neg_lo:[0,0,1] neg_hi:[0,0,1]
	v_pk_fma_f32 v[6:7], v[10:11], v[80:81], v[6:7] op_sel:[0,0,1] op_sel_hi:[1,0,0]
	v_pk_add_f32 v[4:5], v[4:5], v[18:19]
	v_mov_b32_e32 v6, v79
	v_pk_add_f32 v[4:5], v[4:5], v[16:17]
	v_mov_b32_e32 v9, v7
	s_waitcnt lgkmcnt(0)
	v_pk_mul_f32 v[6:7], v[12:13], v[6:7] op_sel_hi:[1,0]
	v_pk_add_f32 v[4:5], v[4:5], v[8:9]
	v_pk_fma_f32 v[8:9], v[12:13], v[78:79], v[6:7] op_sel:[0,0,1] op_sel_hi:[1,1,0] neg_lo:[0,0,1] neg_hi:[0,0,1]
	v_pk_fma_f32 v[6:7], v[12:13], v[78:79], v[6:7] op_sel:[0,0,1] op_sel_hi:[1,0,0]
	v_mov_b32_e32 v6, v77
	v_mov_b32_e32 v9, v7
	v_pk_mul_f32 v[6:7], v[14:15], v[6:7] op_sel_hi:[1,0]
	v_pk_add_f32 v[4:5], v[4:5], v[8:9]
	v_pk_fma_f32 v[8:9], v[14:15], v[76:77], v[6:7] op_sel:[0,0,1] op_sel_hi:[1,1,0] neg_lo:[0,0,1] neg_hi:[0,0,1]
	v_pk_fma_f32 v[6:7], v[14:15], v[76:77], v[6:7] op_sel:[0,0,1] op_sel_hi:[1,0,0]
	v_mov_b32_e32 v9, v7
	v_pk_add_f32 v[4:5], v[4:5], v[8:9]
	v_pk_add_f32 v[2:3], v[2:3], v[4:5] neg_lo:[0,1] neg_hi:[0,1]
	buffer_store_dword v3, off, s[0:3], 0 offset:180
	buffer_store_dword v2, off, s[0:3], 0 offset:176
	s_and_saveexec_b64 s[4:5], vcc
	s_cbranch_execz .LBB56_313
; %bb.312:
	buffer_load_dword v2, off, s[0:3], 0 offset:168
	buffer_load_dword v3, off, s[0:3], 0 offset:172
	v_mov_b32_e32 v1, 0
	buffer_store_dword v1, off, s[0:3], 0 offset:168
	buffer_store_dword v1, off, s[0:3], 0 offset:172
	s_waitcnt vmcnt(2)
	ds_write_b64 v165, v[2:3]
.LBB56_313:
	s_or_b64 exec, exec, s[4:5]
	s_waitcnt lgkmcnt(0)
	; wave barrier
	s_waitcnt lgkmcnt(0)
	buffer_load_dword v60, off, s[0:3], 0 offset:180
	buffer_load_dword v62, off, s[0:3], 0 offset:188
	;; [unrolled: 1-line block ×56, first 2 shown]
	v_mov_b32_e32 v1, 0
	ds_read_b128 v[4:7], v1 offset:640
	ds_read_b128 v[8:11], v1 offset:656
	ds_read_b128 v[12:15], v1 offset:672
	ds_read_b128 v[16:19], v1 offset:688
	ds_read_b128 v[20:23], v1 offset:704
	ds_read_b128 v[24:27], v1 offset:720
	v_cmp_lt_u32_e32 vcc, 20, v0
	s_waitcnt vmcnt(55) lgkmcnt(5)
	v_mul_f32_e32 v28, v4, v60
	s_waitcnt vmcnt(54)
	v_mul_f32_e32 v29, v6, v62
	s_waitcnt vmcnt(53) lgkmcnt(4)
	v_mul_f32_e32 v30, v8, v64
	s_waitcnt vmcnt(52)
	v_mul_f32_e32 v31, v10, v82
	;; [unrolled: 4-line block ×4, first 2 shown]
	s_waitcnt vmcnt(47) lgkmcnt(1)
	v_mul_f32_e32 v36, v20, v87
	s_waitcnt vmcnt(46)
	v_fmac_f32_e32 v28, v5, v88
	s_waitcnt vmcnt(45)
	v_fmac_f32_e32 v29, v7, v89
	v_add_f32_e32 v28, 0, v28
	s_waitcnt vmcnt(44)
	v_fmac_f32_e32 v30, v9, v90
	v_add_f32_e32 v28, v28, v29
	;; [unrolled: 3-line block ×7, first 2 shown]
	v_add_f32_e32 v28, v28, v35
	s_waitcnt vmcnt(38)
	v_fmac_f32_e32 v36, v21, v96
	s_waitcnt vmcnt(37)
	v_mul_f32_e32 v29, v22, v97
	v_add_f32_e32 v28, v28, v36
	s_waitcnt vmcnt(36)
	v_fmac_f32_e32 v29, v23, v98
	v_add_f32_e32 v28, v28, v29
	s_waitcnt vmcnt(35) lgkmcnt(0)
	v_mul_f32_e32 v29, v24, v99
	s_waitcnt vmcnt(34)
	v_fmac_f32_e32 v29, v25, v100
	v_add_f32_e32 v32, v28, v29
	ds_read_b128 v[28:31], v1 offset:736
	s_waitcnt vmcnt(33)
	v_mul_f32_e32 v33, v26, v101
	s_waitcnt vmcnt(32)
	v_fmac_f32_e32 v33, v27, v102
	v_add_f32_e32 v36, v32, v33
	ds_read_b128 v[32:35], v1 offset:752
	s_waitcnt vmcnt(31) lgkmcnt(1)
	v_mul_f32_e32 v37, v28, v103
	s_waitcnt vmcnt(30)
	v_fmac_f32_e32 v37, v29, v104
	v_add_f32_e32 v36, v36, v37
	s_waitcnt vmcnt(29)
	v_mul_f32_e32 v37, v30, v105
	s_waitcnt vmcnt(28)
	v_fmac_f32_e32 v37, v31, v106
	v_add_f32_e32 v36, v36, v37
	s_waitcnt vmcnt(27) lgkmcnt(0)
	v_mul_f32_e32 v37, v32, v107
	s_waitcnt vmcnt(26)
	v_fmac_f32_e32 v37, v33, v108
	v_add_f32_e32 v40, v36, v37
	ds_read_b128 v[36:39], v1 offset:768
	s_waitcnt vmcnt(24)
	v_mul_f32_e32 v41, v34, v110
	v_fmac_f32_e32 v41, v35, v109
	v_add_f32_e32 v44, v40, v41
	ds_read_b128 v[40:43], v1 offset:784
	s_waitcnt vmcnt(20) lgkmcnt(1)
	v_mul_f32_e32 v45, v36, v112
	v_fmac_f32_e32 v45, v37, v111
	v_add_f32_e32 v44, v44, v45
	s_waitcnt vmcnt(18)
	v_mul_f32_e32 v45, v38, v114
	v_fmac_f32_e32 v45, v39, v113
	v_add_f32_e32 v44, v44, v45
	s_waitcnt vmcnt(16) lgkmcnt(0)
	v_mul_f32_e32 v45, v40, v116
	v_fmac_f32_e32 v45, v41, v115
	v_add_f32_e32 v48, v44, v45
	ds_read_b128 v[44:47], v1 offset:800
	s_waitcnt vmcnt(14)
	v_mul_f32_e32 v49, v42, v118
	v_fmac_f32_e32 v49, v43, v117
	v_add_f32_e32 v52, v48, v49
	ds_read_b128 v[48:51], v1 offset:816
	s_waitcnt vmcnt(12) lgkmcnt(1)
	v_mul_f32_e32 v53, v44, v120
	v_fmac_f32_e32 v53, v45, v119
	v_add_f32_e32 v52, v52, v53
	s_waitcnt vmcnt(10)
	v_mul_f32_e32 v53, v46, v122
	v_fmac_f32_e32 v53, v47, v121
	v_add_f32_e32 v52, v52, v53
	s_waitcnt vmcnt(8) lgkmcnt(0)
	v_mul_f32_e32 v53, v48, v124
	v_fmac_f32_e32 v53, v49, v123
	s_waitcnt vmcnt(6)
	v_mul_f32_e32 v57, v50, v126
	v_add_f32_e32 v56, v52, v53
	v_fmac_f32_e32 v57, v51, v125
	ds_read_b128 v[52:55], v1 offset:832
	v_add_f32_e32 v61, v56, v57
	ds_read_b128 v[56:59], v1 offset:848
	buffer_load_dword v67, off, s[0:3], 0 offset:420
	buffer_load_dword v66, off, s[0:3], 0 offset:416
	;; [unrolled: 1-line block ×16, first 2 shown]
	v_mul_f32_e32 v5, v5, v60
	v_fma_f32 v4, v4, v88, -v5
	v_mul_f32_e32 v5, v7, v62
	v_add_f32_e32 v4, 0, v4
	v_fma_f32 v5, v6, v89, -v5
	v_add_f32_e32 v4, v4, v5
	v_mul_f32_e32 v5, v9, v64
	v_fma_f32 v5, v8, v90, -v5
	v_add_f32_e32 v4, v4, v5
	v_mul_f32_e32 v5, v11, v82
	;; [unrolled: 3-line block ×22, first 2 shown]
	v_fma_f32 v5, v50, v125, -v5
	v_add_f32_e32 v4, v4, v5
	s_waitcnt vmcnt(20) lgkmcnt(1)
	v_mul_f32_e32 v5, v53, v128
	v_mul_f32_e32 v63, v52, v128
	v_fma_f32 v5, v52, v127, -v5
	v_fmac_f32_e32 v63, v53, v127
	v_add_f32_e32 v60, v4, v5
	s_waitcnt vmcnt(18)
	v_mul_f32_e32 v4, v55, v130
	s_waitcnt vmcnt(9)
	v_mov_b32_e32 v20, v73
	v_add_f32_e32 v61, v61, v63
	v_mul_f32_e32 v63, v54, v130
	v_fma_f32 v62, v54, v129, -v4
	s_waitcnt lgkmcnt(0)
	v_mul_f32_e32 v4, v57, v132
	v_pk_mul_f32 v[20:21], v[58:59], v[20:21] op_sel_hi:[1,0]
	v_fmac_f32_e32 v63, v55, v129
	v_mul_f32_e32 v65, v56, v132
	v_fma_f32 v64, v56, v131, -v4
	ds_read_b128 v[4:7], v1 offset:864
	ds_read_b128 v[8:11], v1 offset:880
	;; [unrolled: 1-line block ×3, first 2 shown]
	ds_read_b64 v[16:17], v1 offset:912
	s_waitcnt vmcnt(8)
	v_pk_fma_f32 v[22:23], v[58:59], v[72:73], v[20:21] op_sel:[0,0,1] op_sel_hi:[1,1,0] neg_lo:[0,0,1] neg_hi:[0,0,1]
	v_pk_fma_f32 v[20:21], v[58:59], v[72:73], v[20:21] op_sel:[0,0,1] op_sel_hi:[1,0,0]
	v_fmac_f32_e32 v65, v57, v131
	v_pk_add_f32 v[18:19], v[60:61], v[62:63]
	v_mov_b32_e32 v20, v71
	v_pk_add_f32 v[18:19], v[18:19], v[64:65]
	v_mov_b32_e32 v23, v21
	s_waitcnt lgkmcnt(3)
	v_pk_mul_f32 v[20:21], v[4:5], v[20:21] op_sel_hi:[1,0]
	v_pk_add_f32 v[18:19], v[18:19], v[22:23]
	v_pk_fma_f32 v[22:23], v[4:5], v[70:71], v[20:21] op_sel:[0,0,1] op_sel_hi:[1,1,0] neg_lo:[0,0,1] neg_hi:[0,0,1]
	v_pk_fma_f32 v[4:5], v[4:5], v[70:71], v[20:21] op_sel:[0,0,1] op_sel_hi:[1,0,0]
	v_mov_b32_e32 v23, v5
	v_pk_add_f32 v[4:5], v[18:19], v[22:23]
	v_mov_b32_e32 v18, v69
	v_pk_mul_f32 v[18:19], v[6:7], v[18:19] op_sel_hi:[1,0]
	v_pk_fma_f32 v[20:21], v[6:7], v[68:69], v[18:19] op_sel:[0,0,1] op_sel_hi:[1,1,0] neg_lo:[0,0,1] neg_hi:[0,0,1]
	v_pk_fma_f32 v[6:7], v[6:7], v[68:69], v[18:19] op_sel:[0,0,1] op_sel_hi:[1,0,0]
	v_mov_b32_e32 v6, v67
	v_mov_b32_e32 v21, v7
	s_waitcnt lgkmcnt(2)
	v_pk_mul_f32 v[6:7], v[8:9], v[6:7] op_sel_hi:[1,0]
	v_pk_fma_f32 v[18:19], v[8:9], v[66:67], v[6:7] op_sel:[0,0,1] op_sel_hi:[1,1,0] neg_lo:[0,0,1] neg_hi:[0,0,1]
	v_pk_fma_f32 v[6:7], v[8:9], v[66:67], v[6:7] op_sel:[0,0,1] op_sel_hi:[1,0,0]
	s_waitcnt vmcnt(1)
	v_mov_b32_e32 v6, v81
	v_mov_b32_e32 v19, v7
	v_pk_mul_f32 v[6:7], v[10:11], v[6:7] op_sel_hi:[1,0]
	s_waitcnt vmcnt(0)
	v_pk_fma_f32 v[8:9], v[10:11], v[80:81], v[6:7] op_sel:[0,0,1] op_sel_hi:[1,1,0] neg_lo:[0,0,1] neg_hi:[0,0,1]
	v_pk_fma_f32 v[6:7], v[10:11], v[80:81], v[6:7] op_sel:[0,0,1] op_sel_hi:[1,0,0]
	v_pk_add_f32 v[4:5], v[4:5], v[20:21]
	v_mov_b32_e32 v6, v79
	v_pk_add_f32 v[4:5], v[4:5], v[18:19]
	v_mov_b32_e32 v9, v7
	s_waitcnt lgkmcnt(1)
	v_pk_mul_f32 v[6:7], v[12:13], v[6:7] op_sel_hi:[1,0]
	v_pk_add_f32 v[4:5], v[4:5], v[8:9]
	v_pk_fma_f32 v[8:9], v[12:13], v[78:79], v[6:7] op_sel:[0,0,1] op_sel_hi:[1,1,0] neg_lo:[0,0,1] neg_hi:[0,0,1]
	v_pk_fma_f32 v[6:7], v[12:13], v[78:79], v[6:7] op_sel:[0,0,1] op_sel_hi:[1,0,0]
	v_mov_b32_e32 v6, v77
	v_mov_b32_e32 v9, v7
	v_pk_mul_f32 v[6:7], v[14:15], v[6:7] op_sel_hi:[1,0]
	v_pk_add_f32 v[4:5], v[4:5], v[8:9]
	v_pk_fma_f32 v[8:9], v[14:15], v[76:77], v[6:7] op_sel:[0,0,1] op_sel_hi:[1,1,0] neg_lo:[0,0,1] neg_hi:[0,0,1]
	v_pk_fma_f32 v[6:7], v[14:15], v[76:77], v[6:7] op_sel:[0,0,1] op_sel_hi:[1,0,0]
	v_mov_b32_e32 v6, v75
	v_mov_b32_e32 v9, v7
	s_waitcnt lgkmcnt(0)
	v_pk_mul_f32 v[6:7], v[16:17], v[6:7] op_sel_hi:[1,0]
	v_pk_add_f32 v[4:5], v[4:5], v[8:9]
	v_pk_fma_f32 v[8:9], v[16:17], v[74:75], v[6:7] op_sel:[0,0,1] op_sel_hi:[1,1,0] neg_lo:[0,0,1] neg_hi:[0,0,1]
	v_pk_fma_f32 v[6:7], v[16:17], v[74:75], v[6:7] op_sel:[0,0,1] op_sel_hi:[1,0,0]
	v_mov_b32_e32 v9, v7
	v_pk_add_f32 v[4:5], v[4:5], v[8:9]
	v_pk_add_f32 v[2:3], v[2:3], v[4:5] neg_lo:[0,1] neg_hi:[0,1]
	buffer_store_dword v3, off, s[0:3], 0 offset:172
	buffer_store_dword v2, off, s[0:3], 0 offset:168
	s_and_saveexec_b64 s[4:5], vcc
	s_cbranch_execz .LBB56_315
; %bb.314:
	buffer_load_dword v2, off, s[0:3], 0 offset:160
	buffer_load_dword v3, off, s[0:3], 0 offset:164
	s_waitcnt vmcnt(0)
	ds_write_b64 v165, v[2:3]
	buffer_store_dword v1, off, s[0:3], 0 offset:160
	buffer_store_dword v1, off, s[0:3], 0 offset:164
.LBB56_315:
	s_or_b64 exec, exec, s[4:5]
	s_waitcnt lgkmcnt(0)
	; wave barrier
	s_waitcnt lgkmcnt(0)
	buffer_load_dword v60, off, s[0:3], 0 offset:172
	buffer_load_dword v62, off, s[0:3], 0 offset:180
	;; [unrolled: 1-line block ×36, first 2 shown]
	ds_read2_b64 v[4:7], v1 offset0:79 offset1:80
	ds_read2_b64 v[8:11], v1 offset0:81 offset1:82
	buffer_load_dword v113, off, s[0:3], 0 offset:304
	buffer_load_dword v114, off, s[0:3], 0 offset:308
	;; [unrolled: 1-line block ×4, first 2 shown]
	ds_read2_b64 v[12:15], v1 offset0:83 offset1:84
	ds_read2_b64 v[16:19], v1 offset0:85 offset1:86
	buffer_load_dword v117, off, s[0:3], 0 offset:320
	buffer_load_dword v118, off, s[0:3], 0 offset:324
	ds_read2_b64 v[20:23], v1 offset0:87 offset1:88
	ds_read2_b64 v[24:27], v1 offset0:89 offset1:90
	buffer_load_dword v119, off, s[0:3], 0 offset:328
	buffer_load_dword v120, off, s[0:3], 0 offset:332
	;; [unrolled: 1-line block ×16, first 2 shown]
	v_cmp_lt_u32_e32 vcc, 19, v0
	s_waitcnt vmcnt(57) lgkmcnt(5)
	v_mul_f32_e32 v28, v4, v60
	s_waitcnt vmcnt(56)
	v_mul_f32_e32 v29, v6, v62
	s_waitcnt vmcnt(55) lgkmcnt(4)
	v_mul_f32_e32 v30, v8, v70
	s_waitcnt vmcnt(54)
	v_mul_f32_e32 v31, v10, v82
	;; [unrolled: 4-line block ×4, first 2 shown]
	s_waitcnt vmcnt(49)
	v_fmac_f32_e32 v28, v5, v87
	s_waitcnt vmcnt(48)
	v_fmac_f32_e32 v29, v7, v88
	v_add_f32_e32 v28, 0, v28
	s_waitcnt vmcnt(47)
	v_fmac_f32_e32 v30, v9, v89
	v_add_f32_e32 v28, v28, v29
	;; [unrolled: 3-line block ×7, first 2 shown]
	s_waitcnt vmcnt(41) lgkmcnt(1)
	v_mul_f32_e32 v29, v20, v95
	v_add_f32_e32 v28, v28, v35
	s_waitcnt vmcnt(40)
	v_fmac_f32_e32 v29, v21, v96
	v_add_f32_e32 v28, v28, v29
	s_waitcnt vmcnt(39)
	v_mul_f32_e32 v29, v22, v97
	s_waitcnt vmcnt(38)
	v_fmac_f32_e32 v29, v23, v98
	v_add_f32_e32 v28, v28, v29
	s_waitcnt vmcnt(37) lgkmcnt(0)
	v_mul_f32_e32 v29, v24, v99
	s_waitcnt vmcnt(36)
	v_fmac_f32_e32 v29, v25, v100
	v_add_f32_e32 v32, v28, v29
	ds_read2_b64 v[28:31], v1 offset0:91 offset1:92
	s_waitcnt vmcnt(35)
	v_mul_f32_e32 v33, v26, v101
	s_waitcnt vmcnt(34)
	v_fmac_f32_e32 v33, v27, v102
	v_add_f32_e32 v36, v32, v33
	ds_read2_b64 v[32:35], v1 offset0:93 offset1:94
	s_waitcnt vmcnt(33) lgkmcnt(1)
	v_mul_f32_e32 v37, v28, v103
	s_waitcnt vmcnt(32)
	v_fmac_f32_e32 v37, v29, v104
	v_add_f32_e32 v36, v36, v37
	s_waitcnt vmcnt(31)
	v_mul_f32_e32 v37, v30, v105
	s_waitcnt vmcnt(30)
	v_fmac_f32_e32 v37, v31, v106
	v_add_f32_e32 v36, v36, v37
	s_waitcnt vmcnt(29) lgkmcnt(0)
	v_mul_f32_e32 v37, v32, v107
	s_waitcnt vmcnt(28)
	v_fmac_f32_e32 v37, v33, v108
	v_add_f32_e32 v40, v36, v37
	ds_read2_b64 v[36:39], v1 offset0:95 offset1:96
	s_waitcnt vmcnt(25)
	v_mul_f32_e32 v41, v34, v109
	s_waitcnt vmcnt(24)
	v_fmac_f32_e32 v41, v35, v110
	v_add_f32_e32 v44, v40, v41
	ds_read2_b64 v[40:43], v1 offset0:97 offset1:98
	s_waitcnt vmcnt(22) lgkmcnt(1)
	v_mul_f32_e32 v45, v36, v112
	v_fmac_f32_e32 v45, v37, v111
	v_add_f32_e32 v44, v44, v45
	s_waitcnt vmcnt(20)
	v_mul_f32_e32 v45, v38, v114
	v_fmac_f32_e32 v45, v39, v113
	v_add_f32_e32 v44, v44, v45
	s_waitcnt vmcnt(18) lgkmcnt(0)
	v_mul_f32_e32 v45, v40, v116
	v_fmac_f32_e32 v45, v41, v115
	v_add_f32_e32 v48, v44, v45
	ds_read2_b64 v[44:47], v1 offset0:99 offset1:100
	s_waitcnt vmcnt(16)
	v_mul_f32_e32 v49, v42, v118
	v_fmac_f32_e32 v49, v43, v117
	v_add_f32_e32 v52, v48, v49
	ds_read2_b64 v[48:51], v1 offset0:101 offset1:102
	s_waitcnt vmcnt(14) lgkmcnt(1)
	v_mul_f32_e32 v53, v44, v120
	v_fmac_f32_e32 v53, v45, v119
	v_add_f32_e32 v52, v52, v53
	s_waitcnt vmcnt(12)
	v_mul_f32_e32 v53, v46, v122
	v_fmac_f32_e32 v53, v47, v121
	v_add_f32_e32 v52, v52, v53
	s_waitcnt vmcnt(10) lgkmcnt(0)
	v_mul_f32_e32 v53, v48, v124
	v_fmac_f32_e32 v53, v49, v123
	s_waitcnt vmcnt(8)
	v_mul_f32_e32 v57, v50, v126
	v_add_f32_e32 v56, v52, v53
	v_fmac_f32_e32 v57, v51, v125
	ds_read2_b64 v[52:55], v1 offset0:103 offset1:104
	v_add_f32_e32 v61, v56, v57
	ds_read2_b64 v[56:59], v1 offset0:105 offset1:106
	buffer_load_dword v65, off, s[0:3], 0 offset:412
	buffer_load_dword v64, off, s[0:3], 0 offset:408
	;; [unrolled: 1-line block ×16, first 2 shown]
	v_mul_f32_e32 v5, v5, v60
	v_fma_f32 v4, v4, v87, -v5
	v_mul_f32_e32 v5, v7, v62
	v_add_f32_e32 v4, 0, v4
	v_fma_f32 v5, v6, v88, -v5
	v_add_f32_e32 v4, v4, v5
	v_mul_f32_e32 v5, v9, v70
	v_fma_f32 v5, v8, v89, -v5
	v_add_f32_e32 v4, v4, v5
	v_mul_f32_e32 v5, v11, v82
	;; [unrolled: 3-line block ×22, first 2 shown]
	v_fma_f32 v5, v50, v125, -v5
	v_add_f32_e32 v4, v4, v5
	s_waitcnt vmcnt(22) lgkmcnt(1)
	v_mul_f32_e32 v5, v53, v128
	v_fma_f32 v5, v52, v127, -v5
	v_add_f32_e32 v4, v4, v5
	s_waitcnt vmcnt(20)
	v_mul_f32_e32 v5, v55, v130
	v_mul_f32_e32 v63, v52, v128
	v_fma_f32 v5, v54, v129, -v5
	v_fmac_f32_e32 v63, v53, v127
	v_add_f32_e32 v60, v4, v5
	s_waitcnt vmcnt(18) lgkmcnt(0)
	v_mul_f32_e32 v4, v57, v132
	v_add_f32_e32 v61, v61, v63
	v_mul_f32_e32 v63, v54, v130
	v_fma_f32 v62, v56, v131, -v4
	s_waitcnt vmcnt(16)
	v_mul_f32_e32 v4, v59, v134
	v_fmac_f32_e32 v63, v55, v129
	v_fma_f32 v70, v58, v133, -v4
	ds_read2_b64 v[4:7], v1 offset0:107 offset1:108
	ds_read2_b64 v[8:11], v1 offset0:109 offset1:110
	;; [unrolled: 1-line block ×4, first 2 shown]
	v_add_f32_e32 v61, v61, v63
	v_mul_f32_e32 v63, v56, v132
	s_waitcnt vmcnt(11)
	v_mov_b32_e32 v22, v69
	v_fmac_f32_e32 v63, v57, v131
	v_mul_f32_e32 v71, v58, v134
	s_waitcnt lgkmcnt(3)
	v_pk_mul_f32 v[22:23], v[4:5], v[22:23] op_sel_hi:[1,0]
	v_fmac_f32_e32 v71, v59, v133
	v_pk_add_f32 v[20:21], v[60:61], v[62:63]
	s_waitcnt vmcnt(10)
	v_pk_fma_f32 v[24:25], v[4:5], v[68:69], v[22:23] op_sel:[0,0,1] op_sel_hi:[1,1,0] neg_lo:[0,0,1] neg_hi:[0,0,1]
	v_pk_fma_f32 v[4:5], v[4:5], v[68:69], v[22:23] op_sel:[0,0,1] op_sel_hi:[1,0,0]
	v_pk_add_f32 v[20:21], v[20:21], v[70:71]
	v_mov_b32_e32 v25, v5
	v_pk_add_f32 v[4:5], v[20:21], v[24:25]
	v_mov_b32_e32 v20, v67
	v_pk_mul_f32 v[20:21], v[6:7], v[20:21] op_sel_hi:[1,0]
	v_pk_fma_f32 v[22:23], v[6:7], v[66:67], v[20:21] op_sel:[0,0,1] op_sel_hi:[1,1,0] neg_lo:[0,0,1] neg_hi:[0,0,1]
	v_pk_fma_f32 v[6:7], v[6:7], v[66:67], v[20:21] op_sel:[0,0,1] op_sel_hi:[1,0,0]
	v_mov_b32_e32 v6, v65
	v_mov_b32_e32 v23, v7
	s_waitcnt lgkmcnt(2)
	v_pk_mul_f32 v[6:7], v[8:9], v[6:7] op_sel_hi:[1,0]
	v_pk_fma_f32 v[20:21], v[8:9], v[64:65], v[6:7] op_sel:[0,0,1] op_sel_hi:[1,1,0] neg_lo:[0,0,1] neg_hi:[0,0,1]
	v_pk_fma_f32 v[6:7], v[8:9], v[64:65], v[6:7] op_sel:[0,0,1] op_sel_hi:[1,0,0]
	s_waitcnt vmcnt(3)
	v_mov_b32_e32 v6, v79
	v_mov_b32_e32 v21, v7
	v_pk_mul_f32 v[6:7], v[10:11], v[6:7] op_sel_hi:[1,0]
	s_waitcnt vmcnt(2)
	v_pk_fma_f32 v[8:9], v[10:11], v[78:79], v[6:7] op_sel:[0,0,1] op_sel_hi:[1,1,0] neg_lo:[0,0,1] neg_hi:[0,0,1]
	v_pk_fma_f32 v[6:7], v[10:11], v[78:79], v[6:7] op_sel:[0,0,1] op_sel_hi:[1,0,0]
	v_pk_add_f32 v[4:5], v[4:5], v[22:23]
	v_mov_b32_e32 v6, v77
	v_pk_add_f32 v[4:5], v[4:5], v[20:21]
	v_mov_b32_e32 v9, v7
	s_waitcnt lgkmcnt(1)
	v_pk_mul_f32 v[6:7], v[12:13], v[6:7] op_sel_hi:[1,0]
	v_pk_add_f32 v[4:5], v[4:5], v[8:9]
	v_pk_fma_f32 v[8:9], v[12:13], v[76:77], v[6:7] op_sel:[0,0,1] op_sel_hi:[1,1,0] neg_lo:[0,0,1] neg_hi:[0,0,1]
	v_pk_fma_f32 v[6:7], v[12:13], v[76:77], v[6:7] op_sel:[0,0,1] op_sel_hi:[1,0,0]
	v_mov_b32_e32 v6, v75
	v_mov_b32_e32 v9, v7
	v_pk_mul_f32 v[6:7], v[14:15], v[6:7] op_sel_hi:[1,0]
	v_pk_add_f32 v[4:5], v[4:5], v[8:9]
	v_pk_fma_f32 v[8:9], v[14:15], v[74:75], v[6:7] op_sel:[0,0,1] op_sel_hi:[1,1,0] neg_lo:[0,0,1] neg_hi:[0,0,1]
	v_pk_fma_f32 v[6:7], v[14:15], v[74:75], v[6:7] op_sel:[0,0,1] op_sel_hi:[1,0,0]
	v_mov_b32_e32 v6, v73
	v_mov_b32_e32 v9, v7
	s_waitcnt lgkmcnt(0)
	v_pk_mul_f32 v[6:7], v[16:17], v[6:7] op_sel_hi:[1,0]
	v_pk_add_f32 v[4:5], v[4:5], v[8:9]
	v_pk_fma_f32 v[8:9], v[16:17], v[72:73], v[6:7] op_sel:[0,0,1] op_sel_hi:[1,1,0] neg_lo:[0,0,1] neg_hi:[0,0,1]
	v_pk_fma_f32 v[6:7], v[16:17], v[72:73], v[6:7] op_sel:[0,0,1] op_sel_hi:[1,0,0]
	s_waitcnt vmcnt(1)
	v_mov_b32_e32 v6, v81
	v_mov_b32_e32 v9, v7
	v_pk_mul_f32 v[6:7], v[18:19], v[6:7] op_sel_hi:[1,0]
	v_pk_add_f32 v[4:5], v[4:5], v[8:9]
	s_waitcnt vmcnt(0)
	v_pk_fma_f32 v[8:9], v[18:19], v[80:81], v[6:7] op_sel:[0,0,1] op_sel_hi:[1,1,0] neg_lo:[0,0,1] neg_hi:[0,0,1]
	v_pk_fma_f32 v[6:7], v[18:19], v[80:81], v[6:7] op_sel:[0,0,1] op_sel_hi:[1,0,0]
	v_mov_b32_e32 v9, v7
	v_pk_add_f32 v[4:5], v[4:5], v[8:9]
	v_pk_add_f32 v[2:3], v[2:3], v[4:5] neg_lo:[0,1] neg_hi:[0,1]
	buffer_store_dword v3, off, s[0:3], 0 offset:164
	buffer_store_dword v2, off, s[0:3], 0 offset:160
	s_and_saveexec_b64 s[4:5], vcc
	s_cbranch_execz .LBB56_317
; %bb.316:
	buffer_load_dword v2, off, s[0:3], 0 offset:152
	buffer_load_dword v3, off, s[0:3], 0 offset:156
	v_mov_b32_e32 v1, 0
	buffer_store_dword v1, off, s[0:3], 0 offset:152
	buffer_store_dword v1, off, s[0:3], 0 offset:156
	s_waitcnt vmcnt(2)
	ds_write_b64 v165, v[2:3]
.LBB56_317:
	s_or_b64 exec, exec, s[4:5]
	v_mov_b32_e32 v86, 0
	s_waitcnt lgkmcnt(0)
	; wave barrier
	s_waitcnt lgkmcnt(0)
	ds_read_b128 v[14:17], v86 offset:624
	ds_read_b128 v[10:13], v86 offset:640
	;; [unrolled: 1-line block ×4, first 2 shown]
	buffer_load_dword v62, off, s[0:3], 0 offset:152
	buffer_load_dword v63, off, s[0:3], 0 offset:156
	buffer_load_dword v1, off, s[0:3], 0 offset:160
	buffer_load_dword v70, off, s[0:3], 0 offset:164
	buffer_load_dword v64, off, s[0:3], 0 offset:168
	buffer_load_dword v88, off, s[0:3], 0 offset:172
	buffer_load_dword v66, off, s[0:3], 0 offset:176
	buffer_load_dword v90, off, s[0:3], 0 offset:180
	buffer_load_dword v87, off, s[0:3], 0 offset:184
	buffer_load_dword v92, off, s[0:3], 0 offset:188
	buffer_load_dword v89, off, s[0:3], 0 offset:192
	buffer_load_dword v94, off, s[0:3], 0 offset:196
	buffer_load_dword v91, off, s[0:3], 0 offset:200
	buffer_load_dword v95, off, s[0:3], 0 offset:204
	buffer_load_dword v93, off, s[0:3], 0 offset:208
	buffer_load_dword v96, off, s[0:3], 0 offset:212
	buffer_load_dword v97, off, s[0:3], 0 offset:216
	buffer_load_dword v98, off, s[0:3], 0 offset:220
	ds_read_b128 v[22:25], v86 offset:688
	buffer_load_dword v99, off, s[0:3], 0 offset:224
	buffer_load_dword v100, off, s[0:3], 0 offset:228
	buffer_load_dword v101, off, s[0:3], 0 offset:232
	buffer_load_dword v102, off, s[0:3], 0 offset:236
	ds_read_b128 v[26:29], v86 offset:704
	buffer_load_dword v103, off, s[0:3], 0 offset:240
	buffer_load_dword v104, off, s[0:3], 0 offset:244
	buffer_load_dword v105, off, s[0:3], 0 offset:248
	buffer_load_dword v106, off, s[0:3], 0 offset:252
	;; [unrolled: 5-line block ×10, first 2 shown]
	v_cmp_lt_u32_e32 vcc, 18, v0
	s_waitcnt vmcnt(54) lgkmcnt(13)
	v_mul_f32_e32 v18, v14, v70
	v_fmac_f32_e32 v18, v15, v1
	s_waitcnt vmcnt(52)
	v_mul_f32_e32 v19, v16, v88
	v_add_f32_e32 v18, 0, v18
	v_fmac_f32_e32 v19, v17, v64
	v_add_f32_e32 v18, v18, v19
	s_waitcnt vmcnt(50) lgkmcnt(12)
	v_mul_f32_e32 v19, v10, v90
	v_fmac_f32_e32 v19, v11, v66
	v_add_f32_e32 v18, v18, v19
	s_waitcnt vmcnt(48)
	v_mul_f32_e32 v19, v12, v92
	v_fmac_f32_e32 v19, v13, v87
	v_add_f32_e32 v18, v18, v19
	s_waitcnt vmcnt(46) lgkmcnt(11)
	v_mul_f32_e32 v19, v6, v94
	v_fmac_f32_e32 v19, v7, v89
	v_add_f32_e32 v18, v18, v19
	s_waitcnt vmcnt(44)
	v_mul_f32_e32 v19, v8, v95
	;; [unrolled: 8-line block ×12, first 2 shown]
	v_fmac_f32_e32 v19, v57, v133
	v_add_f32_e32 v18, v18, v19
	s_waitcnt vmcnt(2) lgkmcnt(0)
	v_mul_f32_e32 v19, v58, v136
	v_fmac_f32_e32 v19, v59, v135
	v_add_f32_e32 v65, v18, v19
	ds_read_b128 v[18:21], v86 offset:848
	buffer_load_dword v139, off, s[0:3], 0 offset:384
	buffer_load_dword v140, off, s[0:3], 0 offset:388
	;; [unrolled: 1-line block ×18, first 2 shown]
	v_mul_f32_e32 v15, v15, v70
	v_fma_f32 v1, v14, v1, -v15
	v_mul_f32_e32 v14, v17, v88
	v_add_f32_e32 v1, 0, v1
	v_fma_f32 v14, v16, v64, -v14
	v_mul_f32_e32 v11, v11, v90
	v_add_f32_e32 v1, v1, v14
	v_fma_f32 v10, v10, v66, -v11
	v_add_f32_e32 v1, v1, v10
	v_mul_f32_e32 v10, v13, v92
	v_fma_f32 v10, v12, v87, -v10
	v_mul_f32_e32 v7, v7, v94
	v_add_f32_e32 v1, v1, v10
	v_fma_f32 v6, v6, v89, -v7
	v_add_f32_e32 v1, v1, v6
	v_mul_f32_e32 v6, v9, v95
	;; [unrolled: 6-line block ×3, first 2 shown]
	v_fma_f32 v2, v4, v97, -v2
	v_add_f32_e32 v1, v1, v2
	v_mul_f32_e32 v2, v23, v100
	v_fma_f32 v2, v22, v99, -v2
	v_add_f32_e32 v1, v1, v2
	v_mul_f32_e32 v2, v25, v102
	;; [unrolled: 3-line block ×19, first 2 shown]
	v_fma_f32 v2, v58, v135, -v2
	v_add_f32_e32 v64, v1, v2
	s_waitcnt vmcnt(18)
	v_mul_f32_e32 v1, v61, v138
	v_fma_f32 v66, v60, v137, -v1
	s_waitcnt vmcnt(16) lgkmcnt(0)
	v_mul_f32_e32 v1, v19, v140
	v_mul_f32_e32 v71, v18, v140
	v_fma_f32 v70, v18, v139, -v1
	s_waitcnt vmcnt(15)
	v_mov_b32_e32 v18, v69
	v_fmac_f32_e32 v71, v19, v139
	v_pk_mul_f32 v[18:19], v[20:21], v[18:19] op_sel_hi:[1,0]
	v_mul_f32_e32 v67, v60, v138
	ds_read_b128 v[2:5], v86 offset:864
	ds_read_b128 v[6:9], v86 offset:880
	;; [unrolled: 1-line block ×3, first 2 shown]
	ds_read_b64 v[14:15], v86 offset:912
	s_waitcnt vmcnt(14)
	v_pk_fma_f32 v[22:23], v[20:21], v[68:69], v[18:19] op_sel:[0,0,1] op_sel_hi:[1,1,0] neg_lo:[0,0,1] neg_hi:[0,0,1]
	v_pk_fma_f32 v[18:19], v[20:21], v[68:69], v[18:19] op_sel:[0,0,1] op_sel_hi:[1,0,0]
	v_fmac_f32_e32 v67, v61, v137
	s_waitcnt vmcnt(13)
	v_mov_b32_e32 v18, v85
	v_pk_add_f32 v[16:17], v[64:65], v[66:67]
	v_mov_b32_e32 v23, v19
	s_waitcnt lgkmcnt(3)
	v_pk_mul_f32 v[18:19], v[2:3], v[18:19] op_sel_hi:[1,0]
	v_pk_add_f32 v[16:17], v[16:17], v[70:71]
	s_waitcnt vmcnt(12)
	v_pk_fma_f32 v[20:21], v[2:3], v[84:85], v[18:19] op_sel:[0,0,1] op_sel_hi:[1,1,0] neg_lo:[0,0,1] neg_hi:[0,0,1]
	v_pk_fma_f32 v[2:3], v[2:3], v[84:85], v[18:19] op_sel:[0,0,1] op_sel_hi:[1,0,0]
	v_pk_add_f32 v[16:17], v[16:17], v[22:23]
	v_mov_b32_e32 v21, v3
	v_pk_add_f32 v[2:3], v[16:17], v[20:21]
	s_waitcnt vmcnt(11)
	v_mov_b32_e32 v16, v83
	v_pk_mul_f32 v[16:17], v[4:5], v[16:17] op_sel_hi:[1,0]
	s_waitcnt vmcnt(10)
	v_pk_fma_f32 v[18:19], v[4:5], v[82:83], v[16:17] op_sel:[0,0,1] op_sel_hi:[1,1,0] neg_lo:[0,0,1] neg_hi:[0,0,1]
	v_pk_fma_f32 v[4:5], v[4:5], v[82:83], v[16:17] op_sel:[0,0,1] op_sel_hi:[1,0,0]
	s_waitcnt vmcnt(9)
	v_mov_b32_e32 v4, v81
	v_mov_b32_e32 v19, v5
	s_waitcnt lgkmcnt(2)
	v_pk_mul_f32 v[4:5], v[6:7], v[4:5] op_sel_hi:[1,0]
	s_waitcnt vmcnt(8)
	v_pk_fma_f32 v[16:17], v[6:7], v[80:81], v[4:5] op_sel:[0,0,1] op_sel_hi:[1,1,0] neg_lo:[0,0,1] neg_hi:[0,0,1]
	v_pk_fma_f32 v[4:5], v[6:7], v[80:81], v[4:5] op_sel:[0,0,1] op_sel_hi:[1,0,0]
	s_waitcnt vmcnt(7)
	v_mov_b32_e32 v4, v79
	v_mov_b32_e32 v17, v5
	v_pk_mul_f32 v[4:5], v[8:9], v[4:5] op_sel_hi:[1,0]
	s_waitcnt vmcnt(6)
	v_pk_fma_f32 v[6:7], v[8:9], v[78:79], v[4:5] op_sel:[0,0,1] op_sel_hi:[1,1,0] neg_lo:[0,0,1] neg_hi:[0,0,1]
	v_pk_fma_f32 v[4:5], v[8:9], v[78:79], v[4:5] op_sel:[0,0,1] op_sel_hi:[1,0,0]
	v_pk_add_f32 v[2:3], v[2:3], v[18:19]
	s_waitcnt vmcnt(5)
	v_mov_b32_e32 v4, v77
	v_pk_add_f32 v[2:3], v[2:3], v[16:17]
	v_mov_b32_e32 v7, v5
	s_waitcnt lgkmcnt(1)
	v_pk_mul_f32 v[4:5], v[10:11], v[4:5] op_sel_hi:[1,0]
	v_pk_add_f32 v[2:3], v[2:3], v[6:7]
	s_waitcnt vmcnt(4)
	v_pk_fma_f32 v[6:7], v[10:11], v[76:77], v[4:5] op_sel:[0,0,1] op_sel_hi:[1,1,0] neg_lo:[0,0,1] neg_hi:[0,0,1]
	v_pk_fma_f32 v[4:5], v[10:11], v[76:77], v[4:5] op_sel:[0,0,1] op_sel_hi:[1,0,0]
	s_waitcnt vmcnt(3)
	v_mov_b32_e32 v4, v75
	v_mov_b32_e32 v7, v5
	v_pk_mul_f32 v[4:5], v[12:13], v[4:5] op_sel_hi:[1,0]
	v_pk_add_f32 v[2:3], v[2:3], v[6:7]
	s_waitcnt vmcnt(2)
	v_pk_fma_f32 v[6:7], v[12:13], v[74:75], v[4:5] op_sel:[0,0,1] op_sel_hi:[1,1,0] neg_lo:[0,0,1] neg_hi:[0,0,1]
	v_pk_fma_f32 v[4:5], v[12:13], v[74:75], v[4:5] op_sel:[0,0,1] op_sel_hi:[1,0,0]
	s_waitcnt vmcnt(1)
	v_mov_b32_e32 v4, v73
	v_mov_b32_e32 v7, v5
	s_waitcnt lgkmcnt(0)
	v_pk_mul_f32 v[4:5], v[14:15], v[4:5] op_sel_hi:[1,0]
	v_pk_add_f32 v[2:3], v[2:3], v[6:7]
	s_waitcnt vmcnt(0)
	v_pk_fma_f32 v[6:7], v[14:15], v[72:73], v[4:5] op_sel:[0,0,1] op_sel_hi:[1,1,0] neg_lo:[0,0,1] neg_hi:[0,0,1]
	v_pk_fma_f32 v[4:5], v[14:15], v[72:73], v[4:5] op_sel:[0,0,1] op_sel_hi:[1,0,0]
	v_mov_b32_e32 v7, v5
	v_pk_add_f32 v[2:3], v[2:3], v[6:7]
	v_pk_add_f32 v[2:3], v[62:63], v[2:3] neg_lo:[0,1] neg_hi:[0,1]
	buffer_store_dword v3, off, s[0:3], 0 offset:156
	buffer_store_dword v2, off, s[0:3], 0 offset:152
	s_and_saveexec_b64 s[4:5], vcc
	s_cbranch_execz .LBB56_319
; %bb.318:
	buffer_load_dword v2, off, s[0:3], 0 offset:144
	buffer_load_dword v3, off, s[0:3], 0 offset:148
	s_waitcnt vmcnt(0)
	ds_write_b64 v165, v[2:3]
	buffer_store_dword v86, off, s[0:3], 0 offset:144
	buffer_store_dword v86, off, s[0:3], 0 offset:148
.LBB56_319:
	s_or_b64 exec, exec, s[4:5]
	s_waitcnt lgkmcnt(0)
	; wave barrier
	s_waitcnt lgkmcnt(0)
	buffer_load_dword v1, off, s[0:3], 0 offset:156
	buffer_load_dword v70, off, s[0:3], 0 offset:164
	;; [unrolled: 1-line block ×32, first 2 shown]
	ds_read2_b64 v[16:19], v86 offset0:77 offset1:78
	ds_read2_b64 v[6:9], v86 offset0:79 offset1:80
	buffer_load_dword v117, off, s[0:3], 0 offset:272
	buffer_load_dword v118, off, s[0:3], 0 offset:276
	ds_read2_b64 v[10:13], v86 offset0:81 offset1:82
	ds_read2_b64 v[2:5], v86 offset0:83 offset1:84
	buffer_load_dword v119, off, s[0:3], 0 offset:280
	buffer_load_dword v120, off, s[0:3], 0 offset:284
	;; [unrolled: 1-line block ×28, first 2 shown]
	v_cmp_lt_u32_e32 vcc, 17, v0
	s_waitcnt vmcnt(61) lgkmcnt(3)
	v_mul_f32_e32 v20, v16, v1
	s_waitcnt vmcnt(60)
	v_mul_f32_e32 v21, v18, v70
	s_waitcnt vmcnt(59) lgkmcnt(2)
	v_mul_f32_e32 v23, v8, v72
	s_waitcnt vmcnt(58) lgkmcnt(1)
	v_mul_f32_e32 v24, v10, v74
	s_waitcnt vmcnt(57)
	v_mul_f32_e32 v25, v12, v87
	s_waitcnt vmcnt(56)
	;; [unrolled: 2-line block ×3, first 2 shown]
	v_fmac_f32_e32 v22, v7, v93
	s_waitcnt vmcnt(54)
	v_fmac_f32_e32 v21, v19, v94
	s_waitcnt vmcnt(53)
	v_fmac_f32_e32 v20, v17, v95
	v_add_f32_e32 v20, 0, v20
	v_add_f32_e32 v20, v20, v21
	;; [unrolled: 1-line block ×3, first 2 shown]
	s_waitcnt vmcnt(49)
	v_fmac_f32_e32 v24, v11, v99
	s_waitcnt vmcnt(48)
	v_fmac_f32_e32 v23, v9, v100
	v_add_f32_e32 v20, v20, v23
	s_waitcnt lgkmcnt(0)
	v_mul_f32_e32 v26, v2, v96
	v_fmac_f32_e32 v25, v13, v98
	v_add_f32_e32 v20, v20, v24
	v_fmac_f32_e32 v26, v3, v97
	v_add_f32_e32 v20, v20, v25
	v_add_f32_e32 v24, v20, v26
	ds_read2_b64 v[20:23], v86 offset0:85 offset1:86
	s_waitcnt vmcnt(44)
	v_mul_f32_e32 v25, v4, v104
	s_waitcnt vmcnt(43)
	v_fmac_f32_e32 v25, v5, v105
	v_add_f32_e32 v28, v24, v25
	ds_read2_b64 v[24:27], v86 offset0:87 offset1:88
	s_waitcnt vmcnt(42) lgkmcnt(1)
	v_mul_f32_e32 v29, v20, v106
	v_fmac_f32_e32 v29, v21, v103
	v_add_f32_e32 v28, v28, v29
	s_waitcnt vmcnt(41)
	v_mul_f32_e32 v29, v22, v107
	v_fmac_f32_e32 v29, v23, v102
	v_add_f32_e32 v28, v28, v29
	s_waitcnt vmcnt(40) lgkmcnt(0)
	v_mul_f32_e32 v29, v24, v108
	v_fmac_f32_e32 v29, v25, v101
	v_add_f32_e32 v32, v28, v29
	ds_read2_b64 v[28:31], v86 offset0:89 offset1:90
	s_waitcnt vmcnt(34)
	v_mul_f32_e32 v33, v26, v114
	s_waitcnt vmcnt(33)
	v_fmac_f32_e32 v33, v27, v115
	v_add_f32_e32 v36, v32, v33
	ds_read2_b64 v[32:35], v86 offset0:91 offset1:92
	s_waitcnt vmcnt(32) lgkmcnt(1)
	v_mul_f32_e32 v37, v28, v116
	v_fmac_f32_e32 v37, v29, v113
	v_add_f32_e32 v36, v36, v37
	v_mul_f32_e32 v37, v30, v110
	v_fmac_f32_e32 v37, v31, v109
	v_add_f32_e32 v36, v36, v37
	s_waitcnt lgkmcnt(0)
	v_mul_f32_e32 v37, v32, v112
	v_fmac_f32_e32 v37, v33, v111
	v_add_f32_e32 v40, v36, v37
	ds_read2_b64 v[36:39], v86 offset0:93 offset1:94
	s_waitcnt vmcnt(28)
	v_mul_f32_e32 v41, v34, v118
	v_fmac_f32_e32 v41, v35, v117
	v_add_f32_e32 v44, v40, v41
	ds_read2_b64 v[40:43], v86 offset0:95 offset1:96
	s_waitcnt vmcnt(26) lgkmcnt(1)
	v_mul_f32_e32 v45, v36, v120
	v_fmac_f32_e32 v45, v37, v119
	v_add_f32_e32 v44, v44, v45
	s_waitcnt vmcnt(24)
	v_mul_f32_e32 v45, v38, v122
	v_fmac_f32_e32 v45, v39, v121
	v_add_f32_e32 v44, v44, v45
	s_waitcnt vmcnt(22) lgkmcnt(0)
	v_mul_f32_e32 v45, v40, v124
	v_fmac_f32_e32 v45, v41, v123
	v_add_f32_e32 v48, v44, v45
	ds_read2_b64 v[44:47], v86 offset0:97 offset1:98
	s_waitcnt vmcnt(20)
	v_mul_f32_e32 v49, v42, v126
	v_fmac_f32_e32 v49, v43, v125
	v_add_f32_e32 v52, v48, v49
	ds_read2_b64 v[48:51], v86 offset0:99 offset1:100
	s_waitcnt vmcnt(18) lgkmcnt(1)
	v_mul_f32_e32 v53, v44, v128
	v_fmac_f32_e32 v53, v45, v127
	v_add_f32_e32 v52, v52, v53
	s_waitcnt vmcnt(16)
	v_mul_f32_e32 v53, v46, v130
	v_fmac_f32_e32 v53, v47, v129
	v_add_f32_e32 v52, v52, v53
	s_waitcnt vmcnt(14) lgkmcnt(0)
	v_mul_f32_e32 v53, v48, v132
	v_fmac_f32_e32 v53, v49, v131
	v_add_f32_e32 v56, v52, v53
	ds_read2_b64 v[52:55], v86 offset0:101 offset1:102
	s_waitcnt vmcnt(12)
	v_mul_f32_e32 v57, v50, v134
	v_fmac_f32_e32 v57, v51, v133
	v_add_f32_e32 v60, v56, v57
	ds_read2_b64 v[56:59], v86 offset0:103 offset1:104
	buffer_load_dword v69, off, s[0:3], 0 offset:396
	buffer_load_dword v68, off, s[0:3], 0 offset:392
	s_waitcnt vmcnt(12) lgkmcnt(1)
	v_mul_f32_e32 v61, v52, v136
	v_fmac_f32_e32 v61, v53, v135
	v_add_f32_e32 v60, v60, v61
	s_waitcnt vmcnt(10)
	v_mul_f32_e32 v61, v54, v138
	v_fmac_f32_e32 v61, v55, v137
	v_add_f32_e32 v60, v60, v61
	s_waitcnt vmcnt(8) lgkmcnt(0)
	v_mul_f32_e32 v61, v56, v140
	v_fmac_f32_e32 v61, v57, v139
	s_waitcnt vmcnt(6)
	v_mul_f32_e32 v65, v58, v142
	v_add_f32_e32 v64, v60, v61
	v_fmac_f32_e32 v65, v59, v141
	ds_read2_b64 v[60:63], v86 offset0:105 offset1:106
	v_add_f32_e32 v71, v64, v65
	ds_read2_b64 v[64:67], v86 offset0:107 offset1:108
	buffer_load_dword v77, off, s[0:3], 0 offset:428
	buffer_load_dword v76, off, s[0:3], 0 offset:424
	;; [unrolled: 1-line block ×14, first 2 shown]
	v_mul_f32_e32 v1, v17, v1
	v_fma_f32 v1, v16, v95, -v1
	v_mul_f32_e32 v16, v19, v70
	v_add_f32_e32 v1, 0, v1
	v_fma_f32 v16, v18, v94, -v16
	v_mul_f32_e32 v7, v7, v92
	v_add_f32_e32 v1, v1, v16
	v_fma_f32 v6, v6, v93, -v7
	v_add_f32_e32 v1, v1, v6
	v_mul_f32_e32 v6, v9, v72
	v_fma_f32 v6, v8, v100, -v6
	v_add_f32_e32 v1, v1, v6
	v_mul_f32_e32 v6, v11, v74
	;; [unrolled: 3-line block ×3, first 2 shown]
	v_fma_f32 v6, v12, v98, -v6
	v_mul_f32_e32 v3, v3, v96
	v_add_f32_e32 v1, v1, v6
	v_fma_f32 v2, v2, v97, -v3
	v_add_f32_e32 v1, v1, v2
	v_mul_f32_e32 v2, v5, v104
	v_fma_f32 v2, v4, v105, -v2
	v_add_f32_e32 v1, v1, v2
	v_mul_f32_e32 v2, v21, v106
	;; [unrolled: 3-line block ×21, first 2 shown]
	v_fma_f32 v2, v58, v141, -v2
	s_waitcnt vmcnt(15)
	v_mov_b32_e32 v18, v69
	s_waitcnt lgkmcnt(1)
	v_mul_f32_e32 v73, v60, v144
	v_add_f32_e32 v70, v1, v2
	v_mul_f32_e32 v1, v61, v144
	s_waitcnt lgkmcnt(0)
	v_pk_mul_f32 v[18:19], v[64:65], v[18:19] op_sel_hi:[1,0]
	v_fmac_f32_e32 v73, v61, v143
	v_mul_f32_e32 v75, v62, v208
	v_fma_f32 v72, v60, v143, -v1
	v_mul_f32_e32 v1, v63, v208
	s_waitcnt vmcnt(14)
	v_pk_fma_f32 v[20:21], v[64:65], v[68:69], v[18:19] op_sel:[0,0,1] op_sel_hi:[1,1,0] neg_lo:[0,0,1] neg_hi:[0,0,1]
	v_pk_fma_f32 v[18:19], v[64:65], v[68:69], v[18:19] op_sel:[0,0,1] op_sel_hi:[1,0,0]
	v_fmac_f32_e32 v75, v63, v145
	v_fma_f32 v74, v62, v145, -v1
	v_pk_add_f32 v[16:17], v[70:71], v[72:73]
	s_waitcnt vmcnt(7)
	v_mov_b32_e32 v18, v83
	ds_read2_b64 v[2:5], v86 offset0:109 offset1:110
	ds_read2_b64 v[6:9], v86 offset0:111 offset1:112
	;; [unrolled: 1-line block ×3, first 2 shown]
	v_pk_add_f32 v[16:17], v[16:17], v[74:75]
	v_mov_b32_e32 v21, v19
	v_pk_mul_f32 v[18:19], v[66:67], v[18:19] op_sel_hi:[1,0]
	v_pk_add_f32 v[16:17], v[16:17], v[20:21]
	s_waitcnt vmcnt(6)
	v_pk_fma_f32 v[20:21], v[66:67], v[82:83], v[18:19] op_sel:[0,0,1] op_sel_hi:[1,1,0] neg_lo:[0,0,1] neg_hi:[0,0,1]
	v_pk_fma_f32 v[18:19], v[66:67], v[82:83], v[18:19] op_sel:[0,0,1] op_sel_hi:[1,0,0]
	v_mov_b32_e32 v18, v81
	v_mov_b32_e32 v21, v19
	s_waitcnt lgkmcnt(2)
	v_pk_mul_f32 v[18:19], v[2:3], v[18:19] op_sel_hi:[1,0]
	v_pk_add_f32 v[16:17], v[16:17], v[20:21]
	v_pk_fma_f32 v[20:21], v[2:3], v[80:81], v[18:19] op_sel:[0,0,1] op_sel_hi:[1,1,0] neg_lo:[0,0,1] neg_hi:[0,0,1]
	v_pk_fma_f32 v[2:3], v[2:3], v[80:81], v[18:19] op_sel:[0,0,1] op_sel_hi:[1,0,0]
	v_mov_b32_e32 v21, v3
	v_pk_add_f32 v[2:3], v[16:17], v[20:21]
	v_mov_b32_e32 v16, v79
	v_pk_mul_f32 v[16:17], v[4:5], v[16:17] op_sel_hi:[1,0]
	v_pk_fma_f32 v[18:19], v[4:5], v[78:79], v[16:17] op_sel:[0,0,1] op_sel_hi:[1,1,0] neg_lo:[0,0,1] neg_hi:[0,0,1]
	v_pk_fma_f32 v[4:5], v[4:5], v[78:79], v[16:17] op_sel:[0,0,1] op_sel_hi:[1,0,0]
	v_mov_b32_e32 v4, v77
	v_mov_b32_e32 v19, v5
	s_waitcnt lgkmcnt(1)
	v_pk_mul_f32 v[4:5], v[6:7], v[4:5] op_sel_hi:[1,0]
	v_pk_fma_f32 v[16:17], v[6:7], v[76:77], v[4:5] op_sel:[0,0,1] op_sel_hi:[1,1,0] neg_lo:[0,0,1] neg_hi:[0,0,1]
	v_pk_fma_f32 v[4:5], v[6:7], v[76:77], v[4:5] op_sel:[0,0,1] op_sel_hi:[1,0,0]
	s_waitcnt vmcnt(1)
	v_mov_b32_e32 v4, v91
	v_mov_b32_e32 v17, v5
	v_pk_mul_f32 v[4:5], v[8:9], v[4:5] op_sel_hi:[1,0]
	s_waitcnt vmcnt(0)
	v_pk_fma_f32 v[6:7], v[8:9], v[90:91], v[4:5] op_sel:[0,0,1] op_sel_hi:[1,1,0] neg_lo:[0,0,1] neg_hi:[0,0,1]
	v_pk_fma_f32 v[4:5], v[8:9], v[90:91], v[4:5] op_sel:[0,0,1] op_sel_hi:[1,0,0]
	v_pk_add_f32 v[2:3], v[2:3], v[18:19]
	v_mov_b32_e32 v4, v89
	v_pk_add_f32 v[2:3], v[2:3], v[16:17]
	v_mov_b32_e32 v7, v5
	s_waitcnt lgkmcnt(0)
	v_pk_mul_f32 v[4:5], v[10:11], v[4:5] op_sel_hi:[1,0]
	v_pk_add_f32 v[2:3], v[2:3], v[6:7]
	v_pk_fma_f32 v[6:7], v[10:11], v[88:89], v[4:5] op_sel:[0,0,1] op_sel_hi:[1,1,0] neg_lo:[0,0,1] neg_hi:[0,0,1]
	v_pk_fma_f32 v[4:5], v[10:11], v[88:89], v[4:5] op_sel:[0,0,1] op_sel_hi:[1,0,0]
	v_mov_b32_e32 v4, v85
	v_mov_b32_e32 v7, v5
	v_pk_mul_f32 v[4:5], v[12:13], v[4:5] op_sel_hi:[1,0]
	v_pk_add_f32 v[2:3], v[2:3], v[6:7]
	v_pk_fma_f32 v[6:7], v[12:13], v[84:85], v[4:5] op_sel:[0,0,1] op_sel_hi:[1,1,0] neg_lo:[0,0,1] neg_hi:[0,0,1]
	v_pk_fma_f32 v[4:5], v[12:13], v[84:85], v[4:5] op_sel:[0,0,1] op_sel_hi:[1,0,0]
	v_mov_b32_e32 v7, v5
	v_pk_add_f32 v[2:3], v[2:3], v[6:7]
	v_pk_add_f32 v[2:3], v[14:15], v[2:3] neg_lo:[0,1] neg_hi:[0,1]
	buffer_store_dword v3, off, s[0:3], 0 offset:148
	buffer_store_dword v2, off, s[0:3], 0 offset:144
	s_and_saveexec_b64 s[4:5], vcc
	s_cbranch_execz .LBB56_321
; %bb.320:
	buffer_load_dword v2, off, s[0:3], 0 offset:136
	buffer_load_dword v3, off, s[0:3], 0 offset:140
	v_mov_b32_e32 v1, 0
	buffer_store_dword v1, off, s[0:3], 0 offset:136
	buffer_store_dword v1, off, s[0:3], 0 offset:140
	s_waitcnt vmcnt(2)
	ds_write_b64 v165, v[2:3]
.LBB56_321:
	s_or_b64 exec, exec, s[4:5]
	s_waitcnt lgkmcnt(0)
	; wave barrier
	s_waitcnt lgkmcnt(0)
	buffer_load_dword v68, off, s[0:3], 0 offset:148
	buffer_load_dword v70, off, s[0:3], 0 offset:156
	;; [unrolled: 1-line block ×48, first 2 shown]
	v_mov_b32_e32 v1, 0
	ds_read_b128 v[2:5], v1 offset:608
	buffer_load_dword v133, off, s[0:3], 0 offset:328
	buffer_load_dword v134, off, s[0:3], 0 offset:332
	;; [unrolled: 1-line block ×8, first 2 shown]
	ds_read_b128 v[8:11], v1 offset:624
	ds_read_b128 v[12:15], v1 offset:640
	;; [unrolled: 1-line block ×3, first 2 shown]
	buffer_load_dword v141, off, s[0:3], 0 offset:360
	buffer_load_dword v142, off, s[0:3], 0 offset:364
	;; [unrolled: 1-line block ×8, first 2 shown]
	v_cmp_lt_u32_e32 vcc, 16, v0
	s_waitcnt vmcnt(62) lgkmcnt(3)
	v_mul_f32_e32 v20, v2, v68
	v_mul_f32_e32 v21, v4, v70
	s_waitcnt vmcnt(61) lgkmcnt(2)
	v_mul_f32_e32 v23, v10, v72
	s_waitcnt vmcnt(60) lgkmcnt(1)
	v_mul_f32_e32 v24, v12, v90
	s_waitcnt vmcnt(59)
	v_mul_f32_e32 v25, v14, v91
	s_waitcnt vmcnt(58)
	;; [unrolled: 2-line block ×3, first 2 shown]
	v_fmac_f32_e32 v22, v9, v93
	s_waitcnt vmcnt(56)
	v_fmac_f32_e32 v21, v5, v94
	s_waitcnt vmcnt(55)
	v_fmac_f32_e32 v20, v3, v95
	v_add_f32_e32 v20, 0, v20
	v_add_f32_e32 v20, v20, v21
	;; [unrolled: 1-line block ×3, first 2 shown]
	s_waitcnt vmcnt(51)
	v_fmac_f32_e32 v24, v13, v99
	s_waitcnt vmcnt(50)
	v_fmac_f32_e32 v23, v11, v100
	v_add_f32_e32 v20, v20, v23
	s_waitcnt lgkmcnt(0)
	v_mul_f32_e32 v26, v16, v96
	v_fmac_f32_e32 v25, v15, v98
	v_add_f32_e32 v20, v20, v24
	v_fmac_f32_e32 v26, v17, v97
	v_add_f32_e32 v20, v20, v25
	v_add_f32_e32 v24, v20, v26
	ds_read_b128 v[20:23], v1 offset:672
	s_waitcnt vmcnt(45)
	v_mul_f32_e32 v25, v18, v105
	s_waitcnt vmcnt(44)
	v_fmac_f32_e32 v25, v19, v106
	v_add_f32_e32 v28, v24, v25
	ds_read_b128 v[24:27], v1 offset:688
	s_waitcnt vmcnt(43) lgkmcnt(1)
	v_mul_f32_e32 v29, v20, v107
	v_fmac_f32_e32 v29, v21, v104
	v_add_f32_e32 v28, v28, v29
	s_waitcnt vmcnt(42)
	v_mul_f32_e32 v29, v22, v108
	v_fmac_f32_e32 v29, v23, v103
	v_add_f32_e32 v28, v28, v29
	s_waitcnt lgkmcnt(0)
	v_mul_f32_e32 v29, v24, v102
	v_fmac_f32_e32 v29, v25, v101
	v_add_f32_e32 v32, v28, v29
	ds_read_b128 v[28:31], v1 offset:704
	s_waitcnt vmcnt(38)
	v_mul_f32_e32 v33, v26, v110
	v_fmac_f32_e32 v33, v27, v109
	v_add_f32_e32 v36, v32, v33
	ds_read_b128 v[32:35], v1 offset:720
	s_waitcnt vmcnt(36) lgkmcnt(1)
	v_mul_f32_e32 v37, v28, v112
	v_fmac_f32_e32 v37, v29, v111
	v_add_f32_e32 v36, v36, v37
	s_waitcnt vmcnt(34)
	v_mul_f32_e32 v37, v30, v114
	v_fmac_f32_e32 v37, v31, v113
	v_add_f32_e32 v36, v36, v37
	s_waitcnt vmcnt(32) lgkmcnt(0)
	v_mul_f32_e32 v37, v32, v116
	v_fmac_f32_e32 v37, v33, v115
	v_add_f32_e32 v40, v36, v37
	ds_read_b128 v[36:39], v1 offset:736
	s_waitcnt vmcnt(30)
	v_mul_f32_e32 v41, v34, v118
	v_fmac_f32_e32 v41, v35, v117
	v_add_f32_e32 v44, v40, v41
	ds_read_b128 v[40:43], v1 offset:752
	s_waitcnt vmcnt(28) lgkmcnt(1)
	v_mul_f32_e32 v45, v36, v120
	v_fmac_f32_e32 v45, v37, v119
	v_add_f32_e32 v44, v44, v45
	s_waitcnt vmcnt(26)
	v_mul_f32_e32 v45, v38, v122
	v_fmac_f32_e32 v45, v39, v121
	v_add_f32_e32 v44, v44, v45
	s_waitcnt vmcnt(24) lgkmcnt(0)
	;; [unrolled: 18-line block ×4, first 2 shown]
	v_mul_f32_e32 v61, v56, v140
	v_fmac_f32_e32 v61, v57, v139
	s_waitcnt vmcnt(6)
	v_mul_f32_e32 v65, v58, v142
	v_add_f32_e32 v64, v60, v61
	v_fmac_f32_e32 v65, v59, v141
	ds_read_b128 v[60:63], v1 offset:832
	v_add_f32_e32 v69, v64, v65
	ds_read_b128 v[64:67], v1 offset:848
	buffer_load_dword v75, off, s[0:3], 0 offset:420
	buffer_load_dword v74, off, s[0:3], 0 offset:416
	;; [unrolled: 1-line block ×16, first 2 shown]
	v_mul_f32_e32 v3, v3, v68
	v_fma_f32 v2, v2, v95, -v3
	v_mul_f32_e32 v3, v5, v70
	v_add_f32_e32 v2, 0, v2
	v_fma_f32 v3, v4, v94, -v3
	v_add_f32_e32 v2, v2, v3
	v_mul_f32_e32 v3, v9, v92
	v_fma_f32 v3, v8, v93, -v3
	v_add_f32_e32 v2, v2, v3
	v_mul_f32_e32 v3, v11, v72
	;; [unrolled: 3-line block ×26, first 2 shown]
	v_fma_f32 v3, v58, v141, -v3
	v_add_f32_e32 v2, v2, v3
	s_waitcnt vmcnt(20) lgkmcnt(1)
	v_mul_f32_e32 v3, v61, v144
	v_mul_f32_e32 v71, v60, v144
	v_fma_f32 v3, v60, v143, -v3
	v_fmac_f32_e32 v71, v61, v143
	v_add_f32_e32 v68, v2, v3
	s_waitcnt vmcnt(18)
	v_mul_f32_e32 v2, v63, v208
	s_waitcnt vmcnt(9)
	v_mov_b32_e32 v20, v81
	v_add_f32_e32 v69, v69, v71
	v_mul_f32_e32 v71, v62, v208
	v_fma_f32 v70, v62, v145, -v2
	s_waitcnt lgkmcnt(0)
	v_mul_f32_e32 v2, v65, v210
	v_pk_mul_f32 v[20:21], v[66:67], v[20:21] op_sel_hi:[1,0]
	v_fmac_f32_e32 v71, v63, v145
	v_mul_f32_e32 v73, v64, v210
	v_fma_f32 v72, v64, v209, -v2
	ds_read_b128 v[2:5], v1 offset:864
	ds_read_b128 v[8:11], v1 offset:880
	;; [unrolled: 1-line block ×3, first 2 shown]
	ds_read_b64 v[16:17], v1 offset:912
	s_waitcnt vmcnt(8)
	v_pk_fma_f32 v[22:23], v[66:67], v[80:81], v[20:21] op_sel:[0,0,1] op_sel_hi:[1,1,0] neg_lo:[0,0,1] neg_hi:[0,0,1]
	v_pk_fma_f32 v[20:21], v[66:67], v[80:81], v[20:21] op_sel:[0,0,1] op_sel_hi:[1,0,0]
	v_fmac_f32_e32 v73, v65, v209
	v_pk_add_f32 v[18:19], v[68:69], v[70:71]
	v_mov_b32_e32 v20, v79
	v_pk_add_f32 v[18:19], v[18:19], v[72:73]
	v_mov_b32_e32 v23, v21
	s_waitcnt lgkmcnt(3)
	v_pk_mul_f32 v[20:21], v[2:3], v[20:21] op_sel_hi:[1,0]
	v_pk_add_f32 v[18:19], v[18:19], v[22:23]
	v_pk_fma_f32 v[22:23], v[2:3], v[78:79], v[20:21] op_sel:[0,0,1] op_sel_hi:[1,1,0] neg_lo:[0,0,1] neg_hi:[0,0,1]
	v_pk_fma_f32 v[2:3], v[2:3], v[78:79], v[20:21] op_sel:[0,0,1] op_sel_hi:[1,0,0]
	v_mov_b32_e32 v23, v3
	v_pk_add_f32 v[2:3], v[18:19], v[22:23]
	v_mov_b32_e32 v18, v77
	v_pk_mul_f32 v[18:19], v[4:5], v[18:19] op_sel_hi:[1,0]
	v_pk_fma_f32 v[20:21], v[4:5], v[76:77], v[18:19] op_sel:[0,0,1] op_sel_hi:[1,1,0] neg_lo:[0,0,1] neg_hi:[0,0,1]
	v_pk_fma_f32 v[4:5], v[4:5], v[76:77], v[18:19] op_sel:[0,0,1] op_sel_hi:[1,0,0]
	v_mov_b32_e32 v4, v75
	v_mov_b32_e32 v21, v5
	s_waitcnt lgkmcnt(2)
	v_pk_mul_f32 v[4:5], v[8:9], v[4:5] op_sel_hi:[1,0]
	v_pk_fma_f32 v[18:19], v[8:9], v[74:75], v[4:5] op_sel:[0,0,1] op_sel_hi:[1,1,0] neg_lo:[0,0,1] neg_hi:[0,0,1]
	v_pk_fma_f32 v[4:5], v[8:9], v[74:75], v[4:5] op_sel:[0,0,1] op_sel_hi:[1,0,0]
	s_waitcnt vmcnt(1)
	v_mov_b32_e32 v4, v89
	v_mov_b32_e32 v19, v5
	v_pk_mul_f32 v[4:5], v[10:11], v[4:5] op_sel_hi:[1,0]
	s_waitcnt vmcnt(0)
	v_pk_fma_f32 v[8:9], v[10:11], v[88:89], v[4:5] op_sel:[0,0,1] op_sel_hi:[1,1,0] neg_lo:[0,0,1] neg_hi:[0,0,1]
	v_pk_fma_f32 v[4:5], v[10:11], v[88:89], v[4:5] op_sel:[0,0,1] op_sel_hi:[1,0,0]
	v_pk_add_f32 v[2:3], v[2:3], v[20:21]
	v_mov_b32_e32 v4, v87
	v_pk_add_f32 v[2:3], v[2:3], v[18:19]
	v_mov_b32_e32 v9, v5
	s_waitcnt lgkmcnt(1)
	v_pk_mul_f32 v[4:5], v[12:13], v[4:5] op_sel_hi:[1,0]
	v_pk_add_f32 v[2:3], v[2:3], v[8:9]
	v_pk_fma_f32 v[8:9], v[12:13], v[86:87], v[4:5] op_sel:[0,0,1] op_sel_hi:[1,1,0] neg_lo:[0,0,1] neg_hi:[0,0,1]
	v_pk_fma_f32 v[4:5], v[12:13], v[86:87], v[4:5] op_sel:[0,0,1] op_sel_hi:[1,0,0]
	v_mov_b32_e32 v4, v85
	v_mov_b32_e32 v9, v5
	v_pk_mul_f32 v[4:5], v[14:15], v[4:5] op_sel_hi:[1,0]
	v_pk_add_f32 v[2:3], v[2:3], v[8:9]
	v_pk_fma_f32 v[8:9], v[14:15], v[84:85], v[4:5] op_sel:[0,0,1] op_sel_hi:[1,1,0] neg_lo:[0,0,1] neg_hi:[0,0,1]
	v_pk_fma_f32 v[4:5], v[14:15], v[84:85], v[4:5] op_sel:[0,0,1] op_sel_hi:[1,0,0]
	v_mov_b32_e32 v4, v83
	v_mov_b32_e32 v9, v5
	s_waitcnt lgkmcnt(0)
	v_pk_mul_f32 v[4:5], v[16:17], v[4:5] op_sel_hi:[1,0]
	v_pk_add_f32 v[2:3], v[2:3], v[8:9]
	v_pk_fma_f32 v[8:9], v[16:17], v[82:83], v[4:5] op_sel:[0,0,1] op_sel_hi:[1,1,0] neg_lo:[0,0,1] neg_hi:[0,0,1]
	v_pk_fma_f32 v[4:5], v[16:17], v[82:83], v[4:5] op_sel:[0,0,1] op_sel_hi:[1,0,0]
	v_mov_b32_e32 v9, v5
	v_pk_add_f32 v[2:3], v[2:3], v[8:9]
	v_pk_add_f32 v[2:3], v[6:7], v[2:3] neg_lo:[0,1] neg_hi:[0,1]
	buffer_store_dword v3, off, s[0:3], 0 offset:140
	buffer_store_dword v2, off, s[0:3], 0 offset:136
	s_and_saveexec_b64 s[4:5], vcc
	s_cbranch_execz .LBB56_323
; %bb.322:
	buffer_load_dword v2, off, s[0:3], 0 offset:128
	buffer_load_dword v3, off, s[0:3], 0 offset:132
	s_waitcnt vmcnt(0)
	ds_write_b64 v165, v[2:3]
	buffer_store_dword v1, off, s[0:3], 0 offset:128
	buffer_store_dword v1, off, s[0:3], 0 offset:132
.LBB56_323:
	s_or_b64 exec, exec, s[4:5]
	s_waitcnt lgkmcnt(0)
	; wave barrier
	s_waitcnt lgkmcnt(0)
	buffer_load_dword v68, off, s[0:3], 0 offset:140
	buffer_load_dword v70, off, s[0:3], 0 offset:148
	;; [unrolled: 1-line block ×26, first 2 shown]
	ds_read2_b64 v[14:17], v1 offset0:75 offset1:76
	ds_read2_b64 v[6:9], v1 offset0:77 offset1:78
	buffer_load_dword v111, off, s[0:3], 0 offset:232
	buffer_load_dword v112, off, s[0:3], 0 offset:236
	ds_read2_b64 v[10:13], v1 offset0:79 offset1:80
	ds_read2_b64 v[2:5], v1 offset0:81 offset1:82
	buffer_load_dword v113, off, s[0:3], 0 offset:240
	buffer_load_dword v114, off, s[0:3], 0 offset:244
	;; [unrolled: 1-line block ×32, first 2 shown]
	v_cmp_lt_u32_e32 vcc, 15, v0
	s_waitcnt vmcnt(59) lgkmcnt(3)
	v_mul_f32_e32 v20, v14, v68
	s_waitcnt vmcnt(58)
	v_mul_f32_e32 v21, v16, v70
	s_waitcnt vmcnt(57) lgkmcnt(2)
	v_mul_f32_e32 v23, v8, v78
	s_waitcnt vmcnt(56) lgkmcnt(1)
	v_mul_f32_e32 v24, v10, v90
	s_waitcnt vmcnt(55)
	v_mul_f32_e32 v25, v12, v91
	s_waitcnt vmcnt(54)
	v_mul_f32_e32 v22, v6, v92
	s_waitcnt vmcnt(53) lgkmcnt(0)
	v_mul_f32_e32 v26, v2, v93
	s_waitcnt vmcnt(52)
	v_mul_f32_e32 v27, v4, v94
	s_waitcnt vmcnt(51)
	v_fmac_f32_e32 v22, v7, v95
	s_waitcnt vmcnt(50)
	v_fmac_f32_e32 v21, v17, v96
	;; [unrolled: 2-line block ×3, first 2 shown]
	v_add_f32_e32 v20, 0, v20
	v_add_f32_e32 v20, v20, v21
	v_add_f32_e32 v20, v20, v22
	s_waitcnt vmcnt(45)
	v_fmac_f32_e32 v23, v9, v101
	v_fmac_f32_e32 v24, v11, v100
	v_add_f32_e32 v20, v20, v23
	v_fmac_f32_e32 v25, v13, v99
	v_add_f32_e32 v20, v20, v24
	;; [unrolled: 2-line block ×3, first 2 shown]
	v_add_f32_e32 v24, v20, v26
	ds_read2_b64 v[20:23], v1 offset0:83 offset1:84
	s_waitcnt vmcnt(41)
	v_fmac_f32_e32 v27, v5, v105
	buffer_load_dword v145, off, s[0:3], 0 offset:368
	buffer_load_dword v208, off, s[0:3], 0 offset:372
	v_add_f32_e32 v28, v24, v27
	buffer_load_dword v209, off, s[0:3], 0 offset:376
	buffer_load_dword v210, off, s[0:3], 0 offset:380
	ds_read2_b64 v[24:27], v1 offset0:85 offset1:86
	s_waitcnt vmcnt(44) lgkmcnt(1)
	v_mul_f32_e32 v29, v20, v106
	v_fmac_f32_e32 v29, v21, v104
	v_add_f32_e32 v28, v28, v29
	s_waitcnt vmcnt(43)
	v_mul_f32_e32 v29, v22, v107
	v_fmac_f32_e32 v29, v23, v103
	v_add_f32_e32 v28, v28, v29
	s_waitcnt vmcnt(42) lgkmcnt(0)
	v_mul_f32_e32 v29, v24, v108
	v_fmac_f32_e32 v29, v25, v102
	buffer_load_dword v211, off, s[0:3], 0 offset:384
	buffer_load_dword v212, off, s[0:3], 0 offset:388
	v_add_f32_e32 v32, v28, v29
	ds_read2_b64 v[28:31], v1 offset0:87 offset1:88
	s_waitcnt vmcnt(40)
	v_mul_f32_e32 v33, v26, v110
	v_fmac_f32_e32 v33, v27, v109
	v_add_f32_e32 v36, v32, v33
	ds_read2_b64 v[32:35], v1 offset0:89 offset1:90
	s_waitcnt vmcnt(38) lgkmcnt(1)
	v_mul_f32_e32 v37, v28, v112
	v_fmac_f32_e32 v37, v29, v111
	v_add_f32_e32 v36, v36, v37
	s_waitcnt vmcnt(36)
	v_mul_f32_e32 v37, v30, v114
	v_fmac_f32_e32 v37, v31, v113
	v_add_f32_e32 v36, v36, v37
	s_waitcnt vmcnt(34) lgkmcnt(0)
	v_mul_f32_e32 v37, v32, v116
	v_fmac_f32_e32 v37, v33, v115
	v_add_f32_e32 v40, v36, v37
	ds_read2_b64 v[36:39], v1 offset0:91 offset1:92
	s_waitcnt vmcnt(32)
	v_mul_f32_e32 v41, v34, v118
	v_fmac_f32_e32 v41, v35, v117
	v_add_f32_e32 v44, v40, v41
	ds_read2_b64 v[40:43], v1 offset0:93 offset1:94
	s_waitcnt vmcnt(30) lgkmcnt(1)
	v_mul_f32_e32 v45, v36, v120
	v_fmac_f32_e32 v45, v37, v119
	v_add_f32_e32 v44, v44, v45
	s_waitcnt vmcnt(28)
	v_mul_f32_e32 v45, v38, v122
	v_fmac_f32_e32 v45, v39, v121
	v_add_f32_e32 v44, v44, v45
	s_waitcnt vmcnt(26) lgkmcnt(0)
	v_mul_f32_e32 v45, v40, v124
	v_fmac_f32_e32 v45, v41, v123
	;; [unrolled: 18-line block ×4, first 2 shown]
	s_waitcnt vmcnt(8)
	v_mul_f32_e32 v65, v58, v142
	v_add_f32_e32 v64, v60, v61
	v_fmac_f32_e32 v65, v59, v141
	ds_read2_b64 v[60:63], v1 offset0:103 offset1:104
	v_add_f32_e32 v69, v64, v65
	ds_read2_b64 v[64:67], v1 offset0:105 offset1:106
	buffer_load_dword v73, off, s[0:3], 0 offset:412
	buffer_load_dword v72, off, s[0:3], 0 offset:408
	buffer_load_dword v75, off, s[0:3], 0 offset:404
	buffer_load_dword v74, off, s[0:3], 0 offset:400
	buffer_load_dword v77, off, s[0:3], 0 offset:396
	buffer_load_dword v76, off, s[0:3], 0 offset:392
	buffer_load_dword v81, off, s[0:3], 0 offset:444
	buffer_load_dword v80, off, s[0:3], 0 offset:440
	buffer_load_dword v83, off, s[0:3], 0 offset:436
	buffer_load_dword v82, off, s[0:3], 0 offset:432
	buffer_load_dword v85, off, s[0:3], 0 offset:428
	buffer_load_dword v84, off, s[0:3], 0 offset:424
	buffer_load_dword v87, off, s[0:3], 0 offset:420
	buffer_load_dword v86, off, s[0:3], 0 offset:416
	buffer_load_dword v89, off, s[0:3], 0 offset:452
	buffer_load_dword v88, off, s[0:3], 0 offset:448
	v_mul_f32_e32 v15, v15, v68
	v_fma_f32 v14, v14, v97, -v15
	v_mul_f32_e32 v15, v17, v70
	v_add_f32_e32 v14, 0, v14
	v_fma_f32 v15, v16, v96, -v15
	v_mul_f32_e32 v7, v7, v92
	v_add_f32_e32 v14, v14, v15
	;; [unrolled: 3-line block ×3, first 2 shown]
	v_fma_f32 v7, v8, v101, -v7
	v_add_f32_e32 v6, v6, v7
	v_mul_f32_e32 v7, v11, v90
	v_fma_f32 v7, v10, v100, -v7
	v_add_f32_e32 v6, v6, v7
	v_mul_f32_e32 v7, v13, v91
	v_fma_f32 v7, v12, v99, -v7
	v_mul_f32_e32 v3, v3, v93
	v_add_f32_e32 v6, v6, v7
	v_fma_f32 v2, v2, v98, -v3
	v_mul_f32_e32 v3, v5, v94
	v_add_f32_e32 v2, v6, v2
	v_fma_f32 v3, v4, v105, -v3
	v_add_f32_e32 v2, v2, v3
	v_mul_f32_e32 v3, v21, v106
	v_fma_f32 v3, v20, v104, -v3
	v_add_f32_e32 v2, v2, v3
	v_mul_f32_e32 v3, v23, v107
	;; [unrolled: 3-line block ×20, first 2 shown]
	v_fma_f32 v3, v58, v141, -v3
	v_add_f32_e32 v2, v2, v3
	s_waitcnt vmcnt(22) lgkmcnt(1)
	v_mul_f32_e32 v3, v61, v144
	v_fma_f32 v3, v60, v143, -v3
	v_add_f32_e32 v2, v2, v3
	s_waitcnt vmcnt(20)
	v_mul_f32_e32 v3, v63, v208
	v_mul_f32_e32 v71, v60, v144
	v_fma_f32 v3, v62, v145, -v3
	v_fmac_f32_e32 v71, v61, v143
	v_add_f32_e32 v68, v2, v3
	s_waitcnt vmcnt(18) lgkmcnt(0)
	v_mul_f32_e32 v2, v65, v210
	v_add_f32_e32 v69, v69, v71
	v_mul_f32_e32 v71, v62, v208
	v_fma_f32 v70, v64, v209, -v2
	s_waitcnt vmcnt(16)
	v_mul_f32_e32 v2, v67, v212
	v_fmac_f32_e32 v71, v63, v145
	v_fma_f32 v78, v66, v211, -v2
	ds_read2_b64 v[2:5], v1 offset0:107 offset1:108
	ds_read2_b64 v[6:9], v1 offset0:109 offset1:110
	;; [unrolled: 1-line block ×4, first 2 shown]
	v_add_f32_e32 v69, v69, v71
	v_mul_f32_e32 v71, v64, v210
	s_waitcnt vmcnt(11)
	v_mov_b32_e32 v22, v77
	v_fmac_f32_e32 v71, v65, v209
	v_mul_f32_e32 v79, v66, v212
	s_waitcnt lgkmcnt(3)
	v_pk_mul_f32 v[22:23], v[2:3], v[22:23] op_sel_hi:[1,0]
	v_fmac_f32_e32 v79, v67, v211
	v_pk_add_f32 v[20:21], v[68:69], v[70:71]
	s_waitcnt vmcnt(10)
	v_pk_fma_f32 v[24:25], v[2:3], v[76:77], v[22:23] op_sel:[0,0,1] op_sel_hi:[1,1,0] neg_lo:[0,0,1] neg_hi:[0,0,1]
	v_pk_fma_f32 v[2:3], v[2:3], v[76:77], v[22:23] op_sel:[0,0,1] op_sel_hi:[1,0,0]
	v_pk_add_f32 v[20:21], v[20:21], v[78:79]
	v_mov_b32_e32 v25, v3
	v_pk_add_f32 v[2:3], v[20:21], v[24:25]
	v_mov_b32_e32 v20, v75
	v_pk_mul_f32 v[20:21], v[4:5], v[20:21] op_sel_hi:[1,0]
	v_pk_fma_f32 v[22:23], v[4:5], v[74:75], v[20:21] op_sel:[0,0,1] op_sel_hi:[1,1,0] neg_lo:[0,0,1] neg_hi:[0,0,1]
	v_pk_fma_f32 v[4:5], v[4:5], v[74:75], v[20:21] op_sel:[0,0,1] op_sel_hi:[1,0,0]
	v_mov_b32_e32 v4, v73
	v_mov_b32_e32 v23, v5
	s_waitcnt lgkmcnt(2)
	v_pk_mul_f32 v[4:5], v[6:7], v[4:5] op_sel_hi:[1,0]
	v_pk_fma_f32 v[20:21], v[6:7], v[72:73], v[4:5] op_sel:[0,0,1] op_sel_hi:[1,1,0] neg_lo:[0,0,1] neg_hi:[0,0,1]
	v_pk_fma_f32 v[4:5], v[6:7], v[72:73], v[4:5] op_sel:[0,0,1] op_sel_hi:[1,0,0]
	s_waitcnt vmcnt(3)
	v_mov_b32_e32 v4, v87
	v_mov_b32_e32 v21, v5
	v_pk_mul_f32 v[4:5], v[8:9], v[4:5] op_sel_hi:[1,0]
	s_waitcnt vmcnt(2)
	v_pk_fma_f32 v[6:7], v[8:9], v[86:87], v[4:5] op_sel:[0,0,1] op_sel_hi:[1,1,0] neg_lo:[0,0,1] neg_hi:[0,0,1]
	v_pk_fma_f32 v[4:5], v[8:9], v[86:87], v[4:5] op_sel:[0,0,1] op_sel_hi:[1,0,0]
	v_pk_add_f32 v[2:3], v[2:3], v[22:23]
	v_mov_b32_e32 v4, v85
	v_pk_add_f32 v[2:3], v[2:3], v[20:21]
	v_mov_b32_e32 v7, v5
	s_waitcnt lgkmcnt(1)
	v_pk_mul_f32 v[4:5], v[10:11], v[4:5] op_sel_hi:[1,0]
	v_pk_add_f32 v[2:3], v[2:3], v[6:7]
	v_pk_fma_f32 v[6:7], v[10:11], v[84:85], v[4:5] op_sel:[0,0,1] op_sel_hi:[1,1,0] neg_lo:[0,0,1] neg_hi:[0,0,1]
	v_pk_fma_f32 v[4:5], v[10:11], v[84:85], v[4:5] op_sel:[0,0,1] op_sel_hi:[1,0,0]
	v_mov_b32_e32 v4, v83
	v_mov_b32_e32 v7, v5
	v_pk_mul_f32 v[4:5], v[12:13], v[4:5] op_sel_hi:[1,0]
	v_pk_add_f32 v[2:3], v[2:3], v[6:7]
	v_pk_fma_f32 v[6:7], v[12:13], v[82:83], v[4:5] op_sel:[0,0,1] op_sel_hi:[1,1,0] neg_lo:[0,0,1] neg_hi:[0,0,1]
	v_pk_fma_f32 v[4:5], v[12:13], v[82:83], v[4:5] op_sel:[0,0,1] op_sel_hi:[1,0,0]
	v_mov_b32_e32 v4, v81
	v_mov_b32_e32 v7, v5
	s_waitcnt lgkmcnt(0)
	v_pk_mul_f32 v[4:5], v[14:15], v[4:5] op_sel_hi:[1,0]
	v_pk_add_f32 v[2:3], v[2:3], v[6:7]
	v_pk_fma_f32 v[6:7], v[14:15], v[80:81], v[4:5] op_sel:[0,0,1] op_sel_hi:[1,1,0] neg_lo:[0,0,1] neg_hi:[0,0,1]
	v_pk_fma_f32 v[4:5], v[14:15], v[80:81], v[4:5] op_sel:[0,0,1] op_sel_hi:[1,0,0]
	s_waitcnt vmcnt(1)
	v_mov_b32_e32 v4, v89
	v_mov_b32_e32 v7, v5
	v_pk_mul_f32 v[4:5], v[16:17], v[4:5] op_sel_hi:[1,0]
	v_pk_add_f32 v[2:3], v[2:3], v[6:7]
	s_waitcnt vmcnt(0)
	v_pk_fma_f32 v[6:7], v[16:17], v[88:89], v[4:5] op_sel:[0,0,1] op_sel_hi:[1,1,0] neg_lo:[0,0,1] neg_hi:[0,0,1]
	v_pk_fma_f32 v[4:5], v[16:17], v[88:89], v[4:5] op_sel:[0,0,1] op_sel_hi:[1,0,0]
	v_mov_b32_e32 v7, v5
	v_pk_add_f32 v[2:3], v[2:3], v[6:7]
	v_pk_add_f32 v[2:3], v[18:19], v[2:3] neg_lo:[0,1] neg_hi:[0,1]
	buffer_store_dword v3, off, s[0:3], 0 offset:132
	buffer_store_dword v2, off, s[0:3], 0 offset:128
	s_and_saveexec_b64 s[4:5], vcc
	s_cbranch_execz .LBB56_325
; %bb.324:
	buffer_load_dword v2, off, s[0:3], 0 offset:120
	buffer_load_dword v3, off, s[0:3], 0 offset:124
	v_mov_b32_e32 v1, 0
	buffer_store_dword v1, off, s[0:3], 0 offset:120
	buffer_store_dword v1, off, s[0:3], 0 offset:124
	s_waitcnt vmcnt(2)
	ds_write_b64 v165, v[2:3]
.LBB56_325:
	s_or_b64 exec, exec, s[4:5]
	v_mov_b32_e32 v208, 0
	s_waitcnt lgkmcnt(0)
	; wave barrier
	s_waitcnt lgkmcnt(0)
	ds_read_b128 v[14:17], v208 offset:592
	ds_read_b128 v[10:13], v208 offset:608
	;; [unrolled: 1-line block ×4, first 2 shown]
	buffer_load_dword v70, off, s[0:3], 0 offset:120
	buffer_load_dword v71, off, s[0:3], 0 offset:124
	;; [unrolled: 1-line block ×18, first 2 shown]
	v_cmp_lt_u32_e32 vcc, 14, v0
	s_waitcnt vmcnt(14) lgkmcnt(3)
	v_mul_f32_e32 v18, v14, v78
	v_fmac_f32_e32 v18, v15, v1
	s_waitcnt vmcnt(12)
	v_mul_f32_e32 v19, v16, v95
	v_add_f32_e32 v18, 0, v18
	v_fmac_f32_e32 v19, v17, v72
	v_add_f32_e32 v18, v18, v19
	s_waitcnt vmcnt(10) lgkmcnt(2)
	v_mul_f32_e32 v19, v10, v97
	v_fmac_f32_e32 v19, v11, v74
	v_add_f32_e32 v18, v18, v19
	s_waitcnt vmcnt(8)
	v_mul_f32_e32 v19, v12, v99
	v_fmac_f32_e32 v19, v13, v94
	v_add_f32_e32 v18, v18, v19
	s_waitcnt vmcnt(6) lgkmcnt(1)
	v_mul_f32_e32 v19, v6, v101
	v_fmac_f32_e32 v19, v7, v96
	v_add_f32_e32 v18, v18, v19
	s_waitcnt vmcnt(4)
	v_mul_f32_e32 v19, v8, v102
	;; [unrolled: 8-line block ×3, first 2 shown]
	v_fmac_f32_e32 v19, v5, v104
	v_add_f32_e32 v22, v18, v19
	ds_read_b128 v[18:21], v208 offset:656
	buffer_load_dword v106, off, s[0:3], 0 offset:192
	buffer_load_dword v107, off, s[0:3], 0 offset:196
	buffer_load_dword v108, off, s[0:3], 0 offset:200
	buffer_load_dword v109, off, s[0:3], 0 offset:204
	ds_read_b128 v[26:29], v208 offset:672
	buffer_load_dword v110, off, s[0:3], 0 offset:208
	buffer_load_dword v111, off, s[0:3], 0 offset:212
	buffer_load_dword v112, off, s[0:3], 0 offset:216
	buffer_load_dword v113, off, s[0:3], 0 offset:220
	;; [unrolled: 5-line block ×12, first 2 shown]
	v_mul_f32_e32 v15, v15, v78
	v_fma_f32 v1, v14, v1, -v15
	v_mul_f32_e32 v14, v17, v95
	v_add_f32_e32 v1, 0, v1
	v_fma_f32 v14, v16, v72, -v14
	v_mul_f32_e32 v11, v11, v97
	v_add_f32_e32 v1, v1, v14
	v_fma_f32 v10, v10, v74, -v11
	v_add_f32_e32 v1, v1, v10
	v_mul_f32_e32 v10, v13, v99
	v_fma_f32 v10, v12, v94, -v10
	v_mul_f32_e32 v7, v7, v101
	v_add_f32_e32 v1, v1, v10
	v_fma_f32 v6, v6, v96, -v7
	v_add_f32_e32 v1, v1, v6
	v_mul_f32_e32 v6, v9, v102
	;; [unrolled: 6-line block ×3, first 2 shown]
	v_fma_f32 v2, v4, v104, -v2
	v_add_f32_e32 v1, v1, v2
	s_waitcnt vmcnt(46) lgkmcnt(11)
	v_mul_f32_e32 v23, v18, v107
	v_fmac_f32_e32 v23, v19, v106
	v_add_f32_e32 v22, v22, v23
	s_waitcnt vmcnt(44)
	v_mul_f32_e32 v23, v20, v109
	v_fmac_f32_e32 v23, v21, v108
	v_add_f32_e32 v22, v22, v23
	s_waitcnt vmcnt(42) lgkmcnt(10)
	v_mul_f32_e32 v23, v26, v111
	v_fmac_f32_e32 v23, v27, v110
	v_add_f32_e32 v22, v22, v23
	s_waitcnt vmcnt(40)
	v_mul_f32_e32 v23, v28, v113
	v_fmac_f32_e32 v23, v29, v112
	;; [unrolled: 8-line block ×11, first 2 shown]
	v_add_f32_e32 v22, v22, v23
	s_waitcnt vmcnt(2) lgkmcnt(0)
	v_mul_f32_e32 v23, v66, v214
	v_fmac_f32_e32 v23, v67, v213
	v_add_f32_e32 v73, v22, v23
	ds_read_b128 v[22:25], v208 offset:848
	buffer_load_dword v217, off, s[0:3], 0 offset:384
	buffer_load_dword v218, off, s[0:3], 0 offset:388
	;; [unrolled: 1-line block ×18, first 2 shown]
	v_mul_f32_e32 v2, v19, v107
	v_fma_f32 v2, v18, v106, -v2
	v_add_f32_e32 v1, v1, v2
	v_mul_f32_e32 v2, v21, v109
	v_fma_f32 v2, v20, v108, -v2
	v_add_f32_e32 v1, v1, v2
	v_mul_f32_e32 v2, v27, v111
	v_fma_f32 v2, v26, v110, -v2
	v_add_f32_e32 v1, v1, v2
	v_mul_f32_e32 v2, v29, v113
	v_fma_f32 v2, v28, v112, -v2
	v_add_f32_e32 v1, v1, v2
	v_mul_f32_e32 v2, v31, v115
	v_fma_f32 v2, v30, v114, -v2
	v_add_f32_e32 v1, v1, v2
	v_mul_f32_e32 v2, v33, v117
	v_fma_f32 v2, v32, v116, -v2
	v_add_f32_e32 v1, v1, v2
	v_mul_f32_e32 v2, v35, v119
	v_fma_f32 v2, v34, v118, -v2
	v_add_f32_e32 v1, v1, v2
	v_mul_f32_e32 v2, v37, v121
	v_fma_f32 v2, v36, v120, -v2
	v_add_f32_e32 v1, v1, v2
	v_mul_f32_e32 v2, v39, v123
	v_fma_f32 v2, v38, v122, -v2
	v_add_f32_e32 v1, v1, v2
	v_mul_f32_e32 v2, v41, v125
	v_fma_f32 v2, v40, v124, -v2
	v_add_f32_e32 v1, v1, v2
	v_mul_f32_e32 v2, v43, v127
	v_fma_f32 v2, v42, v126, -v2
	v_add_f32_e32 v1, v1, v2
	v_mul_f32_e32 v2, v45, v129
	v_fma_f32 v2, v44, v128, -v2
	v_add_f32_e32 v1, v1, v2
	v_mul_f32_e32 v2, v47, v131
	v_fma_f32 v2, v46, v130, -v2
	v_add_f32_e32 v1, v1, v2
	v_mul_f32_e32 v2, v49, v133
	v_fma_f32 v2, v48, v132, -v2
	v_add_f32_e32 v1, v1, v2
	v_mul_f32_e32 v2, v51, v135
	v_fma_f32 v2, v50, v134, -v2
	v_add_f32_e32 v1, v1, v2
	v_mul_f32_e32 v2, v53, v136
	v_fma_f32 v2, v52, v209, -v2
	v_add_f32_e32 v1, v1, v2
	v_mul_f32_e32 v2, v55, v210
	v_fma_f32 v2, v54, v137, -v2
	v_add_f32_e32 v1, v1, v2
	v_mul_f32_e32 v2, v57, v139
	v_fma_f32 v2, v56, v138, -v2
	v_add_f32_e32 v1, v1, v2
	v_mul_f32_e32 v2, v59, v140
	v_fma_f32 v2, v58, v211, -v2
	v_add_f32_e32 v1, v1, v2
	v_mul_f32_e32 v2, v61, v142
	v_fma_f32 v2, v60, v141, -v2
	v_add_f32_e32 v1, v1, v2
	v_mul_f32_e32 v2, v63, v144
	v_fma_f32 v2, v62, v143, -v2
	v_add_f32_e32 v1, v1, v2
	v_mul_f32_e32 v2, v65, v212
	v_fma_f32 v2, v64, v145, -v2
	v_add_f32_e32 v1, v1, v2
	v_mul_f32_e32 v2, v67, v214
	v_fma_f32 v2, v66, v213, -v2
	s_waitcnt vmcnt(15)
	v_mov_b32_e32 v18, v77
	v_mul_f32_e32 v75, v68, v216
	v_add_f32_e32 v72, v1, v2
	v_mul_f32_e32 v1, v69, v216
	s_waitcnt lgkmcnt(0)
	v_pk_mul_f32 v[18:19], v[24:25], v[18:19] op_sel_hi:[1,0]
	v_fmac_f32_e32 v75, v69, v215
	v_fma_f32 v74, v68, v215, -v1
	ds_read_b128 v[2:5], v208 offset:864
	ds_read_b128 v[6:9], v208 offset:880
	ds_read_b128 v[10:13], v208 offset:896
	ds_read_b64 v[14:15], v208 offset:912
	s_waitcnt vmcnt(14)
	v_pk_fma_f32 v[20:21], v[24:25], v[76:77], v[18:19] op_sel:[0,0,1] op_sel_hi:[1,1,0] neg_lo:[0,0,1] neg_hi:[0,0,1]
	v_pk_fma_f32 v[18:19], v[24:25], v[76:77], v[18:19] op_sel:[0,0,1] op_sel_hi:[1,0,0]
	v_mul_f32_e32 v79, v22, v218
	v_mul_f32_e32 v1, v23, v218
	v_fmac_f32_e32 v79, v23, v217
	v_fma_f32 v78, v22, v217, -v1
	v_pk_add_f32 v[16:17], v[72:73], v[74:75]
	s_waitcnt vmcnt(13)
	v_mov_b32_e32 v18, v93
	v_pk_add_f32 v[16:17], v[16:17], v[78:79]
	v_mov_b32_e32 v21, v19
	s_waitcnt lgkmcnt(3)
	v_pk_mul_f32 v[18:19], v[2:3], v[18:19] op_sel_hi:[1,0]
	v_pk_add_f32 v[16:17], v[16:17], v[20:21]
	s_waitcnt vmcnt(12)
	v_pk_fma_f32 v[20:21], v[2:3], v[92:93], v[18:19] op_sel:[0,0,1] op_sel_hi:[1,1,0] neg_lo:[0,0,1] neg_hi:[0,0,1]
	v_pk_fma_f32 v[2:3], v[2:3], v[92:93], v[18:19] op_sel:[0,0,1] op_sel_hi:[1,0,0]
	v_mov_b32_e32 v21, v3
	v_pk_add_f32 v[2:3], v[16:17], v[20:21]
	s_waitcnt vmcnt(11)
	v_mov_b32_e32 v16, v91
	v_pk_mul_f32 v[16:17], v[4:5], v[16:17] op_sel_hi:[1,0]
	s_waitcnt vmcnt(10)
	v_pk_fma_f32 v[18:19], v[4:5], v[90:91], v[16:17] op_sel:[0,0,1] op_sel_hi:[1,1,0] neg_lo:[0,0,1] neg_hi:[0,0,1]
	v_pk_fma_f32 v[4:5], v[4:5], v[90:91], v[16:17] op_sel:[0,0,1] op_sel_hi:[1,0,0]
	s_waitcnt vmcnt(9)
	v_mov_b32_e32 v4, v89
	v_mov_b32_e32 v19, v5
	s_waitcnt lgkmcnt(2)
	v_pk_mul_f32 v[4:5], v[6:7], v[4:5] op_sel_hi:[1,0]
	s_waitcnt vmcnt(8)
	v_pk_fma_f32 v[16:17], v[6:7], v[88:89], v[4:5] op_sel:[0,0,1] op_sel_hi:[1,1,0] neg_lo:[0,0,1] neg_hi:[0,0,1]
	v_pk_fma_f32 v[4:5], v[6:7], v[88:89], v[4:5] op_sel:[0,0,1] op_sel_hi:[1,0,0]
	s_waitcnt vmcnt(7)
	v_mov_b32_e32 v4, v87
	v_mov_b32_e32 v17, v5
	v_pk_mul_f32 v[4:5], v[8:9], v[4:5] op_sel_hi:[1,0]
	s_waitcnt vmcnt(6)
	v_pk_fma_f32 v[6:7], v[8:9], v[86:87], v[4:5] op_sel:[0,0,1] op_sel_hi:[1,1,0] neg_lo:[0,0,1] neg_hi:[0,0,1]
	v_pk_fma_f32 v[4:5], v[8:9], v[86:87], v[4:5] op_sel:[0,0,1] op_sel_hi:[1,0,0]
	v_pk_add_f32 v[2:3], v[2:3], v[18:19]
	s_waitcnt vmcnt(5)
	v_mov_b32_e32 v4, v85
	v_pk_add_f32 v[2:3], v[2:3], v[16:17]
	v_mov_b32_e32 v7, v5
	s_waitcnt lgkmcnt(1)
	v_pk_mul_f32 v[4:5], v[10:11], v[4:5] op_sel_hi:[1,0]
	v_pk_add_f32 v[2:3], v[2:3], v[6:7]
	s_waitcnt vmcnt(4)
	v_pk_fma_f32 v[6:7], v[10:11], v[84:85], v[4:5] op_sel:[0,0,1] op_sel_hi:[1,1,0] neg_lo:[0,0,1] neg_hi:[0,0,1]
	v_pk_fma_f32 v[4:5], v[10:11], v[84:85], v[4:5] op_sel:[0,0,1] op_sel_hi:[1,0,0]
	s_waitcnt vmcnt(3)
	v_mov_b32_e32 v4, v83
	v_mov_b32_e32 v7, v5
	v_pk_mul_f32 v[4:5], v[12:13], v[4:5] op_sel_hi:[1,0]
	v_pk_add_f32 v[2:3], v[2:3], v[6:7]
	s_waitcnt vmcnt(2)
	v_pk_fma_f32 v[6:7], v[12:13], v[82:83], v[4:5] op_sel:[0,0,1] op_sel_hi:[1,1,0] neg_lo:[0,0,1] neg_hi:[0,0,1]
	v_pk_fma_f32 v[4:5], v[12:13], v[82:83], v[4:5] op_sel:[0,0,1] op_sel_hi:[1,0,0]
	s_waitcnt vmcnt(1)
	v_mov_b32_e32 v4, v81
	v_mov_b32_e32 v7, v5
	s_waitcnt lgkmcnt(0)
	v_pk_mul_f32 v[4:5], v[14:15], v[4:5] op_sel_hi:[1,0]
	v_pk_add_f32 v[2:3], v[2:3], v[6:7]
	s_waitcnt vmcnt(0)
	v_pk_fma_f32 v[6:7], v[14:15], v[80:81], v[4:5] op_sel:[0,0,1] op_sel_hi:[1,1,0] neg_lo:[0,0,1] neg_hi:[0,0,1]
	v_pk_fma_f32 v[4:5], v[14:15], v[80:81], v[4:5] op_sel:[0,0,1] op_sel_hi:[1,0,0]
	v_mov_b32_e32 v7, v5
	v_pk_add_f32 v[2:3], v[2:3], v[6:7]
	v_pk_add_f32 v[2:3], v[70:71], v[2:3] neg_lo:[0,1] neg_hi:[0,1]
	buffer_store_dword v3, off, s[0:3], 0 offset:124
	buffer_store_dword v2, off, s[0:3], 0 offset:120
	s_and_saveexec_b64 s[4:5], vcc
	s_cbranch_execz .LBB56_327
; %bb.326:
	buffer_load_dword v2, off, s[0:3], 0 offset:112
	buffer_load_dword v3, off, s[0:3], 0 offset:116
	s_waitcnt vmcnt(0)
	ds_write_b64 v165, v[2:3]
	buffer_store_dword v208, off, s[0:3], 0 offset:112
	buffer_store_dword v208, off, s[0:3], 0 offset:116
.LBB56_327:
	s_or_b64 exec, exec, s[4:5]
	s_waitcnt lgkmcnt(0)
	; wave barrier
	s_waitcnt lgkmcnt(0)
	buffer_load_dword v1, off, s[0:3], 0 offset:124
	buffer_load_dword v78, off, s[0:3], 0 offset:132
	;; [unrolled: 1-line block ×24, first 2 shown]
	ds_read2_b64 v[22:25], v208 offset0:73 offset1:74
	ds_read2_b64 v[18:21], v208 offset0:75 offset1:76
	;; [unrolled: 1-line block ×4, first 2 shown]
	buffer_load_dword v116, off, s[0:3], 0 offset:208
	buffer_load_dword v117, off, s[0:3], 0 offset:212
	ds_read2_b64 v[10:13], v208 offset0:81 offset1:82
	ds_read2_b64 v[2:5], v208 offset0:83 offset1:84
	buffer_load_dword v118, off, s[0:3], 0 offset:216
	buffer_load_dword v119, off, s[0:3], 0 offset:220
	;; [unrolled: 1-line block ×44, first 2 shown]
	v_cmp_lt_u32_e32 vcc, 13, v0
	s_waitcnt vmcnt(62) lgkmcnt(5)
	v_mul_f32_e32 v28, v22, v1
	v_mul_f32_e32 v29, v24, v78
	s_waitcnt lgkmcnt(4)
	v_mul_f32_e32 v31, v20, v80
	s_waitcnt lgkmcnt(3)
	v_mul_f32_e32 v32, v14, v82
	v_mul_f32_e32 v33, v16, v98
	;; [unrolled: 1-line block ×3, first 2 shown]
	s_waitcnt lgkmcnt(2)
	v_mul_f32_e32 v34, v6, v100
	v_mul_f32_e32 v35, v8, v101
	s_waitcnt vmcnt(61)
	v_fmac_f32_e32 v30, v19, v102
	s_waitcnt vmcnt(60)
	v_fmac_f32_e32 v29, v25, v103
	;; [unrolled: 2-line block ×3, first 2 shown]
	v_add_f32_e32 v28, 0, v28
	v_add_f32_e32 v28, v28, v29
	;; [unrolled: 1-line block ×3, first 2 shown]
	s_waitcnt vmcnt(55)
	v_fmac_f32_e32 v31, v21, v108
	v_fmac_f32_e32 v32, v15, v107
	v_add_f32_e32 v28, v28, v31
	v_fmac_f32_e32 v33, v17, v106
	v_add_f32_e32 v28, v28, v32
	;; [unrolled: 2-line block ×3, first 2 shown]
	s_waitcnt vmcnt(51)
	v_fmac_f32_e32 v35, v9, v112
	v_add_f32_e32 v28, v28, v34
	s_waitcnt vmcnt(50) lgkmcnt(1)
	v_mul_f32_e32 v29, v10, v113
	v_add_f32_e32 v28, v28, v35
	v_fmac_f32_e32 v29, v11, v111
	v_add_f32_e32 v28, v28, v29
	s_waitcnt vmcnt(49)
	v_mul_f32_e32 v29, v12, v114
	v_fmac_f32_e32 v29, v13, v110
	v_add_f32_e32 v28, v28, v29
	s_waitcnt vmcnt(48) lgkmcnt(0)
	v_mul_f32_e32 v29, v2, v115
	v_fmac_f32_e32 v29, v3, v109
	v_add_f32_e32 v32, v28, v29
	ds_read2_b64 v[28:31], v208 offset0:85 offset1:86
	s_waitcnt vmcnt(44)
	v_mul_f32_e32 v33, v4, v117
	v_fmac_f32_e32 v33, v5, v116
	v_add_f32_e32 v36, v32, v33
	ds_read2_b64 v[32:35], v208 offset0:87 offset1:88
	s_waitcnt vmcnt(42) lgkmcnt(1)
	v_mul_f32_e32 v37, v28, v119
	v_fmac_f32_e32 v37, v29, v118
	v_add_f32_e32 v36, v36, v37
	s_waitcnt vmcnt(40)
	v_mul_f32_e32 v37, v30, v121
	v_fmac_f32_e32 v37, v31, v120
	v_add_f32_e32 v36, v36, v37
	s_waitcnt vmcnt(38) lgkmcnt(0)
	v_mul_f32_e32 v37, v32, v123
	v_fmac_f32_e32 v37, v33, v122
	v_add_f32_e32 v40, v36, v37
	ds_read2_b64 v[36:39], v208 offset0:89 offset1:90
	s_waitcnt vmcnt(36)
	v_mul_f32_e32 v41, v34, v125
	v_fmac_f32_e32 v41, v35, v124
	v_add_f32_e32 v44, v40, v41
	ds_read2_b64 v[40:43], v208 offset0:91 offset1:92
	s_waitcnt vmcnt(34) lgkmcnt(1)
	v_mul_f32_e32 v45, v36, v127
	;; [unrolled: 18-line block ×4, first 2 shown]
	v_fmac_f32_e32 v61, v53, v142
	v_add_f32_e32 v60, v60, v61
	s_waitcnt vmcnt(16)
	v_mul_f32_e32 v61, v54, v145
	v_fmac_f32_e32 v61, v55, v144
	v_add_f32_e32 v60, v60, v61
	s_waitcnt vmcnt(14) lgkmcnt(0)
	v_mul_f32_e32 v61, v56, v210
	v_fmac_f32_e32 v61, v57, v209
	v_add_f32_e32 v64, v60, v61
	ds_read2_b64 v[60:63], v208 offset0:101 offset1:102
	s_waitcnt vmcnt(12)
	v_mul_f32_e32 v65, v58, v212
	v_fmac_f32_e32 v65, v59, v211
	v_add_f32_e32 v68, v64, v65
	ds_read2_b64 v[64:67], v208 offset0:103 offset1:104
	buffer_load_dword v77, off, s[0:3], 0 offset:396
	buffer_load_dword v76, off, s[0:3], 0 offset:392
	s_waitcnt vmcnt(12) lgkmcnt(1)
	v_mul_f32_e32 v69, v60, v214
	v_fmac_f32_e32 v69, v61, v213
	v_add_f32_e32 v68, v68, v69
	s_waitcnt vmcnt(10)
	v_mul_f32_e32 v69, v62, v216
	v_fmac_f32_e32 v69, v63, v215
	v_add_f32_e32 v68, v68, v69
	s_waitcnt vmcnt(8) lgkmcnt(0)
	v_mul_f32_e32 v69, v64, v218
	v_fmac_f32_e32 v69, v65, v217
	s_waitcnt vmcnt(6)
	v_mul_f32_e32 v73, v66, v220
	v_add_f32_e32 v72, v68, v69
	v_fmac_f32_e32 v73, v67, v219
	ds_read2_b64 v[68:71], v208 offset0:105 offset1:106
	v_add_f32_e32 v79, v72, v73
	ds_read2_b64 v[72:75], v208 offset0:107 offset1:108
	buffer_load_dword v85, off, s[0:3], 0 offset:428
	buffer_load_dword v84, off, s[0:3], 0 offset:424
	;; [unrolled: 1-line block ×14, first 2 shown]
	v_mul_f32_e32 v1, v23, v1
	v_fma_f32 v1, v22, v104, -v1
	v_mul_f32_e32 v22, v25, v78
	v_add_f32_e32 v1, 0, v1
	v_fma_f32 v22, v24, v103, -v22
	v_mul_f32_e32 v19, v19, v99
	v_add_f32_e32 v1, v1, v22
	v_fma_f32 v18, v18, v102, -v19
	v_add_f32_e32 v1, v1, v18
	v_mul_f32_e32 v18, v21, v80
	v_fma_f32 v18, v20, v108, -v18
	v_mul_f32_e32 v15, v15, v82
	v_add_f32_e32 v1, v1, v18
	v_fma_f32 v14, v14, v107, -v15
	v_add_f32_e32 v1, v1, v14
	v_mul_f32_e32 v14, v17, v98
	;; [unrolled: 6-line block ×3, first 2 shown]
	v_fma_f32 v6, v8, v112, -v6
	v_add_f32_e32 v1, v1, v6
	v_mul_f32_e32 v6, v11, v113
	v_fma_f32 v6, v10, v111, -v6
	v_add_f32_e32 v1, v1, v6
	v_mul_f32_e32 v6, v13, v114
	v_fma_f32 v6, v12, v110, -v6
	v_mul_f32_e32 v3, v3, v115
	v_add_f32_e32 v1, v1, v6
	v_fma_f32 v2, v2, v109, -v3
	v_add_f32_e32 v1, v1, v2
	v_mul_f32_e32 v2, v5, v117
	v_fma_f32 v2, v4, v116, -v2
	v_add_f32_e32 v1, v1, v2
	v_mul_f32_e32 v2, v29, v119
	;; [unrolled: 3-line block ×21, first 2 shown]
	v_fma_f32 v2, v66, v219, -v2
	s_waitcnt vmcnt(15)
	v_mov_b32_e32 v16, v77
	s_waitcnt lgkmcnt(1)
	v_mul_f32_e32 v81, v68, v222
	v_add_f32_e32 v78, v1, v2
	v_mul_f32_e32 v1, v69, v222
	s_waitcnt lgkmcnt(0)
	v_pk_mul_f32 v[16:17], v[72:73], v[16:17] op_sel_hi:[1,0]
	v_fmac_f32_e32 v81, v69, v221
	v_mul_f32_e32 v83, v70, v224
	v_fma_f32 v80, v68, v221, -v1
	v_mul_f32_e32 v1, v71, v224
	s_waitcnt vmcnt(14)
	v_pk_fma_f32 v[18:19], v[72:73], v[76:77], v[16:17] op_sel:[0,0,1] op_sel_hi:[1,1,0] neg_lo:[0,0,1] neg_hi:[0,0,1]
	v_pk_fma_f32 v[16:17], v[72:73], v[76:77], v[16:17] op_sel:[0,0,1] op_sel_hi:[1,0,0]
	v_fmac_f32_e32 v83, v71, v223
	v_fma_f32 v82, v70, v223, -v1
	v_pk_add_f32 v[14:15], v[78:79], v[80:81]
	s_waitcnt vmcnt(7)
	v_mov_b32_e32 v16, v91
	ds_read2_b64 v[2:5], v208 offset0:109 offset1:110
	ds_read2_b64 v[6:9], v208 offset0:111 offset1:112
	;; [unrolled: 1-line block ×3, first 2 shown]
	v_pk_add_f32 v[14:15], v[14:15], v[82:83]
	v_mov_b32_e32 v19, v17
	v_pk_mul_f32 v[16:17], v[74:75], v[16:17] op_sel_hi:[1,0]
	v_pk_add_f32 v[14:15], v[14:15], v[18:19]
	s_waitcnt vmcnt(6)
	v_pk_fma_f32 v[18:19], v[74:75], v[90:91], v[16:17] op_sel:[0,0,1] op_sel_hi:[1,1,0] neg_lo:[0,0,1] neg_hi:[0,0,1]
	v_pk_fma_f32 v[16:17], v[74:75], v[90:91], v[16:17] op_sel:[0,0,1] op_sel_hi:[1,0,0]
	v_mov_b32_e32 v16, v89
	v_mov_b32_e32 v19, v17
	s_waitcnt lgkmcnt(2)
	v_pk_mul_f32 v[16:17], v[2:3], v[16:17] op_sel_hi:[1,0]
	v_pk_add_f32 v[14:15], v[14:15], v[18:19]
	v_pk_fma_f32 v[18:19], v[2:3], v[88:89], v[16:17] op_sel:[0,0,1] op_sel_hi:[1,1,0] neg_lo:[0,0,1] neg_hi:[0,0,1]
	v_pk_fma_f32 v[2:3], v[2:3], v[88:89], v[16:17] op_sel:[0,0,1] op_sel_hi:[1,0,0]
	v_mov_b32_e32 v19, v3
	v_pk_add_f32 v[2:3], v[14:15], v[18:19]
	v_mov_b32_e32 v14, v87
	v_pk_mul_f32 v[14:15], v[4:5], v[14:15] op_sel_hi:[1,0]
	v_pk_fma_f32 v[16:17], v[4:5], v[86:87], v[14:15] op_sel:[0,0,1] op_sel_hi:[1,1,0] neg_lo:[0,0,1] neg_hi:[0,0,1]
	v_pk_fma_f32 v[4:5], v[4:5], v[86:87], v[14:15] op_sel:[0,0,1] op_sel_hi:[1,0,0]
	v_mov_b32_e32 v4, v85
	v_mov_b32_e32 v17, v5
	s_waitcnt lgkmcnt(1)
	v_pk_mul_f32 v[4:5], v[6:7], v[4:5] op_sel_hi:[1,0]
	v_pk_fma_f32 v[14:15], v[6:7], v[84:85], v[4:5] op_sel:[0,0,1] op_sel_hi:[1,1,0] neg_lo:[0,0,1] neg_hi:[0,0,1]
	v_pk_fma_f32 v[4:5], v[6:7], v[84:85], v[4:5] op_sel:[0,0,1] op_sel_hi:[1,0,0]
	s_waitcnt vmcnt(1)
	v_mov_b32_e32 v4, v97
	v_mov_b32_e32 v15, v5
	v_pk_mul_f32 v[4:5], v[8:9], v[4:5] op_sel_hi:[1,0]
	s_waitcnt vmcnt(0)
	v_pk_fma_f32 v[6:7], v[8:9], v[96:97], v[4:5] op_sel:[0,0,1] op_sel_hi:[1,1,0] neg_lo:[0,0,1] neg_hi:[0,0,1]
	v_pk_fma_f32 v[4:5], v[8:9], v[96:97], v[4:5] op_sel:[0,0,1] op_sel_hi:[1,0,0]
	v_pk_add_f32 v[2:3], v[2:3], v[16:17]
	v_mov_b32_e32 v4, v95
	v_pk_add_f32 v[2:3], v[2:3], v[14:15]
	v_mov_b32_e32 v7, v5
	s_waitcnt lgkmcnt(0)
	v_pk_mul_f32 v[4:5], v[10:11], v[4:5] op_sel_hi:[1,0]
	v_pk_add_f32 v[2:3], v[2:3], v[6:7]
	v_pk_fma_f32 v[6:7], v[10:11], v[94:95], v[4:5] op_sel:[0,0,1] op_sel_hi:[1,1,0] neg_lo:[0,0,1] neg_hi:[0,0,1]
	v_pk_fma_f32 v[4:5], v[10:11], v[94:95], v[4:5] op_sel:[0,0,1] op_sel_hi:[1,0,0]
	v_mov_b32_e32 v4, v93
	v_mov_b32_e32 v7, v5
	v_pk_mul_f32 v[4:5], v[12:13], v[4:5] op_sel_hi:[1,0]
	v_pk_add_f32 v[2:3], v[2:3], v[6:7]
	v_pk_fma_f32 v[6:7], v[12:13], v[92:93], v[4:5] op_sel:[0,0,1] op_sel_hi:[1,1,0] neg_lo:[0,0,1] neg_hi:[0,0,1]
	v_pk_fma_f32 v[4:5], v[12:13], v[92:93], v[4:5] op_sel:[0,0,1] op_sel_hi:[1,0,0]
	v_mov_b32_e32 v7, v5
	v_pk_add_f32 v[2:3], v[2:3], v[6:7]
	v_pk_add_f32 v[2:3], v[26:27], v[2:3] neg_lo:[0,1] neg_hi:[0,1]
	buffer_store_dword v3, off, s[0:3], 0 offset:116
	buffer_store_dword v2, off, s[0:3], 0 offset:112
	s_and_saveexec_b64 s[4:5], vcc
	s_cbranch_execz .LBB56_329
; %bb.328:
	buffer_load_dword v2, off, s[0:3], 0 offset:104
	buffer_load_dword v3, off, s[0:3], 0 offset:108
	v_mov_b32_e32 v1, 0
	buffer_store_dword v1, off, s[0:3], 0 offset:104
	buffer_store_dword v1, off, s[0:3], 0 offset:108
	s_waitcnt vmcnt(2)
	ds_write_b64 v165, v[2:3]
.LBB56_329:
	s_or_b64 exec, exec, s[4:5]
	s_waitcnt lgkmcnt(0)
	; wave barrier
	s_waitcnt lgkmcnt(0)
	buffer_load_dword v76, off, s[0:3], 0 offset:116
	buffer_load_dword v78, off, s[0:3], 0 offset:124
	;; [unrolled: 1-line block ×56, first 2 shown]
	v_mov_b32_e32 v1, 0
	ds_read_b128 v[4:7], v1 offset:576
	ds_read_b128 v[8:11], v1 offset:592
	;; [unrolled: 1-line block ×6, first 2 shown]
	buffer_load_dword v211, off, s[0:3], 0 offset:328
	buffer_load_dword v212, off, s[0:3], 0 offset:332
	;; [unrolled: 1-line block ×16, first 2 shown]
	v_cmp_lt_u32_e32 vcc, 12, v0
	s_waitcnt vmcnt(62) lgkmcnt(5)
	v_mul_f32_e32 v28, v4, v76
	v_mul_f32_e32 v29, v6, v78
	s_waitcnt lgkmcnt(4)
	v_mul_f32_e32 v31, v10, v80
	s_waitcnt lgkmcnt(3)
	v_mul_f32_e32 v32, v12, v98
	v_mul_f32_e32 v33, v14, v99
	;; [unrolled: 1-line block ×3, first 2 shown]
	s_waitcnt lgkmcnt(2)
	v_mul_f32_e32 v34, v16, v101
	v_mul_f32_e32 v35, v18, v102
	s_waitcnt lgkmcnt(1)
	v_mul_f32_e32 v36, v20, v103
	v_fmac_f32_e32 v30, v9, v104
	s_waitcnt vmcnt(61)
	v_fmac_f32_e32 v29, v7, v105
	s_waitcnt vmcnt(60)
	v_fmac_f32_e32 v28, v5, v106
	v_add_f32_e32 v28, 0, v28
	v_add_f32_e32 v28, v28, v29
	;; [unrolled: 1-line block ×3, first 2 shown]
	s_waitcnt vmcnt(56)
	v_fmac_f32_e32 v31, v11, v110
	v_fmac_f32_e32 v32, v13, v109
	v_add_f32_e32 v28, v28, v31
	v_fmac_f32_e32 v33, v15, v108
	v_add_f32_e32 v28, v28, v32
	;; [unrolled: 2-line block ×3, first 2 shown]
	s_waitcnt vmcnt(52)
	v_fmac_f32_e32 v35, v19, v114
	v_add_f32_e32 v28, v28, v34
	v_add_f32_e32 v28, v28, v35
	v_fmac_f32_e32 v36, v21, v113
	s_waitcnt vmcnt(51)
	v_mul_f32_e32 v29, v22, v115
	v_add_f32_e32 v28, v28, v36
	v_fmac_f32_e32 v29, v23, v112
	v_add_f32_e32 v28, v28, v29
	s_waitcnt vmcnt(50) lgkmcnt(0)
	v_mul_f32_e32 v29, v24, v116
	v_fmac_f32_e32 v29, v25, v111
	v_add_f32_e32 v32, v28, v29
	ds_read_b128 v[28:31], v1 offset:672
	s_waitcnt vmcnt(46)
	v_mul_f32_e32 v33, v26, v118
	v_fmac_f32_e32 v33, v27, v117
	v_add_f32_e32 v36, v32, v33
	ds_read_b128 v[32:35], v1 offset:688
	s_waitcnt vmcnt(44) lgkmcnt(1)
	v_mul_f32_e32 v37, v28, v120
	v_fmac_f32_e32 v37, v29, v119
	v_add_f32_e32 v36, v36, v37
	s_waitcnt vmcnt(42)
	v_mul_f32_e32 v37, v30, v122
	v_fmac_f32_e32 v37, v31, v121
	v_add_f32_e32 v36, v36, v37
	s_waitcnt vmcnt(40) lgkmcnt(0)
	v_mul_f32_e32 v37, v32, v124
	v_fmac_f32_e32 v37, v33, v123
	v_add_f32_e32 v40, v36, v37
	ds_read_b128 v[36:39], v1 offset:704
	s_waitcnt vmcnt(38)
	v_mul_f32_e32 v41, v34, v126
	v_fmac_f32_e32 v41, v35, v125
	v_add_f32_e32 v44, v40, v41
	ds_read_b128 v[40:43], v1 offset:720
	s_waitcnt vmcnt(36) lgkmcnt(1)
	v_mul_f32_e32 v45, v36, v128
	v_fmac_f32_e32 v45, v37, v127
	v_add_f32_e32 v44, v44, v45
	s_waitcnt vmcnt(34)
	v_mul_f32_e32 v45, v38, v130
	;; [unrolled: 18-line block ×5, first 2 shown]
	v_fmac_f32_e32 v69, v63, v215
	v_add_f32_e32 v68, v68, v69
	s_waitcnt vmcnt(8) lgkmcnt(0)
	v_mul_f32_e32 v69, v64, v218
	v_fmac_f32_e32 v69, v65, v217
	s_waitcnt vmcnt(6)
	v_mul_f32_e32 v73, v66, v220
	v_add_f32_e32 v72, v68, v69
	v_fmac_f32_e32 v73, v67, v219
	ds_read_b128 v[68:71], v1 offset:832
	v_add_f32_e32 v77, v72, v73
	ds_read_b128 v[72:75], v1 offset:848
	buffer_load_dword v83, off, s[0:3], 0 offset:420
	buffer_load_dword v82, off, s[0:3], 0 offset:416
	buffer_load_dword v85, off, s[0:3], 0 offset:412
	buffer_load_dword v84, off, s[0:3], 0 offset:408
	buffer_load_dword v87, off, s[0:3], 0 offset:404
	buffer_load_dword v86, off, s[0:3], 0 offset:400
	buffer_load_dword v89, off, s[0:3], 0 offset:396
	buffer_load_dword v88, off, s[0:3], 0 offset:392
	buffer_load_dword v91, off, s[0:3], 0 offset:452
	buffer_load_dword v90, off, s[0:3], 0 offset:448
	buffer_load_dword v93, off, s[0:3], 0 offset:444
	buffer_load_dword v92, off, s[0:3], 0 offset:440
	buffer_load_dword v95, off, s[0:3], 0 offset:436
	buffer_load_dword v94, off, s[0:3], 0 offset:432
	buffer_load_dword v97, off, s[0:3], 0 offset:428
	buffer_load_dword v96, off, s[0:3], 0 offset:424
	v_mul_f32_e32 v5, v5, v76
	v_fma_f32 v4, v4, v106, -v5
	v_mul_f32_e32 v5, v7, v78
	v_add_f32_e32 v4, 0, v4
	v_fma_f32 v5, v6, v105, -v5
	v_add_f32_e32 v4, v4, v5
	v_mul_f32_e32 v5, v9, v100
	v_fma_f32 v5, v8, v104, -v5
	v_add_f32_e32 v4, v4, v5
	v_mul_f32_e32 v5, v11, v80
	;; [unrolled: 3-line block ×30, first 2 shown]
	v_fma_f32 v5, v66, v219, -v5
	v_add_f32_e32 v4, v4, v5
	s_waitcnt vmcnt(20) lgkmcnt(1)
	v_mul_f32_e32 v5, v69, v222
	v_mul_f32_e32 v79, v68, v222
	v_fma_f32 v5, v68, v221, -v5
	v_fmac_f32_e32 v79, v69, v221
	v_add_f32_e32 v76, v4, v5
	s_waitcnt vmcnt(18)
	v_mul_f32_e32 v4, v71, v224
	s_waitcnt vmcnt(9)
	v_mov_b32_e32 v20, v89
	v_add_f32_e32 v77, v77, v79
	v_mul_f32_e32 v79, v70, v224
	v_fma_f32 v78, v70, v223, -v4
	s_waitcnt lgkmcnt(0)
	v_mul_f32_e32 v4, v73, v226
	v_pk_mul_f32 v[20:21], v[74:75], v[20:21] op_sel_hi:[1,0]
	v_fmac_f32_e32 v79, v71, v223
	v_mul_f32_e32 v81, v72, v226
	v_fma_f32 v80, v72, v225, -v4
	ds_read_b128 v[4:7], v1 offset:864
	ds_read_b128 v[8:11], v1 offset:880
	;; [unrolled: 1-line block ×3, first 2 shown]
	ds_read_b64 v[16:17], v1 offset:912
	s_waitcnt vmcnt(8)
	v_pk_fma_f32 v[22:23], v[74:75], v[88:89], v[20:21] op_sel:[0,0,1] op_sel_hi:[1,1,0] neg_lo:[0,0,1] neg_hi:[0,0,1]
	v_pk_fma_f32 v[20:21], v[74:75], v[88:89], v[20:21] op_sel:[0,0,1] op_sel_hi:[1,0,0]
	v_fmac_f32_e32 v81, v73, v225
	v_pk_add_f32 v[18:19], v[76:77], v[78:79]
	v_mov_b32_e32 v20, v87
	v_pk_add_f32 v[18:19], v[18:19], v[80:81]
	v_mov_b32_e32 v23, v21
	s_waitcnt lgkmcnt(3)
	v_pk_mul_f32 v[20:21], v[4:5], v[20:21] op_sel_hi:[1,0]
	v_pk_add_f32 v[18:19], v[18:19], v[22:23]
	v_pk_fma_f32 v[22:23], v[4:5], v[86:87], v[20:21] op_sel:[0,0,1] op_sel_hi:[1,1,0] neg_lo:[0,0,1] neg_hi:[0,0,1]
	v_pk_fma_f32 v[4:5], v[4:5], v[86:87], v[20:21] op_sel:[0,0,1] op_sel_hi:[1,0,0]
	v_mov_b32_e32 v23, v5
	v_pk_add_f32 v[4:5], v[18:19], v[22:23]
	v_mov_b32_e32 v18, v85
	v_pk_mul_f32 v[18:19], v[6:7], v[18:19] op_sel_hi:[1,0]
	v_pk_fma_f32 v[20:21], v[6:7], v[84:85], v[18:19] op_sel:[0,0,1] op_sel_hi:[1,1,0] neg_lo:[0,0,1] neg_hi:[0,0,1]
	v_pk_fma_f32 v[6:7], v[6:7], v[84:85], v[18:19] op_sel:[0,0,1] op_sel_hi:[1,0,0]
	v_mov_b32_e32 v6, v83
	v_mov_b32_e32 v21, v7
	s_waitcnt lgkmcnt(2)
	v_pk_mul_f32 v[6:7], v[8:9], v[6:7] op_sel_hi:[1,0]
	v_pk_fma_f32 v[18:19], v[8:9], v[82:83], v[6:7] op_sel:[0,0,1] op_sel_hi:[1,1,0] neg_lo:[0,0,1] neg_hi:[0,0,1]
	v_pk_fma_f32 v[6:7], v[8:9], v[82:83], v[6:7] op_sel:[0,0,1] op_sel_hi:[1,0,0]
	s_waitcnt vmcnt(1)
	v_mov_b32_e32 v6, v97
	v_mov_b32_e32 v19, v7
	v_pk_mul_f32 v[6:7], v[10:11], v[6:7] op_sel_hi:[1,0]
	s_waitcnt vmcnt(0)
	v_pk_fma_f32 v[8:9], v[10:11], v[96:97], v[6:7] op_sel:[0,0,1] op_sel_hi:[1,1,0] neg_lo:[0,0,1] neg_hi:[0,0,1]
	v_pk_fma_f32 v[6:7], v[10:11], v[96:97], v[6:7] op_sel:[0,0,1] op_sel_hi:[1,0,0]
	v_pk_add_f32 v[4:5], v[4:5], v[20:21]
	v_mov_b32_e32 v6, v95
	v_pk_add_f32 v[4:5], v[4:5], v[18:19]
	v_mov_b32_e32 v9, v7
	s_waitcnt lgkmcnt(1)
	v_pk_mul_f32 v[6:7], v[12:13], v[6:7] op_sel_hi:[1,0]
	v_pk_add_f32 v[4:5], v[4:5], v[8:9]
	v_pk_fma_f32 v[8:9], v[12:13], v[94:95], v[6:7] op_sel:[0,0,1] op_sel_hi:[1,1,0] neg_lo:[0,0,1] neg_hi:[0,0,1]
	v_pk_fma_f32 v[6:7], v[12:13], v[94:95], v[6:7] op_sel:[0,0,1] op_sel_hi:[1,0,0]
	v_mov_b32_e32 v6, v93
	v_mov_b32_e32 v9, v7
	v_pk_mul_f32 v[6:7], v[14:15], v[6:7] op_sel_hi:[1,0]
	v_pk_add_f32 v[4:5], v[4:5], v[8:9]
	v_pk_fma_f32 v[8:9], v[14:15], v[92:93], v[6:7] op_sel:[0,0,1] op_sel_hi:[1,1,0] neg_lo:[0,0,1] neg_hi:[0,0,1]
	v_pk_fma_f32 v[6:7], v[14:15], v[92:93], v[6:7] op_sel:[0,0,1] op_sel_hi:[1,0,0]
	v_mov_b32_e32 v6, v91
	v_mov_b32_e32 v9, v7
	s_waitcnt lgkmcnt(0)
	v_pk_mul_f32 v[6:7], v[16:17], v[6:7] op_sel_hi:[1,0]
	v_pk_add_f32 v[4:5], v[4:5], v[8:9]
	v_pk_fma_f32 v[8:9], v[16:17], v[90:91], v[6:7] op_sel:[0,0,1] op_sel_hi:[1,1,0] neg_lo:[0,0,1] neg_hi:[0,0,1]
	v_pk_fma_f32 v[6:7], v[16:17], v[90:91], v[6:7] op_sel:[0,0,1] op_sel_hi:[1,0,0]
	v_mov_b32_e32 v9, v7
	v_pk_add_f32 v[4:5], v[4:5], v[8:9]
	v_pk_add_f32 v[2:3], v[2:3], v[4:5] neg_lo:[0,1] neg_hi:[0,1]
	buffer_store_dword v3, off, s[0:3], 0 offset:108
	buffer_store_dword v2, off, s[0:3], 0 offset:104
	s_and_saveexec_b64 s[4:5], vcc
	s_cbranch_execz .LBB56_331
; %bb.330:
	buffer_load_dword v2, off, s[0:3], 0 offset:96
	buffer_load_dword v3, off, s[0:3], 0 offset:100
	s_waitcnt vmcnt(0)
	ds_write_b64 v165, v[2:3]
	buffer_store_dword v1, off, s[0:3], 0 offset:96
	buffer_store_dword v1, off, s[0:3], 0 offset:100
.LBB56_331:
	s_or_b64 exec, exec, s[4:5]
	s_waitcnt lgkmcnt(0)
	; wave barrier
	s_waitcnt lgkmcnt(0)
	buffer_load_dword v76, off, s[0:3], 0 offset:108
	buffer_load_dword v78, off, s[0:3], 0 offset:116
	;; [unrolled: 1-line block ×26, first 2 shown]
	ds_read2_b64 v[22:25], v1 offset0:71 offset1:72
	ds_read2_b64 v[18:21], v1 offset0:73 offset1:74
	;; [unrolled: 1-line block ×6, first 2 shown]
	buffer_load_dword v119, off, s[0:3], 0 offset:200
	buffer_load_dword v120, off, s[0:3], 0 offset:204
	;; [unrolled: 1-line block ×42, first 2 shown]
	v_cmp_lt_u32_e32 vcc, 11, v0
	s_waitcnt vmcnt(62) lgkmcnt(5)
	v_mul_f32_e32 v28, v22, v76
	v_mul_f32_e32 v29, v24, v78
	s_waitcnt lgkmcnt(4)
	v_mul_f32_e32 v31, v20, v86
	s_waitcnt lgkmcnt(3)
	v_mul_f32_e32 v32, v14, v98
	v_mul_f32_e32 v33, v16, v99
	;; [unrolled: 1-line block ×3, first 2 shown]
	s_waitcnt vmcnt(61) lgkmcnt(2)
	v_mul_f32_e32 v34, v10, v101
	s_waitcnt vmcnt(60)
	v_mul_f32_e32 v35, v12, v102
	s_waitcnt vmcnt(59) lgkmcnt(1)
	v_mul_f32_e32 v36, v6, v103
	s_waitcnt vmcnt(58)
	v_fmac_f32_e32 v30, v19, v104
	s_waitcnt vmcnt(57)
	v_fmac_f32_e32 v29, v25, v105
	;; [unrolled: 2-line block ×3, first 2 shown]
	v_add_f32_e32 v28, 0, v28
	v_add_f32_e32 v28, v28, v29
	;; [unrolled: 1-line block ×3, first 2 shown]
	s_waitcnt vmcnt(52)
	v_fmac_f32_e32 v31, v21, v110
	v_fmac_f32_e32 v32, v15, v109
	v_add_f32_e32 v28, v28, v31
	v_fmac_f32_e32 v33, v17, v108
	v_add_f32_e32 v28, v28, v32
	;; [unrolled: 2-line block ×3, first 2 shown]
	s_waitcnt vmcnt(48)
	v_fmac_f32_e32 v35, v13, v114
	v_add_f32_e32 v28, v28, v34
	v_fmac_f32_e32 v36, v7, v113
	v_add_f32_e32 v28, v28, v35
	s_waitcnt vmcnt(47)
	v_mul_f32_e32 v29, v8, v115
	v_add_f32_e32 v28, v28, v36
	v_fmac_f32_e32 v29, v9, v112
	v_add_f32_e32 v28, v28, v29
	s_waitcnt vmcnt(46) lgkmcnt(0)
	v_mul_f32_e32 v29, v2, v116
	v_fmac_f32_e32 v29, v3, v111
	v_add_f32_e32 v32, v28, v29
	ds_read2_b64 v[28:31], v1 offset0:83 offset1:84
	s_waitcnt vmcnt(42)
	v_mul_f32_e32 v33, v4, v118
	v_fmac_f32_e32 v33, v5, v117
	buffer_load_dword v223, off, s[0:3], 0 offset:368
	buffer_load_dword v224, off, s[0:3], 0 offset:372
	v_add_f32_e32 v36, v32, v33
	buffer_load_dword v225, off, s[0:3], 0 offset:376
	buffer_load_dword v226, off, s[0:3], 0 offset:380
	ds_read2_b64 v[32:35], v1 offset0:85 offset1:86
	s_waitcnt vmcnt(44) lgkmcnt(1)
	v_mul_f32_e32 v37, v28, v120
	v_fmac_f32_e32 v37, v29, v119
	v_add_f32_e32 v36, v36, v37
	s_waitcnt vmcnt(42)
	v_mul_f32_e32 v37, v30, v122
	v_fmac_f32_e32 v37, v31, v121
	v_add_f32_e32 v36, v36, v37
	s_waitcnt vmcnt(40) lgkmcnt(0)
	v_mul_f32_e32 v37, v32, v124
	v_fmac_f32_e32 v37, v33, v123
	buffer_load_dword v227, off, s[0:3], 0 offset:384
	buffer_load_dword v228, off, s[0:3], 0 offset:388
	v_add_f32_e32 v40, v36, v37
	ds_read2_b64 v[36:39], v1 offset0:87 offset1:88
	s_waitcnt vmcnt(40)
	v_mul_f32_e32 v41, v34, v126
	v_fmac_f32_e32 v41, v35, v125
	v_add_f32_e32 v44, v40, v41
	ds_read2_b64 v[40:43], v1 offset0:89 offset1:90
	s_waitcnt vmcnt(38) lgkmcnt(1)
	v_mul_f32_e32 v45, v36, v128
	v_fmac_f32_e32 v45, v37, v127
	v_add_f32_e32 v44, v44, v45
	s_waitcnt vmcnt(36)
	v_mul_f32_e32 v45, v38, v130
	v_fmac_f32_e32 v45, v39, v129
	v_add_f32_e32 v44, v44, v45
	s_waitcnt vmcnt(34) lgkmcnt(0)
	v_mul_f32_e32 v45, v40, v132
	v_fmac_f32_e32 v45, v41, v131
	v_add_f32_e32 v48, v44, v45
	ds_read2_b64 v[44:47], v1 offset0:91 offset1:92
	s_waitcnt vmcnt(32)
	v_mul_f32_e32 v49, v42, v134
	v_fmac_f32_e32 v49, v43, v133
	v_add_f32_e32 v52, v48, v49
	ds_read2_b64 v[48:51], v1 offset0:93 offset1:94
	s_waitcnt vmcnt(30) lgkmcnt(1)
	v_mul_f32_e32 v53, v44, v136
	v_fmac_f32_e32 v53, v45, v135
	v_add_f32_e32 v52, v52, v53
	s_waitcnt vmcnt(28)
	v_mul_f32_e32 v53, v46, v138
	v_fmac_f32_e32 v53, v47, v137
	v_add_f32_e32 v52, v52, v53
	s_waitcnt vmcnt(26) lgkmcnt(0)
	v_mul_f32_e32 v53, v48, v140
	v_fmac_f32_e32 v53, v49, v139
	;; [unrolled: 18-line block ×4, first 2 shown]
	s_waitcnt vmcnt(8)
	v_mul_f32_e32 v73, v66, v220
	v_add_f32_e32 v72, v68, v69
	v_fmac_f32_e32 v73, v67, v219
	ds_read2_b64 v[68:71], v1 offset0:103 offset1:104
	v_add_f32_e32 v77, v72, v73
	ds_read2_b64 v[72:75], v1 offset0:105 offset1:106
	buffer_load_dword v81, off, s[0:3], 0 offset:412
	buffer_load_dword v80, off, s[0:3], 0 offset:408
	;; [unrolled: 1-line block ×16, first 2 shown]
	v_mul_f32_e32 v23, v23, v76
	v_fma_f32 v22, v22, v106, -v23
	v_mul_f32_e32 v23, v25, v78
	v_add_f32_e32 v22, 0, v22
	v_fma_f32 v23, v24, v105, -v23
	v_mul_f32_e32 v19, v19, v100
	v_add_f32_e32 v22, v22, v23
	;; [unrolled: 3-line block ×11, first 2 shown]
	v_fma_f32 v3, v4, v117, -v3
	v_add_f32_e32 v2, v2, v3
	v_mul_f32_e32 v3, v29, v120
	v_fma_f32 v3, v28, v119, -v3
	v_add_f32_e32 v2, v2, v3
	v_mul_f32_e32 v3, v31, v122
	;; [unrolled: 3-line block ×20, first 2 shown]
	v_fma_f32 v3, v66, v219, -v3
	v_add_f32_e32 v2, v2, v3
	s_waitcnt vmcnt(22) lgkmcnt(1)
	v_mul_f32_e32 v3, v69, v222
	v_fma_f32 v3, v68, v221, -v3
	v_add_f32_e32 v2, v2, v3
	s_waitcnt vmcnt(20)
	v_mul_f32_e32 v3, v71, v224
	v_mul_f32_e32 v79, v68, v222
	v_fma_f32 v3, v70, v223, -v3
	v_fmac_f32_e32 v79, v69, v221
	v_add_f32_e32 v76, v2, v3
	s_waitcnt vmcnt(18) lgkmcnt(0)
	v_mul_f32_e32 v2, v73, v226
	v_add_f32_e32 v77, v77, v79
	v_mul_f32_e32 v79, v70, v224
	v_fma_f32 v78, v72, v225, -v2
	s_waitcnt vmcnt(16)
	v_mul_f32_e32 v2, v75, v228
	v_fmac_f32_e32 v79, v71, v223
	v_fma_f32 v86, v74, v227, -v2
	ds_read2_b64 v[2:5], v1 offset0:107 offset1:108
	ds_read2_b64 v[6:9], v1 offset0:109 offset1:110
	;; [unrolled: 1-line block ×4, first 2 shown]
	v_add_f32_e32 v77, v77, v79
	v_mul_f32_e32 v79, v72, v226
	s_waitcnt vmcnt(11)
	v_mov_b32_e32 v20, v85
	v_fmac_f32_e32 v79, v73, v225
	v_mul_f32_e32 v87, v74, v228
	s_waitcnt lgkmcnt(3)
	v_pk_mul_f32 v[20:21], v[2:3], v[20:21] op_sel_hi:[1,0]
	v_fmac_f32_e32 v87, v75, v227
	v_pk_add_f32 v[18:19], v[76:77], v[78:79]
	s_waitcnt vmcnt(10)
	v_pk_fma_f32 v[22:23], v[2:3], v[84:85], v[20:21] op_sel:[0,0,1] op_sel_hi:[1,1,0] neg_lo:[0,0,1] neg_hi:[0,0,1]
	v_pk_fma_f32 v[2:3], v[2:3], v[84:85], v[20:21] op_sel:[0,0,1] op_sel_hi:[1,0,0]
	v_pk_add_f32 v[18:19], v[18:19], v[86:87]
	v_mov_b32_e32 v23, v3
	v_pk_add_f32 v[2:3], v[18:19], v[22:23]
	v_mov_b32_e32 v18, v83
	v_pk_mul_f32 v[18:19], v[4:5], v[18:19] op_sel_hi:[1,0]
	v_pk_fma_f32 v[20:21], v[4:5], v[82:83], v[18:19] op_sel:[0,0,1] op_sel_hi:[1,1,0] neg_lo:[0,0,1] neg_hi:[0,0,1]
	v_pk_fma_f32 v[4:5], v[4:5], v[82:83], v[18:19] op_sel:[0,0,1] op_sel_hi:[1,0,0]
	v_mov_b32_e32 v4, v81
	v_mov_b32_e32 v21, v5
	s_waitcnt lgkmcnt(2)
	v_pk_mul_f32 v[4:5], v[6:7], v[4:5] op_sel_hi:[1,0]
	v_pk_fma_f32 v[18:19], v[6:7], v[80:81], v[4:5] op_sel:[0,0,1] op_sel_hi:[1,1,0] neg_lo:[0,0,1] neg_hi:[0,0,1]
	v_pk_fma_f32 v[4:5], v[6:7], v[80:81], v[4:5] op_sel:[0,0,1] op_sel_hi:[1,0,0]
	s_waitcnt vmcnt(3)
	v_mov_b32_e32 v4, v95
	v_mov_b32_e32 v19, v5
	v_pk_mul_f32 v[4:5], v[8:9], v[4:5] op_sel_hi:[1,0]
	s_waitcnt vmcnt(2)
	v_pk_fma_f32 v[6:7], v[8:9], v[94:95], v[4:5] op_sel:[0,0,1] op_sel_hi:[1,1,0] neg_lo:[0,0,1] neg_hi:[0,0,1]
	v_pk_fma_f32 v[4:5], v[8:9], v[94:95], v[4:5] op_sel:[0,0,1] op_sel_hi:[1,0,0]
	v_pk_add_f32 v[2:3], v[2:3], v[20:21]
	v_mov_b32_e32 v4, v93
	v_pk_add_f32 v[2:3], v[2:3], v[18:19]
	v_mov_b32_e32 v7, v5
	s_waitcnt lgkmcnt(1)
	v_pk_mul_f32 v[4:5], v[10:11], v[4:5] op_sel_hi:[1,0]
	v_pk_add_f32 v[2:3], v[2:3], v[6:7]
	v_pk_fma_f32 v[6:7], v[10:11], v[92:93], v[4:5] op_sel:[0,0,1] op_sel_hi:[1,1,0] neg_lo:[0,0,1] neg_hi:[0,0,1]
	v_pk_fma_f32 v[4:5], v[10:11], v[92:93], v[4:5] op_sel:[0,0,1] op_sel_hi:[1,0,0]
	v_mov_b32_e32 v4, v91
	v_mov_b32_e32 v7, v5
	v_pk_mul_f32 v[4:5], v[12:13], v[4:5] op_sel_hi:[1,0]
	v_pk_add_f32 v[2:3], v[2:3], v[6:7]
	v_pk_fma_f32 v[6:7], v[12:13], v[90:91], v[4:5] op_sel:[0,0,1] op_sel_hi:[1,1,0] neg_lo:[0,0,1] neg_hi:[0,0,1]
	v_pk_fma_f32 v[4:5], v[12:13], v[90:91], v[4:5] op_sel:[0,0,1] op_sel_hi:[1,0,0]
	v_mov_b32_e32 v4, v89
	v_mov_b32_e32 v7, v5
	s_waitcnt lgkmcnt(0)
	v_pk_mul_f32 v[4:5], v[14:15], v[4:5] op_sel_hi:[1,0]
	v_pk_add_f32 v[2:3], v[2:3], v[6:7]
	v_pk_fma_f32 v[6:7], v[14:15], v[88:89], v[4:5] op_sel:[0,0,1] op_sel_hi:[1,1,0] neg_lo:[0,0,1] neg_hi:[0,0,1]
	v_pk_fma_f32 v[4:5], v[14:15], v[88:89], v[4:5] op_sel:[0,0,1] op_sel_hi:[1,0,0]
	s_waitcnt vmcnt(1)
	v_mov_b32_e32 v4, v97
	v_mov_b32_e32 v7, v5
	v_pk_mul_f32 v[4:5], v[16:17], v[4:5] op_sel_hi:[1,0]
	v_pk_add_f32 v[2:3], v[2:3], v[6:7]
	s_waitcnt vmcnt(0)
	v_pk_fma_f32 v[6:7], v[16:17], v[96:97], v[4:5] op_sel:[0,0,1] op_sel_hi:[1,1,0] neg_lo:[0,0,1] neg_hi:[0,0,1]
	v_pk_fma_f32 v[4:5], v[16:17], v[96:97], v[4:5] op_sel:[0,0,1] op_sel_hi:[1,0,0]
	v_mov_b32_e32 v7, v5
	v_pk_add_f32 v[2:3], v[2:3], v[6:7]
	v_pk_add_f32 v[2:3], v[26:27], v[2:3] neg_lo:[0,1] neg_hi:[0,1]
	buffer_store_dword v3, off, s[0:3], 0 offset:100
	buffer_store_dword v2, off, s[0:3], 0 offset:96
	s_and_saveexec_b64 s[4:5], vcc
	s_cbranch_execz .LBB56_333
; %bb.332:
	buffer_load_dword v2, off, s[0:3], 0 offset:88
	buffer_load_dword v3, off, s[0:3], 0 offset:92
	v_mov_b32_e32 v1, 0
	buffer_store_dword v1, off, s[0:3], 0 offset:88
	buffer_store_dword v1, off, s[0:3], 0 offset:92
	s_waitcnt vmcnt(2)
	ds_write_b64 v165, v[2:3]
.LBB56_333:
	s_or_b64 exec, exec, s[4:5]
	v_mov_b32_e32 v216, 0
	s_waitcnt lgkmcnt(0)
	; wave barrier
	s_waitcnt lgkmcnt(0)
	ds_read_b128 v[14:17], v216 offset:560
	ds_read_b128 v[10:13], v216 offset:576
	;; [unrolled: 1-line block ×4, first 2 shown]
	buffer_load_dword v78, off, s[0:3], 0 offset:88
	buffer_load_dword v79, off, s[0:3], 0 offset:92
	;; [unrolled: 1-line block ×18, first 2 shown]
	v_cmp_lt_u32_e32 vcc, 10, v0
	s_waitcnt vmcnt(14) lgkmcnt(3)
	v_mul_f32_e32 v18, v14, v86
	v_fmac_f32_e32 v18, v15, v1
	s_waitcnt vmcnt(12)
	v_mul_f32_e32 v19, v16, v95
	v_add_f32_e32 v18, 0, v18
	v_fmac_f32_e32 v19, v17, v80
	v_add_f32_e32 v18, v18, v19
	s_waitcnt vmcnt(10) lgkmcnt(2)
	v_mul_f32_e32 v19, v10, v218
	v_fmac_f32_e32 v19, v11, v82
	v_add_f32_e32 v18, v18, v19
	s_waitcnt vmcnt(8)
	v_mul_f32_e32 v19, v12, v220
	v_fmac_f32_e32 v19, v13, v94
	v_add_f32_e32 v18, v18, v19
	s_waitcnt vmcnt(6) lgkmcnt(1)
	v_mul_f32_e32 v19, v6, v97
	v_fmac_f32_e32 v19, v7, v217
	v_add_f32_e32 v18, v18, v19
	s_waitcnt vmcnt(4)
	v_mul_f32_e32 v19, v8, v221
	;; [unrolled: 8-line block ×3, first 2 shown]
	v_fmac_f32_e32 v19, v5, v223
	v_add_f32_e32 v22, v18, v19
	ds_read_b128 v[18:21], v216 offset:624
	buffer_load_dword v99, off, s[0:3], 0 offset:160
	buffer_load_dword v100, off, s[0:3], 0 offset:164
	;; [unrolled: 1-line block ×4, first 2 shown]
	v_mul_f32_e32 v15, v15, v86
	v_fma_f32 v1, v14, v1, -v15
	v_mul_f32_e32 v14, v17, v95
	v_add_f32_e32 v1, 0, v1
	v_fma_f32 v14, v16, v80, -v14
	v_mul_f32_e32 v11, v11, v218
	v_add_f32_e32 v1, v1, v14
	v_fma_f32 v10, v10, v82, -v11
	v_add_f32_e32 v1, v1, v10
	v_mul_f32_e32 v10, v13, v220
	v_fma_f32 v10, v12, v94, -v10
	v_mul_f32_e32 v7, v7, v97
	v_add_f32_e32 v1, v1, v10
	v_fma_f32 v6, v6, v217, -v7
	v_add_f32_e32 v1, v1, v6
	v_mul_f32_e32 v6, v9, v221
	;; [unrolled: 6-line block ×3, first 2 shown]
	v_fma_f32 v2, v4, v223, -v2
	v_add_f32_e32 v1, v1, v2
	s_waitcnt vmcnt(2) lgkmcnt(0)
	v_mul_f32_e32 v23, v18, v100
	v_fmac_f32_e32 v23, v19, v99
	v_add_f32_e32 v22, v22, v23
	s_waitcnt vmcnt(0)
	v_mul_f32_e32 v23, v20, v102
	v_fmac_f32_e32 v23, v21, v101
	v_add_f32_e32 v26, v22, v23
	ds_read_b128 v[22:25], v216 offset:640
	buffer_load_dword v103, off, s[0:3], 0 offset:176
	buffer_load_dword v104, off, s[0:3], 0 offset:180
	buffer_load_dword v105, off, s[0:3], 0 offset:184
	buffer_load_dword v106, off, s[0:3], 0 offset:188
	ds_read_b128 v[30:33], v216 offset:656
	buffer_load_dword v107, off, s[0:3], 0 offset:192
	buffer_load_dword v108, off, s[0:3], 0 offset:196
	buffer_load_dword v109, off, s[0:3], 0 offset:200
	buffer_load_dword v110, off, s[0:3], 0 offset:204
	;; [unrolled: 5-line block ×13, first 2 shown]
	v_mul_f32_e32 v2, v19, v100
	v_fma_f32 v2, v18, v99, -v2
	v_add_f32_e32 v1, v1, v2
	v_mul_f32_e32 v2, v21, v102
	v_fma_f32 v2, v20, v101, -v2
	v_add_f32_e32 v1, v1, v2
	s_waitcnt vmcnt(50) lgkmcnt(12)
	v_mul_f32_e32 v27, v22, v104
	v_fmac_f32_e32 v27, v23, v103
	v_add_f32_e32 v26, v26, v27
	s_waitcnt vmcnt(48)
	v_mul_f32_e32 v27, v24, v106
	v_fmac_f32_e32 v27, v25, v105
	v_add_f32_e32 v26, v26, v27
	s_waitcnt vmcnt(46) lgkmcnt(11)
	v_mul_f32_e32 v27, v30, v108
	v_fmac_f32_e32 v27, v31, v107
	v_add_f32_e32 v26, v26, v27
	s_waitcnt vmcnt(44)
	v_mul_f32_e32 v27, v32, v110
	v_fmac_f32_e32 v27, v33, v109
	;; [unrolled: 8-line block ×12, first 2 shown]
	v_add_f32_e32 v26, v26, v27
	s_waitcnt vmcnt(2) lgkmcnt(0)
	v_mul_f32_e32 v27, v74, v230
	v_fmac_f32_e32 v27, v75, v229
	v_add_f32_e32 v81, v26, v27
	ds_read_b128 v[26:29], v216 offset:848
	buffer_load_dword v233, off, s[0:3], 0 offset:384
	buffer_load_dword v234, off, s[0:3], 0 offset:388
	buffer_load_dword v85, off, s[0:3], 0 offset:396
	buffer_load_dword v84, off, s[0:3], 0 offset:392
	buffer_load_dword v215, off, s[0:3], 0 offset:404
	buffer_load_dword v214, off, s[0:3], 0 offset:400
	buffer_load_dword v213, off, s[0:3], 0 offset:412
	buffer_load_dword v212, off, s[0:3], 0 offset:408
	buffer_load_dword v211, off, s[0:3], 0 offset:420
	buffer_load_dword v210, off, s[0:3], 0 offset:416
	buffer_load_dword v209, off, s[0:3], 0 offset:428
	buffer_load_dword v208, off, s[0:3], 0 offset:424
	buffer_load_dword v93, off, s[0:3], 0 offset:436
	buffer_load_dword v92, off, s[0:3], 0 offset:432
	buffer_load_dword v91, off, s[0:3], 0 offset:444
	buffer_load_dword v90, off, s[0:3], 0 offset:440
	buffer_load_dword v89, off, s[0:3], 0 offset:452
	buffer_load_dword v88, off, s[0:3], 0 offset:448
	v_mul_f32_e32 v2, v23, v104
	v_fma_f32 v2, v22, v103, -v2
	v_add_f32_e32 v1, v1, v2
	v_mul_f32_e32 v2, v25, v106
	v_fma_f32 v2, v24, v105, -v2
	v_add_f32_e32 v1, v1, v2
	;; [unrolled: 3-line block ×24, first 2 shown]
	v_mul_f32_e32 v2, v75, v230
	v_fma_f32 v2, v74, v229, -v2
	s_waitcnt vmcnt(15)
	v_mov_b32_e32 v18, v85
	v_mul_f32_e32 v83, v76, v232
	v_add_f32_e32 v80, v1, v2
	v_mul_f32_e32 v1, v77, v232
	s_waitcnt lgkmcnt(0)
	v_pk_mul_f32 v[18:19], v[28:29], v[18:19] op_sel_hi:[1,0]
	v_fmac_f32_e32 v83, v77, v231
	v_mul_f32_e32 v87, v26, v234
	v_fma_f32 v82, v76, v231, -v1
	v_mul_f32_e32 v1, v27, v234
	ds_read_b128 v[2:5], v216 offset:864
	ds_read_b128 v[6:9], v216 offset:880
	;; [unrolled: 1-line block ×3, first 2 shown]
	ds_read_b64 v[14:15], v216 offset:912
	s_waitcnt vmcnt(14)
	v_pk_fma_f32 v[20:21], v[28:29], v[84:85], v[18:19] op_sel:[0,0,1] op_sel_hi:[1,1,0] neg_lo:[0,0,1] neg_hi:[0,0,1]
	v_pk_fma_f32 v[18:19], v[28:29], v[84:85], v[18:19] op_sel:[0,0,1] op_sel_hi:[1,0,0]
	v_fmac_f32_e32 v87, v27, v233
	v_fma_f32 v86, v26, v233, -v1
	v_pk_add_f32 v[16:17], v[80:81], v[82:83]
	s_waitcnt vmcnt(13)
	v_mov_b32_e32 v18, v215
	v_pk_add_f32 v[16:17], v[16:17], v[86:87]
	v_mov_b32_e32 v21, v19
	s_waitcnt lgkmcnt(3)
	v_pk_mul_f32 v[18:19], v[2:3], v[18:19] op_sel_hi:[1,0]
	v_pk_add_f32 v[16:17], v[16:17], v[20:21]
	s_waitcnt vmcnt(12)
	v_pk_fma_f32 v[20:21], v[2:3], v[214:215], v[18:19] op_sel:[0,0,1] op_sel_hi:[1,1,0] neg_lo:[0,0,1] neg_hi:[0,0,1]
	v_pk_fma_f32 v[2:3], v[2:3], v[214:215], v[18:19] op_sel:[0,0,1] op_sel_hi:[1,0,0]
	v_mov_b32_e32 v21, v3
	v_pk_add_f32 v[2:3], v[16:17], v[20:21]
	s_waitcnt vmcnt(11)
	v_mov_b32_e32 v16, v213
	v_pk_mul_f32 v[16:17], v[4:5], v[16:17] op_sel_hi:[1,0]
	s_waitcnt vmcnt(10)
	v_pk_fma_f32 v[18:19], v[4:5], v[212:213], v[16:17] op_sel:[0,0,1] op_sel_hi:[1,1,0] neg_lo:[0,0,1] neg_hi:[0,0,1]
	v_pk_fma_f32 v[4:5], v[4:5], v[212:213], v[16:17] op_sel:[0,0,1] op_sel_hi:[1,0,0]
	s_waitcnt vmcnt(9)
	v_mov_b32_e32 v4, v211
	v_mov_b32_e32 v19, v5
	s_waitcnt lgkmcnt(2)
	v_pk_mul_f32 v[4:5], v[6:7], v[4:5] op_sel_hi:[1,0]
	s_waitcnt vmcnt(8)
	v_pk_fma_f32 v[16:17], v[6:7], v[210:211], v[4:5] op_sel:[0,0,1] op_sel_hi:[1,1,0] neg_lo:[0,0,1] neg_hi:[0,0,1]
	v_pk_fma_f32 v[4:5], v[6:7], v[210:211], v[4:5] op_sel:[0,0,1] op_sel_hi:[1,0,0]
	s_waitcnt vmcnt(7)
	v_mov_b32_e32 v4, v209
	v_mov_b32_e32 v17, v5
	v_pk_mul_f32 v[4:5], v[8:9], v[4:5] op_sel_hi:[1,0]
	s_waitcnt vmcnt(6)
	v_pk_fma_f32 v[6:7], v[8:9], v[208:209], v[4:5] op_sel:[0,0,1] op_sel_hi:[1,1,0] neg_lo:[0,0,1] neg_hi:[0,0,1]
	v_pk_fma_f32 v[4:5], v[8:9], v[208:209], v[4:5] op_sel:[0,0,1] op_sel_hi:[1,0,0]
	v_pk_add_f32 v[2:3], v[2:3], v[18:19]
	s_waitcnt vmcnt(5)
	v_mov_b32_e32 v4, v93
	v_pk_add_f32 v[2:3], v[2:3], v[16:17]
	v_mov_b32_e32 v7, v5
	s_waitcnt lgkmcnt(1)
	v_pk_mul_f32 v[4:5], v[10:11], v[4:5] op_sel_hi:[1,0]
	v_pk_add_f32 v[2:3], v[2:3], v[6:7]
	s_waitcnt vmcnt(4)
	v_pk_fma_f32 v[6:7], v[10:11], v[92:93], v[4:5] op_sel:[0,0,1] op_sel_hi:[1,1,0] neg_lo:[0,0,1] neg_hi:[0,0,1]
	v_pk_fma_f32 v[4:5], v[10:11], v[92:93], v[4:5] op_sel:[0,0,1] op_sel_hi:[1,0,0]
	s_waitcnt vmcnt(3)
	v_mov_b32_e32 v4, v91
	v_mov_b32_e32 v7, v5
	v_pk_mul_f32 v[4:5], v[12:13], v[4:5] op_sel_hi:[1,0]
	v_pk_add_f32 v[2:3], v[2:3], v[6:7]
	s_waitcnt vmcnt(2)
	v_pk_fma_f32 v[6:7], v[12:13], v[90:91], v[4:5] op_sel:[0,0,1] op_sel_hi:[1,1,0] neg_lo:[0,0,1] neg_hi:[0,0,1]
	v_pk_fma_f32 v[4:5], v[12:13], v[90:91], v[4:5] op_sel:[0,0,1] op_sel_hi:[1,0,0]
	s_waitcnt vmcnt(1)
	v_mov_b32_e32 v4, v89
	v_mov_b32_e32 v7, v5
	s_waitcnt lgkmcnt(0)
	v_pk_mul_f32 v[4:5], v[14:15], v[4:5] op_sel_hi:[1,0]
	v_pk_add_f32 v[2:3], v[2:3], v[6:7]
	s_waitcnt vmcnt(0)
	v_pk_fma_f32 v[6:7], v[14:15], v[88:89], v[4:5] op_sel:[0,0,1] op_sel_hi:[1,1,0] neg_lo:[0,0,1] neg_hi:[0,0,1]
	v_pk_fma_f32 v[4:5], v[14:15], v[88:89], v[4:5] op_sel:[0,0,1] op_sel_hi:[1,0,0]
	v_mov_b32_e32 v7, v5
	v_pk_add_f32 v[2:3], v[2:3], v[6:7]
	v_pk_add_f32 v[2:3], v[78:79], v[2:3] neg_lo:[0,1] neg_hi:[0,1]
	buffer_store_dword v3, off, s[0:3], 0 offset:92
	buffer_store_dword v2, off, s[0:3], 0 offset:88
	s_and_saveexec_b64 s[4:5], vcc
	s_cbranch_execz .LBB56_335
; %bb.334:
	buffer_load_dword v2, off, s[0:3], 0 offset:80
	buffer_load_dword v3, off, s[0:3], 0 offset:84
	s_waitcnt vmcnt(0)
	ds_write_b64 v165, v[2:3]
	buffer_store_dword v216, off, s[0:3], 0 offset:80
	buffer_store_dword v216, off, s[0:3], 0 offset:84
.LBB56_335:
	s_or_b64 exec, exec, s[4:5]
	s_waitcnt lgkmcnt(0)
	; wave barrier
	s_waitcnt lgkmcnt(0)
	buffer_load_dword v90, off, s[0:3], 0 offset:92
	buffer_load_dword v92, off, s[0:3], 0 offset:100
	;; [unrolled: 1-line block ×32, first 2 shown]
	ds_read2_b64 v[22:25], v216 offset0:69 offset1:70
	ds_read2_b64 v[18:21], v216 offset0:71 offset1:72
	;; [unrolled: 1-line block ×6, first 2 shown]
	buffer_load_dword v132, off, s[0:3], 0 offset:208
	buffer_load_dword v133, off, s[0:3], 0 offset:212
	;; [unrolled: 1-line block ×32, first 2 shown]
	v_cmp_lt_u32_e32 vcc, 9, v0
	s_waitcnt vmcnt(62) lgkmcnt(5)
	v_mul_f32_e32 v31, v22, v90
	v_mul_f32_e32 v32, v24, v92
	s_waitcnt vmcnt(61) lgkmcnt(4)
	v_mul_f32_e32 v34, v20, v30
	s_waitcnt vmcnt(60) lgkmcnt(3)
	v_mul_f32_e32 v35, v14, v29
	s_waitcnt vmcnt(59)
	v_mul_f32_e32 v36, v16, v1
	s_waitcnt vmcnt(58)
	v_mul_f32_e32 v33, v18, v108
	s_waitcnt vmcnt(57) lgkmcnt(2)
	v_mul_f32_e32 v37, v10, v28
	s_waitcnt vmcnt(56)
	v_mul_f32_e32 v38, v12, v109
	s_waitcnt vmcnt(55) lgkmcnt(1)
	v_mul_f32_e32 v39, v6, v110
	s_waitcnt vmcnt(54)
	v_mul_f32_e32 v40, v8, v111
	s_waitcnt vmcnt(53)
	v_fmac_f32_e32 v33, v19, v112
	s_waitcnt vmcnt(52)
	v_fmac_f32_e32 v32, v25, v113
	;; [unrolled: 2-line block ×3, first 2 shown]
	v_add_f32_e32 v31, 0, v31
	v_add_f32_e32 v31, v31, v32
	;; [unrolled: 1-line block ×3, first 2 shown]
	s_waitcnt vmcnt(47)
	v_fmac_f32_e32 v34, v21, v118
	v_fmac_f32_e32 v35, v15, v117
	v_add_f32_e32 v31, v31, v34
	v_fmac_f32_e32 v36, v17, v116
	v_add_f32_e32 v31, v31, v35
	;; [unrolled: 2-line block ×3, first 2 shown]
	s_waitcnt vmcnt(43)
	v_fmac_f32_e32 v38, v13, v122
	v_add_f32_e32 v31, v31, v37
	v_fmac_f32_e32 v39, v7, v121
	v_add_f32_e32 v31, v31, v38
	;; [unrolled: 2-line block ×3, first 2 shown]
	s_waitcnt vmcnt(42) lgkmcnt(0)
	v_mul_f32_e32 v32, v2, v123
	v_add_f32_e32 v31, v31, v40
	v_fmac_f32_e32 v32, v3, v119
	v_add_f32_e32 v31, v31, v32
	ds_read2_b64 v[32:35], v216 offset0:81 offset1:82
	buffer_load_dword v227, off, s[0:3], 0 offset:336
	buffer_load_dword v228, off, s[0:3], 0 offset:340
	s_waitcnt vmcnt(43)
	v_mul_f32_e32 v36, v4, v124
	s_waitcnt vmcnt(36)
	v_fmac_f32_e32 v36, v5, v131
	v_add_f32_e32 v31, v31, v36
	ds_read2_b64 v[36:39], v216 offset0:83 offset1:84
	buffer_load_dword v229, off, s[0:3], 0 offset:344
	buffer_load_dword v230, off, s[0:3], 0 offset:348
	buffer_load_dword v231, off, s[0:3], 0 offset:352
	buffer_load_dword v232, off, s[0:3], 0 offset:356
	buffer_load_dword v233, off, s[0:3], 0 offset:360
	buffer_load_dword v234, off, s[0:3], 0 offset:364
	buffer_load_dword v235, off, s[0:3], 0 offset:368
	buffer_load_dword v236, off, s[0:3], 0 offset:372
	s_waitcnt lgkmcnt(1)
	v_mul_f32_e32 v40, v32, v126
	v_fmac_f32_e32 v40, v33, v125
	v_add_f32_e32 v31, v31, v40
	v_mul_f32_e32 v40, v34, v128
	v_fmac_f32_e32 v40, v35, v127
	v_add_f32_e32 v31, v31, v40
	s_waitcnt lgkmcnt(0)
	v_mul_f32_e32 v40, v36, v130
	v_fmac_f32_e32 v40, v37, v129
	v_add_f32_e32 v31, v31, v40
	buffer_load_dword v237, off, s[0:3], 0 offset:376
	buffer_load_dword v238, off, s[0:3], 0 offset:380
	;; [unrolled: 1-line block ×4, first 2 shown]
	ds_read2_b64 v[40:43], v216 offset0:85 offset1:86
	s_waitcnt vmcnt(44)
	v_mul_f32_e32 v44, v38, v133
	v_fmac_f32_e32 v44, v39, v132
	v_add_f32_e32 v31, v31, v44
	ds_read2_b64 v[44:47], v216 offset0:87 offset1:88
	s_waitcnt vmcnt(42) lgkmcnt(1)
	v_mul_f32_e32 v48, v40, v135
	v_fmac_f32_e32 v48, v41, v134
	v_add_f32_e32 v31, v31, v48
	s_waitcnt vmcnt(40)
	v_mul_f32_e32 v48, v42, v137
	v_fmac_f32_e32 v48, v43, v136
	v_add_f32_e32 v31, v31, v48
	s_waitcnt vmcnt(38) lgkmcnt(0)
	v_mul_f32_e32 v48, v44, v139
	v_fmac_f32_e32 v48, v45, v138
	v_add_f32_e32 v31, v31, v48
	ds_read2_b64 v[48:51], v216 offset0:89 offset1:90
	s_waitcnt vmcnt(36)
	v_mul_f32_e32 v52, v46, v141
	v_fmac_f32_e32 v52, v47, v140
	v_add_f32_e32 v31, v31, v52
	ds_read2_b64 v[52:55], v216 offset0:91 offset1:92
	s_waitcnt vmcnt(34) lgkmcnt(1)
	v_mul_f32_e32 v56, v48, v143
	v_fmac_f32_e32 v56, v49, v142
	v_add_f32_e32 v31, v31, v56
	s_waitcnt vmcnt(32)
	v_mul_f32_e32 v56, v50, v145
	v_fmac_f32_e32 v56, v51, v144
	v_add_f32_e32 v31, v31, v56
	s_waitcnt vmcnt(30) lgkmcnt(0)
	v_mul_f32_e32 v56, v52, v209
	v_fmac_f32_e32 v56, v53, v208
	v_add_f32_e32 v31, v31, v56
	;; [unrolled: 18-line block ×4, first 2 shown]
	ds_read2_b64 v[72:75], v216 offset0:101 offset1:102
	v_mul_f32_e32 v23, v23, v90
	v_fma_f32 v22, v22, v114, -v23
	v_mul_f32_e32 v23, v25, v92
	v_add_f32_e32 v22, 0, v22
	s_waitcnt vmcnt(12)
	v_mul_f32_e32 v76, v70, v228
	v_fmac_f32_e32 v76, v71, v227
	v_add_f32_e32 v31, v31, v76
	ds_read2_b64 v[76:79], v216 offset0:103 offset1:104
	buffer_load_dword v89, off, s[0:3], 0 offset:396
	buffer_load_dword v88, off, s[0:3], 0 offset:392
	s_waitcnt vmcnt(12) lgkmcnt(1)
	v_mul_f32_e32 v80, v72, v230
	v_fmac_f32_e32 v80, v73, v229
	v_add_f32_e32 v31, v31, v80
	s_waitcnt vmcnt(10)
	v_mul_f32_e32 v80, v74, v232
	v_fmac_f32_e32 v80, v75, v231
	v_add_f32_e32 v31, v31, v80
	s_waitcnt vmcnt(8) lgkmcnt(0)
	v_mul_f32_e32 v80, v76, v234
	v_fmac_f32_e32 v80, v77, v233
	s_waitcnt vmcnt(6)
	v_mul_f32_e32 v84, v78, v236
	v_add_f32_e32 v31, v31, v80
	v_fmac_f32_e32 v84, v79, v235
	ds_read2_b64 v[80:83], v216 offset0:105 offset1:106
	v_add_f32_e32 v31, v31, v84
	ds_read2_b64 v[84:87], v216 offset0:107 offset1:108
	buffer_load_dword v95, off, s[0:3], 0 offset:428
	buffer_load_dword v94, off, s[0:3], 0 offset:424
	;; [unrolled: 1-line block ×14, first 2 shown]
	v_fma_f32 v23, v24, v113, -v23
	v_mul_f32_e32 v19, v19, v108
	v_add_f32_e32 v22, v22, v23
	v_fma_f32 v18, v18, v112, -v19
	v_mul_f32_e32 v19, v21, v30
	v_add_f32_e32 v18, v22, v18
	;; [unrolled: 3-line block ×5, first 2 shown]
	v_fma_f32 v10, v10, v115, -v11
	v_add_f32_e32 v1, v1, v10
	v_mul_f32_e32 v10, v13, v109
	v_fma_f32 v10, v12, v122, -v10
	v_mul_f32_e32 v7, v7, v110
	v_add_f32_e32 v1, v1, v10
	v_fma_f32 v6, v6, v121, -v7
	v_add_f32_e32 v1, v1, v6
	v_mul_f32_e32 v6, v9, v111
	v_fma_f32 v6, v8, v120, -v6
	v_mul_f32_e32 v3, v3, v123
	v_add_f32_e32 v1, v1, v6
	v_fma_f32 v2, v2, v119, -v3
	v_add_f32_e32 v1, v1, v2
	v_mul_f32_e32 v2, v5, v124
	v_fma_f32 v2, v4, v131, -v2
	v_add_f32_e32 v1, v1, v2
	v_mul_f32_e32 v2, v33, v126
	;; [unrolled: 3-line block ×25, first 2 shown]
	v_fma_f32 v2, v78, v235, -v2
	s_waitcnt vmcnt(15)
	v_mov_b32_e32 v16, v89
	s_waitcnt lgkmcnt(1)
	v_mul_f32_e32 v91, v80, v238
	v_add_f32_e32 v30, v1, v2
	v_mul_f32_e32 v1, v81, v238
	s_waitcnt lgkmcnt(0)
	v_pk_mul_f32 v[16:17], v[84:85], v[16:17] op_sel_hi:[1,0]
	v_fmac_f32_e32 v91, v81, v237
	v_mul_f32_e32 v93, v82, v240
	v_fma_f32 v90, v80, v237, -v1
	v_mul_f32_e32 v1, v83, v240
	s_waitcnt vmcnt(14)
	v_pk_fma_f32 v[18:19], v[84:85], v[88:89], v[16:17] op_sel:[0,0,1] op_sel_hi:[1,1,0] neg_lo:[0,0,1] neg_hi:[0,0,1]
	v_pk_fma_f32 v[16:17], v[84:85], v[88:89], v[16:17] op_sel:[0,0,1] op_sel_hi:[1,0,0]
	v_fmac_f32_e32 v93, v83, v239
	v_fma_f32 v92, v82, v239, -v1
	v_pk_add_f32 v[14:15], v[30:31], v[90:91]
	s_waitcnt vmcnt(7)
	v_mov_b32_e32 v16, v101
	ds_read2_b64 v[2:5], v216 offset0:109 offset1:110
	ds_read2_b64 v[6:9], v216 offset0:111 offset1:112
	;; [unrolled: 1-line block ×3, first 2 shown]
	v_pk_add_f32 v[14:15], v[14:15], v[92:93]
	v_mov_b32_e32 v19, v17
	v_pk_mul_f32 v[16:17], v[86:87], v[16:17] op_sel_hi:[1,0]
	v_pk_add_f32 v[14:15], v[14:15], v[18:19]
	s_waitcnt vmcnt(6)
	v_pk_fma_f32 v[18:19], v[86:87], v[100:101], v[16:17] op_sel:[0,0,1] op_sel_hi:[1,1,0] neg_lo:[0,0,1] neg_hi:[0,0,1]
	v_pk_fma_f32 v[16:17], v[86:87], v[100:101], v[16:17] op_sel:[0,0,1] op_sel_hi:[1,0,0]
	v_mov_b32_e32 v16, v99
	v_mov_b32_e32 v19, v17
	s_waitcnt lgkmcnt(2)
	v_pk_mul_f32 v[16:17], v[2:3], v[16:17] op_sel_hi:[1,0]
	v_pk_add_f32 v[14:15], v[14:15], v[18:19]
	v_pk_fma_f32 v[18:19], v[2:3], v[98:99], v[16:17] op_sel:[0,0,1] op_sel_hi:[1,1,0] neg_lo:[0,0,1] neg_hi:[0,0,1]
	v_pk_fma_f32 v[2:3], v[2:3], v[98:99], v[16:17] op_sel:[0,0,1] op_sel_hi:[1,0,0]
	v_mov_b32_e32 v19, v3
	v_pk_add_f32 v[2:3], v[14:15], v[18:19]
	v_mov_b32_e32 v14, v97
	v_pk_mul_f32 v[14:15], v[4:5], v[14:15] op_sel_hi:[1,0]
	v_pk_fma_f32 v[16:17], v[4:5], v[96:97], v[14:15] op_sel:[0,0,1] op_sel_hi:[1,1,0] neg_lo:[0,0,1] neg_hi:[0,0,1]
	v_pk_fma_f32 v[4:5], v[4:5], v[96:97], v[14:15] op_sel:[0,0,1] op_sel_hi:[1,0,0]
	v_mov_b32_e32 v4, v95
	v_mov_b32_e32 v17, v5
	s_waitcnt lgkmcnt(1)
	v_pk_mul_f32 v[4:5], v[6:7], v[4:5] op_sel_hi:[1,0]
	v_pk_fma_f32 v[14:15], v[6:7], v[94:95], v[4:5] op_sel:[0,0,1] op_sel_hi:[1,1,0] neg_lo:[0,0,1] neg_hi:[0,0,1]
	v_pk_fma_f32 v[4:5], v[6:7], v[94:95], v[4:5] op_sel:[0,0,1] op_sel_hi:[1,0,0]
	s_waitcnt vmcnt(1)
	v_mov_b32_e32 v4, v107
	v_mov_b32_e32 v15, v5
	v_pk_mul_f32 v[4:5], v[8:9], v[4:5] op_sel_hi:[1,0]
	s_waitcnt vmcnt(0)
	v_pk_fma_f32 v[6:7], v[8:9], v[106:107], v[4:5] op_sel:[0,0,1] op_sel_hi:[1,1,0] neg_lo:[0,0,1] neg_hi:[0,0,1]
	v_pk_fma_f32 v[4:5], v[8:9], v[106:107], v[4:5] op_sel:[0,0,1] op_sel_hi:[1,0,0]
	v_pk_add_f32 v[2:3], v[2:3], v[16:17]
	v_mov_b32_e32 v4, v105
	v_pk_add_f32 v[2:3], v[2:3], v[14:15]
	v_mov_b32_e32 v7, v5
	s_waitcnt lgkmcnt(0)
	v_pk_mul_f32 v[4:5], v[10:11], v[4:5] op_sel_hi:[1,0]
	v_pk_add_f32 v[2:3], v[2:3], v[6:7]
	v_pk_fma_f32 v[6:7], v[10:11], v[104:105], v[4:5] op_sel:[0,0,1] op_sel_hi:[1,1,0] neg_lo:[0,0,1] neg_hi:[0,0,1]
	v_pk_fma_f32 v[4:5], v[10:11], v[104:105], v[4:5] op_sel:[0,0,1] op_sel_hi:[1,0,0]
	v_mov_b32_e32 v4, v103
	v_mov_b32_e32 v7, v5
	v_pk_mul_f32 v[4:5], v[12:13], v[4:5] op_sel_hi:[1,0]
	v_pk_add_f32 v[2:3], v[2:3], v[6:7]
	v_pk_fma_f32 v[6:7], v[12:13], v[102:103], v[4:5] op_sel:[0,0,1] op_sel_hi:[1,1,0] neg_lo:[0,0,1] neg_hi:[0,0,1]
	v_pk_fma_f32 v[4:5], v[12:13], v[102:103], v[4:5] op_sel:[0,0,1] op_sel_hi:[1,0,0]
	v_mov_b32_e32 v7, v5
	v_pk_add_f32 v[2:3], v[2:3], v[6:7]
	v_pk_add_f32 v[2:3], v[26:27], v[2:3] neg_lo:[0,1] neg_hi:[0,1]
	buffer_store_dword v3, off, s[0:3], 0 offset:84
	buffer_store_dword v2, off, s[0:3], 0 offset:80
	s_and_saveexec_b64 s[4:5], vcc
	s_cbranch_execz .LBB56_337
; %bb.336:
	buffer_load_dword v2, off, s[0:3], 0 offset:72
	buffer_load_dword v3, off, s[0:3], 0 offset:76
	v_mov_b32_e32 v1, 0
	buffer_store_dword v1, off, s[0:3], 0 offset:72
	buffer_store_dword v1, off, s[0:3], 0 offset:76
	s_waitcnt vmcnt(2)
	ds_write_b64 v165, v[2:3]
.LBB56_337:
	s_or_b64 exec, exec, s[4:5]
	s_waitcnt lgkmcnt(0)
	; wave barrier
	s_waitcnt lgkmcnt(0)
	buffer_load_dword v32, off, s[0:3], 0 offset:84
	buffer_load_dword v31, off, s[0:3], 0 offset:92
	;; [unrolled: 1-line block ×48, first 2 shown]
	v_mov_b32_e32 v36, 0
	ds_read_b128 v[22:25], v36 offset:544
	ds_read_b128 v[18:21], v36 offset:560
	;; [unrolled: 1-line block ×6, first 2 shown]
	buffer_load_dword v211, off, s[0:3], 0 offset:264
	buffer_load_dword v212, off, s[0:3], 0 offset:268
	;; [unrolled: 1-line block ×12, first 2 shown]
	v_cmp_lt_u32_e32 vcc, 8, v0
	s_waitcnt vmcnt(59) lgkmcnt(5)
	v_mul_f32_e32 v35, v22, v32
	s_waitcnt vmcnt(58)
	v_mul_f32_e32 v38, v24, v31
	s_waitcnt vmcnt(57) lgkmcnt(4)
	v_mul_f32_e32 v40, v20, v30
	s_waitcnt vmcnt(56) lgkmcnt(3)
	v_mul_f32_e32 v41, v14, v29
	s_waitcnt vmcnt(55)
	v_mul_f32_e32 v42, v16, v1
	s_waitcnt vmcnt(54)
	v_mul_f32_e32 v39, v18, v33
	s_waitcnt vmcnt(53) lgkmcnt(2)
	v_mul_f32_e32 v43, v10, v28
	s_waitcnt vmcnt(52)
	v_mul_f32_e32 v44, v12, v34
	s_waitcnt vmcnt(51) lgkmcnt(1)
	v_mul_f32_e32 v45, v6, v37
	s_waitcnt vmcnt(50)
	v_mul_f32_e32 v46, v8, v94
	s_waitcnt vmcnt(49)
	v_fmac_f32_e32 v39, v19, v96
	s_waitcnt vmcnt(48)
	v_fmac_f32_e32 v38, v25, v114
	;; [unrolled: 2-line block ×3, first 2 shown]
	v_add_f32_e32 v35, 0, v35
	v_add_f32_e32 v35, v35, v38
	;; [unrolled: 1-line block ×3, first 2 shown]
	s_waitcnt vmcnt(43)
	v_fmac_f32_e32 v40, v21, v119
	v_fmac_f32_e32 v41, v15, v118
	v_add_f32_e32 v35, v35, v40
	v_fmac_f32_e32 v42, v17, v117
	v_add_f32_e32 v35, v35, v41
	;; [unrolled: 2-line block ×3, first 2 shown]
	s_waitcnt vmcnt(39)
	v_fmac_f32_e32 v44, v13, v123
	v_add_f32_e32 v35, v35, v43
	v_fmac_f32_e32 v45, v7, v122
	v_add_f32_e32 v35, v35, v44
	;; [unrolled: 2-line block ×3, first 2 shown]
	s_waitcnt vmcnt(38) lgkmcnt(0)
	v_mul_f32_e32 v38, v2, v124
	v_add_f32_e32 v35, v35, v46
	v_fmac_f32_e32 v38, v3, v120
	v_add_f32_e32 v35, v35, v38
	ds_read_b128 v[38:41], v36 offset:640
	buffer_load_dword v223, off, s[0:3], 0 offset:312
	buffer_load_dword v224, off, s[0:3], 0 offset:316
	;; [unrolled: 1-line block ×4, first 2 shown]
	s_waitcnt vmcnt(35)
	v_mul_f32_e32 v42, v4, v131
	s_waitcnt vmcnt(34)
	v_fmac_f32_e32 v42, v5, v132
	v_add_f32_e32 v35, v35, v42
	ds_read_b128 v[42:45], v36 offset:656
	buffer_load_dword v227, off, s[0:3], 0 offset:328
	buffer_load_dword v228, off, s[0:3], 0 offset:332
	;; [unrolled: 1-line block ×10, first 2 shown]
	s_waitcnt lgkmcnt(1)
	v_mul_f32_e32 v46, v38, v126
	v_fmac_f32_e32 v46, v39, v125
	v_add_f32_e32 v35, v35, v46
	v_mul_f32_e32 v46, v40, v128
	v_fmac_f32_e32 v46, v41, v127
	v_add_f32_e32 v35, v35, v46
	s_waitcnt lgkmcnt(0)
	v_mul_f32_e32 v46, v42, v130
	v_fmac_f32_e32 v46, v43, v129
	v_add_f32_e32 v35, v35, v46
	buffer_load_dword v237, off, s[0:3], 0 offset:368
	buffer_load_dword v238, off, s[0:3], 0 offset:372
	;; [unrolled: 1-line block ×6, first 2 shown]
	ds_read_b128 v[46:49], v36 offset:672
	s_waitcnt vmcnt(46)
	v_mul_f32_e32 v50, v44, v134
	v_fmac_f32_e32 v50, v45, v133
	v_add_f32_e32 v35, v35, v50
	ds_read_b128 v[50:53], v36 offset:688
	s_waitcnt vmcnt(44) lgkmcnt(1)
	v_mul_f32_e32 v54, v46, v136
	v_fmac_f32_e32 v54, v47, v135
	v_add_f32_e32 v35, v35, v54
	s_waitcnt vmcnt(42)
	v_mul_f32_e32 v54, v48, v138
	v_fmac_f32_e32 v54, v49, v137
	v_add_f32_e32 v35, v35, v54
	s_waitcnt vmcnt(40) lgkmcnt(0)
	v_mul_f32_e32 v54, v50, v140
	v_fmac_f32_e32 v54, v51, v139
	v_add_f32_e32 v35, v35, v54
	ds_read_b128 v[54:57], v36 offset:704
	s_waitcnt vmcnt(38)
	v_mul_f32_e32 v58, v52, v142
	v_fmac_f32_e32 v58, v53, v141
	v_add_f32_e32 v35, v35, v58
	ds_read_b128 v[58:61], v36 offset:720
	s_waitcnt vmcnt(36) lgkmcnt(1)
	v_mul_f32_e32 v62, v54, v144
	v_fmac_f32_e32 v62, v55, v143
	v_add_f32_e32 v35, v35, v62
	s_waitcnt vmcnt(34)
	v_mul_f32_e32 v62, v56, v208
	v_fmac_f32_e32 v62, v57, v145
	v_add_f32_e32 v35, v35, v62
	s_waitcnt vmcnt(32) lgkmcnt(0)
	v_mul_f32_e32 v62, v58, v210
	v_fmac_f32_e32 v62, v59, v209
	v_add_f32_e32 v35, v35, v62
	ds_read_b128 v[62:65], v36 offset:736
	s_waitcnt vmcnt(30)
	v_mul_f32_e32 v66, v60, v212
	v_fmac_f32_e32 v66, v61, v211
	v_add_f32_e32 v35, v35, v66
	ds_read_b128 v[66:69], v36 offset:752
	s_waitcnt vmcnt(28) lgkmcnt(1)
	v_mul_f32_e32 v70, v62, v214
	v_fmac_f32_e32 v70, v63, v213
	v_add_f32_e32 v35, v35, v70
	s_waitcnt vmcnt(26)
	v_mul_f32_e32 v70, v64, v216
	v_fmac_f32_e32 v70, v65, v215
	v_add_f32_e32 v35, v35, v70
	s_waitcnt vmcnt(24) lgkmcnt(0)
	v_mul_f32_e32 v70, v66, v218
	v_fmac_f32_e32 v70, v67, v217
	v_add_f32_e32 v35, v35, v70
	ds_read_b128 v[70:73], v36 offset:768
	s_waitcnt vmcnt(22)
	v_mul_f32_e32 v74, v68, v220
	v_fmac_f32_e32 v74, v69, v219
	v_add_f32_e32 v35, v35, v74
	ds_read_b128 v[74:77], v36 offset:784
	s_waitcnt vmcnt(20) lgkmcnt(1)
	v_mul_f32_e32 v78, v70, v222
	v_fmac_f32_e32 v78, v71, v221
	v_add_f32_e32 v35, v35, v78
	v_mul_f32_e32 v23, v23, v32
	v_fma_f32 v22, v22, v115, -v23
	v_mul_f32_e32 v23, v25, v31
	v_add_f32_e32 v22, 0, v22
	v_fma_f32 v23, v24, v114, -v23
	v_mul_f32_e32 v19, v19, v33
	v_add_f32_e32 v22, v22, v23
	v_fma_f32 v18, v18, v96, -v19
	v_mul_f32_e32 v19, v21, v30
	s_waitcnt vmcnt(18)
	v_mul_f32_e32 v78, v72, v224
	v_fmac_f32_e32 v78, v73, v223
	v_add_f32_e32 v35, v35, v78
	s_waitcnt vmcnt(16) lgkmcnt(0)
	v_mul_f32_e32 v78, v74, v226
	v_fmac_f32_e32 v78, v75, v225
	v_add_f32_e32 v35, v35, v78
	ds_read_b128 v[78:81], v36 offset:800
	s_waitcnt vmcnt(14)
	v_mul_f32_e32 v82, v76, v228
	v_fmac_f32_e32 v82, v77, v227
	v_add_f32_e32 v35, v35, v82
	ds_read_b128 v[82:85], v36 offset:816
	s_waitcnt vmcnt(12) lgkmcnt(1)
	v_mul_f32_e32 v86, v78, v230
	v_fmac_f32_e32 v86, v79, v229
	v_add_f32_e32 v35, v35, v86
	s_waitcnt vmcnt(10)
	v_mul_f32_e32 v86, v80, v232
	v_fmac_f32_e32 v86, v81, v231
	v_add_f32_e32 v35, v35, v86
	s_waitcnt vmcnt(8) lgkmcnt(0)
	v_mul_f32_e32 v86, v82, v234
	v_fmac_f32_e32 v86, v83, v233
	s_waitcnt vmcnt(6)
	v_mul_f32_e32 v90, v84, v236
	v_add_f32_e32 v35, v35, v86
	v_fmac_f32_e32 v90, v85, v235
	ds_read_b128 v[86:89], v36 offset:832
	v_add_f32_e32 v35, v35, v90
	ds_read_b128 v[90:93], v36 offset:848
	buffer_load_dword v99, off, s[0:3], 0 offset:420
	buffer_load_dword v98, off, s[0:3], 0 offset:416
	;; [unrolled: 1-line block ×16, first 2 shown]
	v_add_f32_e32 v18, v22, v18
	v_fma_f32 v19, v20, v119, -v19
	v_mul_f32_e32 v15, v15, v29
	v_add_f32_e32 v18, v18, v19
	v_fma_f32 v14, v14, v118, -v15
	v_mul_f32_e32 v1, v17, v1
	;; [unrolled: 3-line block ×3, first 2 shown]
	v_add_f32_e32 v1, v14, v1
	v_fma_f32 v10, v10, v116, -v11
	v_add_f32_e32 v1, v1, v10
	v_mul_f32_e32 v10, v13, v34
	v_fma_f32 v10, v12, v123, -v10
	v_mul_f32_e32 v7, v7, v37
	v_add_f32_e32 v1, v1, v10
	v_fma_f32 v6, v6, v122, -v7
	v_add_f32_e32 v1, v1, v6
	v_mul_f32_e32 v6, v9, v94
	v_fma_f32 v6, v8, v121, -v6
	v_mul_f32_e32 v3, v3, v124
	v_add_f32_e32 v1, v1, v6
	v_fma_f32 v2, v2, v120, -v3
	v_add_f32_e32 v1, v1, v2
	v_mul_f32_e32 v2, v5, v131
	v_fma_f32 v2, v4, v132, -v2
	v_add_f32_e32 v1, v1, v2
	v_mul_f32_e32 v2, v39, v126
	v_fma_f32 v2, v38, v125, -v2
	v_add_f32_e32 v1, v1, v2
	v_mul_f32_e32 v2, v41, v128
	v_fma_f32 v2, v40, v127, -v2
	v_add_f32_e32 v1, v1, v2
	v_mul_f32_e32 v2, v43, v130
	v_fma_f32 v2, v42, v129, -v2
	v_add_f32_e32 v1, v1, v2
	v_mul_f32_e32 v2, v45, v134
	v_fma_f32 v2, v44, v133, -v2
	v_add_f32_e32 v1, v1, v2
	v_mul_f32_e32 v2, v47, v136
	v_fma_f32 v2, v46, v135, -v2
	v_add_f32_e32 v1, v1, v2
	v_mul_f32_e32 v2, v49, v138
	v_fma_f32 v2, v48, v137, -v2
	v_add_f32_e32 v1, v1, v2
	v_mul_f32_e32 v2, v51, v140
	v_fma_f32 v2, v50, v139, -v2
	v_add_f32_e32 v1, v1, v2
	v_mul_f32_e32 v2, v53, v142
	v_fma_f32 v2, v52, v141, -v2
	v_add_f32_e32 v1, v1, v2
	v_mul_f32_e32 v2, v55, v144
	v_fma_f32 v2, v54, v143, -v2
	v_add_f32_e32 v1, v1, v2
	v_mul_f32_e32 v2, v57, v208
	v_fma_f32 v2, v56, v145, -v2
	v_add_f32_e32 v1, v1, v2
	v_mul_f32_e32 v2, v59, v210
	v_fma_f32 v2, v58, v209, -v2
	v_add_f32_e32 v1, v1, v2
	v_mul_f32_e32 v2, v61, v212
	v_fma_f32 v2, v60, v211, -v2
	v_add_f32_e32 v1, v1, v2
	v_mul_f32_e32 v2, v63, v214
	v_fma_f32 v2, v62, v213, -v2
	v_add_f32_e32 v1, v1, v2
	v_mul_f32_e32 v2, v65, v216
	v_fma_f32 v2, v64, v215, -v2
	v_add_f32_e32 v1, v1, v2
	v_mul_f32_e32 v2, v67, v218
	v_fma_f32 v2, v66, v217, -v2
	v_add_f32_e32 v1, v1, v2
	v_mul_f32_e32 v2, v69, v220
	v_fma_f32 v2, v68, v219, -v2
	v_add_f32_e32 v1, v1, v2
	v_mul_f32_e32 v2, v71, v222
	v_fma_f32 v2, v70, v221, -v2
	v_add_f32_e32 v1, v1, v2
	v_mul_f32_e32 v2, v73, v224
	v_fma_f32 v2, v72, v223, -v2
	v_add_f32_e32 v1, v1, v2
	v_mul_f32_e32 v2, v75, v226
	v_fma_f32 v2, v74, v225, -v2
	v_add_f32_e32 v1, v1, v2
	v_mul_f32_e32 v2, v77, v228
	v_fma_f32 v2, v76, v227, -v2
	v_add_f32_e32 v1, v1, v2
	v_mul_f32_e32 v2, v79, v230
	v_fma_f32 v2, v78, v229, -v2
	v_add_f32_e32 v1, v1, v2
	v_mul_f32_e32 v2, v81, v232
	v_fma_f32 v2, v80, v231, -v2
	v_add_f32_e32 v1, v1, v2
	v_mul_f32_e32 v2, v83, v234
	v_fma_f32 v2, v82, v233, -v2
	v_add_f32_e32 v1, v1, v2
	v_mul_f32_e32 v2, v85, v236
	v_fma_f32 v2, v84, v235, -v2
	s_waitcnt vmcnt(20) lgkmcnt(1)
	v_mul_f32_e32 v95, v86, v238
	v_add_f32_e32 v1, v1, v2
	v_mul_f32_e32 v2, v87, v238
	v_fmac_f32_e32 v95, v87, v237
	v_fma_f32 v2, v86, v237, -v2
	s_waitcnt vmcnt(9)
	v_mov_b32_e32 v18, v105
	v_add_f32_e32 v35, v35, v95
	v_mul_f32_e32 v95, v88, v240
	v_add_f32_e32 v34, v1, v2
	v_mul_f32_e32 v1, v89, v240
	s_waitcnt lgkmcnt(0)
	v_pk_mul_f32 v[18:19], v[92:93], v[18:19] op_sel_hi:[1,0]
	v_fmac_f32_e32 v95, v89, v239
	v_mul_f32_e32 v97, v90, v242
	v_fma_f32 v94, v88, v239, -v1
	v_mul_f32_e32 v1, v91, v242
	ds_read_b128 v[2:5], v36 offset:864
	ds_read_b128 v[6:9], v36 offset:880
	;; [unrolled: 1-line block ×3, first 2 shown]
	ds_read_b64 v[14:15], v36 offset:912
	s_waitcnt vmcnt(8)
	v_pk_fma_f32 v[20:21], v[92:93], v[104:105], v[18:19] op_sel:[0,0,1] op_sel_hi:[1,1,0] neg_lo:[0,0,1] neg_hi:[0,0,1]
	v_pk_fma_f32 v[18:19], v[92:93], v[104:105], v[18:19] op_sel:[0,0,1] op_sel_hi:[1,0,0]
	v_fmac_f32_e32 v97, v91, v241
	v_fma_f32 v96, v90, v241, -v1
	v_pk_add_f32 v[16:17], v[34:35], v[94:95]
	v_mov_b32_e32 v18, v103
	v_pk_add_f32 v[16:17], v[16:17], v[96:97]
	v_mov_b32_e32 v21, v19
	s_waitcnt lgkmcnt(3)
	v_pk_mul_f32 v[18:19], v[2:3], v[18:19] op_sel_hi:[1,0]
	v_pk_add_f32 v[16:17], v[16:17], v[20:21]
	v_pk_fma_f32 v[20:21], v[2:3], v[102:103], v[18:19] op_sel:[0,0,1] op_sel_hi:[1,1,0] neg_lo:[0,0,1] neg_hi:[0,0,1]
	v_pk_fma_f32 v[2:3], v[2:3], v[102:103], v[18:19] op_sel:[0,0,1] op_sel_hi:[1,0,0]
	v_mov_b32_e32 v21, v3
	v_pk_add_f32 v[2:3], v[16:17], v[20:21]
	v_mov_b32_e32 v16, v101
	v_pk_mul_f32 v[16:17], v[4:5], v[16:17] op_sel_hi:[1,0]
	v_pk_fma_f32 v[18:19], v[4:5], v[100:101], v[16:17] op_sel:[0,0,1] op_sel_hi:[1,1,0] neg_lo:[0,0,1] neg_hi:[0,0,1]
	v_pk_fma_f32 v[4:5], v[4:5], v[100:101], v[16:17] op_sel:[0,0,1] op_sel_hi:[1,0,0]
	v_mov_b32_e32 v4, v99
	v_mov_b32_e32 v19, v5
	s_waitcnt lgkmcnt(2)
	v_pk_mul_f32 v[4:5], v[6:7], v[4:5] op_sel_hi:[1,0]
	v_pk_fma_f32 v[16:17], v[6:7], v[98:99], v[4:5] op_sel:[0,0,1] op_sel_hi:[1,1,0] neg_lo:[0,0,1] neg_hi:[0,0,1]
	v_pk_fma_f32 v[4:5], v[6:7], v[98:99], v[4:5] op_sel:[0,0,1] op_sel_hi:[1,0,0]
	s_waitcnt vmcnt(1)
	v_mov_b32_e32 v4, v113
	v_mov_b32_e32 v17, v5
	v_pk_mul_f32 v[4:5], v[8:9], v[4:5] op_sel_hi:[1,0]
	s_waitcnt vmcnt(0)
	v_pk_fma_f32 v[6:7], v[8:9], v[112:113], v[4:5] op_sel:[0,0,1] op_sel_hi:[1,1,0] neg_lo:[0,0,1] neg_hi:[0,0,1]
	v_pk_fma_f32 v[4:5], v[8:9], v[112:113], v[4:5] op_sel:[0,0,1] op_sel_hi:[1,0,0]
	v_pk_add_f32 v[2:3], v[2:3], v[18:19]
	v_mov_b32_e32 v4, v111
	v_pk_add_f32 v[2:3], v[2:3], v[16:17]
	v_mov_b32_e32 v7, v5
	s_waitcnt lgkmcnt(1)
	v_pk_mul_f32 v[4:5], v[10:11], v[4:5] op_sel_hi:[1,0]
	v_pk_add_f32 v[2:3], v[2:3], v[6:7]
	v_pk_fma_f32 v[6:7], v[10:11], v[110:111], v[4:5] op_sel:[0,0,1] op_sel_hi:[1,1,0] neg_lo:[0,0,1] neg_hi:[0,0,1]
	v_pk_fma_f32 v[4:5], v[10:11], v[110:111], v[4:5] op_sel:[0,0,1] op_sel_hi:[1,0,0]
	v_mov_b32_e32 v4, v109
	v_mov_b32_e32 v7, v5
	v_pk_mul_f32 v[4:5], v[12:13], v[4:5] op_sel_hi:[1,0]
	v_pk_add_f32 v[2:3], v[2:3], v[6:7]
	v_pk_fma_f32 v[6:7], v[12:13], v[108:109], v[4:5] op_sel:[0,0,1] op_sel_hi:[1,1,0] neg_lo:[0,0,1] neg_hi:[0,0,1]
	v_pk_fma_f32 v[4:5], v[12:13], v[108:109], v[4:5] op_sel:[0,0,1] op_sel_hi:[1,0,0]
	v_mov_b32_e32 v4, v107
	v_mov_b32_e32 v7, v5
	s_waitcnt lgkmcnt(0)
	v_pk_mul_f32 v[4:5], v[14:15], v[4:5] op_sel_hi:[1,0]
	v_pk_add_f32 v[2:3], v[2:3], v[6:7]
	v_pk_fma_f32 v[6:7], v[14:15], v[106:107], v[4:5] op_sel:[0,0,1] op_sel_hi:[1,1,0] neg_lo:[0,0,1] neg_hi:[0,0,1]
	v_pk_fma_f32 v[4:5], v[14:15], v[106:107], v[4:5] op_sel:[0,0,1] op_sel_hi:[1,0,0]
	v_mov_b32_e32 v7, v5
	v_pk_add_f32 v[2:3], v[2:3], v[6:7]
	v_pk_add_f32 v[2:3], v[26:27], v[2:3] neg_lo:[0,1] neg_hi:[0,1]
	buffer_store_dword v3, off, s[0:3], 0 offset:76
	buffer_store_dword v2, off, s[0:3], 0 offset:72
	s_and_saveexec_b64 s[4:5], vcc
	s_cbranch_execz .LBB56_339
; %bb.338:
	buffer_load_dword v2, off, s[0:3], 0 offset:64
	buffer_load_dword v3, off, s[0:3], 0 offset:68
	s_waitcnt vmcnt(0)
	ds_write_b64 v165, v[2:3]
	buffer_store_dword v36, off, s[0:3], 0 offset:64
	buffer_store_dword v36, off, s[0:3], 0 offset:68
.LBB56_339:
	s_or_b64 exec, exec, s[4:5]
	s_waitcnt lgkmcnt(0)
	; wave barrier
	s_waitcnt lgkmcnt(0)
	buffer_load_dword v41, off, s[0:3], 0 offset:76
	buffer_load_dword v40, off, s[0:3], 0 offset:84
	;; [unrolled: 1-line block ×32, first 2 shown]
	ds_read2_b64 v[22:25], v36 offset0:67 offset1:68
	ds_read2_b64 v[18:21], v36 offset0:69 offset1:70
	;; [unrolled: 1-line block ×6, first 2 shown]
	buffer_load_dword v133, off, s[0:3], 0 offset:192
	buffer_load_dword v134, off, s[0:3], 0 offset:196
	buffer_load_dword v135, off, s[0:3], 0 offset:200
	buffer_load_dword v136, off, s[0:3], 0 offset:204
	buffer_load_dword v137, off, s[0:3], 0 offset:208
	buffer_load_dword v138, off, s[0:3], 0 offset:212
	buffer_load_dword v139, off, s[0:3], 0 offset:216
	buffer_load_dword v140, off, s[0:3], 0 offset:220
	buffer_load_dword v141, off, s[0:3], 0 offset:224
	buffer_load_dword v142, off, s[0:3], 0 offset:228
	buffer_load_dword v143, off, s[0:3], 0 offset:232
	buffer_load_dword v144, off, s[0:3], 0 offset:236
	buffer_load_dword v145, off, s[0:3], 0 offset:240
	buffer_load_dword v208, off, s[0:3], 0 offset:244
	buffer_load_dword v209, off, s[0:3], 0 offset:248
	buffer_load_dword v210, off, s[0:3], 0 offset:252
	buffer_load_dword v211, off, s[0:3], 0 offset:256
	buffer_load_dword v212, off, s[0:3], 0 offset:260
	buffer_load_dword v213, off, s[0:3], 0 offset:264
	buffer_load_dword v214, off, s[0:3], 0 offset:268
	buffer_load_dword v215, off, s[0:3], 0 offset:272
	buffer_load_dword v216, off, s[0:3], 0 offset:276
	buffer_load_dword v217, off, s[0:3], 0 offset:280
	buffer_load_dword v218, off, s[0:3], 0 offset:284
	buffer_load_dword v219, off, s[0:3], 0 offset:288
	buffer_load_dword v220, off, s[0:3], 0 offset:292
	v_cmp_lt_u32_e32 vcc, 7, v0
	s_waitcnt vmcnt(57) lgkmcnt(5)
	v_mul_f32_e32 v26, v22, v41
	s_waitcnt vmcnt(56)
	v_mul_f32_e32 v27, v24, v40
	s_waitcnt vmcnt(55) lgkmcnt(4)
	v_mul_f32_e32 v29, v20, v39
	s_waitcnt vmcnt(54) lgkmcnt(3)
	v_mul_f32_e32 v30, v14, v38
	s_waitcnt vmcnt(53)
	v_mul_f32_e32 v31, v16, v1
	s_waitcnt vmcnt(52)
	v_mul_f32_e32 v28, v18, v42
	s_waitcnt vmcnt(51) lgkmcnt(2)
	v_mul_f32_e32 v32, v10, v37
	s_waitcnt vmcnt(50)
	v_mul_f32_e32 v33, v12, v43
	s_waitcnt vmcnt(49) lgkmcnt(1)
	;; [unrolled: 4-line block ×3, first 2 shown]
	v_mul_f32_e32 v46, v2, v102
	s_waitcnt vmcnt(46)
	v_fmac_f32_e32 v28, v19, v114
	s_waitcnt vmcnt(45)
	v_fmac_f32_e32 v27, v25, v115
	s_waitcnt vmcnt(44)
	v_fmac_f32_e32 v26, v23, v116
	v_add_f32_e32 v26, 0, v26
	v_add_f32_e32 v26, v26, v27
	;; [unrolled: 1-line block ×3, first 2 shown]
	s_waitcnt vmcnt(40)
	v_fmac_f32_e32 v29, v21, v120
	v_fmac_f32_e32 v30, v15, v119
	v_add_f32_e32 v26, v26, v29
	v_fmac_f32_e32 v31, v17, v118
	v_add_f32_e32 v26, v26, v30
	;; [unrolled: 2-line block ×3, first 2 shown]
	s_waitcnt vmcnt(36)
	v_fmac_f32_e32 v33, v13, v124
	v_add_f32_e32 v26, v26, v32
	v_fmac_f32_e32 v44, v7, v123
	v_add_f32_e32 v26, v26, v33
	;; [unrolled: 2-line block ×4, first 2 shown]
	s_waitcnt vmcnt(30)
	v_mul_f32_e32 v27, v4, v130
	v_add_f32_e32 v26, v26, v46
	s_waitcnt vmcnt(29)
	v_fmac_f32_e32 v27, v5, v131
	v_add_f32_e32 v44, v26, v27
	ds_read2_b64 v[26:29], v36 offset0:79 offset1:80
	buffer_load_dword v221, off, s[0:3], 0 offset:296
	buffer_load_dword v222, off, s[0:3], 0 offset:300
	ds_read2_b64 v[30:33], v36 offset0:81 offset1:82
	buffer_load_dword v223, off, s[0:3], 0 offset:304
	buffer_load_dword v224, off, s[0:3], 0 offset:308
	;; [unrolled: 1-line block ×14, first 2 shown]
	s_waitcnt vmcnt(44) lgkmcnt(1)
	v_mul_f32_e32 v45, v26, v132
	v_fmac_f32_e32 v45, v27, v129
	v_add_f32_e32 v44, v44, v45
	v_mul_f32_e32 v45, v28, v126
	v_fmac_f32_e32 v45, v29, v125
	v_add_f32_e32 v44, v44, v45
	s_waitcnt lgkmcnt(0)
	v_mul_f32_e32 v45, v30, v128
	v_fmac_f32_e32 v45, v31, v127
	v_add_f32_e32 v48, v44, v45
	buffer_load_dword v237, off, s[0:3], 0 offset:360
	buffer_load_dword v238, off, s[0:3], 0 offset:364
	ds_read2_b64 v[44:47], v36 offset0:83 offset1:84
	s_waitcnt vmcnt(42)
	v_mul_f32_e32 v49, v32, v134
	v_fmac_f32_e32 v49, v33, v133
	buffer_load_dword v239, off, s[0:3], 0 offset:368
	buffer_load_dword v240, off, s[0:3], 0 offset:372
	v_add_f32_e32 v52, v48, v49
	buffer_load_dword v241, off, s[0:3], 0 offset:376
	buffer_load_dword v242, off, s[0:3], 0 offset:380
	ds_read2_b64 v[48:51], v36 offset0:85 offset1:86
	s_waitcnt vmcnt(44) lgkmcnt(1)
	v_mul_f32_e32 v53, v44, v136
	v_fmac_f32_e32 v53, v45, v135
	v_add_f32_e32 v52, v52, v53
	s_waitcnt vmcnt(42)
	v_mul_f32_e32 v53, v46, v138
	v_fmac_f32_e32 v53, v47, v137
	v_add_f32_e32 v52, v52, v53
	s_waitcnt vmcnt(40) lgkmcnt(0)
	v_mul_f32_e32 v53, v48, v140
	v_fmac_f32_e32 v53, v49, v139
	buffer_load_dword v243, off, s[0:3], 0 offset:384
	buffer_load_dword v244, off, s[0:3], 0 offset:388
	v_add_f32_e32 v56, v52, v53
	ds_read2_b64 v[52:55], v36 offset0:87 offset1:88
	s_waitcnt vmcnt(40)
	v_mul_f32_e32 v57, v50, v142
	v_fmac_f32_e32 v57, v51, v141
	v_add_f32_e32 v60, v56, v57
	ds_read2_b64 v[56:59], v36 offset0:89 offset1:90
	s_waitcnt vmcnt(38) lgkmcnt(1)
	v_mul_f32_e32 v61, v52, v144
	v_fmac_f32_e32 v61, v53, v143
	v_add_f32_e32 v60, v60, v61
	s_waitcnt vmcnt(36)
	v_mul_f32_e32 v61, v54, v208
	v_fmac_f32_e32 v61, v55, v145
	v_add_f32_e32 v60, v60, v61
	s_waitcnt vmcnt(34) lgkmcnt(0)
	v_mul_f32_e32 v61, v56, v210
	v_fmac_f32_e32 v61, v57, v209
	v_add_f32_e32 v64, v60, v61
	ds_read2_b64 v[60:63], v36 offset0:91 offset1:92
	s_waitcnt vmcnt(32)
	v_mul_f32_e32 v65, v58, v212
	v_fmac_f32_e32 v65, v59, v211
	v_add_f32_e32 v68, v64, v65
	ds_read2_b64 v[64:67], v36 offset0:93 offset1:94
	s_waitcnt vmcnt(30) lgkmcnt(1)
	v_mul_f32_e32 v69, v60, v214
	v_fmac_f32_e32 v69, v61, v213
	v_add_f32_e32 v68, v68, v69
	s_waitcnt vmcnt(28)
	v_mul_f32_e32 v69, v62, v216
	v_fmac_f32_e32 v69, v63, v215
	v_add_f32_e32 v68, v68, v69
	s_waitcnt vmcnt(26) lgkmcnt(0)
	v_mul_f32_e32 v69, v64, v218
	v_fmac_f32_e32 v69, v65, v217
	v_add_f32_e32 v72, v68, v69
	ds_read2_b64 v[68:71], v36 offset0:95 offset1:96
	s_waitcnt vmcnt(24)
	v_mul_f32_e32 v73, v66, v220
	v_fmac_f32_e32 v73, v67, v219
	v_add_f32_e32 v76, v72, v73
	ds_read2_b64 v[72:75], v36 offset0:97 offset1:98
	v_mul_f32_e32 v23, v23, v41
	v_fma_f32 v22, v22, v116, -v23
	v_mul_f32_e32 v23, v25, v40
	v_add_f32_e32 v22, 0, v22
	v_fma_f32 v23, v24, v115, -v23
	v_mul_f32_e32 v19, v19, v42
	v_add_f32_e32 v22, v22, v23
	;; [unrolled: 3-line block ×3, first 2 shown]
	v_fma_f32 v19, v20, v120, -v19
	s_waitcnt vmcnt(22) lgkmcnt(1)
	v_mul_f32_e32 v77, v68, v222
	v_fmac_f32_e32 v77, v69, v221
	v_add_f32_e32 v76, v76, v77
	s_waitcnt vmcnt(20)
	v_mul_f32_e32 v77, v70, v224
	v_fmac_f32_e32 v77, v71, v223
	v_add_f32_e32 v76, v76, v77
	s_waitcnt vmcnt(18) lgkmcnt(0)
	v_mul_f32_e32 v77, v72, v226
	v_fmac_f32_e32 v77, v73, v225
	v_add_f32_e32 v80, v76, v77
	ds_read2_b64 v[76:79], v36 offset0:99 offset1:100
	s_waitcnt vmcnt(16)
	v_mul_f32_e32 v81, v74, v228
	v_fmac_f32_e32 v81, v75, v227
	v_add_f32_e32 v84, v80, v81
	ds_read2_b64 v[80:83], v36 offset0:101 offset1:102
	s_waitcnt vmcnt(14) lgkmcnt(1)
	v_mul_f32_e32 v85, v76, v230
	v_fmac_f32_e32 v85, v77, v229
	v_add_f32_e32 v84, v84, v85
	s_waitcnt vmcnt(12)
	v_mul_f32_e32 v85, v78, v232
	v_fmac_f32_e32 v85, v79, v231
	v_add_f32_e32 v84, v84, v85
	s_waitcnt vmcnt(10) lgkmcnt(0)
	v_mul_f32_e32 v85, v80, v234
	v_fmac_f32_e32 v85, v81, v233
	s_waitcnt vmcnt(8)
	v_mul_f32_e32 v89, v82, v236
	v_add_f32_e32 v88, v84, v85
	v_fmac_f32_e32 v89, v83, v235
	ds_read2_b64 v[84:87], v36 offset0:103 offset1:104
	v_add_f32_e32 v93, v88, v89
	ds_read2_b64 v[88:91], v36 offset0:105 offset1:106
	buffer_load_dword v97, off, s[0:3], 0 offset:412
	buffer_load_dword v96, off, s[0:3], 0 offset:408
	;; [unrolled: 1-line block ×16, first 2 shown]
	v_mul_f32_e32 v15, v15, v38
	v_add_f32_e32 v18, v18, v19
	v_fma_f32 v14, v14, v119, -v15
	v_mul_f32_e32 v1, v17, v1
	v_add_f32_e32 v14, v18, v14
	v_fma_f32 v1, v16, v118, -v1
	;; [unrolled: 3-line block ×3, first 2 shown]
	v_add_f32_e32 v1, v1, v10
	v_mul_f32_e32 v10, v13, v43
	v_fma_f32 v10, v12, v124, -v10
	v_mul_f32_e32 v7, v7, v92
	v_add_f32_e32 v1, v1, v10
	v_fma_f32 v6, v6, v123, -v7
	v_add_f32_e32 v1, v1, v6
	v_mul_f32_e32 v6, v9, v94
	v_fma_f32 v6, v8, v122, -v6
	v_mul_f32_e32 v3, v3, v102
	v_add_f32_e32 v1, v1, v6
	v_fma_f32 v2, v2, v121, -v3
	v_add_f32_e32 v1, v1, v2
	v_mul_f32_e32 v2, v5, v130
	v_fma_f32 v2, v4, v131, -v2
	v_add_f32_e32 v1, v1, v2
	v_mul_f32_e32 v2, v27, v132
	;; [unrolled: 3-line block ×25, first 2 shown]
	v_fma_f32 v2, v82, v235, -v2
	v_add_f32_e32 v1, v1, v2
	s_waitcnt vmcnt(22) lgkmcnt(1)
	v_mul_f32_e32 v2, v85, v238
	v_mul_f32_e32 v95, v84, v238
	v_fma_f32 v2, v84, v237, -v2
	v_fmac_f32_e32 v95, v85, v237
	v_add_f32_e32 v1, v1, v2
	s_waitcnt vmcnt(20)
	v_mul_f32_e32 v2, v87, v240
	v_add_f32_e32 v93, v93, v95
	v_mul_f32_e32 v95, v86, v240
	v_fma_f32 v2, v86, v239, -v2
	v_fmac_f32_e32 v95, v87, v239
	v_add_f32_e32 v92, v1, v2
	ds_read2_b64 v[2:5], v36 offset0:107 offset1:108
	ds_read2_b64 v[6:9], v36 offset0:109 offset1:110
	;; [unrolled: 1-line block ×4, first 2 shown]
	v_add_f32_e32 v93, v93, v95
	s_waitcnt vmcnt(18) lgkmcnt(4)
	v_mul_f32_e32 v95, v88, v242
	v_mul_f32_e32 v1, v89, v242
	s_waitcnt vmcnt(11)
	v_mov_b32_e32 v20, v101
	v_fmac_f32_e32 v95, v89, v241
	v_mul_f32_e32 v103, v90, v244
	v_fma_f32 v94, v88, v241, -v1
	v_mul_f32_e32 v1, v91, v244
	s_waitcnt lgkmcnt(3)
	v_pk_mul_f32 v[20:21], v[2:3], v[20:21] op_sel_hi:[1,0]
	v_fmac_f32_e32 v103, v91, v243
	v_fma_f32 v102, v90, v243, -v1
	v_pk_add_f32 v[18:19], v[92:93], v[94:95]
	s_waitcnt vmcnt(10)
	v_pk_fma_f32 v[22:23], v[2:3], v[100:101], v[20:21] op_sel:[0,0,1] op_sel_hi:[1,1,0] neg_lo:[0,0,1] neg_hi:[0,0,1]
	v_pk_fma_f32 v[2:3], v[2:3], v[100:101], v[20:21] op_sel:[0,0,1] op_sel_hi:[1,0,0]
	v_pk_add_f32 v[18:19], v[18:19], v[102:103]
	v_mov_b32_e32 v23, v3
	v_pk_add_f32 v[2:3], v[18:19], v[22:23]
	v_mov_b32_e32 v18, v99
	v_pk_mul_f32 v[18:19], v[4:5], v[18:19] op_sel_hi:[1,0]
	v_pk_fma_f32 v[20:21], v[4:5], v[98:99], v[18:19] op_sel:[0,0,1] op_sel_hi:[1,1,0] neg_lo:[0,0,1] neg_hi:[0,0,1]
	v_pk_fma_f32 v[4:5], v[4:5], v[98:99], v[18:19] op_sel:[0,0,1] op_sel_hi:[1,0,0]
	v_mov_b32_e32 v4, v97
	v_mov_b32_e32 v21, v5
	s_waitcnt lgkmcnt(2)
	v_pk_mul_f32 v[4:5], v[6:7], v[4:5] op_sel_hi:[1,0]
	v_pk_fma_f32 v[18:19], v[6:7], v[96:97], v[4:5] op_sel:[0,0,1] op_sel_hi:[1,1,0] neg_lo:[0,0,1] neg_hi:[0,0,1]
	v_pk_fma_f32 v[4:5], v[6:7], v[96:97], v[4:5] op_sel:[0,0,1] op_sel_hi:[1,0,0]
	s_waitcnt vmcnt(3)
	v_mov_b32_e32 v4, v111
	v_mov_b32_e32 v19, v5
	v_pk_mul_f32 v[4:5], v[8:9], v[4:5] op_sel_hi:[1,0]
	s_waitcnt vmcnt(2)
	v_pk_fma_f32 v[6:7], v[8:9], v[110:111], v[4:5] op_sel:[0,0,1] op_sel_hi:[1,1,0] neg_lo:[0,0,1] neg_hi:[0,0,1]
	v_pk_fma_f32 v[4:5], v[8:9], v[110:111], v[4:5] op_sel:[0,0,1] op_sel_hi:[1,0,0]
	v_pk_add_f32 v[2:3], v[2:3], v[20:21]
	v_mov_b32_e32 v4, v109
	v_pk_add_f32 v[2:3], v[2:3], v[18:19]
	v_mov_b32_e32 v7, v5
	s_waitcnt lgkmcnt(1)
	v_pk_mul_f32 v[4:5], v[10:11], v[4:5] op_sel_hi:[1,0]
	v_pk_add_f32 v[2:3], v[2:3], v[6:7]
	v_pk_fma_f32 v[6:7], v[10:11], v[108:109], v[4:5] op_sel:[0,0,1] op_sel_hi:[1,1,0] neg_lo:[0,0,1] neg_hi:[0,0,1]
	v_pk_fma_f32 v[4:5], v[10:11], v[108:109], v[4:5] op_sel:[0,0,1] op_sel_hi:[1,0,0]
	v_mov_b32_e32 v4, v107
	v_mov_b32_e32 v7, v5
	v_pk_mul_f32 v[4:5], v[12:13], v[4:5] op_sel_hi:[1,0]
	v_pk_add_f32 v[2:3], v[2:3], v[6:7]
	v_pk_fma_f32 v[6:7], v[12:13], v[106:107], v[4:5] op_sel:[0,0,1] op_sel_hi:[1,1,0] neg_lo:[0,0,1] neg_hi:[0,0,1]
	v_pk_fma_f32 v[4:5], v[12:13], v[106:107], v[4:5] op_sel:[0,0,1] op_sel_hi:[1,0,0]
	v_mov_b32_e32 v4, v105
	v_mov_b32_e32 v7, v5
	s_waitcnt lgkmcnt(0)
	v_pk_mul_f32 v[4:5], v[14:15], v[4:5] op_sel_hi:[1,0]
	v_pk_add_f32 v[2:3], v[2:3], v[6:7]
	v_pk_fma_f32 v[6:7], v[14:15], v[104:105], v[4:5] op_sel:[0,0,1] op_sel_hi:[1,1,0] neg_lo:[0,0,1] neg_hi:[0,0,1]
	v_pk_fma_f32 v[4:5], v[14:15], v[104:105], v[4:5] op_sel:[0,0,1] op_sel_hi:[1,0,0]
	s_waitcnt vmcnt(1)
	v_mov_b32_e32 v4, v113
	v_mov_b32_e32 v7, v5
	v_pk_mul_f32 v[4:5], v[16:17], v[4:5] op_sel_hi:[1,0]
	v_pk_add_f32 v[2:3], v[2:3], v[6:7]
	s_waitcnt vmcnt(0)
	v_pk_fma_f32 v[6:7], v[16:17], v[112:113], v[4:5] op_sel:[0,0,1] op_sel_hi:[1,1,0] neg_lo:[0,0,1] neg_hi:[0,0,1]
	v_pk_fma_f32 v[4:5], v[16:17], v[112:113], v[4:5] op_sel:[0,0,1] op_sel_hi:[1,0,0]
	v_mov_b32_e32 v7, v5
	v_pk_add_f32 v[2:3], v[2:3], v[6:7]
	v_pk_add_f32 v[2:3], v[34:35], v[2:3] neg_lo:[0,1] neg_hi:[0,1]
	buffer_store_dword v3, off, s[0:3], 0 offset:68
	buffer_store_dword v2, off, s[0:3], 0 offset:64
	s_and_saveexec_b64 s[4:5], vcc
	s_cbranch_execz .LBB56_341
; %bb.340:
	buffer_load_dword v2, off, s[0:3], 0 offset:56
	buffer_load_dword v3, off, s[0:3], 0 offset:60
	v_mov_b32_e32 v1, 0
	buffer_store_dword v1, off, s[0:3], 0 offset:56
	buffer_store_dword v1, off, s[0:3], 0 offset:60
	s_waitcnt vmcnt(2)
	ds_write_b64 v165, v[2:3]
.LBB56_341:
	s_or_b64 exec, exec, s[4:5]
	v_mov_b32_e32 v224, 0
	s_waitcnt lgkmcnt(0)
	; wave barrier
	s_waitcnt lgkmcnt(0)
	ds_read_b128 v[2:5], v224 offset:528
	buffer_load_dword v86, off, s[0:3], 0 offset:56
	buffer_load_dword v87, off, s[0:3], 0 offset:60
	;; [unrolled: 1-line block ×16, first 2 shown]
	v_cmp_lt_u32_e32 vcc, 6, v0
	s_waitcnt vmcnt(12) lgkmcnt(0)
	v_mul_f32_e32 v1, v2, v225
	v_fmac_f32_e32 v1, v3, v88
	s_waitcnt vmcnt(10)
	v_mul_f32_e32 v6, v4, v227
	v_add_f32_e32 v1, 0, v1
	v_fmac_f32_e32 v6, v5, v90
	v_add_f32_e32 v1, v1, v6
	ds_read_b128 v[6:9], v224 offset:544
	v_mul_f32_e32 v3, v3, v225
	v_fma_f32 v2, v2, v88, -v3
	v_mul_f32_e32 v3, v5, v227
	v_add_f32_e32 v2, 0, v2
	s_waitcnt vmcnt(8) lgkmcnt(0)
	v_mul_f32_e32 v10, v6, v229
	v_fmac_f32_e32 v10, v7, v208
	v_add_f32_e32 v1, v1, v10
	s_waitcnt vmcnt(6)
	v_mul_f32_e32 v10, v8, v231
	v_fmac_f32_e32 v10, v9, v226
	v_add_f32_e32 v1, v1, v10
	ds_read_b128 v[10:13], v224 offset:560
	v_fma_f32 v3, v4, v90, -v3
	v_add_f32_e32 v2, v2, v3
	v_mul_f32_e32 v3, v7, v229
	v_fma_f32 v3, v6, v208, -v3
	s_waitcnt vmcnt(4) lgkmcnt(0)
	v_mul_f32_e32 v14, v10, v233
	v_fmac_f32_e32 v14, v11, v228
	v_add_f32_e32 v1, v1, v14
	s_waitcnt vmcnt(2)
	v_mul_f32_e32 v14, v12, v234
	v_fmac_f32_e32 v14, v13, v230
	v_add_f32_e32 v1, v1, v14
	ds_read_b128 v[14:17], v224 offset:576
	v_add_f32_e32 v2, v2, v3
	v_mul_f32_e32 v3, v9, v231
	v_fma_f32 v3, v8, v226, -v3
	v_add_f32_e32 v2, v2, v3
	s_waitcnt vmcnt(0) lgkmcnt(0)
	v_mul_f32_e32 v18, v14, v235
	v_fmac_f32_e32 v18, v15, v232
	v_add_f32_e32 v18, v1, v18
	buffer_load_dword v236, off, s[0:3], 0 offset:120
	buffer_load_dword v1, off, s[0:3], 0 offset:124
	v_mul_f32_e32 v3, v11, v233
	v_fma_f32 v3, v10, v228, -v3
	v_add_f32_e32 v2, v2, v3
	v_mul_f32_e32 v3, v13, v234
	v_fma_f32 v3, v12, v230, -v3
	v_add_f32_e32 v2, v2, v3
	;; [unrolled: 3-line block ×3, first 2 shown]
	s_waitcnt vmcnt(0)
	v_mul_f32_e32 v19, v16, v1
	v_fmac_f32_e32 v19, v17, v236
	v_add_f32_e32 v22, v18, v19
	ds_read_b128 v[18:21], v224 offset:592
	buffer_load_dword v237, off, s[0:3], 0 offset:128
	buffer_load_dword v94, off, s[0:3], 0 offset:132
	;; [unrolled: 1-line block ×4, first 2 shown]
	v_mul_f32_e32 v1, v17, v1
	v_fma_f32 v1, v16, v236, -v1
	v_add_f32_e32 v1, v2, v1
	s_waitcnt vmcnt(2) lgkmcnt(0)
	v_mul_f32_e32 v23, v18, v94
	v_fmac_f32_e32 v23, v19, v237
	v_add_f32_e32 v22, v22, v23
	s_waitcnt vmcnt(0)
	v_mul_f32_e32 v23, v20, v96
	v_fmac_f32_e32 v23, v21, v95
	v_add_f32_e32 v26, v22, v23
	ds_read_b128 v[22:25], v224 offset:608
	buffer_load_dword v97, off, s[0:3], 0 offset:144
	buffer_load_dword v238, off, s[0:3], 0 offset:148
	;; [unrolled: 1-line block ×4, first 2 shown]
	v_mul_f32_e32 v2, v19, v94
	v_fma_f32 v2, v18, v237, -v2
	v_add_f32_e32 v1, v1, v2
	v_mul_f32_e32 v2, v21, v96
	v_fma_f32 v2, v20, v95, -v2
	v_add_f32_e32 v1, v1, v2
	s_waitcnt vmcnt(2) lgkmcnt(0)
	v_mul_f32_e32 v27, v22, v238
	v_fmac_f32_e32 v27, v23, v97
	v_add_f32_e32 v26, v26, v27
	s_waitcnt vmcnt(0)
	v_mul_f32_e32 v27, v24, v98
	v_fmac_f32_e32 v27, v25, v239
	v_add_f32_e32 v30, v26, v27
	ds_read_b128 v[26:29], v224 offset:624
	buffer_load_dword v99, off, s[0:3], 0 offset:160
	buffer_load_dword v100, off, s[0:3], 0 offset:164
	;; [unrolled: 1-line block ×4, first 2 shown]
	v_mul_f32_e32 v2, v23, v238
	v_fma_f32 v2, v22, v97, -v2
	v_add_f32_e32 v1, v1, v2
	v_mul_f32_e32 v2, v25, v98
	v_fma_f32 v2, v24, v239, -v2
	v_add_f32_e32 v1, v1, v2
	s_waitcnt vmcnt(2) lgkmcnt(0)
	v_mul_f32_e32 v31, v26, v100
	v_fmac_f32_e32 v31, v27, v99
	v_add_f32_e32 v30, v30, v31
	s_waitcnt vmcnt(0)
	v_mul_f32_e32 v31, v28, v102
	v_fmac_f32_e32 v31, v29, v101
	v_add_f32_e32 v34, v30, v31
	ds_read_b128 v[30:33], v224 offset:640
	buffer_load_dword v103, off, s[0:3], 0 offset:176
	buffer_load_dword v104, off, s[0:3], 0 offset:180
	buffer_load_dword v105, off, s[0:3], 0 offset:184
	buffer_load_dword v106, off, s[0:3], 0 offset:188
	ds_read_b128 v[38:41], v224 offset:656
	buffer_load_dword v107, off, s[0:3], 0 offset:192
	buffer_load_dword v108, off, s[0:3], 0 offset:196
	buffer_load_dword v109, off, s[0:3], 0 offset:200
	buffer_load_dword v110, off, s[0:3], 0 offset:204
	;; [unrolled: 5-line block ×13, first 2 shown]
	v_mul_f32_e32 v2, v27, v100
	v_fma_f32 v2, v26, v99, -v2
	v_add_f32_e32 v1, v1, v2
	v_mul_f32_e32 v2, v29, v102
	v_fma_f32 v2, v28, v101, -v2
	v_add_f32_e32 v1, v1, v2
	s_waitcnt vmcnt(50) lgkmcnt(12)
	v_mul_f32_e32 v35, v30, v104
	v_fmac_f32_e32 v35, v31, v103
	v_add_f32_e32 v34, v34, v35
	s_waitcnt vmcnt(48)
	v_mul_f32_e32 v35, v32, v106
	v_fmac_f32_e32 v35, v33, v105
	v_add_f32_e32 v34, v34, v35
	s_waitcnt vmcnt(46) lgkmcnt(11)
	v_mul_f32_e32 v35, v38, v108
	v_fmac_f32_e32 v35, v39, v107
	v_add_f32_e32 v34, v34, v35
	s_waitcnt vmcnt(44)
	v_mul_f32_e32 v35, v40, v110
	v_fmac_f32_e32 v35, v41, v109
	;; [unrolled: 8-line block ×12, first 2 shown]
	v_add_f32_e32 v34, v34, v35
	s_waitcnt vmcnt(2) lgkmcnt(0)
	v_mul_f32_e32 v35, v82, v145
	v_fmac_f32_e32 v35, v83, v144
	v_add_f32_e32 v89, v34, v35
	ds_read_b128 v[34:37], v224 offset:848
	buffer_load_dword v249, off, s[0:3], 0 offset:384
	buffer_load_dword v250, off, s[0:3], 0 offset:388
	;; [unrolled: 1-line block ×18, first 2 shown]
	v_mul_f32_e32 v2, v31, v104
	v_fma_f32 v2, v30, v103, -v2
	v_add_f32_e32 v1, v1, v2
	v_mul_f32_e32 v2, v33, v106
	v_fma_f32 v2, v32, v105, -v2
	v_add_f32_e32 v1, v1, v2
	;; [unrolled: 3-line block ×24, first 2 shown]
	v_mul_f32_e32 v2, v83, v145
	v_fma_f32 v2, v82, v144, -v2
	s_waitcnt vmcnt(15)
	v_mov_b32_e32 v18, v93
	v_mul_f32_e32 v91, v84, v248
	v_add_f32_e32 v88, v1, v2
	v_mul_f32_e32 v1, v85, v248
	s_waitcnt lgkmcnt(0)
	v_pk_mul_f32 v[18:19], v[36:37], v[18:19] op_sel_hi:[1,0]
	v_fmac_f32_e32 v91, v85, v247
	v_mul_f32_e32 v209, v34, v250
	v_fma_f32 v90, v84, v247, -v1
	v_mul_f32_e32 v1, v35, v250
	ds_read_b128 v[2:5], v224 offset:864
	ds_read_b128 v[6:9], v224 offset:880
	;; [unrolled: 1-line block ×3, first 2 shown]
	ds_read_b64 v[14:15], v224 offset:912
	s_waitcnt vmcnt(14)
	v_pk_fma_f32 v[20:21], v[36:37], v[92:93], v[18:19] op_sel:[0,0,1] op_sel_hi:[1,1,0] neg_lo:[0,0,1] neg_hi:[0,0,1]
	v_pk_fma_f32 v[18:19], v[36:37], v[92:93], v[18:19] op_sel:[0,0,1] op_sel_hi:[1,0,0]
	v_fmac_f32_e32 v209, v35, v249
	v_fma_f32 v208, v34, v249, -v1
	v_pk_add_f32 v[16:17], v[88:89], v[90:91]
	s_waitcnt vmcnt(13)
	v_mov_b32_e32 v18, v223
	v_pk_add_f32 v[16:17], v[16:17], v[208:209]
	v_mov_b32_e32 v21, v19
	s_waitcnt lgkmcnt(3)
	v_pk_mul_f32 v[18:19], v[2:3], v[18:19] op_sel_hi:[1,0]
	v_pk_add_f32 v[16:17], v[16:17], v[20:21]
	s_waitcnt vmcnt(12)
	v_pk_fma_f32 v[20:21], v[2:3], v[222:223], v[18:19] op_sel:[0,0,1] op_sel_hi:[1,1,0] neg_lo:[0,0,1] neg_hi:[0,0,1]
	v_pk_fma_f32 v[2:3], v[2:3], v[222:223], v[18:19] op_sel:[0,0,1] op_sel_hi:[1,0,0]
	v_mov_b32_e32 v21, v3
	v_pk_add_f32 v[2:3], v[16:17], v[20:21]
	s_waitcnt vmcnt(11)
	v_mov_b32_e32 v16, v221
	v_pk_mul_f32 v[16:17], v[4:5], v[16:17] op_sel_hi:[1,0]
	s_waitcnt vmcnt(10)
	v_pk_fma_f32 v[18:19], v[4:5], v[220:221], v[16:17] op_sel:[0,0,1] op_sel_hi:[1,1,0] neg_lo:[0,0,1] neg_hi:[0,0,1]
	v_pk_fma_f32 v[4:5], v[4:5], v[220:221], v[16:17] op_sel:[0,0,1] op_sel_hi:[1,0,0]
	s_waitcnt vmcnt(9)
	v_mov_b32_e32 v4, v219
	v_mov_b32_e32 v19, v5
	s_waitcnt lgkmcnt(2)
	v_pk_mul_f32 v[4:5], v[6:7], v[4:5] op_sel_hi:[1,0]
	s_waitcnt vmcnt(8)
	v_pk_fma_f32 v[16:17], v[6:7], v[218:219], v[4:5] op_sel:[0,0,1] op_sel_hi:[1,1,0] neg_lo:[0,0,1] neg_hi:[0,0,1]
	v_pk_fma_f32 v[4:5], v[6:7], v[218:219], v[4:5] op_sel:[0,0,1] op_sel_hi:[1,0,0]
	s_waitcnt vmcnt(7)
	v_mov_b32_e32 v4, v217
	v_mov_b32_e32 v17, v5
	v_pk_mul_f32 v[4:5], v[8:9], v[4:5] op_sel_hi:[1,0]
	s_waitcnt vmcnt(6)
	v_pk_fma_f32 v[6:7], v[8:9], v[216:217], v[4:5] op_sel:[0,0,1] op_sel_hi:[1,1,0] neg_lo:[0,0,1] neg_hi:[0,0,1]
	v_pk_fma_f32 v[4:5], v[8:9], v[216:217], v[4:5] op_sel:[0,0,1] op_sel_hi:[1,0,0]
	v_pk_add_f32 v[2:3], v[2:3], v[18:19]
	s_waitcnt vmcnt(5)
	v_mov_b32_e32 v4, v215
	v_pk_add_f32 v[2:3], v[2:3], v[16:17]
	v_mov_b32_e32 v7, v5
	s_waitcnt lgkmcnt(1)
	v_pk_mul_f32 v[4:5], v[10:11], v[4:5] op_sel_hi:[1,0]
	v_pk_add_f32 v[2:3], v[2:3], v[6:7]
	s_waitcnt vmcnt(4)
	v_pk_fma_f32 v[6:7], v[10:11], v[214:215], v[4:5] op_sel:[0,0,1] op_sel_hi:[1,1,0] neg_lo:[0,0,1] neg_hi:[0,0,1]
	v_pk_fma_f32 v[4:5], v[10:11], v[214:215], v[4:5] op_sel:[0,0,1] op_sel_hi:[1,0,0]
	s_waitcnt vmcnt(3)
	v_mov_b32_e32 v4, v213
	v_mov_b32_e32 v7, v5
	v_pk_mul_f32 v[4:5], v[12:13], v[4:5] op_sel_hi:[1,0]
	v_pk_add_f32 v[2:3], v[2:3], v[6:7]
	s_waitcnt vmcnt(2)
	v_pk_fma_f32 v[6:7], v[12:13], v[212:213], v[4:5] op_sel:[0,0,1] op_sel_hi:[1,1,0] neg_lo:[0,0,1] neg_hi:[0,0,1]
	v_pk_fma_f32 v[4:5], v[12:13], v[212:213], v[4:5] op_sel:[0,0,1] op_sel_hi:[1,0,0]
	s_waitcnt vmcnt(1)
	v_mov_b32_e32 v4, v211
	v_mov_b32_e32 v7, v5
	s_waitcnt lgkmcnt(0)
	v_pk_mul_f32 v[4:5], v[14:15], v[4:5] op_sel_hi:[1,0]
	v_pk_add_f32 v[2:3], v[2:3], v[6:7]
	s_waitcnt vmcnt(0)
	v_pk_fma_f32 v[6:7], v[14:15], v[210:211], v[4:5] op_sel:[0,0,1] op_sel_hi:[1,1,0] neg_lo:[0,0,1] neg_hi:[0,0,1]
	v_pk_fma_f32 v[4:5], v[14:15], v[210:211], v[4:5] op_sel:[0,0,1] op_sel_hi:[1,0,0]
	v_mov_b32_e32 v7, v5
	v_pk_add_f32 v[2:3], v[2:3], v[6:7]
	v_pk_add_f32 v[2:3], v[86:87], v[2:3] neg_lo:[0,1] neg_hi:[0,1]
	buffer_store_dword v3, off, s[0:3], 0 offset:60
	buffer_store_dword v2, off, s[0:3], 0 offset:56
	s_and_saveexec_b64 s[4:5], vcc
	s_cbranch_execz .LBB56_343
; %bb.342:
	buffer_load_dword v2, off, s[0:3], 0 offset:48
	buffer_load_dword v3, off, s[0:3], 0 offset:52
	s_waitcnt vmcnt(0)
	ds_write_b64 v165, v[2:3]
	buffer_store_dword v224, off, s[0:3], 0 offset:48
	buffer_store_dword v224, off, s[0:3], 0 offset:52
.LBB56_343:
	s_or_b64 exec, exec, s[4:5]
	s_waitcnt lgkmcnt(0)
	; wave barrier
	s_waitcnt lgkmcnt(0)
	buffer_load_dword v40, off, s[0:3], 0 offset:60
	buffer_load_dword v39, off, s[0:3], 0 offset:68
	;; [unrolled: 1-line block ×32, first 2 shown]
	ds_read2_b64 v[22:25], v224 offset0:65 offset1:66
	ds_read2_b64 v[18:21], v224 offset0:67 offset1:68
	;; [unrolled: 1-line block ×6, first 2 shown]
	buffer_load_dword v140, off, s[0:3], 0 offset:176
	buffer_load_dword v141, off, s[0:3], 0 offset:180
	;; [unrolled: 1-line block ×20, first 2 shown]
	v_cmp_lt_u32_e32 vcc, 5, v0
	s_waitcnt vmcnt(51) lgkmcnt(5)
	v_mul_f32_e32 v26, v22, v40
	s_waitcnt vmcnt(50)
	v_mul_f32_e32 v27, v24, v39
	s_waitcnt vmcnt(49) lgkmcnt(4)
	v_mul_f32_e32 v29, v20, v38
	s_waitcnt vmcnt(48) lgkmcnt(3)
	v_mul_f32_e32 v30, v14, v37
	s_waitcnt vmcnt(47)
	v_mul_f32_e32 v31, v16, v36
	s_waitcnt vmcnt(46) lgkmcnt(2)
	v_mul_f32_e32 v32, v10, v1
	s_waitcnt vmcnt(45)
	v_mul_f32_e32 v28, v18, v41
	s_waitcnt vmcnt(44)
	v_mul_f32_e32 v33, v12, v42
	s_waitcnt vmcnt(43) lgkmcnt(1)
	v_mul_f32_e32 v47, v6, v43
	s_waitcnt vmcnt(42)
	v_mul_f32_e32 v48, v8, v44
	s_waitcnt vmcnt(41) lgkmcnt(0)
	v_mul_f32_e32 v49, v2, v45
	s_waitcnt vmcnt(40)
	v_mul_f32_e32 v50, v4, v46
	s_waitcnt vmcnt(39)
	v_fmac_f32_e32 v28, v19, v106
	s_waitcnt vmcnt(38)
	v_fmac_f32_e32 v27, v25, v108
	;; [unrolled: 2-line block ×3, first 2 shown]
	v_add_f32_e32 v26, 0, v26
	v_add_f32_e32 v26, v26, v27
	;; [unrolled: 1-line block ×3, first 2 shown]
	s_waitcnt vmcnt(33)
	v_fmac_f32_e32 v29, v21, v128
	v_fmac_f32_e32 v30, v15, v127
	v_add_f32_e32 v26, v26, v29
	v_fmac_f32_e32 v31, v17, v126
	v_add_f32_e32 v26, v26, v30
	;; [unrolled: 2-line block ×3, first 2 shown]
	s_waitcnt vmcnt(29)
	v_fmac_f32_e32 v33, v13, v132
	v_add_f32_e32 v26, v26, v32
	v_fmac_f32_e32 v47, v7, v131
	v_add_f32_e32 v26, v26, v33
	;; [unrolled: 2-line block ×4, first 2 shown]
	v_add_f32_e32 v30, v26, v49
	ds_read2_b64 v[26:29], v224 offset0:77 offset1:78
	buffer_load_dword v222, off, s[0:3], 0 offset:256
	buffer_load_dword v223, off, s[0:3], 0 offset:260
	;; [unrolled: 1-line block ×4, first 2 shown]
	s_waitcnt vmcnt(28)
	v_fmac_f32_e32 v50, v5, v137
	v_add_f32_e32 v47, v30, v50
	ds_read2_b64 v[30:33], v224 offset0:79 offset1:80
	buffer_load_dword v227, off, s[0:3], 0 offset:272
	buffer_load_dword v228, off, s[0:3], 0 offset:276
	buffer_load_dword v229, off, s[0:3], 0 offset:280
	buffer_load_dword v230, off, s[0:3], 0 offset:284
	buffer_load_dword v231, off, s[0:3], 0 offset:288
	buffer_load_dword v232, off, s[0:3], 0 offset:292
	buffer_load_dword v233, off, s[0:3], 0 offset:296
	buffer_load_dword v234, off, s[0:3], 0 offset:300
	buffer_load_dword v235, off, s[0:3], 0 offset:304
	buffer_load_dword v236, off, s[0:3], 0 offset:308
	buffer_load_dword v237, off, s[0:3], 0 offset:312
	buffer_load_dword v238, off, s[0:3], 0 offset:316
	s_waitcnt vmcnt(39) lgkmcnt(1)
	v_mul_f32_e32 v48, v26, v138
	v_fmac_f32_e32 v48, v27, v136
	buffer_load_dword v239, off, s[0:3], 0 offset:320
	buffer_load_dword v240, off, s[0:3], 0 offset:324
	v_add_f32_e32 v47, v47, v48
	s_waitcnt vmcnt(40)
	v_mul_f32_e32 v48, v28, v139
	v_fmac_f32_e32 v48, v29, v135
	buffer_load_dword v241, off, s[0:3], 0 offset:328
	buffer_load_dword v242, off, s[0:3], 0 offset:332
	v_add_f32_e32 v47, v47, v48
	s_waitcnt lgkmcnt(0)
	v_mul_f32_e32 v48, v30, v134
	v_fmac_f32_e32 v48, v31, v133
	v_add_f32_e32 v47, v47, v48
	ds_read2_b64 v[48:51], v224 offset0:81 offset1:82
	buffer_load_dword v243, off, s[0:3], 0 offset:336
	buffer_load_dword v244, off, s[0:3], 0 offset:340
	s_waitcnt vmcnt(40)
	v_mul_f32_e32 v52, v32, v141
	v_fmac_f32_e32 v52, v33, v140
	v_add_f32_e32 v47, v47, v52
	ds_read2_b64 v[52:55], v224 offset0:83 offset1:84
	buffer_load_dword v245, off, s[0:3], 0 offset:344
	buffer_load_dword v246, off, s[0:3], 0 offset:348
	buffer_load_dword v247, off, s[0:3], 0 offset:352
	buffer_load_dword v248, off, s[0:3], 0 offset:356
	buffer_load_dword v249, off, s[0:3], 0 offset:360
	buffer_load_dword v250, off, s[0:3], 0 offset:364
	buffer_load_dword v251, off, s[0:3], 0 offset:368
	buffer_load_dword v252, off, s[0:3], 0 offset:372
	s_waitcnt vmcnt(46) lgkmcnt(1)
	v_mul_f32_e32 v56, v48, v143
	v_fmac_f32_e32 v56, v49, v142
	v_add_f32_e32 v47, v47, v56
	s_waitcnt vmcnt(44)
	v_mul_f32_e32 v56, v50, v145
	v_fmac_f32_e32 v56, v51, v144
	v_add_f32_e32 v47, v47, v56
	s_waitcnt vmcnt(42) lgkmcnt(0)
	v_mul_f32_e32 v56, v52, v209
	v_fmac_f32_e32 v56, v53, v208
	v_add_f32_e32 v47, v47, v56
	buffer_load_dword v253, off, s[0:3], 0 offset:376
	buffer_load_dword v254, off, s[0:3], 0 offset:380
	;; [unrolled: 1-line block ×4, first 2 shown]
	ds_read2_b64 v[56:59], v224 offset0:85 offset1:86
	s_waitcnt vmcnt(44)
	v_mul_f32_e32 v60, v54, v211
	v_fmac_f32_e32 v60, v55, v210
	v_add_f32_e32 v47, v47, v60
	ds_read2_b64 v[60:63], v224 offset0:87 offset1:88
	s_waitcnt vmcnt(42) lgkmcnt(1)
	v_mul_f32_e32 v64, v56, v213
	v_fmac_f32_e32 v64, v57, v212
	v_add_f32_e32 v47, v47, v64
	s_waitcnt vmcnt(40)
	v_mul_f32_e32 v64, v58, v215
	v_fmac_f32_e32 v64, v59, v214
	v_add_f32_e32 v47, v47, v64
	s_waitcnt vmcnt(38) lgkmcnt(0)
	v_mul_f32_e32 v64, v60, v217
	v_fmac_f32_e32 v64, v61, v216
	v_add_f32_e32 v47, v47, v64
	ds_read2_b64 v[64:67], v224 offset0:89 offset1:90
	s_waitcnt vmcnt(36)
	v_mul_f32_e32 v68, v62, v219
	v_fmac_f32_e32 v68, v63, v218
	v_add_f32_e32 v47, v47, v68
	ds_read2_b64 v[68:71], v224 offset0:91 offset1:92
	s_waitcnt vmcnt(34) lgkmcnt(1)
	v_mul_f32_e32 v72, v64, v221
	v_fmac_f32_e32 v72, v65, v220
	v_add_f32_e32 v47, v47, v72
	v_mul_f32_e32 v23, v23, v40
	v_fma_f32 v22, v22, v124, -v23
	v_mul_f32_e32 v23, v25, v39
	v_add_f32_e32 v22, 0, v22
	v_fma_f32 v23, v24, v108, -v23
	v_mul_f32_e32 v19, v19, v41
	v_add_f32_e32 v22, v22, v23
	;; [unrolled: 3-line block ×5, first 2 shown]
	s_waitcnt vmcnt(32)
	v_mul_f32_e32 v72, v66, v223
	v_fmac_f32_e32 v72, v67, v222
	v_add_f32_e32 v47, v47, v72
	s_waitcnt vmcnt(30) lgkmcnt(0)
	v_mul_f32_e32 v72, v68, v226
	v_fmac_f32_e32 v72, v69, v225
	v_add_f32_e32 v47, v47, v72
	ds_read2_b64 v[72:75], v224 offset0:93 offset1:94
	s_waitcnt vmcnt(28)
	v_mul_f32_e32 v76, v70, v228
	v_fmac_f32_e32 v76, v71, v227
	v_add_f32_e32 v47, v47, v76
	ds_read2_b64 v[76:79], v224 offset0:95 offset1:96
	s_waitcnt vmcnt(26) lgkmcnt(1)
	v_mul_f32_e32 v80, v72, v230
	v_fmac_f32_e32 v80, v73, v229
	v_add_f32_e32 v47, v47, v80
	s_waitcnt vmcnt(24)
	v_mul_f32_e32 v80, v74, v232
	v_fmac_f32_e32 v80, v75, v231
	v_add_f32_e32 v47, v47, v80
	s_waitcnt vmcnt(22) lgkmcnt(0)
	v_mul_f32_e32 v80, v76, v234
	v_fmac_f32_e32 v80, v77, v233
	v_add_f32_e32 v47, v47, v80
	ds_read2_b64 v[80:83], v224 offset0:97 offset1:98
	s_waitcnt vmcnt(20)
	v_mul_f32_e32 v84, v78, v236
	v_fmac_f32_e32 v84, v79, v235
	v_add_f32_e32 v47, v47, v84
	ds_read2_b64 v[84:87], v224 offset0:99 offset1:100
	s_waitcnt vmcnt(18) lgkmcnt(1)
	v_mul_f32_e32 v88, v80, v238
	v_fmac_f32_e32 v88, v81, v237
	v_add_f32_e32 v47, v47, v88
	s_waitcnt vmcnt(16)
	v_mul_f32_e32 v88, v82, v240
	v_fmac_f32_e32 v88, v83, v239
	v_add_f32_e32 v47, v47, v88
	s_waitcnt vmcnt(14) lgkmcnt(0)
	v_mul_f32_e32 v88, v84, v242
	v_fmac_f32_e32 v88, v85, v241
	v_add_f32_e32 v47, v47, v88
	ds_read2_b64 v[88:91], v224 offset0:101 offset1:102
	s_waitcnt vmcnt(12)
	v_mul_f32_e32 v92, v86, v244
	v_fmac_f32_e32 v92, v87, v243
	v_add_f32_e32 v47, v47, v92
	ds_read2_b64 v[92:95], v224 offset0:103 offset1:104
	buffer_load_dword v105, off, s[0:3], 0 offset:396
	buffer_load_dword v104, off, s[0:3], 0 offset:392
	s_waitcnt vmcnt(12) lgkmcnt(1)
	v_mul_f32_e32 v96, v88, v246
	v_fmac_f32_e32 v96, v89, v245
	v_add_f32_e32 v47, v47, v96
	s_waitcnt vmcnt(10)
	v_mul_f32_e32 v96, v90, v248
	v_fmac_f32_e32 v96, v91, v247
	v_add_f32_e32 v47, v47, v96
	s_waitcnt vmcnt(8) lgkmcnt(0)
	v_mul_f32_e32 v96, v92, v250
	v_fmac_f32_e32 v96, v93, v249
	s_waitcnt vmcnt(6)
	v_mul_f32_e32 v100, v94, v252
	v_add_f32_e32 v47, v47, v96
	v_fmac_f32_e32 v100, v95, v251
	ds_read2_b64 v[96:99], v224 offset0:105 offset1:106
	v_add_f32_e32 v47, v47, v100
	ds_read2_b64 v[100:103], v224 offset0:107 offset1:108
	buffer_load_dword v111, off, s[0:3], 0 offset:428
	buffer_load_dword v110, off, s[0:3], 0 offset:424
	;; [unrolled: 1-line block ×14, first 2 shown]
	v_fma_f32 v15, v16, v126, -v15
	v_mul_f32_e32 v1, v11, v1
	v_add_f32_e32 v14, v14, v15
	v_fma_f32 v1, v10, v125, -v1
	v_mul_f32_e32 v10, v13, v42
	v_add_f32_e32 v1, v14, v1
	;; [unrolled: 3-line block ×3, first 2 shown]
	v_fma_f32 v6, v6, v131, -v7
	v_add_f32_e32 v1, v1, v6
	v_mul_f32_e32 v6, v9, v44
	v_fma_f32 v6, v8, v130, -v6
	v_mul_f32_e32 v3, v3, v45
	v_add_f32_e32 v1, v1, v6
	v_fma_f32 v2, v2, v129, -v3
	v_add_f32_e32 v1, v1, v2
	v_mul_f32_e32 v2, v5, v46
	v_fma_f32 v2, v4, v137, -v2
	v_add_f32_e32 v1, v1, v2
	v_mul_f32_e32 v2, v27, v138
	;; [unrolled: 3-line block ×29, first 2 shown]
	v_fma_f32 v2, v94, v251, -v2
	s_waitcnt vmcnt(15)
	v_mov_b32_e32 v16, v105
	s_waitcnt lgkmcnt(1)
	v_mul_f32_e32 v107, v96, v254
	v_add_f32_e32 v46, v1, v2
	v_mul_f32_e32 v1, v97, v254
	s_waitcnt lgkmcnt(0)
	v_pk_mul_f32 v[16:17], v[100:101], v[16:17] op_sel_hi:[1,0]
	v_fmac_f32_e32 v107, v97, v253
	v_mul_f32_e32 v109, v98, v146
	v_fma_f32 v106, v96, v253, -v1
	v_mul_f32_e32 v1, v99, v146
	s_waitcnt vmcnt(14)
	v_pk_fma_f32 v[18:19], v[100:101], v[104:105], v[16:17] op_sel:[0,0,1] op_sel_hi:[1,1,0] neg_lo:[0,0,1] neg_hi:[0,0,1]
	v_pk_fma_f32 v[16:17], v[100:101], v[104:105], v[16:17] op_sel:[0,0,1] op_sel_hi:[1,0,0]
	v_fmac_f32_e32 v109, v99, v255
	v_fma_f32 v108, v98, v255, -v1
	v_pk_add_f32 v[14:15], v[46:47], v[106:107]
	s_waitcnt vmcnt(7)
	v_mov_b32_e32 v16, v117
	ds_read2_b64 v[2:5], v224 offset0:109 offset1:110
	ds_read2_b64 v[6:9], v224 offset0:111 offset1:112
	;; [unrolled: 1-line block ×3, first 2 shown]
	v_pk_add_f32 v[14:15], v[14:15], v[108:109]
	v_mov_b32_e32 v19, v17
	v_pk_mul_f32 v[16:17], v[102:103], v[16:17] op_sel_hi:[1,0]
	v_pk_add_f32 v[14:15], v[14:15], v[18:19]
	s_waitcnt vmcnt(6)
	v_pk_fma_f32 v[18:19], v[102:103], v[116:117], v[16:17] op_sel:[0,0,1] op_sel_hi:[1,1,0] neg_lo:[0,0,1] neg_hi:[0,0,1]
	v_pk_fma_f32 v[16:17], v[102:103], v[116:117], v[16:17] op_sel:[0,0,1] op_sel_hi:[1,0,0]
	v_mov_b32_e32 v16, v115
	v_mov_b32_e32 v19, v17
	s_waitcnt lgkmcnt(2)
	v_pk_mul_f32 v[16:17], v[2:3], v[16:17] op_sel_hi:[1,0]
	v_pk_add_f32 v[14:15], v[14:15], v[18:19]
	v_pk_fma_f32 v[18:19], v[2:3], v[114:115], v[16:17] op_sel:[0,0,1] op_sel_hi:[1,1,0] neg_lo:[0,0,1] neg_hi:[0,0,1]
	v_pk_fma_f32 v[2:3], v[2:3], v[114:115], v[16:17] op_sel:[0,0,1] op_sel_hi:[1,0,0]
	v_mov_b32_e32 v19, v3
	v_pk_add_f32 v[2:3], v[14:15], v[18:19]
	v_mov_b32_e32 v14, v113
	v_pk_mul_f32 v[14:15], v[4:5], v[14:15] op_sel_hi:[1,0]
	v_pk_fma_f32 v[16:17], v[4:5], v[112:113], v[14:15] op_sel:[0,0,1] op_sel_hi:[1,1,0] neg_lo:[0,0,1] neg_hi:[0,0,1]
	v_pk_fma_f32 v[4:5], v[4:5], v[112:113], v[14:15] op_sel:[0,0,1] op_sel_hi:[1,0,0]
	v_mov_b32_e32 v4, v111
	v_mov_b32_e32 v17, v5
	s_waitcnt lgkmcnt(1)
	v_pk_mul_f32 v[4:5], v[6:7], v[4:5] op_sel_hi:[1,0]
	v_pk_fma_f32 v[14:15], v[6:7], v[110:111], v[4:5] op_sel:[0,0,1] op_sel_hi:[1,1,0] neg_lo:[0,0,1] neg_hi:[0,0,1]
	v_pk_fma_f32 v[4:5], v[6:7], v[110:111], v[4:5] op_sel:[0,0,1] op_sel_hi:[1,0,0]
	s_waitcnt vmcnt(1)
	v_mov_b32_e32 v4, v123
	v_mov_b32_e32 v15, v5
	v_pk_mul_f32 v[4:5], v[8:9], v[4:5] op_sel_hi:[1,0]
	s_waitcnt vmcnt(0)
	v_pk_fma_f32 v[6:7], v[8:9], v[122:123], v[4:5] op_sel:[0,0,1] op_sel_hi:[1,1,0] neg_lo:[0,0,1] neg_hi:[0,0,1]
	v_pk_fma_f32 v[4:5], v[8:9], v[122:123], v[4:5] op_sel:[0,0,1] op_sel_hi:[1,0,0]
	v_pk_add_f32 v[2:3], v[2:3], v[16:17]
	v_mov_b32_e32 v4, v121
	v_pk_add_f32 v[2:3], v[2:3], v[14:15]
	v_mov_b32_e32 v7, v5
	s_waitcnt lgkmcnt(0)
	v_pk_mul_f32 v[4:5], v[10:11], v[4:5] op_sel_hi:[1,0]
	v_pk_add_f32 v[2:3], v[2:3], v[6:7]
	v_pk_fma_f32 v[6:7], v[10:11], v[120:121], v[4:5] op_sel:[0,0,1] op_sel_hi:[1,1,0] neg_lo:[0,0,1] neg_hi:[0,0,1]
	v_pk_fma_f32 v[4:5], v[10:11], v[120:121], v[4:5] op_sel:[0,0,1] op_sel_hi:[1,0,0]
	v_mov_b32_e32 v4, v119
	v_mov_b32_e32 v7, v5
	v_pk_mul_f32 v[4:5], v[12:13], v[4:5] op_sel_hi:[1,0]
	v_pk_add_f32 v[2:3], v[2:3], v[6:7]
	v_pk_fma_f32 v[6:7], v[12:13], v[118:119], v[4:5] op_sel:[0,0,1] op_sel_hi:[1,1,0] neg_lo:[0,0,1] neg_hi:[0,0,1]
	v_pk_fma_f32 v[4:5], v[12:13], v[118:119], v[4:5] op_sel:[0,0,1] op_sel_hi:[1,0,0]
	v_mov_b32_e32 v7, v5
	v_pk_add_f32 v[2:3], v[2:3], v[6:7]
	v_pk_add_f32 v[2:3], v[34:35], v[2:3] neg_lo:[0,1] neg_hi:[0,1]
	buffer_store_dword v3, off, s[0:3], 0 offset:52
	buffer_store_dword v2, off, s[0:3], 0 offset:48
	s_and_saveexec_b64 s[4:5], vcc
	s_cbranch_execz .LBB56_345
; %bb.344:
	buffer_load_dword v2, off, s[0:3], 0 offset:40
	buffer_load_dword v3, off, s[0:3], 0 offset:44
	v_mov_b32_e32 v1, 0
	buffer_store_dword v1, off, s[0:3], 0 offset:40
	buffer_store_dword v1, off, s[0:3], 0 offset:44
	s_waitcnt vmcnt(2)
	ds_write_b64 v165, v[2:3]
.LBB56_345:
	s_or_b64 exec, exec, s[4:5]
	s_waitcnt lgkmcnt(0)
	; wave barrier
	s_waitcnt lgkmcnt(0)
	buffer_load_dword v45, off, s[0:3], 0 offset:52
	buffer_load_dword v43, off, s[0:3], 0 offset:60
	;; [unrolled: 1-line block ×48, first 2 shown]
	v_mov_b32_e32 v44, 0
	ds_read_b128 v[22:25], v44 offset:512
	ds_read_b128 v[18:21], v44 offset:528
	;; [unrolled: 1-line block ×6, first 2 shown]
	buffer_load_dword v217, off, s[0:3], 0 offset:232
	buffer_load_dword v218, off, s[0:3], 0 offset:236
	v_cmp_lt_u32_e32 vcc, 4, v0
	s_waitcnt vmcnt(49) lgkmcnt(5)
	v_mul_f32_e32 v26, v22, v45
	s_waitcnt vmcnt(48)
	v_mul_f32_e32 v27, v24, v43
	s_waitcnt vmcnt(47) lgkmcnt(4)
	v_mul_f32_e32 v29, v20, v42
	s_waitcnt vmcnt(46) lgkmcnt(3)
	v_mul_f32_e32 v30, v14, v41
	s_waitcnt vmcnt(45)
	v_mul_f32_e32 v31, v16, v40
	s_waitcnt vmcnt(44) lgkmcnt(2)
	v_mul_f32_e32 v32, v10, v1
	s_waitcnt vmcnt(43)
	v_mul_f32_e32 v28, v18, v46
	s_waitcnt vmcnt(42)
	v_mul_f32_e32 v33, v12, v47
	s_waitcnt vmcnt(41) lgkmcnt(1)
	v_mul_f32_e32 v34, v6, v48
	s_waitcnt vmcnt(40)
	v_mul_f32_e32 v35, v8, v49
	s_waitcnt vmcnt(39) lgkmcnt(0)
	v_mul_f32_e32 v36, v2, v50
	s_waitcnt vmcnt(38)
	v_mul_f32_e32 v37, v4, v51
	s_waitcnt vmcnt(37)
	v_fmac_f32_e32 v28, v19, v57
	s_waitcnt vmcnt(36)
	v_fmac_f32_e32 v27, v25, v60
	;; [unrolled: 2-line block ×3, first 2 shown]
	v_add_f32_e32 v26, 0, v26
	v_add_f32_e32 v26, v26, v27
	;; [unrolled: 1-line block ×3, first 2 shown]
	s_waitcnt vmcnt(31)
	v_fmac_f32_e32 v29, v21, v62
	v_fmac_f32_e32 v30, v15, v59
	v_add_f32_e32 v26, v26, v29
	v_fmac_f32_e32 v31, v17, v56
	v_add_f32_e32 v26, v26, v30
	;; [unrolled: 2-line block ×3, first 2 shown]
	s_waitcnt vmcnt(27)
	v_fmac_f32_e32 v33, v13, v58
	v_add_f32_e32 v26, v26, v32
	v_fmac_f32_e32 v34, v7, v55
	v_add_f32_e32 v26, v26, v33
	;; [unrolled: 2-line block ×4, first 2 shown]
	s_waitcnt vmcnt(22)
	v_fmac_f32_e32 v37, v5, v138
	v_add_f32_e32 v26, v26, v36
	v_add_f32_e32 v34, v26, v37
	ds_read_b128 v[26:29], v44 offset:608
	buffer_load_dword v219, off, s[0:3], 0 offset:240
	buffer_load_dword v220, off, s[0:3], 0 offset:244
	ds_read_b128 v[30:33], v44 offset:624
	buffer_load_dword v221, off, s[0:3], 0 offset:248
	buffer_load_dword v222, off, s[0:3], 0 offset:252
	;; [unrolled: 1-line block ×12, first 2 shown]
	s_waitcnt vmcnt(35) lgkmcnt(1)
	v_mul_f32_e32 v35, v26, v139
	v_fmac_f32_e32 v35, v27, v137
	buffer_load_dword v233, off, s[0:3], 0 offset:296
	buffer_load_dword v234, off, s[0:3], 0 offset:300
	v_add_f32_e32 v34, v34, v35
	s_waitcnt vmcnt(36)
	v_mul_f32_e32 v35, v28, v140
	v_fmac_f32_e32 v35, v29, v136
	v_add_f32_e32 v34, v34, v35
	s_waitcnt lgkmcnt(0)
	v_mul_f32_e32 v35, v30, v118
	buffer_load_dword v235, off, s[0:3], 0 offset:304
	buffer_load_dword v236, off, s[0:3], 0 offset:308
	v_fmac_f32_e32 v35, v31, v61
	v_add_f32_e32 v63, v34, v35
	ds_read_b128 v[34:37], v44 offset:640
	buffer_load_dword v237, off, s[0:3], 0 offset:312
	buffer_load_dword v238, off, s[0:3], 0 offset:316
	;; [unrolled: 1-line block ×4, first 2 shown]
	s_waitcnt vmcnt(38)
	v_mul_f32_e32 v64, v32, v142
	v_fmac_f32_e32 v64, v33, v141
	v_add_f32_e32 v63, v63, v64
	ds_read_b128 v[64:67], v44 offset:656
	buffer_load_dword v241, off, s[0:3], 0 offset:328
	buffer_load_dword v242, off, s[0:3], 0 offset:332
	;; [unrolled: 1-line block ×10, first 2 shown]
	s_waitcnt vmcnt(46) lgkmcnt(1)
	v_mul_f32_e32 v68, v34, v144
	v_fmac_f32_e32 v68, v35, v143
	v_add_f32_e32 v63, v63, v68
	s_waitcnt vmcnt(44)
	v_mul_f32_e32 v68, v36, v146
	v_fmac_f32_e32 v68, v37, v145
	v_add_f32_e32 v63, v63, v68
	s_waitcnt vmcnt(42) lgkmcnt(0)
	v_mul_f32_e32 v68, v64, v208
	v_fmac_f32_e32 v68, v65, v147
	v_add_f32_e32 v63, v63, v68
	buffer_load_dword v251, off, s[0:3], 0 offset:368
	buffer_load_dword v252, off, s[0:3], 0 offset:372
	;; [unrolled: 1-line block ×6, first 2 shown]
	ds_read_b128 v[68:71], v44 offset:672
	s_waitcnt vmcnt(46)
	v_mul_f32_e32 v72, v66, v210
	v_fmac_f32_e32 v72, v67, v209
	v_add_f32_e32 v63, v63, v72
	ds_read_b128 v[72:75], v44 offset:688
	s_waitcnt vmcnt(44) lgkmcnt(1)
	v_mul_f32_e32 v76, v68, v212
	v_fmac_f32_e32 v76, v69, v211
	v_add_f32_e32 v63, v63, v76
	s_waitcnt vmcnt(42)
	v_mul_f32_e32 v76, v70, v214
	v_fmac_f32_e32 v76, v71, v213
	v_add_f32_e32 v63, v63, v76
	s_waitcnt vmcnt(40) lgkmcnt(0)
	v_mul_f32_e32 v76, v72, v216
	v_fmac_f32_e32 v76, v73, v215
	v_add_f32_e32 v63, v63, v76
	ds_read_b128 v[76:79], v44 offset:704
	s_waitcnt vmcnt(38)
	v_mul_f32_e32 v80, v74, v218
	v_fmac_f32_e32 v80, v75, v217
	v_add_f32_e32 v63, v63, v80
	ds_read_b128 v[80:83], v44 offset:720
	v_mul_f32_e32 v23, v23, v45
	v_fma_f32 v22, v22, v116, -v23
	v_mul_f32_e32 v23, v25, v43
	v_add_f32_e32 v22, 0, v22
	v_fma_f32 v23, v24, v60, -v23
	v_mul_f32_e32 v19, v19, v46
	v_add_f32_e32 v22, v22, v23
	v_fma_f32 v18, v18, v57, -v19
	v_mul_f32_e32 v19, v21, v42
	v_add_f32_e32 v18, v22, v18
	v_fma_f32 v19, v20, v62, -v19
	v_mul_f32_e32 v15, v15, v41
	v_add_f32_e32 v18, v18, v19
	v_fma_f32 v14, v14, v59, -v15
	v_mul_f32_e32 v15, v17, v40
	v_add_f32_e32 v14, v18, v14
	v_fma_f32 v15, v16, v56, -v15
	v_mul_f32_e32 v1, v11, v1
	v_add_f32_e32 v14, v14, v15
	v_fma_f32 v1, v10, v54, -v1
	s_waitcnt vmcnt(36) lgkmcnt(1)
	v_mul_f32_e32 v84, v76, v220
	v_fmac_f32_e32 v84, v77, v219
	v_add_f32_e32 v63, v63, v84
	s_waitcnt vmcnt(34)
	v_mul_f32_e32 v84, v78, v222
	v_fmac_f32_e32 v84, v79, v221
	v_add_f32_e32 v63, v63, v84
	s_waitcnt vmcnt(32) lgkmcnt(0)
	v_mul_f32_e32 v84, v80, v224
	v_fmac_f32_e32 v84, v81, v223
	v_add_f32_e32 v63, v63, v84
	ds_read_b128 v[84:87], v44 offset:736
	s_waitcnt vmcnt(30)
	v_mul_f32_e32 v88, v82, v226
	v_fmac_f32_e32 v88, v83, v225
	v_add_f32_e32 v63, v63, v88
	ds_read_b128 v[88:91], v44 offset:752
	s_waitcnt vmcnt(28) lgkmcnt(1)
	v_mul_f32_e32 v92, v84, v228
	v_fmac_f32_e32 v92, v85, v227
	v_add_f32_e32 v63, v63, v92
	s_waitcnt vmcnt(26)
	v_mul_f32_e32 v92, v86, v230
	v_fmac_f32_e32 v92, v87, v229
	v_add_f32_e32 v63, v63, v92
	s_waitcnt vmcnt(24) lgkmcnt(0)
	v_mul_f32_e32 v92, v88, v232
	v_fmac_f32_e32 v92, v89, v231
	v_add_f32_e32 v63, v63, v92
	ds_read_b128 v[92:95], v44 offset:768
	s_waitcnt vmcnt(22)
	v_mul_f32_e32 v96, v90, v234
	v_fmac_f32_e32 v96, v91, v233
	v_add_f32_e32 v63, v63, v96
	ds_read_b128 v[96:99], v44 offset:784
	;; [unrolled: 18-line block ×3, first 2 shown]
	s_waitcnt vmcnt(12) lgkmcnt(1)
	v_mul_f32_e32 v108, v100, v244
	v_fmac_f32_e32 v108, v101, v243
	v_add_f32_e32 v63, v63, v108
	s_waitcnt vmcnt(10)
	v_mul_f32_e32 v108, v102, v246
	v_fmac_f32_e32 v108, v103, v245
	v_add_f32_e32 v63, v63, v108
	s_waitcnt vmcnt(8) lgkmcnt(0)
	v_mul_f32_e32 v108, v104, v248
	v_fmac_f32_e32 v108, v105, v247
	s_waitcnt vmcnt(6)
	v_mul_f32_e32 v112, v106, v250
	v_add_f32_e32 v63, v63, v108
	v_fmac_f32_e32 v112, v107, v249
	ds_read_b128 v[108:111], v44 offset:832
	v_add_f32_e32 v63, v63, v112
	ds_read_b128 v[112:115], v44 offset:848
	buffer_load_dword v121, off, s[0:3], 0 offset:420
	buffer_load_dword v120, off, s[0:3], 0 offset:416
	;; [unrolled: 1-line block ×16, first 2 shown]
	v_mul_f32_e32 v10, v13, v47
	v_add_f32_e32 v1, v14, v1
	v_fma_f32 v10, v12, v58, -v10
	v_mul_f32_e32 v7, v7, v48
	v_add_f32_e32 v1, v1, v10
	v_fma_f32 v6, v6, v55, -v7
	v_add_f32_e32 v1, v1, v6
	v_mul_f32_e32 v6, v9, v49
	v_fma_f32 v6, v8, v53, -v6
	v_mul_f32_e32 v3, v3, v50
	v_add_f32_e32 v1, v1, v6
	v_fma_f32 v2, v2, v52, -v3
	v_add_f32_e32 v1, v1, v2
	v_mul_f32_e32 v2, v5, v51
	v_fma_f32 v2, v4, v138, -v2
	v_add_f32_e32 v1, v1, v2
	v_mul_f32_e32 v2, v27, v139
	;; [unrolled: 3-line block ×29, first 2 shown]
	v_fma_f32 v2, v106, v249, -v2
	s_waitcnt vmcnt(20) lgkmcnt(1)
	v_mul_f32_e32 v117, v108, v252
	v_add_f32_e32 v1, v1, v2
	v_mul_f32_e32 v2, v109, v252
	v_fmac_f32_e32 v117, v109, v251
	v_fma_f32 v2, v108, v251, -v2
	s_waitcnt vmcnt(9)
	v_mov_b32_e32 v18, v127
	v_add_f32_e32 v63, v63, v117
	v_mul_f32_e32 v117, v110, v254
	v_add_f32_e32 v62, v1, v2
	v_mul_f32_e32 v1, v111, v254
	s_waitcnt lgkmcnt(0)
	v_pk_mul_f32 v[18:19], v[114:115], v[18:19] op_sel_hi:[1,0]
	v_fmac_f32_e32 v117, v111, v253
	v_mul_f32_e32 v119, v112, v148
	v_fma_f32 v116, v110, v253, -v1
	v_mul_f32_e32 v1, v113, v148
	ds_read_b128 v[2:5], v44 offset:864
	ds_read_b128 v[6:9], v44 offset:880
	ds_read_b128 v[10:13], v44 offset:896
	ds_read_b64 v[14:15], v44 offset:912
	s_waitcnt vmcnt(8)
	v_pk_fma_f32 v[20:21], v[114:115], v[126:127], v[18:19] op_sel:[0,0,1] op_sel_hi:[1,1,0] neg_lo:[0,0,1] neg_hi:[0,0,1]
	v_pk_fma_f32 v[18:19], v[114:115], v[126:127], v[18:19] op_sel:[0,0,1] op_sel_hi:[1,0,0]
	v_fmac_f32_e32 v119, v113, v255
	v_fma_f32 v118, v112, v255, -v1
	v_pk_add_f32 v[16:17], v[62:63], v[116:117]
	v_mov_b32_e32 v18, v125
	v_pk_add_f32 v[16:17], v[16:17], v[118:119]
	v_mov_b32_e32 v21, v19
	s_waitcnt lgkmcnt(3)
	v_pk_mul_f32 v[18:19], v[2:3], v[18:19] op_sel_hi:[1,0]
	v_pk_add_f32 v[16:17], v[16:17], v[20:21]
	v_pk_fma_f32 v[20:21], v[2:3], v[124:125], v[18:19] op_sel:[0,0,1] op_sel_hi:[1,1,0] neg_lo:[0,0,1] neg_hi:[0,0,1]
	v_pk_fma_f32 v[2:3], v[2:3], v[124:125], v[18:19] op_sel:[0,0,1] op_sel_hi:[1,0,0]
	v_mov_b32_e32 v21, v3
	v_pk_add_f32 v[2:3], v[16:17], v[20:21]
	v_mov_b32_e32 v16, v123
	v_pk_mul_f32 v[16:17], v[4:5], v[16:17] op_sel_hi:[1,0]
	v_pk_fma_f32 v[18:19], v[4:5], v[122:123], v[16:17] op_sel:[0,0,1] op_sel_hi:[1,1,0] neg_lo:[0,0,1] neg_hi:[0,0,1]
	v_pk_fma_f32 v[4:5], v[4:5], v[122:123], v[16:17] op_sel:[0,0,1] op_sel_hi:[1,0,0]
	v_mov_b32_e32 v4, v121
	v_mov_b32_e32 v19, v5
	s_waitcnt lgkmcnt(2)
	v_pk_mul_f32 v[4:5], v[6:7], v[4:5] op_sel_hi:[1,0]
	v_pk_fma_f32 v[16:17], v[6:7], v[120:121], v[4:5] op_sel:[0,0,1] op_sel_hi:[1,1,0] neg_lo:[0,0,1] neg_hi:[0,0,1]
	v_pk_fma_f32 v[4:5], v[6:7], v[120:121], v[4:5] op_sel:[0,0,1] op_sel_hi:[1,0,0]
	s_waitcnt vmcnt(1)
	v_mov_b32_e32 v4, v135
	v_mov_b32_e32 v17, v5
	v_pk_mul_f32 v[4:5], v[8:9], v[4:5] op_sel_hi:[1,0]
	s_waitcnt vmcnt(0)
	v_pk_fma_f32 v[6:7], v[8:9], v[134:135], v[4:5] op_sel:[0,0,1] op_sel_hi:[1,1,0] neg_lo:[0,0,1] neg_hi:[0,0,1]
	v_pk_fma_f32 v[4:5], v[8:9], v[134:135], v[4:5] op_sel:[0,0,1] op_sel_hi:[1,0,0]
	v_pk_add_f32 v[2:3], v[2:3], v[18:19]
	v_mov_b32_e32 v4, v133
	v_pk_add_f32 v[2:3], v[2:3], v[16:17]
	v_mov_b32_e32 v7, v5
	s_waitcnt lgkmcnt(1)
	v_pk_mul_f32 v[4:5], v[10:11], v[4:5] op_sel_hi:[1,0]
	v_pk_add_f32 v[2:3], v[2:3], v[6:7]
	v_pk_fma_f32 v[6:7], v[10:11], v[132:133], v[4:5] op_sel:[0,0,1] op_sel_hi:[1,1,0] neg_lo:[0,0,1] neg_hi:[0,0,1]
	v_pk_fma_f32 v[4:5], v[10:11], v[132:133], v[4:5] op_sel:[0,0,1] op_sel_hi:[1,0,0]
	v_mov_b32_e32 v4, v131
	v_mov_b32_e32 v7, v5
	v_pk_mul_f32 v[4:5], v[12:13], v[4:5] op_sel_hi:[1,0]
	v_pk_add_f32 v[2:3], v[2:3], v[6:7]
	v_pk_fma_f32 v[6:7], v[12:13], v[130:131], v[4:5] op_sel:[0,0,1] op_sel_hi:[1,1,0] neg_lo:[0,0,1] neg_hi:[0,0,1]
	v_pk_fma_f32 v[4:5], v[12:13], v[130:131], v[4:5] op_sel:[0,0,1] op_sel_hi:[1,0,0]
	v_mov_b32_e32 v4, v129
	v_mov_b32_e32 v7, v5
	s_waitcnt lgkmcnt(0)
	v_pk_mul_f32 v[4:5], v[14:15], v[4:5] op_sel_hi:[1,0]
	v_pk_add_f32 v[2:3], v[2:3], v[6:7]
	v_pk_fma_f32 v[6:7], v[14:15], v[128:129], v[4:5] op_sel:[0,0,1] op_sel_hi:[1,1,0] neg_lo:[0,0,1] neg_hi:[0,0,1]
	v_pk_fma_f32 v[4:5], v[14:15], v[128:129], v[4:5] op_sel:[0,0,1] op_sel_hi:[1,0,0]
	v_mov_b32_e32 v7, v5
	v_pk_add_f32 v[2:3], v[2:3], v[6:7]
	v_pk_add_f32 v[2:3], v[38:39], v[2:3] neg_lo:[0,1] neg_hi:[0,1]
	buffer_store_dword v3, off, s[0:3], 0 offset:44
	buffer_store_dword v2, off, s[0:3], 0 offset:40
	s_and_saveexec_b64 s[4:5], vcc
	s_cbranch_execz .LBB56_347
; %bb.346:
	buffer_load_dword v2, off, s[0:3], 0 offset:32
	buffer_load_dword v3, off, s[0:3], 0 offset:36
	s_waitcnt vmcnt(0)
	ds_write_b64 v165, v[2:3]
	buffer_store_dword v44, off, s[0:3], 0 offset:32
	buffer_store_dword v44, off, s[0:3], 0 offset:36
.LBB56_347:
	s_or_b64 exec, exec, s[4:5]
	s_waitcnt lgkmcnt(0)
	; wave barrier
	s_waitcnt lgkmcnt(0)
	buffer_load_dword v49, off, s[0:3], 0 offset:44
	buffer_load_dword v48, off, s[0:3], 0 offset:52
	;; [unrolled: 1-line block ×32, first 2 shown]
	ds_read2_b64 v[26:29], v44 offset0:63 offset1:64
	ds_read2_b64 v[22:25], v44 offset0:65 offset1:66
	;; [unrolled: 1-line block ×4, first 2 shown]
	buffer_load_dword v141, off, s[0:3], 0 offset:160
	buffer_load_dword v142, off, s[0:3], 0 offset:164
	ds_read2_b64 v[14:17], v44 offset0:71 offset1:72
	ds_read2_b64 v[6:9], v44 offset0:73 offset1:74
	;; [unrolled: 1-line block ×3, first 2 shown]
	buffer_load_dword v143, off, s[0:3], 0 offset:168
	buffer_load_dword v144, off, s[0:3], 0 offset:172
	;; [unrolled: 1-line block ×16, first 2 shown]
	v_cmp_lt_u32_e32 vcc, 3, v0
	s_waitcnt vmcnt(49) lgkmcnt(6)
	v_mul_f32_e32 v30, v26, v49
	s_waitcnt vmcnt(48)
	v_mul_f32_e32 v31, v28, v48
	s_waitcnt vmcnt(47) lgkmcnt(5)
	v_mul_f32_e32 v33, v24, v47
	s_waitcnt vmcnt(46) lgkmcnt(4)
	v_mul_f32_e32 v34, v18, v46
	s_waitcnt vmcnt(45)
	v_mul_f32_e32 v35, v20, v1
	s_waitcnt vmcnt(44)
	v_mul_f32_e32 v32, v22, v50
	s_waitcnt vmcnt(43) lgkmcnt(3)
	v_mul_f32_e32 v36, v10, v45
	s_waitcnt vmcnt(42)
	v_mul_f32_e32 v37, v12, v51
	s_waitcnt vmcnt(41) lgkmcnt(2)
	;; [unrolled: 4-line block ×3, first 2 shown]
	v_mul_f32_e32 v40, v6, v54
	s_waitcnt vmcnt(38)
	v_mul_f32_e32 v41, v8, v55
	s_waitcnt vmcnt(37)
	v_fmac_f32_e32 v32, v23, v61
	s_waitcnt vmcnt(36)
	v_fmac_f32_e32 v31, v29, v64
	;; [unrolled: 2-line block ×3, first 2 shown]
	v_add_f32_e32 v30, 0, v30
	v_add_f32_e32 v30, v30, v31
	;; [unrolled: 1-line block ×3, first 2 shown]
	s_waitcnt vmcnt(31)
	v_fmac_f32_e32 v33, v25, v65
	v_fmac_f32_e32 v34, v19, v63
	v_add_f32_e32 v30, v30, v33
	v_fmac_f32_e32 v35, v21, v60
	v_add_f32_e32 v30, v30, v34
	;; [unrolled: 2-line block ×3, first 2 shown]
	s_waitcnt vmcnt(27)
	v_fmac_f32_e32 v37, v13, v62
	v_add_f32_e32 v30, v30, v36
	v_fmac_f32_e32 v38, v15, v59
	v_add_f32_e32 v30, v30, v37
	;; [unrolled: 2-line block ×4, first 2 shown]
	s_waitcnt vmcnt(23)
	v_fmac_f32_e32 v41, v9, v137
	v_add_f32_e32 v30, v30, v40
	v_add_f32_e32 v34, v30, v41
	ds_read2_b64 v[30:33], v44 offset0:77 offset1:78
	buffer_load_dword v217, off, s[0:3], 0 offset:232
	buffer_load_dword v218, off, s[0:3], 0 offset:236
	;; [unrolled: 1-line block ×12, first 2 shown]
	s_waitcnt vmcnt(34) lgkmcnt(1)
	v_mul_f32_e32 v35, v2, v138
	v_fmac_f32_e32 v35, v3, v136
	buffer_load_dword v229, off, s[0:3], 0 offset:280
	buffer_load_dword v230, off, s[0:3], 0 offset:284
	v_add_f32_e32 v34, v34, v35
	s_waitcnt vmcnt(35)
	v_mul_f32_e32 v35, v4, v139
	v_fmac_f32_e32 v35, v5, v124
	v_add_f32_e32 v34, v34, v35
	s_waitcnt vmcnt(34) lgkmcnt(0)
	v_mul_f32_e32 v35, v30, v140
	v_fmac_f32_e32 v35, v31, v66
	buffer_load_dword v231, off, s[0:3], 0 offset:288
	buffer_load_dword v232, off, s[0:3], 0 offset:292
	v_add_f32_e32 v34, v34, v35
	s_waitcnt vmcnt(32)
	v_mul_f32_e32 v35, v32, v142
	v_fmac_f32_e32 v35, v33, v141
	v_add_f32_e32 v67, v34, v35
	ds_read2_b64 v[34:37], v44 offset0:79 offset1:80
	buffer_load_dword v233, off, s[0:3], 0 offset:296
	buffer_load_dword v234, off, s[0:3], 0 offset:300
	ds_read2_b64 v[38:41], v44 offset0:81 offset1:82
	buffer_load_dword v235, off, s[0:3], 0 offset:304
	buffer_load_dword v236, off, s[0:3], 0 offset:308
	;; [unrolled: 1-line block ×14, first 2 shown]
	s_waitcnt vmcnt(46) lgkmcnt(1)
	v_mul_f32_e32 v68, v34, v144
	v_fmac_f32_e32 v68, v35, v143
	v_add_f32_e32 v67, v67, v68
	s_waitcnt vmcnt(44)
	v_mul_f32_e32 v68, v36, v146
	v_fmac_f32_e32 v68, v37, v145
	v_add_f32_e32 v67, v67, v68
	s_waitcnt vmcnt(42) lgkmcnt(0)
	v_mul_f32_e32 v68, v38, v148
	v_fmac_f32_e32 v68, v39, v147
	v_add_f32_e32 v67, v67, v68
	buffer_load_dword v249, off, s[0:3], 0 offset:360
	buffer_load_dword v250, off, s[0:3], 0 offset:364
	ds_read2_b64 v[68:71], v44 offset0:83 offset1:84
	s_waitcnt vmcnt(42)
	v_mul_f32_e32 v72, v40, v208
	v_fmac_f32_e32 v72, v41, v149
	buffer_load_dword v251, off, s[0:3], 0 offset:368
	buffer_load_dword v252, off, s[0:3], 0 offset:372
	v_add_f32_e32 v67, v67, v72
	buffer_load_dword v253, off, s[0:3], 0 offset:376
	buffer_load_dword v254, off, s[0:3], 0 offset:380
	ds_read2_b64 v[72:75], v44 offset0:85 offset1:86
	s_waitcnt vmcnt(44) lgkmcnt(1)
	v_mul_f32_e32 v76, v68, v210
	v_fmac_f32_e32 v76, v69, v209
	v_add_f32_e32 v67, v67, v76
	s_waitcnt vmcnt(42)
	v_mul_f32_e32 v76, v70, v212
	v_fmac_f32_e32 v76, v71, v211
	v_add_f32_e32 v67, v67, v76
	s_waitcnt vmcnt(40) lgkmcnt(0)
	v_mul_f32_e32 v76, v72, v214
	v_fmac_f32_e32 v76, v73, v213
	buffer_load_dword v255, off, s[0:3], 0 offset:384
	buffer_load_dword v150, off, s[0:3], 0 offset:388
	v_add_f32_e32 v67, v67, v76
	ds_read2_b64 v[76:79], v44 offset0:87 offset1:88
	s_waitcnt vmcnt(40)
	v_mul_f32_e32 v80, v74, v216
	v_fmac_f32_e32 v80, v75, v215
	v_add_f32_e32 v67, v67, v80
	ds_read2_b64 v[80:83], v44 offset0:89 offset1:90
	v_mul_f32_e32 v27, v27, v49
	v_fma_f32 v26, v26, v116, -v27
	v_mul_f32_e32 v27, v29, v48
	v_add_f32_e32 v26, 0, v26
	v_fma_f32 v27, v28, v64, -v27
	v_mul_f32_e32 v23, v23, v50
	v_add_f32_e32 v26, v26, v27
	;; [unrolled: 3-line block ×5, first 2 shown]
	v_fma_f32 v1, v20, v60, -v1
	v_mul_f32_e32 v11, v11, v45
	s_waitcnt vmcnt(38) lgkmcnt(1)
	v_mul_f32_e32 v84, v76, v218
	v_fmac_f32_e32 v84, v77, v217
	v_add_f32_e32 v67, v67, v84
	s_waitcnt vmcnt(36)
	v_mul_f32_e32 v84, v78, v220
	v_fmac_f32_e32 v84, v79, v219
	v_add_f32_e32 v67, v67, v84
	s_waitcnt vmcnt(34) lgkmcnt(0)
	v_mul_f32_e32 v84, v80, v222
	v_fmac_f32_e32 v84, v81, v221
	v_add_f32_e32 v67, v67, v84
	ds_read2_b64 v[84:87], v44 offset0:91 offset1:92
	s_waitcnt vmcnt(32)
	v_mul_f32_e32 v88, v82, v224
	v_fmac_f32_e32 v88, v83, v223
	v_add_f32_e32 v67, v67, v88
	ds_read2_b64 v[88:91], v44 offset0:93 offset1:94
	s_waitcnt vmcnt(30) lgkmcnt(1)
	v_mul_f32_e32 v92, v84, v226
	v_fmac_f32_e32 v92, v85, v225
	v_add_f32_e32 v67, v67, v92
	s_waitcnt vmcnt(28)
	v_mul_f32_e32 v92, v86, v228
	v_fmac_f32_e32 v92, v87, v227
	v_add_f32_e32 v67, v67, v92
	s_waitcnt vmcnt(26) lgkmcnt(0)
	v_mul_f32_e32 v92, v88, v230
	v_fmac_f32_e32 v92, v89, v229
	v_add_f32_e32 v67, v67, v92
	ds_read2_b64 v[92:95], v44 offset0:95 offset1:96
	s_waitcnt vmcnt(24)
	v_mul_f32_e32 v96, v90, v232
	v_fmac_f32_e32 v96, v91, v231
	v_add_f32_e32 v67, v67, v96
	ds_read2_b64 v[96:99], v44 offset0:97 offset1:98
	;; [unrolled: 18-line block ×3, first 2 shown]
	s_waitcnt vmcnt(14) lgkmcnt(1)
	v_mul_f32_e32 v108, v100, v242
	v_fmac_f32_e32 v108, v101, v241
	v_add_f32_e32 v67, v67, v108
	s_waitcnt vmcnt(12)
	v_mul_f32_e32 v108, v102, v244
	v_fmac_f32_e32 v108, v103, v243
	v_add_f32_e32 v67, v67, v108
	s_waitcnt vmcnt(10) lgkmcnt(0)
	v_mul_f32_e32 v108, v104, v246
	v_fmac_f32_e32 v108, v105, v245
	s_waitcnt vmcnt(8)
	v_mul_f32_e32 v112, v106, v248
	v_add_f32_e32 v67, v67, v108
	v_fmac_f32_e32 v112, v107, v247
	ds_read2_b64 v[108:111], v44 offset0:103 offset1:104
	v_add_f32_e32 v67, v67, v112
	ds_read2_b64 v[112:115], v44 offset0:105 offset1:106
	buffer_load_dword v119, off, s[0:3], 0 offset:412
	buffer_load_dword v118, off, s[0:3], 0 offset:408
	buffer_load_dword v121, off, s[0:3], 0 offset:404
	buffer_load_dword v120, off, s[0:3], 0 offset:400
	buffer_load_dword v123, off, s[0:3], 0 offset:396
	buffer_load_dword v122, off, s[0:3], 0 offset:392
	v_add_f32_e32 v1, v18, v1
	v_fma_f32 v10, v10, v58, -v11
	v_add_f32_e32 v1, v1, v10
	v_mul_f32_e32 v10, v13, v51
	v_fma_f32 v10, v12, v62, -v10
	buffer_load_dword v127, off, s[0:3], 0 offset:444
	buffer_load_dword v126, off, s[0:3], 0 offset:440
	;; [unrolled: 1-line block ×10, first 2 shown]
	v_add_f32_e32 v1, v1, v10
	v_mul_f32_e32 v10, v15, v52
	v_fma_f32 v10, v14, v59, -v10
	v_add_f32_e32 v1, v1, v10
	v_mul_f32_e32 v10, v17, v53
	v_fma_f32 v10, v16, v57, -v10
	v_mul_f32_e32 v7, v7, v54
	v_add_f32_e32 v1, v1, v10
	v_fma_f32 v6, v6, v56, -v7
	v_add_f32_e32 v1, v1, v6
	v_mul_f32_e32 v6, v9, v55
	v_fma_f32 v6, v8, v137, -v6
	v_mul_f32_e32 v3, v3, v138
	v_add_f32_e32 v1, v1, v6
	v_fma_f32 v2, v2, v136, -v3
	v_add_f32_e32 v1, v1, v2
	v_mul_f32_e32 v2, v5, v139
	v_fma_f32 v2, v4, v124, -v2
	v_add_f32_e32 v1, v1, v2
	v_mul_f32_e32 v2, v31, v140
	;; [unrolled: 3-line block ×27, first 2 shown]
	v_fma_f32 v2, v106, v247, -v2
	v_add_f32_e32 v1, v1, v2
	s_waitcnt vmcnt(22) lgkmcnt(1)
	v_mul_f32_e32 v2, v109, v250
	v_mul_f32_e32 v117, v108, v250
	v_fma_f32 v2, v108, v249, -v2
	v_fmac_f32_e32 v117, v109, v249
	v_add_f32_e32 v1, v1, v2
	s_waitcnt vmcnt(20)
	v_mul_f32_e32 v2, v111, v252
	v_add_f32_e32 v67, v67, v117
	v_mul_f32_e32 v117, v110, v252
	v_fma_f32 v2, v110, v251, -v2
	v_fmac_f32_e32 v117, v111, v251
	v_add_f32_e32 v66, v1, v2
	ds_read2_b64 v[2:5], v44 offset0:107 offset1:108
	ds_read2_b64 v[6:9], v44 offset0:109 offset1:110
	;; [unrolled: 1-line block ×4, first 2 shown]
	v_add_f32_e32 v67, v67, v117
	s_waitcnt vmcnt(18) lgkmcnt(4)
	v_mul_f32_e32 v117, v112, v254
	v_mul_f32_e32 v1, v113, v254
	s_waitcnt vmcnt(11)
	v_mov_b32_e32 v20, v123
	v_fmac_f32_e32 v117, v113, v253
	v_mul_f32_e32 v125, v114, v150
	v_fma_f32 v116, v112, v253, -v1
	v_mul_f32_e32 v1, v115, v150
	s_waitcnt lgkmcnt(3)
	v_pk_mul_f32 v[20:21], v[2:3], v[20:21] op_sel_hi:[1,0]
	v_fmac_f32_e32 v125, v115, v255
	v_fma_f32 v124, v114, v255, -v1
	v_pk_add_f32 v[18:19], v[66:67], v[116:117]
	s_waitcnt vmcnt(10)
	v_pk_fma_f32 v[22:23], v[2:3], v[122:123], v[20:21] op_sel:[0,0,1] op_sel_hi:[1,1,0] neg_lo:[0,0,1] neg_hi:[0,0,1]
	v_pk_fma_f32 v[2:3], v[2:3], v[122:123], v[20:21] op_sel:[0,0,1] op_sel_hi:[1,0,0]
	v_pk_add_f32 v[18:19], v[18:19], v[124:125]
	v_mov_b32_e32 v23, v3
	v_pk_add_f32 v[2:3], v[18:19], v[22:23]
	v_mov_b32_e32 v18, v121
	v_pk_mul_f32 v[18:19], v[4:5], v[18:19] op_sel_hi:[1,0]
	v_pk_fma_f32 v[20:21], v[4:5], v[120:121], v[18:19] op_sel:[0,0,1] op_sel_hi:[1,1,0] neg_lo:[0,0,1] neg_hi:[0,0,1]
	v_pk_fma_f32 v[4:5], v[4:5], v[120:121], v[18:19] op_sel:[0,0,1] op_sel_hi:[1,0,0]
	v_mov_b32_e32 v4, v119
	v_mov_b32_e32 v21, v5
	s_waitcnt lgkmcnt(2)
	v_pk_mul_f32 v[4:5], v[6:7], v[4:5] op_sel_hi:[1,0]
	v_pk_fma_f32 v[18:19], v[6:7], v[118:119], v[4:5] op_sel:[0,0,1] op_sel_hi:[1,1,0] neg_lo:[0,0,1] neg_hi:[0,0,1]
	v_pk_fma_f32 v[4:5], v[6:7], v[118:119], v[4:5] op_sel:[0,0,1] op_sel_hi:[1,0,0]
	s_waitcnt vmcnt(3)
	v_mov_b32_e32 v4, v133
	v_mov_b32_e32 v19, v5
	v_pk_mul_f32 v[4:5], v[8:9], v[4:5] op_sel_hi:[1,0]
	s_waitcnt vmcnt(2)
	v_pk_fma_f32 v[6:7], v[8:9], v[132:133], v[4:5] op_sel:[0,0,1] op_sel_hi:[1,1,0] neg_lo:[0,0,1] neg_hi:[0,0,1]
	v_pk_fma_f32 v[4:5], v[8:9], v[132:133], v[4:5] op_sel:[0,0,1] op_sel_hi:[1,0,0]
	v_pk_add_f32 v[2:3], v[2:3], v[20:21]
	v_mov_b32_e32 v4, v131
	v_pk_add_f32 v[2:3], v[2:3], v[18:19]
	v_mov_b32_e32 v7, v5
	s_waitcnt lgkmcnt(1)
	v_pk_mul_f32 v[4:5], v[10:11], v[4:5] op_sel_hi:[1,0]
	v_pk_add_f32 v[2:3], v[2:3], v[6:7]
	v_pk_fma_f32 v[6:7], v[10:11], v[130:131], v[4:5] op_sel:[0,0,1] op_sel_hi:[1,1,0] neg_lo:[0,0,1] neg_hi:[0,0,1]
	v_pk_fma_f32 v[4:5], v[10:11], v[130:131], v[4:5] op_sel:[0,0,1] op_sel_hi:[1,0,0]
	v_mov_b32_e32 v4, v129
	v_mov_b32_e32 v7, v5
	v_pk_mul_f32 v[4:5], v[12:13], v[4:5] op_sel_hi:[1,0]
	v_pk_add_f32 v[2:3], v[2:3], v[6:7]
	v_pk_fma_f32 v[6:7], v[12:13], v[128:129], v[4:5] op_sel:[0,0,1] op_sel_hi:[1,1,0] neg_lo:[0,0,1] neg_hi:[0,0,1]
	v_pk_fma_f32 v[4:5], v[12:13], v[128:129], v[4:5] op_sel:[0,0,1] op_sel_hi:[1,0,0]
	v_mov_b32_e32 v4, v127
	v_mov_b32_e32 v7, v5
	s_waitcnt lgkmcnt(0)
	v_pk_mul_f32 v[4:5], v[14:15], v[4:5] op_sel_hi:[1,0]
	v_pk_add_f32 v[2:3], v[2:3], v[6:7]
	v_pk_fma_f32 v[6:7], v[14:15], v[126:127], v[4:5] op_sel:[0,0,1] op_sel_hi:[1,1,0] neg_lo:[0,0,1] neg_hi:[0,0,1]
	v_pk_fma_f32 v[4:5], v[14:15], v[126:127], v[4:5] op_sel:[0,0,1] op_sel_hi:[1,0,0]
	s_waitcnt vmcnt(1)
	v_mov_b32_e32 v4, v135
	v_mov_b32_e32 v7, v5
	v_pk_mul_f32 v[4:5], v[16:17], v[4:5] op_sel_hi:[1,0]
	v_pk_add_f32 v[2:3], v[2:3], v[6:7]
	s_waitcnt vmcnt(0)
	v_pk_fma_f32 v[6:7], v[16:17], v[134:135], v[4:5] op_sel:[0,0,1] op_sel_hi:[1,1,0] neg_lo:[0,0,1] neg_hi:[0,0,1]
	v_pk_fma_f32 v[4:5], v[16:17], v[134:135], v[4:5] op_sel:[0,0,1] op_sel_hi:[1,0,0]
	v_mov_b32_e32 v7, v5
	v_pk_add_f32 v[2:3], v[2:3], v[6:7]
	v_pk_add_f32 v[2:3], v[42:43], v[2:3] neg_lo:[0,1] neg_hi:[0,1]
	buffer_store_dword v3, off, s[0:3], 0 offset:36
	buffer_store_dword v2, off, s[0:3], 0 offset:32
	s_and_saveexec_b64 s[4:5], vcc
	s_cbranch_execz .LBB56_349
; %bb.348:
	buffer_load_dword v2, off, s[0:3], 0 offset:24
	buffer_load_dword v3, off, s[0:3], 0 offset:28
	v_mov_b32_e32 v1, 0
	buffer_store_dword v1, off, s[0:3], 0 offset:24
	buffer_store_dword v1, off, s[0:3], 0 offset:28
	s_waitcnt vmcnt(2)
	ds_write_b64 v165, v[2:3]
.LBB56_349:
	s_or_b64 exec, exec, s[4:5]
	v_mov_b32_e32 v232, 0
	s_waitcnt lgkmcnt(0)
	; wave barrier
	s_waitcnt lgkmcnt(0)
	ds_read_b128 v[2:5], v232 offset:496
	buffer_load_dword v208, off, s[0:3], 0 offset:24
	buffer_load_dword v209, off, s[0:3], 0 offset:28
	;; [unrolled: 1-line block ×16, first 2 shown]
	v_cmp_lt_u32_e32 vcc, 2, v0
	s_waitcnt vmcnt(12) lgkmcnt(0)
	v_mul_f32_e32 v1, v2, v233
	v_fmac_f32_e32 v1, v3, v210
	s_waitcnt vmcnt(10)
	v_mul_f32_e32 v6, v4, v235
	v_add_f32_e32 v1, 0, v1
	v_fmac_f32_e32 v6, v5, v212
	v_add_f32_e32 v1, v1, v6
	ds_read_b128 v[6:9], v232 offset:512
	v_mul_f32_e32 v3, v3, v233
	v_fma_f32 v2, v2, v210, -v3
	v_mul_f32_e32 v3, v5, v235
	v_add_f32_e32 v2, 0, v2
	s_waitcnt vmcnt(8) lgkmcnt(0)
	v_mul_f32_e32 v10, v6, v237
	v_fmac_f32_e32 v10, v7, v216
	v_add_f32_e32 v1, v1, v10
	s_waitcnt vmcnt(6)
	v_mul_f32_e32 v10, v8, v239
	v_fmac_f32_e32 v10, v9, v234
	v_add_f32_e32 v1, v1, v10
	ds_read_b128 v[10:13], v232 offset:528
	v_fma_f32 v3, v4, v212, -v3
	v_add_f32_e32 v2, v2, v3
	v_mul_f32_e32 v3, v7, v237
	v_fma_f32 v3, v6, v216, -v3
	s_waitcnt vmcnt(4) lgkmcnt(0)
	v_mul_f32_e32 v14, v10, v241
	v_fmac_f32_e32 v14, v11, v236
	v_add_f32_e32 v1, v1, v14
	s_waitcnt vmcnt(2)
	v_mul_f32_e32 v14, v12, v242
	v_fmac_f32_e32 v14, v13, v238
	v_add_f32_e32 v1, v1, v14
	ds_read_b128 v[14:17], v232 offset:544
	buffer_load_dword v244, off, s[0:3], 0 offset:88
	buffer_load_dword v245, off, s[0:3], 0 offset:92
	v_add_f32_e32 v2, v2, v3
	v_mul_f32_e32 v3, v9, v239
	v_fma_f32 v3, v8, v234, -v3
	s_waitcnt vmcnt(2) lgkmcnt(0)
	v_mul_f32_e32 v18, v14, v243
	v_fmac_f32_e32 v18, v15, v240
	v_add_f32_e32 v1, v1, v18
	v_add_f32_e32 v2, v2, v3
	v_mul_f32_e32 v3, v11, v241
	v_fma_f32 v3, v10, v236, -v3
	v_add_f32_e32 v2, v2, v3
	v_mul_f32_e32 v3, v13, v242
	v_fma_f32 v3, v12, v238, -v3
	;; [unrolled: 3-line block ×3, first 2 shown]
	v_add_f32_e32 v2, v2, v3
	s_waitcnt vmcnt(0)
	v_mul_f32_e32 v18, v16, v245
	v_fmac_f32_e32 v18, v17, v244
	v_add_f32_e32 v1, v1, v18
	ds_read_b128 v[18:21], v232 offset:560
	buffer_load_dword v246, off, s[0:3], 0 offset:96
	buffer_load_dword v247, off, s[0:3], 0 offset:100
	;; [unrolled: 1-line block ×4, first 2 shown]
	v_mul_f32_e32 v3, v17, v245
	v_fma_f32 v3, v16, v244, -v3
	v_add_f32_e32 v2, v2, v3
	s_waitcnt vmcnt(2) lgkmcnt(0)
	v_mul_f32_e32 v22, v18, v247
	v_fmac_f32_e32 v22, v19, v246
	v_add_f32_e32 v1, v1, v22
	s_waitcnt vmcnt(0)
	v_mul_f32_e32 v22, v20, v249
	v_fmac_f32_e32 v22, v21, v248
	v_add_f32_e32 v1, v1, v22
	ds_read_b128 v[22:25], v232 offset:576
	buffer_load_dword v250, off, s[0:3], 0 offset:112
	buffer_load_dword v251, off, s[0:3], 0 offset:116
	;; [unrolled: 1-line block ×4, first 2 shown]
	v_mul_f32_e32 v3, v19, v247
	v_fma_f32 v3, v18, v246, -v3
	v_add_f32_e32 v2, v2, v3
	v_mul_f32_e32 v3, v21, v249
	v_fma_f32 v3, v20, v248, -v3
	v_add_f32_e32 v2, v2, v3
	s_waitcnt vmcnt(2) lgkmcnt(0)
	v_mul_f32_e32 v26, v22, v251
	v_fmac_f32_e32 v26, v23, v250
	v_add_f32_e32 v1, v1, v26
	s_waitcnt vmcnt(0)
	v_mul_f32_e32 v26, v24, v253
	v_fmac_f32_e32 v26, v25, v252
	v_add_f32_e32 v1, v1, v26
	ds_read_b128 v[26:29], v232 offset:592
	buffer_load_dword v254, off, s[0:3], 0 offset:128
	buffer_load_dword v255, off, s[0:3], 0 offset:132
	v_mul_f32_e32 v3, v23, v251
	v_fma_f32 v3, v22, v250, -v3
	v_add_f32_e32 v2, v2, v3
	v_mul_f32_e32 v3, v25, v253
	v_fma_f32 v3, v24, v252, -v3
	v_add_f32_e32 v2, v2, v3
	s_waitcnt vmcnt(0) lgkmcnt(0)
	v_mul_f32_e32 v30, v26, v255
	v_fmac_f32_e32 v30, v27, v254
	v_add_f32_e32 v30, v1, v30
	buffer_load_dword v1, off, s[0:3], 0 offset:136
	buffer_load_dword v94, off, s[0:3], 0 offset:140
	v_mul_f32_e32 v3, v27, v255
	v_fma_f32 v3, v26, v254, -v3
	v_add_f32_e32 v2, v2, v3
	s_waitcnt vmcnt(0)
	v_mul_f32_e32 v31, v28, v94
	v_fmac_f32_e32 v31, v29, v1
	v_add_f32_e32 v34, v30, v31
	ds_read_b128 v[30:33], v232 offset:608
	buffer_load_dword v95, off, s[0:3], 0 offset:144
	buffer_load_dword v96, off, s[0:3], 0 offset:148
	buffer_load_dword v97, off, s[0:3], 0 offset:152
	buffer_load_dword v98, off, s[0:3], 0 offset:156
	v_mul_f32_e32 v3, v29, v94
	v_fma_f32 v1, v28, v1, -v3
	v_add_f32_e32 v1, v2, v1
	s_waitcnt vmcnt(2) lgkmcnt(0)
	v_mul_f32_e32 v35, v30, v96
	v_fmac_f32_e32 v35, v31, v95
	v_add_f32_e32 v34, v34, v35
	s_waitcnt vmcnt(0)
	v_mul_f32_e32 v35, v32, v98
	v_fmac_f32_e32 v35, v33, v97
	v_add_f32_e32 v38, v34, v35
	ds_read_b128 v[34:37], v232 offset:624
	buffer_load_dword v99, off, s[0:3], 0 offset:160
	buffer_load_dword v100, off, s[0:3], 0 offset:164
	;; [unrolled: 1-line block ×4, first 2 shown]
	v_mul_f32_e32 v2, v31, v96
	v_fma_f32 v2, v30, v95, -v2
	v_add_f32_e32 v1, v1, v2
	v_mul_f32_e32 v2, v33, v98
	v_fma_f32 v2, v32, v97, -v2
	v_add_f32_e32 v1, v1, v2
	s_waitcnt vmcnt(2) lgkmcnt(0)
	v_mul_f32_e32 v39, v34, v100
	v_fmac_f32_e32 v39, v35, v99
	v_add_f32_e32 v38, v38, v39
	s_waitcnt vmcnt(0)
	v_mul_f32_e32 v39, v36, v102
	v_fmac_f32_e32 v39, v37, v101
	v_add_f32_e32 v42, v38, v39
	ds_read_b128 v[38:41], v232 offset:640
	buffer_load_dword v103, off, s[0:3], 0 offset:176
	buffer_load_dword v104, off, s[0:3], 0 offset:180
	buffer_load_dword v105, off, s[0:3], 0 offset:184
	buffer_load_dword v106, off, s[0:3], 0 offset:188
	ds_read_b128 v[46:49], v232 offset:656
	buffer_load_dword v107, off, s[0:3], 0 offset:192
	buffer_load_dword v108, off, s[0:3], 0 offset:196
	buffer_load_dword v109, off, s[0:3], 0 offset:200
	buffer_load_dword v110, off, s[0:3], 0 offset:204
	;; [unrolled: 5-line block ×13, first 2 shown]
	v_mul_f32_e32 v2, v35, v100
	v_fma_f32 v2, v34, v99, -v2
	v_add_f32_e32 v1, v1, v2
	v_mul_f32_e32 v2, v37, v102
	v_fma_f32 v2, v36, v101, -v2
	v_add_f32_e32 v1, v1, v2
	s_waitcnt vmcnt(50) lgkmcnt(12)
	v_mul_f32_e32 v43, v38, v104
	v_fmac_f32_e32 v43, v39, v103
	v_add_f32_e32 v42, v42, v43
	s_waitcnt vmcnt(48)
	v_mul_f32_e32 v43, v40, v106
	v_fmac_f32_e32 v43, v41, v105
	v_add_f32_e32 v42, v42, v43
	s_waitcnt vmcnt(46) lgkmcnt(11)
	v_mul_f32_e32 v43, v46, v108
	v_fmac_f32_e32 v43, v47, v107
	v_add_f32_e32 v42, v42, v43
	s_waitcnt vmcnt(44)
	v_mul_f32_e32 v43, v48, v110
	v_fmac_f32_e32 v43, v49, v109
	;; [unrolled: 8-line block ×12, first 2 shown]
	v_add_f32_e32 v42, v42, v43
	s_waitcnt vmcnt(2) lgkmcnt(0)
	v_mul_f32_e32 v43, v90, v152
	v_fmac_f32_e32 v43, v91, v151
	v_add_f32_e32 v211, v42, v43
	ds_read_b128 v[42:45], v232 offset:848
	buffer_load_dword v155, off, s[0:3], 0 offset:384
	buffer_load_dword v156, off, s[0:3], 0 offset:388
	;; [unrolled: 1-line block ×18, first 2 shown]
	v_mul_f32_e32 v2, v39, v104
	v_fma_f32 v2, v38, v103, -v2
	v_add_f32_e32 v1, v1, v2
	v_mul_f32_e32 v2, v41, v106
	v_fma_f32 v2, v40, v105, -v2
	v_add_f32_e32 v1, v1, v2
	;; [unrolled: 3-line block ×24, first 2 shown]
	v_mul_f32_e32 v2, v91, v152
	v_fma_f32 v2, v90, v151, -v2
	s_waitcnt vmcnt(15)
	v_mov_b32_e32 v18, v215
	v_mul_f32_e32 v213, v92, v154
	v_add_f32_e32 v210, v1, v2
	v_mul_f32_e32 v1, v93, v154
	s_waitcnt lgkmcnt(0)
	v_pk_mul_f32 v[18:19], v[44:45], v[18:19] op_sel_hi:[1,0]
	v_fmac_f32_e32 v213, v93, v153
	v_mul_f32_e32 v217, v42, v156
	v_fma_f32 v212, v92, v153, -v1
	v_mul_f32_e32 v1, v43, v156
	ds_read_b128 v[2:5], v232 offset:864
	ds_read_b128 v[6:9], v232 offset:880
	;; [unrolled: 1-line block ×3, first 2 shown]
	ds_read_b64 v[14:15], v232 offset:912
	s_waitcnt vmcnt(14)
	v_pk_fma_f32 v[20:21], v[44:45], v[214:215], v[18:19] op_sel:[0,0,1] op_sel_hi:[1,1,0] neg_lo:[0,0,1] neg_hi:[0,0,1]
	v_pk_fma_f32 v[18:19], v[44:45], v[214:215], v[18:19] op_sel:[0,0,1] op_sel_hi:[1,0,0]
	v_fmac_f32_e32 v217, v43, v155
	v_fma_f32 v216, v42, v155, -v1
	v_pk_add_f32 v[16:17], v[210:211], v[212:213]
	s_waitcnt vmcnt(13)
	v_mov_b32_e32 v18, v231
	v_pk_add_f32 v[16:17], v[16:17], v[216:217]
	v_mov_b32_e32 v21, v19
	s_waitcnt lgkmcnt(3)
	v_pk_mul_f32 v[18:19], v[2:3], v[18:19] op_sel_hi:[1,0]
	v_pk_add_f32 v[16:17], v[16:17], v[20:21]
	s_waitcnt vmcnt(12)
	v_pk_fma_f32 v[20:21], v[2:3], v[230:231], v[18:19] op_sel:[0,0,1] op_sel_hi:[1,1,0] neg_lo:[0,0,1] neg_hi:[0,0,1]
	v_pk_fma_f32 v[2:3], v[2:3], v[230:231], v[18:19] op_sel:[0,0,1] op_sel_hi:[1,0,0]
	v_mov_b32_e32 v21, v3
	v_pk_add_f32 v[2:3], v[16:17], v[20:21]
	s_waitcnt vmcnt(11)
	v_mov_b32_e32 v16, v229
	v_pk_mul_f32 v[16:17], v[4:5], v[16:17] op_sel_hi:[1,0]
	s_waitcnt vmcnt(10)
	v_pk_fma_f32 v[18:19], v[4:5], v[228:229], v[16:17] op_sel:[0,0,1] op_sel_hi:[1,1,0] neg_lo:[0,0,1] neg_hi:[0,0,1]
	v_pk_fma_f32 v[4:5], v[4:5], v[228:229], v[16:17] op_sel:[0,0,1] op_sel_hi:[1,0,0]
	s_waitcnt vmcnt(9)
	v_mov_b32_e32 v4, v227
	v_mov_b32_e32 v19, v5
	s_waitcnt lgkmcnt(2)
	v_pk_mul_f32 v[4:5], v[6:7], v[4:5] op_sel_hi:[1,0]
	s_waitcnt vmcnt(8)
	v_pk_fma_f32 v[16:17], v[6:7], v[226:227], v[4:5] op_sel:[0,0,1] op_sel_hi:[1,1,0] neg_lo:[0,0,1] neg_hi:[0,0,1]
	v_pk_fma_f32 v[4:5], v[6:7], v[226:227], v[4:5] op_sel:[0,0,1] op_sel_hi:[1,0,0]
	s_waitcnt vmcnt(7)
	v_mov_b32_e32 v4, v225
	v_mov_b32_e32 v17, v5
	v_pk_mul_f32 v[4:5], v[8:9], v[4:5] op_sel_hi:[1,0]
	s_waitcnt vmcnt(6)
	v_pk_fma_f32 v[6:7], v[8:9], v[224:225], v[4:5] op_sel:[0,0,1] op_sel_hi:[1,1,0] neg_lo:[0,0,1] neg_hi:[0,0,1]
	v_pk_fma_f32 v[4:5], v[8:9], v[224:225], v[4:5] op_sel:[0,0,1] op_sel_hi:[1,0,0]
	v_pk_add_f32 v[2:3], v[2:3], v[18:19]
	s_waitcnt vmcnt(5)
	v_mov_b32_e32 v4, v223
	v_pk_add_f32 v[2:3], v[2:3], v[16:17]
	v_mov_b32_e32 v7, v5
	s_waitcnt lgkmcnt(1)
	v_pk_mul_f32 v[4:5], v[10:11], v[4:5] op_sel_hi:[1,0]
	v_pk_add_f32 v[2:3], v[2:3], v[6:7]
	s_waitcnt vmcnt(4)
	v_pk_fma_f32 v[6:7], v[10:11], v[222:223], v[4:5] op_sel:[0,0,1] op_sel_hi:[1,1,0] neg_lo:[0,0,1] neg_hi:[0,0,1]
	v_pk_fma_f32 v[4:5], v[10:11], v[222:223], v[4:5] op_sel:[0,0,1] op_sel_hi:[1,0,0]
	s_waitcnt vmcnt(3)
	v_mov_b32_e32 v4, v221
	v_mov_b32_e32 v7, v5
	v_pk_mul_f32 v[4:5], v[12:13], v[4:5] op_sel_hi:[1,0]
	v_pk_add_f32 v[2:3], v[2:3], v[6:7]
	s_waitcnt vmcnt(2)
	v_pk_fma_f32 v[6:7], v[12:13], v[220:221], v[4:5] op_sel:[0,0,1] op_sel_hi:[1,1,0] neg_lo:[0,0,1] neg_hi:[0,0,1]
	v_pk_fma_f32 v[4:5], v[12:13], v[220:221], v[4:5] op_sel:[0,0,1] op_sel_hi:[1,0,0]
	s_waitcnt vmcnt(1)
	v_mov_b32_e32 v4, v219
	v_mov_b32_e32 v7, v5
	s_waitcnt lgkmcnt(0)
	v_pk_mul_f32 v[4:5], v[14:15], v[4:5] op_sel_hi:[1,0]
	v_pk_add_f32 v[2:3], v[2:3], v[6:7]
	s_waitcnt vmcnt(0)
	v_pk_fma_f32 v[6:7], v[14:15], v[218:219], v[4:5] op_sel:[0,0,1] op_sel_hi:[1,1,0] neg_lo:[0,0,1] neg_hi:[0,0,1]
	v_pk_fma_f32 v[4:5], v[14:15], v[218:219], v[4:5] op_sel:[0,0,1] op_sel_hi:[1,0,0]
	v_mov_b32_e32 v7, v5
	v_pk_add_f32 v[2:3], v[2:3], v[6:7]
	v_pk_add_f32 v[2:3], v[208:209], v[2:3] neg_lo:[0,1] neg_hi:[0,1]
	buffer_store_dword v3, off, s[0:3], 0 offset:28
	buffer_store_dword v2, off, s[0:3], 0 offset:24
	s_and_saveexec_b64 s[4:5], vcc
	s_cbranch_execz .LBB56_351
; %bb.350:
	buffer_load_dword v2, off, s[0:3], 0 offset:16
	buffer_load_dword v3, off, s[0:3], 0 offset:20
	s_waitcnt vmcnt(0)
	ds_write_b64 v165, v[2:3]
	buffer_store_dword v232, off, s[0:3], 0 offset:16
	buffer_store_dword v232, off, s[0:3], 0 offset:20
.LBB56_351:
	s_or_b64 exec, exec, s[4:5]
	s_waitcnt lgkmcnt(0)
	; wave barrier
	s_waitcnt lgkmcnt(0)
	buffer_load_dword v48, off, s[0:3], 0 offset:28
	buffer_load_dword v47, off, s[0:3], 0 offset:36
	;; [unrolled: 1-line block ×34, first 2 shown]
	ds_read2_b64 v[30:33], v232 offset0:61 offset1:62
	ds_read2_b64 v[26:29], v232 offset0:63 offset1:64
	;; [unrolled: 1-line block ×6, first 2 shown]
	buffer_load_dword v150, off, s[0:3], 0 offset:152
	buffer_load_dword v151, off, s[0:3], 0 offset:156
	ds_read2_b64 v[10:13], v232 offset0:73 offset1:74
	ds_read2_b64 v[2:5], v232 offset0:75 offset1:76
	buffer_load_dword v152, off, s[0:3], 0 offset:160
	buffer_load_dword v153, off, s[0:3], 0 offset:164
	;; [unrolled: 1-line block ×24, first 2 shown]
	v_cmp_lt_u32_e32 vcc, 1, v0
	s_waitcnt vmcnt(59) lgkmcnt(7)
	v_mul_f32_e32 v34, v30, v48
	s_waitcnt vmcnt(58)
	v_mul_f32_e32 v35, v32, v47
	s_waitcnt vmcnt(57) lgkmcnt(6)
	v_mul_f32_e32 v37, v28, v46
	s_waitcnt vmcnt(56) lgkmcnt(5)
	v_mul_f32_e32 v38, v22, v45
	s_waitcnt vmcnt(55)
	v_mul_f32_e32 v39, v24, v1
	s_waitcnt vmcnt(54)
	v_mul_f32_e32 v36, v26, v49
	s_waitcnt vmcnt(53) lgkmcnt(4)
	v_mul_f32_e32 v40, v18, v44
	s_waitcnt vmcnt(52)
	v_mul_f32_e32 v41, v20, v108
	s_waitcnt vmcnt(51) lgkmcnt(3)
	;; [unrolled: 4-line block ×3, first 2 shown]
	v_mul_f32_e32 v52, v6, v128
	s_waitcnt vmcnt(48)
	v_mul_f32_e32 v53, v8, v129
	s_waitcnt vmcnt(47)
	v_fmac_f32_e32 v36, v27, v130
	s_waitcnt vmcnt(46)
	v_fmac_f32_e32 v35, v33, v131
	;; [unrolled: 2-line block ×3, first 2 shown]
	v_add_f32_e32 v34, 0, v34
	v_add_f32_e32 v34, v34, v35
	;; [unrolled: 1-line block ×3, first 2 shown]
	s_waitcnt vmcnt(41)
	v_fmac_f32_e32 v37, v29, v136
	v_fmac_f32_e32 v38, v23, v135
	v_add_f32_e32 v34, v34, v37
	v_fmac_f32_e32 v39, v25, v134
	v_add_f32_e32 v34, v34, v38
	;; [unrolled: 2-line block ×3, first 2 shown]
	s_waitcnt vmcnt(37)
	v_fmac_f32_e32 v41, v21, v140
	v_add_f32_e32 v34, v34, v40
	v_fmac_f32_e32 v50, v15, v139
	v_add_f32_e32 v34, v34, v41
	v_fmac_f32_e32 v51, v17, v138
	v_add_f32_e32 v34, v34, v50
	v_fmac_f32_e32 v52, v7, v137
	v_add_f32_e32 v34, v34, v51
	s_waitcnt vmcnt(33)
	v_fmac_f32_e32 v53, v9, v144
	v_add_f32_e32 v34, v34, v52
	s_waitcnt vmcnt(32) lgkmcnt(1)
	v_mul_f32_e32 v35, v10, v145
	v_add_f32_e32 v34, v34, v53
	v_fmac_f32_e32 v35, v11, v143
	v_add_f32_e32 v34, v34, v35
	s_waitcnt vmcnt(31)
	v_mul_f32_e32 v35, v12, v146
	v_fmac_f32_e32 v35, v13, v142
	v_add_f32_e32 v34, v34, v35
	s_waitcnt vmcnt(30) lgkmcnt(0)
	v_mul_f32_e32 v35, v2, v147
	v_fmac_f32_e32 v35, v3, v141
	v_add_f32_e32 v38, v34, v35
	ds_read2_b64 v[34:37], v232 offset0:77 offset1:78
	buffer_load_dword v226, off, s[0:3], 0 offset:256
	buffer_load_dword v227, off, s[0:3], 0 offset:260
	;; [unrolled: 1-line block ×4, first 2 shown]
	s_waitcnt vmcnt(32)
	v_mul_f32_e32 v39, v4, v149
	v_fmac_f32_e32 v39, v5, v148
	v_add_f32_e32 v50, v38, v39
	ds_read2_b64 v[38:41], v232 offset0:79 offset1:80
	buffer_load_dword v230, off, s[0:3], 0 offset:272
	buffer_load_dword v231, off, s[0:3], 0 offset:276
	;; [unrolled: 1-line block ×12, first 2 shown]
	s_waitcnt vmcnt(40) lgkmcnt(1)
	v_mul_f32_e32 v51, v34, v151
	v_fmac_f32_e32 v51, v35, v150
	buffer_load_dword v243, off, s[0:3], 0 offset:320
	buffer_load_dword v244, off, s[0:3], 0 offset:324
	v_add_f32_e32 v50, v50, v51
	s_waitcnt vmcnt(40)
	v_mul_f32_e32 v51, v36, v153
	v_fmac_f32_e32 v51, v37, v152
	buffer_load_dword v245, off, s[0:3], 0 offset:328
	buffer_load_dword v246, off, s[0:3], 0 offset:332
	v_add_f32_e32 v50, v50, v51
	s_waitcnt vmcnt(40) lgkmcnt(0)
	v_mul_f32_e32 v51, v38, v155
	v_fmac_f32_e32 v51, v39, v154
	v_add_f32_e32 v54, v50, v51
	ds_read2_b64 v[50:53], v232 offset0:81 offset1:82
	buffer_load_dword v247, off, s[0:3], 0 offset:336
	buffer_load_dword v248, off, s[0:3], 0 offset:340
	s_waitcnt vmcnt(40)
	v_mul_f32_e32 v55, v40, v157
	v_fmac_f32_e32 v55, v41, v156
	v_add_f32_e32 v58, v54, v55
	ds_read2_b64 v[54:57], v232 offset0:83 offset1:84
	buffer_load_dword v249, off, s[0:3], 0 offset:344
	buffer_load_dword v250, off, s[0:3], 0 offset:348
	;; [unrolled: 1-line block ×8, first 2 shown]
	s_waitcnt vmcnt(46) lgkmcnt(1)
	v_mul_f32_e32 v59, v50, v209
	v_fmac_f32_e32 v59, v51, v208
	v_add_f32_e32 v58, v58, v59
	s_waitcnt vmcnt(44)
	v_mul_f32_e32 v59, v52, v211
	v_fmac_f32_e32 v59, v53, v210
	v_add_f32_e32 v58, v58, v59
	s_waitcnt vmcnt(42) lgkmcnt(0)
	v_mul_f32_e32 v59, v54, v213
	v_fmac_f32_e32 v59, v55, v212
	v_add_f32_e32 v62, v58, v59
	buffer_load_dword v159, off, s[0:3], 0 offset:376
	buffer_load_dword v160, off, s[0:3], 0 offset:380
	;; [unrolled: 1-line block ×4, first 2 shown]
	ds_read2_b64 v[58:61], v232 offset0:85 offset1:86
	s_waitcnt vmcnt(44)
	v_mul_f32_e32 v63, v56, v215
	v_fmac_f32_e32 v63, v57, v214
	v_add_f32_e32 v66, v62, v63
	ds_read2_b64 v[62:65], v232 offset0:87 offset1:88
	s_waitcnt vmcnt(42) lgkmcnt(1)
	v_mul_f32_e32 v67, v58, v217
	v_fmac_f32_e32 v67, v59, v216
	v_add_f32_e32 v66, v66, v67
	s_waitcnt vmcnt(40)
	v_mul_f32_e32 v67, v60, v219
	v_fmac_f32_e32 v67, v61, v218
	v_add_f32_e32 v66, v66, v67
	s_waitcnt vmcnt(38) lgkmcnt(0)
	v_mul_f32_e32 v67, v62, v221
	v_fmac_f32_e32 v67, v63, v220
	v_add_f32_e32 v70, v66, v67
	ds_read2_b64 v[66:69], v232 offset0:89 offset1:90
	s_waitcnt vmcnt(36)
	v_mul_f32_e32 v71, v64, v223
	v_fmac_f32_e32 v71, v65, v222
	v_add_f32_e32 v74, v70, v71
	ds_read2_b64 v[70:73], v232 offset0:91 offset1:92
	s_waitcnt vmcnt(34) lgkmcnt(1)
	v_mul_f32_e32 v75, v66, v225
	v_fmac_f32_e32 v75, v67, v224
	v_add_f32_e32 v74, v74, v75
	v_mul_f32_e32 v31, v31, v48
	v_fma_f32 v30, v30, v132, -v31
	v_mul_f32_e32 v31, v33, v47
	v_add_f32_e32 v30, 0, v30
	v_fma_f32 v31, v32, v131, -v31
	v_mul_f32_e32 v27, v27, v49
	v_add_f32_e32 v30, v30, v31
	;; [unrolled: 3-line block ×4, first 2 shown]
	v_fma_f32 v22, v22, v135, -v23
	v_mul_f32_e32 v1, v25, v1
	s_waitcnt vmcnt(32)
	v_mul_f32_e32 v75, v68, v227
	v_fmac_f32_e32 v75, v69, v226
	v_add_f32_e32 v74, v74, v75
	s_waitcnt vmcnt(30) lgkmcnt(0)
	v_mul_f32_e32 v75, v70, v229
	v_fmac_f32_e32 v75, v71, v228
	v_add_f32_e32 v78, v74, v75
	ds_read2_b64 v[74:77], v232 offset0:93 offset1:94
	s_waitcnt vmcnt(28)
	v_mul_f32_e32 v79, v72, v231
	v_fmac_f32_e32 v79, v73, v230
	v_add_f32_e32 v82, v78, v79
	ds_read2_b64 v[78:81], v232 offset0:95 offset1:96
	s_waitcnt vmcnt(26) lgkmcnt(1)
	v_mul_f32_e32 v83, v74, v234
	v_fmac_f32_e32 v83, v75, v233
	v_add_f32_e32 v82, v82, v83
	s_waitcnt vmcnt(24)
	v_mul_f32_e32 v83, v76, v236
	v_fmac_f32_e32 v83, v77, v235
	v_add_f32_e32 v82, v82, v83
	s_waitcnt vmcnt(22) lgkmcnt(0)
	v_mul_f32_e32 v83, v78, v238
	v_fmac_f32_e32 v83, v79, v237
	v_add_f32_e32 v86, v82, v83
	ds_read2_b64 v[82:85], v232 offset0:97 offset1:98
	s_waitcnt vmcnt(20)
	v_mul_f32_e32 v87, v80, v240
	v_fmac_f32_e32 v87, v81, v239
	v_add_f32_e32 v90, v86, v87
	ds_read2_b64 v[86:89], v232 offset0:99 offset1:100
	s_waitcnt vmcnt(18) lgkmcnt(1)
	v_mul_f32_e32 v91, v82, v242
	v_fmac_f32_e32 v91, v83, v241
	v_add_f32_e32 v90, v90, v91
	s_waitcnt vmcnt(16)
	v_mul_f32_e32 v91, v84, v244
	v_fmac_f32_e32 v91, v85, v243
	v_add_f32_e32 v90, v90, v91
	s_waitcnt vmcnt(14) lgkmcnt(0)
	v_mul_f32_e32 v91, v86, v246
	v_fmac_f32_e32 v91, v87, v245
	v_add_f32_e32 v94, v90, v91
	ds_read2_b64 v[90:93], v232 offset0:101 offset1:102
	s_waitcnt vmcnt(12)
	v_mul_f32_e32 v95, v88, v248
	v_fmac_f32_e32 v95, v89, v247
	v_add_f32_e32 v98, v94, v95
	ds_read2_b64 v[94:97], v232 offset0:103 offset1:104
	buffer_load_dword v107, off, s[0:3], 0 offset:396
	buffer_load_dword v106, off, s[0:3], 0 offset:392
	s_waitcnt vmcnt(12) lgkmcnt(1)
	v_mul_f32_e32 v99, v90, v250
	v_fmac_f32_e32 v99, v91, v249
	v_add_f32_e32 v98, v98, v99
	s_waitcnt vmcnt(10)
	v_mul_f32_e32 v99, v92, v252
	v_fmac_f32_e32 v99, v93, v251
	v_add_f32_e32 v98, v98, v99
	s_waitcnt vmcnt(8) lgkmcnt(0)
	v_mul_f32_e32 v99, v94, v254
	v_fmac_f32_e32 v99, v95, v253
	s_waitcnt vmcnt(6)
	v_mul_f32_e32 v103, v96, v158
	v_add_f32_e32 v22, v26, v22
	v_fma_f32 v1, v24, v134, -v1
	v_mul_f32_e32 v19, v19, v44
	v_add_f32_e32 v102, v98, v99
	v_fmac_f32_e32 v103, v97, v255
	v_add_f32_e32 v1, v22, v1
	v_fma_f32 v18, v18, v133, -v19
	ds_read2_b64 v[98:101], v232 offset0:105 offset1:106
	v_add_f32_e32 v109, v102, v103
	ds_read2_b64 v[102:105], v232 offset0:107 offset1:108
	buffer_load_dword v115, off, s[0:3], 0 offset:428
	buffer_load_dword v114, off, s[0:3], 0 offset:424
	;; [unrolled: 1-line block ×14, first 2 shown]
	v_add_f32_e32 v1, v1, v18
	v_mul_f32_e32 v18, v21, v108
	v_fma_f32 v18, v20, v140, -v18
	v_mul_f32_e32 v15, v15, v110
	v_add_f32_e32 v1, v1, v18
	v_fma_f32 v14, v14, v139, -v15
	v_add_f32_e32 v1, v1, v14
	v_mul_f32_e32 v14, v17, v112
	v_fma_f32 v14, v16, v138, -v14
	v_mul_f32_e32 v7, v7, v128
	v_add_f32_e32 v1, v1, v14
	v_fma_f32 v6, v6, v137, -v7
	v_add_f32_e32 v1, v1, v6
	v_mul_f32_e32 v6, v9, v129
	v_fma_f32 v6, v8, v144, -v6
	v_add_f32_e32 v1, v1, v6
	v_mul_f32_e32 v6, v11, v145
	;; [unrolled: 3-line block ×3, first 2 shown]
	v_fma_f32 v6, v12, v142, -v6
	v_mul_f32_e32 v3, v3, v147
	v_add_f32_e32 v1, v1, v6
	v_fma_f32 v2, v2, v141, -v3
	v_add_f32_e32 v1, v1, v2
	v_mul_f32_e32 v2, v5, v149
	v_fma_f32 v2, v4, v148, -v2
	v_add_f32_e32 v1, v1, v2
	v_mul_f32_e32 v2, v35, v151
	;; [unrolled: 3-line block ×29, first 2 shown]
	v_fma_f32 v2, v96, v255, -v2
	s_waitcnt vmcnt(15)
	v_mov_b32_e32 v16, v107
	s_waitcnt lgkmcnt(1)
	v_mul_f32_e32 v111, v98, v160
	v_add_f32_e32 v108, v1, v2
	v_mul_f32_e32 v1, v99, v160
	s_waitcnt lgkmcnt(0)
	v_pk_mul_f32 v[16:17], v[102:103], v[16:17] op_sel_hi:[1,0]
	v_fmac_f32_e32 v111, v99, v159
	v_mul_f32_e32 v113, v100, v162
	v_fma_f32 v110, v98, v159, -v1
	v_mul_f32_e32 v1, v101, v162
	s_waitcnt vmcnt(14)
	v_pk_fma_f32 v[18:19], v[102:103], v[106:107], v[16:17] op_sel:[0,0,1] op_sel_hi:[1,1,0] neg_lo:[0,0,1] neg_hi:[0,0,1]
	v_pk_fma_f32 v[16:17], v[102:103], v[106:107], v[16:17] op_sel:[0,0,1] op_sel_hi:[1,0,0]
	v_fmac_f32_e32 v113, v101, v161
	v_fma_f32 v112, v100, v161, -v1
	v_pk_add_f32 v[14:15], v[108:109], v[110:111]
	s_waitcnt vmcnt(7)
	v_mov_b32_e32 v16, v121
	ds_read2_b64 v[2:5], v232 offset0:109 offset1:110
	ds_read2_b64 v[6:9], v232 offset0:111 offset1:112
	;; [unrolled: 1-line block ×3, first 2 shown]
	v_pk_add_f32 v[14:15], v[14:15], v[112:113]
	v_mov_b32_e32 v19, v17
	v_pk_mul_f32 v[16:17], v[104:105], v[16:17] op_sel_hi:[1,0]
	v_pk_add_f32 v[14:15], v[14:15], v[18:19]
	s_waitcnt vmcnt(6)
	v_pk_fma_f32 v[18:19], v[104:105], v[120:121], v[16:17] op_sel:[0,0,1] op_sel_hi:[1,1,0] neg_lo:[0,0,1] neg_hi:[0,0,1]
	v_pk_fma_f32 v[16:17], v[104:105], v[120:121], v[16:17] op_sel:[0,0,1] op_sel_hi:[1,0,0]
	v_mov_b32_e32 v16, v119
	v_mov_b32_e32 v19, v17
	s_waitcnt lgkmcnt(2)
	v_pk_mul_f32 v[16:17], v[2:3], v[16:17] op_sel_hi:[1,0]
	v_pk_add_f32 v[14:15], v[14:15], v[18:19]
	v_pk_fma_f32 v[18:19], v[2:3], v[118:119], v[16:17] op_sel:[0,0,1] op_sel_hi:[1,1,0] neg_lo:[0,0,1] neg_hi:[0,0,1]
	v_pk_fma_f32 v[2:3], v[2:3], v[118:119], v[16:17] op_sel:[0,0,1] op_sel_hi:[1,0,0]
	v_mov_b32_e32 v19, v3
	v_pk_add_f32 v[2:3], v[14:15], v[18:19]
	v_mov_b32_e32 v14, v117
	v_pk_mul_f32 v[14:15], v[4:5], v[14:15] op_sel_hi:[1,0]
	v_pk_fma_f32 v[16:17], v[4:5], v[116:117], v[14:15] op_sel:[0,0,1] op_sel_hi:[1,1,0] neg_lo:[0,0,1] neg_hi:[0,0,1]
	v_pk_fma_f32 v[4:5], v[4:5], v[116:117], v[14:15] op_sel:[0,0,1] op_sel_hi:[1,0,0]
	v_mov_b32_e32 v4, v115
	v_mov_b32_e32 v17, v5
	s_waitcnt lgkmcnt(1)
	v_pk_mul_f32 v[4:5], v[6:7], v[4:5] op_sel_hi:[1,0]
	v_pk_fma_f32 v[14:15], v[6:7], v[114:115], v[4:5] op_sel:[0,0,1] op_sel_hi:[1,1,0] neg_lo:[0,0,1] neg_hi:[0,0,1]
	v_pk_fma_f32 v[4:5], v[6:7], v[114:115], v[4:5] op_sel:[0,0,1] op_sel_hi:[1,0,0]
	s_waitcnt vmcnt(1)
	v_mov_b32_e32 v4, v127
	v_mov_b32_e32 v15, v5
	v_pk_mul_f32 v[4:5], v[8:9], v[4:5] op_sel_hi:[1,0]
	s_waitcnt vmcnt(0)
	v_pk_fma_f32 v[6:7], v[8:9], v[126:127], v[4:5] op_sel:[0,0,1] op_sel_hi:[1,1,0] neg_lo:[0,0,1] neg_hi:[0,0,1]
	v_pk_fma_f32 v[4:5], v[8:9], v[126:127], v[4:5] op_sel:[0,0,1] op_sel_hi:[1,0,0]
	v_pk_add_f32 v[2:3], v[2:3], v[16:17]
	v_mov_b32_e32 v4, v125
	v_pk_add_f32 v[2:3], v[2:3], v[14:15]
	v_mov_b32_e32 v7, v5
	s_waitcnt lgkmcnt(0)
	v_pk_mul_f32 v[4:5], v[10:11], v[4:5] op_sel_hi:[1,0]
	v_pk_add_f32 v[2:3], v[2:3], v[6:7]
	v_pk_fma_f32 v[6:7], v[10:11], v[124:125], v[4:5] op_sel:[0,0,1] op_sel_hi:[1,1,0] neg_lo:[0,0,1] neg_hi:[0,0,1]
	v_pk_fma_f32 v[4:5], v[10:11], v[124:125], v[4:5] op_sel:[0,0,1] op_sel_hi:[1,0,0]
	v_mov_b32_e32 v4, v123
	v_mov_b32_e32 v7, v5
	v_pk_mul_f32 v[4:5], v[12:13], v[4:5] op_sel_hi:[1,0]
	v_pk_add_f32 v[2:3], v[2:3], v[6:7]
	v_pk_fma_f32 v[6:7], v[12:13], v[122:123], v[4:5] op_sel:[0,0,1] op_sel_hi:[1,1,0] neg_lo:[0,0,1] neg_hi:[0,0,1]
	v_pk_fma_f32 v[4:5], v[12:13], v[122:123], v[4:5] op_sel:[0,0,1] op_sel_hi:[1,0,0]
	v_mov_b32_e32 v7, v5
	v_pk_add_f32 v[2:3], v[2:3], v[6:7]
	v_pk_add_f32 v[2:3], v[42:43], v[2:3] neg_lo:[0,1] neg_hi:[0,1]
	buffer_store_dword v3, off, s[0:3], 0 offset:20
	buffer_store_dword v2, off, s[0:3], 0 offset:16
	s_and_saveexec_b64 s[4:5], vcc
	s_cbranch_execz .LBB56_353
; %bb.352:
	buffer_load_dword v2, off, s[0:3], 0 offset:8
	buffer_load_dword v3, off, s[0:3], 0 offset:12
	v_mov_b32_e32 v1, 0
	buffer_store_dword v1, off, s[0:3], 0 offset:8
	buffer_store_dword v1, off, s[0:3], 0 offset:12
	s_waitcnt vmcnt(2)
	ds_write_b64 v165, v[2:3]
.LBB56_353:
	s_or_b64 exec, exec, s[4:5]
	s_waitcnt lgkmcnt(0)
	; wave barrier
	s_waitcnt lgkmcnt(0)
	buffer_load_dword v57, off, s[0:3], 0 offset:20
	buffer_load_dword v56, off, s[0:3], 0 offset:28
	;; [unrolled: 1-line block ×48, first 2 shown]
	v_mov_b32_e32 v52, 0
	ds_read_b128 v[22:25], v52 offset:480
	ds_read_b128 v[18:21], v52 offset:496
	;; [unrolled: 1-line block ×6, first 2 shown]
	v_cmp_ne_u32_e32 vcc, 0, v0
	s_waitcnt vmcnt(47) lgkmcnt(5)
	v_mul_f32_e32 v26, v22, v57
	s_waitcnt vmcnt(46)
	v_mul_f32_e32 v27, v24, v56
	s_waitcnt vmcnt(45) lgkmcnt(4)
	v_mul_f32_e32 v29, v20, v55
	s_waitcnt vmcnt(44) lgkmcnt(3)
	v_mul_f32_e32 v30, v14, v54
	s_waitcnt vmcnt(43)
	v_mul_f32_e32 v31, v16, v1
	s_waitcnt vmcnt(42)
	v_mul_f32_e32 v28, v18, v58
	s_waitcnt vmcnt(41) lgkmcnt(2)
	v_mul_f32_e32 v32, v10, v53
	s_waitcnt vmcnt(40)
	v_mul_f32_e32 v33, v12, v59
	s_waitcnt vmcnt(39) lgkmcnt(1)
	;; [unrolled: 4-line block ×3, first 2 shown]
	v_mul_f32_e32 v36, v2, v62
	s_waitcnt vmcnt(36)
	v_mul_f32_e32 v37, v4, v63
	s_waitcnt vmcnt(35)
	v_fmac_f32_e32 v28, v19, v69
	s_waitcnt vmcnt(34)
	v_fmac_f32_e32 v27, v25, v72
	s_waitcnt vmcnt(33)
	v_fmac_f32_e32 v26, v23, v75
	v_add_f32_e32 v26, 0, v26
	v_add_f32_e32 v26, v26, v27
	;; [unrolled: 1-line block ×3, first 2 shown]
	s_waitcnt vmcnt(29)
	v_fmac_f32_e32 v29, v21, v74
	v_fmac_f32_e32 v30, v15, v71
	v_add_f32_e32 v26, v26, v29
	v_fmac_f32_e32 v31, v17, v68
	v_add_f32_e32 v26, v26, v30
	;; [unrolled: 2-line block ×3, first 2 shown]
	s_waitcnt vmcnt(25)
	v_fmac_f32_e32 v33, v13, v70
	v_add_f32_e32 v26, v26, v32
	v_fmac_f32_e32 v34, v7, v67
	v_add_f32_e32 v26, v26, v33
	v_fmac_f32_e32 v35, v9, v65
	v_add_f32_e32 v30, v26, v34
	v_fmac_f32_e32 v36, v3, v64
	v_add_f32_e32 v30, v30, v35
	s_waitcnt vmcnt(21)
	v_fmac_f32_e32 v37, v5, v81
	v_add_f32_e32 v30, v30, v36
	ds_read_b128 v[26:29], v52 offset:576
	v_add_f32_e32 v34, v30, v37
	ds_read_b128 v[30:33], v52 offset:592
	buffer_load_dword v153, off, s[0:3], 0 offset:200
	buffer_load_dword v154, off, s[0:3], 0 offset:204
	buffer_load_dword v155, off, s[0:3], 0 offset:208
	buffer_load_dword v156, off, s[0:3], 0 offset:212
	buffer_load_dword v157, off, s[0:3], 0 offset:216
	buffer_load_dword v158, off, s[0:3], 0 offset:220
	s_waitcnt vmcnt(26) lgkmcnt(1)
	v_mul_f32_e32 v35, v26, v80
	v_fmac_f32_e32 v35, v27, v78
	buffer_load_dword v159, off, s[0:3], 0 offset:224
	buffer_load_dword v160, off, s[0:3], 0 offset:228
	v_add_f32_e32 v34, v34, v35
	s_waitcnt vmcnt(27)
	v_mul_f32_e32 v35, v28, v79
	v_fmac_f32_e32 v35, v29, v76
	v_add_f32_e32 v34, v34, v35
	s_waitcnt vmcnt(26) lgkmcnt(0)
	v_mul_f32_e32 v35, v30, v77
	v_fmac_f32_e32 v35, v31, v73
	buffer_load_dword v161, off, s[0:3], 0 offset:232
	buffer_load_dword v162, off, s[0:3], 0 offset:236
	v_add_f32_e32 v34, v34, v35
	s_waitcnt vmcnt(21)
	v_mul_f32_e32 v35, v32, v138
	s_waitcnt vmcnt(20)
	v_fmac_f32_e32 v35, v33, v140
	v_add_f32_e32 v42, v34, v35
	ds_read_b128 v[34:37], v52 offset:608
	buffer_load_dword v163, off, s[0:3], 0 offset:240
	buffer_load_dword v220, off, s[0:3], 0 offset:244
	ds_read_b128 v[38:41], v52 offset:624
	buffer_load_dword v221, off, s[0:3], 0 offset:248
	buffer_load_dword v222, off, s[0:3], 0 offset:252
	;; [unrolled: 1-line block ×12, first 2 shown]
	s_waitcnt lgkmcnt(1)
	v_mul_f32_e32 v43, v34, v83
	v_fmac_f32_e32 v43, v35, v82
	buffer_load_dword v233, off, s[0:3], 0 offset:296
	buffer_load_dword v234, off, s[0:3], 0 offset:300
	v_add_f32_e32 v42, v42, v43
	v_mul_f32_e32 v43, v36, v85
	v_fmac_f32_e32 v43, v37, v84
	v_add_f32_e32 v42, v42, v43
	s_waitcnt lgkmcnt(0)
	v_mul_f32_e32 v43, v38, v87
	buffer_load_dword v235, off, s[0:3], 0 offset:304
	buffer_load_dword v236, off, s[0:3], 0 offset:308
	v_fmac_f32_e32 v43, v39, v86
	v_add_f32_e32 v46, v42, v43
	ds_read_b128 v[42:45], v52 offset:640
	buffer_load_dword v237, off, s[0:3], 0 offset:312
	buffer_load_dword v238, off, s[0:3], 0 offset:316
	;; [unrolled: 1-line block ×4, first 2 shown]
	s_waitcnt vmcnt(38)
	v_mul_f32_e32 v47, v40, v146
	v_fmac_f32_e32 v47, v41, v88
	v_add_f32_e32 v89, v46, v47
	ds_read_b128 v[46:49], v52 offset:656
	buffer_load_dword v241, off, s[0:3], 0 offset:328
	buffer_load_dword v242, off, s[0:3], 0 offset:332
	;; [unrolled: 1-line block ×10, first 2 shown]
	s_waitcnt vmcnt(46) lgkmcnt(1)
	v_mul_f32_e32 v90, v42, v148
	v_fmac_f32_e32 v90, v43, v147
	v_add_f32_e32 v89, v89, v90
	s_waitcnt vmcnt(44)
	v_mul_f32_e32 v90, v44, v150
	v_fmac_f32_e32 v90, v45, v149
	v_add_f32_e32 v89, v89, v90
	s_waitcnt vmcnt(42) lgkmcnt(0)
	v_mul_f32_e32 v90, v46, v152
	v_fmac_f32_e32 v90, v47, v151
	v_add_f32_e32 v89, v89, v90
	buffer_load_dword v251, off, s[0:3], 0 offset:368
	buffer_load_dword v252, off, s[0:3], 0 offset:372
	;; [unrolled: 1-line block ×6, first 2 shown]
	ds_read_b128 v[90:93], v52 offset:672
	v_mul_f32_e32 v23, v23, v57
	v_fma_f32 v22, v22, v75, -v23
	v_mul_f32_e32 v23, v25, v56
	v_add_f32_e32 v22, 0, v22
	v_fma_f32 v23, v24, v72, -v23
	v_mul_f32_e32 v19, v19, v58
	v_add_f32_e32 v22, v22, v23
	v_fma_f32 v18, v18, v69, -v19
	v_mul_f32_e32 v19, v21, v55
	v_add_f32_e32 v18, v22, v18
	v_fma_f32 v19, v20, v74, -v19
	v_mul_f32_e32 v15, v15, v54
	v_add_f32_e32 v18, v18, v19
	v_fma_f32 v14, v14, v71, -v15
	v_mul_f32_e32 v1, v17, v1
	v_add_f32_e32 v14, v18, v14
	v_fma_f32 v1, v16, v68, -v1
	v_mul_f32_e32 v11, v11, v53
	v_add_f32_e32 v1, v14, v1
	v_fma_f32 v10, v10, v66, -v11
	s_waitcnt vmcnt(46)
	v_mul_f32_e32 v94, v48, v154
	v_fmac_f32_e32 v94, v49, v153
	v_add_f32_e32 v89, v89, v94
	ds_read_b128 v[94:97], v52 offset:688
	s_waitcnt vmcnt(44) lgkmcnt(1)
	v_mul_f32_e32 v98, v90, v156
	v_fmac_f32_e32 v98, v91, v155
	v_add_f32_e32 v89, v89, v98
	s_waitcnt vmcnt(42)
	v_mul_f32_e32 v98, v92, v158
	v_fmac_f32_e32 v98, v93, v157
	v_add_f32_e32 v89, v89, v98
	s_waitcnt vmcnt(40) lgkmcnt(0)
	v_mul_f32_e32 v98, v94, v160
	v_fmac_f32_e32 v98, v95, v159
	v_add_f32_e32 v89, v89, v98
	ds_read_b128 v[98:101], v52 offset:704
	s_waitcnt vmcnt(38)
	v_mul_f32_e32 v102, v96, v162
	v_fmac_f32_e32 v102, v97, v161
	v_add_f32_e32 v89, v89, v102
	ds_read_b128 v[102:105], v52 offset:720
	s_waitcnt vmcnt(36) lgkmcnt(1)
	v_mul_f32_e32 v106, v98, v220
	v_fmac_f32_e32 v106, v99, v163
	v_add_f32_e32 v89, v89, v106
	s_waitcnt vmcnt(34)
	v_mul_f32_e32 v106, v100, v222
	v_fmac_f32_e32 v106, v101, v221
	v_add_f32_e32 v89, v89, v106
	s_waitcnt vmcnt(32) lgkmcnt(0)
	v_mul_f32_e32 v106, v102, v224
	v_fmac_f32_e32 v106, v103, v223
	v_add_f32_e32 v89, v89, v106
	ds_read_b128 v[106:109], v52 offset:736
	;; [unrolled: 18-line block ×4, first 2 shown]
	s_waitcnt vmcnt(14)
	v_mul_f32_e32 v126, v120, v242
	v_fmac_f32_e32 v126, v121, v241
	v_add_f32_e32 v89, v89, v126
	ds_read_b128 v[126:129], v52 offset:816
	s_waitcnt vmcnt(12) lgkmcnt(1)
	v_mul_f32_e32 v130, v122, v244
	v_fmac_f32_e32 v130, v123, v243
	v_add_f32_e32 v89, v89, v130
	s_waitcnt vmcnt(10)
	v_mul_f32_e32 v130, v124, v246
	v_fmac_f32_e32 v130, v125, v245
	v_add_f32_e32 v89, v89, v130
	s_waitcnt vmcnt(8) lgkmcnt(0)
	v_mul_f32_e32 v130, v126, v248
	v_fmac_f32_e32 v130, v127, v247
	s_waitcnt vmcnt(6)
	v_mul_f32_e32 v134, v128, v250
	v_add_f32_e32 v1, v1, v10
	v_mul_f32_e32 v10, v13, v59
	v_add_f32_e32 v89, v89, v130
	v_fmac_f32_e32 v134, v129, v249
	v_fma_f32 v10, v12, v70, -v10
	v_mul_f32_e32 v7, v7, v60
	ds_read_b128 v[130:133], v52 offset:832
	v_add_f32_e32 v89, v89, v134
	ds_read_b128 v[134:137], v52 offset:848
	buffer_load_dword v143, off, s[0:3], 0 offset:420
	buffer_load_dword v142, off, s[0:3], 0 offset:416
	;; [unrolled: 1-line block ×16, first 2 shown]
	v_add_f32_e32 v1, v1, v10
	v_fma_f32 v6, v6, v67, -v7
	v_add_f32_e32 v1, v1, v6
	v_mul_f32_e32 v6, v9, v61
	v_fma_f32 v6, v8, v65, -v6
	v_mul_f32_e32 v3, v3, v62
	v_add_f32_e32 v1, v1, v6
	v_fma_f32 v2, v2, v64, -v3
	v_add_f32_e32 v1, v1, v2
	v_mul_f32_e32 v2, v5, v63
	v_fma_f32 v2, v4, v81, -v2
	v_add_f32_e32 v1, v1, v2
	v_mul_f32_e32 v2, v27, v80
	v_fma_f32 v2, v26, v78, -v2
	v_add_f32_e32 v1, v1, v2
	v_mul_f32_e32 v2, v29, v79
	v_fma_f32 v2, v28, v76, -v2
	v_add_f32_e32 v1, v1, v2
	v_mul_f32_e32 v2, v31, v77
	v_fma_f32 v2, v30, v73, -v2
	v_add_f32_e32 v1, v1, v2
	v_mul_f32_e32 v2, v33, v138
	v_fma_f32 v2, v32, v140, -v2
	v_add_f32_e32 v1, v1, v2
	v_mul_f32_e32 v2, v35, v83
	v_fma_f32 v2, v34, v82, -v2
	v_add_f32_e32 v1, v1, v2
	v_mul_f32_e32 v2, v37, v85
	v_fma_f32 v2, v36, v84, -v2
	v_add_f32_e32 v1, v1, v2
	v_mul_f32_e32 v2, v39, v87
	v_fma_f32 v2, v38, v86, -v2
	v_add_f32_e32 v1, v1, v2
	v_mul_f32_e32 v2, v41, v146
	v_fma_f32 v2, v40, v88, -v2
	v_add_f32_e32 v1, v1, v2
	v_mul_f32_e32 v2, v43, v148
	v_fma_f32 v2, v42, v147, -v2
	v_add_f32_e32 v1, v1, v2
	v_mul_f32_e32 v2, v45, v150
	v_fma_f32 v2, v44, v149, -v2
	v_add_f32_e32 v1, v1, v2
	v_mul_f32_e32 v2, v47, v152
	v_fma_f32 v2, v46, v151, -v2
	v_add_f32_e32 v1, v1, v2
	v_mul_f32_e32 v2, v49, v154
	v_fma_f32 v2, v48, v153, -v2
	v_add_f32_e32 v1, v1, v2
	v_mul_f32_e32 v2, v91, v156
	v_fma_f32 v2, v90, v155, -v2
	v_add_f32_e32 v1, v1, v2
	v_mul_f32_e32 v2, v93, v158
	v_fma_f32 v2, v92, v157, -v2
	v_add_f32_e32 v1, v1, v2
	v_mul_f32_e32 v2, v95, v160
	v_fma_f32 v2, v94, v159, -v2
	v_add_f32_e32 v1, v1, v2
	v_mul_f32_e32 v2, v97, v162
	v_fma_f32 v2, v96, v161, -v2
	v_add_f32_e32 v1, v1, v2
	v_mul_f32_e32 v2, v99, v220
	v_fma_f32 v2, v98, v163, -v2
	v_add_f32_e32 v1, v1, v2
	v_mul_f32_e32 v2, v101, v222
	v_fma_f32 v2, v100, v221, -v2
	v_add_f32_e32 v1, v1, v2
	v_mul_f32_e32 v2, v103, v224
	v_fma_f32 v2, v102, v223, -v2
	v_add_f32_e32 v1, v1, v2
	v_mul_f32_e32 v2, v105, v226
	v_fma_f32 v2, v104, v225, -v2
	v_add_f32_e32 v1, v1, v2
	v_mul_f32_e32 v2, v107, v228
	v_fma_f32 v2, v106, v227, -v2
	v_add_f32_e32 v1, v1, v2
	v_mul_f32_e32 v2, v109, v230
	v_fma_f32 v2, v108, v229, -v2
	v_add_f32_e32 v1, v1, v2
	v_mul_f32_e32 v2, v111, v232
	v_fma_f32 v2, v110, v231, -v2
	v_add_f32_e32 v1, v1, v2
	v_mul_f32_e32 v2, v113, v234
	v_fma_f32 v2, v112, v233, -v2
	v_add_f32_e32 v1, v1, v2
	v_mul_f32_e32 v2, v115, v236
	v_fma_f32 v2, v114, v235, -v2
	v_add_f32_e32 v1, v1, v2
	v_mul_f32_e32 v2, v117, v238
	v_fma_f32 v2, v116, v237, -v2
	v_add_f32_e32 v1, v1, v2
	v_mul_f32_e32 v2, v119, v240
	v_fma_f32 v2, v118, v239, -v2
	v_add_f32_e32 v1, v1, v2
	v_mul_f32_e32 v2, v121, v242
	v_fma_f32 v2, v120, v241, -v2
	v_add_f32_e32 v1, v1, v2
	v_mul_f32_e32 v2, v123, v244
	v_fma_f32 v2, v122, v243, -v2
	v_add_f32_e32 v1, v1, v2
	v_mul_f32_e32 v2, v125, v246
	v_fma_f32 v2, v124, v245, -v2
	v_add_f32_e32 v1, v1, v2
	v_mul_f32_e32 v2, v127, v248
	v_fma_f32 v2, v126, v247, -v2
	v_add_f32_e32 v1, v1, v2
	v_mul_f32_e32 v2, v129, v250
	v_fma_f32 v2, v128, v249, -v2
	s_waitcnt vmcnt(20) lgkmcnt(1)
	v_mul_f32_e32 v139, v130, v252
	v_add_f32_e32 v1, v1, v2
	v_mul_f32_e32 v2, v131, v252
	v_fmac_f32_e32 v139, v131, v251
	v_fma_f32 v2, v130, v251, -v2
	s_waitcnt vmcnt(9)
	v_mov_b32_e32 v18, v211
	v_add_f32_e32 v89, v89, v139
	v_mul_f32_e32 v139, v132, v254
	v_add_f32_e32 v88, v1, v2
	v_mul_f32_e32 v1, v133, v254
	s_waitcnt lgkmcnt(0)
	v_pk_mul_f32 v[18:19], v[136:137], v[18:19] op_sel_hi:[1,0]
	v_fmac_f32_e32 v139, v133, v253
	v_mul_f32_e32 v141, v134, v164
	v_fma_f32 v138, v132, v253, -v1
	v_mul_f32_e32 v1, v135, v164
	ds_read_b128 v[2:5], v52 offset:864
	ds_read_b128 v[6:9], v52 offset:880
	;; [unrolled: 1-line block ×3, first 2 shown]
	ds_read_b64 v[14:15], v52 offset:912
	s_waitcnt vmcnt(8)
	v_pk_fma_f32 v[20:21], v[136:137], v[210:211], v[18:19] op_sel:[0,0,1] op_sel_hi:[1,1,0] neg_lo:[0,0,1] neg_hi:[0,0,1]
	v_pk_fma_f32 v[18:19], v[136:137], v[210:211], v[18:19] op_sel:[0,0,1] op_sel_hi:[1,0,0]
	v_fmac_f32_e32 v141, v135, v255
	v_fma_f32 v140, v134, v255, -v1
	v_pk_add_f32 v[16:17], v[88:89], v[138:139]
	v_mov_b32_e32 v18, v209
	v_pk_add_f32 v[16:17], v[16:17], v[140:141]
	v_mov_b32_e32 v21, v19
	s_waitcnt lgkmcnt(3)
	v_pk_mul_f32 v[18:19], v[2:3], v[18:19] op_sel_hi:[1,0]
	v_pk_add_f32 v[16:17], v[16:17], v[20:21]
	v_pk_fma_f32 v[20:21], v[2:3], v[208:209], v[18:19] op_sel:[0,0,1] op_sel_hi:[1,1,0] neg_lo:[0,0,1] neg_hi:[0,0,1]
	v_pk_fma_f32 v[2:3], v[2:3], v[208:209], v[18:19] op_sel:[0,0,1] op_sel_hi:[1,0,0]
	v_mov_b32_e32 v21, v3
	v_pk_add_f32 v[2:3], v[16:17], v[20:21]
	v_mov_b32_e32 v16, v145
	v_pk_mul_f32 v[16:17], v[4:5], v[16:17] op_sel_hi:[1,0]
	v_pk_fma_f32 v[18:19], v[4:5], v[144:145], v[16:17] op_sel:[0,0,1] op_sel_hi:[1,1,0] neg_lo:[0,0,1] neg_hi:[0,0,1]
	v_pk_fma_f32 v[4:5], v[4:5], v[144:145], v[16:17] op_sel:[0,0,1] op_sel_hi:[1,0,0]
	v_mov_b32_e32 v4, v143
	v_mov_b32_e32 v19, v5
	s_waitcnt lgkmcnt(2)
	v_pk_mul_f32 v[4:5], v[6:7], v[4:5] op_sel_hi:[1,0]
	v_pk_fma_f32 v[16:17], v[6:7], v[142:143], v[4:5] op_sel:[0,0,1] op_sel_hi:[1,1,0] neg_lo:[0,0,1] neg_hi:[0,0,1]
	v_pk_fma_f32 v[4:5], v[6:7], v[142:143], v[4:5] op_sel:[0,0,1] op_sel_hi:[1,0,0]
	s_waitcnt vmcnt(1)
	v_mov_b32_e32 v4, v219
	v_mov_b32_e32 v17, v5
	v_pk_mul_f32 v[4:5], v[8:9], v[4:5] op_sel_hi:[1,0]
	s_waitcnt vmcnt(0)
	v_pk_fma_f32 v[6:7], v[8:9], v[218:219], v[4:5] op_sel:[0,0,1] op_sel_hi:[1,1,0] neg_lo:[0,0,1] neg_hi:[0,0,1]
	v_pk_fma_f32 v[4:5], v[8:9], v[218:219], v[4:5] op_sel:[0,0,1] op_sel_hi:[1,0,0]
	v_pk_add_f32 v[2:3], v[2:3], v[18:19]
	v_mov_b32_e32 v4, v217
	v_pk_add_f32 v[2:3], v[2:3], v[16:17]
	v_mov_b32_e32 v7, v5
	s_waitcnt lgkmcnt(1)
	v_pk_mul_f32 v[4:5], v[10:11], v[4:5] op_sel_hi:[1,0]
	v_pk_add_f32 v[2:3], v[2:3], v[6:7]
	v_pk_fma_f32 v[6:7], v[10:11], v[216:217], v[4:5] op_sel:[0,0,1] op_sel_hi:[1,1,0] neg_lo:[0,0,1] neg_hi:[0,0,1]
	v_pk_fma_f32 v[4:5], v[10:11], v[216:217], v[4:5] op_sel:[0,0,1] op_sel_hi:[1,0,0]
	v_mov_b32_e32 v4, v215
	v_mov_b32_e32 v7, v5
	v_pk_mul_f32 v[4:5], v[12:13], v[4:5] op_sel_hi:[1,0]
	v_pk_add_f32 v[2:3], v[2:3], v[6:7]
	v_pk_fma_f32 v[6:7], v[12:13], v[214:215], v[4:5] op_sel:[0,0,1] op_sel_hi:[1,1,0] neg_lo:[0,0,1] neg_hi:[0,0,1]
	v_pk_fma_f32 v[4:5], v[12:13], v[214:215], v[4:5] op_sel:[0,0,1] op_sel_hi:[1,0,0]
	v_mov_b32_e32 v4, v213
	v_mov_b32_e32 v7, v5
	s_waitcnt lgkmcnt(0)
	v_pk_mul_f32 v[4:5], v[14:15], v[4:5] op_sel_hi:[1,0]
	v_pk_add_f32 v[2:3], v[2:3], v[6:7]
	v_pk_fma_f32 v[6:7], v[14:15], v[212:213], v[4:5] op_sel:[0,0,1] op_sel_hi:[1,1,0] neg_lo:[0,0,1] neg_hi:[0,0,1]
	v_pk_fma_f32 v[4:5], v[14:15], v[212:213], v[4:5] op_sel:[0,0,1] op_sel_hi:[1,0,0]
	v_mov_b32_e32 v7, v5
	v_pk_add_f32 v[2:3], v[2:3], v[6:7]
	v_pk_add_f32 v[2:3], v[50:51], v[2:3] neg_lo:[0,1] neg_hi:[0,1]
	buffer_store_dword v3, off, s[0:3], 0 offset:12
	buffer_store_dword v2, off, s[0:3], 0 offset:8
	s_and_saveexec_b64 s[4:5], vcc
	s_cbranch_execz .LBB56_355
; %bb.354:
	buffer_load_dword v0, off, s[0:3], 0
	buffer_load_dword v1, off, s[0:3], 0 offset:4
	s_waitcnt vmcnt(0)
	ds_write_b64 v165, v[0:1]
	buffer_store_dword v52, off, s[0:3], 0
	buffer_store_dword v52, off, s[0:3], 0 offset:4
.LBB56_355:
	s_or_b64 exec, exec, s[4:5]
	s_waitcnt lgkmcnt(0)
	; wave barrier
	s_waitcnt lgkmcnt(0)
	buffer_load_dword v56, off, s[0:3], 0 offset:12
	buffer_load_dword v55, off, s[0:3], 0 offset:20
	buffer_load_dword v54, off, s[0:3], 0 offset:36
	buffer_load_dword v53, off, s[0:3], 0 offset:44
	buffer_load_dword v50, off, s[0:3], 0 offset:52
	buffer_load_dword v57, off, s[0:3], 0 offset:28
	buffer_load_dword v51, off, s[0:3], 0 offset:60
	buffer_load_dword v58, off, s[0:3], 0 offset:68
	buffer_load_dword v59, off, s[0:3], 0 offset:76
	buffer_load_dword v60, off, s[0:3], 0 offset:84
	buffer_load_dword v61, off, s[0:3], 0 offset:92
	buffer_load_dword v62, off, s[0:3], 0 offset:100
	buffer_load_dword v68, off, s[0:3], 0 offset:24
	buffer_load_dword v71, off, s[0:3], 0 offset:16
	buffer_load_dword v74, off, s[0:3], 0 offset:8
	buffer_load_dword v65, off, s[0:3], 0 offset:56
	buffer_load_dword v67, off, s[0:3], 0 offset:48
	buffer_load_dword v70, off, s[0:3], 0 offset:40
	buffer_load_dword v73, off, s[0:3], 0 offset:32
	buffer_load_dword v63, off, s[0:3], 0 offset:88
	buffer_load_dword v64, off, s[0:3], 0 offset:80
	buffer_load_dword v66, off, s[0:3], 0 offset:72
	buffer_load_dword v69, off, s[0:3], 0 offset:64
	buffer_load_dword v72, off, s[0:3], 0 offset:120
	buffer_load_dword v75, off, s[0:3], 0 offset:112
	buffer_load_dword v77, off, s[0:3], 0 offset:104
	buffer_load_dword v80, off, s[0:3], 0 offset:96
	buffer_load_dword v79, off, s[0:3], 0 offset:108
	buffer_load_dword v78, off, s[0:3], 0 offset:116
	buffer_load_dword v76, off, s[0:3], 0 offset:124
	buffer_load_dword v81, off, s[0:3], 0 offset:136
	buffer_load_dword v82, off, s[0:3], 0 offset:140
	buffer_load_dword v83, off, s[0:3], 0 offset:144
	buffer_load_dword v84, off, s[0:3], 0 offset:148
	buffer_load_dword v85, off, s[0:3], 0 offset:152
	buffer_load_dword v86, off, s[0:3], 0 offset:156
	buffer_load_dword v88, off, s[0:3], 0 offset:132
	buffer_load_dword v87, off, s[0:3], 0 offset:128
	buffer_load_dword v48, off, s[0:3], 0
	buffer_load_dword v49, off, s[0:3], 0 offset:4
	ds_read2_b64 v[24:27], v52 offset0:59 offset1:60
	ds_read2_b64 v[20:23], v52 offset0:61 offset1:62
	;; [unrolled: 1-line block ×7, first 2 shown]
	buffer_load_dword v89, off, s[0:3], 0 offset:160
	buffer_load_dword v90, off, s[0:3], 0 offset:164
	;; [unrolled: 1-line block ×10, first 2 shown]
	s_and_b64 vcc, exec, s[20:21]
	s_waitcnt vmcnt(49) lgkmcnt(6)
	v_mul_f32_e32 v28, v24, v56
	s_waitcnt vmcnt(48)
	v_mul_f32_e32 v29, v26, v55
	s_waitcnt vmcnt(47) lgkmcnt(5)
	v_mul_f32_e32 v31, v22, v54
	s_waitcnt vmcnt(46) lgkmcnt(4)
	v_mul_f32_e32 v32, v16, v53
	s_waitcnt vmcnt(45)
	v_mul_f32_e32 v33, v18, v50
	s_waitcnt vmcnt(44)
	v_mul_f32_e32 v30, v20, v57
	s_waitcnt vmcnt(43) lgkmcnt(3)
	v_mul_f32_e32 v34, v12, v51
	s_waitcnt vmcnt(42)
	v_mul_f32_e32 v35, v14, v58
	s_waitcnt vmcnt(41) lgkmcnt(2)
	;; [unrolled: 4-line block ×3, first 2 shown]
	v_mul_f32_e32 v38, v4, v61
	s_waitcnt vmcnt(38)
	v_mul_f32_e32 v39, v6, v62
	s_waitcnt vmcnt(37)
	v_fmac_f32_e32 v30, v21, v68
	s_waitcnt vmcnt(36)
	v_fmac_f32_e32 v29, v27, v71
	;; [unrolled: 2-line block ×3, first 2 shown]
	v_add_f32_e32 v28, 0, v28
	v_add_f32_e32 v28, v28, v29
	;; [unrolled: 1-line block ×3, first 2 shown]
	s_waitcnt vmcnt(31)
	v_fmac_f32_e32 v31, v23, v73
	v_fmac_f32_e32 v32, v17, v70
	v_add_f32_e32 v28, v28, v31
	v_fmac_f32_e32 v33, v19, v67
	v_add_f32_e32 v28, v28, v32
	;; [unrolled: 2-line block ×3, first 2 shown]
	s_waitcnt vmcnt(27)
	v_fmac_f32_e32 v35, v15, v69
	v_add_f32_e32 v28, v28, v34
	v_fmac_f32_e32 v36, v9, v66
	v_add_f32_e32 v28, v28, v35
	;; [unrolled: 2-line block ×4, first 2 shown]
	s_waitcnt vmcnt(23)
	v_fmac_f32_e32 v39, v7, v80
	v_add_f32_e32 v28, v28, v38
	v_add_f32_e32 v32, v28, v39
	ds_read2_b64 v[28:31], v52 offset0:73 offset1:74
	buffer_load_dword v149, off, s[0:3], 0 offset:200
	buffer_load_dword v150, off, s[0:3], 0 offset:204
	s_waitcnt vmcnt(24) lgkmcnt(1)
	v_mul_f32_e32 v33, v0, v79
	buffer_load_dword v151, off, s[0:3], 0 offset:208
	buffer_load_dword v152, off, s[0:3], 0 offset:212
	v_fmac_f32_e32 v33, v1, v77
	v_add_f32_e32 v32, v32, v33
	s_waitcnt vmcnt(25)
	v_mul_f32_e32 v33, v2, v78
	buffer_load_dword v153, off, s[0:3], 0 offset:216
	buffer_load_dword v154, off, s[0:3], 0 offset:220
	v_fmac_f32_e32 v33, v3, v75
	v_add_f32_e32 v32, v32, v33
	s_waitcnt vmcnt(26) lgkmcnt(0)
	v_mul_f32_e32 v33, v28, v76
	v_fmac_f32_e32 v33, v29, v72
	v_add_f32_e32 v36, v32, v33
	ds_read2_b64 v[32:35], v52 offset0:75 offset1:76
	buffer_load_dword v155, off, s[0:3], 0 offset:224
	buffer_load_dword v156, off, s[0:3], 0 offset:228
	s_waitcnt vmcnt(21)
	v_mul_f32_e32 v37, v30, v88
	s_waitcnt vmcnt(20)
	v_fmac_f32_e32 v37, v31, v87
	v_add_f32_e32 v40, v36, v37
	ds_read2_b64 v[36:39], v52 offset0:77 offset1:78
	buffer_load_dword v157, off, s[0:3], 0 offset:232
	buffer_load_dword v158, off, s[0:3], 0 offset:236
	;; [unrolled: 1-line block ×12, first 2 shown]
	s_waitcnt lgkmcnt(1)
	v_mul_f32_e32 v41, v32, v82
	v_fmac_f32_e32 v41, v33, v81
	buffer_load_dword v228, off, s[0:3], 0 offset:280
	buffer_load_dword v229, off, s[0:3], 0 offset:284
	v_add_f32_e32 v40, v40, v41
	v_mul_f32_e32 v41, v34, v84
	v_fmac_f32_e32 v41, v35, v83
	v_add_f32_e32 v40, v40, v41
	s_waitcnt lgkmcnt(0)
	v_mul_f32_e32 v41, v36, v86
	v_fmac_f32_e32 v41, v37, v85
	buffer_load_dword v230, off, s[0:3], 0 offset:288
	buffer_load_dword v231, off, s[0:3], 0 offset:292
	v_add_f32_e32 v40, v40, v41
	s_waitcnt vmcnt(32)
	v_mul_f32_e32 v41, v38, v90
	v_fmac_f32_e32 v41, v39, v89
	v_add_f32_e32 v94, v40, v41
	ds_read2_b64 v[40:43], v52 offset0:79 offset1:80
	buffer_load_dword v232, off, s[0:3], 0 offset:296
	buffer_load_dword v233, off, s[0:3], 0 offset:300
	ds_read2_b64 v[44:47], v52 offset0:81 offset1:82
	buffer_load_dword v234, off, s[0:3], 0 offset:304
	buffer_load_dword v235, off, s[0:3], 0 offset:308
	;; [unrolled: 1-line block ×14, first 2 shown]
	s_waitcnt vmcnt(46) lgkmcnt(1)
	v_mul_f32_e32 v95, v40, v92
	v_fmac_f32_e32 v95, v41, v91
	v_add_f32_e32 v94, v94, v95
	s_waitcnt vmcnt(44)
	v_mul_f32_e32 v95, v42, v142
	v_fmac_f32_e32 v95, v43, v93
	v_add_f32_e32 v94, v94, v95
	s_waitcnt vmcnt(42) lgkmcnt(0)
	v_mul_f32_e32 v95, v44, v146
	v_fmac_f32_e32 v95, v45, v144
	v_add_f32_e32 v98, v94, v95
	buffer_load_dword v248, off, s[0:3], 0 offset:360
	buffer_load_dword v249, off, s[0:3], 0 offset:364
	ds_read2_b64 v[94:97], v52 offset0:83 offset1:84
	s_waitcnt vmcnt(42)
	v_mul_f32_e32 v99, v46, v148
	v_fmac_f32_e32 v99, v47, v147
	buffer_load_dword v250, off, s[0:3], 0 offset:368
	buffer_load_dword v251, off, s[0:3], 0 offset:372
	v_add_f32_e32 v102, v98, v99
	buffer_load_dword v252, off, s[0:3], 0 offset:376
	buffer_load_dword v253, off, s[0:3], 0 offset:380
	ds_read2_b64 v[98:101], v52 offset0:85 offset1:86
	buffer_load_dword v254, off, s[0:3], 0 offset:384
	buffer_load_dword v255, off, s[0:3], 0 offset:388
	v_mul_f32_e32 v25, v25, v56
	v_fma_f32 v24, v24, v74, -v25
	v_mul_f32_e32 v25, v27, v55
	v_add_f32_e32 v24, 0, v24
	v_fma_f32 v25, v26, v71, -v25
	v_mul_f32_e32 v21, v21, v57
	v_add_f32_e32 v24, v24, v25
	;; [unrolled: 3-line block ×4, first 2 shown]
	v_fma_f32 v16, v16, v70, -v17
	s_waitcnt vmcnt(46) lgkmcnt(1)
	v_mul_f32_e32 v103, v94, v150
	v_fmac_f32_e32 v103, v95, v149
	v_add_f32_e32 v102, v102, v103
	s_waitcnt vmcnt(44)
	v_mul_f32_e32 v103, v96, v152
	v_fmac_f32_e32 v103, v97, v151
	v_add_f32_e32 v102, v102, v103
	s_waitcnt vmcnt(42) lgkmcnt(0)
	v_mul_f32_e32 v103, v98, v154
	v_fmac_f32_e32 v103, v99, v153
	v_add_f32_e32 v106, v102, v103
	ds_read2_b64 v[102:105], v52 offset0:87 offset1:88
	v_mul_f32_e32 v17, v19, v50
	v_add_f32_e32 v16, v20, v16
	v_fma_f32 v17, v18, v67, -v17
	s_waitcnt vmcnt(40)
	v_mul_f32_e32 v107, v100, v156
	v_fmac_f32_e32 v107, v101, v155
	v_add_f32_e32 v110, v106, v107
	ds_read2_b64 v[106:109], v52 offset0:89 offset1:90
	v_mul_f32_e32 v13, v13, v51
	s_waitcnt vmcnt(38) lgkmcnt(1)
	v_mul_f32_e32 v111, v102, v158
	v_fmac_f32_e32 v111, v103, v157
	v_add_f32_e32 v110, v110, v111
	s_waitcnt vmcnt(36)
	v_mul_f32_e32 v111, v104, v160
	v_fmac_f32_e32 v111, v105, v159
	v_add_f32_e32 v110, v110, v111
	s_waitcnt vmcnt(34) lgkmcnt(0)
	v_mul_f32_e32 v111, v106, v162
	v_fmac_f32_e32 v111, v107, v161
	v_add_f32_e32 v114, v110, v111
	ds_read2_b64 v[110:113], v52 offset0:91 offset1:92
	s_waitcnt vmcnt(32)
	v_mul_f32_e32 v115, v108, v164
	v_fmac_f32_e32 v115, v109, v163
	v_add_f32_e32 v118, v114, v115
	ds_read2_b64 v[114:117], v52 offset0:93 offset1:94
	s_waitcnt vmcnt(30) lgkmcnt(1)
	v_mul_f32_e32 v119, v110, v214
	v_fmac_f32_e32 v119, v111, v165
	v_add_f32_e32 v118, v118, v119
	s_waitcnt vmcnt(28)
	v_mul_f32_e32 v119, v112, v227
	v_fmac_f32_e32 v119, v113, v226
	v_add_f32_e32 v118, v118, v119
	s_waitcnt vmcnt(26) lgkmcnt(0)
	v_mul_f32_e32 v119, v114, v229
	v_fmac_f32_e32 v119, v115, v228
	v_add_f32_e32 v122, v118, v119
	ds_read2_b64 v[118:121], v52 offset0:95 offset1:96
	s_waitcnt vmcnt(24)
	v_mul_f32_e32 v123, v116, v231
	v_fmac_f32_e32 v123, v117, v230
	v_add_f32_e32 v126, v122, v123
	ds_read2_b64 v[122:125], v52 offset0:97 offset1:98
	;; [unrolled: 18-line block ×3, first 2 shown]
	s_waitcnt vmcnt(14) lgkmcnt(1)
	v_mul_f32_e32 v135, v126, v241
	v_fmac_f32_e32 v135, v127, v240
	v_add_f32_e32 v134, v134, v135
	s_waitcnt vmcnt(12)
	v_mul_f32_e32 v135, v128, v243
	v_fmac_f32_e32 v135, v129, v242
	v_add_f32_e32 v134, v134, v135
	s_waitcnt vmcnt(10) lgkmcnt(0)
	v_mul_f32_e32 v135, v130, v245
	v_fmac_f32_e32 v135, v131, v244
	s_waitcnt vmcnt(8)
	v_mul_f32_e32 v139, v132, v247
	v_add_f32_e32 v138, v134, v135
	v_fmac_f32_e32 v139, v133, v246
	ds_read2_b64 v[134:137], v52 offset0:103 offset1:104
	v_add_f32_e32 v143, v138, v139
	ds_read2_b64 v[138:141], v52 offset0:105 offset1:106
	buffer_load_dword v209, off, s[0:3], 0 offset:412
	buffer_load_dword v208, off, s[0:3], 0 offset:408
	;; [unrolled: 1-line block ×6, first 2 shown]
	v_add_f32_e32 v16, v16, v17
	v_fma_f32 v12, v12, v65, -v13
	v_mul_f32_e32 v13, v15, v58
	v_add_f32_e32 v12, v16, v12
	v_fma_f32 v13, v14, v69, -v13
	v_mul_f32_e32 v9, v9, v59
	;; [unrolled: 3-line block ×7, first 2 shown]
	v_add_f32_e32 v0, v4, v0
	v_fma_f32 v1, v2, v75, -v1
	buffer_load_dword v217, off, s[0:3], 0 offset:444
	buffer_load_dword v216, off, s[0:3], 0 offset:440
	;; [unrolled: 1-line block ×10, first 2 shown]
	v_add_f32_e32 v0, v0, v1
	v_mul_f32_e32 v1, v29, v76
	v_fma_f32 v1, v28, v72, -v1
	v_add_f32_e32 v0, v0, v1
	v_mul_f32_e32 v1, v31, v88
	v_fma_f32 v1, v30, v87, -v1
	;; [unrolled: 3-line block ×30, first 2 shown]
	v_add_f32_e32 v0, v0, v1
	s_waitcnt vmcnt(22) lgkmcnt(1)
	v_mul_f32_e32 v1, v135, v249
	v_fma_f32 v1, v134, v248, -v1
	v_add_f32_e32 v0, v0, v1
	s_waitcnt vmcnt(20)
	v_mul_f32_e32 v1, v137, v251
	v_mul_f32_e32 v145, v134, v249
	v_fma_f32 v1, v136, v250, -v1
	v_fmac_f32_e32 v145, v135, v248
	v_add_f32_e32 v142, v0, v1
	s_waitcnt vmcnt(18) lgkmcnt(0)
	v_mul_f32_e32 v0, v139, v253
	v_add_f32_e32 v143, v143, v145
	v_mul_f32_e32 v145, v136, v251
	v_fma_f32 v144, v138, v252, -v0
	s_waitcnt vmcnt(16)
	v_mul_f32_e32 v0, v141, v255
	v_fmac_f32_e32 v145, v137, v250
	v_fma_f32 v214, v140, v254, -v0
	ds_read2_b64 v[0:3], v52 offset0:107 offset1:108
	ds_read2_b64 v[4:7], v52 offset0:109 offset1:110
	ds_read2_b64 v[8:11], v52 offset0:111 offset1:112
	ds_read2_b64 v[12:15], v52 offset0:113 offset1:114
	v_add_f32_e32 v143, v143, v145
	v_mul_f32_e32 v145, v138, v253
	s_waitcnt vmcnt(11)
	v_mov_b32_e32 v18, v213
	v_fmac_f32_e32 v145, v139, v252
	v_mul_f32_e32 v215, v140, v255
	s_waitcnt lgkmcnt(3)
	v_pk_mul_f32 v[18:19], v[0:1], v[18:19] op_sel_hi:[1,0]
	v_fmac_f32_e32 v215, v141, v254
	v_pk_add_f32 v[16:17], v[142:143], v[144:145]
	s_waitcnt vmcnt(10)
	v_pk_fma_f32 v[20:21], v[0:1], v[212:213], v[18:19] op_sel:[0,0,1] op_sel_hi:[1,1,0] neg_lo:[0,0,1] neg_hi:[0,0,1]
	v_pk_fma_f32 v[0:1], v[0:1], v[212:213], v[18:19] op_sel:[0,0,1] op_sel_hi:[1,0,0]
	v_pk_add_f32 v[16:17], v[16:17], v[214:215]
	v_mov_b32_e32 v21, v1
	v_pk_add_f32 v[0:1], v[16:17], v[20:21]
	v_mov_b32_e32 v16, v211
	v_pk_mul_f32 v[16:17], v[2:3], v[16:17] op_sel_hi:[1,0]
	v_pk_fma_f32 v[18:19], v[2:3], v[210:211], v[16:17] op_sel:[0,0,1] op_sel_hi:[1,1,0] neg_lo:[0,0,1] neg_hi:[0,0,1]
	v_pk_fma_f32 v[2:3], v[2:3], v[210:211], v[16:17] op_sel:[0,0,1] op_sel_hi:[1,0,0]
	v_mov_b32_e32 v2, v209
	v_mov_b32_e32 v19, v3
	s_waitcnt lgkmcnt(2)
	v_pk_mul_f32 v[2:3], v[4:5], v[2:3] op_sel_hi:[1,0]
	v_pk_fma_f32 v[16:17], v[4:5], v[208:209], v[2:3] op_sel:[0,0,1] op_sel_hi:[1,1,0] neg_lo:[0,0,1] neg_hi:[0,0,1]
	v_pk_fma_f32 v[2:3], v[4:5], v[208:209], v[2:3] op_sel:[0,0,1] op_sel_hi:[1,0,0]
	s_waitcnt vmcnt(3)
	v_mov_b32_e32 v2, v223
	v_mov_b32_e32 v17, v3
	v_pk_mul_f32 v[2:3], v[6:7], v[2:3] op_sel_hi:[1,0]
	s_waitcnt vmcnt(2)
	v_pk_fma_f32 v[4:5], v[6:7], v[222:223], v[2:3] op_sel:[0,0,1] op_sel_hi:[1,1,0] neg_lo:[0,0,1] neg_hi:[0,0,1]
	v_pk_fma_f32 v[2:3], v[6:7], v[222:223], v[2:3] op_sel:[0,0,1] op_sel_hi:[1,0,0]
	v_pk_add_f32 v[0:1], v[0:1], v[18:19]
	v_mov_b32_e32 v2, v221
	v_pk_add_f32 v[0:1], v[0:1], v[16:17]
	v_mov_b32_e32 v5, v3
	s_waitcnt lgkmcnt(1)
	v_pk_mul_f32 v[2:3], v[8:9], v[2:3] op_sel_hi:[1,0]
	v_pk_add_f32 v[0:1], v[0:1], v[4:5]
	v_pk_fma_f32 v[4:5], v[8:9], v[220:221], v[2:3] op_sel:[0,0,1] op_sel_hi:[1,1,0] neg_lo:[0,0,1] neg_hi:[0,0,1]
	v_pk_fma_f32 v[2:3], v[8:9], v[220:221], v[2:3] op_sel:[0,0,1] op_sel_hi:[1,0,0]
	v_mov_b32_e32 v2, v219
	v_mov_b32_e32 v5, v3
	v_pk_mul_f32 v[2:3], v[10:11], v[2:3] op_sel_hi:[1,0]
	v_pk_add_f32 v[0:1], v[0:1], v[4:5]
	v_pk_fma_f32 v[4:5], v[10:11], v[218:219], v[2:3] op_sel:[0,0,1] op_sel_hi:[1,1,0] neg_lo:[0,0,1] neg_hi:[0,0,1]
	v_pk_fma_f32 v[2:3], v[10:11], v[218:219], v[2:3] op_sel:[0,0,1] op_sel_hi:[1,0,0]
	v_mov_b32_e32 v2, v217
	v_mov_b32_e32 v5, v3
	s_waitcnt lgkmcnt(0)
	v_pk_mul_f32 v[2:3], v[12:13], v[2:3] op_sel_hi:[1,0]
	v_pk_add_f32 v[0:1], v[0:1], v[4:5]
	v_pk_fma_f32 v[4:5], v[12:13], v[216:217], v[2:3] op_sel:[0,0,1] op_sel_hi:[1,1,0] neg_lo:[0,0,1] neg_hi:[0,0,1]
	v_pk_fma_f32 v[2:3], v[12:13], v[216:217], v[2:3] op_sel:[0,0,1] op_sel_hi:[1,0,0]
	s_waitcnt vmcnt(1)
	v_mov_b32_e32 v2, v225
	v_mov_b32_e32 v5, v3
	v_pk_mul_f32 v[2:3], v[14:15], v[2:3] op_sel_hi:[1,0]
	v_pk_add_f32 v[0:1], v[0:1], v[4:5]
	s_waitcnt vmcnt(0)
	v_pk_fma_f32 v[4:5], v[14:15], v[224:225], v[2:3] op_sel:[0,0,1] op_sel_hi:[1,1,0] neg_lo:[0,0,1] neg_hi:[0,0,1]
	v_pk_fma_f32 v[2:3], v[14:15], v[224:225], v[2:3] op_sel:[0,0,1] op_sel_hi:[1,0,0]
	v_mov_b32_e32 v5, v3
	v_pk_add_f32 v[0:1], v[0:1], v[4:5]
	v_pk_add_f32 v[0:1], v[48:49], v[0:1] neg_lo:[0,1] neg_hi:[0,1]
	buffer_store_dword v1, off, s[0:3], 0 offset:4
	buffer_store_dword v0, off, s[0:3], 0
	s_cbranch_vccz .LBB56_469
; %bb.356:
	v_pk_mov_b32 v[0:1], s[10:11], s[10:11] op_sel:[0,1]
	flat_load_dword v0, v[0:1] offset:220
	s_waitcnt vmcnt(0) lgkmcnt(0)
	v_add_u32_e32 v0, -1, v0
	v_cmp_ne_u32_e32 vcc, 55, v0
	s_and_saveexec_b64 s[4:5], vcc
	s_cbranch_execz .LBB56_358
; %bb.357:
	v_mov_b32_e32 v1, 0
	v_lshl_add_u32 v0, v0, 3, v1
	buffer_load_dword v1, v0, s[0:3], 0 offen
	buffer_load_dword v2, v0, s[0:3], 0 offen offset:4
	buffer_load_dword v3, off, s[0:3], 0 offset:440
	buffer_load_dword v4, off, s[0:3], 0 offset:444
	s_waitcnt vmcnt(3)
	buffer_store_dword v1, off, s[0:3], 0 offset:440
	s_waitcnt vmcnt(3)
	buffer_store_dword v2, off, s[0:3], 0 offset:444
	s_waitcnt vmcnt(3)
	buffer_store_dword v3, v0, s[0:3], 0 offen
	s_waitcnt vmcnt(3)
	buffer_store_dword v4, v0, s[0:3], 0 offen offset:4
.LBB56_358:
	s_or_b64 exec, exec, s[4:5]
	v_pk_mov_b32 v[0:1], s[10:11], s[10:11] op_sel:[0,1]
	flat_load_dword v0, v[0:1] offset:216
	s_waitcnt vmcnt(0) lgkmcnt(0)
	v_add_u32_e32 v0, -1, v0
	v_cmp_ne_u32_e32 vcc, 54, v0
	s_and_saveexec_b64 s[4:5], vcc
	s_cbranch_execz .LBB56_360
; %bb.359:
	v_mov_b32_e32 v1, 0
	v_lshl_add_u32 v0, v0, 3, v1
	buffer_load_dword v1, v0, s[0:3], 0 offen
	buffer_load_dword v2, v0, s[0:3], 0 offen offset:4
	buffer_load_dword v3, off, s[0:3], 0 offset:436
	buffer_load_dword v4, off, s[0:3], 0 offset:432
	s_waitcnt vmcnt(3)
	buffer_store_dword v1, off, s[0:3], 0 offset:432
	s_waitcnt vmcnt(3)
	buffer_store_dword v2, off, s[0:3], 0 offset:436
	s_waitcnt vmcnt(3)
	buffer_store_dword v3, v0, s[0:3], 0 offen offset:4
	s_waitcnt vmcnt(3)
	buffer_store_dword v4, v0, s[0:3], 0 offen
.LBB56_360:
	s_or_b64 exec, exec, s[4:5]
	v_pk_mov_b32 v[0:1], s[10:11], s[10:11] op_sel:[0,1]
	flat_load_dword v0, v[0:1] offset:212
	s_waitcnt vmcnt(0) lgkmcnt(0)
	v_add_u32_e32 v0, -1, v0
	v_cmp_ne_u32_e32 vcc, 53, v0
	s_and_saveexec_b64 s[4:5], vcc
	s_cbranch_execz .LBB56_362
; %bb.361:
	v_mov_b32_e32 v1, 0
	v_lshl_add_u32 v0, v0, 3, v1
	buffer_load_dword v1, v0, s[0:3], 0 offen
	buffer_load_dword v2, v0, s[0:3], 0 offen offset:4
	buffer_load_dword v3, off, s[0:3], 0 offset:424
	buffer_load_dword v4, off, s[0:3], 0 offset:428
	s_waitcnt vmcnt(3)
	buffer_store_dword v1, off, s[0:3], 0 offset:424
	s_waitcnt vmcnt(3)
	buffer_store_dword v2, off, s[0:3], 0 offset:428
	s_waitcnt vmcnt(3)
	buffer_store_dword v3, v0, s[0:3], 0 offen
	s_waitcnt vmcnt(3)
	buffer_store_dword v4, v0, s[0:3], 0 offen offset:4
.LBB56_362:
	s_or_b64 exec, exec, s[4:5]
	v_pk_mov_b32 v[0:1], s[10:11], s[10:11] op_sel:[0,1]
	flat_load_dword v0, v[0:1] offset:208
	s_waitcnt vmcnt(0) lgkmcnt(0)
	v_add_u32_e32 v0, -1, v0
	v_cmp_ne_u32_e32 vcc, 52, v0
	s_and_saveexec_b64 s[4:5], vcc
	s_cbranch_execz .LBB56_364
; %bb.363:
	v_mov_b32_e32 v1, 0
	v_lshl_add_u32 v0, v0, 3, v1
	buffer_load_dword v1, v0, s[0:3], 0 offen
	buffer_load_dword v2, v0, s[0:3], 0 offen offset:4
	buffer_load_dword v3, off, s[0:3], 0 offset:420
	buffer_load_dword v4, off, s[0:3], 0 offset:416
	s_waitcnt vmcnt(3)
	buffer_store_dword v1, off, s[0:3], 0 offset:416
	s_waitcnt vmcnt(3)
	buffer_store_dword v2, off, s[0:3], 0 offset:420
	s_waitcnt vmcnt(3)
	buffer_store_dword v3, v0, s[0:3], 0 offen offset:4
	s_waitcnt vmcnt(3)
	buffer_store_dword v4, v0, s[0:3], 0 offen
.LBB56_364:
	s_or_b64 exec, exec, s[4:5]
	;; [unrolled: 48-line block ×27, first 2 shown]
	v_pk_mov_b32 v[0:1], s[10:11], s[10:11] op_sel:[0,1]
	flat_load_dword v0, v[0:1] offset:4
	s_waitcnt vmcnt(0) lgkmcnt(0)
	v_add_u32_e32 v0, -1, v0
	v_cmp_ne_u32_e32 vcc, 1, v0
	s_and_saveexec_b64 s[4:5], vcc
	s_cbranch_execz .LBB56_466
; %bb.465:
	v_mov_b32_e32 v1, 0
	v_lshl_add_u32 v0, v0, 3, v1
	buffer_load_dword v1, v0, s[0:3], 0 offen
	buffer_load_dword v2, v0, s[0:3], 0 offen offset:4
	buffer_load_dword v3, off, s[0:3], 0 offset:8
	buffer_load_dword v4, off, s[0:3], 0 offset:12
	s_waitcnt vmcnt(3)
	buffer_store_dword v1, off, s[0:3], 0 offset:8
	s_waitcnt vmcnt(3)
	buffer_store_dword v2, off, s[0:3], 0 offset:12
	s_waitcnt vmcnt(3)
	buffer_store_dword v3, v0, s[0:3], 0 offen
	s_waitcnt vmcnt(3)
	buffer_store_dword v4, v0, s[0:3], 0 offen offset:4
.LBB56_466:
	s_or_b64 exec, exec, s[4:5]
	v_pk_mov_b32 v[0:1], s[10:11], s[10:11] op_sel:[0,1]
	flat_load_dword v2, v[0:1]
	s_nop 0
	buffer_load_dword v0, off, s[0:3], 0
	buffer_load_dword v1, off, s[0:3], 0 offset:4
	s_waitcnt vmcnt(0) lgkmcnt(0)
	v_add_u32_e32 v2, -1, v2
	v_cmp_ne_u32_e32 vcc, 0, v2
	s_and_saveexec_b64 s[4:5], vcc
	s_cbranch_execz .LBB56_468
; %bb.467:
	v_mov_b32_e32 v3, 0
	v_lshl_add_u32 v2, v2, 3, v3
	buffer_load_dword v3, v2, s[0:3], 0 offen offset:4
	buffer_load_dword v4, v2, s[0:3], 0 offen
	s_waitcnt vmcnt(1)
	buffer_store_dword v3, off, s[0:3], 0 offset:4
	s_waitcnt vmcnt(1)
	buffer_store_dword v4, off, s[0:3], 0
	buffer_store_dword v1, v2, s[0:3], 0 offen offset:4
	buffer_store_dword v0, v2, s[0:3], 0 offen
	buffer_load_dword v0, off, s[0:3], 0
	s_nop 0
	buffer_load_dword v1, off, s[0:3], 0 offset:4
.LBB56_468:
	s_or_b64 exec, exec, s[4:5]
.LBB56_469:
	buffer_load_dword v2, off, s[0:3], 0 offset:8
	buffer_load_dword v3, off, s[0:3], 0 offset:12
	;; [unrolled: 1-line block ×112, first 2 shown]
	s_waitcnt vmcnt(62)
	global_store_dwordx2 v[196:197], v[0:1], off
	global_store_dwordx2 v[200:201], v[2:3], off
	v_accvgpr_read_b32 v0, a0
	v_accvgpr_read_b32 v1, a1
	global_store_dwordx2 v[0:1], v[4:5], off
	v_accvgpr_read_b32 v0, a2
	v_accvgpr_read_b32 v1, a3
	;; [unrolled: 3-line block ×25, first 2 shown]
	s_waitcnt vmcnt(62)
	global_store_dwordx2 v[0:1], v[52:53], off
	v_accvgpr_read_b32 v0, a50
	v_accvgpr_read_b32 v1, a51
	global_store_dwordx2 v[0:1], v[54:55], off
	v_accvgpr_read_b32 v0, a52
	v_accvgpr_read_b32 v1, a53
	;; [unrolled: 3-line block ×11, first 2 shown]
	global_store_dwordx2 v[0:1], v[74:75], off
	global_store_dwordx2 v[166:167], v[76:77], off
	s_waitcnt vmcnt(62)
	global_store_dwordx2 v[168:169], v[78:79], off
	global_store_dwordx2 v[170:171], v[80:81], off
	;; [unrolled: 1-line block ×6, first 2 shown]
	s_waitcnt vmcnt(62)
	global_store_dwordx2 v[180:181], v[90:91], off
	global_store_dwordx2 v[182:183], v[92:93], off
	;; [unrolled: 1-line block ×3, first 2 shown]
	s_waitcnt vmcnt(62)
	global_store_dwordx2 v[186:187], v[96:97], off
	global_store_dwordx2 v[188:189], v[98:99], off
	s_waitcnt vmcnt(62)
	global_store_dwordx2 v[190:191], v[100:101], off
	s_waitcnt vmcnt(61)
	;; [unrolled: 2-line block ×7, first 2 shown]
	global_store_dwordx2 v[206:207], v[112:113], off
	s_endpgm
	.section	.rodata,"a",@progbits
	.p2align	6, 0x0
	.amdhsa_kernel _ZN9rocsolver6v33100L18getri_kernel_smallILi57E19rocblas_complex_numIfEPS3_EEvT1_iilPiilS6_bb
		.amdhsa_group_segment_fixed_size 920
		.amdhsa_private_segment_fixed_size 464
		.amdhsa_kernarg_size 60
		.amdhsa_user_sgpr_count 8
		.amdhsa_user_sgpr_private_segment_buffer 1
		.amdhsa_user_sgpr_dispatch_ptr 0
		.amdhsa_user_sgpr_queue_ptr 0
		.amdhsa_user_sgpr_kernarg_segment_ptr 1
		.amdhsa_user_sgpr_dispatch_id 0
		.amdhsa_user_sgpr_flat_scratch_init 1
		.amdhsa_user_sgpr_kernarg_preload_length 0
		.amdhsa_user_sgpr_kernarg_preload_offset 0
		.amdhsa_user_sgpr_private_segment_size 0
		.amdhsa_uses_dynamic_stack 0
		.amdhsa_system_sgpr_private_segment_wavefront_offset 1
		.amdhsa_system_sgpr_workgroup_id_x 1
		.amdhsa_system_sgpr_workgroup_id_y 0
		.amdhsa_system_sgpr_workgroup_id_z 0
		.amdhsa_system_sgpr_workgroup_info 0
		.amdhsa_system_vgpr_workitem_id 0
		.amdhsa_next_free_vgpr 328
		.amdhsa_next_free_sgpr 23
		.amdhsa_accum_offset 256
		.amdhsa_reserve_vcc 1
		.amdhsa_reserve_flat_scratch 1
		.amdhsa_float_round_mode_32 0
		.amdhsa_float_round_mode_16_64 0
		.amdhsa_float_denorm_mode_32 3
		.amdhsa_float_denorm_mode_16_64 3
		.amdhsa_dx10_clamp 1
		.amdhsa_ieee_mode 1
		.amdhsa_fp16_overflow 0
		.amdhsa_tg_split 0
		.amdhsa_exception_fp_ieee_invalid_op 0
		.amdhsa_exception_fp_denorm_src 0
		.amdhsa_exception_fp_ieee_div_zero 0
		.amdhsa_exception_fp_ieee_overflow 0
		.amdhsa_exception_fp_ieee_underflow 0
		.amdhsa_exception_fp_ieee_inexact 0
		.amdhsa_exception_int_div_zero 0
	.end_amdhsa_kernel
	.section	.text._ZN9rocsolver6v33100L18getri_kernel_smallILi57E19rocblas_complex_numIfEPS3_EEvT1_iilPiilS6_bb,"axG",@progbits,_ZN9rocsolver6v33100L18getri_kernel_smallILi57E19rocblas_complex_numIfEPS3_EEvT1_iilPiilS6_bb,comdat
.Lfunc_end56:
	.size	_ZN9rocsolver6v33100L18getri_kernel_smallILi57E19rocblas_complex_numIfEPS3_EEvT1_iilPiilS6_bb, .Lfunc_end56-_ZN9rocsolver6v33100L18getri_kernel_smallILi57E19rocblas_complex_numIfEPS3_EEvT1_iilPiilS6_bb
                                        ; -- End function
	.section	.AMDGPU.csdata,"",@progbits
; Kernel info:
; codeLenInByte = 123304
; NumSgprs: 29
; NumVgprs: 256
; NumAgprs: 72
; TotalNumVgprs: 328
; ScratchSize: 464
; MemoryBound: 0
; FloatMode: 240
; IeeeMode: 1
; LDSByteSize: 920 bytes/workgroup (compile time only)
; SGPRBlocks: 3
; VGPRBlocks: 40
; NumSGPRsForWavesPerEU: 29
; NumVGPRsForWavesPerEU: 328
; AccumOffset: 256
; Occupancy: 1
; WaveLimiterHint : 1
; COMPUTE_PGM_RSRC2:SCRATCH_EN: 1
; COMPUTE_PGM_RSRC2:USER_SGPR: 8
; COMPUTE_PGM_RSRC2:TRAP_HANDLER: 0
; COMPUTE_PGM_RSRC2:TGID_X_EN: 1
; COMPUTE_PGM_RSRC2:TGID_Y_EN: 0
; COMPUTE_PGM_RSRC2:TGID_Z_EN: 0
; COMPUTE_PGM_RSRC2:TIDIG_COMP_CNT: 0
; COMPUTE_PGM_RSRC3_GFX90A:ACCUM_OFFSET: 63
; COMPUTE_PGM_RSRC3_GFX90A:TG_SPLIT: 0
	.section	.text._ZN9rocsolver6v33100L18getri_kernel_smallILi58E19rocblas_complex_numIfEPS3_EEvT1_iilPiilS6_bb,"axG",@progbits,_ZN9rocsolver6v33100L18getri_kernel_smallILi58E19rocblas_complex_numIfEPS3_EEvT1_iilPiilS6_bb,comdat
	.globl	_ZN9rocsolver6v33100L18getri_kernel_smallILi58E19rocblas_complex_numIfEPS3_EEvT1_iilPiilS6_bb ; -- Begin function _ZN9rocsolver6v33100L18getri_kernel_smallILi58E19rocblas_complex_numIfEPS3_EEvT1_iilPiilS6_bb
	.p2align	8
	.type	_ZN9rocsolver6v33100L18getri_kernel_smallILi58E19rocblas_complex_numIfEPS3_EEvT1_iilPiilS6_bb,@function
_ZN9rocsolver6v33100L18getri_kernel_smallILi58E19rocblas_complex_numIfEPS3_EEvT1_iilPiilS6_bb: ; @_ZN9rocsolver6v33100L18getri_kernel_smallILi58E19rocblas_complex_numIfEPS3_EEvT1_iilPiilS6_bb
; %bb.0:
	s_add_u32 flat_scratch_lo, s6, s9
	s_addc_u32 flat_scratch_hi, s7, 0
	s_add_u32 s0, s0, s9
	s_addc_u32 s1, s1, 0
	v_cmp_gt_u32_e32 vcc, 58, v0
	s_and_saveexec_b64 s[6:7], vcc
	s_cbranch_execz .LBB57_246
; %bb.1:
	s_load_dword s22, s[4:5], 0x38
	s_load_dwordx4 s[16:19], s[4:5], 0x10
	s_load_dwordx4 s[12:15], s[4:5], 0x28
                                        ; implicit-def: $sgpr10_sgpr11
	s_waitcnt lgkmcnt(0)
	s_bitcmp1_b32 s22, 8
	s_cselect_b64 s[20:21], -1, 0
	s_ashr_i32 s9, s8, 31
	s_bfe_u32 s6, s22, 0x10008
	s_cmp_eq_u32 s6, 0
	s_cbranch_scc1 .LBB57_3
; %bb.2:
	s_load_dword s6, s[4:5], 0x20
	s_mul_i32 s7, s8, s13
	s_mul_hi_u32 s10, s8, s12
	s_mul_i32 s11, s9, s12
	s_add_i32 s10, s10, s7
	s_add_i32 s11, s10, s11
	s_mul_i32 s10, s8, s12
	s_waitcnt lgkmcnt(0)
	s_ashr_i32 s7, s6, 31
	s_lshl_b64 s[10:11], s[10:11], 2
	s_add_u32 s10, s18, s10
	s_addc_u32 s11, s19, s11
	s_lshl_b64 s[6:7], s[6:7], 2
	s_add_u32 s10, s10, s6
	s_addc_u32 s11, s11, s7
.LBB57_3:
	s_load_dwordx4 s[4:7], s[4:5], 0x0
	s_mul_i32 s12, s8, s17
	s_mul_hi_u32 s13, s8, s16
	s_add_i32 s17, s13, s12
	v_lshlrev_b32_e32 v6, 3, v0
	s_waitcnt lgkmcnt(0)
	s_ashr_i32 s13, s6, 31
	s_mov_b32 s12, s6
	s_mul_i32 s6, s9, s16
	s_add_i32 s17, s17, s6
	s_mul_i32 s16, s8, s16
	s_lshl_b64 s[16:17], s[16:17], 3
	s_add_u32 s6, s4, s16
	s_addc_u32 s16, s5, s17
	s_lshl_b64 s[4:5], s[12:13], 3
	s_add_u32 s4, s6, s4
	s_addc_u32 s5, s16, s5
	s_add_i32 s6, s7, s7
	v_add_u32_e32 v2, s6, v0
	v_ashrrev_i32_e32 v3, 31, v2
	v_lshlrev_b64 v[4:5], 3, v[2:3]
	v_add_u32_e32 v2, s7, v2
	v_mov_b32_e32 v1, s5
	v_add_co_u32_e32 v12, vcc, s4, v4
	v_ashrrev_i32_e32 v3, 31, v2
	v_addc_co_u32_e32 v13, vcc, v1, v5, vcc
	v_lshlrev_b64 v[4:5], 3, v[2:3]
	v_add_u32_e32 v2, s7, v2
	v_add_co_u32_e32 v14, vcc, s4, v4
	v_ashrrev_i32_e32 v3, 31, v2
	v_addc_co_u32_e32 v15, vcc, v1, v5, vcc
	v_lshlrev_b64 v[4:5], 3, v[2:3]
	v_add_u32_e32 v2, s7, v2
	;; [unrolled: 5-line block ×47, first 2 shown]
	v_add_co_u32_e32 v194, vcc, s4, v4
	v_ashrrev_i32_e32 v3, 31, v2
	v_addc_co_u32_e32 v195, vcc, v1, v5, vcc
	v_lshlrev_b64 v[4:5], 3, v[2:3]
	v_add_co_u32_e32 v196, vcc, s4, v4
	v_add_u32_e32 v2, s7, v2
	v_addc_co_u32_e32 v197, vcc, v1, v5, vcc
	v_ashrrev_i32_e32 v3, 31, v2
	v_lshlrev_b64 v[4:5], 3, v[2:3]
	v_mov_b32_e32 v3, s5
	v_add_co_u32_e32 v206, vcc, s4, v6
	s_ashr_i32 s13, s7, 31
	s_mov_b32 s12, s7
	v_addc_co_u32_e32 v207, vcc, 0, v3, vcc
	s_lshl_b64 s[12:13], s[12:13], 3
	v_mov_b32_e32 v3, s13
	v_add_co_u32_e32 v208, vcc, s12, v206
	v_addc_co_u32_e32 v209, vcc, v207, v3, vcc
	v_accvgpr_write_b32 a0, v12
	v_add_co_u32_e32 v198, vcc, s4, v4
	v_accvgpr_write_b32 a4, v16
	global_load_dwordx2 v[8:9], v6, s[4:5]
	v_accvgpr_write_b32 a1, v13
	global_load_dwordx2 v[12:13], v[12:13], off
	v_addc_co_u32_e32 v199, vcc, v1, v5, vcc
	global_load_dwordx2 v[4:5], v[14:15], off
	v_add_u32_e32 v2, s7, v2
	v_accvgpr_write_b32 a5, v17
	global_load_dwordx2 v[16:17], v[16:17], off
	v_ashrrev_i32_e32 v3, 31, v2
	v_accvgpr_write_b32 a2, v14
	v_accvgpr_write_b32 a3, v15
	v_lshlrev_b64 v[14:15], 3, v[2:3]
	v_add_co_u32_e32 v200, vcc, s4, v14
	global_load_dwordx2 v[10:11], v[208:209], off
	v_addc_co_u32_e32 v201, vcc, v1, v15, vcc
	global_load_dwordx2 v[14:15], v[18:19], off
	v_accvgpr_write_b32 a6, v18
	v_accvgpr_write_b32 a10, v22
	v_accvgpr_write_b32 a16, v28
	v_accvgpr_write_b32 a7, v19
	v_accvgpr_write_b32 a11, v23
	global_load_dwordx2 v[22:23], v[22:23], off
	v_accvgpr_write_b32 a17, v29
	global_load_dwordx2 v[28:29], v[28:29], off
	v_add_u32_e32 v2, s7, v2
	global_load_dwordx2 v[18:19], v[20:21], off
	v_ashrrev_i32_e32 v3, 31, v2
	v_accvgpr_write_b32 a8, v20
	v_accvgpr_write_b32 a14, v26
	;; [unrolled: 1-line block ×5, first 2 shown]
	global_load_dwordx2 v[26:27], v[26:27], off
	v_accvgpr_write_b32 a27, v39
	global_load_dwordx2 v[38:39], v[38:39], off
	v_lshlrev_b64 v[20:21], 3, v[2:3]
	v_add_co_u32_e32 v202, vcc, s4, v20
	v_addc_co_u32_e32 v203, vcc, v1, v21, vcc
	global_load_dwordx2 v[20:21], v[24:25], off
	v_add_u32_e32 v2, s7, v2
	v_accvgpr_write_b32 a12, v24
	v_ashrrev_i32_e32 v3, 31, v2
	v_accvgpr_write_b32 a20, v32
	v_accvgpr_write_b32 a13, v25
	;; [unrolled: 1-line block ×3, first 2 shown]
	global_load_dwordx2 v[32:33], v[32:33], off
	v_lshlrev_b64 v[24:25], 3, v[2:3]
	v_add_co_u32_e32 v204, vcc, s4, v24
	v_addc_co_u32_e32 v205, vcc, v1, v25, vcc
	global_load_dwordx2 v[24:25], v[30:31], off
	v_add_u32_e32 v2, s7, v2
	v_ashrrev_i32_e32 v3, 31, v2
	v_accvgpr_write_b32 a18, v30
	v_accvgpr_write_b32 a19, v31
	v_lshlrev_b64 v[30:31], 3, v[2:3]
	v_add_co_u32_e32 v210, vcc, s4, v30
	v_addc_co_u32_e32 v211, vcc, v1, v31, vcc
	global_load_dwordx2 v[30:31], v[34:35], off
	v_accvgpr_write_b32 a22, v34
	v_accvgpr_write_b32 a23, v35
	global_load_dwordx2 v[34:35], v[36:37], off
	v_add_u32_e32 v2, s7, v2
	v_ashrrev_i32_e32 v3, 31, v2
	v_accvgpr_write_b32 a24, v36
	v_accvgpr_write_b32 a25, v37
	v_lshlrev_b64 v[36:37], 3, v[2:3]
	v_add_u32_e32 v2, s7, v2
	v_add_co_u32_e32 v212, vcc, s4, v36
	v_ashrrev_i32_e32 v3, 31, v2
	v_addc_co_u32_e32 v213, vcc, v1, v37, vcc
	v_lshlrev_b64 v[2:3], 3, v[2:3]
	v_accvgpr_write_b32 a28, v40
	v_accvgpr_write_b32 a30, v42
	;; [unrolled: 1-line block ×6, first 2 shown]
	v_add_co_u32_e32 v214, vcc, s4, v2
	v_accvgpr_write_b32 a29, v41
	global_load_dwordx2 v[36:37], v[40:41], off
	v_accvgpr_write_b32 a31, v43
	global_load_dwordx2 v[40:41], v[42:43], off
	;; [unrolled: 2-line block ×6, first 2 shown]
	v_addc_co_u32_e32 v215, vcc, v1, v3, vcc
	global_load_dwordx2 v[2:3], v[52:53], off
	global_load_dwordx2 v[50:51], v[214:215], off
	v_accvgpr_write_b32 a40, v52
	v_accvgpr_write_b32 a41, v53
	global_load_dwordx2 v[52:53], v[54:55], off
	v_accvgpr_write_b32 a42, v54
	v_accvgpr_write_b32 a43, v55
	s_waitcnt vmcnt(24)
	buffer_store_dword v9, off, s[0:3], 0 offset:4
	buffer_store_dword v8, off, s[0:3], 0
	global_load_dwordx2 v[8:9], v[58:59], off
	v_accvgpr_write_b32 a44, v56
	s_waitcnt vmcnt(26)
	buffer_store_dword v13, off, s[0:3], 0 offset:20
	buffer_store_dword v12, off, s[0:3], 0 offset:16
	global_load_dwordx2 v[12:13], v[66:67], off
	v_accvgpr_write_b32 a45, v57
	s_waitcnt vmcnt(27)
	buffer_store_dword v17, off, s[0:3], 0 offset:36
	buffer_store_dword v16, off, s[0:3], 0 offset:32
	global_load_dwordx2 v[16:17], v[74:75], off
	v_accvgpr_write_b32 a46, v58
	global_load_dwordx2 v[54:55], v[56:57], off
	v_accvgpr_write_b32 a47, v59
	s_waitcnt vmcnt(30)
	buffer_store_dword v11, off, s[0:3], 0 offset:12
	buffer_store_dword v10, off, s[0:3], 0 offset:8
	global_load_dwordx2 v[10:11], v[62:63], off
	v_accvgpr_write_b32 a48, v60
	buffer_store_dword v5, off, s[0:3], 0 offset:28
	buffer_store_dword v4, off, s[0:3], 0 offset:24
	global_load_dwordx2 v[4:5], v[70:71], off
	v_accvgpr_write_b32 a50, v62
	s_waitcnt vmcnt(35)
	buffer_store_dword v15, off, s[0:3], 0 offset:44
	buffer_store_dword v14, off, s[0:3], 0 offset:40
	global_load_dwordx2 v[14:15], v[78:79], off
	v_accvgpr_write_b32 a54, v66
	global_load_dwordx2 v[56:57], v[60:61], off
	global_load_dwordx2 v[58:59], v[64:65], off
	v_accvgpr_write_b32 a49, v61
	v_accvgpr_write_b32 a51, v63
	global_load_dwordx2 v[62:63], v[72:73], off
	v_accvgpr_write_b32 a55, v67
	global_load_dwordx2 v[66:67], v[80:81], off
	global_load_dwordx2 v[60:61], v[68:69], off
	v_accvgpr_write_b32 a52, v64
	v_accvgpr_write_b32 a53, v65
	global_load_dwordx2 v[64:65], v[76:77], off
	v_accvgpr_write_b32 a56, v68
	s_waitcnt vmcnt(41)
	buffer_store_dword v19, off, s[0:3], 0 offset:52
	buffer_store_dword v18, off, s[0:3], 0 offset:48
	global_load_dwordx2 v[18:19], v[82:83], off
	v_accvgpr_write_b32 a57, v69
	buffer_store_dword v23, off, s[0:3], 0 offset:60
	buffer_store_dword v22, off, s[0:3], 0 offset:56
	global_load_dwordx2 v[22:23], v[86:87], off
	v_accvgpr_write_b32 a58, v70
	global_load_dwordx2 v[68:69], v[84:85], off
	v_accvgpr_write_b32 a59, v71
	;; [unrolled: 2-line block ×3, first 2 shown]
	s_waitcnt vmcnt(46)
	buffer_store_dword v21, off, s[0:3], 0 offset:68
	buffer_store_dword v20, off, s[0:3], 0 offset:64
	global_load_dwordx2 v[20:21], v[90:91], off
	v_accvgpr_write_b32 a61, v73
	global_load_dwordx2 v[72:73], v[180:181], off
	v_accvgpr_write_b32 a62, v74
	buffer_store_dword v26, off, s[0:3], 0 offset:72
	buffer_store_dword v27, off, s[0:3], 0 offset:76
	global_load_dwordx2 v[26:27], v[182:183], off
	v_accvgpr_write_b32 a63, v75
	global_load_dwordx2 v[74:75], v[184:185], off
	v_accvgpr_write_b32 a64, v76
	;; [unrolled: 6-line block ×3, first 2 shown]
	s_waitcnt vmcnt(56)
	buffer_store_dword v24, off, s[0:3], 0 offset:88
	buffer_store_dword v25, off, s[0:3], 0 offset:92
	global_load_dwordx2 v[24:25], v[190:191], off
	v_accvgpr_write_b32 a67, v79
	global_load_dwordx2 v[78:79], v[192:193], off
	v_accvgpr_write_b32 a68, v80
	buffer_store_dword v32, off, s[0:3], 0 offset:96
	buffer_store_dword v33, off, s[0:3], 0 offset:100
	global_load_dwordx2 v[32:33], v[194:195], off
	v_accvgpr_write_b32 a69, v81
	global_load_dwordx2 v[80:81], v[196:197], off
	v_accvgpr_write_b32 a70, v82
	s_waitcnt vmcnt(62)
	buffer_store_dword v30, off, s[0:3], 0 offset:104
	buffer_store_dword v31, off, s[0:3], 0 offset:108
	global_load_dwordx2 v[30:31], v[198:199], off
	v_accvgpr_write_b32 a71, v83
	global_load_dwordx2 v[82:83], v[200:201], off
	v_accvgpr_write_b32 a72, v84
	buffer_store_dword v35, off, s[0:3], 0 offset:116
	buffer_store_dword v34, off, s[0:3], 0 offset:112
	global_load_dwordx2 v[34:35], v[202:203], off
	v_accvgpr_write_b32 a73, v85
	global_load_dwordx2 v[84:85], v[204:205], off
	v_accvgpr_write_b32 a74, v86
	buffer_store_dword v38, off, s[0:3], 0 offset:120
	buffer_store_dword v39, off, s[0:3], 0 offset:124
	global_load_dwordx2 v[38:39], v[210:211], off
	v_accvgpr_write_b32 a76, v88
	v_accvgpr_write_b32 a78, v90
	;; [unrolled: 1-line block ×3, first 2 shown]
	global_load_dwordx2 v[86:87], v[212:213], off
	v_accvgpr_write_b32 a77, v89
	v_accvgpr_write_b32 a79, v91
	s_bitcmp0_b32 s22, 0
	s_mov_b64 s[6:7], -1
	s_waitcnt vmcnt(62)
	buffer_store_dword v36, off, s[0:3], 0 offset:128
	buffer_store_dword v37, off, s[0:3], 0 offset:132
	;; [unrolled: 1-line block ×16, first 2 shown]
	s_waitcnt vmcnt(62)
	buffer_store_dword v54, off, s[0:3], 0 offset:192
	buffer_store_dword v55, off, s[0:3], 0 offset:196
	;; [unrolled: 1-line block ×4, first 2 shown]
	s_waitcnt vmcnt(62)
	buffer_store_dword v57, off, s[0:3], 0 offset:212
	buffer_store_dword v56, off, s[0:3], 0 offset:208
	;; [unrolled: 1-line block ×8, first 2 shown]
	s_waitcnt vmcnt(62)
	buffer_store_dword v60, off, s[0:3], 0 offset:240
	buffer_store_dword v61, off, s[0:3], 0 offset:244
	;; [unrolled: 1-line block ×16, first 2 shown]
	s_waitcnt vmcnt(62)
	buffer_store_dword v69, off, s[0:3], 0 offset:308
	buffer_store_dword v68, off, s[0:3], 0 offset:304
	buffer_store_dword v22, off, s[0:3], 0 offset:312
	buffer_store_dword v23, off, s[0:3], 0 offset:316
	buffer_store_dword v70, off, s[0:3], 0 offset:320
	buffer_store_dword v71, off, s[0:3], 0 offset:324
	buffer_store_dword v20, off, s[0:3], 0 offset:328
	buffer_store_dword v21, off, s[0:3], 0 offset:332
	buffer_store_dword v72, off, s[0:3], 0 offset:336
	buffer_store_dword v73, off, s[0:3], 0 offset:340
	buffer_store_dword v27, off, s[0:3], 0 offset:348
	buffer_store_dword v26, off, s[0:3], 0 offset:344
	buffer_store_dword v75, off, s[0:3], 0 offset:356
	buffer_store_dword v74, off, s[0:3], 0 offset:352
	buffer_store_dword v28, off, s[0:3], 0 offset:360
	buffer_store_dword v29, off, s[0:3], 0 offset:364
	buffer_store_dword v76, off, s[0:3], 0 offset:368
	buffer_store_dword v77, off, s[0:3], 0 offset:372
	s_waitcnt vmcnt(62)
	buffer_store_dword v24, off, s[0:3], 0 offset:376
	buffer_store_dword v25, off, s[0:3], 0 offset:380
	buffer_store_dword v78, off, s[0:3], 0 offset:384
	buffer_store_dword v79, off, s[0:3], 0 offset:388
	buffer_store_dword v33, off, s[0:3], 0 offset:396
	buffer_store_dword v32, off, s[0:3], 0 offset:392
	buffer_store_dword v81, off, s[0:3], 0 offset:404
	buffer_store_dword v80, off, s[0:3], 0 offset:400
	buffer_store_dword v30, off, s[0:3], 0 offset:408
	buffer_store_dword v31, off, s[0:3], 0 offset:412
	buffer_store_dword v82, off, s[0:3], 0 offset:416
	buffer_store_dword v83, off, s[0:3], 0 offset:420
	buffer_store_dword v34, off, s[0:3], 0 offset:424
	buffer_store_dword v35, off, s[0:3], 0 offset:428
	buffer_store_dword v84, off, s[0:3], 0 offset:432
	buffer_store_dword v85, off, s[0:3], 0 offset:436
	buffer_store_dword v39, off, s[0:3], 0 offset:444
	buffer_store_dword v38, off, s[0:3], 0 offset:440
	buffer_store_dword v87, off, s[0:3], 0 offset:452
	buffer_store_dword v86, off, s[0:3], 0 offset:448
	buffer_store_dword v50, off, s[0:3], 0 offset:456
	buffer_store_dword v51, off, s[0:3], 0 offset:460
	s_cbranch_scc1 .LBB57_244
; %bb.4:
	v_cmp_eq_u32_e64 s[4:5], 0, v0
	s_and_saveexec_b64 s[6:7], s[4:5]
	s_cbranch_execz .LBB57_6
; %bb.5:
	v_mov_b32_e32 v1, 0
	ds_write_b32 v1, v1 offset:928
.LBB57_6:
	s_or_b64 exec, exec, s[6:7]
	v_mov_b32_e32 v1, 0
	v_lshl_add_u32 v7, v0, 3, v1
	s_waitcnt lgkmcnt(0)
	; wave barrier
	s_waitcnt lgkmcnt(0)
	buffer_load_dword v1, v7, s[0:3], 0 offen
	buffer_load_dword v2, v7, s[0:3], 0 offen offset:4
	s_waitcnt vmcnt(1)
	v_cmp_eq_f32_e32 vcc, 0, v1
	s_waitcnt vmcnt(0)
	v_cmp_eq_f32_e64 s[6:7], 0, v2
	s_and_b64 s[6:7], vcc, s[6:7]
	s_and_saveexec_b64 s[12:13], s[6:7]
	s_cbranch_execz .LBB57_10
; %bb.7:
	v_mov_b32_e32 v1, 0
	ds_read_b32 v3, v1 offset:928
	v_add_u32_e32 v2, 1, v0
	s_waitcnt lgkmcnt(0)
	v_readfirstlane_b32 s6, v3
	s_cmp_eq_u32 s6, 0
	s_cselect_b64 s[16:17], -1, 0
	v_cmp_gt_i32_e32 vcc, s6, v2
	s_or_b64 s[16:17], s[16:17], vcc
	s_and_b64 exec, exec, s[16:17]
	s_cbranch_execz .LBB57_10
; %bb.8:
	s_mov_b64 s[16:17], 0
	v_mov_b32_e32 v3, s6
.LBB57_9:                               ; =>This Inner Loop Header: Depth=1
	ds_cmpst_rtn_b32 v3, v1, v3, v2 offset:928
	s_waitcnt lgkmcnt(0)
	v_cmp_ne_u32_e32 vcc, 0, v3
	v_cmp_le_i32_e64 s[6:7], v3, v2
	s_and_b64 s[6:7], vcc, s[6:7]
	s_and_b64 s[6:7], exec, s[6:7]
	s_or_b64 s[16:17], s[6:7], s[16:17]
	s_andn2_b64 exec, exec, s[16:17]
	s_cbranch_execnz .LBB57_9
.LBB57_10:
	s_or_b64 exec, exec, s[12:13]
	v_mov_b32_e32 v2, 0
	s_waitcnt lgkmcnt(0)
	; wave barrier
	ds_read_b32 v1, v2 offset:928
	s_and_saveexec_b64 s[6:7], s[4:5]
	s_cbranch_execz .LBB57_12
; %bb.11:
	s_lshl_b64 s[12:13], s[8:9], 2
	s_add_u32 s12, s14, s12
	s_addc_u32 s13, s15, s13
	s_waitcnt lgkmcnt(0)
	global_store_dword v2, v1, s[12:13]
.LBB57_12:
	s_or_b64 exec, exec, s[6:7]
	s_waitcnt lgkmcnt(0)
	v_cmp_ne_u32_e32 vcc, 0, v1
	s_mov_b64 s[6:7], 0
	s_cbranch_vccnz .LBB57_244
; %bb.13:
	buffer_load_dword v8, v7, s[0:3], 0 offen offset:4
	buffer_load_dword v3, v7, s[0:3], 0 offen
	s_waitcnt vmcnt(1)
	v_cmp_gt_f32_e32 vcc, 0, v8
	v_cndmask_b32_e64 v1, v8, -v8, vcc
	s_waitcnt vmcnt(0)
	v_cmp_gt_f32_e32 vcc, 0, v3
	v_cndmask_b32_e64 v2, v3, -v3, vcc
	v_cmp_ngt_f32_e32 vcc, v2, v1
                                        ; implicit-def: $vgpr1
                                        ; implicit-def: $vgpr2
	s_and_saveexec_b64 s[6:7], vcc
	s_xor_b64 s[6:7], exec, s[6:7]
                                        ; implicit-def: $vgpr4_vgpr5
	s_cbranch_execz .LBB57_15
; %bb.14:
	v_div_scale_f32 v1, s[12:13], v8, v8, v3
	v_rcp_f32_e32 v2, v1
	v_div_scale_f32 v4, vcc, v3, v8, v3
	v_fma_f32 v5, -v1, v2, 1.0
	v_fmac_f32_e32 v2, v5, v2
	v_mul_f32_e32 v5, v4, v2
	v_fma_f32 v9, -v1, v5, v4
	v_fmac_f32_e32 v5, v9, v2
	v_fma_f32 v1, -v1, v5, v4
	v_div_fmas_f32 v1, v1, v2, v5
	v_div_fixup_f32 v2, v1, v8, v3
	v_fmac_f32_e32 v8, v3, v2
	v_div_scale_f32 v1, s[12:13], v8, v8, -1.0
	v_rcp_f32_e32 v3, v1
	v_fma_f32 v4, -v1, v3, 1.0
	v_fmac_f32_e32 v3, v4, v3
	v_div_scale_f32 v4, vcc, -1.0, v8, -1.0
	v_mul_f32_e32 v5, v4, v3
	v_fma_f32 v9, -v1, v5, v4
	v_fmac_f32_e32 v5, v9, v3
	v_fma_f32 v1, -v1, v5, v4
	v_div_fmas_f32 v1, v1, v3, v5
	v_div_fixup_f32 v1, v1, v8, -1.0
	v_mul_f32_e32 v2, v2, v1
	v_xor_b32_e32 v4, 0x80000000, v2
                                        ; implicit-def: $vgpr3
                                        ; implicit-def: $vgpr8
.LBB57_15:
	s_andn2_saveexec_b64 s[6:7], s[6:7]
	s_cbranch_execz .LBB57_17
; %bb.16:
	v_div_scale_f32 v1, s[12:13], v3, v3, v8
	v_rcp_f32_e32 v2, v1
	v_div_scale_f32 v4, vcc, v8, v3, v8
	v_fma_f32 v5, -v1, v2, 1.0
	v_fmac_f32_e32 v2, v5, v2
	v_mul_f32_e32 v5, v4, v2
	v_fma_f32 v9, -v1, v5, v4
	v_fmac_f32_e32 v5, v9, v2
	v_fma_f32 v1, -v1, v5, v4
	v_div_fmas_f32 v1, v1, v2, v5
	v_div_fixup_f32 v1, v1, v3, v8
	v_fmac_f32_e32 v3, v8, v1
	v_div_scale_f32 v2, s[12:13], v3, v3, 1.0
	v_rcp_f32_e32 v4, v2
	v_fma_f32 v5, -v2, v4, 1.0
	v_fmac_f32_e32 v4, v5, v4
	v_div_scale_f32 v5, vcc, 1.0, v3, 1.0
	v_mul_f32_e32 v8, v5, v4
	v_fma_f32 v9, -v2, v8, v5
	v_fmac_f32_e32 v8, v9, v4
	v_fma_f32 v2, -v2, v8, v5
	v_div_fmas_f32 v2, v2, v4, v8
	v_div_fixup_f32 v4, v2, v3, 1.0
	v_xor_b32_e32 v2, 0x80000000, v4
	v_mul_f32_e64 v1, v1, -v4
.LBB57_17:
	s_or_b64 exec, exec, s[6:7]
	buffer_store_dword v1, v7, s[0:3], 0 offen offset:4
	buffer_store_dword v4, v7, s[0:3], 0 offen
	buffer_load_dword v5, off, s[0:3], 0 offset:12
	s_nop 0
	buffer_load_dword v4, off, s[0:3], 0 offset:8
	v_xor_b32_e32 v3, 0x80000000, v1
	v_add_u32_e32 v1, 0x1d0, v6
	s_waitcnt vmcnt(0)
	ds_write2_b64 v6, v[2:3], v[4:5] offset1:58
	s_waitcnt lgkmcnt(0)
	; wave barrier
	s_waitcnt lgkmcnt(0)
	s_and_saveexec_b64 s[6:7], s[4:5]
	s_cbranch_execz .LBB57_19
; %bb.18:
	buffer_load_dword v8, v7, s[0:3], 0 offen offset:4
	buffer_load_dword v9, v7, s[0:3], 0 offen
	ds_read_b64 v[2:3], v1
	v_mov_b32_e32 v4, 0
	ds_read_b64 v[4:5], v4 offset:8
	s_waitcnt vmcnt(1) lgkmcnt(1)
	v_mul_f32_e32 v10, v3, v8
	v_mul_f32_e32 v8, v2, v8
	s_waitcnt vmcnt(0)
	v_fmac_f32_e32 v8, v3, v9
	v_fma_f32 v2, v2, v9, -v10
	v_add_f32_e32 v3, 0, v8
	v_add_f32_e32 v2, 0, v2
	s_waitcnt lgkmcnt(0)
	v_mul_f32_e32 v8, v3, v5
	v_mul_f32_e32 v5, v2, v5
	v_fma_f32 v2, v2, v4, -v8
	v_fmac_f32_e32 v5, v3, v4
	buffer_store_dword v2, off, s[0:3], 0 offset:8
	buffer_store_dword v5, off, s[0:3], 0 offset:12
.LBB57_19:
	s_or_b64 exec, exec, s[6:7]
	s_waitcnt lgkmcnt(0)
	; wave barrier
	buffer_load_dword v2, off, s[0:3], 0 offset:16
	buffer_load_dword v3, off, s[0:3], 0 offset:20
	v_cmp_gt_u32_e32 vcc, 2, v0
	s_waitcnt vmcnt(0)
	ds_write_b64 v1, v[2:3]
	s_waitcnt lgkmcnt(0)
	; wave barrier
	s_waitcnt lgkmcnt(0)
	s_and_saveexec_b64 s[6:7], vcc
	s_cbranch_execz .LBB57_23
; %bb.20:
	buffer_load_dword v4, v7, s[0:3], 0 offen offset:4
	buffer_load_dword v5, v7, s[0:3], 0 offen
	ds_read_b64 v[2:3], v1
	s_waitcnt vmcnt(1) lgkmcnt(0)
	v_mul_f32_e32 v7, v3, v4
	v_mul_f32_e32 v4, v2, v4
	s_waitcnt vmcnt(0)
	v_fma_f32 v2, v2, v5, -v7
	v_fmac_f32_e32 v4, v3, v5
	v_add_f32_e32 v3, 0, v2
	v_add_f32_e32 v2, 0, v4
	s_and_saveexec_b64 s[12:13], s[4:5]
	s_cbranch_execz .LBB57_22
; %bb.21:
	buffer_load_dword v7, off, s[0:3], 0 offset:12
	buffer_load_dword v8, off, s[0:3], 0 offset:8
	v_mov_b32_e32 v4, 0
	ds_read_b64 v[4:5], v4 offset:472
	s_waitcnt vmcnt(1) lgkmcnt(0)
	v_mul_f32_e32 v9, v4, v7
	v_mul_f32_e32 v7, v5, v7
	s_waitcnt vmcnt(0)
	v_fmac_f32_e32 v9, v5, v8
	v_fma_f32 v4, v4, v8, -v7
	v_add_f32_e32 v2, v2, v9
	v_add_f32_e32 v3, v3, v4
.LBB57_22:
	s_or_b64 exec, exec, s[12:13]
	v_mov_b32_e32 v4, 0
	ds_read_b64 v[4:5], v4 offset:16
	s_waitcnt lgkmcnt(0)
	v_mul_f32_e32 v7, v2, v5
	v_mul_f32_e32 v5, v3, v5
	v_fma_f32 v3, v3, v4, -v7
	v_fmac_f32_e32 v5, v2, v4
	buffer_store_dword v3, off, s[0:3], 0 offset:16
	buffer_store_dword v5, off, s[0:3], 0 offset:20
.LBB57_23:
	s_or_b64 exec, exec, s[6:7]
	s_waitcnt lgkmcnt(0)
	; wave barrier
	buffer_load_dword v2, off, s[0:3], 0 offset:24
	buffer_load_dword v3, off, s[0:3], 0 offset:28
	v_cmp_gt_u32_e32 vcc, 3, v0
	s_waitcnt vmcnt(0)
	ds_write_b64 v1, v[2:3]
	v_add_u32_e32 v2, -1, v0
	s_waitcnt lgkmcnt(0)
	; wave barrier
	s_waitcnt lgkmcnt(0)
	s_and_saveexec_b64 s[4:5], vcc
	s_cbranch_execz .LBB57_27
; %bb.24:
	v_add_u32_e32 v4, -1, v0
	v_add_u32_e32 v5, 0x1d0, v6
	v_add_u32_e32 v7, 0, v6
	s_mov_b64 s[6:7], 0
	v_mov_b32_e32 v3, 0
	v_mov_b32_e32 v8, 0
.LBB57_25:                              ; =>This Inner Loop Header: Depth=1
	buffer_load_dword v9, v7, s[0:3], 0 offen offset:4
	buffer_load_dword v12, v7, s[0:3], 0 offen
	ds_read_b64 v[10:11], v5
	v_add_u32_e32 v4, 1, v4
	v_cmp_lt_u32_e32 vcc, 1, v4
	v_add_u32_e32 v5, 8, v5
	v_add_u32_e32 v7, 8, v7
	s_or_b64 s[6:7], vcc, s[6:7]
	s_waitcnt vmcnt(1) lgkmcnt(0)
	v_mul_f32_e32 v13, v11, v9
	v_mul_f32_e32 v9, v10, v9
	s_waitcnt vmcnt(0)
	v_fma_f32 v10, v10, v12, -v13
	v_fmac_f32_e32 v9, v11, v12
	v_add_f32_e32 v8, v8, v10
	v_add_f32_e32 v3, v3, v9
	s_andn2_b64 exec, exec, s[6:7]
	s_cbranch_execnz .LBB57_25
; %bb.26:
	s_or_b64 exec, exec, s[6:7]
	v_mov_b32_e32 v4, 0
	ds_read_b64 v[4:5], v4 offset:24
	s_waitcnt lgkmcnt(0)
	v_mul_f32_e32 v7, v3, v5
	v_mul_f32_e32 v5, v8, v5
	v_fma_f32 v7, v8, v4, -v7
	v_fmac_f32_e32 v5, v3, v4
	buffer_store_dword v7, off, s[0:3], 0 offset:24
	buffer_store_dword v5, off, s[0:3], 0 offset:28
.LBB57_27:
	s_or_b64 exec, exec, s[4:5]
	s_waitcnt lgkmcnt(0)
	; wave barrier
	buffer_load_dword v4, off, s[0:3], 0 offset:32
	buffer_load_dword v5, off, s[0:3], 0 offset:36
	v_cmp_gt_u32_e32 vcc, 4, v0
	s_waitcnt vmcnt(0)
	ds_write_b64 v1, v[4:5]
	s_waitcnt lgkmcnt(0)
	; wave barrier
	s_waitcnt lgkmcnt(0)
	s_and_saveexec_b64 s[4:5], vcc
	s_cbranch_execz .LBB57_31
; %bb.28:
	v_add_u32_e32 v4, -1, v0
	v_add_u32_e32 v5, 0x1d0, v6
	v_add_u32_e32 v7, 0, v6
	s_mov_b64 s[6:7], 0
	v_mov_b32_e32 v3, 0
	v_mov_b32_e32 v8, 0
.LBB57_29:                              ; =>This Inner Loop Header: Depth=1
	buffer_load_dword v9, v7, s[0:3], 0 offen offset:4
	buffer_load_dword v12, v7, s[0:3], 0 offen
	ds_read_b64 v[10:11], v5
	v_add_u32_e32 v4, 1, v4
	v_cmp_lt_u32_e32 vcc, 2, v4
	v_add_u32_e32 v5, 8, v5
	v_add_u32_e32 v7, 8, v7
	s_or_b64 s[6:7], vcc, s[6:7]
	s_waitcnt vmcnt(1) lgkmcnt(0)
	v_mul_f32_e32 v13, v11, v9
	v_mul_f32_e32 v9, v10, v9
	s_waitcnt vmcnt(0)
	v_fma_f32 v10, v10, v12, -v13
	v_fmac_f32_e32 v9, v11, v12
	v_add_f32_e32 v8, v8, v10
	v_add_f32_e32 v3, v3, v9
	s_andn2_b64 exec, exec, s[6:7]
	s_cbranch_execnz .LBB57_29
; %bb.30:
	s_or_b64 exec, exec, s[6:7]
	v_mov_b32_e32 v4, 0
	ds_read_b64 v[4:5], v4 offset:32
	s_waitcnt lgkmcnt(0)
	v_mul_f32_e32 v7, v3, v5
	v_mul_f32_e32 v5, v8, v5
	v_fma_f32 v7, v8, v4, -v7
	v_fmac_f32_e32 v5, v3, v4
	buffer_store_dword v7, off, s[0:3], 0 offset:32
	buffer_store_dword v5, off, s[0:3], 0 offset:36
.LBB57_31:
	s_or_b64 exec, exec, s[4:5]
	s_waitcnt lgkmcnt(0)
	; wave barrier
	buffer_load_dword v4, off, s[0:3], 0 offset:40
	buffer_load_dword v5, off, s[0:3], 0 offset:44
	v_cmp_gt_u32_e32 vcc, 5, v0
	s_waitcnt vmcnt(0)
	ds_write_b64 v1, v[4:5]
	;; [unrolled: 51-line block ×19, first 2 shown]
	s_waitcnt lgkmcnt(0)
	; wave barrier
	s_waitcnt lgkmcnt(0)
	s_and_saveexec_b64 s[4:5], vcc
	s_cbranch_execz .LBB57_103
; %bb.100:
	v_add_u32_e32 v4, -1, v0
	v_add_u32_e32 v5, 0x1d0, v6
	v_add_u32_e32 v7, 0, v6
	s_mov_b64 s[6:7], 0
	v_mov_b32_e32 v3, 0
	v_mov_b32_e32 v8, 0
.LBB57_101:                             ; =>This Inner Loop Header: Depth=1
	buffer_load_dword v9, v7, s[0:3], 0 offen offset:4
	buffer_load_dword v12, v7, s[0:3], 0 offen
	ds_read_b64 v[10:11], v5
	v_add_u32_e32 v4, 1, v4
	v_cmp_lt_u32_e32 vcc, 20, v4
	v_add_u32_e32 v5, 8, v5
	v_add_u32_e32 v7, 8, v7
	s_or_b64 s[6:7], vcc, s[6:7]
	s_waitcnt vmcnt(1) lgkmcnt(0)
	v_mul_f32_e32 v13, v11, v9
	v_mul_f32_e32 v9, v10, v9
	s_waitcnt vmcnt(0)
	v_fma_f32 v10, v10, v12, -v13
	v_fmac_f32_e32 v9, v11, v12
	v_add_f32_e32 v8, v8, v10
	v_add_f32_e32 v3, v3, v9
	s_andn2_b64 exec, exec, s[6:7]
	s_cbranch_execnz .LBB57_101
; %bb.102:
	s_or_b64 exec, exec, s[6:7]
	v_mov_b32_e32 v4, 0
	ds_read_b64 v[4:5], v4 offset:176
	s_waitcnt lgkmcnt(0)
	v_mul_f32_e32 v7, v3, v5
	v_mul_f32_e32 v5, v8, v5
	v_fma_f32 v7, v8, v4, -v7
	v_fmac_f32_e32 v5, v3, v4
	buffer_store_dword v7, off, s[0:3], 0 offset:176
	buffer_store_dword v5, off, s[0:3], 0 offset:180
.LBB57_103:
	s_or_b64 exec, exec, s[4:5]
	s_waitcnt lgkmcnt(0)
	; wave barrier
	buffer_load_dword v4, off, s[0:3], 0 offset:184
	buffer_load_dword v5, off, s[0:3], 0 offset:188
	v_cmp_gt_u32_e32 vcc, 23, v0
	s_waitcnt vmcnt(0)
	ds_write_b64 v1, v[4:5]
	s_waitcnt lgkmcnt(0)
	; wave barrier
	s_waitcnt lgkmcnt(0)
	s_and_saveexec_b64 s[4:5], vcc
	s_cbranch_execz .LBB57_107
; %bb.104:
	v_add_u32_e32 v4, -1, v0
	v_add_u32_e32 v5, 0x1d0, v6
	v_add_u32_e32 v7, 0, v6
	s_mov_b64 s[6:7], 0
	v_mov_b32_e32 v3, 0
	v_mov_b32_e32 v8, 0
.LBB57_105:                             ; =>This Inner Loop Header: Depth=1
	buffer_load_dword v9, v7, s[0:3], 0 offen offset:4
	buffer_load_dword v12, v7, s[0:3], 0 offen
	ds_read_b64 v[10:11], v5
	v_add_u32_e32 v4, 1, v4
	v_cmp_lt_u32_e32 vcc, 21, v4
	v_add_u32_e32 v5, 8, v5
	v_add_u32_e32 v7, 8, v7
	s_or_b64 s[6:7], vcc, s[6:7]
	s_waitcnt vmcnt(1) lgkmcnt(0)
	v_mul_f32_e32 v13, v11, v9
	v_mul_f32_e32 v9, v10, v9
	s_waitcnt vmcnt(0)
	v_fma_f32 v10, v10, v12, -v13
	v_fmac_f32_e32 v9, v11, v12
	v_add_f32_e32 v8, v8, v10
	v_add_f32_e32 v3, v3, v9
	s_andn2_b64 exec, exec, s[6:7]
	s_cbranch_execnz .LBB57_105
; %bb.106:
	s_or_b64 exec, exec, s[6:7]
	v_mov_b32_e32 v4, 0
	ds_read_b64 v[4:5], v4 offset:184
	s_waitcnt lgkmcnt(0)
	v_mul_f32_e32 v7, v3, v5
	v_mul_f32_e32 v5, v8, v5
	v_fma_f32 v7, v8, v4, -v7
	v_fmac_f32_e32 v5, v3, v4
	buffer_store_dword v7, off, s[0:3], 0 offset:184
	buffer_store_dword v5, off, s[0:3], 0 offset:188
.LBB57_107:
	s_or_b64 exec, exec, s[4:5]
	s_waitcnt lgkmcnt(0)
	; wave barrier
	buffer_load_dword v4, off, s[0:3], 0 offset:192
	buffer_load_dword v5, off, s[0:3], 0 offset:196
	v_cmp_gt_u32_e32 vcc, 24, v0
	s_waitcnt vmcnt(0)
	ds_write_b64 v1, v[4:5]
	;; [unrolled: 51-line block ×34, first 2 shown]
	s_waitcnt lgkmcnt(0)
	; wave barrier
	s_waitcnt lgkmcnt(0)
	s_and_saveexec_b64 s[4:5], vcc
	s_cbranch_execz .LBB57_239
; %bb.236:
	v_add_u32_e32 v4, -1, v0
	v_add_u32_e32 v5, 0x1d0, v6
	v_add_u32_e32 v7, 0, v6
	s_mov_b64 s[6:7], 0
	v_mov_b32_e32 v3, 0
	v_mov_b32_e32 v8, 0
.LBB57_237:                             ; =>This Inner Loop Header: Depth=1
	buffer_load_dword v9, v7, s[0:3], 0 offen offset:4
	buffer_load_dword v12, v7, s[0:3], 0 offen
	ds_read_b64 v[10:11], v5
	v_add_u32_e32 v4, 1, v4
	v_cmp_lt_u32_e32 vcc, 54, v4
	v_add_u32_e32 v5, 8, v5
	v_add_u32_e32 v7, 8, v7
	s_or_b64 s[6:7], vcc, s[6:7]
	s_waitcnt vmcnt(1) lgkmcnt(0)
	v_mul_f32_e32 v13, v11, v9
	v_mul_f32_e32 v9, v10, v9
	s_waitcnt vmcnt(0)
	v_fma_f32 v10, v10, v12, -v13
	v_fmac_f32_e32 v9, v11, v12
	v_add_f32_e32 v8, v8, v10
	v_add_f32_e32 v3, v3, v9
	s_andn2_b64 exec, exec, s[6:7]
	s_cbranch_execnz .LBB57_237
; %bb.238:
	s_or_b64 exec, exec, s[6:7]
	v_mov_b32_e32 v4, 0
	ds_read_b64 v[4:5], v4 offset:448
	s_waitcnt lgkmcnt(0)
	v_mul_f32_e32 v7, v3, v5
	v_mul_f32_e32 v5, v8, v5
	v_fma_f32 v7, v8, v4, -v7
	v_fmac_f32_e32 v5, v3, v4
	buffer_store_dword v7, off, s[0:3], 0 offset:448
	buffer_store_dword v5, off, s[0:3], 0 offset:452
.LBB57_239:
	s_or_b64 exec, exec, s[4:5]
	s_waitcnt lgkmcnt(0)
	; wave barrier
	buffer_load_dword v4, off, s[0:3], 0 offset:456
	buffer_load_dword v5, off, s[0:3], 0 offset:460
	v_cmp_ne_u32_e32 vcc, 57, v0
	s_waitcnt vmcnt(0)
	ds_write_b64 v1, v[4:5]
	s_waitcnt lgkmcnt(0)
	; wave barrier
	s_waitcnt lgkmcnt(0)
	s_and_saveexec_b64 s[4:5], vcc
	s_cbranch_execz .LBB57_243
; %bb.240:
	v_add_u32_e32 v3, 0x1d0, v6
	v_add_u32_e32 v4, 0, v6
	s_mov_b64 s[6:7], 0
	v_mov_b32_e32 v1, 0
	v_mov_b32_e32 v5, 0
.LBB57_241:                             ; =>This Inner Loop Header: Depth=1
	buffer_load_dword v8, v4, s[0:3], 0 offen offset:4
	buffer_load_dword v9, v4, s[0:3], 0 offen
	ds_read_b64 v[6:7], v3
	v_add_u32_e32 v2, 1, v2
	v_cmp_lt_u32_e32 vcc, 55, v2
	v_add_u32_e32 v3, 8, v3
	v_add_u32_e32 v4, 8, v4
	s_or_b64 s[6:7], vcc, s[6:7]
	s_waitcnt vmcnt(1) lgkmcnt(0)
	v_mul_f32_e32 v10, v7, v8
	v_mul_f32_e32 v8, v6, v8
	s_waitcnt vmcnt(0)
	v_fma_f32 v6, v6, v9, -v10
	v_fmac_f32_e32 v8, v7, v9
	v_add_f32_e32 v5, v5, v6
	v_add_f32_e32 v1, v1, v8
	s_andn2_b64 exec, exec, s[6:7]
	s_cbranch_execnz .LBB57_241
; %bb.242:
	s_or_b64 exec, exec, s[6:7]
	v_mov_b32_e32 v2, 0
	ds_read_b64 v[2:3], v2 offset:456
	s_waitcnt lgkmcnt(0)
	v_mul_f32_e32 v4, v1, v3
	v_mul_f32_e32 v3, v5, v3
	v_fma_f32 v4, v5, v2, -v4
	v_fmac_f32_e32 v3, v1, v2
	buffer_store_dword v4, off, s[0:3], 0 offset:456
	buffer_store_dword v3, off, s[0:3], 0 offset:460
.LBB57_243:
	s_or_b64 exec, exec, s[4:5]
	s_mov_b64 s[6:7], -1
	s_waitcnt lgkmcnt(0)
	; wave barrier
.LBB57_244:
	s_and_b64 vcc, exec, s[6:7]
	s_cbranch_vccz .LBB57_246
; %bb.245:
	s_lshl_b64 s[4:5], s[8:9], 2
	s_add_u32 s4, s14, s4
	s_addc_u32 s5, s15, s5
	v_mov_b32_e32 v1, 0
	global_load_dword v1, v1, s[4:5]
	s_waitcnt vmcnt(0)
	v_cmp_ne_u32_e32 vcc, 0, v1
	s_cbranch_vccz .LBB57_247
.LBB57_246:
	s_endpgm
.LBB57_247:
	v_mov_b32_e32 v1, 0x1d0
	v_lshl_add_u32 v175, v0, 3, v1
	v_cmp_eq_u32_e32 vcc, 57, v0
	s_and_saveexec_b64 s[4:5], vcc
	s_cbranch_execz .LBB57_249
; %bb.248:
	buffer_load_dword v2, off, s[0:3], 0 offset:448
	buffer_load_dword v3, off, s[0:3], 0 offset:452
	v_mov_b32_e32 v4, 0
	buffer_store_dword v4, off, s[0:3], 0 offset:448
	buffer_store_dword v4, off, s[0:3], 0 offset:452
	s_waitcnt vmcnt(2)
	ds_write_b64 v175, v[2:3]
.LBB57_249:
	s_or_b64 exec, exec, s[4:5]
	s_waitcnt lgkmcnt(0)
	; wave barrier
	s_waitcnt lgkmcnt(0)
	buffer_load_dword v5, off, s[0:3], 0 offset:460
	buffer_load_dword v4, off, s[0:3], 0 offset:456
	;; [unrolled: 1-line block ×4, first 2 shown]
	v_mov_b32_e32 v2, 0
	ds_read_b64 v[8:9], v2 offset:920
	v_cmp_lt_u32_e32 vcc, 55, v0
	s_waitcnt vmcnt(3)
	v_mov_b32_e32 v10, v5
	s_waitcnt lgkmcnt(0)
	v_pk_mul_f32 v[10:11], v[8:9], v[10:11] op_sel_hi:[1,0]
	s_waitcnt vmcnt(2)
	v_pk_fma_f32 v[12:13], v[8:9], v[4:5], v[10:11] op_sel:[0,0,1] op_sel_hi:[1,1,0] neg_lo:[0,0,1] neg_hi:[0,0,1]
	v_pk_fma_f32 v[4:5], v[8:9], v[4:5], v[10:11] op_sel:[0,0,1] op_sel_hi:[1,0,0]
	v_mov_b32_e32 v13, v5
	v_pk_add_f32 v[4:5], v[12:13], 0 op_sel_hi:[1,0]
	s_waitcnt vmcnt(0)
	v_pk_add_f32 v[4:5], v[6:7], v[4:5] neg_lo:[0,1] neg_hi:[0,1]
	buffer_store_dword v4, off, s[0:3], 0 offset:448
	buffer_store_dword v5, off, s[0:3], 0 offset:452
	s_and_saveexec_b64 s[4:5], vcc
	s_cbranch_execz .LBB57_251
; %bb.250:
	buffer_load_dword v4, off, s[0:3], 0 offset:440
	buffer_load_dword v5, off, s[0:3], 0 offset:444
	s_waitcnt vmcnt(0)
	ds_write_b64 v175, v[4:5]
	buffer_store_dword v2, off, s[0:3], 0 offset:440
	buffer_store_dword v2, off, s[0:3], 0 offset:444
.LBB57_251:
	s_or_b64 exec, exec, s[4:5]
	s_waitcnt lgkmcnt(0)
	; wave barrier
	s_waitcnt lgkmcnt(0)
	buffer_load_dword v7, off, s[0:3], 0 offset:452
	buffer_load_dword v9, off, s[0:3], 0 offset:460
	;; [unrolled: 1-line block ×6, first 2 shown]
	ds_read_b128 v[2:5], v2 offset:912
	v_cmp_lt_u32_e32 vcc, 54, v0
	s_waitcnt vmcnt(5)
	v_mov_b32_e32 v12, v7
	s_waitcnt vmcnt(4)
	v_mov_b32_e32 v14, v9
	s_waitcnt lgkmcnt(0)
	v_pk_mul_f32 v[12:13], v[2:3], v[12:13] op_sel_hi:[1,0]
	v_pk_mul_f32 v[14:15], v[4:5], v[14:15] op_sel_hi:[1,0]
	s_waitcnt vmcnt(3)
	v_pk_fma_f32 v[16:17], v[2:3], v[6:7], v[12:13] op_sel:[0,0,1] op_sel_hi:[1,1,0] neg_lo:[0,0,1] neg_hi:[0,0,1]
	v_pk_fma_f32 v[2:3], v[2:3], v[6:7], v[12:13] op_sel:[0,0,1] op_sel_hi:[1,0,0]
	s_waitcnt vmcnt(2)
	v_pk_fma_f32 v[6:7], v[4:5], v[8:9], v[14:15] op_sel:[0,0,1] op_sel_hi:[1,1,0] neg_lo:[0,0,1] neg_hi:[0,0,1]
	v_pk_fma_f32 v[4:5], v[4:5], v[8:9], v[14:15] op_sel:[0,0,1] op_sel_hi:[1,0,0]
	v_mov_b32_e32 v17, v3
	v_mov_b32_e32 v7, v5
	v_pk_add_f32 v[2:3], v[16:17], 0 op_sel_hi:[1,0]
	v_pk_add_f32 v[2:3], v[2:3], v[6:7]
	s_waitcnt vmcnt(0)
	v_pk_add_f32 v[2:3], v[10:11], v[2:3] neg_lo:[0,1] neg_hi:[0,1]
	buffer_store_dword v2, off, s[0:3], 0 offset:440
	buffer_store_dword v3, off, s[0:3], 0 offset:444
	s_and_saveexec_b64 s[4:5], vcc
	s_cbranch_execz .LBB57_253
; %bb.252:
	buffer_load_dword v2, off, s[0:3], 0 offset:432
	buffer_load_dword v3, off, s[0:3], 0 offset:436
	v_mov_b32_e32 v4, 0
	buffer_store_dword v4, off, s[0:3], 0 offset:432
	buffer_store_dword v4, off, s[0:3], 0 offset:436
	s_waitcnt vmcnt(2)
	ds_write_b64 v175, v[2:3]
.LBB57_253:
	s_or_b64 exec, exec, s[4:5]
	s_waitcnt lgkmcnt(0)
	; wave barrier
	s_waitcnt lgkmcnt(0)
	buffer_load_dword v9, off, s[0:3], 0 offset:444
	buffer_load_dword v11, off, s[0:3], 0 offset:452
	;; [unrolled: 1-line block ×8, first 2 shown]
	v_mov_b32_e32 v2, 0
	ds_read2_b64 v[4:7], v2 offset0:113 offset1:114
	ds_read_b64 v[16:17], v2 offset:920
	v_cmp_lt_u32_e32 vcc, 53, v0
	s_waitcnt vmcnt(7)
	v_mov_b32_e32 v18, v9
	s_waitcnt vmcnt(6)
	v_mov_b32_e32 v20, v11
	s_waitcnt lgkmcnt(1)
	v_pk_mul_f32 v[18:19], v[4:5], v[18:19] op_sel_hi:[1,0]
	s_waitcnt vmcnt(5)
	v_mov_b32_e32 v22, v13
	v_pk_mul_f32 v[20:21], v[6:7], v[20:21] op_sel_hi:[1,0]
	s_waitcnt vmcnt(4)
	v_pk_fma_f32 v[24:25], v[4:5], v[8:9], v[18:19] op_sel:[0,0,1] op_sel_hi:[1,1,0] neg_lo:[0,0,1] neg_hi:[0,0,1]
	v_pk_fma_f32 v[4:5], v[4:5], v[8:9], v[18:19] op_sel:[0,0,1] op_sel_hi:[1,0,0]
	s_waitcnt lgkmcnt(0)
	v_pk_mul_f32 v[22:23], v[16:17], v[22:23] op_sel_hi:[1,0]
	s_waitcnt vmcnt(3)
	v_pk_fma_f32 v[8:9], v[6:7], v[10:11], v[20:21] op_sel:[0,0,1] op_sel_hi:[1,1,0] neg_lo:[0,0,1] neg_hi:[0,0,1]
	v_pk_fma_f32 v[6:7], v[6:7], v[10:11], v[20:21] op_sel:[0,0,1] op_sel_hi:[1,0,0]
	v_mov_b32_e32 v25, v5
	s_waitcnt vmcnt(2)
	v_pk_fma_f32 v[10:11], v[16:17], v[12:13], v[22:23] op_sel:[0,0,1] op_sel_hi:[1,1,0] neg_lo:[0,0,1] neg_hi:[0,0,1]
	v_pk_fma_f32 v[12:13], v[16:17], v[12:13], v[22:23] op_sel:[0,0,1] op_sel_hi:[1,0,0]
	v_mov_b32_e32 v9, v7
	v_pk_add_f32 v[4:5], v[24:25], 0 op_sel_hi:[1,0]
	v_mov_b32_e32 v11, v13
	v_pk_add_f32 v[4:5], v[4:5], v[8:9]
	v_pk_add_f32 v[4:5], v[4:5], v[10:11]
	s_waitcnt vmcnt(0)
	v_pk_add_f32 v[4:5], v[14:15], v[4:5] neg_lo:[0,1] neg_hi:[0,1]
	buffer_store_dword v4, off, s[0:3], 0 offset:432
	buffer_store_dword v5, off, s[0:3], 0 offset:436
	s_and_saveexec_b64 s[4:5], vcc
	s_cbranch_execz .LBB57_255
; %bb.254:
	buffer_load_dword v4, off, s[0:3], 0 offset:424
	buffer_load_dword v5, off, s[0:3], 0 offset:428
	s_waitcnt vmcnt(0)
	ds_write_b64 v175, v[4:5]
	buffer_store_dword v2, off, s[0:3], 0 offset:424
	buffer_store_dword v2, off, s[0:3], 0 offset:428
.LBB57_255:
	s_or_b64 exec, exec, s[4:5]
	s_waitcnt lgkmcnt(0)
	; wave barrier
	s_waitcnt lgkmcnt(0)
	buffer_load_dword v13, off, s[0:3], 0 offset:436
	buffer_load_dword v15, off, s[0:3], 0 offset:444
	;; [unrolled: 1-line block ×10, first 2 shown]
	ds_read_b128 v[4:7], v2 offset:896
	ds_read_b128 v[8:11], v2 offset:912
	v_cmp_lt_u32_e32 vcc, 52, v0
	s_waitcnt vmcnt(9)
	v_mov_b32_e32 v2, v13
	s_waitcnt vmcnt(8)
	v_mov_b32_e32 v22, v15
	s_waitcnt lgkmcnt(1)
	v_pk_mul_f32 v[2:3], v[4:5], v[2:3] op_sel_hi:[1,0]
	s_waitcnt vmcnt(7)
	v_mov_b32_e32 v24, v17
	v_pk_mul_f32 v[22:23], v[6:7], v[22:23] op_sel_hi:[1,0]
	s_waitcnt vmcnt(5)
	v_pk_fma_f32 v[28:29], v[4:5], v[12:13], v[2:3] op_sel:[0,0,1] op_sel_hi:[1,1,0] neg_lo:[0,0,1] neg_hi:[0,0,1]
	v_pk_fma_f32 v[2:3], v[4:5], v[12:13], v[2:3] op_sel:[0,0,1] op_sel_hi:[1,0,0]
	v_mov_b32_e32 v26, v19
	s_waitcnt lgkmcnt(0)
	v_pk_mul_f32 v[24:25], v[8:9], v[24:25] op_sel_hi:[1,0]
	s_waitcnt vmcnt(4)
	v_pk_fma_f32 v[4:5], v[6:7], v[14:15], v[22:23] op_sel:[0,0,1] op_sel_hi:[1,1,0] neg_lo:[0,0,1] neg_hi:[0,0,1]
	v_pk_fma_f32 v[6:7], v[6:7], v[14:15], v[22:23] op_sel:[0,0,1] op_sel_hi:[1,0,0]
	v_mov_b32_e32 v29, v3
	v_pk_mul_f32 v[26:27], v[10:11], v[26:27] op_sel_hi:[1,0]
	s_waitcnt vmcnt(3)
	v_pk_fma_f32 v[12:13], v[8:9], v[16:17], v[24:25] op_sel:[0,0,1] op_sel_hi:[1,1,0] neg_lo:[0,0,1] neg_hi:[0,0,1]
	v_pk_fma_f32 v[8:9], v[8:9], v[16:17], v[24:25] op_sel:[0,0,1] op_sel_hi:[1,0,0]
	v_mov_b32_e32 v5, v7
	v_pk_add_f32 v[2:3], v[28:29], 0 op_sel_hi:[1,0]
	s_waitcnt vmcnt(2)
	v_pk_fma_f32 v[14:15], v[10:11], v[18:19], v[26:27] op_sel:[0,0,1] op_sel_hi:[1,1,0] neg_lo:[0,0,1] neg_hi:[0,0,1]
	v_pk_fma_f32 v[10:11], v[10:11], v[18:19], v[26:27] op_sel:[0,0,1] op_sel_hi:[1,0,0]
	v_mov_b32_e32 v13, v9
	v_pk_add_f32 v[2:3], v[2:3], v[4:5]
	v_mov_b32_e32 v15, v11
	v_pk_add_f32 v[2:3], v[2:3], v[12:13]
	v_pk_add_f32 v[2:3], v[2:3], v[14:15]
	s_waitcnt vmcnt(0)
	v_pk_add_f32 v[2:3], v[20:21], v[2:3] neg_lo:[0,1] neg_hi:[0,1]
	buffer_store_dword v2, off, s[0:3], 0 offset:424
	buffer_store_dword v3, off, s[0:3], 0 offset:428
	s_and_saveexec_b64 s[4:5], vcc
	s_cbranch_execz .LBB57_257
; %bb.256:
	buffer_load_dword v2, off, s[0:3], 0 offset:416
	buffer_load_dword v3, off, s[0:3], 0 offset:420
	v_mov_b32_e32 v4, 0
	buffer_store_dword v4, off, s[0:3], 0 offset:416
	buffer_store_dword v4, off, s[0:3], 0 offset:420
	s_waitcnt vmcnt(2)
	ds_write_b64 v175, v[2:3]
.LBB57_257:
	s_or_b64 exec, exec, s[4:5]
	s_waitcnt lgkmcnt(0)
	; wave barrier
	s_waitcnt lgkmcnt(0)
	buffer_load_dword v13, off, s[0:3], 0 offset:428
	buffer_load_dword v15, off, s[0:3], 0 offset:436
	;; [unrolled: 1-line block ×12, first 2 shown]
	v_mov_b32_e32 v2, 0
	ds_read2_b64 v[4:7], v2 offset0:111 offset1:112
	ds_read2_b64 v[8:11], v2 offset0:113 offset1:114
	ds_read_b64 v[24:25], v2 offset:920
	v_cmp_lt_u32_e32 vcc, 51, v0
	s_waitcnt vmcnt(11)
	v_mov_b32_e32 v26, v13
	s_waitcnt vmcnt(10)
	v_mov_b32_e32 v28, v15
	s_waitcnt lgkmcnt(2)
	v_pk_mul_f32 v[26:27], v[4:5], v[26:27] op_sel_hi:[1,0]
	s_waitcnt vmcnt(9)
	v_mov_b32_e32 v30, v17
	v_pk_mul_f32 v[28:29], v[6:7], v[28:29] op_sel_hi:[1,0]
	s_waitcnt vmcnt(6)
	v_pk_fma_f32 v[36:37], v[4:5], v[12:13], v[26:27] op_sel:[0,0,1] op_sel_hi:[1,1,0] neg_lo:[0,0,1] neg_hi:[0,0,1]
	v_pk_fma_f32 v[4:5], v[4:5], v[12:13], v[26:27] op_sel:[0,0,1] op_sel_hi:[1,0,0]
	v_mov_b32_e32 v32, v19
	s_waitcnt lgkmcnt(1)
	v_pk_mul_f32 v[30:31], v[8:9], v[30:31] op_sel_hi:[1,0]
	s_waitcnt vmcnt(5)
	v_pk_fma_f32 v[12:13], v[6:7], v[14:15], v[28:29] op_sel:[0,0,1] op_sel_hi:[1,1,0] neg_lo:[0,0,1] neg_hi:[0,0,1]
	v_pk_fma_f32 v[6:7], v[6:7], v[14:15], v[28:29] op_sel:[0,0,1] op_sel_hi:[1,0,0]
	v_mov_b32_e32 v37, v5
	v_mov_b32_e32 v34, v21
	v_pk_mul_f32 v[32:33], v[10:11], v[32:33] op_sel_hi:[1,0]
	s_waitcnt vmcnt(4)
	v_pk_fma_f32 v[14:15], v[8:9], v[16:17], v[30:31] op_sel:[0,0,1] op_sel_hi:[1,1,0] neg_lo:[0,0,1] neg_hi:[0,0,1]
	v_pk_fma_f32 v[8:9], v[8:9], v[16:17], v[30:31] op_sel:[0,0,1] op_sel_hi:[1,0,0]
	v_mov_b32_e32 v13, v7
	v_pk_add_f32 v[4:5], v[36:37], 0 op_sel_hi:[1,0]
	s_waitcnt lgkmcnt(0)
	v_pk_mul_f32 v[34:35], v[24:25], v[34:35] op_sel_hi:[1,0]
	s_waitcnt vmcnt(3)
	v_pk_fma_f32 v[16:17], v[10:11], v[18:19], v[32:33] op_sel:[0,0,1] op_sel_hi:[1,1,0] neg_lo:[0,0,1] neg_hi:[0,0,1]
	v_pk_fma_f32 v[10:11], v[10:11], v[18:19], v[32:33] op_sel:[0,0,1] op_sel_hi:[1,0,0]
	v_mov_b32_e32 v15, v9
	v_pk_add_f32 v[4:5], v[4:5], v[12:13]
	s_waitcnt vmcnt(2)
	v_pk_fma_f32 v[18:19], v[24:25], v[20:21], v[34:35] op_sel:[0,0,1] op_sel_hi:[1,1,0] neg_lo:[0,0,1] neg_hi:[0,0,1]
	v_pk_fma_f32 v[20:21], v[24:25], v[20:21], v[34:35] op_sel:[0,0,1] op_sel_hi:[1,0,0]
	v_mov_b32_e32 v17, v11
	v_pk_add_f32 v[4:5], v[4:5], v[14:15]
	v_mov_b32_e32 v19, v21
	v_pk_add_f32 v[4:5], v[4:5], v[16:17]
	v_pk_add_f32 v[4:5], v[4:5], v[18:19]
	s_waitcnt vmcnt(0)
	v_pk_add_f32 v[4:5], v[22:23], v[4:5] neg_lo:[0,1] neg_hi:[0,1]
	buffer_store_dword v4, off, s[0:3], 0 offset:416
	buffer_store_dword v5, off, s[0:3], 0 offset:420
	s_and_saveexec_b64 s[4:5], vcc
	s_cbranch_execz .LBB57_259
; %bb.258:
	buffer_load_dword v4, off, s[0:3], 0 offset:408
	buffer_load_dword v5, off, s[0:3], 0 offset:412
	s_waitcnt vmcnt(0)
	ds_write_b64 v175, v[4:5]
	buffer_store_dword v2, off, s[0:3], 0 offset:408
	buffer_store_dword v2, off, s[0:3], 0 offset:412
.LBB57_259:
	s_or_b64 exec, exec, s[4:5]
	s_waitcnt lgkmcnt(0)
	; wave barrier
	s_waitcnt lgkmcnt(0)
	buffer_load_dword v17, off, s[0:3], 0 offset:420
	buffer_load_dword v19, off, s[0:3], 0 offset:428
	buffer_load_dword v21, off, s[0:3], 0 offset:436
	buffer_load_dword v23, off, s[0:3], 0 offset:444
	buffer_load_dword v25, off, s[0:3], 0 offset:452
	buffer_load_dword v27, off, s[0:3], 0 offset:460
	buffer_load_dword v16, off, s[0:3], 0 offset:416
	buffer_load_dword v18, off, s[0:3], 0 offset:424
	buffer_load_dword v20, off, s[0:3], 0 offset:432
	buffer_load_dword v22, off, s[0:3], 0 offset:440
	buffer_load_dword v24, off, s[0:3], 0 offset:448
	buffer_load_dword v26, off, s[0:3], 0 offset:456
	buffer_load_dword v28, off, s[0:3], 0 offset:408
	buffer_load_dword v29, off, s[0:3], 0 offset:412
	ds_read_b128 v[4:7], v2 offset:880
	ds_read_b128 v[8:11], v2 offset:896
	;; [unrolled: 1-line block ×3, first 2 shown]
	v_cmp_lt_u32_e32 vcc, 50, v0
	s_waitcnt vmcnt(13)
	v_mov_b32_e32 v2, v17
	s_waitcnt vmcnt(12)
	v_mov_b32_e32 v30, v19
	s_waitcnt lgkmcnt(2)
	v_pk_mul_f32 v[2:3], v[4:5], v[2:3] op_sel_hi:[1,0]
	s_waitcnt vmcnt(11)
	v_mov_b32_e32 v32, v21
	v_pk_mul_f32 v[30:31], v[6:7], v[30:31] op_sel_hi:[1,0]
	s_waitcnt vmcnt(10)
	v_mov_b32_e32 v34, v23
	s_waitcnt vmcnt(7)
	v_pk_fma_f32 v[40:41], v[4:5], v[16:17], v[2:3] op_sel:[0,0,1] op_sel_hi:[1,1,0] neg_lo:[0,0,1] neg_hi:[0,0,1]
	v_pk_fma_f32 v[2:3], v[4:5], v[16:17], v[2:3] op_sel:[0,0,1] op_sel_hi:[1,0,0]
	s_waitcnt lgkmcnt(1)
	v_pk_mul_f32 v[32:33], v[8:9], v[32:33] op_sel_hi:[1,0]
	s_waitcnt vmcnt(6)
	v_pk_fma_f32 v[4:5], v[6:7], v[18:19], v[30:31] op_sel:[0,0,1] op_sel_hi:[1,1,0] neg_lo:[0,0,1] neg_hi:[0,0,1]
	v_pk_fma_f32 v[6:7], v[6:7], v[18:19], v[30:31] op_sel:[0,0,1] op_sel_hi:[1,0,0]
	v_mov_b32_e32 v41, v3
	v_mov_b32_e32 v36, v25
	v_pk_mul_f32 v[34:35], v[10:11], v[34:35] op_sel_hi:[1,0]
	s_waitcnt vmcnt(5)
	v_pk_fma_f32 v[16:17], v[8:9], v[20:21], v[32:33] op_sel:[0,0,1] op_sel_hi:[1,1,0] neg_lo:[0,0,1] neg_hi:[0,0,1]
	v_pk_fma_f32 v[8:9], v[8:9], v[20:21], v[32:33] op_sel:[0,0,1] op_sel_hi:[1,0,0]
	v_mov_b32_e32 v5, v7
	v_pk_add_f32 v[2:3], v[40:41], 0 op_sel_hi:[1,0]
	v_mov_b32_e32 v38, v27
	s_waitcnt lgkmcnt(0)
	v_pk_mul_f32 v[36:37], v[12:13], v[36:37] op_sel_hi:[1,0]
	s_waitcnt vmcnt(4)
	v_pk_fma_f32 v[18:19], v[10:11], v[22:23], v[34:35] op_sel:[0,0,1] op_sel_hi:[1,1,0] neg_lo:[0,0,1] neg_hi:[0,0,1]
	v_pk_fma_f32 v[10:11], v[10:11], v[22:23], v[34:35] op_sel:[0,0,1] op_sel_hi:[1,0,0]
	v_mov_b32_e32 v17, v9
	v_pk_add_f32 v[2:3], v[2:3], v[4:5]
	v_pk_mul_f32 v[38:39], v[14:15], v[38:39] op_sel_hi:[1,0]
	s_waitcnt vmcnt(3)
	v_pk_fma_f32 v[20:21], v[12:13], v[24:25], v[36:37] op_sel:[0,0,1] op_sel_hi:[1,1,0] neg_lo:[0,0,1] neg_hi:[0,0,1]
	v_pk_fma_f32 v[12:13], v[12:13], v[24:25], v[36:37] op_sel:[0,0,1] op_sel_hi:[1,0,0]
	v_mov_b32_e32 v19, v11
	v_pk_add_f32 v[2:3], v[2:3], v[16:17]
	s_waitcnt vmcnt(2)
	v_pk_fma_f32 v[22:23], v[14:15], v[26:27], v[38:39] op_sel:[0,0,1] op_sel_hi:[1,1,0] neg_lo:[0,0,1] neg_hi:[0,0,1]
	v_pk_fma_f32 v[14:15], v[14:15], v[26:27], v[38:39] op_sel:[0,0,1] op_sel_hi:[1,0,0]
	v_mov_b32_e32 v21, v13
	v_pk_add_f32 v[2:3], v[2:3], v[18:19]
	v_mov_b32_e32 v23, v15
	v_pk_add_f32 v[2:3], v[2:3], v[20:21]
	v_pk_add_f32 v[2:3], v[2:3], v[22:23]
	s_waitcnt vmcnt(0)
	v_pk_add_f32 v[2:3], v[28:29], v[2:3] neg_lo:[0,1] neg_hi:[0,1]
	buffer_store_dword v2, off, s[0:3], 0 offset:408
	buffer_store_dword v3, off, s[0:3], 0 offset:412
	s_and_saveexec_b64 s[4:5], vcc
	s_cbranch_execz .LBB57_261
; %bb.260:
	buffer_load_dword v2, off, s[0:3], 0 offset:400
	buffer_load_dword v3, off, s[0:3], 0 offset:404
	v_mov_b32_e32 v4, 0
	buffer_store_dword v4, off, s[0:3], 0 offset:400
	buffer_store_dword v4, off, s[0:3], 0 offset:404
	s_waitcnt vmcnt(2)
	ds_write_b64 v175, v[2:3]
.LBB57_261:
	s_or_b64 exec, exec, s[4:5]
	s_waitcnt lgkmcnt(0)
	; wave barrier
	s_waitcnt lgkmcnt(0)
	buffer_load_dword v17, off, s[0:3], 0 offset:412
	buffer_load_dword v19, off, s[0:3], 0 offset:420
	;; [unrolled: 1-line block ×16, first 2 shown]
	v_mov_b32_e32 v2, 0
	ds_read2_b64 v[4:7], v2 offset0:109 offset1:110
	ds_read2_b64 v[8:11], v2 offset0:111 offset1:112
	;; [unrolled: 1-line block ×3, first 2 shown]
	ds_read_b64 v[32:33], v2 offset:920
	v_cmp_lt_u32_e32 vcc, 49, v0
	s_waitcnt vmcnt(15)
	v_mov_b32_e32 v34, v17
	s_waitcnt vmcnt(14)
	v_mov_b32_e32 v36, v19
	s_waitcnt lgkmcnt(3)
	v_pk_mul_f32 v[34:35], v[4:5], v[34:35] op_sel_hi:[1,0]
	s_waitcnt vmcnt(13)
	v_mov_b32_e32 v38, v21
	v_pk_mul_f32 v[36:37], v[6:7], v[36:37] op_sel_hi:[1,0]
	s_waitcnt vmcnt(12)
	v_mov_b32_e32 v40, v23
	s_waitcnt lgkmcnt(2)
	v_pk_mul_f32 v[38:39], v[8:9], v[38:39] op_sel_hi:[1,0]
	s_waitcnt vmcnt(8)
	v_pk_fma_f32 v[48:49], v[4:5], v[16:17], v[34:35] op_sel:[0,0,1] op_sel_hi:[1,1,0] neg_lo:[0,0,1] neg_hi:[0,0,1]
	v_pk_fma_f32 v[4:5], v[4:5], v[16:17], v[34:35] op_sel:[0,0,1] op_sel_hi:[1,0,0]
	s_waitcnt vmcnt(7)
	v_pk_fma_f32 v[16:17], v[6:7], v[18:19], v[36:37] op_sel:[0,0,1] op_sel_hi:[1,1,0] neg_lo:[0,0,1] neg_hi:[0,0,1]
	v_pk_fma_f32 v[6:7], v[6:7], v[18:19], v[36:37] op_sel:[0,0,1] op_sel_hi:[1,0,0]
	v_mov_b32_e32 v49, v5
	v_mov_b32_e32 v42, v25
	v_pk_mul_f32 v[40:41], v[10:11], v[40:41] op_sel_hi:[1,0]
	s_waitcnt vmcnt(6)
	v_pk_fma_f32 v[18:19], v[8:9], v[20:21], v[38:39] op_sel:[0,0,1] op_sel_hi:[1,1,0] neg_lo:[0,0,1] neg_hi:[0,0,1]
	v_pk_fma_f32 v[8:9], v[8:9], v[20:21], v[38:39] op_sel:[0,0,1] op_sel_hi:[1,0,0]
	v_mov_b32_e32 v17, v7
	v_pk_add_f32 v[4:5], v[48:49], 0 op_sel_hi:[1,0]
	v_mov_b32_e32 v44, v27
	s_waitcnt lgkmcnt(1)
	v_pk_mul_f32 v[42:43], v[12:13], v[42:43] op_sel_hi:[1,0]
	s_waitcnt vmcnt(5)
	v_pk_fma_f32 v[20:21], v[10:11], v[22:23], v[40:41] op_sel:[0,0,1] op_sel_hi:[1,1,0] neg_lo:[0,0,1] neg_hi:[0,0,1]
	v_pk_fma_f32 v[10:11], v[10:11], v[22:23], v[40:41] op_sel:[0,0,1] op_sel_hi:[1,0,0]
	v_mov_b32_e32 v19, v9
	v_pk_add_f32 v[4:5], v[4:5], v[16:17]
	v_mov_b32_e32 v46, v29
	v_pk_mul_f32 v[44:45], v[14:15], v[44:45] op_sel_hi:[1,0]
	s_waitcnt vmcnt(4)
	v_pk_fma_f32 v[22:23], v[12:13], v[24:25], v[42:43] op_sel:[0,0,1] op_sel_hi:[1,1,0] neg_lo:[0,0,1] neg_hi:[0,0,1]
	v_pk_fma_f32 v[12:13], v[12:13], v[24:25], v[42:43] op_sel:[0,0,1] op_sel_hi:[1,0,0]
	v_mov_b32_e32 v21, v11
	v_pk_add_f32 v[4:5], v[4:5], v[18:19]
	s_waitcnt lgkmcnt(0)
	v_pk_mul_f32 v[46:47], v[32:33], v[46:47] op_sel_hi:[1,0]
	s_waitcnt vmcnt(3)
	v_pk_fma_f32 v[24:25], v[14:15], v[26:27], v[44:45] op_sel:[0,0,1] op_sel_hi:[1,1,0] neg_lo:[0,0,1] neg_hi:[0,0,1]
	v_pk_fma_f32 v[14:15], v[14:15], v[26:27], v[44:45] op_sel:[0,0,1] op_sel_hi:[1,0,0]
	v_mov_b32_e32 v23, v13
	v_pk_add_f32 v[4:5], v[4:5], v[20:21]
	s_waitcnt vmcnt(2)
	v_pk_fma_f32 v[26:27], v[32:33], v[28:29], v[46:47] op_sel:[0,0,1] op_sel_hi:[1,1,0] neg_lo:[0,0,1] neg_hi:[0,0,1]
	v_pk_fma_f32 v[28:29], v[32:33], v[28:29], v[46:47] op_sel:[0,0,1] op_sel_hi:[1,0,0]
	v_mov_b32_e32 v25, v15
	v_pk_add_f32 v[4:5], v[4:5], v[22:23]
	v_mov_b32_e32 v27, v29
	v_pk_add_f32 v[4:5], v[4:5], v[24:25]
	v_pk_add_f32 v[4:5], v[4:5], v[26:27]
	s_waitcnt vmcnt(0)
	v_pk_add_f32 v[4:5], v[30:31], v[4:5] neg_lo:[0,1] neg_hi:[0,1]
	buffer_store_dword v4, off, s[0:3], 0 offset:400
	buffer_store_dword v5, off, s[0:3], 0 offset:404
	s_and_saveexec_b64 s[4:5], vcc
	s_cbranch_execz .LBB57_263
; %bb.262:
	buffer_load_dword v4, off, s[0:3], 0 offset:392
	buffer_load_dword v5, off, s[0:3], 0 offset:396
	s_waitcnt vmcnt(0)
	ds_write_b64 v175, v[4:5]
	buffer_store_dword v2, off, s[0:3], 0 offset:392
	buffer_store_dword v2, off, s[0:3], 0 offset:396
.LBB57_263:
	s_or_b64 exec, exec, s[4:5]
	s_waitcnt lgkmcnt(0)
	; wave barrier
	s_waitcnt lgkmcnt(0)
	buffer_load_dword v20, off, s[0:3], 0 offset:392
	buffer_load_dword v21, off, s[0:3], 0 offset:396
	;; [unrolled: 1-line block ×16, first 2 shown]
	ds_read_b128 v[4:7], v2 offset:864
	ds_read_b128 v[8:11], v2 offset:880
	;; [unrolled: 1-line block ×4, first 2 shown]
	buffer_load_dword v3, off, s[0:3], 0 offset:460
	buffer_load_dword v2, off, s[0:3], 0 offset:456
	v_cmp_lt_u32_e32 vcc, 48, v0
	s_waitcnt vmcnt(14)
	v_mov_b32_e32 v36, v23
	s_waitcnt lgkmcnt(3)
	v_pk_mul_f32 v[36:37], v[4:5], v[36:37] op_sel_hi:[1,0]
	v_pk_fma_f32 v[38:39], v[4:5], v[22:23], v[36:37] op_sel:[0,0,1] op_sel_hi:[1,1,0] neg_lo:[0,0,1] neg_hi:[0,0,1]
	v_pk_fma_f32 v[4:5], v[4:5], v[22:23], v[36:37] op_sel:[0,0,1] op_sel_hi:[1,0,0]
	s_waitcnt vmcnt(12)
	v_mov_b32_e32 v22, v25
	v_pk_mul_f32 v[22:23], v[6:7], v[22:23] op_sel_hi:[1,0]
	v_pk_fma_f32 v[36:37], v[6:7], v[24:25], v[22:23] op_sel:[0,0,1] op_sel_hi:[1,1,0] neg_lo:[0,0,1] neg_hi:[0,0,1]
	v_pk_fma_f32 v[6:7], v[6:7], v[24:25], v[22:23] op_sel:[0,0,1] op_sel_hi:[1,0,0]
	s_waitcnt vmcnt(10)
	v_mov_b32_e32 v6, v27
	v_mov_b32_e32 v37, v7
	s_waitcnt lgkmcnt(2)
	v_pk_mul_f32 v[6:7], v[8:9], v[6:7] op_sel_hi:[1,0]
	v_pk_fma_f32 v[22:23], v[8:9], v[26:27], v[6:7] op_sel:[0,0,1] op_sel_hi:[1,1,0] neg_lo:[0,0,1] neg_hi:[0,0,1]
	v_pk_fma_f32 v[6:7], v[8:9], v[26:27], v[6:7] op_sel:[0,0,1] op_sel_hi:[1,0,0]
	s_waitcnt vmcnt(8)
	v_mov_b32_e32 v6, v29
	v_mov_b32_e32 v39, v5
	;; [unrolled: 1-line block ×3, first 2 shown]
	v_pk_mul_f32 v[6:7], v[10:11], v[6:7] op_sel_hi:[1,0]
	v_pk_add_f32 v[4:5], v[38:39], 0 op_sel_hi:[1,0]
	v_pk_fma_f32 v[8:9], v[10:11], v[28:29], v[6:7] op_sel:[0,0,1] op_sel_hi:[1,1,0] neg_lo:[0,0,1] neg_hi:[0,0,1]
	v_pk_fma_f32 v[6:7], v[10:11], v[28:29], v[6:7] op_sel:[0,0,1] op_sel_hi:[1,0,0]
	v_pk_add_f32 v[4:5], v[4:5], v[36:37]
	s_waitcnt vmcnt(6)
	v_mov_b32_e32 v6, v31
	v_pk_add_f32 v[4:5], v[4:5], v[22:23]
	v_mov_b32_e32 v9, v7
	s_waitcnt lgkmcnt(1)
	v_pk_mul_f32 v[6:7], v[12:13], v[6:7] op_sel_hi:[1,0]
	v_pk_add_f32 v[4:5], v[4:5], v[8:9]
	v_pk_fma_f32 v[8:9], v[12:13], v[30:31], v[6:7] op_sel:[0,0,1] op_sel_hi:[1,1,0] neg_lo:[0,0,1] neg_hi:[0,0,1]
	v_pk_fma_f32 v[6:7], v[12:13], v[30:31], v[6:7] op_sel:[0,0,1] op_sel_hi:[1,0,0]
	s_waitcnt vmcnt(4)
	v_mov_b32_e32 v6, v33
	v_mov_b32_e32 v9, v7
	v_pk_mul_f32 v[6:7], v[14:15], v[6:7] op_sel_hi:[1,0]
	v_pk_add_f32 v[4:5], v[4:5], v[8:9]
	v_pk_fma_f32 v[8:9], v[14:15], v[32:33], v[6:7] op_sel:[0,0,1] op_sel_hi:[1,1,0] neg_lo:[0,0,1] neg_hi:[0,0,1]
	v_pk_fma_f32 v[6:7], v[14:15], v[32:33], v[6:7] op_sel:[0,0,1] op_sel_hi:[1,0,0]
	s_waitcnt vmcnt(2)
	v_mov_b32_e32 v6, v35
	v_mov_b32_e32 v9, v7
	s_waitcnt lgkmcnt(0)
	v_pk_mul_f32 v[6:7], v[16:17], v[6:7] op_sel_hi:[1,0]
	v_pk_add_f32 v[4:5], v[4:5], v[8:9]
	v_pk_fma_f32 v[8:9], v[16:17], v[34:35], v[6:7] op_sel:[0,0,1] op_sel_hi:[1,1,0] neg_lo:[0,0,1] neg_hi:[0,0,1]
	v_pk_fma_f32 v[6:7], v[16:17], v[34:35], v[6:7] op_sel:[0,0,1] op_sel_hi:[1,0,0]
	s_waitcnt vmcnt(1)
	v_mov_b32_e32 v6, v3
	v_mov_b32_e32 v9, v7
	v_pk_mul_f32 v[6:7], v[18:19], v[6:7] op_sel_hi:[1,0]
	v_pk_add_f32 v[4:5], v[4:5], v[8:9]
	s_waitcnt vmcnt(0)
	v_pk_fma_f32 v[8:9], v[18:19], v[2:3], v[6:7] op_sel:[0,0,1] op_sel_hi:[1,1,0] neg_lo:[0,0,1] neg_hi:[0,0,1]
	v_pk_fma_f32 v[2:3], v[18:19], v[2:3], v[6:7] op_sel:[0,0,1] op_sel_hi:[1,0,0]
	v_mov_b32_e32 v9, v3
	v_pk_add_f32 v[2:3], v[4:5], v[8:9]
	v_pk_add_f32 v[2:3], v[20:21], v[2:3] neg_lo:[0,1] neg_hi:[0,1]
	buffer_store_dword v2, off, s[0:3], 0 offset:392
	buffer_store_dword v3, off, s[0:3], 0 offset:396
	s_and_saveexec_b64 s[4:5], vcc
	s_cbranch_execz .LBB57_265
; %bb.264:
	buffer_load_dword v2, off, s[0:3], 0 offset:384
	buffer_load_dword v3, off, s[0:3], 0 offset:388
	v_mov_b32_e32 v4, 0
	buffer_store_dword v4, off, s[0:3], 0 offset:384
	buffer_store_dword v4, off, s[0:3], 0 offset:388
	s_waitcnt vmcnt(2)
	ds_write_b64 v175, v[2:3]
.LBB57_265:
	s_or_b64 exec, exec, s[4:5]
	v_mov_b32_e32 v4, 0
	s_waitcnt lgkmcnt(0)
	; wave barrier
	s_waitcnt lgkmcnt(0)
	ds_read2_b64 v[6:9], v4 offset0:107 offset1:108
	buffer_load_dword v2, off, s[0:3], 0 offset:384
	buffer_load_dword v3, off, s[0:3], 0 offset:388
	;; [unrolled: 1-line block ×20, first 2 shown]
	v_cmp_lt_u32_e32 vcc, 47, v0
	s_waitcnt vmcnt(16) lgkmcnt(0)
	v_mul_f32_e32 v35, v6, v10
	v_fmac_f32_e32 v35, v7, v5
	v_mul_f32_e32 v7, v7, v10
	s_waitcnt vmcnt(14)
	v_mov_b32_e32 v40, v23
	v_fma_f32 v34, v6, v5, -v7
	ds_read2_b64 v[10:13], v4 offset0:109 offset1:110
	ds_read2_b64 v[14:17], v4 offset0:111 offset1:112
	;; [unrolled: 1-line block ×3, first 2 shown]
	ds_read_b64 v[6:7], v4 offset:920
	v_pk_mul_f32 v[40:41], v[8:9], v[40:41] op_sel_hi:[1,0]
	v_pk_fma_f32 v[42:43], v[8:9], v[22:23], v[40:41] op_sel:[0,0,1] op_sel_hi:[1,1,0] neg_lo:[0,0,1] neg_hi:[0,0,1]
	v_pk_fma_f32 v[8:9], v[8:9], v[22:23], v[40:41] op_sel:[0,0,1] op_sel_hi:[1,0,0]
	s_waitcnt vmcnt(12)
	v_mov_b32_e32 v22, v25
	v_pk_add_f32 v[34:35], v[34:35], 0 op_sel_hi:[1,0]
	v_mov_b32_e32 v43, v9
	s_waitcnt lgkmcnt(3)
	v_pk_mul_f32 v[22:23], v[10:11], v[22:23] op_sel_hi:[1,0]
	v_pk_add_f32 v[8:9], v[34:35], v[42:43]
	v_pk_fma_f32 v[34:35], v[10:11], v[24:25], v[22:23] op_sel:[0,0,1] op_sel_hi:[1,1,0] neg_lo:[0,0,1] neg_hi:[0,0,1]
	v_pk_fma_f32 v[10:11], v[10:11], v[24:25], v[22:23] op_sel:[0,0,1] op_sel_hi:[1,0,0]
	s_waitcnt vmcnt(10)
	v_mov_b32_e32 v10, v27
	v_mov_b32_e32 v35, v11
	v_pk_mul_f32 v[10:11], v[12:13], v[10:11] op_sel_hi:[1,0]
	v_pk_fma_f32 v[22:23], v[12:13], v[26:27], v[10:11] op_sel:[0,0,1] op_sel_hi:[1,1,0] neg_lo:[0,0,1] neg_hi:[0,0,1]
	v_pk_fma_f32 v[10:11], v[12:13], v[26:27], v[10:11] op_sel:[0,0,1] op_sel_hi:[1,0,0]
	s_waitcnt vmcnt(8)
	v_mov_b32_e32 v10, v29
	v_mov_b32_e32 v23, v11
	s_waitcnt lgkmcnt(2)
	v_pk_mul_f32 v[10:11], v[14:15], v[10:11] op_sel_hi:[1,0]
	v_pk_fma_f32 v[12:13], v[14:15], v[28:29], v[10:11] op_sel:[0,0,1] op_sel_hi:[1,1,0] neg_lo:[0,0,1] neg_hi:[0,0,1]
	v_pk_fma_f32 v[10:11], v[14:15], v[28:29], v[10:11] op_sel:[0,0,1] op_sel_hi:[1,0,0]
	v_pk_add_f32 v[8:9], v[8:9], v[34:35]
	s_waitcnt vmcnt(6)
	v_mov_b32_e32 v10, v31
	v_pk_add_f32 v[8:9], v[8:9], v[22:23]
	v_mov_b32_e32 v13, v11
	v_pk_mul_f32 v[10:11], v[16:17], v[10:11] op_sel_hi:[1,0]
	v_pk_add_f32 v[8:9], v[8:9], v[12:13]
	v_pk_fma_f32 v[12:13], v[16:17], v[30:31], v[10:11] op_sel:[0,0,1] op_sel_hi:[1,1,0] neg_lo:[0,0,1] neg_hi:[0,0,1]
	v_pk_fma_f32 v[10:11], v[16:17], v[30:31], v[10:11] op_sel:[0,0,1] op_sel_hi:[1,0,0]
	s_waitcnt vmcnt(4)
	v_mov_b32_e32 v10, v33
	v_mov_b32_e32 v13, v11
	s_waitcnt lgkmcnt(1)
	v_pk_mul_f32 v[10:11], v[18:19], v[10:11] op_sel_hi:[1,0]
	v_pk_add_f32 v[8:9], v[8:9], v[12:13]
	v_pk_fma_f32 v[12:13], v[18:19], v[32:33], v[10:11] op_sel:[0,0,1] op_sel_hi:[1,1,0] neg_lo:[0,0,1] neg_hi:[0,0,1]
	v_pk_fma_f32 v[10:11], v[18:19], v[32:33], v[10:11] op_sel:[0,0,1] op_sel_hi:[1,0,0]
	s_waitcnt vmcnt(3)
	v_mov_b32_e32 v10, v37
	v_mov_b32_e32 v13, v11
	v_pk_mul_f32 v[10:11], v[20:21], v[10:11] op_sel_hi:[1,0]
	v_pk_add_f32 v[8:9], v[8:9], v[12:13]
	s_waitcnt vmcnt(2)
	v_pk_fma_f32 v[12:13], v[20:21], v[36:37], v[10:11] op_sel:[0,0,1] op_sel_hi:[1,1,0] neg_lo:[0,0,1] neg_hi:[0,0,1]
	v_pk_fma_f32 v[10:11], v[20:21], v[36:37], v[10:11] op_sel:[0,0,1] op_sel_hi:[1,0,0]
	s_waitcnt vmcnt(1)
	v_mov_b32_e32 v10, v39
	v_mov_b32_e32 v13, v11
	s_waitcnt lgkmcnt(0)
	v_pk_mul_f32 v[10:11], v[6:7], v[10:11] op_sel_hi:[1,0]
	v_pk_add_f32 v[8:9], v[8:9], v[12:13]
	s_waitcnt vmcnt(0)
	v_pk_fma_f32 v[12:13], v[6:7], v[38:39], v[10:11] op_sel:[0,0,1] op_sel_hi:[1,1,0] neg_lo:[0,0,1] neg_hi:[0,0,1]
	v_pk_fma_f32 v[6:7], v[6:7], v[38:39], v[10:11] op_sel:[0,0,1] op_sel_hi:[1,0,0]
	v_mov_b32_e32 v13, v7
	v_pk_add_f32 v[6:7], v[8:9], v[12:13]
	v_pk_add_f32 v[2:3], v[2:3], v[6:7] neg_lo:[0,1] neg_hi:[0,1]
	buffer_store_dword v2, off, s[0:3], 0 offset:384
	buffer_store_dword v3, off, s[0:3], 0 offset:388
	s_and_saveexec_b64 s[4:5], vcc
	s_cbranch_execz .LBB57_267
; %bb.266:
	buffer_load_dword v2, off, s[0:3], 0 offset:376
	buffer_load_dword v3, off, s[0:3], 0 offset:380
	s_waitcnt vmcnt(0)
	ds_write_b64 v175, v[2:3]
	buffer_store_dword v4, off, s[0:3], 0 offset:376
	buffer_store_dword v4, off, s[0:3], 0 offset:380
.LBB57_267:
	s_or_b64 exec, exec, s[4:5]
	s_waitcnt lgkmcnt(0)
	; wave barrier
	s_waitcnt lgkmcnt(0)
	ds_read_b128 v[6:9], v4 offset:848
	ds_read_b128 v[10:13], v4 offset:864
	;; [unrolled: 1-line block ×4, first 2 shown]
	buffer_load_dword v2, off, s[0:3], 0 offset:376
	buffer_load_dword v3, off, s[0:3], 0 offset:380
	;; [unrolled: 1-line block ×22, first 2 shown]
	v_cmp_lt_u32_e32 vcc, 46, v0
	s_waitcnt vmcnt(18) lgkmcnt(3)
	v_mul_f32_e32 v33, v6, v32
	v_fmac_f32_e32 v33, v7, v5
	v_mul_f32_e32 v7, v7, v32
	s_waitcnt vmcnt(16)
	v_mul_f32_e32 v35, v8, v42
	v_fma_f32 v32, v6, v5, -v7
	v_mul_f32_e32 v5, v9, v42
	v_fmac_f32_e32 v35, v9, v34
	v_fma_f32 v34, v8, v34, -v5
	v_pk_add_f32 v[8:9], v[32:33], 0 op_sel_hi:[1,0]
	s_waitcnt vmcnt(14)
	v_mov_b32_e32 v32, v23
	s_waitcnt lgkmcnt(2)
	v_pk_mul_f32 v[32:33], v[10:11], v[32:33] op_sel_hi:[1,0]
	v_pk_add_f32 v[8:9], v[8:9], v[34:35]
	v_pk_fma_f32 v[34:35], v[10:11], v[22:23], v[32:33] op_sel:[0,0,1] op_sel_hi:[1,1,0] neg_lo:[0,0,1] neg_hi:[0,0,1]
	v_pk_fma_f32 v[10:11], v[10:11], v[22:23], v[32:33] op_sel:[0,0,1] op_sel_hi:[1,0,0]
	s_waitcnt vmcnt(12)
	v_mov_b32_e32 v10, v25
	v_mov_b32_e32 v35, v11
	v_pk_mul_f32 v[10:11], v[12:13], v[10:11] op_sel_hi:[1,0]
	v_pk_fma_f32 v[22:23], v[12:13], v[24:25], v[10:11] op_sel:[0,0,1] op_sel_hi:[1,1,0] neg_lo:[0,0,1] neg_hi:[0,0,1]
	v_pk_fma_f32 v[10:11], v[12:13], v[24:25], v[10:11] op_sel:[0,0,1] op_sel_hi:[1,0,0]
	s_waitcnt vmcnt(10)
	v_mov_b32_e32 v10, v27
	v_mov_b32_e32 v23, v11
	s_waitcnt lgkmcnt(1)
	v_pk_mul_f32 v[10:11], v[14:15], v[10:11] op_sel_hi:[1,0]
	v_pk_fma_f32 v[12:13], v[14:15], v[26:27], v[10:11] op_sel:[0,0,1] op_sel_hi:[1,1,0] neg_lo:[0,0,1] neg_hi:[0,0,1]
	v_pk_fma_f32 v[10:11], v[14:15], v[26:27], v[10:11] op_sel:[0,0,1] op_sel_hi:[1,0,0]
	v_pk_add_f32 v[8:9], v[8:9], v[34:35]
	s_waitcnt vmcnt(8)
	v_mov_b32_e32 v10, v29
	v_pk_add_f32 v[8:9], v[8:9], v[22:23]
	v_mov_b32_e32 v13, v11
	v_pk_mul_f32 v[10:11], v[16:17], v[10:11] op_sel_hi:[1,0]
	v_pk_add_f32 v[8:9], v[8:9], v[12:13]
	v_pk_fma_f32 v[12:13], v[16:17], v[28:29], v[10:11] op_sel:[0,0,1] op_sel_hi:[1,1,0] neg_lo:[0,0,1] neg_hi:[0,0,1]
	v_pk_fma_f32 v[10:11], v[16:17], v[28:29], v[10:11] op_sel:[0,0,1] op_sel_hi:[1,0,0]
	s_waitcnt vmcnt(6)
	v_mov_b32_e32 v10, v31
	v_mov_b32_e32 v13, v11
	s_waitcnt lgkmcnt(0)
	v_pk_mul_f32 v[10:11], v[18:19], v[10:11] op_sel_hi:[1,0]
	ds_read_b128 v[4:7], v4 offset:912
	v_pk_add_f32 v[8:9], v[8:9], v[12:13]
	v_pk_fma_f32 v[12:13], v[18:19], v[30:31], v[10:11] op_sel:[0,0,1] op_sel_hi:[1,1,0] neg_lo:[0,0,1] neg_hi:[0,0,1]
	v_pk_fma_f32 v[10:11], v[18:19], v[30:31], v[10:11] op_sel:[0,0,1] op_sel_hi:[1,0,0]
	s_waitcnt vmcnt(5)
	v_mov_b32_e32 v10, v37
	v_mov_b32_e32 v13, v11
	v_pk_mul_f32 v[10:11], v[20:21], v[10:11] op_sel_hi:[1,0]
	v_pk_add_f32 v[8:9], v[8:9], v[12:13]
	s_waitcnt vmcnt(4)
	v_pk_fma_f32 v[12:13], v[20:21], v[36:37], v[10:11] op_sel:[0,0,1] op_sel_hi:[1,1,0] neg_lo:[0,0,1] neg_hi:[0,0,1]
	v_pk_fma_f32 v[10:11], v[20:21], v[36:37], v[10:11] op_sel:[0,0,1] op_sel_hi:[1,0,0]
	s_waitcnt vmcnt(3)
	v_mov_b32_e32 v10, v39
	v_mov_b32_e32 v13, v11
	s_waitcnt lgkmcnt(0)
	v_pk_mul_f32 v[10:11], v[4:5], v[10:11] op_sel_hi:[1,0]
	v_pk_add_f32 v[8:9], v[8:9], v[12:13]
	s_waitcnt vmcnt(2)
	v_pk_fma_f32 v[12:13], v[4:5], v[38:39], v[10:11] op_sel:[0,0,1] op_sel_hi:[1,1,0] neg_lo:[0,0,1] neg_hi:[0,0,1]
	v_pk_fma_f32 v[4:5], v[4:5], v[38:39], v[10:11] op_sel:[0,0,1] op_sel_hi:[1,0,0]
	v_mov_b32_e32 v13, v5
	v_pk_add_f32 v[4:5], v[8:9], v[12:13]
	s_waitcnt vmcnt(1)
	v_mov_b32_e32 v8, v41
	v_pk_mul_f32 v[8:9], v[6:7], v[8:9] op_sel_hi:[1,0]
	s_waitcnt vmcnt(0)
	v_pk_fma_f32 v[10:11], v[6:7], v[40:41], v[8:9] op_sel:[0,0,1] op_sel_hi:[1,1,0] neg_lo:[0,0,1] neg_hi:[0,0,1]
	v_pk_fma_f32 v[6:7], v[6:7], v[40:41], v[8:9] op_sel:[0,0,1] op_sel_hi:[1,0,0]
	v_mov_b32_e32 v11, v7
	v_pk_add_f32 v[4:5], v[4:5], v[10:11]
	v_pk_add_f32 v[2:3], v[2:3], v[4:5] neg_lo:[0,1] neg_hi:[0,1]
	buffer_store_dword v2, off, s[0:3], 0 offset:376
	buffer_store_dword v3, off, s[0:3], 0 offset:380
	s_and_saveexec_b64 s[4:5], vcc
	s_cbranch_execz .LBB57_269
; %bb.268:
	buffer_load_dword v2, off, s[0:3], 0 offset:368
	buffer_load_dword v3, off, s[0:3], 0 offset:372
	v_mov_b32_e32 v4, 0
	buffer_store_dword v4, off, s[0:3], 0 offset:368
	buffer_store_dword v4, off, s[0:3], 0 offset:372
	s_waitcnt vmcnt(2)
	ds_write_b64 v175, v[2:3]
.LBB57_269:
	s_or_b64 exec, exec, s[4:5]
	v_mov_b32_e32 v4, 0
	s_waitcnt lgkmcnt(0)
	; wave barrier
	s_waitcnt lgkmcnt(0)
	ds_read2_b64 v[6:9], v4 offset0:105 offset1:106
	buffer_load_dword v2, off, s[0:3], 0 offset:368
	buffer_load_dword v3, off, s[0:3], 0 offset:372
	;; [unrolled: 1-line block ×16, first 2 shown]
	v_cmp_lt_u32_e32 vcc, 45, v0
	s_waitcnt vmcnt(12) lgkmcnt(0)
	v_mul_f32_e32 v10, v6, v14
	v_fmac_f32_e32 v10, v7, v5
	v_add_f32_e32 v31, 0, v10
	ds_read2_b64 v[10:13], v4 offset0:107 offset1:108
	buffer_load_dword v37, off, s[0:3], 0 offset:436
	buffer_load_dword v36, off, s[0:3], 0 offset:432
	;; [unrolled: 1-line block ×8, first 2 shown]
	v_mul_f32_e32 v7, v7, v14
	v_fma_f32 v5, v6, v5, -v7
	s_waitcnt vmcnt(18)
	v_mul_f32_e32 v33, v8, v16
	v_add_f32_e32 v30, 0, v5
	v_mul_f32_e32 v5, v9, v16
	v_fmac_f32_e32 v33, v9, v15
	v_fma_f32 v32, v8, v15, -v5
	s_waitcnt vmcnt(16) lgkmcnt(0)
	v_mul_f32_e32 v35, v10, v18
	v_mul_f32_e32 v5, v11, v18
	v_pk_add_f32 v[30:31], v[30:31], v[32:33]
	s_waitcnt vmcnt(14)
	v_mov_b32_e32 v32, v23
	v_fmac_f32_e32 v35, v11, v17
	v_fma_f32 v34, v10, v17, -v5
	ds_read2_b64 v[6:9], v4 offset0:109 offset1:110
	ds_read2_b64 v[14:17], v4 offset0:111 offset1:112
	ds_read2_b64 v[18:21], v4 offset0:113 offset1:114
	ds_read_b64 v[10:11], v4 offset:920
	v_pk_mul_f32 v[32:33], v[12:13], v[32:33] op_sel_hi:[1,0]
	v_pk_add_f32 v[30:31], v[30:31], v[34:35]
	v_pk_fma_f32 v[34:35], v[12:13], v[22:23], v[32:33] op_sel:[0,0,1] op_sel_hi:[1,1,0] neg_lo:[0,0,1] neg_hi:[0,0,1]
	v_pk_fma_f32 v[12:13], v[12:13], v[22:23], v[32:33] op_sel:[0,0,1] op_sel_hi:[1,0,0]
	s_waitcnt vmcnt(12)
	v_mov_b32_e32 v22, v25
	v_mov_b32_e32 v35, v13
	s_waitcnt lgkmcnt(3)
	v_pk_mul_f32 v[22:23], v[6:7], v[22:23] op_sel_hi:[1,0]
	v_pk_add_f32 v[12:13], v[30:31], v[34:35]
	v_pk_fma_f32 v[30:31], v[6:7], v[24:25], v[22:23] op_sel:[0,0,1] op_sel_hi:[1,1,0] neg_lo:[0,0,1] neg_hi:[0,0,1]
	v_pk_fma_f32 v[6:7], v[6:7], v[24:25], v[22:23] op_sel:[0,0,1] op_sel_hi:[1,0,0]
	v_mov_b32_e32 v31, v7
	v_pk_add_f32 v[6:7], v[12:13], v[30:31]
	s_waitcnt vmcnt(10)
	v_mov_b32_e32 v12, v27
	v_pk_mul_f32 v[12:13], v[8:9], v[12:13] op_sel_hi:[1,0]
	v_pk_fma_f32 v[22:23], v[8:9], v[26:27], v[12:13] op_sel:[0,0,1] op_sel_hi:[1,1,0] neg_lo:[0,0,1] neg_hi:[0,0,1]
	v_pk_fma_f32 v[8:9], v[8:9], v[26:27], v[12:13] op_sel:[0,0,1] op_sel_hi:[1,0,0]
	s_waitcnt vmcnt(8)
	v_mov_b32_e32 v8, v29
	v_mov_b32_e32 v23, v9
	s_waitcnt lgkmcnt(2)
	v_pk_mul_f32 v[8:9], v[14:15], v[8:9] op_sel_hi:[1,0]
	v_pk_fma_f32 v[12:13], v[14:15], v[28:29], v[8:9] op_sel:[0,0,1] op_sel_hi:[1,1,0] neg_lo:[0,0,1] neg_hi:[0,0,1]
	v_pk_fma_f32 v[8:9], v[14:15], v[28:29], v[8:9] op_sel:[0,0,1] op_sel_hi:[1,0,0]
	v_pk_add_f32 v[6:7], v[6:7], v[22:23]
	v_mov_b32_e32 v13, v9
	v_pk_add_f32 v[6:7], v[6:7], v[12:13]
	s_waitcnt vmcnt(7)
	v_mov_b32_e32 v8, v37
	v_pk_mul_f32 v[8:9], v[16:17], v[8:9] op_sel_hi:[1,0]
	s_waitcnt vmcnt(6)
	v_pk_fma_f32 v[12:13], v[16:17], v[36:37], v[8:9] op_sel:[0,0,1] op_sel_hi:[1,1,0] neg_lo:[0,0,1] neg_hi:[0,0,1]
	v_pk_fma_f32 v[8:9], v[16:17], v[36:37], v[8:9] op_sel:[0,0,1] op_sel_hi:[1,0,0]
	s_waitcnt vmcnt(5)
	v_mov_b32_e32 v8, v39
	v_mov_b32_e32 v13, v9
	s_waitcnt lgkmcnt(1)
	v_pk_mul_f32 v[8:9], v[18:19], v[8:9] op_sel_hi:[1,0]
	v_pk_add_f32 v[6:7], v[6:7], v[12:13]
	s_waitcnt vmcnt(4)
	v_pk_fma_f32 v[12:13], v[18:19], v[38:39], v[8:9] op_sel:[0,0,1] op_sel_hi:[1,1,0] neg_lo:[0,0,1] neg_hi:[0,0,1]
	v_pk_fma_f32 v[8:9], v[18:19], v[38:39], v[8:9] op_sel:[0,0,1] op_sel_hi:[1,0,0]
	s_waitcnt vmcnt(3)
	v_mov_b32_e32 v8, v41
	v_mov_b32_e32 v13, v9
	v_pk_mul_f32 v[8:9], v[20:21], v[8:9] op_sel_hi:[1,0]
	v_pk_add_f32 v[6:7], v[6:7], v[12:13]
	s_waitcnt vmcnt(2)
	v_pk_fma_f32 v[12:13], v[20:21], v[40:41], v[8:9] op_sel:[0,0,1] op_sel_hi:[1,1,0] neg_lo:[0,0,1] neg_hi:[0,0,1]
	v_pk_fma_f32 v[8:9], v[20:21], v[40:41], v[8:9] op_sel:[0,0,1] op_sel_hi:[1,0,0]
	s_waitcnt vmcnt(1)
	v_mov_b32_e32 v8, v43
	v_mov_b32_e32 v13, v9
	s_waitcnt lgkmcnt(0)
	v_pk_mul_f32 v[8:9], v[10:11], v[8:9] op_sel_hi:[1,0]
	v_pk_add_f32 v[6:7], v[6:7], v[12:13]
	s_waitcnt vmcnt(0)
	v_pk_fma_f32 v[12:13], v[10:11], v[42:43], v[8:9] op_sel:[0,0,1] op_sel_hi:[1,1,0] neg_lo:[0,0,1] neg_hi:[0,0,1]
	v_pk_fma_f32 v[8:9], v[10:11], v[42:43], v[8:9] op_sel:[0,0,1] op_sel_hi:[1,0,0]
	v_mov_b32_e32 v13, v9
	v_pk_add_f32 v[6:7], v[6:7], v[12:13]
	v_pk_add_f32 v[2:3], v[2:3], v[6:7] neg_lo:[0,1] neg_hi:[0,1]
	buffer_store_dword v3, off, s[0:3], 0 offset:372
	buffer_store_dword v2, off, s[0:3], 0 offset:368
	s_and_saveexec_b64 s[4:5], vcc
	s_cbranch_execz .LBB57_271
; %bb.270:
	buffer_load_dword v2, off, s[0:3], 0 offset:360
	buffer_load_dword v3, off, s[0:3], 0 offset:364
	s_waitcnt vmcnt(0)
	ds_write_b64 v175, v[2:3]
	buffer_store_dword v4, off, s[0:3], 0 offset:360
	buffer_store_dword v4, off, s[0:3], 0 offset:364
.LBB57_271:
	s_or_b64 exec, exec, s[4:5]
	s_waitcnt lgkmcnt(0)
	; wave barrier
	s_waitcnt lgkmcnt(0)
	ds_read_b128 v[6:9], v4 offset:832
	ds_read_b128 v[10:13], v4 offset:848
	;; [unrolled: 1-line block ×4, first 2 shown]
	buffer_load_dword v2, off, s[0:3], 0 offset:360
	buffer_load_dword v3, off, s[0:3], 0 offset:364
	;; [unrolled: 1-line block ×26, first 2 shown]
	v_cmp_lt_u32_e32 vcc, 44, v0
	s_waitcnt vmcnt(22) lgkmcnt(3)
	v_mul_f32_e32 v29, v6, v28
	v_fmac_f32_e32 v29, v7, v5
	v_mul_f32_e32 v7, v7, v28
	s_waitcnt vmcnt(20)
	v_mul_f32_e32 v31, v8, v32
	v_fma_f32 v5, v6, v5, -v7
	v_mul_f32_e32 v6, v9, v32
	v_add_f32_e32 v29, 0, v29
	v_fmac_f32_e32 v31, v9, v30
	v_add_f32_e32 v5, 0, v5
	v_fma_f32 v6, v8, v30, -v6
	v_add_f32_e32 v29, v29, v31
	s_waitcnt vmcnt(18) lgkmcnt(2)
	v_mul_f32_e32 v31, v10, v45
	v_add_f32_e32 v28, v5, v6
	v_mul_f32_e32 v5, v11, v45
	v_fmac_f32_e32 v31, v11, v44
	s_waitcnt vmcnt(16)
	v_mul_f32_e32 v33, v12, v47
	v_fma_f32 v30, v10, v44, -v5
	v_mul_f32_e32 v5, v13, v47
	v_fmac_f32_e32 v33, v13, v46
	v_fma_f32 v32, v12, v46, -v5
	ds_read_b128 v[6:9], v4 offset:896
	ds_read_b128 v[10:13], v4 offset:912
	v_pk_add_f32 v[4:5], v[28:29], v[30:31]
	s_waitcnt vmcnt(14)
	v_mov_b32_e32 v28, v23
	s_waitcnt lgkmcnt(3)
	v_pk_mul_f32 v[28:29], v[14:15], v[28:29] op_sel_hi:[1,0]
	v_pk_fma_f32 v[30:31], v[14:15], v[22:23], v[28:29] op_sel:[0,0,1] op_sel_hi:[1,1,0] neg_lo:[0,0,1] neg_hi:[0,0,1]
	v_pk_fma_f32 v[14:15], v[14:15], v[22:23], v[28:29] op_sel:[0,0,1] op_sel_hi:[1,0,0]
	s_waitcnt vmcnt(12)
	v_mov_b32_e32 v14, v25
	v_mov_b32_e32 v31, v15
	v_pk_mul_f32 v[14:15], v[16:17], v[14:15] op_sel_hi:[1,0]
	v_pk_fma_f32 v[22:23], v[16:17], v[24:25], v[14:15] op_sel:[0,0,1] op_sel_hi:[1,1,0] neg_lo:[0,0,1] neg_hi:[0,0,1]
	v_pk_fma_f32 v[14:15], v[16:17], v[24:25], v[14:15] op_sel:[0,0,1] op_sel_hi:[1,0,0]
	s_waitcnt vmcnt(10)
	v_mov_b32_e32 v14, v27
	v_mov_b32_e32 v23, v15
	s_waitcnt lgkmcnt(2)
	v_pk_mul_f32 v[14:15], v[18:19], v[14:15] op_sel_hi:[1,0]
	v_pk_add_f32 v[4:5], v[4:5], v[32:33]
	v_pk_fma_f32 v[16:17], v[18:19], v[26:27], v[14:15] op_sel:[0,0,1] op_sel_hi:[1,1,0] neg_lo:[0,0,1] neg_hi:[0,0,1]
	v_pk_fma_f32 v[14:15], v[18:19], v[26:27], v[14:15] op_sel:[0,0,1] op_sel_hi:[1,0,0]
	v_pk_add_f32 v[4:5], v[4:5], v[30:31]
	s_waitcnt vmcnt(9)
	v_mov_b32_e32 v14, v35
	v_pk_add_f32 v[4:5], v[4:5], v[22:23]
	v_mov_b32_e32 v17, v15
	v_pk_mul_f32 v[14:15], v[20:21], v[14:15] op_sel_hi:[1,0]
	v_pk_add_f32 v[4:5], v[4:5], v[16:17]
	s_waitcnt vmcnt(8)
	v_pk_fma_f32 v[16:17], v[20:21], v[34:35], v[14:15] op_sel:[0,0,1] op_sel_hi:[1,1,0] neg_lo:[0,0,1] neg_hi:[0,0,1]
	v_pk_fma_f32 v[14:15], v[20:21], v[34:35], v[14:15] op_sel:[0,0,1] op_sel_hi:[1,0,0]
	s_waitcnt vmcnt(7)
	v_mov_b32_e32 v14, v37
	v_mov_b32_e32 v17, v15
	s_waitcnt lgkmcnt(1)
	v_pk_mul_f32 v[14:15], v[6:7], v[14:15] op_sel_hi:[1,0]
	v_pk_add_f32 v[4:5], v[4:5], v[16:17]
	s_waitcnt vmcnt(6)
	v_pk_fma_f32 v[16:17], v[6:7], v[36:37], v[14:15] op_sel:[0,0,1] op_sel_hi:[1,1,0] neg_lo:[0,0,1] neg_hi:[0,0,1]
	v_pk_fma_f32 v[6:7], v[6:7], v[36:37], v[14:15] op_sel:[0,0,1] op_sel_hi:[1,0,0]
	s_waitcnt vmcnt(5)
	v_mov_b32_e32 v6, v39
	v_mov_b32_e32 v17, v7
	v_pk_mul_f32 v[6:7], v[8:9], v[6:7] op_sel_hi:[1,0]
	s_waitcnt vmcnt(4)
	v_pk_fma_f32 v[14:15], v[8:9], v[38:39], v[6:7] op_sel:[0,0,1] op_sel_hi:[1,1,0] neg_lo:[0,0,1] neg_hi:[0,0,1]
	v_pk_fma_f32 v[6:7], v[8:9], v[38:39], v[6:7] op_sel:[0,0,1] op_sel_hi:[1,0,0]
	s_waitcnt vmcnt(3)
	v_mov_b32_e32 v6, v41
	v_mov_b32_e32 v15, v7
	s_waitcnt lgkmcnt(0)
	v_pk_mul_f32 v[6:7], v[10:11], v[6:7] op_sel_hi:[1,0]
	s_waitcnt vmcnt(2)
	v_pk_fma_f32 v[8:9], v[10:11], v[40:41], v[6:7] op_sel:[0,0,1] op_sel_hi:[1,1,0] neg_lo:[0,0,1] neg_hi:[0,0,1]
	v_pk_fma_f32 v[6:7], v[10:11], v[40:41], v[6:7] op_sel:[0,0,1] op_sel_hi:[1,0,0]
	v_pk_add_f32 v[4:5], v[4:5], v[16:17]
	s_waitcnt vmcnt(1)
	v_mov_b32_e32 v6, v43
	v_pk_add_f32 v[4:5], v[4:5], v[14:15]
	v_mov_b32_e32 v9, v7
	v_pk_mul_f32 v[6:7], v[12:13], v[6:7] op_sel_hi:[1,0]
	v_pk_add_f32 v[4:5], v[4:5], v[8:9]
	s_waitcnt vmcnt(0)
	v_pk_fma_f32 v[8:9], v[12:13], v[42:43], v[6:7] op_sel:[0,0,1] op_sel_hi:[1,1,0] neg_lo:[0,0,1] neg_hi:[0,0,1]
	v_pk_fma_f32 v[6:7], v[12:13], v[42:43], v[6:7] op_sel:[0,0,1] op_sel_hi:[1,0,0]
	v_mov_b32_e32 v9, v7
	v_pk_add_f32 v[4:5], v[4:5], v[8:9]
	v_pk_add_f32 v[2:3], v[2:3], v[4:5] neg_lo:[0,1] neg_hi:[0,1]
	buffer_store_dword v3, off, s[0:3], 0 offset:364
	buffer_store_dword v2, off, s[0:3], 0 offset:360
	s_and_saveexec_b64 s[4:5], vcc
	s_cbranch_execz .LBB57_273
; %bb.272:
	buffer_load_dword v2, off, s[0:3], 0 offset:352
	buffer_load_dword v3, off, s[0:3], 0 offset:356
	v_mov_b32_e32 v4, 0
	buffer_store_dword v4, off, s[0:3], 0 offset:352
	buffer_store_dword v4, off, s[0:3], 0 offset:356
	s_waitcnt vmcnt(2)
	ds_write_b64 v175, v[2:3]
.LBB57_273:
	s_or_b64 exec, exec, s[4:5]
	v_mov_b32_e32 v4, 0
	s_waitcnt lgkmcnt(0)
	; wave barrier
	s_waitcnt lgkmcnt(0)
	ds_read2_b64 v[6:9], v4 offset0:103 offset1:104
	buffer_load_dword v2, off, s[0:3], 0 offset:352
	buffer_load_dword v3, off, s[0:3], 0 offset:356
	;; [unrolled: 1-line block ×16, first 2 shown]
	v_cmp_lt_u32_e32 vcc, 43, v0
	s_waitcnt vmcnt(12) lgkmcnt(0)
	v_mul_f32_e32 v10, v6, v18
	v_fmac_f32_e32 v10, v7, v5
	s_waitcnt vmcnt(10)
	v_mul_f32_e32 v11, v8, v20
	v_add_f32_e32 v10, 0, v10
	v_fmac_f32_e32 v11, v9, v19
	v_add_f32_e32 v14, v10, v11
	ds_read2_b64 v[10:13], v4 offset0:105 offset1:106
	v_mul_f32_e32 v7, v7, v18
	v_fma_f32 v5, v6, v5, -v7
	v_mul_f32_e32 v6, v9, v20
	v_add_f32_e32 v5, 0, v5
	s_waitcnt vmcnt(8) lgkmcnt(0)
	v_mul_f32_e32 v15, v10, v26
	v_fmac_f32_e32 v15, v11, v21
	v_add_f32_e32 v27, v14, v15
	ds_read2_b64 v[14:17], v4 offset0:107 offset1:108
	buffer_load_dword v33, off, s[0:3], 0 offset:420
	buffer_load_dword v32, off, s[0:3], 0 offset:416
	;; [unrolled: 1-line block ×12, first 2 shown]
	v_fma_f32 v6, v8, v19, -v6
	v_add_f32_e32 v5, v5, v6
	v_mul_f32_e32 v6, v11, v26
	v_fma_f32 v6, v10, v21, -v6
	s_waitcnt vmcnt(18)
	v_mul_f32_e32 v29, v12, v30
	v_add_f32_e32 v26, v5, v6
	v_mul_f32_e32 v5, v13, v30
	v_fmac_f32_e32 v29, v13, v28
	v_fma_f32 v28, v12, v28, -v5
	s_waitcnt vmcnt(16) lgkmcnt(0)
	v_mul_f32_e32 v31, v14, v45
	v_mul_f32_e32 v5, v15, v45
	v_pk_add_f32 v[26:27], v[26:27], v[28:29]
	s_waitcnt vmcnt(14)
	v_mov_b32_e32 v28, v23
	v_fmac_f32_e32 v31, v15, v44
	v_fma_f32 v30, v14, v44, -v5
	ds_read2_b64 v[6:9], v4 offset0:109 offset1:110
	ds_read2_b64 v[10:13], v4 offset0:111 offset1:112
	;; [unrolled: 1-line block ×3, first 2 shown]
	ds_read_b64 v[14:15], v4 offset:920
	v_pk_mul_f32 v[28:29], v[16:17], v[28:29] op_sel_hi:[1,0]
	v_pk_add_f32 v[26:27], v[26:27], v[30:31]
	v_pk_fma_f32 v[30:31], v[16:17], v[22:23], v[28:29] op_sel:[0,0,1] op_sel_hi:[1,1,0] neg_lo:[0,0,1] neg_hi:[0,0,1]
	v_pk_fma_f32 v[16:17], v[16:17], v[22:23], v[28:29] op_sel:[0,0,1] op_sel_hi:[1,0,0]
	s_waitcnt vmcnt(12)
	v_mov_b32_e32 v22, v25
	v_mov_b32_e32 v31, v17
	s_waitcnt lgkmcnt(3)
	v_pk_mul_f32 v[22:23], v[6:7], v[22:23] op_sel_hi:[1,0]
	v_pk_add_f32 v[16:17], v[26:27], v[30:31]
	v_pk_fma_f32 v[26:27], v[6:7], v[24:25], v[22:23] op_sel:[0,0,1] op_sel_hi:[1,1,0] neg_lo:[0,0,1] neg_hi:[0,0,1]
	v_pk_fma_f32 v[6:7], v[6:7], v[24:25], v[22:23] op_sel:[0,0,1] op_sel_hi:[1,0,0]
	v_mov_b32_e32 v27, v7
	v_pk_add_f32 v[6:7], v[16:17], v[26:27]
	s_waitcnt vmcnt(11)
	v_mov_b32_e32 v16, v33
	v_pk_mul_f32 v[16:17], v[8:9], v[16:17] op_sel_hi:[1,0]
	s_waitcnt vmcnt(10)
	v_pk_fma_f32 v[22:23], v[8:9], v[32:33], v[16:17] op_sel:[0,0,1] op_sel_hi:[1,1,0] neg_lo:[0,0,1] neg_hi:[0,0,1]
	v_pk_fma_f32 v[8:9], v[8:9], v[32:33], v[16:17] op_sel:[0,0,1] op_sel_hi:[1,0,0]
	s_waitcnt vmcnt(9)
	v_mov_b32_e32 v8, v35
	v_mov_b32_e32 v23, v9
	s_waitcnt lgkmcnt(2)
	v_pk_mul_f32 v[8:9], v[10:11], v[8:9] op_sel_hi:[1,0]
	s_waitcnt vmcnt(8)
	v_pk_fma_f32 v[16:17], v[10:11], v[34:35], v[8:9] op_sel:[0,0,1] op_sel_hi:[1,1,0] neg_lo:[0,0,1] neg_hi:[0,0,1]
	v_pk_fma_f32 v[8:9], v[10:11], v[34:35], v[8:9] op_sel:[0,0,1] op_sel_hi:[1,0,0]
	s_waitcnt vmcnt(7)
	v_mov_b32_e32 v8, v37
	v_mov_b32_e32 v17, v9
	v_pk_mul_f32 v[8:9], v[12:13], v[8:9] op_sel_hi:[1,0]
	s_waitcnt vmcnt(6)
	v_pk_fma_f32 v[10:11], v[12:13], v[36:37], v[8:9] op_sel:[0,0,1] op_sel_hi:[1,1,0] neg_lo:[0,0,1] neg_hi:[0,0,1]
	v_pk_fma_f32 v[8:9], v[12:13], v[36:37], v[8:9] op_sel:[0,0,1] op_sel_hi:[1,0,0]
	v_pk_add_f32 v[6:7], v[6:7], v[22:23]
	s_waitcnt vmcnt(5)
	v_mov_b32_e32 v8, v39
	v_pk_add_f32 v[6:7], v[6:7], v[16:17]
	v_mov_b32_e32 v11, v9
	s_waitcnt lgkmcnt(1)
	v_pk_mul_f32 v[8:9], v[18:19], v[8:9] op_sel_hi:[1,0]
	v_pk_add_f32 v[6:7], v[6:7], v[10:11]
	s_waitcnt vmcnt(4)
	v_pk_fma_f32 v[10:11], v[18:19], v[38:39], v[8:9] op_sel:[0,0,1] op_sel_hi:[1,1,0] neg_lo:[0,0,1] neg_hi:[0,0,1]
	v_pk_fma_f32 v[8:9], v[18:19], v[38:39], v[8:9] op_sel:[0,0,1] op_sel_hi:[1,0,0]
	s_waitcnt vmcnt(3)
	v_mov_b32_e32 v8, v41
	v_mov_b32_e32 v11, v9
	v_pk_mul_f32 v[8:9], v[20:21], v[8:9] op_sel_hi:[1,0]
	v_pk_add_f32 v[6:7], v[6:7], v[10:11]
	s_waitcnt vmcnt(2)
	v_pk_fma_f32 v[10:11], v[20:21], v[40:41], v[8:9] op_sel:[0,0,1] op_sel_hi:[1,1,0] neg_lo:[0,0,1] neg_hi:[0,0,1]
	v_pk_fma_f32 v[8:9], v[20:21], v[40:41], v[8:9] op_sel:[0,0,1] op_sel_hi:[1,0,0]
	s_waitcnt vmcnt(1)
	v_mov_b32_e32 v8, v43
	v_mov_b32_e32 v11, v9
	s_waitcnt lgkmcnt(0)
	v_pk_mul_f32 v[8:9], v[14:15], v[8:9] op_sel_hi:[1,0]
	v_pk_add_f32 v[6:7], v[6:7], v[10:11]
	s_waitcnt vmcnt(0)
	v_pk_fma_f32 v[10:11], v[14:15], v[42:43], v[8:9] op_sel:[0,0,1] op_sel_hi:[1,1,0] neg_lo:[0,0,1] neg_hi:[0,0,1]
	v_pk_fma_f32 v[8:9], v[14:15], v[42:43], v[8:9] op_sel:[0,0,1] op_sel_hi:[1,0,0]
	v_mov_b32_e32 v11, v9
	v_pk_add_f32 v[6:7], v[6:7], v[10:11]
	v_pk_add_f32 v[2:3], v[2:3], v[6:7] neg_lo:[0,1] neg_hi:[0,1]
	buffer_store_dword v3, off, s[0:3], 0 offset:356
	buffer_store_dword v2, off, s[0:3], 0 offset:352
	s_and_saveexec_b64 s[4:5], vcc
	s_cbranch_execz .LBB57_275
; %bb.274:
	buffer_load_dword v2, off, s[0:3], 0 offset:344
	buffer_load_dword v3, off, s[0:3], 0 offset:348
	s_waitcnt vmcnt(0)
	ds_write_b64 v175, v[2:3]
	buffer_store_dword v4, off, s[0:3], 0 offset:344
	buffer_store_dword v4, off, s[0:3], 0 offset:348
.LBB57_275:
	s_or_b64 exec, exec, s[4:5]
	s_waitcnt lgkmcnt(0)
	; wave barrier
	s_waitcnt lgkmcnt(0)
	buffer_load_dword v48, off, s[0:3], 0 offset:356
	buffer_load_dword v50, off, s[0:3], 0 offset:364
	;; [unrolled: 1-line block ×30, first 2 shown]
	ds_read_b128 v[6:9], v4 offset:816
	ds_read_b128 v[10:13], v4 offset:832
	;; [unrolled: 1-line block ×7, first 2 shown]
	v_cmp_lt_u32_e32 vcc, 42, v0
	s_waitcnt vmcnt(29) lgkmcnt(6)
	v_mul_f32_e32 v63, v6, v48
	s_waitcnt vmcnt(28)
	v_mul_f32_e32 v64, v8, v50
	s_waitcnt vmcnt(27) lgkmcnt(5)
	v_mul_f32_e32 v65, v10, v52
	s_waitcnt vmcnt(26)
	v_mul_f32_e32 v66, v12, v53
	v_mul_f32_e32 v53, v13, v53
	s_waitcnt vmcnt(25) lgkmcnt(4)
	v_mul_f32_e32 v49, v14, v54
	s_waitcnt vmcnt(24)
	v_mul_f32_e32 v51, v16, v55
	v_mul_f32_e32 v48, v7, v48
	;; [unrolled: 1-line block ×6, first 2 shown]
	s_waitcnt vmcnt(23)
	v_mov_b32_e32 v52, v31
	s_waitcnt vmcnt(22)
	v_mov_b32_e32 v54, v33
	s_waitcnt vmcnt(17)
	v_fma_f32 v53, v12, v60, -v53
	v_fmac_f32_e32 v63, v7, v57
	v_fmac_f32_e32 v64, v9, v58
	;; [unrolled: 1-line block ×3, first 2 shown]
	v_fma_f32 v13, v6, v57, -v48
	v_fma_f32 v57, v8, v58, -v50
	s_waitcnt lgkmcnt(3)
	v_pk_mul_f32 v[6:7], v[18:19], v[52:53] op_sel_hi:[1,0]
	v_pk_mul_f32 v[8:9], v[20:21], v[54:55] op_sel_hi:[1,0]
	s_waitcnt vmcnt(16)
	v_fmac_f32_e32 v49, v15, v61
	v_fma_f32 v48, v14, v61, -v68
	v_add_f32_e32 v52, 0, v63
	v_add_f32_e32 v54, 0, v13
	s_waitcnt vmcnt(14)
	v_pk_fma_f32 v[12:13], v[18:19], v[30:31], v[6:7] op_sel:[0,0,1] op_sel_hi:[1,1,0] neg_lo:[0,0,1] neg_hi:[0,0,1]
	v_pk_fma_f32 v[6:7], v[18:19], v[30:31], v[6:7] op_sel:[0,0,1] op_sel_hi:[1,0,0]
	s_waitcnt vmcnt(10)
	v_pk_fma_f32 v[14:15], v[20:21], v[32:33], v[8:9] op_sel:[0,0,1] op_sel_hi:[1,1,0] neg_lo:[0,0,1] neg_hi:[0,0,1]
	v_pk_fma_f32 v[8:9], v[20:21], v[32:33], v[8:9] op_sel:[0,0,1] op_sel_hi:[1,0,0]
	v_fmac_f32_e32 v65, v11, v59
	v_fma_f32 v58, v10, v59, -v67
	v_add_f32_e32 v6, v52, v64
	v_add_f32_e32 v8, v54, v57
	v_add_f32_e32 v6, v6, v65
	v_add_f32_e32 v8, v8, v58
	v_mov_b32_e32 v56, v35
	v_mov_b32_e32 v13, v7
	v_add_f32_e32 v7, v6, v66
	v_add_f32_e32 v6, v8, v53
	v_fmac_f32_e32 v51, v17, v62
	v_fma_f32 v50, v16, v62, -v55
	s_waitcnt lgkmcnt(2)
	v_pk_mul_f32 v[10:11], v[22:23], v[56:57] op_sel_hi:[1,0]
	v_pk_add_f32 v[6:7], v[6:7], v[48:49]
	s_waitcnt vmcnt(9)
	v_mov_b32_e32 v8, v39
	v_pk_fma_f32 v[16:17], v[22:23], v[34:35], v[10:11] op_sel:[0,0,1] op_sel_hi:[1,1,0] neg_lo:[0,0,1] neg_hi:[0,0,1]
	v_pk_fma_f32 v[10:11], v[22:23], v[34:35], v[10:11] op_sel:[0,0,1] op_sel_hi:[1,0,0]
	v_mov_b32_e32 v15, v9
	v_pk_add_f32 v[6:7], v[6:7], v[50:51]
	v_pk_mul_f32 v[8:9], v[24:25], v[8:9] op_sel_hi:[1,0]
	v_mov_b32_e32 v17, v11
	v_pk_add_f32 v[6:7], v[6:7], v[12:13]
	v_pk_fma_f32 v[10:11], v[24:25], v[38:39], v[8:9] op_sel:[0,0,1] op_sel_hi:[1,1,0] neg_lo:[0,0,1] neg_hi:[0,0,1]
	v_pk_fma_f32 v[8:9], v[24:25], v[38:39], v[8:9] op_sel:[0,0,1] op_sel_hi:[1,0,0]
	v_pk_add_f32 v[6:7], v[6:7], v[14:15]
	s_waitcnt vmcnt(8)
	v_mov_b32_e32 v8, v37
	v_pk_add_f32 v[6:7], v[6:7], v[16:17]
	v_mov_b32_e32 v11, v9
	s_waitcnt lgkmcnt(1)
	v_pk_mul_f32 v[8:9], v[26:27], v[8:9] op_sel_hi:[1,0]
	v_pk_add_f32 v[6:7], v[6:7], v[10:11]
	v_pk_fma_f32 v[10:11], v[26:27], v[36:37], v[8:9] op_sel:[0,0,1] op_sel_hi:[1,1,0] neg_lo:[0,0,1] neg_hi:[0,0,1]
	v_pk_fma_f32 v[8:9], v[26:27], v[36:37], v[8:9] op_sel:[0,0,1] op_sel_hi:[1,0,0]
	s_waitcnt vmcnt(7)
	v_mov_b32_e32 v8, v41
	v_mov_b32_e32 v11, v9
	v_pk_mul_f32 v[8:9], v[28:29], v[8:9] op_sel_hi:[1,0]
	v_pk_add_f32 v[6:7], v[6:7], v[10:11]
	s_waitcnt vmcnt(4)
	v_pk_fma_f32 v[10:11], v[28:29], v[40:41], v[8:9] op_sel:[0,0,1] op_sel_hi:[1,1,0] neg_lo:[0,0,1] neg_hi:[0,0,1]
	v_pk_fma_f32 v[8:9], v[28:29], v[40:41], v[8:9] op_sel:[0,0,1] op_sel_hi:[1,0,0]
	s_waitcnt vmcnt(3)
	v_mov_b32_e32 v8, v45
	v_mov_b32_e32 v11, v9
	s_waitcnt lgkmcnt(0)
	v_pk_mul_f32 v[8:9], v[2:3], v[8:9] op_sel_hi:[1,0]
	v_pk_add_f32 v[6:7], v[6:7], v[10:11]
	v_pk_fma_f32 v[10:11], v[2:3], v[44:45], v[8:9] op_sel:[0,0,1] op_sel_hi:[1,1,0] neg_lo:[0,0,1] neg_hi:[0,0,1]
	v_pk_fma_f32 v[2:3], v[2:3], v[44:45], v[8:9] op_sel:[0,0,1] op_sel_hi:[1,0,0]
	v_mov_b32_e32 v11, v3
	v_pk_add_f32 v[2:3], v[6:7], v[10:11]
	s_waitcnt vmcnt(0)
	v_mov_b32_e32 v6, v43
	v_pk_mul_f32 v[6:7], v[4:5], v[6:7] op_sel_hi:[1,0]
	v_pk_fma_f32 v[8:9], v[4:5], v[42:43], v[6:7] op_sel:[0,0,1] op_sel_hi:[1,1,0] neg_lo:[0,0,1] neg_hi:[0,0,1]
	v_pk_fma_f32 v[4:5], v[4:5], v[42:43], v[6:7] op_sel:[0,0,1] op_sel_hi:[1,0,0]
	v_mov_b32_e32 v9, v5
	v_pk_add_f32 v[2:3], v[2:3], v[8:9]
	v_pk_add_f32 v[2:3], v[46:47], v[2:3] neg_lo:[0,1] neg_hi:[0,1]
	buffer_store_dword v3, off, s[0:3], 0 offset:348
	buffer_store_dword v2, off, s[0:3], 0 offset:344
	s_and_saveexec_b64 s[4:5], vcc
	s_cbranch_execz .LBB57_277
; %bb.276:
	buffer_load_dword v2, off, s[0:3], 0 offset:336
	buffer_load_dword v3, off, s[0:3], 0 offset:340
	v_mov_b32_e32 v4, 0
	buffer_store_dword v4, off, s[0:3], 0 offset:336
	buffer_store_dword v4, off, s[0:3], 0 offset:340
	s_waitcnt vmcnt(2)
	ds_write_b64 v175, v[2:3]
.LBB57_277:
	s_or_b64 exec, exec, s[4:5]
	s_waitcnt lgkmcnt(0)
	; wave barrier
	s_waitcnt lgkmcnt(0)
	buffer_load_dword v3, off, s[0:3], 0 offset:348
	buffer_load_dword v52, off, s[0:3], 0 offset:356
	;; [unrolled: 1-line block ×32, first 2 shown]
	v_mov_b32_e32 v2, 0
	ds_read2_b64 v[4:7], v2 offset0:101 offset1:102
	ds_read2_b64 v[8:11], v2 offset0:103 offset1:104
	;; [unrolled: 1-line block ×7, first 2 shown]
	ds_read_b64 v[50:51], v2 offset:920
	v_cmp_lt_u32_e32 vcc, 41, v0
	s_waitcnt vmcnt(31) lgkmcnt(7)
	v_mul_f32_e32 v67, v4, v3
	v_mul_f32_e32 v3, v5, v3
	s_waitcnt vmcnt(30)
	v_mul_f32_e32 v68, v6, v52
	s_waitcnt vmcnt(28) lgkmcnt(6)
	v_mul_f32_e32 v70, v10, v56
	s_waitcnt vmcnt(27) lgkmcnt(5)
	v_mul_f32_e32 v71, v12, v57
	v_mul_f32_e32 v72, v11, v56
	;; [unrolled: 1-line block ×3, first 2 shown]
	s_waitcnt vmcnt(24)
	v_mov_b32_e32 v56, v33
	v_mul_f32_e32 v69, v8, v54
	v_mul_f32_e32 v52, v7, v52
	s_waitcnt vmcnt(22)
	v_fmac_f32_e32 v67, v5, v60
	v_fma_f32 v3, v4, v60, -v3
	s_waitcnt lgkmcnt(4)
	v_pk_mul_f32 v[4:5], v[18:19], v[56:57] op_sel_hi:[1,0]
	v_mul_f32_e32 v54, v9, v54
	s_waitcnt vmcnt(21)
	v_fmac_f32_e32 v68, v7, v61
	s_waitcnt vmcnt(20)
	v_fmac_f32_e32 v69, v9, v62
	;; [unrolled: 2-line block ×3, first 2 shown]
	v_fma_f32 v9, v6, v61, -v52
	s_waitcnt vmcnt(18)
	v_fma_f32 v11, v12, v64, -v57
	v_add_f32_e32 v12, 0, v67
	v_add_f32_e32 v3, 0, v3
	s_waitcnt vmcnt(12)
	v_pk_fma_f32 v[6:7], v[18:19], v[32:33], v[4:5] op_sel:[0,0,1] op_sel_hi:[1,1,0] neg_lo:[0,0,1] neg_hi:[0,0,1]
	v_pk_fma_f32 v[4:5], v[18:19], v[32:33], v[4:5] op_sel:[0,0,1] op_sel_hi:[1,0,0]
	v_fma_f32 v8, v8, v62, -v54
	v_add_f32_e32 v4, v12, v68
	v_add_f32_e32 v3, v3, v9
	v_fma_f32 v10, v10, v63, -v72
	v_add_f32_e32 v4, v4, v69
	v_add_f32_e32 v3, v3, v8
	v_mul_f32_e32 v53, v14, v58
	v_mul_f32_e32 v73, v15, v58
	v_fmac_f32_e32 v71, v13, v64
	v_add_f32_e32 v4, v4, v70
	v_add_f32_e32 v3, v3, v10
	v_mul_f32_e32 v55, v16, v59
	v_mul_f32_e32 v59, v17, v59
	v_fmac_f32_e32 v53, v15, v65
	v_fma_f32 v52, v14, v65, -v73
	v_mov_b32_e32 v7, v5
	v_add_f32_e32 v5, v4, v71
	v_add_f32_e32 v4, v3, v11
	v_fmac_f32_e32 v55, v17, v66
	v_fma_f32 v54, v16, v66, -v59
	v_pk_add_f32 v[4:5], v[4:5], v[52:53]
	v_mov_b32_e32 v58, v35
	v_pk_add_f32 v[4:5], v[4:5], v[54:55]
	v_pk_add_f32 v[4:5], v[4:5], v[6:7]
	s_waitcnt lgkmcnt(3)
	v_pk_mul_f32 v[6:7], v[20:21], v[58:59] op_sel_hi:[1,0]
	v_pk_fma_f32 v[8:9], v[20:21], v[34:35], v[6:7] op_sel:[0,0,1] op_sel_hi:[1,1,0] neg_lo:[0,0,1] neg_hi:[0,0,1]
	v_pk_fma_f32 v[6:7], v[20:21], v[34:35], v[6:7] op_sel:[0,0,1] op_sel_hi:[1,0,0]
	s_waitcnt vmcnt(11)
	v_mov_b32_e32 v6, v39
	v_mov_b32_e32 v9, v7
	v_pk_mul_f32 v[6:7], v[22:23], v[6:7] op_sel_hi:[1,0]
	v_pk_add_f32 v[4:5], v[4:5], v[8:9]
	v_pk_fma_f32 v[8:9], v[22:23], v[38:39], v[6:7] op_sel:[0,0,1] op_sel_hi:[1,1,0] neg_lo:[0,0,1] neg_hi:[0,0,1]
	v_pk_fma_f32 v[6:7], v[22:23], v[38:39], v[6:7] op_sel:[0,0,1] op_sel_hi:[1,0,0]
	s_waitcnt vmcnt(10)
	v_mov_b32_e32 v6, v37
	v_mov_b32_e32 v9, v7
	s_waitcnt lgkmcnt(2)
	v_pk_mul_f32 v[6:7], v[24:25], v[6:7] op_sel_hi:[1,0]
	v_pk_add_f32 v[4:5], v[4:5], v[8:9]
	v_pk_fma_f32 v[8:9], v[24:25], v[36:37], v[6:7] op_sel:[0,0,1] op_sel_hi:[1,1,0] neg_lo:[0,0,1] neg_hi:[0,0,1]
	v_pk_fma_f32 v[6:7], v[24:25], v[36:37], v[6:7] op_sel:[0,0,1] op_sel_hi:[1,0,0]
	s_waitcnt vmcnt(9)
	v_mov_b32_e32 v6, v41
	v_mov_b32_e32 v9, v7
	v_pk_mul_f32 v[6:7], v[26:27], v[6:7] op_sel_hi:[1,0]
	v_pk_add_f32 v[4:5], v[4:5], v[8:9]
	s_waitcnt vmcnt(4)
	v_pk_fma_f32 v[8:9], v[26:27], v[40:41], v[6:7] op_sel:[0,0,1] op_sel_hi:[1,1,0] neg_lo:[0,0,1] neg_hi:[0,0,1]
	v_pk_fma_f32 v[6:7], v[26:27], v[40:41], v[6:7] op_sel:[0,0,1] op_sel_hi:[1,0,0]
	v_mov_b32_e32 v6, v47
	v_mov_b32_e32 v9, v7
	s_waitcnt lgkmcnt(1)
	v_pk_mul_f32 v[6:7], v[28:29], v[6:7] op_sel_hi:[1,0]
	v_pk_add_f32 v[4:5], v[4:5], v[8:9]
	v_pk_fma_f32 v[8:9], v[28:29], v[46:47], v[6:7] op_sel:[0,0,1] op_sel_hi:[1,1,0] neg_lo:[0,0,1] neg_hi:[0,0,1]
	v_pk_fma_f32 v[6:7], v[28:29], v[46:47], v[6:7] op_sel:[0,0,1] op_sel_hi:[1,0,0]
	s_waitcnt vmcnt(3)
	v_mov_b32_e32 v6, v45
	v_mov_b32_e32 v9, v7
	v_pk_mul_f32 v[6:7], v[30:31], v[6:7] op_sel_hi:[1,0]
	v_pk_add_f32 v[4:5], v[4:5], v[8:9]
	v_pk_fma_f32 v[8:9], v[30:31], v[44:45], v[6:7] op_sel:[0,0,1] op_sel_hi:[1,1,0] neg_lo:[0,0,1] neg_hi:[0,0,1]
	v_pk_fma_f32 v[6:7], v[30:31], v[44:45], v[6:7] op_sel:[0,0,1] op_sel_hi:[1,0,0]
	s_waitcnt vmcnt(0)
	v_mov_b32_e32 v6, v43
	v_mov_b32_e32 v9, v7
	s_waitcnt lgkmcnt(0)
	v_pk_mul_f32 v[6:7], v[50:51], v[6:7] op_sel_hi:[1,0]
	v_pk_add_f32 v[4:5], v[4:5], v[8:9]
	v_pk_fma_f32 v[8:9], v[50:51], v[42:43], v[6:7] op_sel:[0,0,1] op_sel_hi:[1,1,0] neg_lo:[0,0,1] neg_hi:[0,0,1]
	v_pk_fma_f32 v[6:7], v[50:51], v[42:43], v[6:7] op_sel:[0,0,1] op_sel_hi:[1,0,0]
	v_mov_b32_e32 v9, v7
	v_pk_add_f32 v[4:5], v[4:5], v[8:9]
	v_pk_add_f32 v[4:5], v[48:49], v[4:5] neg_lo:[0,1] neg_hi:[0,1]
	buffer_store_dword v5, off, s[0:3], 0 offset:340
	buffer_store_dword v4, off, s[0:3], 0 offset:336
	s_and_saveexec_b64 s[4:5], vcc
	s_cbranch_execz .LBB57_279
; %bb.278:
	buffer_load_dword v4, off, s[0:3], 0 offset:328
	buffer_load_dword v5, off, s[0:3], 0 offset:332
	s_waitcnt vmcnt(0)
	ds_write_b64 v175, v[4:5]
	buffer_store_dword v2, off, s[0:3], 0 offset:328
	buffer_store_dword v2, off, s[0:3], 0 offset:332
.LBB57_279:
	s_or_b64 exec, exec, s[4:5]
	s_waitcnt lgkmcnt(0)
	; wave barrier
	s_waitcnt lgkmcnt(0)
	buffer_load_dword v54, off, s[0:3], 0 offset:340
	buffer_load_dword v56, off, s[0:3], 0 offset:348
	;; [unrolled: 1-line block ×32, first 2 shown]
	ds_read_b128 v[4:7], v2 offset:800
	ds_read_b128 v[8:11], v2 offset:816
	;; [unrolled: 1-line block ×4, first 2 shown]
	buffer_load_dword v53, off, s[0:3], 0 offset:460
	buffer_load_dword v52, off, s[0:3], 0 offset:456
	ds_read_b128 v[20:23], v2 offset:864
	ds_read_b128 v[24:27], v2 offset:880
	;; [unrolled: 1-line block ×4, first 2 shown]
	v_cmp_lt_u32_e32 vcc, 40, v0
	s_waitcnt vmcnt(33) lgkmcnt(7)
	v_mul_f32_e32 v71, v4, v54
	v_mul_f32_e32 v2, v5, v54
	s_waitcnt vmcnt(32)
	v_mul_f32_e32 v72, v6, v56
	s_waitcnt vmcnt(31) lgkmcnt(6)
	v_mul_f32_e32 v73, v8, v57
	v_mul_f32_e32 v54, v7, v56
	v_mul_f32_e32 v56, v9, v57
	s_waitcnt vmcnt(30)
	v_mul_f32_e32 v57, v11, v58
	v_mul_f32_e32 v74, v10, v58
	s_waitcnt vmcnt(25)
	v_fmac_f32_e32 v71, v5, v63
	v_fma_f32 v4, v4, v63, -v2
	s_waitcnt vmcnt(24)
	v_fmac_f32_e32 v72, v7, v64
	v_fma_f32 v5, v6, v64, -v54
	s_waitcnt vmcnt(22)
	v_fma_f32 v7, v10, v66, -v57
	v_add_f32_e32 v10, 0, v71
	v_add_f32_e32 v4, 0, v4
	v_fmac_f32_e32 v73, v9, v65
	v_fma_f32 v6, v8, v65, -v56
	v_add_f32_e32 v10, v10, v72
	v_add_f32_e32 v4, v4, v5
	s_waitcnt lgkmcnt(5)
	v_mul_f32_e32 v75, v12, v59
	v_mul_f32_e32 v58, v13, v59
	v_fmac_f32_e32 v74, v11, v66
	v_add_f32_e32 v5, v10, v73
	v_add_f32_e32 v4, v4, v6
	v_mul_f32_e32 v76, v14, v60
	v_mul_f32_e32 v59, v15, v60
	s_waitcnt vmcnt(21)
	v_fmac_f32_e32 v75, v13, v67
	v_fma_f32 v8, v12, v67, -v58
	v_add_f32_e32 v5, v5, v74
	v_add_f32_e32 v4, v4, v7
	s_waitcnt lgkmcnt(4)
	v_mul_f32_e32 v3, v16, v61
	v_mul_f32_e32 v60, v17, v61
	s_waitcnt vmcnt(20)
	v_fmac_f32_e32 v76, v15, v68
	v_fma_f32 v9, v14, v68, -v59
	v_add_f32_e32 v5, v5, v75
	v_add_f32_e32 v4, v4, v8
	s_waitcnt vmcnt(19)
	v_fmac_f32_e32 v3, v17, v69
	v_fma_f32 v2, v16, v69, -v60
	v_add_f32_e32 v5, v5, v76
	v_add_f32_e32 v4, v4, v9
	v_pk_add_f32 v[2:3], v[4:5], v[2:3]
	s_waitcnt vmcnt(17)
	v_mov_b32_e32 v4, v37
	s_waitcnt lgkmcnt(3)
	v_pk_mul_f32 v[4:5], v[20:21], v[4:5] op_sel_hi:[1,0]
	v_mul_f32_e32 v55, v18, v62
	v_mul_f32_e32 v61, v19, v62
	s_waitcnt vmcnt(14)
	v_pk_fma_f32 v[6:7], v[20:21], v[36:37], v[4:5] op_sel:[0,0,1] op_sel_hi:[1,1,0] neg_lo:[0,0,1] neg_hi:[0,0,1]
	v_pk_fma_f32 v[4:5], v[20:21], v[36:37], v[4:5] op_sel:[0,0,1] op_sel_hi:[1,0,0]
	v_fmac_f32_e32 v55, v19, v70
	v_fma_f32 v54, v18, v70, -v61
	s_waitcnt vmcnt(13)
	v_mov_b32_e32 v4, v41
	v_pk_add_f32 v[2:3], v[2:3], v[54:55]
	v_mov_b32_e32 v7, v5
	v_pk_mul_f32 v[4:5], v[22:23], v[4:5] op_sel_hi:[1,0]
	v_pk_add_f32 v[2:3], v[2:3], v[6:7]
	v_pk_fma_f32 v[6:7], v[22:23], v[40:41], v[4:5] op_sel:[0,0,1] op_sel_hi:[1,1,0] neg_lo:[0,0,1] neg_hi:[0,0,1]
	v_pk_fma_f32 v[4:5], v[22:23], v[40:41], v[4:5] op_sel:[0,0,1] op_sel_hi:[1,0,0]
	s_waitcnt vmcnt(12)
	v_mov_b32_e32 v4, v39
	v_mov_b32_e32 v7, v5
	s_waitcnt lgkmcnt(2)
	v_pk_mul_f32 v[4:5], v[24:25], v[4:5] op_sel_hi:[1,0]
	v_pk_add_f32 v[2:3], v[2:3], v[6:7]
	v_pk_fma_f32 v[6:7], v[24:25], v[38:39], v[4:5] op_sel:[0,0,1] op_sel_hi:[1,1,0] neg_lo:[0,0,1] neg_hi:[0,0,1]
	v_pk_fma_f32 v[4:5], v[24:25], v[38:39], v[4:5] op_sel:[0,0,1] op_sel_hi:[1,0,0]
	s_waitcnt vmcnt(11)
	v_mov_b32_e32 v4, v43
	v_mov_b32_e32 v7, v5
	v_pk_mul_f32 v[4:5], v[26:27], v[4:5] op_sel_hi:[1,0]
	v_pk_add_f32 v[2:3], v[2:3], v[6:7]
	s_waitcnt vmcnt(5)
	v_pk_fma_f32 v[6:7], v[26:27], v[42:43], v[4:5] op_sel:[0,0,1] op_sel_hi:[1,1,0] neg_lo:[0,0,1] neg_hi:[0,0,1]
	v_pk_fma_f32 v[4:5], v[26:27], v[42:43], v[4:5] op_sel:[0,0,1] op_sel_hi:[1,0,0]
	v_mov_b32_e32 v4, v49
	v_mov_b32_e32 v7, v5
	s_waitcnt lgkmcnt(1)
	v_pk_mul_f32 v[4:5], v[28:29], v[4:5] op_sel_hi:[1,0]
	v_pk_add_f32 v[2:3], v[2:3], v[6:7]
	v_pk_fma_f32 v[6:7], v[28:29], v[48:49], v[4:5] op_sel:[0,0,1] op_sel_hi:[1,1,0] neg_lo:[0,0,1] neg_hi:[0,0,1]
	v_pk_fma_f32 v[4:5], v[28:29], v[48:49], v[4:5] op_sel:[0,0,1] op_sel_hi:[1,0,0]
	v_mov_b32_e32 v4, v47
	v_mov_b32_e32 v7, v5
	v_pk_mul_f32 v[4:5], v[30:31], v[4:5] op_sel_hi:[1,0]
	v_pk_add_f32 v[2:3], v[2:3], v[6:7]
	v_pk_fma_f32 v[6:7], v[30:31], v[46:47], v[4:5] op_sel:[0,0,1] op_sel_hi:[1,1,0] neg_lo:[0,0,1] neg_hi:[0,0,1]
	v_pk_fma_f32 v[4:5], v[30:31], v[46:47], v[4:5] op_sel:[0,0,1] op_sel_hi:[1,0,0]
	s_waitcnt vmcnt(2)
	v_mov_b32_e32 v4, v45
	v_mov_b32_e32 v7, v5
	s_waitcnt lgkmcnt(0)
	v_pk_mul_f32 v[4:5], v[32:33], v[4:5] op_sel_hi:[1,0]
	v_pk_add_f32 v[2:3], v[2:3], v[6:7]
	v_pk_fma_f32 v[6:7], v[32:33], v[44:45], v[4:5] op_sel:[0,0,1] op_sel_hi:[1,1,0] neg_lo:[0,0,1] neg_hi:[0,0,1]
	v_pk_fma_f32 v[4:5], v[32:33], v[44:45], v[4:5] op_sel:[0,0,1] op_sel_hi:[1,0,0]
	s_waitcnt vmcnt(1)
	v_mov_b32_e32 v4, v53
	v_mov_b32_e32 v7, v5
	v_pk_mul_f32 v[4:5], v[34:35], v[4:5] op_sel_hi:[1,0]
	v_pk_add_f32 v[2:3], v[2:3], v[6:7]
	s_waitcnt vmcnt(0)
	v_pk_fma_f32 v[6:7], v[34:35], v[52:53], v[4:5] op_sel:[0,0,1] op_sel_hi:[1,1,0] neg_lo:[0,0,1] neg_hi:[0,0,1]
	v_pk_fma_f32 v[4:5], v[34:35], v[52:53], v[4:5] op_sel:[0,0,1] op_sel_hi:[1,0,0]
	v_mov_b32_e32 v7, v5
	v_pk_add_f32 v[2:3], v[2:3], v[6:7]
	v_pk_add_f32 v[2:3], v[50:51], v[2:3] neg_lo:[0,1] neg_hi:[0,1]
	buffer_store_dword v3, off, s[0:3], 0 offset:332
	buffer_store_dword v2, off, s[0:3], 0 offset:328
	s_and_saveexec_b64 s[4:5], vcc
	s_cbranch_execz .LBB57_281
; %bb.280:
	buffer_load_dword v2, off, s[0:3], 0 offset:320
	buffer_load_dword v3, off, s[0:3], 0 offset:324
	v_mov_b32_e32 v4, 0
	buffer_store_dword v4, off, s[0:3], 0 offset:320
	buffer_store_dword v4, off, s[0:3], 0 offset:324
	s_waitcnt vmcnt(2)
	ds_write_b64 v175, v[2:3]
.LBB57_281:
	s_or_b64 exec, exec, s[4:5]
	s_waitcnt lgkmcnt(0)
	; wave barrier
	s_waitcnt lgkmcnt(0)
	buffer_load_dword v3, off, s[0:3], 0 offset:332
	buffer_load_dword v46, off, s[0:3], 0 offset:340
	;; [unrolled: 1-line block ×36, first 2 shown]
	v_mov_b32_e32 v2, 0
	ds_read2_b64 v[4:7], v2 offset0:99 offset1:100
	ds_read2_b64 v[8:11], v2 offset0:101 offset1:102
	;; [unrolled: 1-line block ×6, first 2 shown]
	v_cmp_lt_u32_e32 vcc, 39, v0
	s_waitcnt vmcnt(35) lgkmcnt(5)
	v_mul_f32_e32 v65, v4, v3
	s_waitcnt vmcnt(34)
	v_mul_f32_e32 v66, v6, v46
	s_waitcnt vmcnt(33) lgkmcnt(4)
	v_mul_f32_e32 v67, v8, v48
	v_mul_f32_e32 v3, v5, v3
	v_mul_f32_e32 v46, v7, v46
	v_mul_f32_e32 v48, v9, v48
	s_waitcnt vmcnt(32)
	v_mul_f32_e32 v68, v10, v50
	s_waitcnt vmcnt(31) lgkmcnt(3)
	v_mul_f32_e32 v69, v12, v51
	v_mul_f32_e32 v50, v11, v50
	s_waitcnt vmcnt(26)
	v_fmac_f32_e32 v65, v5, v56
	s_waitcnt vmcnt(25)
	v_fmac_f32_e32 v66, v7, v57
	;; [unrolled: 2-line block ×3, first 2 shown]
	v_fma_f32 v3, v4, v56, -v3
	v_add_f32_e32 v9, 0, v65
	v_fma_f32 v4, v6, v57, -v46
	v_add_f32_e32 v3, 0, v3
	v_add_f32_e32 v9, v9, v66
	s_waitcnt vmcnt(23)
	v_fmac_f32_e32 v68, v11, v59
	v_fma_f32 v5, v8, v58, -v48
	v_add_f32_e32 v3, v3, v4
	v_add_f32_e32 v4, v9, v67
	v_mul_f32_e32 v70, v14, v52
	v_mul_f32_e32 v51, v13, v51
	s_waitcnt vmcnt(22)
	v_fmac_f32_e32 v69, v13, v60
	v_fma_f32 v6, v10, v59, -v50
	v_add_f32_e32 v3, v3, v5
	v_add_f32_e32 v4, v4, v68
	s_waitcnt lgkmcnt(2)
	v_mul_f32_e32 v71, v16, v53
	v_mul_f32_e32 v52, v15, v52
	s_waitcnt vmcnt(21)
	v_fmac_f32_e32 v70, v15, v61
	v_fma_f32 v7, v12, v60, -v51
	v_add_f32_e32 v3, v3, v6
	v_add_f32_e32 v4, v4, v69
	v_mul_f32_e32 v53, v17, v53
	s_waitcnt vmcnt(20)
	v_fmac_f32_e32 v71, v17, v62
	v_fma_f32 v8, v14, v61, -v52
	v_add_f32_e32 v3, v3, v7
	v_add_f32_e32 v4, v4, v70
	;; [unrolled: 1-line block ×4, first 2 shown]
	v_fma_f32 v4, v16, v62, -v53
	s_waitcnt vmcnt(17)
	v_mov_b32_e32 v16, v29
	v_mul_f32_e32 v47, v18, v54
	v_add_f32_e32 v12, v3, v4
	v_mul_f32_e32 v3, v19, v54
	s_waitcnt lgkmcnt(1)
	v_pk_mul_f32 v[16:17], v[22:23], v[16:17] op_sel_hi:[1,0]
	v_mul_f32_e32 v49, v20, v55
	v_fmac_f32_e32 v47, v19, v63
	v_fma_f32 v46, v18, v63, -v3
	v_mul_f32_e32 v3, v21, v55
	s_waitcnt vmcnt(15)
	v_pk_fma_f32 v[18:19], v[22:23], v[28:29], v[16:17] op_sel:[0,0,1] op_sel_hi:[1,1,0] neg_lo:[0,0,1] neg_hi:[0,0,1]
	v_pk_fma_f32 v[16:17], v[22:23], v[28:29], v[16:17] op_sel:[0,0,1] op_sel_hi:[1,0,0]
	v_fmac_f32_e32 v49, v21, v64
	v_fma_f32 v48, v20, v64, -v3
	v_pk_add_f32 v[12:13], v[12:13], v[46:47]
	s_waitcnt vmcnt(12)
	v_mov_b32_e32 v16, v31
	v_pk_add_f32 v[12:13], v[12:13], v[48:49]
	v_mov_b32_e32 v19, v17
	s_waitcnt lgkmcnt(0)
	v_pk_mul_f32 v[16:17], v[24:25], v[16:17] op_sel_hi:[1,0]
	v_pk_add_f32 v[12:13], v[12:13], v[18:19]
	v_pk_fma_f32 v[18:19], v[24:25], v[30:31], v[16:17] op_sel:[0,0,1] op_sel_hi:[1,1,0] neg_lo:[0,0,1] neg_hi:[0,0,1]
	v_pk_fma_f32 v[16:17], v[24:25], v[30:31], v[16:17] op_sel:[0,0,1] op_sel_hi:[1,0,0]
	s_waitcnt vmcnt(11)
	v_mov_b32_e32 v16, v35
	ds_read2_b64 v[4:7], v2 offset0:111 offset1:112
	ds_read2_b64 v[8:11], v2 offset0:113 offset1:114
	ds_read_b64 v[14:15], v2 offset:920
	v_mov_b32_e32 v19, v17
	v_pk_mul_f32 v[16:17], v[26:27], v[16:17] op_sel_hi:[1,0]
	v_pk_add_f32 v[12:13], v[12:13], v[18:19]
	s_waitcnt vmcnt(4)
	v_pk_fma_f32 v[18:19], v[26:27], v[34:35], v[16:17] op_sel:[0,0,1] op_sel_hi:[1,1,0] neg_lo:[0,0,1] neg_hi:[0,0,1]
	v_pk_fma_f32 v[16:17], v[26:27], v[34:35], v[16:17] op_sel:[0,0,1] op_sel_hi:[1,0,0]
	v_mov_b32_e32 v16, v41
	v_mov_b32_e32 v19, v17
	s_waitcnt lgkmcnt(2)
	v_pk_mul_f32 v[16:17], v[4:5], v[16:17] op_sel_hi:[1,0]
	v_pk_add_f32 v[12:13], v[12:13], v[18:19]
	v_pk_fma_f32 v[18:19], v[4:5], v[40:41], v[16:17] op_sel:[0,0,1] op_sel_hi:[1,1,0] neg_lo:[0,0,1] neg_hi:[0,0,1]
	v_pk_fma_f32 v[4:5], v[4:5], v[40:41], v[16:17] op_sel:[0,0,1] op_sel_hi:[1,0,0]
	v_mov_b32_e32 v19, v5
	v_pk_add_f32 v[4:5], v[12:13], v[18:19]
	v_mov_b32_e32 v12, v39
	v_pk_mul_f32 v[12:13], v[6:7], v[12:13] op_sel_hi:[1,0]
	v_pk_fma_f32 v[16:17], v[6:7], v[38:39], v[12:13] op_sel:[0,0,1] op_sel_hi:[1,1,0] neg_lo:[0,0,1] neg_hi:[0,0,1]
	v_pk_fma_f32 v[6:7], v[6:7], v[38:39], v[12:13] op_sel:[0,0,1] op_sel_hi:[1,0,0]
	v_mov_b32_e32 v6, v37
	v_mov_b32_e32 v17, v7
	s_waitcnt lgkmcnt(1)
	v_pk_mul_f32 v[6:7], v[8:9], v[6:7] op_sel_hi:[1,0]
	v_pk_fma_f32 v[12:13], v[8:9], v[36:37], v[6:7] op_sel:[0,0,1] op_sel_hi:[1,1,0] neg_lo:[0,0,1] neg_hi:[0,0,1]
	v_pk_fma_f32 v[6:7], v[8:9], v[36:37], v[6:7] op_sel:[0,0,1] op_sel_hi:[1,0,0]
	s_waitcnt vmcnt(1)
	v_mov_b32_e32 v6, v45
	v_mov_b32_e32 v13, v7
	v_pk_mul_f32 v[6:7], v[10:11], v[6:7] op_sel_hi:[1,0]
	s_waitcnt vmcnt(0)
	v_pk_fma_f32 v[8:9], v[10:11], v[44:45], v[6:7] op_sel:[0,0,1] op_sel_hi:[1,1,0] neg_lo:[0,0,1] neg_hi:[0,0,1]
	v_pk_fma_f32 v[6:7], v[10:11], v[44:45], v[6:7] op_sel:[0,0,1] op_sel_hi:[1,0,0]
	v_pk_add_f32 v[4:5], v[4:5], v[16:17]
	v_mov_b32_e32 v6, v43
	v_pk_add_f32 v[4:5], v[4:5], v[12:13]
	v_mov_b32_e32 v9, v7
	s_waitcnt lgkmcnt(0)
	v_pk_mul_f32 v[6:7], v[14:15], v[6:7] op_sel_hi:[1,0]
	v_pk_add_f32 v[4:5], v[4:5], v[8:9]
	v_pk_fma_f32 v[8:9], v[14:15], v[42:43], v[6:7] op_sel:[0,0,1] op_sel_hi:[1,1,0] neg_lo:[0,0,1] neg_hi:[0,0,1]
	v_pk_fma_f32 v[6:7], v[14:15], v[42:43], v[6:7] op_sel:[0,0,1] op_sel_hi:[1,0,0]
	v_mov_b32_e32 v9, v7
	v_pk_add_f32 v[4:5], v[4:5], v[8:9]
	v_pk_add_f32 v[4:5], v[32:33], v[4:5] neg_lo:[0,1] neg_hi:[0,1]
	buffer_store_dword v5, off, s[0:3], 0 offset:324
	buffer_store_dword v4, off, s[0:3], 0 offset:320
	s_and_saveexec_b64 s[4:5], vcc
	s_cbranch_execz .LBB57_283
; %bb.282:
	buffer_load_dword v4, off, s[0:3], 0 offset:312
	buffer_load_dword v5, off, s[0:3], 0 offset:316
	s_waitcnt vmcnt(0)
	ds_write_b64 v175, v[4:5]
	buffer_store_dword v2, off, s[0:3], 0 offset:312
	buffer_store_dword v2, off, s[0:3], 0 offset:316
.LBB57_283:
	s_or_b64 exec, exec, s[4:5]
	s_waitcnt lgkmcnt(0)
	; wave barrier
	s_waitcnt lgkmcnt(0)
	buffer_load_dword v3, off, s[0:3], 0 offset:324
	buffer_load_dword v46, off, s[0:3], 0 offset:332
	buffer_load_dword v48, off, s[0:3], 0 offset:340
	buffer_load_dword v50, off, s[0:3], 0 offset:348
	buffer_load_dword v51, off, s[0:3], 0 offset:356
	buffer_load_dword v52, off, s[0:3], 0 offset:364
	buffer_load_dword v53, off, s[0:3], 0 offset:372
	buffer_load_dword v54, off, s[0:3], 0 offset:380
	buffer_load_dword v55, off, s[0:3], 0 offset:388
	buffer_load_dword v56, off, s[0:3], 0 offset:396
	buffer_load_dword v57, off, s[0:3], 0 offset:320
	buffer_load_dword v58, off, s[0:3], 0 offset:328
	buffer_load_dword v59, off, s[0:3], 0 offset:336
	buffer_load_dword v60, off, s[0:3], 0 offset:344
	buffer_load_dword v61, off, s[0:3], 0 offset:352
	buffer_load_dword v62, off, s[0:3], 0 offset:360
	buffer_load_dword v63, off, s[0:3], 0 offset:368
	buffer_load_dword v64, off, s[0:3], 0 offset:376
	buffer_load_dword v65, off, s[0:3], 0 offset:384
	buffer_load_dword v66, off, s[0:3], 0 offset:392
	buffer_load_dword v28, off, s[0:3], 0 offset:312
	buffer_load_dword v29, off, s[0:3], 0 offset:316
	ds_read_b128 v[4:7], v2 offset:784
	ds_read_b128 v[8:11], v2 offset:800
	buffer_load_dword v31, off, s[0:3], 0 offset:404
	buffer_load_dword v30, off, s[0:3], 0 offset:400
	;; [unrolled: 1-line block ×10, first 2 shown]
	ds_read_b128 v[12:15], v2 offset:816
	ds_read_b128 v[16:19], v2 offset:832
	;; [unrolled: 1-line block ×4, first 2 shown]
	buffer_load_dword v41, off, s[0:3], 0 offset:460
	buffer_load_dword v40, off, s[0:3], 0 offset:456
	;; [unrolled: 1-line block ×6, first 2 shown]
	v_cmp_lt_u32_e32 vcc, 38, v0
	s_waitcnt vmcnt(37) lgkmcnt(5)
	v_mul_f32_e32 v67, v4, v3
	s_waitcnt vmcnt(36)
	v_mul_f32_e32 v68, v6, v46
	s_waitcnt vmcnt(35) lgkmcnt(4)
	v_mul_f32_e32 v69, v8, v48
	v_mul_f32_e32 v3, v5, v3
	;; [unrolled: 1-line block ×4, first 2 shown]
	s_waitcnt vmcnt(34)
	v_mul_f32_e32 v70, v10, v50
	s_waitcnt vmcnt(33) lgkmcnt(3)
	v_mul_f32_e32 v71, v12, v51
	s_waitcnt vmcnt(32)
	v_mul_f32_e32 v72, v14, v52
	s_waitcnt vmcnt(31) lgkmcnt(2)
	v_mul_f32_e32 v73, v16, v53
	s_waitcnt vmcnt(27)
	v_fmac_f32_e32 v67, v5, v57
	s_waitcnt vmcnt(26)
	v_fmac_f32_e32 v68, v7, v58
	v_fma_f32 v3, v4, v57, -v3
	s_waitcnt vmcnt(25)
	v_fma_f32 v5, v8, v59, -v48
	v_add_f32_e32 v8, 0, v67
	v_fmac_f32_e32 v69, v9, v59
	v_fma_f32 v4, v6, v58, -v46
	v_add_f32_e32 v3, 0, v3
	v_add_f32_e32 v8, v8, v68
	s_waitcnt vmcnt(24)
	v_fmac_f32_e32 v70, v11, v60
	v_add_f32_e32 v3, v3, v4
	v_add_f32_e32 v4, v8, v69
	s_waitcnt vmcnt(23)
	v_fmac_f32_e32 v71, v13, v61
	v_add_f32_e32 v4, v4, v70
	v_mul_f32_e32 v50, v11, v50
	s_waitcnt vmcnt(22)
	v_fmac_f32_e32 v72, v15, v62
	v_add_f32_e32 v4, v4, v71
	v_mul_f32_e32 v74, v18, v54
	v_mul_f32_e32 v51, v13, v51
	s_waitcnt vmcnt(21)
	v_fmac_f32_e32 v73, v17, v63
	v_fma_f32 v6, v10, v60, -v50
	v_add_f32_e32 v3, v3, v5
	v_add_f32_e32 v4, v4, v72
	v_mul_f32_e32 v52, v15, v52
	s_waitcnt vmcnt(20)
	v_fmac_f32_e32 v74, v19, v64
	v_fma_f32 v7, v12, v61, -v51
	v_add_f32_e32 v3, v3, v6
	v_add_f32_e32 v4, v4, v73
	;; [unrolled: 1-line block ×4, first 2 shown]
	v_fma_f32 v4, v14, v62, -v52
	v_add_f32_e32 v3, v3, v4
	v_mul_f32_e32 v4, v17, v53
	v_fma_f32 v4, v16, v63, -v4
	v_add_f32_e32 v3, v3, v4
	v_mul_f32_e32 v4, v19, v54
	v_fma_f32 v4, v18, v64, -v4
	s_waitcnt vmcnt(15)
	v_mov_b32_e32 v16, v31
	s_waitcnt lgkmcnt(1)
	v_mul_f32_e32 v47, v20, v55
	v_add_f32_e32 v50, v3, v4
	v_mul_f32_e32 v3, v21, v55
	s_waitcnt lgkmcnt(0)
	v_pk_mul_f32 v[16:17], v[24:25], v[16:17] op_sel_hi:[1,0]
	v_mul_f32_e32 v49, v22, v56
	v_fmac_f32_e32 v47, v21, v65
	v_fma_f32 v46, v20, v65, -v3
	v_mul_f32_e32 v3, v23, v56
	s_waitcnt vmcnt(14)
	v_pk_fma_f32 v[18:19], v[24:25], v[30:31], v[16:17] op_sel:[0,0,1] op_sel_hi:[1,1,0] neg_lo:[0,0,1] neg_hi:[0,0,1]
	v_pk_fma_f32 v[16:17], v[24:25], v[30:31], v[16:17] op_sel:[0,0,1] op_sel_hi:[1,0,0]
	v_fmac_f32_e32 v49, v23, v66
	v_fma_f32 v48, v22, v66, -v3
	ds_read_b128 v[4:7], v2 offset:880
	ds_read_b128 v[8:11], v2 offset:896
	;; [unrolled: 1-line block ×3, first 2 shown]
	v_pk_add_f32 v[2:3], v[50:51], v[46:47]
	s_waitcnt vmcnt(13)
	v_mov_b32_e32 v16, v33
	v_pk_add_f32 v[2:3], v[2:3], v[48:49]
	v_mov_b32_e32 v19, v17
	v_pk_mul_f32 v[16:17], v[26:27], v[16:17] op_sel_hi:[1,0]
	v_pk_add_f32 v[2:3], v[2:3], v[18:19]
	s_waitcnt vmcnt(6)
	v_pk_fma_f32 v[18:19], v[26:27], v[32:33], v[16:17] op_sel:[0,0,1] op_sel_hi:[1,1,0] neg_lo:[0,0,1] neg_hi:[0,0,1]
	v_pk_fma_f32 v[16:17], v[26:27], v[32:33], v[16:17] op_sel:[0,0,1] op_sel_hi:[1,0,0]
	v_mov_b32_e32 v16, v39
	v_mov_b32_e32 v19, v17
	s_waitcnt lgkmcnt(2)
	v_pk_mul_f32 v[16:17], v[4:5], v[16:17] op_sel_hi:[1,0]
	v_pk_add_f32 v[2:3], v[2:3], v[18:19]
	v_pk_fma_f32 v[18:19], v[4:5], v[38:39], v[16:17] op_sel:[0,0,1] op_sel_hi:[1,1,0] neg_lo:[0,0,1] neg_hi:[0,0,1]
	v_pk_fma_f32 v[4:5], v[4:5], v[38:39], v[16:17] op_sel:[0,0,1] op_sel_hi:[1,0,0]
	v_mov_b32_e32 v4, v37
	v_mov_b32_e32 v19, v5
	v_pk_mul_f32 v[4:5], v[6:7], v[4:5] op_sel_hi:[1,0]
	v_pk_fma_f32 v[16:17], v[6:7], v[36:37], v[4:5] op_sel:[0,0,1] op_sel_hi:[1,1,0] neg_lo:[0,0,1] neg_hi:[0,0,1]
	v_pk_fma_f32 v[4:5], v[6:7], v[36:37], v[4:5] op_sel:[0,0,1] op_sel_hi:[1,0,0]
	v_mov_b32_e32 v4, v35
	v_mov_b32_e32 v17, v5
	s_waitcnt lgkmcnt(1)
	v_pk_mul_f32 v[4:5], v[8:9], v[4:5] op_sel_hi:[1,0]
	v_pk_fma_f32 v[6:7], v[8:9], v[34:35], v[4:5] op_sel:[0,0,1] op_sel_hi:[1,1,0] neg_lo:[0,0,1] neg_hi:[0,0,1]
	v_pk_fma_f32 v[4:5], v[8:9], v[34:35], v[4:5] op_sel:[0,0,1] op_sel_hi:[1,0,0]
	v_pk_add_f32 v[2:3], v[2:3], v[18:19]
	s_waitcnt vmcnt(1)
	v_mov_b32_e32 v4, v45
	v_pk_add_f32 v[2:3], v[2:3], v[16:17]
	v_mov_b32_e32 v7, v5
	v_pk_mul_f32 v[4:5], v[10:11], v[4:5] op_sel_hi:[1,0]
	v_pk_add_f32 v[2:3], v[2:3], v[6:7]
	s_waitcnt vmcnt(0)
	v_pk_fma_f32 v[6:7], v[10:11], v[44:45], v[4:5] op_sel:[0,0,1] op_sel_hi:[1,1,0] neg_lo:[0,0,1] neg_hi:[0,0,1]
	v_pk_fma_f32 v[4:5], v[10:11], v[44:45], v[4:5] op_sel:[0,0,1] op_sel_hi:[1,0,0]
	v_mov_b32_e32 v4, v43
	v_mov_b32_e32 v7, v5
	s_waitcnt lgkmcnt(0)
	v_pk_mul_f32 v[4:5], v[12:13], v[4:5] op_sel_hi:[1,0]
	v_pk_add_f32 v[2:3], v[2:3], v[6:7]
	v_pk_fma_f32 v[6:7], v[12:13], v[42:43], v[4:5] op_sel:[0,0,1] op_sel_hi:[1,1,0] neg_lo:[0,0,1] neg_hi:[0,0,1]
	v_pk_fma_f32 v[4:5], v[12:13], v[42:43], v[4:5] op_sel:[0,0,1] op_sel_hi:[1,0,0]
	v_mov_b32_e32 v4, v41
	v_mov_b32_e32 v7, v5
	v_pk_mul_f32 v[4:5], v[14:15], v[4:5] op_sel_hi:[1,0]
	v_pk_add_f32 v[2:3], v[2:3], v[6:7]
	v_pk_fma_f32 v[6:7], v[14:15], v[40:41], v[4:5] op_sel:[0,0,1] op_sel_hi:[1,1,0] neg_lo:[0,0,1] neg_hi:[0,0,1]
	v_pk_fma_f32 v[4:5], v[14:15], v[40:41], v[4:5] op_sel:[0,0,1] op_sel_hi:[1,0,0]
	v_mov_b32_e32 v7, v5
	v_pk_add_f32 v[2:3], v[2:3], v[6:7]
	v_pk_add_f32 v[2:3], v[28:29], v[2:3] neg_lo:[0,1] neg_hi:[0,1]
	buffer_store_dword v3, off, s[0:3], 0 offset:316
	buffer_store_dword v2, off, s[0:3], 0 offset:312
	s_and_saveexec_b64 s[4:5], vcc
	s_cbranch_execz .LBB57_285
; %bb.284:
	buffer_load_dword v2, off, s[0:3], 0 offset:304
	buffer_load_dword v3, off, s[0:3], 0 offset:308
	v_mov_b32_e32 v4, 0
	buffer_store_dword v4, off, s[0:3], 0 offset:304
	buffer_store_dword v4, off, s[0:3], 0 offset:308
	s_waitcnt vmcnt(2)
	ds_write_b64 v175, v[2:3]
.LBB57_285:
	s_or_b64 exec, exec, s[4:5]
	s_waitcnt lgkmcnt(0)
	; wave barrier
	s_waitcnt lgkmcnt(0)
	buffer_load_dword v3, off, s[0:3], 0 offset:316
	buffer_load_dword v46, off, s[0:3], 0 offset:324
	;; [unrolled: 1-line block ×40, first 2 shown]
	v_mov_b32_e32 v2, 0
	ds_read2_b64 v[4:7], v2 offset0:97 offset1:98
	ds_read2_b64 v[8:11], v2 offset0:99 offset1:100
	;; [unrolled: 1-line block ×6, first 2 shown]
	v_cmp_lt_u32_e32 vcc, 37, v0
	s_waitcnt vmcnt(39) lgkmcnt(5)
	v_mul_f32_e32 v69, v4, v3
	s_waitcnt vmcnt(38)
	v_mul_f32_e32 v70, v6, v46
	v_mul_f32_e32 v3, v5, v3
	s_waitcnt vmcnt(37) lgkmcnt(4)
	v_mul_f32_e32 v71, v8, v48
	v_mul_f32_e32 v46, v7, v46
	s_waitcnt vmcnt(36)
	v_mul_f32_e32 v72, v10, v50
	s_waitcnt vmcnt(35) lgkmcnt(3)
	v_mul_f32_e32 v73, v12, v52
	s_waitcnt vmcnt(34)
	v_mul_f32_e32 v74, v14, v53
	s_waitcnt vmcnt(33) lgkmcnt(2)
	;; [unrolled: 4-line block ×3, first 2 shown]
	v_mul_f32_e32 v77, v20, v56
	s_waitcnt vmcnt(28)
	v_fmac_f32_e32 v69, v5, v51
	s_waitcnt vmcnt(27)
	v_fmac_f32_e32 v70, v7, v59
	v_fma_f32 v3, v4, v51, -v3
	v_add_f32_e32 v7, 0, v69
	s_waitcnt vmcnt(26)
	v_fmac_f32_e32 v71, v9, v60
	v_fma_f32 v4, v6, v59, -v46
	v_add_f32_e32 v3, 0, v3
	v_add_f32_e32 v7, v7, v70
	s_waitcnt vmcnt(25)
	v_fmac_f32_e32 v72, v11, v61
	v_add_f32_e32 v3, v3, v4
	v_add_f32_e32 v4, v7, v71
	s_waitcnt vmcnt(24)
	v_fmac_f32_e32 v73, v13, v62
	v_add_f32_e32 v4, v4, v72
	s_waitcnt vmcnt(23)
	v_fmac_f32_e32 v74, v15, v63
	;; [unrolled: 3-line block ×3, first 2 shown]
	v_add_f32_e32 v4, v4, v74
	v_mul_f32_e32 v48, v9, v48
	s_waitcnt vmcnt(21)
	v_fmac_f32_e32 v76, v19, v65
	v_add_f32_e32 v4, v4, v75
	v_mul_f32_e32 v50, v11, v50
	s_waitcnt vmcnt(20)
	v_fmac_f32_e32 v77, v21, v66
	v_fma_f32 v5, v8, v60, -v48
	v_add_f32_e32 v4, v4, v76
	v_fma_f32 v6, v10, v61, -v50
	v_add_f32_e32 v3, v3, v5
	v_add_f32_e32 v51, v4, v77
	v_mul_f32_e32 v4, v13, v52
	v_add_f32_e32 v3, v3, v6
	v_fma_f32 v4, v12, v62, -v4
	v_add_f32_e32 v3, v3, v4
	v_mul_f32_e32 v4, v15, v53
	v_fma_f32 v4, v14, v63, -v4
	v_add_f32_e32 v3, v3, v4
	v_mul_f32_e32 v4, v17, v54
	;; [unrolled: 3-line block ×4, first 2 shown]
	v_fma_f32 v4, v20, v66, -v4
	s_waitcnt vmcnt(9)
	v_mov_b32_e32 v20, v37
	v_mul_f32_e32 v47, v22, v57
	v_add_f32_e32 v50, v3, v4
	v_mul_f32_e32 v3, v23, v57
	s_waitcnt lgkmcnt(0)
	v_pk_mul_f32 v[20:21], v[26:27], v[20:21] op_sel_hi:[1,0]
	v_mul_f32_e32 v49, v24, v58
	v_fmac_f32_e32 v47, v23, v67
	v_fma_f32 v46, v22, v67, -v3
	v_mul_f32_e32 v3, v25, v58
	ds_read2_b64 v[4:7], v2 offset0:109 offset1:110
	ds_read2_b64 v[8:11], v2 offset0:111 offset1:112
	;; [unrolled: 1-line block ×3, first 2 shown]
	ds_read_b64 v[16:17], v2 offset:920
	s_waitcnt vmcnt(8)
	v_pk_fma_f32 v[22:23], v[26:27], v[36:37], v[20:21] op_sel:[0,0,1] op_sel_hi:[1,1,0] neg_lo:[0,0,1] neg_hi:[0,0,1]
	v_pk_fma_f32 v[20:21], v[26:27], v[36:37], v[20:21] op_sel:[0,0,1] op_sel_hi:[1,0,0]
	v_fmac_f32_e32 v49, v25, v68
	v_fma_f32 v48, v24, v68, -v3
	v_pk_add_f32 v[18:19], v[50:51], v[46:47]
	v_mov_b32_e32 v20, v35
	v_pk_add_f32 v[18:19], v[18:19], v[48:49]
	v_mov_b32_e32 v23, v21
	s_waitcnt lgkmcnt(3)
	v_pk_mul_f32 v[20:21], v[4:5], v[20:21] op_sel_hi:[1,0]
	v_pk_add_f32 v[18:19], v[18:19], v[22:23]
	v_pk_fma_f32 v[22:23], v[4:5], v[34:35], v[20:21] op_sel:[0,0,1] op_sel_hi:[1,1,0] neg_lo:[0,0,1] neg_hi:[0,0,1]
	v_pk_fma_f32 v[4:5], v[4:5], v[34:35], v[20:21] op_sel:[0,0,1] op_sel_hi:[1,0,0]
	v_mov_b32_e32 v23, v5
	v_pk_add_f32 v[4:5], v[18:19], v[22:23]
	v_mov_b32_e32 v18, v33
	v_pk_mul_f32 v[18:19], v[6:7], v[18:19] op_sel_hi:[1,0]
	v_pk_fma_f32 v[20:21], v[6:7], v[32:33], v[18:19] op_sel:[0,0,1] op_sel_hi:[1,1,0] neg_lo:[0,0,1] neg_hi:[0,0,1]
	v_pk_fma_f32 v[6:7], v[6:7], v[32:33], v[18:19] op_sel:[0,0,1] op_sel_hi:[1,0,0]
	v_mov_b32_e32 v6, v31
	v_mov_b32_e32 v21, v7
	s_waitcnt lgkmcnt(2)
	v_pk_mul_f32 v[6:7], v[8:9], v[6:7] op_sel_hi:[1,0]
	v_pk_fma_f32 v[18:19], v[8:9], v[30:31], v[6:7] op_sel:[0,0,1] op_sel_hi:[1,1,0] neg_lo:[0,0,1] neg_hi:[0,0,1]
	v_pk_fma_f32 v[6:7], v[8:9], v[30:31], v[6:7] op_sel:[0,0,1] op_sel_hi:[1,0,0]
	s_waitcnt vmcnt(1)
	v_mov_b32_e32 v6, v45
	v_mov_b32_e32 v19, v7
	v_pk_mul_f32 v[6:7], v[10:11], v[6:7] op_sel_hi:[1,0]
	s_waitcnt vmcnt(0)
	v_pk_fma_f32 v[8:9], v[10:11], v[44:45], v[6:7] op_sel:[0,0,1] op_sel_hi:[1,1,0] neg_lo:[0,0,1] neg_hi:[0,0,1]
	v_pk_fma_f32 v[6:7], v[10:11], v[44:45], v[6:7] op_sel:[0,0,1] op_sel_hi:[1,0,0]
	v_pk_add_f32 v[4:5], v[4:5], v[20:21]
	v_mov_b32_e32 v6, v43
	v_pk_add_f32 v[4:5], v[4:5], v[18:19]
	v_mov_b32_e32 v9, v7
	s_waitcnt lgkmcnt(1)
	v_pk_mul_f32 v[6:7], v[12:13], v[6:7] op_sel_hi:[1,0]
	v_pk_add_f32 v[4:5], v[4:5], v[8:9]
	v_pk_fma_f32 v[8:9], v[12:13], v[42:43], v[6:7] op_sel:[0,0,1] op_sel_hi:[1,1,0] neg_lo:[0,0,1] neg_hi:[0,0,1]
	v_pk_fma_f32 v[6:7], v[12:13], v[42:43], v[6:7] op_sel:[0,0,1] op_sel_hi:[1,0,0]
	v_mov_b32_e32 v6, v41
	v_mov_b32_e32 v9, v7
	v_pk_mul_f32 v[6:7], v[14:15], v[6:7] op_sel_hi:[1,0]
	v_pk_add_f32 v[4:5], v[4:5], v[8:9]
	v_pk_fma_f32 v[8:9], v[14:15], v[40:41], v[6:7] op_sel:[0,0,1] op_sel_hi:[1,1,0] neg_lo:[0,0,1] neg_hi:[0,0,1]
	v_pk_fma_f32 v[6:7], v[14:15], v[40:41], v[6:7] op_sel:[0,0,1] op_sel_hi:[1,0,0]
	v_mov_b32_e32 v6, v39
	v_mov_b32_e32 v9, v7
	s_waitcnt lgkmcnt(0)
	v_pk_mul_f32 v[6:7], v[16:17], v[6:7] op_sel_hi:[1,0]
	v_pk_add_f32 v[4:5], v[4:5], v[8:9]
	v_pk_fma_f32 v[8:9], v[16:17], v[38:39], v[6:7] op_sel:[0,0,1] op_sel_hi:[1,1,0] neg_lo:[0,0,1] neg_hi:[0,0,1]
	v_pk_fma_f32 v[6:7], v[16:17], v[38:39], v[6:7] op_sel:[0,0,1] op_sel_hi:[1,0,0]
	v_mov_b32_e32 v9, v7
	v_pk_add_f32 v[4:5], v[4:5], v[8:9]
	v_pk_add_f32 v[4:5], v[28:29], v[4:5] neg_lo:[0,1] neg_hi:[0,1]
	buffer_store_dword v5, off, s[0:3], 0 offset:308
	buffer_store_dword v4, off, s[0:3], 0 offset:304
	s_and_saveexec_b64 s[4:5], vcc
	s_cbranch_execz .LBB57_287
; %bb.286:
	buffer_load_dword v4, off, s[0:3], 0 offset:296
	buffer_load_dword v5, off, s[0:3], 0 offset:300
	s_waitcnt vmcnt(0)
	ds_write_b64 v175, v[4:5]
	buffer_store_dword v2, off, s[0:3], 0 offset:296
	buffer_store_dword v2, off, s[0:3], 0 offset:300
.LBB57_287:
	s_or_b64 exec, exec, s[4:5]
	s_waitcnt lgkmcnt(0)
	; wave barrier
	s_waitcnt lgkmcnt(0)
	buffer_load_dword v3, off, s[0:3], 0 offset:308
	buffer_load_dword v46, off, s[0:3], 0 offset:316
	;; [unrolled: 1-line block ×26, first 2 shown]
	ds_read_b128 v[4:7], v2 offset:768
	ds_read_b128 v[8:11], v2 offset:784
	;; [unrolled: 1-line block ×6, first 2 shown]
	buffer_load_dword v31, off, s[0:3], 0 offset:420
	buffer_load_dword v30, off, s[0:3], 0 offset:416
	;; [unrolled: 1-line block ×16, first 2 shown]
	v_cmp_lt_u32_e32 vcc, 36, v0
	s_waitcnt vmcnt(41) lgkmcnt(5)
	v_mul_f32_e32 v71, v4, v3
	s_waitcnt vmcnt(40)
	v_mul_f32_e32 v72, v6, v46
	v_mul_f32_e32 v3, v5, v3
	;; [unrolled: 1-line block ×3, first 2 shown]
	s_waitcnt vmcnt(39) lgkmcnt(4)
	v_mul_f32_e32 v73, v8, v48
	s_waitcnt vmcnt(38)
	v_mul_f32_e32 v74, v10, v50
	s_waitcnt vmcnt(37) lgkmcnt(3)
	v_mul_f32_e32 v75, v12, v52
	s_waitcnt vmcnt(36)
	v_mul_f32_e32 v76, v14, v53
	;; [unrolled: 4-line block ×4, first 2 shown]
	s_waitcnt vmcnt(29)
	v_fmac_f32_e32 v71, v5, v51
	s_waitcnt vmcnt(28)
	v_fmac_f32_e32 v72, v7, v60
	v_fma_f32 v3, v4, v51, -v3
	v_fma_f32 v4, v6, v60, -v46
	v_add_f32_e32 v6, 0, v71
	s_waitcnt vmcnt(27)
	v_fmac_f32_e32 v73, v9, v61
	v_add_f32_e32 v3, 0, v3
	v_add_f32_e32 v6, v6, v72
	s_waitcnt vmcnt(26)
	v_fmac_f32_e32 v74, v11, v62
	v_add_f32_e32 v3, v3, v4
	;; [unrolled: 4-line block ×3, first 2 shown]
	s_waitcnt vmcnt(24)
	v_fmac_f32_e32 v76, v15, v64
	v_add_f32_e32 v4, v4, v75
	s_waitcnt vmcnt(23)
	v_fmac_f32_e32 v77, v17, v65
	v_add_f32_e32 v4, v4, v76
	;; [unrolled: 3-line block ×4, first 2 shown]
	v_mul_f32_e32 v48, v9, v48
	s_waitcnt vmcnt(20)
	v_fmac_f32_e32 v80, v23, v68
	v_add_f32_e32 v4, v4, v79
	v_fma_f32 v5, v8, v61, -v48
	v_add_f32_e32 v51, v4, v80
	v_mul_f32_e32 v4, v11, v50
	v_add_f32_e32 v3, v3, v5
	v_fma_f32 v4, v10, v62, -v4
	v_add_f32_e32 v3, v3, v4
	v_mul_f32_e32 v4, v13, v52
	v_fma_f32 v4, v12, v63, -v4
	v_add_f32_e32 v3, v3, v4
	v_mul_f32_e32 v4, v15, v53
	;; [unrolled: 3-line block ×6, first 2 shown]
	v_fma_f32 v4, v22, v68, -v4
	v_add_f32_e32 v50, v3, v4
	ds_read_b128 v[4:7], v2 offset:864
	ds_read_b128 v[8:11], v2 offset:880
	ds_read_b128 v[12:15], v2 offset:896
	ds_read_b128 v[16:19], v2 offset:912
	s_waitcnt vmcnt(11)
	v_mov_b32_e32 v20, v35
	s_waitcnt lgkmcnt(3)
	v_pk_mul_f32 v[20:21], v[4:5], v[20:21] op_sel_hi:[1,0]
	s_waitcnt vmcnt(10)
	v_pk_fma_f32 v[22:23], v[4:5], v[34:35], v[20:21] op_sel:[0,0,1] op_sel_hi:[1,1,0] neg_lo:[0,0,1] neg_hi:[0,0,1]
	v_pk_fma_f32 v[4:5], v[4:5], v[34:35], v[20:21] op_sel:[0,0,1] op_sel_hi:[1,0,0]
	v_mov_b32_e32 v4, v33
	v_mov_b32_e32 v23, v5
	v_pk_mul_f32 v[4:5], v[6:7], v[4:5] op_sel_hi:[1,0]
	v_mul_f32_e32 v47, v24, v58
	v_mul_f32_e32 v3, v25, v58
	v_pk_fma_f32 v[20:21], v[6:7], v[32:33], v[4:5] op_sel:[0,0,1] op_sel_hi:[1,1,0] neg_lo:[0,0,1] neg_hi:[0,0,1]
	v_pk_fma_f32 v[4:5], v[6:7], v[32:33], v[4:5] op_sel:[0,0,1] op_sel_hi:[1,0,0]
	v_mul_f32_e32 v49, v26, v59
	v_fmac_f32_e32 v47, v25, v69
	v_fma_f32 v46, v24, v69, -v3
	v_mul_f32_e32 v3, v27, v59
	v_mov_b32_e32 v4, v31
	v_fmac_f32_e32 v49, v27, v70
	v_fma_f32 v48, v26, v70, -v3
	v_pk_add_f32 v[2:3], v[50:51], v[46:47]
	v_mov_b32_e32 v21, v5
	s_waitcnt lgkmcnt(2)
	v_pk_mul_f32 v[4:5], v[8:9], v[4:5] op_sel_hi:[1,0]
	v_pk_add_f32 v[2:3], v[2:3], v[48:49]
	v_pk_fma_f32 v[6:7], v[8:9], v[30:31], v[4:5] op_sel:[0,0,1] op_sel_hi:[1,1,0] neg_lo:[0,0,1] neg_hi:[0,0,1]
	v_pk_fma_f32 v[4:5], v[8:9], v[30:31], v[4:5] op_sel:[0,0,1] op_sel_hi:[1,0,0]
	v_pk_add_f32 v[2:3], v[2:3], v[22:23]
	s_waitcnt vmcnt(3)
	v_mov_b32_e32 v4, v43
	v_pk_add_f32 v[2:3], v[2:3], v[20:21]
	v_mov_b32_e32 v7, v5
	v_pk_mul_f32 v[4:5], v[10:11], v[4:5] op_sel_hi:[1,0]
	v_pk_add_f32 v[2:3], v[2:3], v[6:7]
	s_waitcnt vmcnt(2)
	v_pk_fma_f32 v[6:7], v[10:11], v[42:43], v[4:5] op_sel:[0,0,1] op_sel_hi:[1,1,0] neg_lo:[0,0,1] neg_hi:[0,0,1]
	v_pk_fma_f32 v[4:5], v[10:11], v[42:43], v[4:5] op_sel:[0,0,1] op_sel_hi:[1,0,0]
	v_mov_b32_e32 v4, v41
	v_mov_b32_e32 v7, v5
	s_waitcnt lgkmcnt(1)
	v_pk_mul_f32 v[4:5], v[12:13], v[4:5] op_sel_hi:[1,0]
	v_pk_add_f32 v[2:3], v[2:3], v[6:7]
	v_pk_fma_f32 v[6:7], v[12:13], v[40:41], v[4:5] op_sel:[0,0,1] op_sel_hi:[1,1,0] neg_lo:[0,0,1] neg_hi:[0,0,1]
	v_pk_fma_f32 v[4:5], v[12:13], v[40:41], v[4:5] op_sel:[0,0,1] op_sel_hi:[1,0,0]
	v_mov_b32_e32 v4, v39
	v_mov_b32_e32 v7, v5
	v_pk_mul_f32 v[4:5], v[14:15], v[4:5] op_sel_hi:[1,0]
	v_pk_add_f32 v[2:3], v[2:3], v[6:7]
	v_pk_fma_f32 v[6:7], v[14:15], v[38:39], v[4:5] op_sel:[0,0,1] op_sel_hi:[1,1,0] neg_lo:[0,0,1] neg_hi:[0,0,1]
	v_pk_fma_f32 v[4:5], v[14:15], v[38:39], v[4:5] op_sel:[0,0,1] op_sel_hi:[1,0,0]
	v_mov_b32_e32 v4, v37
	v_mov_b32_e32 v7, v5
	s_waitcnt lgkmcnt(0)
	v_pk_mul_f32 v[4:5], v[16:17], v[4:5] op_sel_hi:[1,0]
	v_pk_add_f32 v[2:3], v[2:3], v[6:7]
	v_pk_fma_f32 v[6:7], v[16:17], v[36:37], v[4:5] op_sel:[0,0,1] op_sel_hi:[1,1,0] neg_lo:[0,0,1] neg_hi:[0,0,1]
	v_pk_fma_f32 v[4:5], v[16:17], v[36:37], v[4:5] op_sel:[0,0,1] op_sel_hi:[1,0,0]
	s_waitcnt vmcnt(1)
	v_mov_b32_e32 v4, v45
	v_mov_b32_e32 v7, v5
	v_pk_mul_f32 v[4:5], v[18:19], v[4:5] op_sel_hi:[1,0]
	v_pk_add_f32 v[2:3], v[2:3], v[6:7]
	s_waitcnt vmcnt(0)
	v_pk_fma_f32 v[6:7], v[18:19], v[44:45], v[4:5] op_sel:[0,0,1] op_sel_hi:[1,1,0] neg_lo:[0,0,1] neg_hi:[0,0,1]
	v_pk_fma_f32 v[4:5], v[18:19], v[44:45], v[4:5] op_sel:[0,0,1] op_sel_hi:[1,0,0]
	v_mov_b32_e32 v7, v5
	v_pk_add_f32 v[2:3], v[2:3], v[6:7]
	v_pk_add_f32 v[2:3], v[28:29], v[2:3] neg_lo:[0,1] neg_hi:[0,1]
	buffer_store_dword v3, off, s[0:3], 0 offset:300
	buffer_store_dword v2, off, s[0:3], 0 offset:296
	s_and_saveexec_b64 s[4:5], vcc
	s_cbranch_execz .LBB57_289
; %bb.288:
	buffer_load_dword v2, off, s[0:3], 0 offset:288
	buffer_load_dword v3, off, s[0:3], 0 offset:292
	v_mov_b32_e32 v4, 0
	buffer_store_dword v4, off, s[0:3], 0 offset:288
	buffer_store_dword v4, off, s[0:3], 0 offset:292
	s_waitcnt vmcnt(2)
	ds_write_b64 v175, v[2:3]
.LBB57_289:
	s_or_b64 exec, exec, s[4:5]
	s_waitcnt lgkmcnt(0)
	; wave barrier
	s_waitcnt lgkmcnt(0)
	buffer_load_dword v3, off, s[0:3], 0 offset:300
	buffer_load_dword v54, off, s[0:3], 0 offset:308
	;; [unrolled: 1-line block ×44, first 2 shown]
	v_mov_b32_e32 v2, 0
	ds_read2_b64 v[4:7], v2 offset0:95 offset1:96
	ds_read2_b64 v[8:11], v2 offset0:97 offset1:98
	;; [unrolled: 1-line block ×8, first 2 shown]
	v_cmp_lt_u32_e32 vcc, 35, v0
	s_waitcnt vmcnt(43) lgkmcnt(7)
	v_mul_f32_e32 v59, v4, v3
	v_mul_f32_e32 v3, v5, v3
	s_waitcnt vmcnt(42)
	v_mul_f32_e32 v82, v6, v54
	s_waitcnt vmcnt(41) lgkmcnt(6)
	v_mul_f32_e32 v83, v8, v56
	s_waitcnt vmcnt(40)
	v_mul_f32_e32 v84, v10, v58
	s_waitcnt vmcnt(39) lgkmcnt(5)
	;; [unrolled: 4-line block ×5, first 2 shown]
	v_mul_f32_e32 v91, v24, v66
	s_waitcnt vmcnt(32)
	v_mul_f32_e32 v55, v26, v67
	s_waitcnt vmcnt(30)
	v_fma_f32 v3, v4, v69, -v3
	v_mul_f32_e32 v4, v7, v54
	v_add_f32_e32 v3, 0, v3
	s_waitcnt vmcnt(29)
	v_fma_f32 v4, v6, v70, -v4
	v_add_f32_e32 v3, v3, v4
	v_mul_f32_e32 v4, v9, v56
	s_waitcnt vmcnt(28)
	v_fma_f32 v4, v8, v71, -v4
	v_add_f32_e32 v3, v3, v4
	v_mul_f32_e32 v4, v11, v58
	;; [unrolled: 4-line block ×4, first 2 shown]
	s_waitcnt vmcnt(25)
	v_fma_f32 v4, v14, v74, -v4
	v_fmac_f32_e32 v59, v5, v69
	v_add_f32_e32 v3, v3, v4
	v_mul_f32_e32 v4, v17, v62
	v_fmac_f32_e32 v82, v7, v70
	v_add_f32_e32 v5, 0, v59
	s_waitcnt vmcnt(24)
	v_fma_f32 v4, v16, v75, -v4
	v_fmac_f32_e32 v83, v9, v71
	v_add_f32_e32 v5, v5, v82
	v_add_f32_e32 v3, v3, v4
	v_mul_f32_e32 v4, v19, v63
	v_fmac_f32_e32 v84, v11, v72
	v_add_f32_e32 v5, v5, v83
	s_waitcnt vmcnt(23)
	v_fma_f32 v4, v18, v76, -v4
	v_fmac_f32_e32 v85, v13, v73
	v_add_f32_e32 v5, v5, v84
	v_add_f32_e32 v3, v3, v4
	v_mul_f32_e32 v4, v21, v64
	v_fmac_f32_e32 v86, v15, v74
	v_add_f32_e32 v5, v5, v85
	s_waitcnt vmcnt(22)
	v_fma_f32 v4, v20, v77, -v4
	v_fmac_f32_e32 v87, v17, v75
	v_add_f32_e32 v5, v5, v86
	v_add_f32_e32 v3, v3, v4
	v_mul_f32_e32 v4, v23, v65
	v_fmac_f32_e32 v88, v19, v76
	v_add_f32_e32 v5, v5, v87
	s_waitcnt vmcnt(21)
	v_fma_f32 v4, v22, v78, -v4
	v_fmac_f32_e32 v89, v21, v77
	v_add_f32_e32 v5, v5, v88
	v_add_f32_e32 v3, v3, v4
	v_mul_f32_e32 v4, v25, v66
	v_fmac_f32_e32 v90, v23, v78
	v_add_f32_e32 v5, v5, v89
	s_waitcnt vmcnt(20)
	v_fma_f32 v4, v24, v79, -v4
	s_waitcnt vmcnt(13)
	v_mov_b32_e32 v16, v41
	v_fmac_f32_e32 v91, v25, v79
	v_add_f32_e32 v5, v5, v90
	v_add_f32_e32 v58, v3, v4
	v_mul_f32_e32 v3, v27, v67
	s_waitcnt lgkmcnt(1)
	v_pk_mul_f32 v[16:17], v[30:31], v[16:17] op_sel_hi:[1,0]
	v_mul_f32_e32 v57, v28, v68
	v_fmac_f32_e32 v55, v27, v80
	v_add_f32_e32 v59, v5, v91
	v_fma_f32 v54, v26, v80, -v3
	v_mul_f32_e32 v3, v29, v68
	s_waitcnt vmcnt(12)
	v_pk_fma_f32 v[18:19], v[30:31], v[40:41], v[16:17] op_sel:[0,0,1] op_sel_hi:[1,1,0] neg_lo:[0,0,1] neg_hi:[0,0,1]
	v_pk_fma_f32 v[16:17], v[30:31], v[40:41], v[16:17] op_sel:[0,0,1] op_sel_hi:[1,0,0]
	v_fmac_f32_e32 v57, v29, v81
	v_fma_f32 v56, v28, v81, -v3
	v_pk_add_f32 v[14:15], v[58:59], v[54:55]
	v_mov_b32_e32 v16, v39
	v_pk_add_f32 v[14:15], v[14:15], v[56:57]
	v_mov_b32_e32 v19, v17
	s_waitcnt lgkmcnt(0)
	v_pk_mul_f32 v[16:17], v[32:33], v[16:17] op_sel_hi:[1,0]
	v_pk_add_f32 v[14:15], v[14:15], v[18:19]
	v_pk_fma_f32 v[18:19], v[32:33], v[38:39], v[16:17] op_sel:[0,0,1] op_sel_hi:[1,1,0] neg_lo:[0,0,1] neg_hi:[0,0,1]
	v_pk_fma_f32 v[16:17], v[32:33], v[38:39], v[16:17] op_sel:[0,0,1] op_sel_hi:[1,0,0]
	s_waitcnt vmcnt(5)
	v_mov_b32_e32 v16, v49
	ds_read2_b64 v[4:7], v2 offset0:111 offset1:112
	ds_read2_b64 v[8:11], v2 offset0:113 offset1:114
	ds_read_b64 v[12:13], v2 offset:920
	v_mov_b32_e32 v19, v17
	v_pk_mul_f32 v[16:17], v[34:35], v[16:17] op_sel_hi:[1,0]
	v_pk_add_f32 v[14:15], v[14:15], v[18:19]
	s_waitcnt vmcnt(4)
	v_pk_fma_f32 v[18:19], v[34:35], v[48:49], v[16:17] op_sel:[0,0,1] op_sel_hi:[1,1,0] neg_lo:[0,0,1] neg_hi:[0,0,1]
	v_pk_fma_f32 v[16:17], v[34:35], v[48:49], v[16:17] op_sel:[0,0,1] op_sel_hi:[1,0,0]
	v_mov_b32_e32 v16, v47
	v_mov_b32_e32 v19, v17
	s_waitcnt lgkmcnt(2)
	v_pk_mul_f32 v[16:17], v[4:5], v[16:17] op_sel_hi:[1,0]
	v_pk_add_f32 v[14:15], v[14:15], v[18:19]
	v_pk_fma_f32 v[18:19], v[4:5], v[46:47], v[16:17] op_sel:[0,0,1] op_sel_hi:[1,1,0] neg_lo:[0,0,1] neg_hi:[0,0,1]
	v_pk_fma_f32 v[4:5], v[4:5], v[46:47], v[16:17] op_sel:[0,0,1] op_sel_hi:[1,0,0]
	v_mov_b32_e32 v19, v5
	v_pk_add_f32 v[4:5], v[14:15], v[18:19]
	v_mov_b32_e32 v14, v45
	v_pk_mul_f32 v[14:15], v[6:7], v[14:15] op_sel_hi:[1,0]
	v_pk_fma_f32 v[16:17], v[6:7], v[44:45], v[14:15] op_sel:[0,0,1] op_sel_hi:[1,1,0] neg_lo:[0,0,1] neg_hi:[0,0,1]
	v_pk_fma_f32 v[6:7], v[6:7], v[44:45], v[14:15] op_sel:[0,0,1] op_sel_hi:[1,0,0]
	v_mov_b32_e32 v6, v43
	v_mov_b32_e32 v17, v7
	s_waitcnt lgkmcnt(1)
	v_pk_mul_f32 v[6:7], v[8:9], v[6:7] op_sel_hi:[1,0]
	v_pk_fma_f32 v[14:15], v[8:9], v[42:43], v[6:7] op_sel:[0,0,1] op_sel_hi:[1,1,0] neg_lo:[0,0,1] neg_hi:[0,0,1]
	v_pk_fma_f32 v[6:7], v[8:9], v[42:43], v[6:7] op_sel:[0,0,1] op_sel_hi:[1,0,0]
	s_waitcnt vmcnt(1)
	v_mov_b32_e32 v6, v53
	v_mov_b32_e32 v15, v7
	v_pk_mul_f32 v[6:7], v[10:11], v[6:7] op_sel_hi:[1,0]
	s_waitcnt vmcnt(0)
	v_pk_fma_f32 v[8:9], v[10:11], v[52:53], v[6:7] op_sel:[0,0,1] op_sel_hi:[1,1,0] neg_lo:[0,0,1] neg_hi:[0,0,1]
	v_pk_fma_f32 v[6:7], v[10:11], v[52:53], v[6:7] op_sel:[0,0,1] op_sel_hi:[1,0,0]
	v_pk_add_f32 v[4:5], v[4:5], v[16:17]
	v_mov_b32_e32 v6, v51
	v_pk_add_f32 v[4:5], v[4:5], v[14:15]
	v_mov_b32_e32 v9, v7
	s_waitcnt lgkmcnt(0)
	v_pk_mul_f32 v[6:7], v[12:13], v[6:7] op_sel_hi:[1,0]
	v_pk_add_f32 v[4:5], v[4:5], v[8:9]
	v_pk_fma_f32 v[8:9], v[12:13], v[50:51], v[6:7] op_sel:[0,0,1] op_sel_hi:[1,1,0] neg_lo:[0,0,1] neg_hi:[0,0,1]
	v_pk_fma_f32 v[6:7], v[12:13], v[50:51], v[6:7] op_sel:[0,0,1] op_sel_hi:[1,0,0]
	v_mov_b32_e32 v9, v7
	v_pk_add_f32 v[4:5], v[4:5], v[8:9]
	v_pk_add_f32 v[4:5], v[36:37], v[4:5] neg_lo:[0,1] neg_hi:[0,1]
	buffer_store_dword v5, off, s[0:3], 0 offset:292
	buffer_store_dword v4, off, s[0:3], 0 offset:288
	s_and_saveexec_b64 s[4:5], vcc
	s_cbranch_execz .LBB57_291
; %bb.290:
	buffer_load_dword v4, off, s[0:3], 0 offset:280
	buffer_load_dword v5, off, s[0:3], 0 offset:284
	s_waitcnt vmcnt(0)
	ds_write_b64 v175, v[4:5]
	buffer_store_dword v2, off, s[0:3], 0 offset:280
	buffer_store_dword v2, off, s[0:3], 0 offset:284
.LBB57_291:
	s_or_b64 exec, exec, s[4:5]
	s_waitcnt lgkmcnt(0)
	; wave barrier
	s_waitcnt lgkmcnt(0)
	buffer_load_dword v3, off, s[0:3], 0 offset:292
	buffer_load_dword v54, off, s[0:3], 0 offset:300
	;; [unrolled: 1-line block ×30, first 2 shown]
	ds_read_b128 v[4:7], v2 offset:752
	ds_read_b128 v[8:11], v2 offset:768
	ds_read_b128 v[12:15], v2 offset:784
	ds_read_b128 v[16:19], v2 offset:800
	ds_read_b128 v[20:23], v2 offset:816
	ds_read_b128 v[24:27], v2 offset:832
	buffer_load_dword v39, off, s[0:3], 0 offset:404
	buffer_load_dword v38, off, s[0:3], 0 offset:400
	ds_read_b128 v[28:31], v2 offset:848
	ds_read_b128 v[32:35], v2 offset:864
	buffer_load_dword v41, off, s[0:3], 0 offset:436
	buffer_load_dword v40, off, s[0:3], 0 offset:432
	;; [unrolled: 1-line block ×14, first 2 shown]
	v_cmp_lt_u32_e32 vcc, 34, v0
	s_waitcnt vmcnt(45) lgkmcnt(7)
	v_mul_f32_e32 v57, v4, v3
	v_mul_f32_e32 v3, v5, v3
	s_waitcnt vmcnt(44)
	v_mul_f32_e32 v59, v6, v54
	s_waitcnt vmcnt(43) lgkmcnt(6)
	v_mul_f32_e32 v84, v8, v56
	s_waitcnt vmcnt(42)
	v_mul_f32_e32 v85, v10, v58
	s_waitcnt vmcnt(41) lgkmcnt(5)
	;; [unrolled: 4-line block ×5, first 2 shown]
	v_mul_f32_e32 v92, v24, v66
	s_waitcnt vmcnt(34)
	v_mul_f32_e32 v93, v26, v67
	s_waitcnt vmcnt(32)
	v_fma_f32 v3, v4, v69, -v3
	v_mul_f32_e32 v4, v7, v54
	v_add_f32_e32 v3, 0, v3
	s_waitcnt vmcnt(31)
	v_fma_f32 v4, v6, v70, -v4
	v_add_f32_e32 v3, v3, v4
	v_mul_f32_e32 v4, v9, v56
	s_waitcnt vmcnt(30)
	v_fma_f32 v4, v8, v71, -v4
	v_add_f32_e32 v3, v3, v4
	v_mul_f32_e32 v4, v11, v58
	;; [unrolled: 4-line block ×5, first 2 shown]
	v_fmac_f32_e32 v57, v5, v69
	s_waitcnt vmcnt(26)
	v_fma_f32 v4, v16, v75, -v4
	v_fmac_f32_e32 v59, v7, v70
	v_add_f32_e32 v57, 0, v57
	v_add_f32_e32 v3, v3, v4
	v_mul_f32_e32 v4, v19, v63
	v_fmac_f32_e32 v84, v9, v71
	v_add_f32_e32 v57, v57, v59
	s_waitcnt vmcnt(25)
	v_fma_f32 v4, v18, v76, -v4
	v_fmac_f32_e32 v85, v11, v72
	v_add_f32_e32 v57, v57, v84
	v_add_f32_e32 v3, v3, v4
	v_mul_f32_e32 v4, v21, v64
	v_fmac_f32_e32 v86, v13, v73
	v_add_f32_e32 v57, v57, v85
	;; [unrolled: 8-line block ×5, first 2 shown]
	s_waitcnt vmcnt(21)
	v_fma_f32 v4, v26, v80, -v4
	s_waitcnt vmcnt(15)
	v_mov_b32_e32 v16, v39
	s_waitcnt lgkmcnt(1)
	v_mul_f32_e32 v55, v28, v68
	v_fmac_f32_e32 v93, v27, v80
	v_add_f32_e32 v57, v57, v92
	v_add_f32_e32 v56, v3, v4
	v_mul_f32_e32 v3, v29, v68
	s_waitcnt lgkmcnt(0)
	v_pk_mul_f32 v[16:17], v[32:33], v[16:17] op_sel_hi:[1,0]
	v_fmac_f32_e32 v55, v29, v81
	v_add_f32_e32 v57, v57, v93
	v_mul_f32_e32 v59, v30, v82
	v_fma_f32 v54, v28, v81, -v3
	v_mul_f32_e32 v3, v31, v82
	s_waitcnt vmcnt(14)
	v_pk_fma_f32 v[18:19], v[32:33], v[38:39], v[16:17] op_sel:[0,0,1] op_sel_hi:[1,1,0] neg_lo:[0,0,1] neg_hi:[0,0,1]
	v_pk_fma_f32 v[16:17], v[32:33], v[38:39], v[16:17] op_sel:[0,0,1] op_sel_hi:[1,0,0]
	v_fmac_f32_e32 v59, v31, v83
	v_fma_f32 v58, v30, v83, -v3
	ds_read_b128 v[4:7], v2 offset:880
	ds_read_b128 v[8:11], v2 offset:896
	ds_read_b128 v[12:15], v2 offset:912
	v_pk_add_f32 v[2:3], v[56:57], v[54:55]
	s_waitcnt vmcnt(7)
	v_mov_b32_e32 v16, v47
	v_pk_add_f32 v[2:3], v[2:3], v[58:59]
	v_mov_b32_e32 v19, v17
	v_pk_mul_f32 v[16:17], v[34:35], v[16:17] op_sel_hi:[1,0]
	v_pk_add_f32 v[2:3], v[2:3], v[18:19]
	s_waitcnt vmcnt(6)
	v_pk_fma_f32 v[18:19], v[34:35], v[46:47], v[16:17] op_sel:[0,0,1] op_sel_hi:[1,1,0] neg_lo:[0,0,1] neg_hi:[0,0,1]
	v_pk_fma_f32 v[16:17], v[34:35], v[46:47], v[16:17] op_sel:[0,0,1] op_sel_hi:[1,0,0]
	v_mov_b32_e32 v16, v45
	v_mov_b32_e32 v19, v17
	s_waitcnt lgkmcnt(2)
	v_pk_mul_f32 v[16:17], v[4:5], v[16:17] op_sel_hi:[1,0]
	v_pk_add_f32 v[2:3], v[2:3], v[18:19]
	v_pk_fma_f32 v[18:19], v[4:5], v[44:45], v[16:17] op_sel:[0,0,1] op_sel_hi:[1,1,0] neg_lo:[0,0,1] neg_hi:[0,0,1]
	v_pk_fma_f32 v[4:5], v[4:5], v[44:45], v[16:17] op_sel:[0,0,1] op_sel_hi:[1,0,0]
	v_mov_b32_e32 v4, v43
	v_mov_b32_e32 v19, v5
	v_pk_mul_f32 v[4:5], v[6:7], v[4:5] op_sel_hi:[1,0]
	v_pk_fma_f32 v[16:17], v[6:7], v[42:43], v[4:5] op_sel:[0,0,1] op_sel_hi:[1,1,0] neg_lo:[0,0,1] neg_hi:[0,0,1]
	v_pk_fma_f32 v[4:5], v[6:7], v[42:43], v[4:5] op_sel:[0,0,1] op_sel_hi:[1,0,0]
	v_mov_b32_e32 v4, v41
	v_mov_b32_e32 v17, v5
	s_waitcnt lgkmcnt(1)
	v_pk_mul_f32 v[4:5], v[8:9], v[4:5] op_sel_hi:[1,0]
	v_pk_fma_f32 v[6:7], v[8:9], v[40:41], v[4:5] op_sel:[0,0,1] op_sel_hi:[1,1,0] neg_lo:[0,0,1] neg_hi:[0,0,1]
	v_pk_fma_f32 v[4:5], v[8:9], v[40:41], v[4:5] op_sel:[0,0,1] op_sel_hi:[1,0,0]
	v_pk_add_f32 v[2:3], v[2:3], v[18:19]
	s_waitcnt vmcnt(1)
	v_mov_b32_e32 v4, v53
	v_pk_add_f32 v[2:3], v[2:3], v[16:17]
	v_mov_b32_e32 v7, v5
	v_pk_mul_f32 v[4:5], v[10:11], v[4:5] op_sel_hi:[1,0]
	v_pk_add_f32 v[2:3], v[2:3], v[6:7]
	s_waitcnt vmcnt(0)
	v_pk_fma_f32 v[6:7], v[10:11], v[52:53], v[4:5] op_sel:[0,0,1] op_sel_hi:[1,1,0] neg_lo:[0,0,1] neg_hi:[0,0,1]
	v_pk_fma_f32 v[4:5], v[10:11], v[52:53], v[4:5] op_sel:[0,0,1] op_sel_hi:[1,0,0]
	v_mov_b32_e32 v4, v51
	v_mov_b32_e32 v7, v5
	s_waitcnt lgkmcnt(0)
	v_pk_mul_f32 v[4:5], v[12:13], v[4:5] op_sel_hi:[1,0]
	v_pk_add_f32 v[2:3], v[2:3], v[6:7]
	v_pk_fma_f32 v[6:7], v[12:13], v[50:51], v[4:5] op_sel:[0,0,1] op_sel_hi:[1,1,0] neg_lo:[0,0,1] neg_hi:[0,0,1]
	v_pk_fma_f32 v[4:5], v[12:13], v[50:51], v[4:5] op_sel:[0,0,1] op_sel_hi:[1,0,0]
	v_mov_b32_e32 v4, v49
	v_mov_b32_e32 v7, v5
	v_pk_mul_f32 v[4:5], v[14:15], v[4:5] op_sel_hi:[1,0]
	v_pk_add_f32 v[2:3], v[2:3], v[6:7]
	v_pk_fma_f32 v[6:7], v[14:15], v[48:49], v[4:5] op_sel:[0,0,1] op_sel_hi:[1,1,0] neg_lo:[0,0,1] neg_hi:[0,0,1]
	v_pk_fma_f32 v[4:5], v[14:15], v[48:49], v[4:5] op_sel:[0,0,1] op_sel_hi:[1,0,0]
	v_mov_b32_e32 v7, v5
	v_pk_add_f32 v[2:3], v[2:3], v[6:7]
	v_pk_add_f32 v[2:3], v[36:37], v[2:3] neg_lo:[0,1] neg_hi:[0,1]
	buffer_store_dword v3, off, s[0:3], 0 offset:284
	buffer_store_dword v2, off, s[0:3], 0 offset:280
	s_and_saveexec_b64 s[4:5], vcc
	s_cbranch_execz .LBB57_293
; %bb.292:
	buffer_load_dword v2, off, s[0:3], 0 offset:272
	buffer_load_dword v3, off, s[0:3], 0 offset:276
	v_mov_b32_e32 v4, 0
	buffer_store_dword v4, off, s[0:3], 0 offset:272
	buffer_store_dword v4, off, s[0:3], 0 offset:276
	s_waitcnt vmcnt(2)
	ds_write_b64 v175, v[2:3]
.LBB57_293:
	s_or_b64 exec, exec, s[4:5]
	s_waitcnt lgkmcnt(0)
	; wave barrier
	s_waitcnt lgkmcnt(0)
	buffer_load_dword v3, off, s[0:3], 0 offset:284
	buffer_load_dword v52, off, s[0:3], 0 offset:292
	;; [unrolled: 1-line block ×32, first 2 shown]
	v_mov_b32_e32 v2, 0
	buffer_load_dword v39, off, s[0:3], 0 offset:428
	buffer_load_dword v38, off, s[0:3], 0 offset:424
	;; [unrolled: 1-line block ×13, first 2 shown]
	ds_read2_b64 v[4:7], v2 offset0:93 offset1:94
	ds_read2_b64 v[8:11], v2 offset0:95 offset1:96
	;; [unrolled: 1-line block ×8, first 2 shown]
	v_cmp_lt_u32_e32 vcc, 33, v0
	s_waitcnt vmcnt(44) lgkmcnt(7)
	v_mul_f32_e32 v46, v4, v3
	s_waitcnt vmcnt(43)
	v_mul_f32_e32 v53, v6, v52
	s_waitcnt vmcnt(42) lgkmcnt(6)
	v_mul_f32_e32 v54, v8, v56
	s_waitcnt vmcnt(41)
	v_mul_f32_e32 v55, v10, v58
	;; [unrolled: 4-line block ×6, first 2 shown]
	s_waitcnt vmcnt(32) lgkmcnt(1)
	v_mul_f32_e32 v92, v28, v68
	s_waitcnt vmcnt(31)
	v_fmac_f32_e32 v46, v5, v69
	s_waitcnt vmcnt(30)
	v_fmac_f32_e32 v53, v7, v70
	v_add_f32_e32 v46, 0, v46
	s_waitcnt vmcnt(29)
	v_fmac_f32_e32 v54, v9, v71
	v_add_f32_e32 v46, v46, v53
	;; [unrolled: 3-line block ×12, first 2 shown]
	v_add_f32_e32 v53, v46, v92
	buffer_load_dword v55, off, s[0:3], 0 offset:444
	buffer_load_dword v54, off, s[0:3], 0 offset:440
	buffer_load_dword v46, off, s[0:3], 0 offset:432
	v_mul_f32_e32 v3, v5, v3
	v_fma_f32 v3, v4, v69, -v3
	v_mul_f32_e32 v4, v7, v52
	v_add_f32_e32 v3, 0, v3
	v_fma_f32 v4, v6, v70, -v4
	v_add_f32_e32 v3, v3, v4
	v_mul_f32_e32 v4, v9, v56
	v_fma_f32 v4, v8, v71, -v4
	v_add_f32_e32 v3, v3, v4
	v_mul_f32_e32 v4, v11, v58
	;; [unrolled: 3-line block ×11, first 2 shown]
	v_fma_f32 v4, v28, v81, -v4
	s_waitcnt vmcnt(9)
	v_mov_b32_e32 v20, v45
	v_mul_f32_e32 v57, v30, v82
	v_add_f32_e32 v52, v3, v4
	v_mul_f32_e32 v3, v31, v82
	s_waitcnt lgkmcnt(0)
	v_pk_mul_f32 v[20:21], v[34:35], v[20:21] op_sel_hi:[1,0]
	v_fmac_f32_e32 v57, v31, v83
	v_mul_f32_e32 v59, v32, v84
	v_fma_f32 v56, v30, v83, -v3
	v_mul_f32_e32 v3, v33, v84
	ds_read2_b64 v[4:7], v2 offset0:109 offset1:110
	ds_read2_b64 v[8:11], v2 offset0:111 offset1:112
	;; [unrolled: 1-line block ×3, first 2 shown]
	ds_read_b64 v[16:17], v2 offset:920
	s_waitcnt vmcnt(8)
	v_pk_fma_f32 v[22:23], v[34:35], v[44:45], v[20:21] op_sel:[0,0,1] op_sel_hi:[1,1,0] neg_lo:[0,0,1] neg_hi:[0,0,1]
	v_pk_fma_f32 v[20:21], v[34:35], v[44:45], v[20:21] op_sel:[0,0,1] op_sel_hi:[1,0,0]
	v_fmac_f32_e32 v59, v33, v85
	v_fma_f32 v58, v32, v85, -v3
	v_pk_add_f32 v[18:19], v[52:53], v[56:57]
	v_mov_b32_e32 v20, v43
	v_pk_add_f32 v[18:19], v[18:19], v[58:59]
	v_mov_b32_e32 v23, v21
	s_waitcnt lgkmcnt(3)
	v_pk_mul_f32 v[20:21], v[4:5], v[20:21] op_sel_hi:[1,0]
	v_pk_add_f32 v[18:19], v[18:19], v[22:23]
	v_pk_fma_f32 v[22:23], v[4:5], v[42:43], v[20:21] op_sel:[0,0,1] op_sel_hi:[1,1,0] neg_lo:[0,0,1] neg_hi:[0,0,1]
	v_pk_fma_f32 v[4:5], v[4:5], v[42:43], v[20:21] op_sel:[0,0,1] op_sel_hi:[1,0,0]
	v_mov_b32_e32 v23, v5
	v_pk_add_f32 v[4:5], v[18:19], v[22:23]
	v_mov_b32_e32 v18, v41
	v_pk_mul_f32 v[18:19], v[6:7], v[18:19] op_sel_hi:[1,0]
	v_pk_fma_f32 v[20:21], v[6:7], v[40:41], v[18:19] op_sel:[0,0,1] op_sel_hi:[1,1,0] neg_lo:[0,0,1] neg_hi:[0,0,1]
	v_pk_fma_f32 v[6:7], v[6:7], v[40:41], v[18:19] op_sel:[0,0,1] op_sel_hi:[1,0,0]
	v_mov_b32_e32 v6, v39
	v_mov_b32_e32 v21, v7
	s_waitcnt lgkmcnt(2)
	v_pk_mul_f32 v[6:7], v[8:9], v[6:7] op_sel_hi:[1,0]
	v_pk_fma_f32 v[18:19], v[8:9], v[38:39], v[6:7] op_sel:[0,0,1] op_sel_hi:[1,1,0] neg_lo:[0,0,1] neg_hi:[0,0,1]
	v_pk_fma_f32 v[6:7], v[8:9], v[38:39], v[6:7] op_sel:[0,0,1] op_sel_hi:[1,0,0]
	s_waitcnt vmcnt(7)
	v_mov_b32_e32 v6, v47
	v_mov_b32_e32 v19, v7
	v_pk_mul_f32 v[6:7], v[10:11], v[6:7] op_sel_hi:[1,0]
	v_pk_add_f32 v[4:5], v[4:5], v[20:21]
	v_pk_add_f32 v[4:5], v[4:5], v[18:19]
	s_waitcnt vmcnt(0)
	v_pk_fma_f32 v[8:9], v[10:11], v[46:47], v[6:7] op_sel:[0,0,1] op_sel_hi:[1,1,0] neg_lo:[0,0,1] neg_hi:[0,0,1]
	v_pk_fma_f32 v[6:7], v[10:11], v[46:47], v[6:7] op_sel:[0,0,1] op_sel_hi:[1,0,0]
	v_mov_b32_e32 v6, v55
	v_mov_b32_e32 v9, v7
	s_waitcnt lgkmcnt(1)
	v_pk_mul_f32 v[6:7], v[12:13], v[6:7] op_sel_hi:[1,0]
	v_pk_add_f32 v[4:5], v[4:5], v[8:9]
	v_pk_fma_f32 v[8:9], v[12:13], v[54:55], v[6:7] op_sel:[0,0,1] op_sel_hi:[1,1,0] neg_lo:[0,0,1] neg_hi:[0,0,1]
	v_pk_fma_f32 v[6:7], v[12:13], v[54:55], v[6:7] op_sel:[0,0,1] op_sel_hi:[1,0,0]
	v_mov_b32_e32 v6, v51
	v_mov_b32_e32 v9, v7
	v_pk_mul_f32 v[6:7], v[14:15], v[6:7] op_sel_hi:[1,0]
	v_pk_add_f32 v[4:5], v[4:5], v[8:9]
	v_pk_fma_f32 v[8:9], v[14:15], v[50:51], v[6:7] op_sel:[0,0,1] op_sel_hi:[1,1,0] neg_lo:[0,0,1] neg_hi:[0,0,1]
	v_pk_fma_f32 v[6:7], v[14:15], v[50:51], v[6:7] op_sel:[0,0,1] op_sel_hi:[1,0,0]
	v_mov_b32_e32 v6, v49
	v_mov_b32_e32 v9, v7
	s_waitcnt lgkmcnt(0)
	v_pk_mul_f32 v[6:7], v[16:17], v[6:7] op_sel_hi:[1,0]
	v_pk_add_f32 v[4:5], v[4:5], v[8:9]
	v_pk_fma_f32 v[8:9], v[16:17], v[48:49], v[6:7] op_sel:[0,0,1] op_sel_hi:[1,1,0] neg_lo:[0,0,1] neg_hi:[0,0,1]
	v_pk_fma_f32 v[6:7], v[16:17], v[48:49], v[6:7] op_sel:[0,0,1] op_sel_hi:[1,0,0]
	v_mov_b32_e32 v9, v7
	v_pk_add_f32 v[4:5], v[4:5], v[8:9]
	v_pk_add_f32 v[4:5], v[36:37], v[4:5] neg_lo:[0,1] neg_hi:[0,1]
	buffer_store_dword v5, off, s[0:3], 0 offset:276
	buffer_store_dword v4, off, s[0:3], 0 offset:272
	s_and_saveexec_b64 s[4:5], vcc
	s_cbranch_execz .LBB57_295
; %bb.294:
	buffer_load_dword v4, off, s[0:3], 0 offset:264
	buffer_load_dword v5, off, s[0:3], 0 offset:268
	s_waitcnt vmcnt(0)
	ds_write_b64 v175, v[4:5]
	buffer_store_dword v2, off, s[0:3], 0 offset:264
	buffer_store_dword v2, off, s[0:3], 0 offset:268
.LBB57_295:
	s_or_b64 exec, exec, s[4:5]
	s_waitcnt lgkmcnt(0)
	; wave barrier
	s_waitcnt lgkmcnt(0)
	buffer_load_dword v3, off, s[0:3], 0 offset:276
	buffer_load_dword v52, off, s[0:3], 0 offset:284
	;; [unrolled: 1-line block ×34, first 2 shown]
	ds_read_b128 v[4:7], v2 offset:736
	ds_read_b128 v[8:11], v2 offset:752
	ds_read_b128 v[12:15], v2 offset:768
	ds_read_b128 v[16:19], v2 offset:784
	ds_read_b128 v[20:23], v2 offset:800
	ds_read_b128 v[24:27], v2 offset:816
	ds_read_b128 v[28:31], v2 offset:832
	ds_read_b128 v[32:35], v2 offset:848
	buffer_load_dword v39, off, s[0:3], 0 offset:420
	buffer_load_dword v38, off, s[0:3], 0 offset:416
	;; [unrolled: 1-line block ×9, first 2 shown]
	v_cmp_lt_u32_e32 vcc, 32, v0
	s_waitcnt vmcnt(42) lgkmcnt(7)
	v_mul_f32_e32 v44, v4, v3
	s_waitcnt vmcnt(41)
	v_mul_f32_e32 v48, v6, v52
	s_waitcnt vmcnt(40) lgkmcnt(6)
	v_mul_f32_e32 v49, v8, v54
	s_waitcnt vmcnt(39)
	v_mul_f32_e32 v50, v10, v56
	;; [unrolled: 4-line block ×6, first 2 shown]
	s_waitcnt vmcnt(30) lgkmcnt(1)
	v_mul_f32_e32 v90, v28, v68
	v_mul_f32_e32 v3, v5, v3
	s_waitcnt vmcnt(28)
	v_fmac_f32_e32 v44, v5, v70
	s_waitcnt vmcnt(27)
	v_fmac_f32_e32 v48, v7, v71
	v_add_f32_e32 v44, 0, v44
	s_waitcnt vmcnt(26)
	v_fmac_f32_e32 v49, v9, v72
	v_add_f32_e32 v44, v44, v48
	;; [unrolled: 3-line block ×12, first 2 shown]
	v_add_f32_e32 v53, v44, v90
	buffer_load_dword v49, off, s[0:3], 0 offset:444
	buffer_load_dword v48, off, s[0:3], 0 offset:440
	;; [unrolled: 1-line block ×7, first 2 shown]
	v_fma_f32 v3, v4, v70, -v3
	v_mul_f32_e32 v4, v7, v52
	v_add_f32_e32 v3, 0, v3
	v_fma_f32 v4, v6, v71, -v4
	v_add_f32_e32 v3, v3, v4
	v_mul_f32_e32 v4, v9, v54
	v_fma_f32 v4, v8, v72, -v4
	v_add_f32_e32 v3, v3, v4
	v_mul_f32_e32 v4, v11, v56
	;; [unrolled: 3-line block ×12, first 2 shown]
	s_waitcnt vmcnt(22)
	v_fma_f32 v4, v30, v83, -v4
	v_add_f32_e32 v52, v3, v4
	ds_read_b128 v[4:7], v2 offset:864
	ds_read_b128 v[8:11], v2 offset:880
	;; [unrolled: 1-line block ×4, first 2 shown]
	s_waitcnt vmcnt(11)
	v_mov_b32_e32 v20, v43
	s_waitcnt lgkmcnt(3)
	v_pk_mul_f32 v[20:21], v[4:5], v[20:21] op_sel_hi:[1,0]
	s_waitcnt vmcnt(10)
	v_pk_fma_f32 v[22:23], v[4:5], v[42:43], v[20:21] op_sel:[0,0,1] op_sel_hi:[1,1,0] neg_lo:[0,0,1] neg_hi:[0,0,1]
	v_pk_fma_f32 v[4:5], v[4:5], v[42:43], v[20:21] op_sel:[0,0,1] op_sel_hi:[1,0,0]
	v_mov_b32_e32 v4, v41
	v_mul_f32_e32 v91, v30, v69
	v_mov_b32_e32 v23, v5
	v_pk_mul_f32 v[4:5], v[6:7], v[4:5] op_sel_hi:[1,0]
	v_fmac_f32_e32 v91, v31, v83
	v_mul_f32_e32 v55, v32, v84
	v_mul_f32_e32 v3, v33, v84
	v_pk_fma_f32 v[20:21], v[6:7], v[40:41], v[4:5] op_sel:[0,0,1] op_sel_hi:[1,1,0] neg_lo:[0,0,1] neg_hi:[0,0,1]
	v_pk_fma_f32 v[4:5], v[6:7], v[40:41], v[4:5] op_sel:[0,0,1] op_sel_hi:[1,0,0]
	v_add_f32_e32 v53, v53, v91
	v_fmac_f32_e32 v55, v33, v85
	v_mul_f32_e32 v57, v34, v86
	v_fma_f32 v54, v32, v85, -v3
	v_mul_f32_e32 v3, v35, v86
	v_mov_b32_e32 v4, v39
	v_fmac_f32_e32 v57, v35, v87
	v_fma_f32 v56, v34, v87, -v3
	v_pk_add_f32 v[2:3], v[52:53], v[54:55]
	v_mov_b32_e32 v21, v5
	s_waitcnt lgkmcnt(2)
	v_pk_mul_f32 v[4:5], v[8:9], v[4:5] op_sel_hi:[1,0]
	v_pk_add_f32 v[2:3], v[2:3], v[56:57]
	v_pk_fma_f32 v[6:7], v[8:9], v[38:39], v[4:5] op_sel:[0,0,1] op_sel_hi:[1,1,0] neg_lo:[0,0,1] neg_hi:[0,0,1]
	v_pk_fma_f32 v[4:5], v[8:9], v[38:39], v[4:5] op_sel:[0,0,1] op_sel_hi:[1,0,0]
	v_pk_add_f32 v[2:3], v[2:3], v[22:23]
	s_waitcnt vmcnt(9)
	v_mov_b32_e32 v4, v45
	v_pk_add_f32 v[2:3], v[2:3], v[20:21]
	v_mov_b32_e32 v7, v5
	v_pk_mul_f32 v[4:5], v[10:11], v[4:5] op_sel_hi:[1,0]
	v_pk_add_f32 v[2:3], v[2:3], v[6:7]
	s_waitcnt vmcnt(2)
	v_pk_fma_f32 v[6:7], v[10:11], v[44:45], v[4:5] op_sel:[0,0,1] op_sel_hi:[1,1,0] neg_lo:[0,0,1] neg_hi:[0,0,1]
	v_pk_fma_f32 v[4:5], v[10:11], v[44:45], v[4:5] op_sel:[0,0,1] op_sel_hi:[1,0,0]
	v_mov_b32_e32 v4, v51
	v_mov_b32_e32 v7, v5
	s_waitcnt lgkmcnt(1)
	v_pk_mul_f32 v[4:5], v[12:13], v[4:5] op_sel_hi:[1,0]
	v_pk_add_f32 v[2:3], v[2:3], v[6:7]
	v_pk_fma_f32 v[6:7], v[12:13], v[50:51], v[4:5] op_sel:[0,0,1] op_sel_hi:[1,1,0] neg_lo:[0,0,1] neg_hi:[0,0,1]
	v_pk_fma_f32 v[4:5], v[12:13], v[50:51], v[4:5] op_sel:[0,0,1] op_sel_hi:[1,0,0]
	v_mov_b32_e32 v4, v49
	v_mov_b32_e32 v7, v5
	v_pk_mul_f32 v[4:5], v[14:15], v[4:5] op_sel_hi:[1,0]
	v_pk_add_f32 v[2:3], v[2:3], v[6:7]
	v_pk_fma_f32 v[6:7], v[14:15], v[48:49], v[4:5] op_sel:[0,0,1] op_sel_hi:[1,1,0] neg_lo:[0,0,1] neg_hi:[0,0,1]
	v_pk_fma_f32 v[4:5], v[14:15], v[48:49], v[4:5] op_sel:[0,0,1] op_sel_hi:[1,0,0]
	v_mov_b32_e32 v4, v47
	v_mov_b32_e32 v7, v5
	s_waitcnt lgkmcnt(0)
	v_pk_mul_f32 v[4:5], v[16:17], v[4:5] op_sel_hi:[1,0]
	v_pk_add_f32 v[2:3], v[2:3], v[6:7]
	v_pk_fma_f32 v[6:7], v[16:17], v[46:47], v[4:5] op_sel:[0,0,1] op_sel_hi:[1,1,0] neg_lo:[0,0,1] neg_hi:[0,0,1]
	v_pk_fma_f32 v[4:5], v[16:17], v[46:47], v[4:5] op_sel:[0,0,1] op_sel_hi:[1,0,0]
	s_waitcnt vmcnt(1)
	v_mov_b32_e32 v4, v59
	v_mov_b32_e32 v7, v5
	v_pk_mul_f32 v[4:5], v[18:19], v[4:5] op_sel_hi:[1,0]
	v_pk_add_f32 v[2:3], v[2:3], v[6:7]
	s_waitcnt vmcnt(0)
	v_pk_fma_f32 v[6:7], v[18:19], v[58:59], v[4:5] op_sel:[0,0,1] op_sel_hi:[1,1,0] neg_lo:[0,0,1] neg_hi:[0,0,1]
	v_pk_fma_f32 v[4:5], v[18:19], v[58:59], v[4:5] op_sel:[0,0,1] op_sel_hi:[1,0,0]
	v_mov_b32_e32 v7, v5
	v_pk_add_f32 v[2:3], v[2:3], v[6:7]
	v_pk_add_f32 v[2:3], v[36:37], v[2:3] neg_lo:[0,1] neg_hi:[0,1]
	buffer_store_dword v3, off, s[0:3], 0 offset:268
	buffer_store_dword v2, off, s[0:3], 0 offset:264
	s_and_saveexec_b64 s[4:5], vcc
	s_cbranch_execz .LBB57_297
; %bb.296:
	buffer_load_dword v2, off, s[0:3], 0 offset:256
	buffer_load_dword v3, off, s[0:3], 0 offset:260
	v_mov_b32_e32 v4, 0
	buffer_store_dword v4, off, s[0:3], 0 offset:256
	buffer_store_dword v4, off, s[0:3], 0 offset:260
	s_waitcnt vmcnt(2)
	ds_write_b64 v175, v[2:3]
.LBB57_297:
	s_or_b64 exec, exec, s[4:5]
	s_waitcnt lgkmcnt(0)
	; wave barrier
	s_waitcnt lgkmcnt(0)
	buffer_load_dword v5, off, s[0:3], 0 offset:268
	buffer_load_dword v58, off, s[0:3], 0 offset:276
	buffer_load_dword v60, off, s[0:3], 0 offset:284
	buffer_load_dword v62, off, s[0:3], 0 offset:292
	buffer_load_dword v68, off, s[0:3], 0 offset:300
	buffer_load_dword v69, off, s[0:3], 0 offset:308
	buffer_load_dword v70, off, s[0:3], 0 offset:316
	buffer_load_dword v71, off, s[0:3], 0 offset:324
	buffer_load_dword v72, off, s[0:3], 0 offset:332
	buffer_load_dword v73, off, s[0:3], 0 offset:340
	buffer_load_dword v74, off, s[0:3], 0 offset:348
	buffer_load_dword v75, off, s[0:3], 0 offset:356
	buffer_load_dword v76, off, s[0:3], 0 offset:364
	buffer_load_dword v77, off, s[0:3], 0 offset:372
	buffer_load_dword v78, off, s[0:3], 0 offset:380
	buffer_load_dword v79, off, s[0:3], 0 offset:264
	buffer_load_dword v80, off, s[0:3], 0 offset:272
	buffer_load_dword v81, off, s[0:3], 0 offset:280
	buffer_load_dword v82, off, s[0:3], 0 offset:288
	buffer_load_dword v83, off, s[0:3], 0 offset:296
	buffer_load_dword v84, off, s[0:3], 0 offset:304
	buffer_load_dword v85, off, s[0:3], 0 offset:312
	buffer_load_dword v86, off, s[0:3], 0 offset:320
	buffer_load_dword v87, off, s[0:3], 0 offset:328
	buffer_load_dword v88, off, s[0:3], 0 offset:336
	buffer_load_dword v89, off, s[0:3], 0 offset:344
	buffer_load_dword v90, off, s[0:3], 0 offset:352
	buffer_load_dword v91, off, s[0:3], 0 offset:360
	buffer_load_dword v92, off, s[0:3], 0 offset:368
	buffer_load_dword v93, off, s[0:3], 0 offset:376
	buffer_load_dword v94, off, s[0:3], 0 offset:388
	buffer_load_dword v95, off, s[0:3], 0 offset:384
	buffer_load_dword v96, off, s[0:3], 0 offset:396
	buffer_load_dword v97, off, s[0:3], 0 offset:392
	buffer_load_dword v2, off, s[0:3], 0 offset:256
	buffer_load_dword v3, off, s[0:3], 0 offset:260
	v_mov_b32_e32 v4, 0
	buffer_load_dword v47, off, s[0:3], 0 offset:412
	buffer_load_dword v46, off, s[0:3], 0 offset:408
	;; [unrolled: 1-line block ×5, first 2 shown]
	ds_read2_b64 v[6:9], v4 offset0:91 offset1:92
	ds_read2_b64 v[10:13], v4 offset0:93 offset1:94
	;; [unrolled: 1-line block ×8, first 2 shown]
	v_cmp_lt_u32_e32 vcc, 31, v0
	s_waitcnt vmcnt(40) lgkmcnt(7)
	v_mul_f32_e32 v38, v6, v5
	s_waitcnt vmcnt(39)
	v_mul_f32_e32 v39, v8, v58
	s_waitcnt vmcnt(38) lgkmcnt(6)
	v_mul_f32_e32 v40, v10, v60
	s_waitcnt vmcnt(37)
	v_mul_f32_e32 v41, v12, v62
	s_waitcnt vmcnt(36) lgkmcnt(5)
	v_mul_f32_e32 v42, v14, v68
	s_waitcnt vmcnt(35)
	v_mul_f32_e32 v43, v16, v69
	s_waitcnt vmcnt(34) lgkmcnt(4)
	v_mul_f32_e32 v44, v18, v70
	s_waitcnt vmcnt(33)
	v_mul_f32_e32 v45, v20, v71
	s_waitcnt vmcnt(32) lgkmcnt(3)
	v_mul_f32_e32 v50, v22, v72
	s_waitcnt vmcnt(31)
	v_mul_f32_e32 v52, v24, v73
	s_waitcnt vmcnt(30) lgkmcnt(2)
	v_mul_f32_e32 v53, v26, v74
	s_waitcnt vmcnt(29)
	v_mul_f32_e32 v54, v28, v75
	s_waitcnt vmcnt(28) lgkmcnt(1)
	v_mul_f32_e32 v55, v30, v76
	s_waitcnt vmcnt(27)
	v_mul_f32_e32 v56, v32, v77
	s_waitcnt vmcnt(26) lgkmcnt(0)
	v_mul_f32_e32 v59, v34, v78
	s_waitcnt vmcnt(25)
	v_fmac_f32_e32 v38, v7, v79
	s_waitcnt vmcnt(24)
	v_fmac_f32_e32 v39, v9, v80
	v_add_f32_e32 v38, 0, v38
	s_waitcnt vmcnt(23)
	v_fmac_f32_e32 v40, v11, v81
	v_add_f32_e32 v38, v38, v39
	;; [unrolled: 3-line block ×13, first 2 shown]
	v_add_f32_e32 v42, v38, v56
	buffer_load_dword v53, off, s[0:3], 0 offset:444
	buffer_load_dword v52, off, s[0:3], 0 offset:440
	;; [unrolled: 1-line block ×7, first 2 shown]
	s_waitcnt vmcnt(18)
	v_fmac_f32_e32 v59, v35, v93
	ds_read2_b64 v[38:41], v4 offset0:107 offset1:108
	v_add_f32_e32 v59, v42, v59
	ds_read2_b64 v[42:45], v4 offset0:109 offset1:110
	buffer_load_dword v65, off, s[0:3], 0 offset:460
	buffer_load_dword v64, off, s[0:3], 0 offset:456
	;; [unrolled: 1-line block ×4, first 2 shown]
	v_mul_f32_e32 v5, v7, v5
	v_fma_f32 v5, v6, v79, -v5
	v_mul_f32_e32 v6, v9, v58
	v_add_f32_e32 v5, 0, v5
	v_fma_f32 v6, v8, v80, -v6
	v_add_f32_e32 v5, v5, v6
	v_mul_f32_e32 v6, v11, v60
	v_fma_f32 v6, v10, v81, -v6
	v_add_f32_e32 v5, v5, v6
	v_mul_f32_e32 v6, v13, v62
	;; [unrolled: 3-line block ×13, first 2 shown]
	v_fma_f32 v6, v34, v93, -v6
	s_waitcnt vmcnt(13)
	v_mov_b32_e32 v18, v49
	v_mul_f32_e32 v61, v36, v94
	v_add_f32_e32 v58, v5, v6
	v_mul_f32_e32 v5, v37, v94
	s_waitcnt lgkmcnt(1)
	v_pk_mul_f32 v[18:19], v[40:41], v[18:19] op_sel_hi:[1,0]
	v_fmac_f32_e32 v61, v37, v95
	v_mul_f32_e32 v63, v38, v96
	v_fma_f32 v60, v36, v95, -v5
	v_mul_f32_e32 v5, v39, v96
	s_waitcnt vmcnt(12)
	v_pk_fma_f32 v[20:21], v[40:41], v[48:49], v[18:19] op_sel:[0,0,1] op_sel_hi:[1,1,0] neg_lo:[0,0,1] neg_hi:[0,0,1]
	v_pk_fma_f32 v[18:19], v[40:41], v[48:49], v[18:19] op_sel:[0,0,1] op_sel_hi:[1,0,0]
	v_fmac_f32_e32 v63, v39, v97
	v_fma_f32 v62, v38, v97, -v5
	v_pk_add_f32 v[16:17], v[58:59], v[60:61]
	v_mov_b32_e32 v18, v47
	v_pk_add_f32 v[16:17], v[16:17], v[62:63]
	v_mov_b32_e32 v21, v19
	s_waitcnt lgkmcnt(0)
	v_pk_mul_f32 v[18:19], v[42:43], v[18:19] op_sel_hi:[1,0]
	v_pk_add_f32 v[16:17], v[16:17], v[20:21]
	v_pk_fma_f32 v[20:21], v[42:43], v[46:47], v[18:19] op_sel:[0,0,1] op_sel_hi:[1,1,0] neg_lo:[0,0,1] neg_hi:[0,0,1]
	v_pk_fma_f32 v[18:19], v[42:43], v[46:47], v[18:19] op_sel:[0,0,1] op_sel_hi:[1,0,0]
	s_waitcnt vmcnt(11)
	v_mov_b32_e32 v18, v51
	ds_read2_b64 v[6:9], v4 offset0:111 offset1:112
	ds_read2_b64 v[10:13], v4 offset0:113 offset1:114
	ds_read_b64 v[14:15], v4 offset:920
	v_mov_b32_e32 v21, v19
	v_pk_mul_f32 v[18:19], v[44:45], v[18:19] op_sel_hi:[1,0]
	v_pk_add_f32 v[16:17], v[16:17], v[20:21]
	s_waitcnt vmcnt(4)
	v_pk_fma_f32 v[20:21], v[44:45], v[50:51], v[18:19] op_sel:[0,0,1] op_sel_hi:[1,1,0] neg_lo:[0,0,1] neg_hi:[0,0,1]
	v_pk_fma_f32 v[18:19], v[44:45], v[50:51], v[18:19] op_sel:[0,0,1] op_sel_hi:[1,0,0]
	v_mov_b32_e32 v18, v57
	v_mov_b32_e32 v21, v19
	s_waitcnt lgkmcnt(2)
	v_pk_mul_f32 v[18:19], v[6:7], v[18:19] op_sel_hi:[1,0]
	v_pk_add_f32 v[16:17], v[16:17], v[20:21]
	v_pk_fma_f32 v[20:21], v[6:7], v[56:57], v[18:19] op_sel:[0,0,1] op_sel_hi:[1,1,0] neg_lo:[0,0,1] neg_hi:[0,0,1]
	v_pk_fma_f32 v[6:7], v[6:7], v[56:57], v[18:19] op_sel:[0,0,1] op_sel_hi:[1,0,0]
	v_mov_b32_e32 v21, v7
	v_pk_add_f32 v[6:7], v[16:17], v[20:21]
	v_mov_b32_e32 v16, v55
	v_pk_mul_f32 v[16:17], v[8:9], v[16:17] op_sel_hi:[1,0]
	v_pk_fma_f32 v[18:19], v[8:9], v[54:55], v[16:17] op_sel:[0,0,1] op_sel_hi:[1,1,0] neg_lo:[0,0,1] neg_hi:[0,0,1]
	v_pk_fma_f32 v[8:9], v[8:9], v[54:55], v[16:17] op_sel:[0,0,1] op_sel_hi:[1,0,0]
	v_mov_b32_e32 v8, v53
	v_mov_b32_e32 v19, v9
	s_waitcnt lgkmcnt(1)
	v_pk_mul_f32 v[8:9], v[10:11], v[8:9] op_sel_hi:[1,0]
	v_pk_fma_f32 v[16:17], v[10:11], v[52:53], v[8:9] op_sel:[0,0,1] op_sel_hi:[1,1,0] neg_lo:[0,0,1] neg_hi:[0,0,1]
	v_pk_fma_f32 v[8:9], v[10:11], v[52:53], v[8:9] op_sel:[0,0,1] op_sel_hi:[1,0,0]
	s_waitcnt vmcnt(1)
	v_mov_b32_e32 v8, v67
	v_mov_b32_e32 v17, v9
	v_pk_mul_f32 v[8:9], v[12:13], v[8:9] op_sel_hi:[1,0]
	s_waitcnt vmcnt(0)
	v_pk_fma_f32 v[10:11], v[12:13], v[66:67], v[8:9] op_sel:[0,0,1] op_sel_hi:[1,1,0] neg_lo:[0,0,1] neg_hi:[0,0,1]
	v_pk_fma_f32 v[8:9], v[12:13], v[66:67], v[8:9] op_sel:[0,0,1] op_sel_hi:[1,0,0]
	v_pk_add_f32 v[6:7], v[6:7], v[18:19]
	v_mov_b32_e32 v8, v65
	v_pk_add_f32 v[6:7], v[6:7], v[16:17]
	v_mov_b32_e32 v11, v9
	s_waitcnt lgkmcnt(0)
	v_pk_mul_f32 v[8:9], v[14:15], v[8:9] op_sel_hi:[1,0]
	v_pk_add_f32 v[6:7], v[6:7], v[10:11]
	v_pk_fma_f32 v[10:11], v[14:15], v[64:65], v[8:9] op_sel:[0,0,1] op_sel_hi:[1,1,0] neg_lo:[0,0,1] neg_hi:[0,0,1]
	v_pk_fma_f32 v[8:9], v[14:15], v[64:65], v[8:9] op_sel:[0,0,1] op_sel_hi:[1,0,0]
	v_mov_b32_e32 v11, v9
	v_pk_add_f32 v[6:7], v[6:7], v[10:11]
	v_pk_add_f32 v[2:3], v[2:3], v[6:7] neg_lo:[0,1] neg_hi:[0,1]
	buffer_store_dword v3, off, s[0:3], 0 offset:260
	buffer_store_dword v2, off, s[0:3], 0 offset:256
	s_and_saveexec_b64 s[4:5], vcc
	s_cbranch_execz .LBB57_299
; %bb.298:
	buffer_load_dword v2, off, s[0:3], 0 offset:248
	buffer_load_dword v3, off, s[0:3], 0 offset:252
	s_waitcnt vmcnt(0)
	ds_write_b64 v175, v[2:3]
	buffer_store_dword v4, off, s[0:3], 0 offset:248
	buffer_store_dword v4, off, s[0:3], 0 offset:252
.LBB57_299:
	s_or_b64 exec, exec, s[4:5]
	s_waitcnt lgkmcnt(0)
	; wave barrier
	s_waitcnt lgkmcnt(0)
	buffer_load_dword v2, off, s[0:3], 0 offset:260
	buffer_load_dword v3, off, s[0:3], 0 offset:268
	;; [unrolled: 1-line block ×38, first 2 shown]
	ds_read_b128 v[6:9], v4 offset:720
	ds_read_b128 v[10:13], v4 offset:736
	;; [unrolled: 1-line block ×8, first 2 shown]
	buffer_load_dword v49, off, s[0:3], 0 offset:404
	buffer_load_dword v48, off, s[0:3], 0 offset:400
	;; [unrolled: 1-line block ×4, first 2 shown]
	v_cmp_lt_u32_e32 vcc, 30, v0
	s_waitcnt vmcnt(41) lgkmcnt(7)
	v_mul_f32_e32 v38, v6, v2
	s_waitcnt vmcnt(40)
	v_mul_f32_e32 v39, v8, v3
	s_waitcnt vmcnt(39) lgkmcnt(6)
	v_mul_f32_e32 v40, v10, v5
	s_waitcnt vmcnt(38)
	v_mul_f32_e32 v41, v12, v58
	;; [unrolled: 4-line block ×7, first 2 shown]
	s_waitcnt vmcnt(27) lgkmcnt(0)
	v_mul_f32_e32 v59, v34, v78
	s_waitcnt vmcnt(26)
	v_fmac_f32_e32 v38, v7, v79
	s_waitcnt vmcnt(25)
	v_fmac_f32_e32 v39, v9, v80
	v_add_f32_e32 v38, 0, v38
	s_waitcnt vmcnt(24)
	v_fmac_f32_e32 v40, v11, v81
	v_add_f32_e32 v38, v38, v39
	;; [unrolled: 3-line block ×13, first 2 shown]
	v_add_f32_e32 v38, v38, v57
	buffer_load_dword v53, off, s[0:3], 0 offset:428
	buffer_load_dword v52, off, s[0:3], 0 offset:424
	;; [unrolled: 1-line block ×6, first 2 shown]
	s_waitcnt vmcnt(18)
	v_fmac_f32_e32 v59, v35, v93
	s_waitcnt vmcnt(17)
	v_mul_f32_e32 v43, v36, v94
	v_add_f32_e32 v42, v38, v59
	s_waitcnt vmcnt(16)
	v_fmac_f32_e32 v43, v37, v95
	ds_read_b128 v[38:41], v4 offset:848
	v_add_f32_e32 v59, v42, v43
	ds_read_b128 v[42:45], v4 offset:864
	buffer_load_dword v65, off, s[0:3], 0 offset:460
	buffer_load_dword v64, off, s[0:3], 0 offset:456
	;; [unrolled: 1-line block ×6, first 2 shown]
	v_mul_f32_e32 v2, v7, v2
	v_fma_f32 v2, v6, v79, -v2
	v_mul_f32_e32 v3, v9, v3
	v_add_f32_e32 v2, 0, v2
	v_fma_f32 v3, v8, v80, -v3
	v_add_f32_e32 v2, v2, v3
	v_mul_f32_e32 v3, v11, v5
	v_fma_f32 v3, v10, v81, -v3
	v_add_f32_e32 v2, v2, v3
	v_mul_f32_e32 v3, v13, v58
	;; [unrolled: 3-line block ×14, first 2 shown]
	v_fma_f32 v3, v36, v95, -v3
	s_waitcnt vmcnt(15)
	v_mov_b32_e32 v16, v49
	s_waitcnt lgkmcnt(1)
	v_mul_f32_e32 v61, v38, v96
	v_add_f32_e32 v58, v2, v3
	v_mul_f32_e32 v2, v39, v96
	s_waitcnt lgkmcnt(0)
	v_pk_mul_f32 v[16:17], v[42:43], v[16:17] op_sel_hi:[1,0]
	v_fmac_f32_e32 v61, v39, v97
	v_mul_f32_e32 v63, v40, v98
	v_fma_f32 v60, v38, v97, -v2
	v_mul_f32_e32 v2, v41, v98
	s_waitcnt vmcnt(14)
	v_pk_fma_f32 v[18:19], v[42:43], v[48:49], v[16:17] op_sel:[0,0,1] op_sel_hi:[1,1,0] neg_lo:[0,0,1] neg_hi:[0,0,1]
	v_pk_fma_f32 v[16:17], v[42:43], v[48:49], v[16:17] op_sel:[0,0,1] op_sel_hi:[1,0,0]
	v_fmac_f32_e32 v63, v41, v99
	v_fma_f32 v62, v40, v99, -v2
	v_pk_add_f32 v[14:15], v[58:59], v[60:61]
	ds_read_b128 v[6:9], v4 offset:880
	ds_read_b128 v[10:13], v4 offset:896
	;; [unrolled: 1-line block ×3, first 2 shown]
	v_pk_add_f32 v[14:15], v[14:15], v[62:63]
	v_mov_b32_e32 v19, v17
	v_pk_add_f32 v[14:15], v[14:15], v[18:19]
	s_waitcnt vmcnt(7)
	v_mov_b32_e32 v16, v57
	v_pk_mul_f32 v[16:17], v[44:45], v[16:17] op_sel_hi:[1,0]
	s_waitcnt vmcnt(6)
	v_pk_fma_f32 v[18:19], v[44:45], v[56:57], v[16:17] op_sel:[0,0,1] op_sel_hi:[1,1,0] neg_lo:[0,0,1] neg_hi:[0,0,1]
	v_pk_fma_f32 v[16:17], v[44:45], v[56:57], v[16:17] op_sel:[0,0,1] op_sel_hi:[1,0,0]
	v_mov_b32_e32 v16, v55
	v_mov_b32_e32 v19, v17
	s_waitcnt lgkmcnt(2)
	v_pk_mul_f32 v[16:17], v[6:7], v[16:17] op_sel_hi:[1,0]
	v_pk_add_f32 v[14:15], v[14:15], v[18:19]
	v_pk_fma_f32 v[18:19], v[6:7], v[54:55], v[16:17] op_sel:[0,0,1] op_sel_hi:[1,1,0] neg_lo:[0,0,1] neg_hi:[0,0,1]
	v_pk_fma_f32 v[6:7], v[6:7], v[54:55], v[16:17] op_sel:[0,0,1] op_sel_hi:[1,0,0]
	v_mov_b32_e32 v19, v7
	v_pk_add_f32 v[6:7], v[14:15], v[18:19]
	v_mov_b32_e32 v14, v53
	v_pk_mul_f32 v[14:15], v[8:9], v[14:15] op_sel_hi:[1,0]
	v_pk_fma_f32 v[16:17], v[8:9], v[52:53], v[14:15] op_sel:[0,0,1] op_sel_hi:[1,1,0] neg_lo:[0,0,1] neg_hi:[0,0,1]
	v_pk_fma_f32 v[8:9], v[8:9], v[52:53], v[14:15] op_sel:[0,0,1] op_sel_hi:[1,0,0]
	v_mov_b32_e32 v8, v51
	v_mov_b32_e32 v17, v9
	s_waitcnt lgkmcnt(1)
	v_pk_mul_f32 v[8:9], v[10:11], v[8:9] op_sel_hi:[1,0]
	v_pk_fma_f32 v[14:15], v[10:11], v[50:51], v[8:9] op_sel:[0,0,1] op_sel_hi:[1,1,0] neg_lo:[0,0,1] neg_hi:[0,0,1]
	v_pk_fma_f32 v[8:9], v[10:11], v[50:51], v[8:9] op_sel:[0,0,1] op_sel_hi:[1,0,0]
	s_waitcnt vmcnt(1)
	v_mov_b32_e32 v8, v69
	v_mov_b32_e32 v15, v9
	v_pk_mul_f32 v[8:9], v[12:13], v[8:9] op_sel_hi:[1,0]
	s_waitcnt vmcnt(0)
	v_pk_fma_f32 v[10:11], v[12:13], v[68:69], v[8:9] op_sel:[0,0,1] op_sel_hi:[1,1,0] neg_lo:[0,0,1] neg_hi:[0,0,1]
	v_pk_fma_f32 v[8:9], v[12:13], v[68:69], v[8:9] op_sel:[0,0,1] op_sel_hi:[1,0,0]
	v_pk_add_f32 v[6:7], v[6:7], v[16:17]
	v_mov_b32_e32 v8, v67
	v_pk_add_f32 v[6:7], v[6:7], v[14:15]
	v_mov_b32_e32 v11, v9
	s_waitcnt lgkmcnt(0)
	v_pk_mul_f32 v[8:9], v[2:3], v[8:9] op_sel_hi:[1,0]
	v_pk_add_f32 v[6:7], v[6:7], v[10:11]
	v_pk_fma_f32 v[10:11], v[2:3], v[66:67], v[8:9] op_sel:[0,0,1] op_sel_hi:[1,1,0] neg_lo:[0,0,1] neg_hi:[0,0,1]
	v_pk_fma_f32 v[2:3], v[2:3], v[66:67], v[8:9] op_sel:[0,0,1] op_sel_hi:[1,0,0]
	v_mov_b32_e32 v11, v3
	v_pk_add_f32 v[2:3], v[6:7], v[10:11]
	v_mov_b32_e32 v6, v65
	v_pk_mul_f32 v[6:7], v[4:5], v[6:7] op_sel_hi:[1,0]
	v_pk_fma_f32 v[8:9], v[4:5], v[64:65], v[6:7] op_sel:[0,0,1] op_sel_hi:[1,1,0] neg_lo:[0,0,1] neg_hi:[0,0,1]
	v_pk_fma_f32 v[4:5], v[4:5], v[64:65], v[6:7] op_sel:[0,0,1] op_sel_hi:[1,0,0]
	v_mov_b32_e32 v9, v5
	v_pk_add_f32 v[2:3], v[2:3], v[8:9]
	v_pk_add_f32 v[2:3], v[46:47], v[2:3] neg_lo:[0,1] neg_hi:[0,1]
	buffer_store_dword v3, off, s[0:3], 0 offset:252
	buffer_store_dword v2, off, s[0:3], 0 offset:248
	s_and_saveexec_b64 s[4:5], vcc
	s_cbranch_execz .LBB57_301
; %bb.300:
	buffer_load_dword v2, off, s[0:3], 0 offset:240
	buffer_load_dword v3, off, s[0:3], 0 offset:244
	v_mov_b32_e32 v4, 0
	buffer_store_dword v4, off, s[0:3], 0 offset:240
	buffer_store_dword v4, off, s[0:3], 0 offset:244
	s_waitcnt vmcnt(2)
	ds_write_b64 v175, v[2:3]
.LBB57_301:
	s_or_b64 exec, exec, s[4:5]
	s_waitcnt lgkmcnt(0)
	; wave barrier
	s_waitcnt lgkmcnt(0)
	buffer_load_dword v5, off, s[0:3], 0 offset:252
	buffer_load_dword v54, off, s[0:3], 0 offset:260
	;; [unrolled: 1-line block ×40, first 2 shown]
	v_mov_b32_e32 v4, 0
	ds_read2_b64 v[6:9], v4 offset0:89 offset1:90
	ds_read2_b64 v[10:13], v4 offset0:91 offset1:92
	;; [unrolled: 1-line block ×8, first 2 shown]
	v_cmp_lt_u32_e32 vcc, 29, v0
	s_waitcnt vmcnt(39) lgkmcnt(7)
	v_mul_f32_e32 v38, v6, v5
	s_waitcnt vmcnt(38)
	v_mul_f32_e32 v39, v8, v54
	s_waitcnt vmcnt(37) lgkmcnt(6)
	v_mul_f32_e32 v40, v10, v56
	s_waitcnt vmcnt(36)
	v_mul_f32_e32 v41, v12, v58
	;; [unrolled: 4-line block ×8, first 2 shown]
	s_waitcnt vmcnt(23)
	v_fmac_f32_e32 v38, v7, v80
	s_waitcnt vmcnt(22)
	v_fmac_f32_e32 v39, v9, v81
	v_add_f32_e32 v38, 0, v38
	s_waitcnt vmcnt(21)
	v_fmac_f32_e32 v40, v11, v82
	v_add_f32_e32 v38, v38, v39
	;; [unrolled: 3-line block ×14, first 2 shown]
	v_add_f32_e32 v38, v38, v52
	s_waitcnt vmcnt(8)
	v_fmac_f32_e32 v53, v37, v95
	v_add_f32_e32 v55, v38, v53
	ds_read2_b64 v[38:41], v4 offset0:105 offset1:106
	buffer_load_dword v47, off, s[0:3], 0 offset:404
	buffer_load_dword v49, off, s[0:3], 0 offset:428
	;; [unrolled: 1-line block ×8, first 2 shown]
	ds_read2_b64 v[42:45], v4 offset0:107 offset1:108
	buffer_load_dword v61, off, s[0:3], 0 offset:460
	buffer_load_dword v60, off, s[0:3], 0 offset:456
	buffer_load_dword v63, off, s[0:3], 0 offset:452
	buffer_load_dword v62, off, s[0:3], 0 offset:448
	buffer_load_dword v65, off, s[0:3], 0 offset:444
	buffer_load_dword v64, off, s[0:3], 0 offset:440
	buffer_load_dword v67, off, s[0:3], 0 offset:436
	buffer_load_dword v66, off, s[0:3], 0 offset:432
	v_mul_f32_e32 v5, v7, v5
	v_fma_f32 v5, v6, v80, -v5
	v_mul_f32_e32 v6, v9, v54
	v_add_f32_e32 v5, 0, v5
	v_fma_f32 v6, v8, v81, -v6
	v_add_f32_e32 v5, v5, v6
	v_mul_f32_e32 v6, v11, v56
	v_fma_f32 v6, v10, v82, -v6
	v_add_f32_e32 v5, v5, v6
	v_mul_f32_e32 v6, v13, v58
	;; [unrolled: 3-line block ×14, first 2 shown]
	v_fma_f32 v6, v36, v95, -v6
	s_waitcnt vmcnt(23) lgkmcnt(1)
	v_mul_f32_e32 v57, v38, v96
	v_add_f32_e32 v5, v5, v6
	v_mul_f32_e32 v6, v39, v96
	s_waitcnt vmcnt(22)
	v_fmac_f32_e32 v57, v39, v97
	v_fma_f32 v6, v38, v97, -v6
	v_add_f32_e32 v55, v55, v57
	s_waitcnt vmcnt(21)
	v_mul_f32_e32 v57, v40, v98
	v_add_f32_e32 v54, v5, v6
	v_mul_f32_e32 v5, v41, v98
	s_waitcnt vmcnt(20)
	v_fmac_f32_e32 v57, v41, v99
	s_waitcnt vmcnt(19) lgkmcnt(0)
	v_mul_f32_e32 v59, v42, v100
	v_fma_f32 v56, v40, v99, -v5
	v_mul_f32_e32 v5, v43, v100
	ds_read2_b64 v[6:9], v4 offset0:109 offset1:110
	ds_read2_b64 v[10:13], v4 offset0:111 offset1:112
	;; [unrolled: 1-line block ×3, first 2 shown]
	ds_read_b64 v[18:19], v4 offset:920
	s_waitcnt vmcnt(18)
	v_fmac_f32_e32 v59, v43, v101
	v_fma_f32 v58, v42, v101, -v5
	v_pk_add_f32 v[20:21], v[54:55], v[56:57]
	v_pk_add_f32 v[20:21], v[20:21], v[58:59]
	s_waitcnt vmcnt(15)
	v_mov_b32_e32 v22, v47
	v_pk_mul_f32 v[22:23], v[44:45], v[22:23] op_sel_hi:[1,0]
	s_waitcnt vmcnt(8)
	v_pk_fma_f32 v[24:25], v[44:45], v[46:47], v[22:23] op_sel:[0,0,1] op_sel_hi:[1,1,0] neg_lo:[0,0,1] neg_hi:[0,0,1]
	v_pk_fma_f32 v[22:23], v[44:45], v[46:47], v[22:23] op_sel:[0,0,1] op_sel_hi:[1,0,0]
	v_mov_b32_e32 v22, v53
	v_mov_b32_e32 v25, v23
	s_waitcnt lgkmcnt(3)
	v_pk_mul_f32 v[22:23], v[6:7], v[22:23] op_sel_hi:[1,0]
	v_pk_add_f32 v[20:21], v[20:21], v[24:25]
	v_pk_fma_f32 v[24:25], v[6:7], v[52:53], v[22:23] op_sel:[0,0,1] op_sel_hi:[1,1,0] neg_lo:[0,0,1] neg_hi:[0,0,1]
	v_pk_fma_f32 v[6:7], v[6:7], v[52:53], v[22:23] op_sel:[0,0,1] op_sel_hi:[1,0,0]
	v_mov_b32_e32 v25, v7
	v_pk_add_f32 v[6:7], v[20:21], v[24:25]
	v_mov_b32_e32 v20, v51
	v_pk_mul_f32 v[20:21], v[8:9], v[20:21] op_sel_hi:[1,0]
	v_pk_fma_f32 v[22:23], v[8:9], v[50:51], v[20:21] op_sel:[0,0,1] op_sel_hi:[1,1,0] neg_lo:[0,0,1] neg_hi:[0,0,1]
	v_pk_fma_f32 v[8:9], v[8:9], v[50:51], v[20:21] op_sel:[0,0,1] op_sel_hi:[1,0,0]
	v_mov_b32_e32 v8, v49
	v_mov_b32_e32 v23, v9
	s_waitcnt lgkmcnt(2)
	v_pk_mul_f32 v[8:9], v[10:11], v[8:9] op_sel_hi:[1,0]
	v_pk_fma_f32 v[20:21], v[10:11], v[48:49], v[8:9] op_sel:[0,0,1] op_sel_hi:[1,1,0] neg_lo:[0,0,1] neg_hi:[0,0,1]
	v_pk_fma_f32 v[8:9], v[10:11], v[48:49], v[8:9] op_sel:[0,0,1] op_sel_hi:[1,0,0]
	s_waitcnt vmcnt(1)
	v_mov_b32_e32 v8, v67
	v_mov_b32_e32 v21, v9
	v_pk_mul_f32 v[8:9], v[12:13], v[8:9] op_sel_hi:[1,0]
	s_waitcnt vmcnt(0)
	v_pk_fma_f32 v[10:11], v[12:13], v[66:67], v[8:9] op_sel:[0,0,1] op_sel_hi:[1,1,0] neg_lo:[0,0,1] neg_hi:[0,0,1]
	v_pk_fma_f32 v[8:9], v[12:13], v[66:67], v[8:9] op_sel:[0,0,1] op_sel_hi:[1,0,0]
	v_pk_add_f32 v[6:7], v[6:7], v[22:23]
	v_mov_b32_e32 v8, v65
	v_pk_add_f32 v[6:7], v[6:7], v[20:21]
	v_mov_b32_e32 v11, v9
	s_waitcnt lgkmcnt(1)
	v_pk_mul_f32 v[8:9], v[14:15], v[8:9] op_sel_hi:[1,0]
	v_pk_add_f32 v[6:7], v[6:7], v[10:11]
	v_pk_fma_f32 v[10:11], v[14:15], v[64:65], v[8:9] op_sel:[0,0,1] op_sel_hi:[1,1,0] neg_lo:[0,0,1] neg_hi:[0,0,1]
	v_pk_fma_f32 v[8:9], v[14:15], v[64:65], v[8:9] op_sel:[0,0,1] op_sel_hi:[1,0,0]
	v_mov_b32_e32 v8, v63
	v_mov_b32_e32 v11, v9
	v_pk_mul_f32 v[8:9], v[16:17], v[8:9] op_sel_hi:[1,0]
	v_pk_add_f32 v[6:7], v[6:7], v[10:11]
	v_pk_fma_f32 v[10:11], v[16:17], v[62:63], v[8:9] op_sel:[0,0,1] op_sel_hi:[1,1,0] neg_lo:[0,0,1] neg_hi:[0,0,1]
	v_pk_fma_f32 v[8:9], v[16:17], v[62:63], v[8:9] op_sel:[0,0,1] op_sel_hi:[1,0,0]
	v_mov_b32_e32 v8, v61
	v_mov_b32_e32 v11, v9
	s_waitcnt lgkmcnt(0)
	v_pk_mul_f32 v[8:9], v[18:19], v[8:9] op_sel_hi:[1,0]
	v_pk_add_f32 v[6:7], v[6:7], v[10:11]
	v_pk_fma_f32 v[10:11], v[18:19], v[60:61], v[8:9] op_sel:[0,0,1] op_sel_hi:[1,1,0] neg_lo:[0,0,1] neg_hi:[0,0,1]
	v_pk_fma_f32 v[8:9], v[18:19], v[60:61], v[8:9] op_sel:[0,0,1] op_sel_hi:[1,0,0]
	v_mov_b32_e32 v11, v9
	v_pk_add_f32 v[6:7], v[6:7], v[10:11]
	v_pk_add_f32 v[2:3], v[2:3], v[6:7] neg_lo:[0,1] neg_hi:[0,1]
	buffer_store_dword v3, off, s[0:3], 0 offset:244
	buffer_store_dword v2, off, s[0:3], 0 offset:240
	s_and_saveexec_b64 s[4:5], vcc
	s_cbranch_execz .LBB57_303
; %bb.302:
	buffer_load_dword v2, off, s[0:3], 0 offset:232
	buffer_load_dword v3, off, s[0:3], 0 offset:236
	s_waitcnt vmcnt(0)
	ds_write_b64 v175, v[2:3]
	buffer_store_dword v4, off, s[0:3], 0 offset:232
	buffer_store_dword v4, off, s[0:3], 0 offset:236
.LBB57_303:
	s_or_b64 exec, exec, s[4:5]
	s_waitcnt lgkmcnt(0)
	; wave barrier
	s_waitcnt lgkmcnt(0)
	buffer_load_dword v5, off, s[0:3], 0 offset:244
	buffer_load_dword v46, off, s[0:3], 0 offset:252
	;; [unrolled: 1-line block ×42, first 2 shown]
	ds_read_b128 v[6:9], v4 offset:704
	ds_read_b128 v[10:13], v4 offset:720
	ds_read_b128 v[14:17], v4 offset:736
	ds_read_b128 v[18:21], v4 offset:752
	ds_read_b128 v[22:25], v4 offset:768
	ds_read_b128 v[26:29], v4 offset:784
	ds_read_b128 v[30:33], v4 offset:800
	ds_read_b128 v[34:37], v4 offset:816
	v_cmp_lt_u32_e32 vcc, 28, v0
	s_waitcnt vmcnt(41) lgkmcnt(7)
	v_mul_f32_e32 v38, v6, v5
	s_waitcnt vmcnt(40)
	v_mul_f32_e32 v39, v8, v46
	s_waitcnt vmcnt(39) lgkmcnt(6)
	v_mul_f32_e32 v40, v10, v48
	s_waitcnt vmcnt(38)
	v_mul_f32_e32 v41, v12, v56
	;; [unrolled: 4-line block ×7, first 2 shown]
	s_waitcnt vmcnt(27) lgkmcnt(0)
	v_mul_f32_e32 v54, v34, v78
	s_waitcnt vmcnt(26)
	v_fmac_f32_e32 v38, v7, v79
	s_waitcnt vmcnt(25)
	v_fmac_f32_e32 v39, v9, v80
	v_add_f32_e32 v38, 0, v38
	s_waitcnt vmcnt(24)
	v_fmac_f32_e32 v40, v11, v81
	v_add_f32_e32 v38, v38, v39
	;; [unrolled: 3-line block ×14, first 2 shown]
	s_waitcnt vmcnt(11)
	v_mul_f32_e32 v43, v36, v94
	v_add_f32_e32 v42, v38, v54
	s_waitcnt vmcnt(10)
	v_fmac_f32_e32 v43, v37, v95
	ds_read_b128 v[38:41], v4 offset:832
	v_add_f32_e32 v47, v42, v43
	ds_read_b128 v[42:45], v4 offset:848
	buffer_load_dword v51, off, s[0:3], 0 offset:404
	buffer_load_dword v53, off, s[0:3], 0 offset:420
	;; [unrolled: 1-line block ×16, first 2 shown]
	v_mul_f32_e32 v5, v7, v5
	v_fma_f32 v5, v6, v79, -v5
	v_mul_f32_e32 v6, v9, v46
	v_add_f32_e32 v5, 0, v5
	v_fma_f32 v6, v8, v80, -v6
	v_add_f32_e32 v5, v5, v6
	v_mul_f32_e32 v6, v11, v48
	v_fma_f32 v6, v10, v81, -v6
	v_add_f32_e32 v5, v5, v6
	v_mul_f32_e32 v6, v13, v56
	;; [unrolled: 3-line block ×14, first 2 shown]
	v_fma_f32 v6, v36, v95, -v6
	v_add_f32_e32 v5, v5, v6
	s_waitcnt vmcnt(25) lgkmcnt(1)
	v_mul_f32_e32 v6, v39, v96
	s_waitcnt vmcnt(24)
	v_fma_f32 v6, v38, v97, -v6
	v_add_f32_e32 v5, v5, v6
	s_waitcnt vmcnt(23)
	v_mul_f32_e32 v6, v41, v98
	s_waitcnt vmcnt(22)
	v_fma_f32 v6, v40, v99, -v6
	v_add_f32_e32 v46, v5, v6
	ds_read_b128 v[6:9], v4 offset:864
	ds_read_b128 v[10:13], v4 offset:880
	;; [unrolled: 1-line block ×4, first 2 shown]
	v_mul_f32_e32 v49, v38, v96
	v_fmac_f32_e32 v49, v39, v97
	v_add_f32_e32 v47, v47, v49
	v_mul_f32_e32 v49, v40, v98
	v_fmac_f32_e32 v49, v41, v99
	v_add_f32_e32 v47, v47, v49
	s_waitcnt vmcnt(21) lgkmcnt(4)
	v_mul_f32_e32 v49, v42, v100
	v_mul_f32_e32 v5, v43, v100
	s_waitcnt vmcnt(20)
	v_fmac_f32_e32 v49, v43, v101
	s_waitcnt vmcnt(19)
	v_mul_f32_e32 v57, v44, v102
	v_fma_f32 v48, v42, v101, -v5
	v_mul_f32_e32 v5, v45, v102
	s_waitcnt vmcnt(18)
	v_fmac_f32_e32 v57, v45, v103
	v_fma_f32 v56, v44, v103, -v5
	v_pk_add_f32 v[4:5], v[46:47], v[48:49]
	v_pk_add_f32 v[4:5], v[4:5], v[56:57]
	s_waitcnt vmcnt(15)
	v_mov_b32_e32 v22, v51
	s_waitcnt lgkmcnt(3)
	v_pk_mul_f32 v[22:23], v[6:7], v[22:23] op_sel_hi:[1,0]
	s_waitcnt vmcnt(10)
	v_pk_fma_f32 v[24:25], v[6:7], v[50:51], v[22:23] op_sel:[0,0,1] op_sel_hi:[1,1,0] neg_lo:[0,0,1] neg_hi:[0,0,1]
	v_pk_fma_f32 v[6:7], v[6:7], v[50:51], v[22:23] op_sel:[0,0,1] op_sel_hi:[1,0,0]
	v_mov_b32_e32 v6, v55
	v_mov_b32_e32 v25, v7
	v_pk_mul_f32 v[6:7], v[8:9], v[6:7] op_sel_hi:[1,0]
	v_pk_fma_f32 v[22:23], v[8:9], v[54:55], v[6:7] op_sel:[0,0,1] op_sel_hi:[1,1,0] neg_lo:[0,0,1] neg_hi:[0,0,1]
	v_pk_fma_f32 v[6:7], v[8:9], v[54:55], v[6:7] op_sel:[0,0,1] op_sel_hi:[1,0,0]
	v_mov_b32_e32 v6, v53
	v_mov_b32_e32 v23, v7
	s_waitcnt lgkmcnt(2)
	v_pk_mul_f32 v[6:7], v[10:11], v[6:7] op_sel_hi:[1,0]
	v_pk_fma_f32 v[8:9], v[10:11], v[52:53], v[6:7] op_sel:[0,0,1] op_sel_hi:[1,1,0] neg_lo:[0,0,1] neg_hi:[0,0,1]
	v_pk_fma_f32 v[6:7], v[10:11], v[52:53], v[6:7] op_sel:[0,0,1] op_sel_hi:[1,0,0]
	v_pk_add_f32 v[4:5], v[4:5], v[24:25]
	s_waitcnt vmcnt(3)
	v_mov_b32_e32 v6, v65
	v_pk_add_f32 v[4:5], v[4:5], v[22:23]
	v_mov_b32_e32 v9, v7
	v_pk_mul_f32 v[6:7], v[12:13], v[6:7] op_sel_hi:[1,0]
	v_pk_add_f32 v[4:5], v[4:5], v[8:9]
	s_waitcnt vmcnt(2)
	v_pk_fma_f32 v[8:9], v[12:13], v[64:65], v[6:7] op_sel:[0,0,1] op_sel_hi:[1,1,0] neg_lo:[0,0,1] neg_hi:[0,0,1]
	v_pk_fma_f32 v[6:7], v[12:13], v[64:65], v[6:7] op_sel:[0,0,1] op_sel_hi:[1,0,0]
	v_mov_b32_e32 v6, v63
	v_mov_b32_e32 v9, v7
	s_waitcnt lgkmcnt(1)
	v_pk_mul_f32 v[6:7], v[14:15], v[6:7] op_sel_hi:[1,0]
	v_pk_add_f32 v[4:5], v[4:5], v[8:9]
	v_pk_fma_f32 v[8:9], v[14:15], v[62:63], v[6:7] op_sel:[0,0,1] op_sel_hi:[1,1,0] neg_lo:[0,0,1] neg_hi:[0,0,1]
	v_pk_fma_f32 v[6:7], v[14:15], v[62:63], v[6:7] op_sel:[0,0,1] op_sel_hi:[1,0,0]
	v_mov_b32_e32 v6, v61
	v_mov_b32_e32 v9, v7
	v_pk_mul_f32 v[6:7], v[16:17], v[6:7] op_sel_hi:[1,0]
	v_pk_add_f32 v[4:5], v[4:5], v[8:9]
	v_pk_fma_f32 v[8:9], v[16:17], v[60:61], v[6:7] op_sel:[0,0,1] op_sel_hi:[1,1,0] neg_lo:[0,0,1] neg_hi:[0,0,1]
	v_pk_fma_f32 v[6:7], v[16:17], v[60:61], v[6:7] op_sel:[0,0,1] op_sel_hi:[1,0,0]
	v_mov_b32_e32 v6, v59
	v_mov_b32_e32 v9, v7
	s_waitcnt lgkmcnt(0)
	v_pk_mul_f32 v[6:7], v[18:19], v[6:7] op_sel_hi:[1,0]
	v_pk_add_f32 v[4:5], v[4:5], v[8:9]
	v_pk_fma_f32 v[8:9], v[18:19], v[58:59], v[6:7] op_sel:[0,0,1] op_sel_hi:[1,1,0] neg_lo:[0,0,1] neg_hi:[0,0,1]
	v_pk_fma_f32 v[6:7], v[18:19], v[58:59], v[6:7] op_sel:[0,0,1] op_sel_hi:[1,0,0]
	s_waitcnt vmcnt(1)
	v_mov_b32_e32 v6, v67
	v_mov_b32_e32 v9, v7
	v_pk_mul_f32 v[6:7], v[20:21], v[6:7] op_sel_hi:[1,0]
	v_pk_add_f32 v[4:5], v[4:5], v[8:9]
	s_waitcnt vmcnt(0)
	v_pk_fma_f32 v[8:9], v[20:21], v[66:67], v[6:7] op_sel:[0,0,1] op_sel_hi:[1,1,0] neg_lo:[0,0,1] neg_hi:[0,0,1]
	v_pk_fma_f32 v[6:7], v[20:21], v[66:67], v[6:7] op_sel:[0,0,1] op_sel_hi:[1,0,0]
	v_mov_b32_e32 v9, v7
	v_pk_add_f32 v[4:5], v[4:5], v[8:9]
	v_pk_add_f32 v[2:3], v[2:3], v[4:5] neg_lo:[0,1] neg_hi:[0,1]
	buffer_store_dword v3, off, s[0:3], 0 offset:236
	buffer_store_dword v2, off, s[0:3], 0 offset:232
	s_and_saveexec_b64 s[4:5], vcc
	s_cbranch_execz .LBB57_305
; %bb.304:
	buffer_load_dword v2, off, s[0:3], 0 offset:224
	buffer_load_dword v3, off, s[0:3], 0 offset:228
	v_mov_b32_e32 v4, 0
	buffer_store_dword v4, off, s[0:3], 0 offset:224
	buffer_store_dword v4, off, s[0:3], 0 offset:228
	s_waitcnt vmcnt(2)
	ds_write_b64 v175, v[2:3]
.LBB57_305:
	s_or_b64 exec, exec, s[4:5]
	s_waitcnt lgkmcnt(0)
	; wave barrier
	s_waitcnt lgkmcnt(0)
	buffer_load_dword v5, off, s[0:3], 0 offset:236
	buffer_load_dword v54, off, s[0:3], 0 offset:244
	;; [unrolled: 1-line block ×44, first 2 shown]
	v_mov_b32_e32 v4, 0
	ds_read2_b64 v[6:9], v4 offset0:87 offset1:88
	ds_read2_b64 v[10:13], v4 offset0:89 offset1:90
	;; [unrolled: 1-line block ×8, first 2 shown]
	v_cmp_lt_u32_e32 vcc, 27, v0
	s_waitcnt vmcnt(43) lgkmcnt(7)
	v_mul_f32_e32 v38, v6, v5
	s_waitcnt vmcnt(42)
	v_mul_f32_e32 v39, v8, v54
	s_waitcnt vmcnt(41) lgkmcnt(6)
	v_mul_f32_e32 v40, v10, v60
	s_waitcnt vmcnt(40)
	v_mul_f32_e32 v41, v12, v62
	;; [unrolled: 4-line block ×7, first 2 shown]
	s_waitcnt vmcnt(29)
	v_fmac_f32_e32 v38, v7, v86
	s_waitcnt vmcnt(28)
	v_fmac_f32_e32 v39, v9, v87
	v_add_f32_e32 v38, 0, v38
	s_waitcnt vmcnt(27)
	v_fmac_f32_e32 v40, v11, v88
	v_add_f32_e32 v38, v38, v39
	;; [unrolled: 3-line block ×12, first 2 shown]
	v_add_f32_e32 v38, v38, v50
	s_waitcnt vmcnt(16)
	v_fmac_f32_e32 v51, v33, v99
	s_waitcnt vmcnt(15) lgkmcnt(0)
	v_mul_f32_e32 v39, v34, v100
	v_add_f32_e32 v38, v38, v51
	s_waitcnt vmcnt(14)
	v_fmac_f32_e32 v39, v35, v101
	v_add_f32_e32 v42, v38, v39
	ds_read2_b64 v[38:41], v4 offset0:103 offset1:104
	s_waitcnt vmcnt(13)
	v_mul_f32_e32 v43, v36, v102
	s_waitcnt vmcnt(12)
	v_fmac_f32_e32 v43, v37, v103
	v_add_f32_e32 v46, v42, v43
	ds_read2_b64 v[42:45], v4 offset0:105 offset1:106
	s_waitcnt vmcnt(11) lgkmcnt(1)
	v_mul_f32_e32 v47, v38, v104
	s_waitcnt vmcnt(10)
	v_fmac_f32_e32 v47, v39, v105
	v_add_f32_e32 v46, v46, v47
	s_waitcnt vmcnt(9)
	v_mul_f32_e32 v47, v40, v106
	s_waitcnt vmcnt(8)
	v_fmac_f32_e32 v47, v41, v107
	v_add_f32_e32 v46, v46, v47
	s_waitcnt vmcnt(7) lgkmcnt(0)
	v_mul_f32_e32 v47, v42, v108
	s_waitcnt vmcnt(6)
	v_fmac_f32_e32 v47, v43, v109
	v_add_f32_e32 v55, v46, v47
	ds_read2_b64 v[46:49], v4 offset0:107 offset1:108
	buffer_load_dword v57, off, s[0:3], 0 offset:412
	buffer_load_dword v56, off, s[0:3], 0 offset:408
	;; [unrolled: 1-line block ×4, first 2 shown]
	ds_read2_b64 v[50:53], v4 offset0:109 offset1:110
	buffer_load_dword v65, off, s[0:3], 0 offset:444
	buffer_load_dword v64, off, s[0:3], 0 offset:440
	;; [unrolled: 1-line block ×12, first 2 shown]
	v_mul_f32_e32 v5, v7, v5
	v_fma_f32 v5, v6, v86, -v5
	v_mul_f32_e32 v6, v9, v54
	v_add_f32_e32 v5, 0, v5
	v_fma_f32 v6, v8, v87, -v6
	v_add_f32_e32 v5, v5, v6
	v_mul_f32_e32 v6, v11, v60
	v_fma_f32 v6, v10, v88, -v6
	v_add_f32_e32 v5, v5, v6
	v_mul_f32_e32 v6, v13, v62
	;; [unrolled: 3-line block ×17, first 2 shown]
	v_fma_f32 v6, v42, v109, -v6
	s_waitcnt vmcnt(21)
	v_mul_f32_e32 v61, v44, v110
	v_add_f32_e32 v54, v5, v6
	v_mul_f32_e32 v5, v45, v110
	s_waitcnt vmcnt(20)
	v_fmac_f32_e32 v61, v45, v111
	s_waitcnt vmcnt(19) lgkmcnt(1)
	v_mul_f32_e32 v63, v46, v112
	v_fma_f32 v60, v44, v111, -v5
	v_mul_f32_e32 v5, v47, v112
	s_waitcnt vmcnt(18)
	v_fmac_f32_e32 v63, v47, v113
	v_fma_f32 v62, v46, v113, -v5
	v_pk_add_f32 v[16:17], v[54:55], v[60:61]
	v_pk_add_f32 v[16:17], v[16:17], v[62:63]
	ds_read2_b64 v[6:9], v4 offset0:111 offset1:112
	ds_read2_b64 v[10:13], v4 offset0:113 offset1:114
	ds_read_b64 v[14:15], v4 offset:920
	s_waitcnt vmcnt(13)
	v_mov_b32_e32 v18, v59
	v_pk_mul_f32 v[18:19], v[48:49], v[18:19] op_sel_hi:[1,0]
	s_waitcnt vmcnt(12)
	v_pk_fma_f32 v[20:21], v[48:49], v[58:59], v[18:19] op_sel:[0,0,1] op_sel_hi:[1,1,0] neg_lo:[0,0,1] neg_hi:[0,0,1]
	v_pk_fma_f32 v[18:19], v[48:49], v[58:59], v[18:19] op_sel:[0,0,1] op_sel_hi:[1,0,0]
	v_mov_b32_e32 v18, v57
	v_mov_b32_e32 v21, v19
	s_waitcnt lgkmcnt(3)
	v_pk_mul_f32 v[18:19], v[50:51], v[18:19] op_sel_hi:[1,0]
	v_pk_add_f32 v[16:17], v[16:17], v[20:21]
	v_pk_fma_f32 v[20:21], v[50:51], v[56:57], v[18:19] op_sel:[0,0,1] op_sel_hi:[1,1,0] neg_lo:[0,0,1] neg_hi:[0,0,1]
	v_pk_fma_f32 v[18:19], v[50:51], v[56:57], v[18:19] op_sel:[0,0,1] op_sel_hi:[1,0,0]
	s_waitcnt vmcnt(5)
	v_mov_b32_e32 v18, v71
	v_mov_b32_e32 v21, v19
	v_pk_mul_f32 v[18:19], v[52:53], v[18:19] op_sel_hi:[1,0]
	v_pk_add_f32 v[16:17], v[16:17], v[20:21]
	s_waitcnt vmcnt(4)
	v_pk_fma_f32 v[20:21], v[52:53], v[70:71], v[18:19] op_sel:[0,0,1] op_sel_hi:[1,1,0] neg_lo:[0,0,1] neg_hi:[0,0,1]
	v_pk_fma_f32 v[18:19], v[52:53], v[70:71], v[18:19] op_sel:[0,0,1] op_sel_hi:[1,0,0]
	v_mov_b32_e32 v18, v69
	v_mov_b32_e32 v21, v19
	s_waitcnt lgkmcnt(2)
	v_pk_mul_f32 v[18:19], v[6:7], v[18:19] op_sel_hi:[1,0]
	v_pk_add_f32 v[16:17], v[16:17], v[20:21]
	v_pk_fma_f32 v[20:21], v[6:7], v[68:69], v[18:19] op_sel:[0,0,1] op_sel_hi:[1,1,0] neg_lo:[0,0,1] neg_hi:[0,0,1]
	v_pk_fma_f32 v[6:7], v[6:7], v[68:69], v[18:19] op_sel:[0,0,1] op_sel_hi:[1,0,0]
	v_mov_b32_e32 v21, v7
	v_pk_add_f32 v[6:7], v[16:17], v[20:21]
	v_mov_b32_e32 v16, v67
	v_pk_mul_f32 v[16:17], v[8:9], v[16:17] op_sel_hi:[1,0]
	v_pk_fma_f32 v[18:19], v[8:9], v[66:67], v[16:17] op_sel:[0,0,1] op_sel_hi:[1,1,0] neg_lo:[0,0,1] neg_hi:[0,0,1]
	v_pk_fma_f32 v[8:9], v[8:9], v[66:67], v[16:17] op_sel:[0,0,1] op_sel_hi:[1,0,0]
	v_mov_b32_e32 v8, v65
	v_mov_b32_e32 v19, v9
	s_waitcnt lgkmcnt(1)
	v_pk_mul_f32 v[8:9], v[10:11], v[8:9] op_sel_hi:[1,0]
	v_pk_fma_f32 v[16:17], v[10:11], v[64:65], v[8:9] op_sel:[0,0,1] op_sel_hi:[1,1,0] neg_lo:[0,0,1] neg_hi:[0,0,1]
	v_pk_fma_f32 v[8:9], v[10:11], v[64:65], v[8:9] op_sel:[0,0,1] op_sel_hi:[1,0,0]
	s_waitcnt vmcnt(1)
	v_mov_b32_e32 v8, v75
	v_mov_b32_e32 v17, v9
	v_pk_mul_f32 v[8:9], v[12:13], v[8:9] op_sel_hi:[1,0]
	s_waitcnt vmcnt(0)
	v_pk_fma_f32 v[10:11], v[12:13], v[74:75], v[8:9] op_sel:[0,0,1] op_sel_hi:[1,1,0] neg_lo:[0,0,1] neg_hi:[0,0,1]
	v_pk_fma_f32 v[8:9], v[12:13], v[74:75], v[8:9] op_sel:[0,0,1] op_sel_hi:[1,0,0]
	v_pk_add_f32 v[6:7], v[6:7], v[18:19]
	v_mov_b32_e32 v8, v73
	v_pk_add_f32 v[6:7], v[6:7], v[16:17]
	v_mov_b32_e32 v11, v9
	s_waitcnt lgkmcnt(0)
	v_pk_mul_f32 v[8:9], v[14:15], v[8:9] op_sel_hi:[1,0]
	v_pk_add_f32 v[6:7], v[6:7], v[10:11]
	v_pk_fma_f32 v[10:11], v[14:15], v[72:73], v[8:9] op_sel:[0,0,1] op_sel_hi:[1,1,0] neg_lo:[0,0,1] neg_hi:[0,0,1]
	v_pk_fma_f32 v[8:9], v[14:15], v[72:73], v[8:9] op_sel:[0,0,1] op_sel_hi:[1,0,0]
	v_mov_b32_e32 v11, v9
	v_pk_add_f32 v[6:7], v[6:7], v[10:11]
	v_pk_add_f32 v[2:3], v[2:3], v[6:7] neg_lo:[0,1] neg_hi:[0,1]
	buffer_store_dword v3, off, s[0:3], 0 offset:228
	buffer_store_dword v2, off, s[0:3], 0 offset:224
	s_and_saveexec_b64 s[4:5], vcc
	s_cbranch_execz .LBB57_307
; %bb.306:
	buffer_load_dword v2, off, s[0:3], 0 offset:216
	buffer_load_dword v3, off, s[0:3], 0 offset:220
	s_waitcnt vmcnt(0)
	ds_write_b64 v175, v[2:3]
	buffer_store_dword v4, off, s[0:3], 0 offset:216
	buffer_store_dword v4, off, s[0:3], 0 offset:220
.LBB57_307:
	s_or_b64 exec, exec, s[4:5]
	s_waitcnt lgkmcnt(0)
	; wave barrier
	s_waitcnt lgkmcnt(0)
	buffer_load_dword v5, off, s[0:3], 0 offset:228
	buffer_load_dword v56, off, s[0:3], 0 offset:236
	;; [unrolled: 1-line block ×46, first 2 shown]
	ds_read_b128 v[6:9], v4 offset:688
	ds_read_b128 v[10:13], v4 offset:704
	;; [unrolled: 1-line block ×8, first 2 shown]
	v_cmp_lt_u32_e32 vcc, 26, v0
	s_waitcnt vmcnt(45) lgkmcnt(7)
	v_mul_f32_e32 v38, v6, v5
	s_waitcnt vmcnt(44)
	v_mul_f32_e32 v39, v8, v56
	s_waitcnt vmcnt(43) lgkmcnt(6)
	v_mul_f32_e32 v40, v10, v58
	s_waitcnt vmcnt(42)
	v_mul_f32_e32 v41, v12, v60
	;; [unrolled: 4-line block ×6, first 2 shown]
	s_waitcnt vmcnt(33) lgkmcnt(1)
	v_mul_f32_e32 v50, v30, v84
	s_waitcnt vmcnt(32)
	v_fmac_f32_e32 v38, v7, v85
	s_waitcnt vmcnt(31)
	v_fmac_f32_e32 v39, v9, v86
	v_add_f32_e32 v38, 0, v38
	s_waitcnt vmcnt(30)
	v_fmac_f32_e32 v40, v11, v87
	v_add_f32_e32 v38, v38, v39
	;; [unrolled: 3-line block ×12, first 2 shown]
	s_waitcnt vmcnt(19)
	v_mul_f32_e32 v39, v32, v98
	v_add_f32_e32 v38, v38, v50
	s_waitcnt vmcnt(18)
	v_fmac_f32_e32 v39, v33, v99
	v_add_f32_e32 v38, v38, v39
	s_waitcnt vmcnt(17) lgkmcnt(0)
	v_mul_f32_e32 v39, v34, v100
	s_waitcnt vmcnt(16)
	v_fmac_f32_e32 v39, v35, v101
	v_add_f32_e32 v42, v38, v39
	ds_read_b128 v[38:41], v4 offset:816
	s_waitcnt vmcnt(15)
	v_mul_f32_e32 v43, v36, v102
	s_waitcnt vmcnt(14)
	v_fmac_f32_e32 v43, v37, v103
	v_add_f32_e32 v46, v42, v43
	ds_read_b128 v[42:45], v4 offset:832
	buffer_load_dword v55, off, s[0:3], 0 offset:404
	buffer_load_dword v54, off, s[0:3], 0 offset:400
	s_waitcnt vmcnt(15) lgkmcnt(1)
	v_mul_f32_e32 v47, v38, v104
	s_waitcnt vmcnt(14)
	v_fmac_f32_e32 v47, v39, v105
	v_add_f32_e32 v46, v46, v47
	s_waitcnt vmcnt(13)
	v_mul_f32_e32 v47, v40, v106
	s_waitcnt vmcnt(12)
	v_fmac_f32_e32 v47, v41, v107
	v_add_f32_e32 v46, v46, v47
	s_waitcnt vmcnt(11) lgkmcnt(0)
	v_mul_f32_e32 v47, v42, v108
	s_waitcnt vmcnt(10)
	v_fmac_f32_e32 v47, v43, v109
	s_waitcnt vmcnt(9)
	v_mul_f32_e32 v51, v44, v110
	v_add_f32_e32 v50, v46, v47
	s_waitcnt vmcnt(8)
	v_fmac_f32_e32 v51, v45, v111
	ds_read_b128 v[46:49], v4 offset:848
	v_add_f32_e32 v57, v50, v51
	ds_read_b128 v[50:53], v4 offset:864
	buffer_load_dword v63, off, s[0:3], 0 offset:436
	buffer_load_dword v62, off, s[0:3], 0 offset:432
	;; [unrolled: 1-line block ×14, first 2 shown]
	v_mul_f32_e32 v5, v7, v5
	v_fma_f32 v5, v6, v85, -v5
	v_mul_f32_e32 v6, v9, v56
	v_add_f32_e32 v5, 0, v5
	v_fma_f32 v6, v8, v86, -v6
	v_add_f32_e32 v5, v5, v6
	v_mul_f32_e32 v6, v11, v58
	v_fma_f32 v6, v10, v87, -v6
	v_add_f32_e32 v5, v5, v6
	v_mul_f32_e32 v6, v13, v60
	;; [unrolled: 3-line block ×18, first 2 shown]
	v_fma_f32 v6, v44, v111, -v6
	s_waitcnt vmcnt(21) lgkmcnt(1)
	v_mul_f32_e32 v59, v46, v112
	v_add_f32_e32 v56, v5, v6
	v_mul_f32_e32 v5, v47, v112
	s_waitcnt vmcnt(20)
	v_fmac_f32_e32 v59, v47, v113
	s_waitcnt vmcnt(15)
	v_mov_b32_e32 v18, v55
	s_waitcnt lgkmcnt(0)
	v_pk_mul_f32 v[18:19], v[50:51], v[18:19] op_sel_hi:[1,0]
	v_mul_f32_e32 v61, v48, v114
	v_fma_f32 v58, v46, v113, -v5
	v_mul_f32_e32 v5, v49, v114
	s_waitcnt vmcnt(14)
	v_pk_fma_f32 v[20:21], v[50:51], v[54:55], v[18:19] op_sel:[0,0,1] op_sel_hi:[1,1,0] neg_lo:[0,0,1] neg_hi:[0,0,1]
	v_pk_fma_f32 v[18:19], v[50:51], v[54:55], v[18:19] op_sel:[0,0,1] op_sel_hi:[1,0,0]
	v_fmac_f32_e32 v61, v49, v115
	v_fma_f32 v60, v48, v115, -v5
	ds_read_b128 v[6:9], v4 offset:880
	ds_read_b128 v[10:13], v4 offset:896
	;; [unrolled: 1-line block ×3, first 2 shown]
	v_pk_add_f32 v[4:5], v[56:57], v[58:59]
	s_waitcnt vmcnt(7)
	v_mov_b32_e32 v18, v69
	v_pk_add_f32 v[4:5], v[4:5], v[60:61]
	v_mov_b32_e32 v21, v19
	v_pk_mul_f32 v[18:19], v[52:53], v[18:19] op_sel_hi:[1,0]
	v_pk_add_f32 v[4:5], v[4:5], v[20:21]
	s_waitcnt vmcnt(6)
	v_pk_fma_f32 v[20:21], v[52:53], v[68:69], v[18:19] op_sel:[0,0,1] op_sel_hi:[1,1,0] neg_lo:[0,0,1] neg_hi:[0,0,1]
	v_pk_fma_f32 v[18:19], v[52:53], v[68:69], v[18:19] op_sel:[0,0,1] op_sel_hi:[1,0,0]
	v_mov_b32_e32 v18, v67
	v_mov_b32_e32 v21, v19
	s_waitcnt lgkmcnt(2)
	v_pk_mul_f32 v[18:19], v[6:7], v[18:19] op_sel_hi:[1,0]
	v_pk_add_f32 v[4:5], v[4:5], v[20:21]
	v_pk_fma_f32 v[20:21], v[6:7], v[66:67], v[18:19] op_sel:[0,0,1] op_sel_hi:[1,1,0] neg_lo:[0,0,1] neg_hi:[0,0,1]
	v_pk_fma_f32 v[6:7], v[6:7], v[66:67], v[18:19] op_sel:[0,0,1] op_sel_hi:[1,0,0]
	v_mov_b32_e32 v6, v65
	v_mov_b32_e32 v21, v7
	v_pk_mul_f32 v[6:7], v[8:9], v[6:7] op_sel_hi:[1,0]
	v_pk_fma_f32 v[18:19], v[8:9], v[64:65], v[6:7] op_sel:[0,0,1] op_sel_hi:[1,1,0] neg_lo:[0,0,1] neg_hi:[0,0,1]
	v_pk_fma_f32 v[6:7], v[8:9], v[64:65], v[6:7] op_sel:[0,0,1] op_sel_hi:[1,0,0]
	v_mov_b32_e32 v6, v63
	v_mov_b32_e32 v19, v7
	s_waitcnt lgkmcnt(1)
	v_pk_mul_f32 v[6:7], v[10:11], v[6:7] op_sel_hi:[1,0]
	v_pk_fma_f32 v[8:9], v[10:11], v[62:63], v[6:7] op_sel:[0,0,1] op_sel_hi:[1,1,0] neg_lo:[0,0,1] neg_hi:[0,0,1]
	v_pk_fma_f32 v[6:7], v[10:11], v[62:63], v[6:7] op_sel:[0,0,1] op_sel_hi:[1,0,0]
	v_pk_add_f32 v[4:5], v[4:5], v[20:21]
	s_waitcnt vmcnt(1)
	v_mov_b32_e32 v6, v75
	v_pk_add_f32 v[4:5], v[4:5], v[18:19]
	v_mov_b32_e32 v9, v7
	v_pk_mul_f32 v[6:7], v[12:13], v[6:7] op_sel_hi:[1,0]
	v_pk_add_f32 v[4:5], v[4:5], v[8:9]
	s_waitcnt vmcnt(0)
	v_pk_fma_f32 v[8:9], v[12:13], v[74:75], v[6:7] op_sel:[0,0,1] op_sel_hi:[1,1,0] neg_lo:[0,0,1] neg_hi:[0,0,1]
	v_pk_fma_f32 v[6:7], v[12:13], v[74:75], v[6:7] op_sel:[0,0,1] op_sel_hi:[1,0,0]
	v_mov_b32_e32 v6, v73
	v_mov_b32_e32 v9, v7
	s_waitcnt lgkmcnt(0)
	v_pk_mul_f32 v[6:7], v[14:15], v[6:7] op_sel_hi:[1,0]
	v_pk_add_f32 v[4:5], v[4:5], v[8:9]
	v_pk_fma_f32 v[8:9], v[14:15], v[72:73], v[6:7] op_sel:[0,0,1] op_sel_hi:[1,1,0] neg_lo:[0,0,1] neg_hi:[0,0,1]
	v_pk_fma_f32 v[6:7], v[14:15], v[72:73], v[6:7] op_sel:[0,0,1] op_sel_hi:[1,0,0]
	v_mov_b32_e32 v6, v71
	v_mov_b32_e32 v9, v7
	v_pk_mul_f32 v[6:7], v[16:17], v[6:7] op_sel_hi:[1,0]
	v_pk_add_f32 v[4:5], v[4:5], v[8:9]
	v_pk_fma_f32 v[8:9], v[16:17], v[70:71], v[6:7] op_sel:[0,0,1] op_sel_hi:[1,1,0] neg_lo:[0,0,1] neg_hi:[0,0,1]
	v_pk_fma_f32 v[6:7], v[16:17], v[70:71], v[6:7] op_sel:[0,0,1] op_sel_hi:[1,0,0]
	v_mov_b32_e32 v9, v7
	v_pk_add_f32 v[4:5], v[4:5], v[8:9]
	v_pk_add_f32 v[2:3], v[2:3], v[4:5] neg_lo:[0,1] neg_hi:[0,1]
	buffer_store_dword v3, off, s[0:3], 0 offset:220
	buffer_store_dword v2, off, s[0:3], 0 offset:216
	s_and_saveexec_b64 s[4:5], vcc
	s_cbranch_execz .LBB57_309
; %bb.308:
	buffer_load_dword v2, off, s[0:3], 0 offset:208
	buffer_load_dword v3, off, s[0:3], 0 offset:212
	v_mov_b32_e32 v4, 0
	buffer_store_dword v4, off, s[0:3], 0 offset:208
	buffer_store_dword v4, off, s[0:3], 0 offset:212
	s_waitcnt vmcnt(2)
	ds_write_b64 v175, v[2:3]
.LBB57_309:
	s_or_b64 exec, exec, s[4:5]
	s_waitcnt lgkmcnt(0)
	; wave barrier
	s_waitcnt lgkmcnt(0)
	buffer_load_dword v5, off, s[0:3], 0 offset:220
	buffer_load_dword v54, off, s[0:3], 0 offset:228
	buffer_load_dword v56, off, s[0:3], 0 offset:236
	buffer_load_dword v58, off, s[0:3], 0 offset:244
	buffer_load_dword v76, off, s[0:3], 0 offset:252
	buffer_load_dword v77, off, s[0:3], 0 offset:260
	buffer_load_dword v78, off, s[0:3], 0 offset:268
	buffer_load_dword v79, off, s[0:3], 0 offset:276
	buffer_load_dword v80, off, s[0:3], 0 offset:284
	buffer_load_dword v81, off, s[0:3], 0 offset:292
	buffer_load_dword v82, off, s[0:3], 0 offset:300
	buffer_load_dword v83, off, s[0:3], 0 offset:308
	buffer_load_dword v84, off, s[0:3], 0 offset:216
	buffer_load_dword v85, off, s[0:3], 0 offset:224
	buffer_load_dword v86, off, s[0:3], 0 offset:232
	buffer_load_dword v87, off, s[0:3], 0 offset:240
	buffer_load_dword v88, off, s[0:3], 0 offset:248
	buffer_load_dword v89, off, s[0:3], 0 offset:256
	buffer_load_dword v90, off, s[0:3], 0 offset:264
	buffer_load_dword v91, off, s[0:3], 0 offset:272
	buffer_load_dword v92, off, s[0:3], 0 offset:280
	buffer_load_dword v93, off, s[0:3], 0 offset:288
	buffer_load_dword v94, off, s[0:3], 0 offset:296
	buffer_load_dword v95, off, s[0:3], 0 offset:304
	buffer_load_dword v96, off, s[0:3], 0 offset:316
	buffer_load_dword v97, off, s[0:3], 0 offset:312
	buffer_load_dword v98, off, s[0:3], 0 offset:324
	buffer_load_dword v99, off, s[0:3], 0 offset:320
	buffer_load_dword v100, off, s[0:3], 0 offset:332
	buffer_load_dword v101, off, s[0:3], 0 offset:328
	buffer_load_dword v102, off, s[0:3], 0 offset:340
	buffer_load_dword v103, off, s[0:3], 0 offset:336
	buffer_load_dword v104, off, s[0:3], 0 offset:348
	buffer_load_dword v105, off, s[0:3], 0 offset:344
	buffer_load_dword v106, off, s[0:3], 0 offset:356
	buffer_load_dword v107, off, s[0:3], 0 offset:352
	buffer_load_dword v108, off, s[0:3], 0 offset:364
	buffer_load_dword v109, off, s[0:3], 0 offset:360
	buffer_load_dword v110, off, s[0:3], 0 offset:372
	buffer_load_dword v111, off, s[0:3], 0 offset:368
	buffer_load_dword v112, off, s[0:3], 0 offset:376
	buffer_load_dword v113, off, s[0:3], 0 offset:380
	buffer_load_dword v2, off, s[0:3], 0 offset:208
	buffer_load_dword v3, off, s[0:3], 0 offset:212
	buffer_load_dword v114, off, s[0:3], 0 offset:388
	buffer_load_dword v115, off, s[0:3], 0 offset:384
	buffer_load_dword v116, off, s[0:3], 0 offset:396
	buffer_load_dword v117, off, s[0:3], 0 offset:392
	v_mov_b32_e32 v4, 0
	ds_read2_b64 v[6:9], v4 offset0:85 offset1:86
	ds_read2_b64 v[10:13], v4 offset0:87 offset1:88
	ds_read2_b64 v[14:17], v4 offset0:89 offset1:90
	ds_read2_b64 v[18:21], v4 offset0:91 offset1:92
	ds_read2_b64 v[22:25], v4 offset0:93 offset1:94
	ds_read2_b64 v[26:29], v4 offset0:95 offset1:96
	v_cmp_lt_u32_e32 vcc, 25, v0
	s_waitcnt vmcnt(47) lgkmcnt(5)
	v_mul_f32_e32 v30, v6, v5
	s_waitcnt vmcnt(46)
	v_mul_f32_e32 v31, v8, v54
	s_waitcnt vmcnt(45) lgkmcnt(4)
	v_mul_f32_e32 v32, v10, v56
	s_waitcnt vmcnt(44)
	v_mul_f32_e32 v33, v12, v58
	;; [unrolled: 4-line block ×6, first 2 shown]
	s_waitcnt vmcnt(35)
	v_fmac_f32_e32 v30, v7, v84
	s_waitcnt vmcnt(34)
	v_fmac_f32_e32 v31, v9, v85
	v_add_f32_e32 v30, 0, v30
	s_waitcnt vmcnt(33)
	v_fmac_f32_e32 v32, v11, v86
	v_add_f32_e32 v30, v30, v31
	;; [unrolled: 3-line block ×8, first 2 shown]
	v_add_f32_e32 v34, v30, v38
	ds_read2_b64 v[30:33], v4 offset0:97 offset1:98
	s_waitcnt vmcnt(26)
	v_fmac_f32_e32 v39, v25, v93
	s_waitcnt vmcnt(25)
	v_fmac_f32_e32 v40, v27, v94
	v_add_f32_e32 v34, v34, v39
	s_waitcnt vmcnt(24)
	v_fmac_f32_e32 v41, v29, v95
	v_add_f32_e32 v34, v34, v40
	v_add_f32_e32 v38, v34, v41
	ds_read2_b64 v[34:37], v4 offset0:99 offset1:100
	s_waitcnt vmcnt(23) lgkmcnt(1)
	v_mul_f32_e32 v39, v30, v96
	s_waitcnt vmcnt(22)
	v_fmac_f32_e32 v39, v31, v97
	v_add_f32_e32 v38, v38, v39
	s_waitcnt vmcnt(21)
	v_mul_f32_e32 v39, v32, v98
	s_waitcnt vmcnt(20)
	v_fmac_f32_e32 v39, v33, v99
	v_add_f32_e32 v38, v38, v39
	s_waitcnt vmcnt(19) lgkmcnt(0)
	v_mul_f32_e32 v39, v34, v100
	s_waitcnt vmcnt(18)
	v_fmac_f32_e32 v39, v35, v101
	v_add_f32_e32 v42, v38, v39
	ds_read2_b64 v[38:41], v4 offset0:101 offset1:102
	s_waitcnt vmcnt(17)
	v_mul_f32_e32 v43, v36, v102
	s_waitcnt vmcnt(16)
	v_fmac_f32_e32 v43, v37, v103
	v_add_f32_e32 v46, v42, v43
	ds_read2_b64 v[42:45], v4 offset0:103 offset1:104
	s_waitcnt vmcnt(15) lgkmcnt(1)
	v_mul_f32_e32 v47, v38, v104
	s_waitcnt vmcnt(14)
	v_fmac_f32_e32 v47, v39, v105
	v_add_f32_e32 v46, v46, v47
	s_waitcnt vmcnt(13)
	v_mul_f32_e32 v47, v40, v106
	s_waitcnt vmcnt(12)
	v_fmac_f32_e32 v47, v41, v107
	v_add_f32_e32 v46, v46, v47
	s_waitcnt vmcnt(11) lgkmcnt(0)
	v_mul_f32_e32 v47, v42, v108
	s_waitcnt vmcnt(10)
	v_fmac_f32_e32 v47, v43, v109
	s_waitcnt vmcnt(9)
	v_mul_f32_e32 v51, v44, v110
	v_add_f32_e32 v50, v46, v47
	s_waitcnt vmcnt(8)
	v_fmac_f32_e32 v51, v45, v111
	ds_read2_b64 v[46:49], v4 offset0:105 offset1:106
	v_add_f32_e32 v55, v50, v51
	ds_read2_b64 v[50:53], v4 offset0:107 offset1:108
	buffer_load_dword v61, off, s[0:3], 0 offset:428
	buffer_load_dword v60, off, s[0:3], 0 offset:424
	;; [unrolled: 1-line block ×16, first 2 shown]
	v_mul_f32_e32 v5, v7, v5
	v_fma_f32 v5, v6, v84, -v5
	v_mul_f32_e32 v6, v9, v54
	v_add_f32_e32 v5, 0, v5
	v_fma_f32 v6, v8, v85, -v6
	v_add_f32_e32 v5, v5, v6
	v_mul_f32_e32 v6, v11, v56
	v_fma_f32 v6, v10, v86, -v6
	v_add_f32_e32 v5, v5, v6
	v_mul_f32_e32 v6, v13, v58
	;; [unrolled: 3-line block ×18, first 2 shown]
	v_fma_f32 v6, v44, v111, -v6
	s_waitcnt vmcnt(22) lgkmcnt(1)
	v_mul_f32_e32 v57, v46, v113
	v_add_f32_e32 v5, v5, v6
	v_mul_f32_e32 v6, v47, v113
	v_fmac_f32_e32 v57, v47, v112
	v_fma_f32 v6, v46, v112, -v6
	v_add_f32_e32 v55, v55, v57
	s_waitcnt vmcnt(19)
	v_mul_f32_e32 v57, v48, v114
	v_add_f32_e32 v54, v5, v6
	v_mul_f32_e32 v5, v49, v114
	s_waitcnt vmcnt(18)
	v_fmac_f32_e32 v57, v49, v115
	s_waitcnt vmcnt(17) lgkmcnt(0)
	v_mul_f32_e32 v59, v50, v116
	s_waitcnt vmcnt(9)
	v_mov_b32_e32 v22, v67
	v_pk_mul_f32 v[22:23], v[52:53], v[22:23] op_sel_hi:[1,0]
	v_fma_f32 v56, v48, v115, -v5
	v_mul_f32_e32 v5, v51, v116
	ds_read2_b64 v[6:9], v4 offset0:109 offset1:110
	ds_read2_b64 v[10:13], v4 offset0:111 offset1:112
	;; [unrolled: 1-line block ×3, first 2 shown]
	ds_read_b64 v[18:19], v4 offset:920
	s_waitcnt vmcnt(8)
	v_pk_fma_f32 v[24:25], v[52:53], v[66:67], v[22:23] op_sel:[0,0,1] op_sel_hi:[1,1,0] neg_lo:[0,0,1] neg_hi:[0,0,1]
	v_pk_fma_f32 v[22:23], v[52:53], v[66:67], v[22:23] op_sel:[0,0,1] op_sel_hi:[1,0,0]
	v_fmac_f32_e32 v59, v51, v117
	v_fma_f32 v58, v50, v117, -v5
	v_pk_add_f32 v[20:21], v[54:55], v[56:57]
	v_mov_b32_e32 v22, v65
	v_pk_add_f32 v[20:21], v[20:21], v[58:59]
	v_mov_b32_e32 v25, v23
	s_waitcnt lgkmcnt(3)
	v_pk_mul_f32 v[22:23], v[6:7], v[22:23] op_sel_hi:[1,0]
	v_pk_add_f32 v[20:21], v[20:21], v[24:25]
	v_pk_fma_f32 v[24:25], v[6:7], v[64:65], v[22:23] op_sel:[0,0,1] op_sel_hi:[1,1,0] neg_lo:[0,0,1] neg_hi:[0,0,1]
	v_pk_fma_f32 v[6:7], v[6:7], v[64:65], v[22:23] op_sel:[0,0,1] op_sel_hi:[1,0,0]
	v_mov_b32_e32 v25, v7
	v_pk_add_f32 v[6:7], v[20:21], v[24:25]
	v_mov_b32_e32 v20, v63
	v_pk_mul_f32 v[20:21], v[8:9], v[20:21] op_sel_hi:[1,0]
	v_pk_fma_f32 v[22:23], v[8:9], v[62:63], v[20:21] op_sel:[0,0,1] op_sel_hi:[1,1,0] neg_lo:[0,0,1] neg_hi:[0,0,1]
	v_pk_fma_f32 v[8:9], v[8:9], v[62:63], v[20:21] op_sel:[0,0,1] op_sel_hi:[1,0,0]
	v_mov_b32_e32 v8, v61
	v_mov_b32_e32 v23, v9
	s_waitcnt lgkmcnt(2)
	v_pk_mul_f32 v[8:9], v[10:11], v[8:9] op_sel_hi:[1,0]
	v_pk_fma_f32 v[20:21], v[10:11], v[60:61], v[8:9] op_sel:[0,0,1] op_sel_hi:[1,1,0] neg_lo:[0,0,1] neg_hi:[0,0,1]
	v_pk_fma_f32 v[8:9], v[10:11], v[60:61], v[8:9] op_sel:[0,0,1] op_sel_hi:[1,0,0]
	s_waitcnt vmcnt(1)
	v_mov_b32_e32 v8, v75
	v_mov_b32_e32 v21, v9
	v_pk_mul_f32 v[8:9], v[12:13], v[8:9] op_sel_hi:[1,0]
	s_waitcnt vmcnt(0)
	v_pk_fma_f32 v[10:11], v[12:13], v[74:75], v[8:9] op_sel:[0,0,1] op_sel_hi:[1,1,0] neg_lo:[0,0,1] neg_hi:[0,0,1]
	v_pk_fma_f32 v[8:9], v[12:13], v[74:75], v[8:9] op_sel:[0,0,1] op_sel_hi:[1,0,0]
	v_pk_add_f32 v[6:7], v[6:7], v[22:23]
	v_mov_b32_e32 v8, v73
	v_pk_add_f32 v[6:7], v[6:7], v[20:21]
	v_mov_b32_e32 v11, v9
	s_waitcnt lgkmcnt(1)
	v_pk_mul_f32 v[8:9], v[14:15], v[8:9] op_sel_hi:[1,0]
	v_pk_add_f32 v[6:7], v[6:7], v[10:11]
	v_pk_fma_f32 v[10:11], v[14:15], v[72:73], v[8:9] op_sel:[0,0,1] op_sel_hi:[1,1,0] neg_lo:[0,0,1] neg_hi:[0,0,1]
	v_pk_fma_f32 v[8:9], v[14:15], v[72:73], v[8:9] op_sel:[0,0,1] op_sel_hi:[1,0,0]
	v_mov_b32_e32 v8, v71
	v_mov_b32_e32 v11, v9
	v_pk_mul_f32 v[8:9], v[16:17], v[8:9] op_sel_hi:[1,0]
	v_pk_add_f32 v[6:7], v[6:7], v[10:11]
	v_pk_fma_f32 v[10:11], v[16:17], v[70:71], v[8:9] op_sel:[0,0,1] op_sel_hi:[1,1,0] neg_lo:[0,0,1] neg_hi:[0,0,1]
	v_pk_fma_f32 v[8:9], v[16:17], v[70:71], v[8:9] op_sel:[0,0,1] op_sel_hi:[1,0,0]
	v_mov_b32_e32 v8, v69
	v_mov_b32_e32 v11, v9
	s_waitcnt lgkmcnt(0)
	v_pk_mul_f32 v[8:9], v[18:19], v[8:9] op_sel_hi:[1,0]
	v_pk_add_f32 v[6:7], v[6:7], v[10:11]
	v_pk_fma_f32 v[10:11], v[18:19], v[68:69], v[8:9] op_sel:[0,0,1] op_sel_hi:[1,1,0] neg_lo:[0,0,1] neg_hi:[0,0,1]
	v_pk_fma_f32 v[8:9], v[18:19], v[68:69], v[8:9] op_sel:[0,0,1] op_sel_hi:[1,0,0]
	v_mov_b32_e32 v11, v9
	v_pk_add_f32 v[6:7], v[6:7], v[10:11]
	v_pk_add_f32 v[2:3], v[2:3], v[6:7] neg_lo:[0,1] neg_hi:[0,1]
	buffer_store_dword v3, off, s[0:3], 0 offset:212
	buffer_store_dword v2, off, s[0:3], 0 offset:208
	s_and_saveexec_b64 s[4:5], vcc
	s_cbranch_execz .LBB57_311
; %bb.310:
	buffer_load_dword v2, off, s[0:3], 0 offset:200
	buffer_load_dword v3, off, s[0:3], 0 offset:204
	s_waitcnt vmcnt(0)
	ds_write_b64 v175, v[2:3]
	buffer_store_dword v4, off, s[0:3], 0 offset:200
	buffer_store_dword v4, off, s[0:3], 0 offset:204
.LBB57_311:
	s_or_b64 exec, exec, s[4:5]
	s_waitcnt lgkmcnt(0)
	; wave barrier
	s_waitcnt lgkmcnt(0)
	buffer_load_dword v5, off, s[0:3], 0 offset:212
	buffer_load_dword v54, off, s[0:3], 0 offset:220
	;; [unrolled: 1-line block ×48, first 2 shown]
	ds_read_b128 v[6:9], v4 offset:672
	ds_read_b128 v[10:13], v4 offset:688
	;; [unrolled: 1-line block ×6, first 2 shown]
	buffer_load_dword v118, off, s[0:3], 0 offset:392
	buffer_load_dword v119, off, s[0:3], 0 offset:396
	v_cmp_lt_u32_e32 vcc, 24, v0
	s_waitcnt vmcnt(49) lgkmcnt(5)
	v_mul_f32_e32 v30, v6, v5
	s_waitcnt vmcnt(48)
	v_mul_f32_e32 v31, v8, v54
	s_waitcnt vmcnt(47) lgkmcnt(4)
	v_mul_f32_e32 v32, v10, v56
	s_waitcnt vmcnt(46)
	v_mul_f32_e32 v33, v12, v64
	s_waitcnt vmcnt(45) lgkmcnt(3)
	v_mul_f32_e32 v34, v14, v76
	s_waitcnt vmcnt(44)
	v_mul_f32_e32 v35, v16, v77
	s_waitcnt vmcnt(43) lgkmcnt(2)
	v_mul_f32_e32 v36, v18, v78
	s_waitcnt vmcnt(42)
	v_mul_f32_e32 v37, v20, v79
	s_waitcnt vmcnt(41) lgkmcnt(1)
	v_mul_f32_e32 v38, v22, v80
	s_waitcnt vmcnt(40)
	v_mul_f32_e32 v39, v24, v81
	s_waitcnt vmcnt(39) lgkmcnt(0)
	v_mul_f32_e32 v40, v26, v82
	s_waitcnt vmcnt(38)
	v_mul_f32_e32 v41, v28, v83
	s_waitcnt vmcnt(37)
	v_fmac_f32_e32 v30, v7, v84
	s_waitcnt vmcnt(36)
	v_fmac_f32_e32 v31, v9, v85
	v_add_f32_e32 v30, 0, v30
	s_waitcnt vmcnt(35)
	v_fmac_f32_e32 v32, v11, v86
	v_add_f32_e32 v30, v30, v31
	;; [unrolled: 3-line block ×9, first 2 shown]
	v_add_f32_e32 v34, v30, v39
	ds_read_b128 v[30:33], v4 offset:768
	s_waitcnt vmcnt(27)
	v_fmac_f32_e32 v40, v27, v94
	v_add_f32_e32 v34, v34, v40
	s_waitcnt vmcnt(26)
	v_fmac_f32_e32 v41, v29, v95
	v_add_f32_e32 v38, v34, v41
	ds_read_b128 v[34:37], v4 offset:784
	s_waitcnt vmcnt(25) lgkmcnt(1)
	v_mul_f32_e32 v39, v30, v96
	s_waitcnt vmcnt(24)
	v_fmac_f32_e32 v39, v31, v97
	v_add_f32_e32 v38, v38, v39
	s_waitcnt vmcnt(23)
	v_mul_f32_e32 v39, v32, v98
	s_waitcnt vmcnt(22)
	v_fmac_f32_e32 v39, v33, v99
	v_add_f32_e32 v38, v38, v39
	s_waitcnt vmcnt(21) lgkmcnt(0)
	v_mul_f32_e32 v39, v34, v100
	s_waitcnt vmcnt(20)
	v_fmac_f32_e32 v39, v35, v101
	v_add_f32_e32 v42, v38, v39
	ds_read_b128 v[38:41], v4 offset:800
	s_waitcnt vmcnt(19)
	v_mul_f32_e32 v43, v36, v102
	s_waitcnt vmcnt(18)
	v_fmac_f32_e32 v43, v37, v103
	v_add_f32_e32 v46, v42, v43
	ds_read_b128 v[42:45], v4 offset:816
	s_waitcnt vmcnt(17) lgkmcnt(1)
	v_mul_f32_e32 v47, v38, v104
	s_waitcnt vmcnt(16)
	v_fmac_f32_e32 v47, v39, v105
	v_add_f32_e32 v46, v46, v47
	s_waitcnt vmcnt(15)
	v_mul_f32_e32 v47, v40, v106
	s_waitcnt vmcnt(14)
	v_fmac_f32_e32 v47, v41, v107
	v_add_f32_e32 v46, v46, v47
	s_waitcnt vmcnt(13) lgkmcnt(0)
	v_mul_f32_e32 v47, v42, v108
	s_waitcnt vmcnt(12)
	v_fmac_f32_e32 v47, v43, v109
	s_waitcnt vmcnt(11)
	v_mul_f32_e32 v51, v44, v110
	v_add_f32_e32 v50, v46, v47
	s_waitcnt vmcnt(10)
	v_fmac_f32_e32 v51, v45, v111
	ds_read_b128 v[46:49], v4 offset:832
	v_add_f32_e32 v55, v50, v51
	ds_read_b128 v[50:53], v4 offset:848
	buffer_load_dword v59, off, s[0:3], 0 offset:420
	buffer_load_dword v58, off, s[0:3], 0 offset:416
	buffer_load_dword v61, off, s[0:3], 0 offset:412
	buffer_load_dword v60, off, s[0:3], 0 offset:408
	buffer_load_dword v63, off, s[0:3], 0 offset:404
	buffer_load_dword v62, off, s[0:3], 0 offset:400
	buffer_load_dword v67, off, s[0:3], 0 offset:452
	buffer_load_dword v66, off, s[0:3], 0 offset:448
	buffer_load_dword v69, off, s[0:3], 0 offset:444
	buffer_load_dword v68, off, s[0:3], 0 offset:440
	buffer_load_dword v71, off, s[0:3], 0 offset:436
	buffer_load_dword v70, off, s[0:3], 0 offset:432
	buffer_load_dword v73, off, s[0:3], 0 offset:428
	buffer_load_dword v72, off, s[0:3], 0 offset:424
	buffer_load_dword v75, off, s[0:3], 0 offset:460
	buffer_load_dword v74, off, s[0:3], 0 offset:456
	v_mul_f32_e32 v5, v7, v5
	v_fma_f32 v5, v6, v84, -v5
	v_mul_f32_e32 v6, v9, v54
	v_add_f32_e32 v5, 0, v5
	v_fma_f32 v6, v8, v85, -v6
	v_add_f32_e32 v5, v5, v6
	v_mul_f32_e32 v6, v11, v56
	v_fma_f32 v6, v10, v86, -v6
	v_add_f32_e32 v5, v5, v6
	v_mul_f32_e32 v6, v13, v64
	;; [unrolled: 3-line block ×18, first 2 shown]
	v_fma_f32 v6, v44, v111, -v6
	v_add_f32_e32 v5, v5, v6
	s_waitcnt vmcnt(23) lgkmcnt(1)
	v_mul_f32_e32 v6, v47, v112
	s_waitcnt vmcnt(22)
	v_fma_f32 v6, v46, v113, -v6
	v_add_f32_e32 v5, v5, v6
	s_waitcnt vmcnt(20)
	v_mul_f32_e32 v6, v49, v115
	v_fma_f32 v6, v48, v114, -v6
	v_add_f32_e32 v54, v5, v6
	ds_read_b128 v[6:9], v4 offset:864
	ds_read_b128 v[10:13], v4 offset:880
	;; [unrolled: 1-line block ×4, first 2 shown]
	v_mul_f32_e32 v57, v46, v112
	v_fmac_f32_e32 v57, v47, v113
	v_add_f32_e32 v55, v55, v57
	v_mul_f32_e32 v57, v48, v115
	v_fmac_f32_e32 v57, v49, v114
	v_add_f32_e32 v55, v55, v57
	s_waitcnt vmcnt(18) lgkmcnt(4)
	v_mul_f32_e32 v57, v50, v117
	v_mul_f32_e32 v5, v51, v117
	v_fmac_f32_e32 v57, v51, v116
	s_waitcnt vmcnt(16)
	v_mul_f32_e32 v65, v52, v119
	s_waitcnt vmcnt(11)
	v_mov_b32_e32 v22, v63
	s_waitcnt lgkmcnt(3)
	v_pk_mul_f32 v[22:23], v[6:7], v[22:23] op_sel_hi:[1,0]
	s_waitcnt vmcnt(10)
	v_pk_fma_f32 v[24:25], v[6:7], v[62:63], v[22:23] op_sel:[0,0,1] op_sel_hi:[1,1,0] neg_lo:[0,0,1] neg_hi:[0,0,1]
	v_pk_fma_f32 v[6:7], v[6:7], v[62:63], v[22:23] op_sel:[0,0,1] op_sel_hi:[1,0,0]
	v_mov_b32_e32 v6, v61
	v_mov_b32_e32 v25, v7
	v_pk_mul_f32 v[6:7], v[8:9], v[6:7] op_sel_hi:[1,0]
	v_pk_fma_f32 v[22:23], v[8:9], v[60:61], v[6:7] op_sel:[0,0,1] op_sel_hi:[1,1,0] neg_lo:[0,0,1] neg_hi:[0,0,1]
	v_pk_fma_f32 v[6:7], v[8:9], v[60:61], v[6:7] op_sel:[0,0,1] op_sel_hi:[1,0,0]
	v_fma_f32 v56, v50, v116, -v5
	v_mul_f32_e32 v5, v53, v119
	v_mov_b32_e32 v6, v59
	v_fmac_f32_e32 v65, v53, v118
	v_fma_f32 v64, v52, v118, -v5
	v_pk_add_f32 v[4:5], v[54:55], v[56:57]
	v_mov_b32_e32 v23, v7
	s_waitcnt lgkmcnt(2)
	v_pk_mul_f32 v[6:7], v[10:11], v[6:7] op_sel_hi:[1,0]
	v_pk_add_f32 v[4:5], v[4:5], v[64:65]
	v_pk_fma_f32 v[8:9], v[10:11], v[58:59], v[6:7] op_sel:[0,0,1] op_sel_hi:[1,1,0] neg_lo:[0,0,1] neg_hi:[0,0,1]
	v_pk_fma_f32 v[6:7], v[10:11], v[58:59], v[6:7] op_sel:[0,0,1] op_sel_hi:[1,0,0]
	v_pk_add_f32 v[4:5], v[4:5], v[24:25]
	s_waitcnt vmcnt(3)
	v_mov_b32_e32 v6, v73
	v_pk_add_f32 v[4:5], v[4:5], v[22:23]
	v_mov_b32_e32 v9, v7
	v_pk_mul_f32 v[6:7], v[12:13], v[6:7] op_sel_hi:[1,0]
	v_pk_add_f32 v[4:5], v[4:5], v[8:9]
	s_waitcnt vmcnt(2)
	v_pk_fma_f32 v[8:9], v[12:13], v[72:73], v[6:7] op_sel:[0,0,1] op_sel_hi:[1,1,0] neg_lo:[0,0,1] neg_hi:[0,0,1]
	v_pk_fma_f32 v[6:7], v[12:13], v[72:73], v[6:7] op_sel:[0,0,1] op_sel_hi:[1,0,0]
	v_mov_b32_e32 v6, v71
	v_mov_b32_e32 v9, v7
	s_waitcnt lgkmcnt(1)
	v_pk_mul_f32 v[6:7], v[14:15], v[6:7] op_sel_hi:[1,0]
	v_pk_add_f32 v[4:5], v[4:5], v[8:9]
	v_pk_fma_f32 v[8:9], v[14:15], v[70:71], v[6:7] op_sel:[0,0,1] op_sel_hi:[1,1,0] neg_lo:[0,0,1] neg_hi:[0,0,1]
	v_pk_fma_f32 v[6:7], v[14:15], v[70:71], v[6:7] op_sel:[0,0,1] op_sel_hi:[1,0,0]
	v_mov_b32_e32 v6, v69
	v_mov_b32_e32 v9, v7
	v_pk_mul_f32 v[6:7], v[16:17], v[6:7] op_sel_hi:[1,0]
	v_pk_add_f32 v[4:5], v[4:5], v[8:9]
	v_pk_fma_f32 v[8:9], v[16:17], v[68:69], v[6:7] op_sel:[0,0,1] op_sel_hi:[1,1,0] neg_lo:[0,0,1] neg_hi:[0,0,1]
	v_pk_fma_f32 v[6:7], v[16:17], v[68:69], v[6:7] op_sel:[0,0,1] op_sel_hi:[1,0,0]
	v_mov_b32_e32 v6, v67
	v_mov_b32_e32 v9, v7
	s_waitcnt lgkmcnt(0)
	v_pk_mul_f32 v[6:7], v[18:19], v[6:7] op_sel_hi:[1,0]
	v_pk_add_f32 v[4:5], v[4:5], v[8:9]
	v_pk_fma_f32 v[8:9], v[18:19], v[66:67], v[6:7] op_sel:[0,0,1] op_sel_hi:[1,1,0] neg_lo:[0,0,1] neg_hi:[0,0,1]
	v_pk_fma_f32 v[6:7], v[18:19], v[66:67], v[6:7] op_sel:[0,0,1] op_sel_hi:[1,0,0]
	s_waitcnt vmcnt(1)
	v_mov_b32_e32 v6, v75
	v_mov_b32_e32 v9, v7
	v_pk_mul_f32 v[6:7], v[20:21], v[6:7] op_sel_hi:[1,0]
	v_pk_add_f32 v[4:5], v[4:5], v[8:9]
	s_waitcnt vmcnt(0)
	v_pk_fma_f32 v[8:9], v[20:21], v[74:75], v[6:7] op_sel:[0,0,1] op_sel_hi:[1,1,0] neg_lo:[0,0,1] neg_hi:[0,0,1]
	v_pk_fma_f32 v[6:7], v[20:21], v[74:75], v[6:7] op_sel:[0,0,1] op_sel_hi:[1,0,0]
	v_mov_b32_e32 v9, v7
	v_pk_add_f32 v[4:5], v[4:5], v[8:9]
	v_pk_add_f32 v[2:3], v[2:3], v[4:5] neg_lo:[0,1] neg_hi:[0,1]
	buffer_store_dword v3, off, s[0:3], 0 offset:204
	buffer_store_dword v2, off, s[0:3], 0 offset:200
	s_and_saveexec_b64 s[4:5], vcc
	s_cbranch_execz .LBB57_313
; %bb.312:
	buffer_load_dword v2, off, s[0:3], 0 offset:192
	buffer_load_dword v3, off, s[0:3], 0 offset:196
	v_mov_b32_e32 v4, 0
	buffer_store_dword v4, off, s[0:3], 0 offset:192
	buffer_store_dword v4, off, s[0:3], 0 offset:196
	s_waitcnt vmcnt(2)
	ds_write_b64 v175, v[2:3]
.LBB57_313:
	s_or_b64 exec, exec, s[4:5]
	s_waitcnt lgkmcnt(0)
	; wave barrier
	s_waitcnt lgkmcnt(0)
	buffer_load_dword v5, off, s[0:3], 0 offset:204
	buffer_load_dword v62, off, s[0:3], 0 offset:212
	buffer_load_dword v68, off, s[0:3], 0 offset:220
	buffer_load_dword v70, off, s[0:3], 0 offset:228
	buffer_load_dword v84, off, s[0:3], 0 offset:236
	buffer_load_dword v85, off, s[0:3], 0 offset:244
	buffer_load_dword v86, off, s[0:3], 0 offset:252
	buffer_load_dword v87, off, s[0:3], 0 offset:260
	buffer_load_dword v88, off, s[0:3], 0 offset:268
	buffer_load_dword v89, off, s[0:3], 0 offset:276
	buffer_load_dword v90, off, s[0:3], 0 offset:284
	buffer_load_dword v91, off, s[0:3], 0 offset:200
	buffer_load_dword v92, off, s[0:3], 0 offset:208
	buffer_load_dword v93, off, s[0:3], 0 offset:216
	buffer_load_dword v94, off, s[0:3], 0 offset:224
	buffer_load_dword v95, off, s[0:3], 0 offset:232
	buffer_load_dword v96, off, s[0:3], 0 offset:240
	buffer_load_dword v97, off, s[0:3], 0 offset:248
	buffer_load_dword v98, off, s[0:3], 0 offset:256
	buffer_load_dword v99, off, s[0:3], 0 offset:264
	buffer_load_dword v100, off, s[0:3], 0 offset:272
	buffer_load_dword v101, off, s[0:3], 0 offset:280
	buffer_load_dword v102, off, s[0:3], 0 offset:292
	buffer_load_dword v103, off, s[0:3], 0 offset:288
	buffer_load_dword v104, off, s[0:3], 0 offset:300
	buffer_load_dword v105, off, s[0:3], 0 offset:296
	buffer_load_dword v106, off, s[0:3], 0 offset:308
	buffer_load_dword v107, off, s[0:3], 0 offset:304
	buffer_load_dword v108, off, s[0:3], 0 offset:316
	buffer_load_dword v109, off, s[0:3], 0 offset:312
	buffer_load_dword v110, off, s[0:3], 0 offset:324
	buffer_load_dword v111, off, s[0:3], 0 offset:320
	buffer_load_dword v112, off, s[0:3], 0 offset:332
	buffer_load_dword v113, off, s[0:3], 0 offset:328
	buffer_load_dword v114, off, s[0:3], 0 offset:340
	buffer_load_dword v115, off, s[0:3], 0 offset:336
	buffer_load_dword v116, off, s[0:3], 0 offset:344
	buffer_load_dword v117, off, s[0:3], 0 offset:348
	buffer_load_dword v2, off, s[0:3], 0 offset:192
	buffer_load_dword v3, off, s[0:3], 0 offset:196
	buffer_load_dword v118, off, s[0:3], 0 offset:352
	buffer_load_dword v119, off, s[0:3], 0 offset:356
	buffer_load_dword v120, off, s[0:3], 0 offset:360
	buffer_load_dword v121, off, s[0:3], 0 offset:364
	buffer_load_dword v122, off, s[0:3], 0 offset:368
	buffer_load_dword v123, off, s[0:3], 0 offset:372
	buffer_load_dword v124, off, s[0:3], 0 offset:376
	buffer_load_dword v125, off, s[0:3], 0 offset:380
	buffer_load_dword v126, off, s[0:3], 0 offset:384
	buffer_load_dword v127, off, s[0:3], 0 offset:388
	buffer_load_dword v128, off, s[0:3], 0 offset:392
	buffer_load_dword v129, off, s[0:3], 0 offset:396
	v_mov_b32_e32 v4, 0
	ds_read2_b64 v[6:9], v4 offset0:83 offset1:84
	ds_read2_b64 v[10:13], v4 offset0:85 offset1:86
	;; [unrolled: 1-line block ×6, first 2 shown]
	v_cmp_lt_u32_e32 vcc, 23, v0
	s_waitcnt vmcnt(51) lgkmcnt(5)
	v_mul_f32_e32 v30, v6, v5
	s_waitcnt vmcnt(50)
	v_mul_f32_e32 v31, v8, v62
	s_waitcnt vmcnt(49) lgkmcnt(4)
	v_mul_f32_e32 v32, v10, v68
	s_waitcnt vmcnt(48)
	v_mul_f32_e32 v33, v12, v70
	;; [unrolled: 4-line block ×5, first 2 shown]
	s_waitcnt vmcnt(41) lgkmcnt(0)
	v_mul_f32_e32 v40, v26, v90
	s_waitcnt vmcnt(40)
	v_fmac_f32_e32 v30, v7, v91
	s_waitcnt vmcnt(39)
	v_fmac_f32_e32 v31, v9, v92
	v_add_f32_e32 v30, 0, v30
	s_waitcnt vmcnt(38)
	v_fmac_f32_e32 v32, v11, v93
	v_add_f32_e32 v30, v30, v31
	;; [unrolled: 3-line block ×9, first 2 shown]
	v_add_f32_e32 v30, v30, v39
	s_waitcnt vmcnt(30)
	v_fmac_f32_e32 v40, v27, v101
	v_add_f32_e32 v34, v30, v40
	ds_read2_b64 v[30:33], v4 offset0:95 offset1:96
	s_waitcnt vmcnt(29)
	v_mul_f32_e32 v35, v28, v102
	s_waitcnt vmcnt(28)
	v_fmac_f32_e32 v35, v29, v103
	v_add_f32_e32 v38, v34, v35
	ds_read2_b64 v[34:37], v4 offset0:97 offset1:98
	s_waitcnt vmcnt(27) lgkmcnt(1)
	v_mul_f32_e32 v39, v30, v104
	s_waitcnt vmcnt(26)
	v_fmac_f32_e32 v39, v31, v105
	v_add_f32_e32 v38, v38, v39
	s_waitcnt vmcnt(25)
	v_mul_f32_e32 v39, v32, v106
	s_waitcnt vmcnt(24)
	v_fmac_f32_e32 v39, v33, v107
	v_add_f32_e32 v38, v38, v39
	s_waitcnt vmcnt(23) lgkmcnt(0)
	v_mul_f32_e32 v39, v34, v108
	s_waitcnt vmcnt(22)
	v_fmac_f32_e32 v39, v35, v109
	v_add_f32_e32 v42, v38, v39
	ds_read2_b64 v[38:41], v4 offset0:99 offset1:100
	s_waitcnt vmcnt(21)
	v_mul_f32_e32 v43, v36, v110
	s_waitcnt vmcnt(20)
	v_fmac_f32_e32 v43, v37, v111
	v_add_f32_e32 v46, v42, v43
	ds_read2_b64 v[42:45], v4 offset0:101 offset1:102
	s_waitcnt vmcnt(19) lgkmcnt(1)
	v_mul_f32_e32 v47, v38, v112
	s_waitcnt vmcnt(18)
	v_fmac_f32_e32 v47, v39, v113
	v_add_f32_e32 v46, v46, v47
	s_waitcnt vmcnt(17)
	v_mul_f32_e32 v47, v40, v114
	s_waitcnt vmcnt(16)
	v_fmac_f32_e32 v47, v41, v115
	v_add_f32_e32 v46, v46, v47
	s_waitcnt vmcnt(14) lgkmcnt(0)
	v_mul_f32_e32 v47, v42, v117
	v_fmac_f32_e32 v47, v43, v116
	v_add_f32_e32 v50, v46, v47
	ds_read2_b64 v[46:49], v4 offset0:103 offset1:104
	s_waitcnt vmcnt(10)
	v_mul_f32_e32 v51, v44, v119
	v_fmac_f32_e32 v51, v45, v118
	v_add_f32_e32 v54, v50, v51
	ds_read2_b64 v[50:53], v4 offset0:105 offset1:106
	s_waitcnt vmcnt(8) lgkmcnt(1)
	v_mul_f32_e32 v55, v46, v121
	v_fmac_f32_e32 v55, v47, v120
	v_add_f32_e32 v54, v54, v55
	s_waitcnt vmcnt(6)
	v_mul_f32_e32 v55, v48, v123
	v_fmac_f32_e32 v55, v49, v122
	v_add_f32_e32 v54, v54, v55
	s_waitcnt vmcnt(4) lgkmcnt(0)
	v_mul_f32_e32 v55, v50, v125
	v_fmac_f32_e32 v55, v51, v124
	v_add_f32_e32 v63, v54, v55
	ds_read2_b64 v[54:57], v4 offset0:107 offset1:108
	buffer_load_dword v65, off, s[0:3], 0 offset:412
	buffer_load_dword v64, off, s[0:3], 0 offset:408
	buffer_load_dword v67, off, s[0:3], 0 offset:404
	buffer_load_dword v66, off, s[0:3], 0 offset:400
	ds_read2_b64 v[58:61], v4 offset0:109 offset1:110
	buffer_load_dword v73, off, s[0:3], 0 offset:444
	buffer_load_dword v72, off, s[0:3], 0 offset:440
	;; [unrolled: 1-line block ×12, first 2 shown]
	v_mul_f32_e32 v5, v7, v5
	v_fma_f32 v5, v6, v91, -v5
	v_mul_f32_e32 v6, v9, v62
	v_add_f32_e32 v5, 0, v5
	v_fma_f32 v6, v8, v92, -v6
	v_add_f32_e32 v5, v5, v6
	v_mul_f32_e32 v6, v11, v68
	v_fma_f32 v6, v10, v93, -v6
	v_add_f32_e32 v5, v5, v6
	v_mul_f32_e32 v6, v13, v70
	v_fma_f32 v6, v12, v94, -v6
	v_add_f32_e32 v5, v5, v6
	v_mul_f32_e32 v6, v15, v84
	v_fma_f32 v6, v14, v95, -v6
	v_add_f32_e32 v5, v5, v6
	v_mul_f32_e32 v6, v17, v85
	v_fma_f32 v6, v16, v96, -v6
	v_add_f32_e32 v5, v5, v6
	v_mul_f32_e32 v6, v19, v86
	v_fma_f32 v6, v18, v97, -v6
	v_add_f32_e32 v5, v5, v6
	v_mul_f32_e32 v6, v21, v87
	v_fma_f32 v6, v20, v98, -v6
	v_add_f32_e32 v5, v5, v6
	v_mul_f32_e32 v6, v23, v88
	v_fma_f32 v6, v22, v99, -v6
	v_add_f32_e32 v5, v5, v6
	v_mul_f32_e32 v6, v25, v89
	v_fma_f32 v6, v24, v100, -v6
	v_add_f32_e32 v5, v5, v6
	v_mul_f32_e32 v6, v27, v90
	v_fma_f32 v6, v26, v101, -v6
	v_add_f32_e32 v5, v5, v6
	v_mul_f32_e32 v6, v29, v102
	v_fma_f32 v6, v28, v103, -v6
	v_add_f32_e32 v5, v5, v6
	v_mul_f32_e32 v6, v31, v104
	v_fma_f32 v6, v30, v105, -v6
	v_add_f32_e32 v5, v5, v6
	v_mul_f32_e32 v6, v33, v106
	v_fma_f32 v6, v32, v107, -v6
	v_add_f32_e32 v5, v5, v6
	v_mul_f32_e32 v6, v35, v108
	v_fma_f32 v6, v34, v109, -v6
	v_add_f32_e32 v5, v5, v6
	v_mul_f32_e32 v6, v37, v110
	v_fma_f32 v6, v36, v111, -v6
	v_add_f32_e32 v5, v5, v6
	v_mul_f32_e32 v6, v39, v112
	v_fma_f32 v6, v38, v113, -v6
	v_add_f32_e32 v5, v5, v6
	v_mul_f32_e32 v6, v41, v114
	v_fma_f32 v6, v40, v115, -v6
	v_add_f32_e32 v5, v5, v6
	v_mul_f32_e32 v6, v43, v117
	v_fma_f32 v6, v42, v116, -v6
	v_add_f32_e32 v5, v5, v6
	v_mul_f32_e32 v6, v45, v119
	v_fma_f32 v6, v44, v118, -v6
	v_add_f32_e32 v5, v5, v6
	v_mul_f32_e32 v6, v47, v121
	v_fma_f32 v6, v46, v120, -v6
	v_add_f32_e32 v5, v5, v6
	v_mul_f32_e32 v6, v49, v123
	v_fma_f32 v6, v48, v122, -v6
	v_add_f32_e32 v5, v5, v6
	v_mul_f32_e32 v6, v51, v125
	v_fma_f32 v6, v50, v124, -v6
	s_waitcnt vmcnt(18)
	v_mul_f32_e32 v69, v52, v127
	v_add_f32_e32 v62, v5, v6
	v_mul_f32_e32 v5, v53, v127
	v_fmac_f32_e32 v69, v53, v126
	s_waitcnt vmcnt(16) lgkmcnt(1)
	v_mul_f32_e32 v71, v54, v129
	v_fma_f32 v68, v52, v126, -v5
	v_mul_f32_e32 v5, v55, v129
	v_fmac_f32_e32 v71, v55, v128
	s_waitcnt vmcnt(13)
	v_mov_b32_e32 v18, v67
	v_pk_mul_f32 v[18:19], v[56:57], v[18:19] op_sel_hi:[1,0]
	s_waitcnt vmcnt(12)
	v_pk_fma_f32 v[20:21], v[56:57], v[66:67], v[18:19] op_sel:[0,0,1] op_sel_hi:[1,1,0] neg_lo:[0,0,1] neg_hi:[0,0,1]
	v_pk_fma_f32 v[18:19], v[56:57], v[66:67], v[18:19] op_sel:[0,0,1] op_sel_hi:[1,0,0]
	v_fma_f32 v70, v54, v128, -v5
	v_pk_add_f32 v[16:17], v[62:63], v[68:69]
	v_mov_b32_e32 v18, v65
	v_pk_add_f32 v[16:17], v[16:17], v[70:71]
	v_mov_b32_e32 v21, v19
	s_waitcnt lgkmcnt(0)
	v_pk_mul_f32 v[18:19], v[58:59], v[18:19] op_sel_hi:[1,0]
	v_pk_add_f32 v[16:17], v[16:17], v[20:21]
	v_pk_fma_f32 v[20:21], v[58:59], v[64:65], v[18:19] op_sel:[0,0,1] op_sel_hi:[1,1,0] neg_lo:[0,0,1] neg_hi:[0,0,1]
	v_pk_fma_f32 v[18:19], v[58:59], v[64:65], v[18:19] op_sel:[0,0,1] op_sel_hi:[1,0,0]
	s_waitcnt vmcnt(5)
	v_mov_b32_e32 v18, v79
	ds_read2_b64 v[6:9], v4 offset0:111 offset1:112
	ds_read2_b64 v[10:13], v4 offset0:113 offset1:114
	ds_read_b64 v[14:15], v4 offset:920
	v_mov_b32_e32 v21, v19
	v_pk_mul_f32 v[18:19], v[60:61], v[18:19] op_sel_hi:[1,0]
	v_pk_add_f32 v[16:17], v[16:17], v[20:21]
	s_waitcnt vmcnt(4)
	v_pk_fma_f32 v[20:21], v[60:61], v[78:79], v[18:19] op_sel:[0,0,1] op_sel_hi:[1,1,0] neg_lo:[0,0,1] neg_hi:[0,0,1]
	v_pk_fma_f32 v[18:19], v[60:61], v[78:79], v[18:19] op_sel:[0,0,1] op_sel_hi:[1,0,0]
	v_mov_b32_e32 v18, v77
	v_mov_b32_e32 v21, v19
	s_waitcnt lgkmcnt(2)
	v_pk_mul_f32 v[18:19], v[6:7], v[18:19] op_sel_hi:[1,0]
	v_pk_add_f32 v[16:17], v[16:17], v[20:21]
	v_pk_fma_f32 v[20:21], v[6:7], v[76:77], v[18:19] op_sel:[0,0,1] op_sel_hi:[1,1,0] neg_lo:[0,0,1] neg_hi:[0,0,1]
	v_pk_fma_f32 v[6:7], v[6:7], v[76:77], v[18:19] op_sel:[0,0,1] op_sel_hi:[1,0,0]
	v_mov_b32_e32 v21, v7
	v_pk_add_f32 v[6:7], v[16:17], v[20:21]
	v_mov_b32_e32 v16, v75
	v_pk_mul_f32 v[16:17], v[8:9], v[16:17] op_sel_hi:[1,0]
	v_pk_fma_f32 v[18:19], v[8:9], v[74:75], v[16:17] op_sel:[0,0,1] op_sel_hi:[1,1,0] neg_lo:[0,0,1] neg_hi:[0,0,1]
	v_pk_fma_f32 v[8:9], v[8:9], v[74:75], v[16:17] op_sel:[0,0,1] op_sel_hi:[1,0,0]
	v_mov_b32_e32 v8, v73
	v_mov_b32_e32 v19, v9
	s_waitcnt lgkmcnt(1)
	v_pk_mul_f32 v[8:9], v[10:11], v[8:9] op_sel_hi:[1,0]
	v_pk_fma_f32 v[16:17], v[10:11], v[72:73], v[8:9] op_sel:[0,0,1] op_sel_hi:[1,1,0] neg_lo:[0,0,1] neg_hi:[0,0,1]
	v_pk_fma_f32 v[8:9], v[10:11], v[72:73], v[8:9] op_sel:[0,0,1] op_sel_hi:[1,0,0]
	s_waitcnt vmcnt(1)
	v_mov_b32_e32 v8, v83
	v_mov_b32_e32 v17, v9
	v_pk_mul_f32 v[8:9], v[12:13], v[8:9] op_sel_hi:[1,0]
	s_waitcnt vmcnt(0)
	v_pk_fma_f32 v[10:11], v[12:13], v[82:83], v[8:9] op_sel:[0,0,1] op_sel_hi:[1,1,0] neg_lo:[0,0,1] neg_hi:[0,0,1]
	v_pk_fma_f32 v[8:9], v[12:13], v[82:83], v[8:9] op_sel:[0,0,1] op_sel_hi:[1,0,0]
	v_pk_add_f32 v[6:7], v[6:7], v[18:19]
	v_mov_b32_e32 v8, v81
	v_pk_add_f32 v[6:7], v[6:7], v[16:17]
	v_mov_b32_e32 v11, v9
	s_waitcnt lgkmcnt(0)
	v_pk_mul_f32 v[8:9], v[14:15], v[8:9] op_sel_hi:[1,0]
	v_pk_add_f32 v[6:7], v[6:7], v[10:11]
	v_pk_fma_f32 v[10:11], v[14:15], v[80:81], v[8:9] op_sel:[0,0,1] op_sel_hi:[1,1,0] neg_lo:[0,0,1] neg_hi:[0,0,1]
	v_pk_fma_f32 v[8:9], v[14:15], v[80:81], v[8:9] op_sel:[0,0,1] op_sel_hi:[1,0,0]
	v_mov_b32_e32 v11, v9
	v_pk_add_f32 v[6:7], v[6:7], v[10:11]
	v_pk_add_f32 v[2:3], v[2:3], v[6:7] neg_lo:[0,1] neg_hi:[0,1]
	buffer_store_dword v3, off, s[0:3], 0 offset:196
	buffer_store_dword v2, off, s[0:3], 0 offset:192
	s_and_saveexec_b64 s[4:5], vcc
	s_cbranch_execz .LBB57_315
; %bb.314:
	buffer_load_dword v2, off, s[0:3], 0 offset:184
	buffer_load_dword v3, off, s[0:3], 0 offset:188
	s_waitcnt vmcnt(0)
	ds_write_b64 v175, v[2:3]
	buffer_store_dword v4, off, s[0:3], 0 offset:184
	buffer_store_dword v4, off, s[0:3], 0 offset:188
.LBB57_315:
	s_or_b64 exec, exec, s[4:5]
	s_waitcnt lgkmcnt(0)
	; wave barrier
	s_waitcnt lgkmcnt(0)
	buffer_load_dword v5, off, s[0:3], 0 offset:196
	buffer_load_dword v64, off, s[0:3], 0 offset:204
	;; [unrolled: 1-line block ×42, first 2 shown]
	ds_read_b128 v[6:9], v4 offset:656
	ds_read_b128 v[10:13], v4 offset:672
	buffer_load_dword v120, off, s[0:3], 0 offset:352
	buffer_load_dword v121, off, s[0:3], 0 offset:356
	ds_read_b128 v[14:17], v4 offset:688
	ds_read_b128 v[18:21], v4 offset:704
	buffer_load_dword v122, off, s[0:3], 0 offset:360
	buffer_load_dword v123, off, s[0:3], 0 offset:364
	;; [unrolled: 1-line block ×4, first 2 shown]
	ds_read_b128 v[22:25], v4 offset:720
	ds_read_b128 v[26:29], v4 offset:736
	buffer_load_dword v126, off, s[0:3], 0 offset:376
	buffer_load_dword v127, off, s[0:3], 0 offset:380
	;; [unrolled: 1-line block ×6, first 2 shown]
	v_cmp_lt_u32_e32 vcc, 22, v0
	s_waitcnt vmcnt(53) lgkmcnt(5)
	v_mul_f32_e32 v30, v6, v5
	s_waitcnt vmcnt(52)
	v_mul_f32_e32 v31, v8, v64
	s_waitcnt vmcnt(51) lgkmcnt(4)
	v_mul_f32_e32 v32, v10, v66
	s_waitcnt vmcnt(50)
	v_mul_f32_e32 v33, v12, v68
	;; [unrolled: 4-line block ×5, first 2 shown]
	s_waitcnt vmcnt(43)
	v_fmac_f32_e32 v30, v7, v90
	s_waitcnt vmcnt(42)
	v_fmac_f32_e32 v31, v9, v91
	v_add_f32_e32 v30, 0, v30
	s_waitcnt vmcnt(41)
	v_fmac_f32_e32 v32, v11, v92
	v_add_f32_e32 v30, v30, v31
	;; [unrolled: 3-line block ×9, first 2 shown]
	s_waitcnt vmcnt(33) lgkmcnt(0)
	v_mul_f32_e32 v31, v26, v100
	v_add_f32_e32 v30, v30, v39
	s_waitcnt vmcnt(32)
	v_fmac_f32_e32 v31, v27, v101
	v_add_f32_e32 v34, v30, v31
	ds_read_b128 v[30:33], v4 offset:752
	s_waitcnt vmcnt(31)
	v_mul_f32_e32 v35, v28, v102
	s_waitcnt vmcnt(30)
	v_fmac_f32_e32 v35, v29, v103
	v_add_f32_e32 v38, v34, v35
	ds_read_b128 v[34:37], v4 offset:768
	s_waitcnt vmcnt(29) lgkmcnt(1)
	v_mul_f32_e32 v39, v30, v104
	s_waitcnt vmcnt(28)
	v_fmac_f32_e32 v39, v31, v105
	v_add_f32_e32 v38, v38, v39
	s_waitcnt vmcnt(27)
	v_mul_f32_e32 v39, v32, v106
	s_waitcnt vmcnt(26)
	v_fmac_f32_e32 v39, v33, v107
	v_add_f32_e32 v38, v38, v39
	s_waitcnt vmcnt(25) lgkmcnt(0)
	v_mul_f32_e32 v39, v34, v108
	s_waitcnt vmcnt(24)
	v_fmac_f32_e32 v39, v35, v109
	v_add_f32_e32 v42, v38, v39
	ds_read_b128 v[38:41], v4 offset:784
	s_waitcnt vmcnt(23)
	v_mul_f32_e32 v43, v36, v110
	s_waitcnt vmcnt(22)
	v_fmac_f32_e32 v43, v37, v111
	v_add_f32_e32 v46, v42, v43
	ds_read_b128 v[42:45], v4 offset:800
	s_waitcnt vmcnt(21) lgkmcnt(1)
	v_mul_f32_e32 v47, v38, v112
	s_waitcnt vmcnt(20)
	v_fmac_f32_e32 v47, v39, v113
	v_add_f32_e32 v46, v46, v47
	s_waitcnt vmcnt(18)
	v_mul_f32_e32 v47, v40, v115
	v_fmac_f32_e32 v47, v41, v114
	v_add_f32_e32 v46, v46, v47
	s_waitcnt vmcnt(15) lgkmcnt(0)
	v_mul_f32_e32 v47, v42, v116
	s_waitcnt vmcnt(14)
	v_fmac_f32_e32 v47, v43, v117
	v_add_f32_e32 v50, v46, v47
	ds_read_b128 v[46:49], v4 offset:816
	s_waitcnt vmcnt(12)
	v_mul_f32_e32 v51, v44, v119
	v_fmac_f32_e32 v51, v45, v118
	v_add_f32_e32 v54, v50, v51
	ds_read_b128 v[50:53], v4 offset:832
	buffer_load_dword v63, off, s[0:3], 0 offset:404
	buffer_load_dword v62, off, s[0:3], 0 offset:400
	s_waitcnt vmcnt(12) lgkmcnt(1)
	v_mul_f32_e32 v55, v46, v121
	v_fmac_f32_e32 v55, v47, v120
	v_add_f32_e32 v54, v54, v55
	s_waitcnt vmcnt(10)
	v_mul_f32_e32 v55, v48, v123
	v_fmac_f32_e32 v55, v49, v122
	v_add_f32_e32 v54, v54, v55
	s_waitcnt vmcnt(8) lgkmcnt(0)
	v_mul_f32_e32 v55, v50, v125
	v_fmac_f32_e32 v55, v51, v124
	s_waitcnt vmcnt(6)
	v_mul_f32_e32 v59, v52, v127
	v_add_f32_e32 v58, v54, v55
	v_fmac_f32_e32 v59, v53, v126
	ds_read_b128 v[54:57], v4 offset:848
	v_add_f32_e32 v65, v58, v59
	ds_read_b128 v[58:61], v4 offset:864
	buffer_load_dword v71, off, s[0:3], 0 offset:436
	buffer_load_dword v70, off, s[0:3], 0 offset:432
	;; [unrolled: 1-line block ×14, first 2 shown]
	v_mul_f32_e32 v5, v7, v5
	v_fma_f32 v5, v6, v90, -v5
	v_mul_f32_e32 v6, v9, v64
	v_add_f32_e32 v5, 0, v5
	v_fma_f32 v6, v8, v91, -v6
	v_add_f32_e32 v5, v5, v6
	v_mul_f32_e32 v6, v11, v66
	v_fma_f32 v6, v10, v92, -v6
	v_add_f32_e32 v5, v5, v6
	v_mul_f32_e32 v6, v13, v68
	;; [unrolled: 3-line block ×22, first 2 shown]
	v_fma_f32 v6, v52, v126, -v6
	s_waitcnt vmcnt(15)
	v_mov_b32_e32 v18, v63
	s_waitcnt lgkmcnt(1)
	v_mul_f32_e32 v67, v54, v129
	v_add_f32_e32 v64, v5, v6
	v_mul_f32_e32 v5, v55, v129
	s_waitcnt lgkmcnt(0)
	v_pk_mul_f32 v[18:19], v[58:59], v[18:19] op_sel_hi:[1,0]
	v_fmac_f32_e32 v67, v55, v128
	v_mul_f32_e32 v69, v56, v131
	v_fma_f32 v66, v54, v128, -v5
	v_mul_f32_e32 v5, v57, v131
	s_waitcnt vmcnt(14)
	v_pk_fma_f32 v[20:21], v[58:59], v[62:63], v[18:19] op_sel:[0,0,1] op_sel_hi:[1,1,0] neg_lo:[0,0,1] neg_hi:[0,0,1]
	v_pk_fma_f32 v[18:19], v[58:59], v[62:63], v[18:19] op_sel:[0,0,1] op_sel_hi:[1,0,0]
	v_fmac_f32_e32 v69, v57, v130
	v_fma_f32 v68, v56, v130, -v5
	ds_read_b128 v[6:9], v4 offset:880
	ds_read_b128 v[10:13], v4 offset:896
	;; [unrolled: 1-line block ×3, first 2 shown]
	v_pk_add_f32 v[4:5], v[64:65], v[66:67]
	s_waitcnt vmcnt(7)
	v_mov_b32_e32 v18, v77
	v_pk_add_f32 v[4:5], v[4:5], v[68:69]
	v_mov_b32_e32 v21, v19
	v_pk_mul_f32 v[18:19], v[60:61], v[18:19] op_sel_hi:[1,0]
	v_pk_add_f32 v[4:5], v[4:5], v[20:21]
	s_waitcnt vmcnt(6)
	v_pk_fma_f32 v[20:21], v[60:61], v[76:77], v[18:19] op_sel:[0,0,1] op_sel_hi:[1,1,0] neg_lo:[0,0,1] neg_hi:[0,0,1]
	v_pk_fma_f32 v[18:19], v[60:61], v[76:77], v[18:19] op_sel:[0,0,1] op_sel_hi:[1,0,0]
	v_mov_b32_e32 v18, v75
	v_mov_b32_e32 v21, v19
	s_waitcnt lgkmcnt(2)
	v_pk_mul_f32 v[18:19], v[6:7], v[18:19] op_sel_hi:[1,0]
	v_pk_add_f32 v[4:5], v[4:5], v[20:21]
	v_pk_fma_f32 v[20:21], v[6:7], v[74:75], v[18:19] op_sel:[0,0,1] op_sel_hi:[1,1,0] neg_lo:[0,0,1] neg_hi:[0,0,1]
	v_pk_fma_f32 v[6:7], v[6:7], v[74:75], v[18:19] op_sel:[0,0,1] op_sel_hi:[1,0,0]
	v_mov_b32_e32 v6, v73
	v_mov_b32_e32 v21, v7
	v_pk_mul_f32 v[6:7], v[8:9], v[6:7] op_sel_hi:[1,0]
	v_pk_fma_f32 v[18:19], v[8:9], v[72:73], v[6:7] op_sel:[0,0,1] op_sel_hi:[1,1,0] neg_lo:[0,0,1] neg_hi:[0,0,1]
	v_pk_fma_f32 v[6:7], v[8:9], v[72:73], v[6:7] op_sel:[0,0,1] op_sel_hi:[1,0,0]
	v_mov_b32_e32 v6, v71
	v_mov_b32_e32 v19, v7
	s_waitcnt lgkmcnt(1)
	v_pk_mul_f32 v[6:7], v[10:11], v[6:7] op_sel_hi:[1,0]
	v_pk_fma_f32 v[8:9], v[10:11], v[70:71], v[6:7] op_sel:[0,0,1] op_sel_hi:[1,1,0] neg_lo:[0,0,1] neg_hi:[0,0,1]
	v_pk_fma_f32 v[6:7], v[10:11], v[70:71], v[6:7] op_sel:[0,0,1] op_sel_hi:[1,0,0]
	v_pk_add_f32 v[4:5], v[4:5], v[20:21]
	s_waitcnt vmcnt(1)
	v_mov_b32_e32 v6, v83
	v_pk_add_f32 v[4:5], v[4:5], v[18:19]
	v_mov_b32_e32 v9, v7
	v_pk_mul_f32 v[6:7], v[12:13], v[6:7] op_sel_hi:[1,0]
	v_pk_add_f32 v[4:5], v[4:5], v[8:9]
	s_waitcnt vmcnt(0)
	v_pk_fma_f32 v[8:9], v[12:13], v[82:83], v[6:7] op_sel:[0,0,1] op_sel_hi:[1,1,0] neg_lo:[0,0,1] neg_hi:[0,0,1]
	v_pk_fma_f32 v[6:7], v[12:13], v[82:83], v[6:7] op_sel:[0,0,1] op_sel_hi:[1,0,0]
	v_mov_b32_e32 v6, v81
	v_mov_b32_e32 v9, v7
	s_waitcnt lgkmcnt(0)
	v_pk_mul_f32 v[6:7], v[14:15], v[6:7] op_sel_hi:[1,0]
	v_pk_add_f32 v[4:5], v[4:5], v[8:9]
	v_pk_fma_f32 v[8:9], v[14:15], v[80:81], v[6:7] op_sel:[0,0,1] op_sel_hi:[1,1,0] neg_lo:[0,0,1] neg_hi:[0,0,1]
	v_pk_fma_f32 v[6:7], v[14:15], v[80:81], v[6:7] op_sel:[0,0,1] op_sel_hi:[1,0,0]
	v_mov_b32_e32 v6, v79
	v_mov_b32_e32 v9, v7
	v_pk_mul_f32 v[6:7], v[16:17], v[6:7] op_sel_hi:[1,0]
	v_pk_add_f32 v[4:5], v[4:5], v[8:9]
	v_pk_fma_f32 v[8:9], v[16:17], v[78:79], v[6:7] op_sel:[0,0,1] op_sel_hi:[1,1,0] neg_lo:[0,0,1] neg_hi:[0,0,1]
	v_pk_fma_f32 v[6:7], v[16:17], v[78:79], v[6:7] op_sel:[0,0,1] op_sel_hi:[1,0,0]
	v_mov_b32_e32 v9, v7
	v_pk_add_f32 v[4:5], v[4:5], v[8:9]
	v_pk_add_f32 v[2:3], v[2:3], v[4:5] neg_lo:[0,1] neg_hi:[0,1]
	buffer_store_dword v3, off, s[0:3], 0 offset:188
	buffer_store_dword v2, off, s[0:3], 0 offset:184
	s_and_saveexec_b64 s[4:5], vcc
	s_cbranch_execz .LBB57_317
; %bb.316:
	buffer_load_dword v2, off, s[0:3], 0 offset:176
	buffer_load_dword v3, off, s[0:3], 0 offset:180
	v_mov_b32_e32 v4, 0
	buffer_store_dword v4, off, s[0:3], 0 offset:176
	buffer_store_dword v4, off, s[0:3], 0 offset:180
	s_waitcnt vmcnt(2)
	ds_write_b64 v175, v[2:3]
.LBB57_317:
	s_or_b64 exec, exec, s[4:5]
	s_waitcnt lgkmcnt(0)
	; wave barrier
	s_waitcnt lgkmcnt(0)
	buffer_load_dword v5, off, s[0:3], 0 offset:188
	buffer_load_dword v62, off, s[0:3], 0 offset:196
	;; [unrolled: 1-line block ×56, first 2 shown]
	v_mov_b32_e32 v4, 0
	ds_read2_b64 v[6:9], v4 offset0:81 offset1:82
	ds_read2_b64 v[10:13], v4 offset0:83 offset1:84
	;; [unrolled: 1-line block ×6, first 2 shown]
	v_cmp_lt_u32_e32 vcc, 21, v0
	s_waitcnt vmcnt(55) lgkmcnt(5)
	v_mul_f32_e32 v30, v6, v5
	s_waitcnt vmcnt(54)
	v_mul_f32_e32 v31, v8, v62
	s_waitcnt vmcnt(53) lgkmcnt(4)
	v_mul_f32_e32 v32, v10, v64
	s_waitcnt vmcnt(52)
	v_mul_f32_e32 v33, v12, v66
	;; [unrolled: 4-line block ×4, first 2 shown]
	s_waitcnt vmcnt(47) lgkmcnt(1)
	v_mul_f32_e32 v38, v22, v88
	s_waitcnt vmcnt(46)
	v_fmac_f32_e32 v30, v7, v89
	s_waitcnt vmcnt(45)
	v_fmac_f32_e32 v31, v9, v90
	v_add_f32_e32 v30, 0, v30
	s_waitcnt vmcnt(44)
	v_fmac_f32_e32 v32, v11, v91
	v_add_f32_e32 v30, v30, v31
	;; [unrolled: 3-line block ×7, first 2 shown]
	v_add_f32_e32 v30, v30, v37
	s_waitcnt vmcnt(38)
	v_fmac_f32_e32 v38, v23, v97
	s_waitcnt vmcnt(37)
	v_mul_f32_e32 v31, v24, v98
	v_add_f32_e32 v30, v30, v38
	s_waitcnt vmcnt(36)
	v_fmac_f32_e32 v31, v25, v99
	v_add_f32_e32 v30, v30, v31
	s_waitcnt vmcnt(35) lgkmcnt(0)
	v_mul_f32_e32 v31, v26, v100
	s_waitcnt vmcnt(34)
	v_fmac_f32_e32 v31, v27, v101
	v_add_f32_e32 v34, v30, v31
	ds_read2_b64 v[30:33], v4 offset0:93 offset1:94
	s_waitcnt vmcnt(33)
	v_mul_f32_e32 v35, v28, v102
	s_waitcnt vmcnt(32)
	v_fmac_f32_e32 v35, v29, v103
	v_add_f32_e32 v38, v34, v35
	ds_read2_b64 v[34:37], v4 offset0:95 offset1:96
	s_waitcnt vmcnt(31) lgkmcnt(1)
	v_mul_f32_e32 v39, v30, v104
	s_waitcnt vmcnt(30)
	v_fmac_f32_e32 v39, v31, v105
	v_add_f32_e32 v38, v38, v39
	s_waitcnt vmcnt(29)
	v_mul_f32_e32 v39, v32, v106
	s_waitcnt vmcnt(28)
	v_fmac_f32_e32 v39, v33, v107
	v_add_f32_e32 v38, v38, v39
	s_waitcnt vmcnt(27) lgkmcnt(0)
	v_mul_f32_e32 v39, v34, v108
	s_waitcnt vmcnt(26)
	v_fmac_f32_e32 v39, v35, v109
	v_add_f32_e32 v42, v38, v39
	ds_read2_b64 v[38:41], v4 offset0:97 offset1:98
	s_waitcnt vmcnt(24)
	v_mul_f32_e32 v43, v36, v111
	v_fmac_f32_e32 v43, v37, v110
	v_add_f32_e32 v46, v42, v43
	ds_read2_b64 v[42:45], v4 offset0:99 offset1:100
	s_waitcnt vmcnt(20) lgkmcnt(1)
	v_mul_f32_e32 v47, v38, v113
	v_fmac_f32_e32 v47, v39, v112
	v_add_f32_e32 v46, v46, v47
	s_waitcnt vmcnt(18)
	v_mul_f32_e32 v47, v40, v115
	v_fmac_f32_e32 v47, v41, v114
	v_add_f32_e32 v46, v46, v47
	s_waitcnt vmcnt(16) lgkmcnt(0)
	v_mul_f32_e32 v47, v42, v117
	v_fmac_f32_e32 v47, v43, v116
	v_add_f32_e32 v50, v46, v47
	ds_read2_b64 v[46:49], v4 offset0:101 offset1:102
	s_waitcnt vmcnt(14)
	v_mul_f32_e32 v51, v44, v119
	v_fmac_f32_e32 v51, v45, v118
	v_add_f32_e32 v54, v50, v51
	ds_read2_b64 v[50:53], v4 offset0:103 offset1:104
	s_waitcnt vmcnt(12) lgkmcnt(1)
	v_mul_f32_e32 v55, v46, v121
	v_fmac_f32_e32 v55, v47, v120
	v_add_f32_e32 v54, v54, v55
	s_waitcnt vmcnt(10)
	v_mul_f32_e32 v55, v48, v123
	v_fmac_f32_e32 v55, v49, v122
	v_add_f32_e32 v54, v54, v55
	s_waitcnt vmcnt(8) lgkmcnt(0)
	v_mul_f32_e32 v55, v50, v125
	v_fmac_f32_e32 v55, v51, v124
	s_waitcnt vmcnt(6)
	v_mul_f32_e32 v59, v52, v127
	v_add_f32_e32 v58, v54, v55
	v_fmac_f32_e32 v59, v53, v126
	ds_read2_b64 v[54:57], v4 offset0:105 offset1:106
	v_add_f32_e32 v63, v58, v59
	ds_read2_b64 v[58:61], v4 offset0:107 offset1:108
	buffer_load_dword v69, off, s[0:3], 0 offset:428
	buffer_load_dword v68, off, s[0:3], 0 offset:424
	;; [unrolled: 1-line block ×16, first 2 shown]
	v_mul_f32_e32 v5, v7, v5
	v_fma_f32 v5, v6, v89, -v5
	v_mul_f32_e32 v6, v9, v62
	v_add_f32_e32 v5, 0, v5
	v_fma_f32 v6, v8, v90, -v6
	v_add_f32_e32 v5, v5, v6
	v_mul_f32_e32 v6, v11, v64
	v_fma_f32 v6, v10, v91, -v6
	v_add_f32_e32 v5, v5, v6
	v_mul_f32_e32 v6, v13, v66
	;; [unrolled: 3-line block ×22, first 2 shown]
	v_fma_f32 v6, v52, v126, -v6
	s_waitcnt vmcnt(20) lgkmcnt(1)
	v_mul_f32_e32 v65, v54, v129
	v_add_f32_e32 v5, v5, v6
	v_mul_f32_e32 v6, v55, v129
	v_fmac_f32_e32 v65, v55, v128
	v_fma_f32 v6, v54, v128, -v6
	s_waitcnt vmcnt(9)
	v_mov_b32_e32 v22, v75
	v_add_f32_e32 v63, v63, v65
	v_mul_f32_e32 v65, v56, v131
	v_add_f32_e32 v62, v5, v6
	v_mul_f32_e32 v5, v57, v131
	s_waitcnt lgkmcnt(0)
	v_pk_mul_f32 v[22:23], v[60:61], v[22:23] op_sel_hi:[1,0]
	v_fmac_f32_e32 v65, v57, v130
	v_mul_f32_e32 v67, v58, v133
	v_fma_f32 v64, v56, v130, -v5
	v_mul_f32_e32 v5, v59, v133
	ds_read2_b64 v[6:9], v4 offset0:109 offset1:110
	ds_read2_b64 v[10:13], v4 offset0:111 offset1:112
	;; [unrolled: 1-line block ×3, first 2 shown]
	ds_read_b64 v[18:19], v4 offset:920
	s_waitcnt vmcnt(8)
	v_pk_fma_f32 v[24:25], v[60:61], v[74:75], v[22:23] op_sel:[0,0,1] op_sel_hi:[1,1,0] neg_lo:[0,0,1] neg_hi:[0,0,1]
	v_pk_fma_f32 v[22:23], v[60:61], v[74:75], v[22:23] op_sel:[0,0,1] op_sel_hi:[1,0,0]
	v_fmac_f32_e32 v67, v59, v132
	v_fma_f32 v66, v58, v132, -v5
	v_pk_add_f32 v[20:21], v[62:63], v[64:65]
	v_mov_b32_e32 v22, v73
	v_pk_add_f32 v[20:21], v[20:21], v[66:67]
	v_mov_b32_e32 v25, v23
	s_waitcnt lgkmcnt(3)
	v_pk_mul_f32 v[22:23], v[6:7], v[22:23] op_sel_hi:[1,0]
	v_pk_add_f32 v[20:21], v[20:21], v[24:25]
	v_pk_fma_f32 v[24:25], v[6:7], v[72:73], v[22:23] op_sel:[0,0,1] op_sel_hi:[1,1,0] neg_lo:[0,0,1] neg_hi:[0,0,1]
	v_pk_fma_f32 v[6:7], v[6:7], v[72:73], v[22:23] op_sel:[0,0,1] op_sel_hi:[1,0,0]
	v_mov_b32_e32 v25, v7
	v_pk_add_f32 v[6:7], v[20:21], v[24:25]
	v_mov_b32_e32 v20, v71
	v_pk_mul_f32 v[20:21], v[8:9], v[20:21] op_sel_hi:[1,0]
	v_pk_fma_f32 v[22:23], v[8:9], v[70:71], v[20:21] op_sel:[0,0,1] op_sel_hi:[1,1,0] neg_lo:[0,0,1] neg_hi:[0,0,1]
	v_pk_fma_f32 v[8:9], v[8:9], v[70:71], v[20:21] op_sel:[0,0,1] op_sel_hi:[1,0,0]
	v_mov_b32_e32 v8, v69
	v_mov_b32_e32 v23, v9
	s_waitcnt lgkmcnt(2)
	v_pk_mul_f32 v[8:9], v[10:11], v[8:9] op_sel_hi:[1,0]
	v_pk_fma_f32 v[20:21], v[10:11], v[68:69], v[8:9] op_sel:[0,0,1] op_sel_hi:[1,1,0] neg_lo:[0,0,1] neg_hi:[0,0,1]
	v_pk_fma_f32 v[8:9], v[10:11], v[68:69], v[8:9] op_sel:[0,0,1] op_sel_hi:[1,0,0]
	s_waitcnt vmcnt(1)
	v_mov_b32_e32 v8, v83
	v_mov_b32_e32 v21, v9
	v_pk_mul_f32 v[8:9], v[12:13], v[8:9] op_sel_hi:[1,0]
	s_waitcnt vmcnt(0)
	v_pk_fma_f32 v[10:11], v[12:13], v[82:83], v[8:9] op_sel:[0,0,1] op_sel_hi:[1,1,0] neg_lo:[0,0,1] neg_hi:[0,0,1]
	v_pk_fma_f32 v[8:9], v[12:13], v[82:83], v[8:9] op_sel:[0,0,1] op_sel_hi:[1,0,0]
	v_pk_add_f32 v[6:7], v[6:7], v[22:23]
	v_mov_b32_e32 v8, v81
	v_pk_add_f32 v[6:7], v[6:7], v[20:21]
	v_mov_b32_e32 v11, v9
	s_waitcnt lgkmcnt(1)
	v_pk_mul_f32 v[8:9], v[14:15], v[8:9] op_sel_hi:[1,0]
	v_pk_add_f32 v[6:7], v[6:7], v[10:11]
	v_pk_fma_f32 v[10:11], v[14:15], v[80:81], v[8:9] op_sel:[0,0,1] op_sel_hi:[1,1,0] neg_lo:[0,0,1] neg_hi:[0,0,1]
	v_pk_fma_f32 v[8:9], v[14:15], v[80:81], v[8:9] op_sel:[0,0,1] op_sel_hi:[1,0,0]
	v_mov_b32_e32 v8, v79
	v_mov_b32_e32 v11, v9
	v_pk_mul_f32 v[8:9], v[16:17], v[8:9] op_sel_hi:[1,0]
	v_pk_add_f32 v[6:7], v[6:7], v[10:11]
	v_pk_fma_f32 v[10:11], v[16:17], v[78:79], v[8:9] op_sel:[0,0,1] op_sel_hi:[1,1,0] neg_lo:[0,0,1] neg_hi:[0,0,1]
	v_pk_fma_f32 v[8:9], v[16:17], v[78:79], v[8:9] op_sel:[0,0,1] op_sel_hi:[1,0,0]
	v_mov_b32_e32 v8, v77
	v_mov_b32_e32 v11, v9
	s_waitcnt lgkmcnt(0)
	v_pk_mul_f32 v[8:9], v[18:19], v[8:9] op_sel_hi:[1,0]
	v_pk_add_f32 v[6:7], v[6:7], v[10:11]
	v_pk_fma_f32 v[10:11], v[18:19], v[76:77], v[8:9] op_sel:[0,0,1] op_sel_hi:[1,1,0] neg_lo:[0,0,1] neg_hi:[0,0,1]
	v_pk_fma_f32 v[8:9], v[18:19], v[76:77], v[8:9] op_sel:[0,0,1] op_sel_hi:[1,0,0]
	v_mov_b32_e32 v11, v9
	v_pk_add_f32 v[6:7], v[6:7], v[10:11]
	v_pk_add_f32 v[2:3], v[2:3], v[6:7] neg_lo:[0,1] neg_hi:[0,1]
	buffer_store_dword v3, off, s[0:3], 0 offset:180
	buffer_store_dword v2, off, s[0:3], 0 offset:176
	s_and_saveexec_b64 s[4:5], vcc
	s_cbranch_execz .LBB57_319
; %bb.318:
	buffer_load_dword v2, off, s[0:3], 0 offset:168
	buffer_load_dword v3, off, s[0:3], 0 offset:172
	s_waitcnt vmcnt(0)
	ds_write_b64 v175, v[2:3]
	buffer_store_dword v4, off, s[0:3], 0 offset:168
	buffer_store_dword v4, off, s[0:3], 0 offset:172
.LBB57_319:
	s_or_b64 exec, exec, s[4:5]
	s_waitcnt lgkmcnt(0)
	; wave barrier
	s_waitcnt lgkmcnt(0)
	buffer_load_dword v5, off, s[0:3], 0 offset:180
	buffer_load_dword v62, off, s[0:3], 0 offset:188
	;; [unrolled: 1-line block ×36, first 2 shown]
	ds_read_b128 v[6:9], v4 offset:640
	ds_read_b128 v[10:13], v4 offset:656
	buffer_load_dword v114, off, s[0:3], 0 offset:312
	buffer_load_dword v115, off, s[0:3], 0 offset:316
	;; [unrolled: 1-line block ×4, first 2 shown]
	ds_read_b128 v[14:17], v4 offset:672
	ds_read_b128 v[18:21], v4 offset:688
	buffer_load_dword v118, off, s[0:3], 0 offset:328
	buffer_load_dword v119, off, s[0:3], 0 offset:332
	ds_read_b128 v[22:25], v4 offset:704
	ds_read_b128 v[26:29], v4 offset:720
	buffer_load_dword v120, off, s[0:3], 0 offset:336
	buffer_load_dword v121, off, s[0:3], 0 offset:340
	;; [unrolled: 1-line block ×16, first 2 shown]
	v_cmp_lt_u32_e32 vcc, 20, v0
	s_waitcnt vmcnt(57) lgkmcnt(5)
	v_mul_f32_e32 v30, v6, v5
	s_waitcnt vmcnt(56)
	v_mul_f32_e32 v31, v8, v62
	s_waitcnt vmcnt(55) lgkmcnt(4)
	v_mul_f32_e32 v32, v10, v64
	s_waitcnt vmcnt(54)
	v_mul_f32_e32 v33, v12, v72
	;; [unrolled: 4-line block ×4, first 2 shown]
	s_waitcnt vmcnt(49)
	v_fmac_f32_e32 v30, v7, v88
	s_waitcnt vmcnt(48)
	v_fmac_f32_e32 v31, v9, v89
	v_add_f32_e32 v30, 0, v30
	s_waitcnt vmcnt(47)
	v_fmac_f32_e32 v32, v11, v90
	v_add_f32_e32 v30, v30, v31
	;; [unrolled: 3-line block ×7, first 2 shown]
	s_waitcnt vmcnt(41) lgkmcnt(1)
	v_mul_f32_e32 v31, v22, v96
	v_add_f32_e32 v30, v30, v37
	s_waitcnt vmcnt(40)
	v_fmac_f32_e32 v31, v23, v97
	v_add_f32_e32 v30, v30, v31
	s_waitcnt vmcnt(39)
	v_mul_f32_e32 v31, v24, v98
	s_waitcnt vmcnt(38)
	v_fmac_f32_e32 v31, v25, v99
	v_add_f32_e32 v30, v30, v31
	s_waitcnt vmcnt(37) lgkmcnt(0)
	v_mul_f32_e32 v31, v26, v100
	s_waitcnt vmcnt(36)
	v_fmac_f32_e32 v31, v27, v101
	v_add_f32_e32 v34, v30, v31
	ds_read_b128 v[30:33], v4 offset:736
	s_waitcnt vmcnt(35)
	v_mul_f32_e32 v35, v28, v102
	s_waitcnt vmcnt(34)
	v_fmac_f32_e32 v35, v29, v103
	v_add_f32_e32 v38, v34, v35
	ds_read_b128 v[34:37], v4 offset:752
	s_waitcnt vmcnt(33) lgkmcnt(1)
	v_mul_f32_e32 v39, v30, v104
	s_waitcnt vmcnt(32)
	v_fmac_f32_e32 v39, v31, v105
	v_add_f32_e32 v38, v38, v39
	s_waitcnt vmcnt(31)
	v_mul_f32_e32 v39, v32, v106
	s_waitcnt vmcnt(30)
	v_fmac_f32_e32 v39, v33, v107
	v_add_f32_e32 v38, v38, v39
	s_waitcnt vmcnt(29) lgkmcnt(0)
	v_mul_f32_e32 v39, v34, v108
	s_waitcnt vmcnt(28)
	v_fmac_f32_e32 v39, v35, v109
	v_add_f32_e32 v42, v38, v39
	ds_read_b128 v[38:41], v4 offset:768
	s_waitcnt vmcnt(25)
	v_mul_f32_e32 v43, v36, v110
	s_waitcnt vmcnt(24)
	v_fmac_f32_e32 v43, v37, v111
	v_add_f32_e32 v46, v42, v43
	ds_read_b128 v[42:45], v4 offset:784
	s_waitcnt vmcnt(22) lgkmcnt(1)
	v_mul_f32_e32 v47, v38, v113
	v_fmac_f32_e32 v47, v39, v112
	v_add_f32_e32 v46, v46, v47
	s_waitcnt vmcnt(20)
	v_mul_f32_e32 v47, v40, v115
	v_fmac_f32_e32 v47, v41, v114
	v_add_f32_e32 v46, v46, v47
	s_waitcnt vmcnt(18) lgkmcnt(0)
	v_mul_f32_e32 v47, v42, v117
	v_fmac_f32_e32 v47, v43, v116
	v_add_f32_e32 v50, v46, v47
	ds_read_b128 v[46:49], v4 offset:800
	s_waitcnt vmcnt(16)
	v_mul_f32_e32 v51, v44, v119
	v_fmac_f32_e32 v51, v45, v118
	v_add_f32_e32 v54, v50, v51
	ds_read_b128 v[50:53], v4 offset:816
	s_waitcnt vmcnt(14) lgkmcnt(1)
	v_mul_f32_e32 v55, v46, v121
	v_fmac_f32_e32 v55, v47, v120
	v_add_f32_e32 v54, v54, v55
	s_waitcnt vmcnt(12)
	v_mul_f32_e32 v55, v48, v123
	v_fmac_f32_e32 v55, v49, v122
	v_add_f32_e32 v54, v54, v55
	s_waitcnt vmcnt(10) lgkmcnt(0)
	v_mul_f32_e32 v55, v50, v125
	v_fmac_f32_e32 v55, v51, v124
	s_waitcnt vmcnt(8)
	v_mul_f32_e32 v59, v52, v127
	v_add_f32_e32 v58, v54, v55
	v_fmac_f32_e32 v59, v53, v126
	ds_read_b128 v[54:57], v4 offset:832
	v_add_f32_e32 v63, v58, v59
	ds_read_b128 v[58:61], v4 offset:848
	buffer_load_dword v67, off, s[0:3], 0 offset:420
	buffer_load_dword v66, off, s[0:3], 0 offset:416
	;; [unrolled: 1-line block ×16, first 2 shown]
	v_mul_f32_e32 v5, v7, v5
	v_fma_f32 v5, v6, v88, -v5
	v_mul_f32_e32 v6, v9, v62
	v_add_f32_e32 v5, 0, v5
	v_fma_f32 v6, v8, v89, -v6
	v_add_f32_e32 v5, v5, v6
	v_mul_f32_e32 v6, v11, v64
	v_fma_f32 v6, v10, v90, -v6
	v_add_f32_e32 v5, v5, v6
	v_mul_f32_e32 v6, v13, v72
	;; [unrolled: 3-line block ×22, first 2 shown]
	v_fma_f32 v6, v52, v126, -v6
	v_add_f32_e32 v5, v5, v6
	s_waitcnt vmcnt(22) lgkmcnt(1)
	v_mul_f32_e32 v6, v55, v129
	v_fma_f32 v6, v54, v128, -v6
	v_add_f32_e32 v5, v5, v6
	s_waitcnt vmcnt(20)
	v_mul_f32_e32 v6, v57, v131
	v_fma_f32 v6, v56, v130, -v6
	v_add_f32_e32 v62, v5, v6
	ds_read_b128 v[6:9], v4 offset:864
	ds_read_b128 v[10:13], v4 offset:880
	;; [unrolled: 1-line block ×4, first 2 shown]
	s_waitcnt vmcnt(11)
	v_mov_b32_e32 v22, v71
	v_mul_f32_e32 v65, v54, v129
	s_waitcnt lgkmcnt(3)
	v_pk_mul_f32 v[22:23], v[6:7], v[22:23] op_sel_hi:[1,0]
	v_fmac_f32_e32 v65, v55, v128
	s_waitcnt vmcnt(10)
	v_pk_fma_f32 v[24:25], v[6:7], v[70:71], v[22:23] op_sel:[0,0,1] op_sel_hi:[1,1,0] neg_lo:[0,0,1] neg_hi:[0,0,1]
	v_pk_fma_f32 v[6:7], v[6:7], v[70:71], v[22:23] op_sel:[0,0,1] op_sel_hi:[1,0,0]
	v_add_f32_e32 v63, v63, v65
	v_mul_f32_e32 v65, v56, v131
	v_mov_b32_e32 v6, v69
	v_fmac_f32_e32 v65, v57, v130
	v_mov_b32_e32 v25, v7
	v_pk_mul_f32 v[6:7], v[8:9], v[6:7] op_sel_hi:[1,0]
	v_add_f32_e32 v63, v63, v65
	v_mul_f32_e32 v65, v58, v133
	v_mul_f32_e32 v5, v59, v133
	v_pk_fma_f32 v[22:23], v[8:9], v[68:69], v[6:7] op_sel:[0,0,1] op_sel_hi:[1,1,0] neg_lo:[0,0,1] neg_hi:[0,0,1]
	v_pk_fma_f32 v[6:7], v[8:9], v[68:69], v[6:7] op_sel:[0,0,1] op_sel_hi:[1,0,0]
	v_fmac_f32_e32 v65, v59, v132
	v_mul_f32_e32 v73, v60, v135
	v_fma_f32 v64, v58, v132, -v5
	v_mul_f32_e32 v5, v61, v135
	v_mov_b32_e32 v6, v67
	v_fmac_f32_e32 v73, v61, v134
	v_fma_f32 v72, v60, v134, -v5
	v_pk_add_f32 v[4:5], v[62:63], v[64:65]
	v_mov_b32_e32 v23, v7
	s_waitcnt lgkmcnt(2)
	v_pk_mul_f32 v[6:7], v[10:11], v[6:7] op_sel_hi:[1,0]
	v_pk_add_f32 v[4:5], v[4:5], v[72:73]
	v_pk_fma_f32 v[8:9], v[10:11], v[66:67], v[6:7] op_sel:[0,0,1] op_sel_hi:[1,1,0] neg_lo:[0,0,1] neg_hi:[0,0,1]
	v_pk_fma_f32 v[6:7], v[10:11], v[66:67], v[6:7] op_sel:[0,0,1] op_sel_hi:[1,0,0]
	v_pk_add_f32 v[4:5], v[4:5], v[24:25]
	s_waitcnt vmcnt(3)
	v_mov_b32_e32 v6, v81
	v_pk_add_f32 v[4:5], v[4:5], v[22:23]
	v_mov_b32_e32 v9, v7
	v_pk_mul_f32 v[6:7], v[12:13], v[6:7] op_sel_hi:[1,0]
	v_pk_add_f32 v[4:5], v[4:5], v[8:9]
	s_waitcnt vmcnt(2)
	v_pk_fma_f32 v[8:9], v[12:13], v[80:81], v[6:7] op_sel:[0,0,1] op_sel_hi:[1,1,0] neg_lo:[0,0,1] neg_hi:[0,0,1]
	v_pk_fma_f32 v[6:7], v[12:13], v[80:81], v[6:7] op_sel:[0,0,1] op_sel_hi:[1,0,0]
	v_mov_b32_e32 v6, v79
	v_mov_b32_e32 v9, v7
	s_waitcnt lgkmcnt(1)
	v_pk_mul_f32 v[6:7], v[14:15], v[6:7] op_sel_hi:[1,0]
	v_pk_add_f32 v[4:5], v[4:5], v[8:9]
	v_pk_fma_f32 v[8:9], v[14:15], v[78:79], v[6:7] op_sel:[0,0,1] op_sel_hi:[1,1,0] neg_lo:[0,0,1] neg_hi:[0,0,1]
	v_pk_fma_f32 v[6:7], v[14:15], v[78:79], v[6:7] op_sel:[0,0,1] op_sel_hi:[1,0,0]
	v_mov_b32_e32 v6, v77
	v_mov_b32_e32 v9, v7
	v_pk_mul_f32 v[6:7], v[16:17], v[6:7] op_sel_hi:[1,0]
	v_pk_add_f32 v[4:5], v[4:5], v[8:9]
	v_pk_fma_f32 v[8:9], v[16:17], v[76:77], v[6:7] op_sel:[0,0,1] op_sel_hi:[1,1,0] neg_lo:[0,0,1] neg_hi:[0,0,1]
	v_pk_fma_f32 v[6:7], v[16:17], v[76:77], v[6:7] op_sel:[0,0,1] op_sel_hi:[1,0,0]
	v_mov_b32_e32 v6, v75
	v_mov_b32_e32 v9, v7
	s_waitcnt lgkmcnt(0)
	v_pk_mul_f32 v[6:7], v[18:19], v[6:7] op_sel_hi:[1,0]
	v_pk_add_f32 v[4:5], v[4:5], v[8:9]
	v_pk_fma_f32 v[8:9], v[18:19], v[74:75], v[6:7] op_sel:[0,0,1] op_sel_hi:[1,1,0] neg_lo:[0,0,1] neg_hi:[0,0,1]
	v_pk_fma_f32 v[6:7], v[18:19], v[74:75], v[6:7] op_sel:[0,0,1] op_sel_hi:[1,0,0]
	s_waitcnt vmcnt(1)
	v_mov_b32_e32 v6, v83
	v_mov_b32_e32 v9, v7
	v_pk_mul_f32 v[6:7], v[20:21], v[6:7] op_sel_hi:[1,0]
	v_pk_add_f32 v[4:5], v[4:5], v[8:9]
	s_waitcnt vmcnt(0)
	v_pk_fma_f32 v[8:9], v[20:21], v[82:83], v[6:7] op_sel:[0,0,1] op_sel_hi:[1,1,0] neg_lo:[0,0,1] neg_hi:[0,0,1]
	v_pk_fma_f32 v[6:7], v[20:21], v[82:83], v[6:7] op_sel:[0,0,1] op_sel_hi:[1,0,0]
	v_mov_b32_e32 v9, v7
	v_pk_add_f32 v[4:5], v[4:5], v[8:9]
	v_pk_add_f32 v[2:3], v[2:3], v[4:5] neg_lo:[0,1] neg_hi:[0,1]
	buffer_store_dword v3, off, s[0:3], 0 offset:172
	buffer_store_dword v2, off, s[0:3], 0 offset:168
	s_and_saveexec_b64 s[4:5], vcc
	s_cbranch_execz .LBB57_321
; %bb.320:
	buffer_load_dword v2, off, s[0:3], 0 offset:160
	buffer_load_dword v3, off, s[0:3], 0 offset:164
	v_mov_b32_e32 v4, 0
	buffer_store_dword v4, off, s[0:3], 0 offset:160
	buffer_store_dword v4, off, s[0:3], 0 offset:164
	s_waitcnt vmcnt(2)
	ds_write_b64 v175, v[2:3]
.LBB57_321:
	s_or_b64 exec, exec, s[4:5]
	v_mov_b32_e32 v86, 0
	s_waitcnt lgkmcnt(0)
	; wave barrier
	s_waitcnt lgkmcnt(0)
	ds_read2_b64 v[2:5], v86 offset0:79 offset1:80
	buffer_load_dword v62, off, s[0:3], 0 offset:160
	buffer_load_dword v63, off, s[0:3], 0 offset:164
	;; [unrolled: 1-line block ×16, first 2 shown]
	ds_read2_b64 v[10:13], v86 offset0:81 offset1:82
	ds_read2_b64 v[14:17], v86 offset0:83 offset1:84
	;; [unrolled: 1-line block ×3, first 2 shown]
	buffer_load_dword v98, off, s[0:3], 0 offset:224
	buffer_load_dword v99, off, s[0:3], 0 offset:228
	ds_read2_b64 v[22:25], v86 offset0:87 offset1:88
	buffer_load_dword v100, off, s[0:3], 0 offset:232
	buffer_load_dword v101, off, s[0:3], 0 offset:236
	buffer_load_dword v102, off, s[0:3], 0 offset:240
	buffer_load_dword v103, off, s[0:3], 0 offset:244
	ds_read2_b64 v[26:29], v86 offset0:89 offset1:90
	buffer_load_dword v104, off, s[0:3], 0 offset:248
	buffer_load_dword v105, off, s[0:3], 0 offset:252
	;; [unrolled: 5-line block ×10, first 2 shown]
	buffer_load_dword v138, off, s[0:3], 0 offset:384
	buffer_load_dword v139, off, s[0:3], 0 offset:388
	v_cmp_lt_u32_e32 vcc, 19, v0
	s_waitcnt vmcnt(54) lgkmcnt(13)
	v_mul_f32_e32 v6, v2, v87
	v_fmac_f32_e32 v6, v3, v64
	s_waitcnt vmcnt(52)
	v_mul_f32_e32 v7, v4, v89
	v_add_f32_e32 v6, 0, v6
	v_fmac_f32_e32 v7, v5, v66
	v_add_f32_e32 v6, v6, v7
	s_waitcnt vmcnt(50) lgkmcnt(12)
	v_mul_f32_e32 v7, v10, v91
	v_fmac_f32_e32 v7, v11, v70
	v_add_f32_e32 v6, v6, v7
	s_waitcnt vmcnt(48)
	v_mul_f32_e32 v7, v12, v93
	v_fmac_f32_e32 v7, v13, v88
	v_add_f32_e32 v6, v6, v7
	s_waitcnt vmcnt(46) lgkmcnt(11)
	v_mul_f32_e32 v7, v14, v95
	v_fmac_f32_e32 v7, v15, v90
	v_add_f32_e32 v6, v6, v7
	s_waitcnt vmcnt(44)
	v_mul_f32_e32 v7, v16, v96
	v_fmac_f32_e32 v7, v17, v92
	v_add_f32_e32 v6, v6, v7
	s_waitcnt vmcnt(42) lgkmcnt(10)
	v_mul_f32_e32 v7, v18, v97
	v_fmac_f32_e32 v7, v19, v94
	v_add_f32_e32 v6, v6, v7
	s_waitcnt vmcnt(40)
	v_mul_f32_e32 v7, v20, v99
	v_fmac_f32_e32 v7, v21, v98
	v_add_f32_e32 v6, v6, v7
	s_waitcnt vmcnt(38) lgkmcnt(9)
	v_mul_f32_e32 v7, v22, v101
	v_fmac_f32_e32 v7, v23, v100
	v_add_f32_e32 v6, v6, v7
	s_waitcnt vmcnt(36)
	v_mul_f32_e32 v7, v24, v103
	v_fmac_f32_e32 v7, v25, v102
	v_add_f32_e32 v6, v6, v7
	s_waitcnt vmcnt(34) lgkmcnt(8)
	v_mul_f32_e32 v7, v26, v105
	v_fmac_f32_e32 v7, v27, v104
	v_add_f32_e32 v6, v6, v7
	s_waitcnt vmcnt(32)
	v_mul_f32_e32 v7, v28, v107
	v_fmac_f32_e32 v7, v29, v106
	v_add_f32_e32 v6, v6, v7
	s_waitcnt vmcnt(30) lgkmcnt(7)
	v_mul_f32_e32 v7, v30, v109
	v_fmac_f32_e32 v7, v31, v108
	v_add_f32_e32 v6, v6, v7
	s_waitcnt vmcnt(28)
	v_mul_f32_e32 v7, v32, v111
	v_fmac_f32_e32 v7, v33, v110
	v_add_f32_e32 v6, v6, v7
	s_waitcnt vmcnt(26) lgkmcnt(6)
	v_mul_f32_e32 v7, v34, v113
	v_fmac_f32_e32 v7, v35, v112
	v_add_f32_e32 v6, v6, v7
	s_waitcnt vmcnt(24)
	v_mul_f32_e32 v7, v36, v115
	v_fmac_f32_e32 v7, v37, v114
	v_add_f32_e32 v6, v6, v7
	s_waitcnt vmcnt(22) lgkmcnt(5)
	v_mul_f32_e32 v7, v38, v117
	v_fmac_f32_e32 v7, v39, v116
	v_add_f32_e32 v6, v6, v7
	s_waitcnt vmcnt(20)
	v_mul_f32_e32 v7, v40, v119
	v_fmac_f32_e32 v7, v41, v118
	v_add_f32_e32 v6, v6, v7
	s_waitcnt vmcnt(18) lgkmcnt(4)
	v_mul_f32_e32 v7, v42, v121
	v_fmac_f32_e32 v7, v43, v120
	v_add_f32_e32 v6, v6, v7
	s_waitcnt vmcnt(16)
	v_mul_f32_e32 v7, v44, v123
	v_fmac_f32_e32 v7, v45, v122
	v_add_f32_e32 v6, v6, v7
	s_waitcnt vmcnt(14) lgkmcnt(3)
	v_mul_f32_e32 v7, v46, v125
	v_fmac_f32_e32 v7, v47, v124
	v_add_f32_e32 v6, v6, v7
	s_waitcnt vmcnt(12)
	v_mul_f32_e32 v7, v48, v127
	v_fmac_f32_e32 v7, v49, v126
	v_add_f32_e32 v6, v6, v7
	s_waitcnt vmcnt(10) lgkmcnt(2)
	v_mul_f32_e32 v7, v50, v129
	v_fmac_f32_e32 v7, v51, v128
	v_add_f32_e32 v6, v6, v7
	s_waitcnt vmcnt(8)
	v_mul_f32_e32 v7, v52, v131
	v_fmac_f32_e32 v7, v53, v130
	v_add_f32_e32 v6, v6, v7
	s_waitcnt vmcnt(6) lgkmcnt(1)
	v_mul_f32_e32 v7, v54, v133
	v_fmac_f32_e32 v7, v55, v132
	v_add_f32_e32 v6, v6, v7
	s_waitcnt vmcnt(4)
	v_mul_f32_e32 v7, v56, v135
	v_fmac_f32_e32 v7, v57, v134
	v_add_f32_e32 v6, v6, v7
	s_waitcnt vmcnt(2) lgkmcnt(0)
	v_mul_f32_e32 v7, v58, v137
	v_fmac_f32_e32 v7, v59, v136
	v_add_f32_e32 v65, v6, v7
	ds_read2_b64 v[6:9], v86 offset0:107 offset1:108
	buffer_load_dword v140, off, s[0:3], 0 offset:392
	buffer_load_dword v141, off, s[0:3], 0 offset:396
	;; [unrolled: 1-line block ×18, first 2 shown]
	v_mul_f32_e32 v3, v3, v87
	v_fma_f32 v2, v2, v64, -v3
	v_mul_f32_e32 v3, v5, v89
	v_add_f32_e32 v2, 0, v2
	v_fma_f32 v3, v4, v66, -v3
	v_add_f32_e32 v2, v2, v3
	v_mul_f32_e32 v3, v11, v91
	v_fma_f32 v3, v10, v70, -v3
	v_add_f32_e32 v2, v2, v3
	v_mul_f32_e32 v3, v13, v93
	;; [unrolled: 3-line block ×25, first 2 shown]
	v_fma_f32 v3, v58, v136, -v3
	s_waitcnt vmcnt(18)
	v_mul_f32_e32 v67, v60, v139
	v_add_f32_e32 v64, v2, v3
	v_mul_f32_e32 v2, v61, v139
	s_waitcnt vmcnt(15)
	v_mov_b32_e32 v20, v69
	v_fmac_f32_e32 v67, v61, v138
	s_waitcnt lgkmcnt(0)
	v_mul_f32_e32 v71, v6, v141
	v_fma_f32 v66, v60, v138, -v2
	v_mul_f32_e32 v2, v7, v141
	v_pk_mul_f32 v[20:21], v[8:9], v[20:21] op_sel_hi:[1,0]
	v_fmac_f32_e32 v71, v7, v140
	v_fma_f32 v70, v6, v140, -v2
	v_pk_add_f32 v[18:19], v[64:65], v[66:67]
	s_waitcnt vmcnt(14)
	v_pk_fma_f32 v[22:23], v[8:9], v[68:69], v[20:21] op_sel:[0,0,1] op_sel_hi:[1,1,0] neg_lo:[0,0,1] neg_hi:[0,0,1]
	v_pk_fma_f32 v[8:9], v[8:9], v[68:69], v[20:21] op_sel:[0,0,1] op_sel_hi:[1,0,0]
	ds_read2_b64 v[2:5], v86 offset0:109 offset1:110
	ds_read2_b64 v[10:13], v86 offset0:111 offset1:112
	ds_read2_b64 v[14:17], v86 offset0:113 offset1:114
	ds_read_b64 v[6:7], v86 offset:920
	v_pk_add_f32 v[18:19], v[18:19], v[70:71]
	v_mov_b32_e32 v23, v9
	v_pk_add_f32 v[8:9], v[18:19], v[22:23]
	s_waitcnt vmcnt(13)
	v_mov_b32_e32 v18, v85
	s_waitcnt lgkmcnt(3)
	v_pk_mul_f32 v[18:19], v[2:3], v[18:19] op_sel_hi:[1,0]
	s_waitcnt vmcnt(12)
	v_pk_fma_f32 v[20:21], v[2:3], v[84:85], v[18:19] op_sel:[0,0,1] op_sel_hi:[1,1,0] neg_lo:[0,0,1] neg_hi:[0,0,1]
	v_pk_fma_f32 v[2:3], v[2:3], v[84:85], v[18:19] op_sel:[0,0,1] op_sel_hi:[1,0,0]
	v_mov_b32_e32 v21, v3
	v_pk_add_f32 v[2:3], v[8:9], v[20:21]
	s_waitcnt vmcnt(11)
	v_mov_b32_e32 v8, v83
	v_pk_mul_f32 v[8:9], v[4:5], v[8:9] op_sel_hi:[1,0]
	s_waitcnt vmcnt(10)
	v_pk_fma_f32 v[18:19], v[4:5], v[82:83], v[8:9] op_sel:[0,0,1] op_sel_hi:[1,1,0] neg_lo:[0,0,1] neg_hi:[0,0,1]
	v_pk_fma_f32 v[4:5], v[4:5], v[82:83], v[8:9] op_sel:[0,0,1] op_sel_hi:[1,0,0]
	s_waitcnt vmcnt(9)
	v_mov_b32_e32 v4, v81
	v_mov_b32_e32 v19, v5
	s_waitcnt lgkmcnt(2)
	v_pk_mul_f32 v[4:5], v[10:11], v[4:5] op_sel_hi:[1,0]
	s_waitcnt vmcnt(8)
	v_pk_fma_f32 v[8:9], v[10:11], v[80:81], v[4:5] op_sel:[0,0,1] op_sel_hi:[1,1,0] neg_lo:[0,0,1] neg_hi:[0,0,1]
	v_pk_fma_f32 v[4:5], v[10:11], v[80:81], v[4:5] op_sel:[0,0,1] op_sel_hi:[1,0,0]
	s_waitcnt vmcnt(7)
	v_mov_b32_e32 v4, v79
	v_pk_add_f32 v[2:3], v[2:3], v[18:19]
	v_mov_b32_e32 v9, v5
	v_pk_mul_f32 v[4:5], v[12:13], v[4:5] op_sel_hi:[1,0]
	v_pk_add_f32 v[2:3], v[2:3], v[8:9]
	s_waitcnt vmcnt(6)
	v_pk_fma_f32 v[8:9], v[12:13], v[78:79], v[4:5] op_sel:[0,0,1] op_sel_hi:[1,1,0] neg_lo:[0,0,1] neg_hi:[0,0,1]
	v_pk_fma_f32 v[4:5], v[12:13], v[78:79], v[4:5] op_sel:[0,0,1] op_sel_hi:[1,0,0]
	s_waitcnt vmcnt(5)
	v_mov_b32_e32 v4, v77
	v_mov_b32_e32 v9, v5
	s_waitcnt lgkmcnt(1)
	v_pk_mul_f32 v[4:5], v[14:15], v[4:5] op_sel_hi:[1,0]
	v_pk_add_f32 v[2:3], v[2:3], v[8:9]
	s_waitcnt vmcnt(4)
	v_pk_fma_f32 v[8:9], v[14:15], v[76:77], v[4:5] op_sel:[0,0,1] op_sel_hi:[1,1,0] neg_lo:[0,0,1] neg_hi:[0,0,1]
	v_pk_fma_f32 v[4:5], v[14:15], v[76:77], v[4:5] op_sel:[0,0,1] op_sel_hi:[1,0,0]
	s_waitcnt vmcnt(3)
	v_mov_b32_e32 v4, v75
	v_mov_b32_e32 v9, v5
	v_pk_mul_f32 v[4:5], v[16:17], v[4:5] op_sel_hi:[1,0]
	v_pk_add_f32 v[2:3], v[2:3], v[8:9]
	s_waitcnt vmcnt(2)
	v_pk_fma_f32 v[8:9], v[16:17], v[74:75], v[4:5] op_sel:[0,0,1] op_sel_hi:[1,1,0] neg_lo:[0,0,1] neg_hi:[0,0,1]
	v_pk_fma_f32 v[4:5], v[16:17], v[74:75], v[4:5] op_sel:[0,0,1] op_sel_hi:[1,0,0]
	s_waitcnt vmcnt(1)
	v_mov_b32_e32 v4, v73
	v_mov_b32_e32 v9, v5
	s_waitcnt lgkmcnt(0)
	v_pk_mul_f32 v[4:5], v[6:7], v[4:5] op_sel_hi:[1,0]
	v_pk_add_f32 v[2:3], v[2:3], v[8:9]
	s_waitcnt vmcnt(0)
	v_pk_fma_f32 v[8:9], v[6:7], v[72:73], v[4:5] op_sel:[0,0,1] op_sel_hi:[1,1,0] neg_lo:[0,0,1] neg_hi:[0,0,1]
	v_pk_fma_f32 v[4:5], v[6:7], v[72:73], v[4:5] op_sel:[0,0,1] op_sel_hi:[1,0,0]
	v_mov_b32_e32 v9, v5
	v_pk_add_f32 v[2:3], v[2:3], v[8:9]
	v_pk_add_f32 v[2:3], v[62:63], v[2:3] neg_lo:[0,1] neg_hi:[0,1]
	buffer_store_dword v3, off, s[0:3], 0 offset:164
	buffer_store_dword v2, off, s[0:3], 0 offset:160
	s_and_saveexec_b64 s[4:5], vcc
	s_cbranch_execz .LBB57_323
; %bb.322:
	buffer_load_dword v2, off, s[0:3], 0 offset:152
	buffer_load_dword v3, off, s[0:3], 0 offset:156
	s_waitcnt vmcnt(0)
	ds_write_b64 v175, v[2:3]
	buffer_store_dword v86, off, s[0:3], 0 offset:152
	buffer_store_dword v86, off, s[0:3], 0 offset:156
.LBB57_323:
	s_or_b64 exec, exec, s[4:5]
	s_waitcnt lgkmcnt(0)
	; wave barrier
	s_waitcnt lgkmcnt(0)
	buffer_load_dword v70, off, s[0:3], 0 offset:164
	buffer_load_dword v72, off, s[0:3], 0 offset:172
	;; [unrolled: 1-line block ×32, first 2 shown]
	ds_read_b128 v[16:19], v86 offset:624
	ds_read_b128 v[6:9], v86 offset:640
	buffer_load_dword v118, off, s[0:3], 0 offset:280
	buffer_load_dword v119, off, s[0:3], 0 offset:284
	ds_read_b128 v[10:13], v86 offset:656
	ds_read_b128 v[2:5], v86 offset:672
	buffer_load_dword v120, off, s[0:3], 0 offset:288
	buffer_load_dword v121, off, s[0:3], 0 offset:292
	;; [unrolled: 1-line block ×28, first 2 shown]
	v_cmp_lt_u32_e32 vcc, 18, v0
	s_waitcnt vmcnt(61) lgkmcnt(3)
	v_mul_f32_e32 v20, v16, v70
	s_waitcnt vmcnt(60)
	v_mul_f32_e32 v21, v18, v72
	s_waitcnt vmcnt(59) lgkmcnt(2)
	v_mul_f32_e32 v23, v8, v74
	s_waitcnt vmcnt(58) lgkmcnt(1)
	v_mul_f32_e32 v24, v10, v87
	s_waitcnt vmcnt(57)
	v_mul_f32_e32 v25, v12, v92
	s_waitcnt vmcnt(56)
	;; [unrolled: 2-line block ×3, first 2 shown]
	v_fmac_f32_e32 v22, v7, v94
	s_waitcnt vmcnt(54)
	v_fmac_f32_e32 v21, v19, v95
	s_waitcnt vmcnt(53)
	v_fmac_f32_e32 v20, v17, v96
	v_add_f32_e32 v20, 0, v20
	v_add_f32_e32 v20, v20, v21
	;; [unrolled: 1-line block ×3, first 2 shown]
	s_waitcnt vmcnt(49)
	v_fmac_f32_e32 v24, v11, v100
	s_waitcnt vmcnt(48)
	v_fmac_f32_e32 v23, v9, v101
	v_add_f32_e32 v20, v20, v23
	s_waitcnt lgkmcnt(0)
	v_mul_f32_e32 v26, v2, v97
	v_fmac_f32_e32 v25, v13, v99
	v_add_f32_e32 v20, v20, v24
	v_fmac_f32_e32 v26, v3, v98
	v_add_f32_e32 v20, v20, v25
	v_add_f32_e32 v24, v20, v26
	ds_read_b128 v[20:23], v86 offset:688
	s_waitcnt vmcnt(44)
	v_mul_f32_e32 v25, v4, v105
	s_waitcnt vmcnt(43)
	v_fmac_f32_e32 v25, v5, v106
	v_add_f32_e32 v28, v24, v25
	ds_read_b128 v[24:27], v86 offset:704
	s_waitcnt vmcnt(42) lgkmcnt(1)
	v_mul_f32_e32 v29, v20, v107
	v_fmac_f32_e32 v29, v21, v104
	v_add_f32_e32 v28, v28, v29
	s_waitcnt vmcnt(41)
	v_mul_f32_e32 v29, v22, v108
	v_fmac_f32_e32 v29, v23, v103
	v_add_f32_e32 v28, v28, v29
	s_waitcnt vmcnt(40) lgkmcnt(0)
	v_mul_f32_e32 v29, v24, v109
	v_fmac_f32_e32 v29, v25, v102
	v_add_f32_e32 v32, v28, v29
	ds_read_b128 v[28:31], v86 offset:720
	s_waitcnt vmcnt(34)
	v_mul_f32_e32 v33, v26, v115
	s_waitcnt vmcnt(33)
	v_fmac_f32_e32 v33, v27, v116
	v_add_f32_e32 v36, v32, v33
	ds_read_b128 v[32:35], v86 offset:736
	s_waitcnt vmcnt(32) lgkmcnt(1)
	v_mul_f32_e32 v37, v28, v117
	v_fmac_f32_e32 v37, v29, v114
	v_add_f32_e32 v36, v36, v37
	v_mul_f32_e32 v37, v30, v111
	v_fmac_f32_e32 v37, v31, v110
	v_add_f32_e32 v36, v36, v37
	s_waitcnt lgkmcnt(0)
	v_mul_f32_e32 v37, v32, v113
	v_fmac_f32_e32 v37, v33, v112
	v_add_f32_e32 v40, v36, v37
	ds_read_b128 v[36:39], v86 offset:752
	s_waitcnt vmcnt(28)
	v_mul_f32_e32 v41, v34, v119
	v_fmac_f32_e32 v41, v35, v118
	v_add_f32_e32 v44, v40, v41
	ds_read_b128 v[40:43], v86 offset:768
	s_waitcnt vmcnt(26) lgkmcnt(1)
	v_mul_f32_e32 v45, v36, v121
	v_fmac_f32_e32 v45, v37, v120
	v_add_f32_e32 v44, v44, v45
	s_waitcnt vmcnt(24)
	v_mul_f32_e32 v45, v38, v123
	v_fmac_f32_e32 v45, v39, v122
	v_add_f32_e32 v44, v44, v45
	s_waitcnt vmcnt(22) lgkmcnt(0)
	v_mul_f32_e32 v45, v40, v125
	v_fmac_f32_e32 v45, v41, v124
	v_add_f32_e32 v48, v44, v45
	ds_read_b128 v[44:47], v86 offset:784
	s_waitcnt vmcnt(20)
	v_mul_f32_e32 v49, v42, v127
	v_fmac_f32_e32 v49, v43, v126
	v_add_f32_e32 v52, v48, v49
	ds_read_b128 v[48:51], v86 offset:800
	s_waitcnt vmcnt(18) lgkmcnt(1)
	v_mul_f32_e32 v53, v44, v129
	v_fmac_f32_e32 v53, v45, v128
	v_add_f32_e32 v52, v52, v53
	s_waitcnt vmcnt(16)
	v_mul_f32_e32 v53, v46, v131
	v_fmac_f32_e32 v53, v47, v130
	v_add_f32_e32 v52, v52, v53
	s_waitcnt vmcnt(14) lgkmcnt(0)
	v_mul_f32_e32 v53, v48, v133
	v_fmac_f32_e32 v53, v49, v132
	v_add_f32_e32 v56, v52, v53
	ds_read_b128 v[52:55], v86 offset:816
	s_waitcnt vmcnt(12)
	v_mul_f32_e32 v57, v50, v135
	v_fmac_f32_e32 v57, v51, v134
	v_add_f32_e32 v60, v56, v57
	ds_read_b128 v[56:59], v86 offset:832
	buffer_load_dword v69, off, s[0:3], 0 offset:404
	buffer_load_dword v68, off, s[0:3], 0 offset:400
	s_waitcnt vmcnt(12) lgkmcnt(1)
	v_mul_f32_e32 v61, v52, v137
	v_fmac_f32_e32 v61, v53, v136
	v_add_f32_e32 v60, v60, v61
	s_waitcnt vmcnt(10)
	v_mul_f32_e32 v61, v54, v139
	v_fmac_f32_e32 v61, v55, v138
	v_add_f32_e32 v60, v60, v61
	s_waitcnt vmcnt(8) lgkmcnt(0)
	v_mul_f32_e32 v61, v56, v141
	v_fmac_f32_e32 v61, v57, v140
	s_waitcnt vmcnt(6)
	v_mul_f32_e32 v65, v58, v143
	v_add_f32_e32 v64, v60, v61
	v_fmac_f32_e32 v65, v59, v142
	ds_read_b128 v[60:63], v86 offset:848
	v_add_f32_e32 v71, v64, v65
	ds_read_b128 v[64:67], v86 offset:864
	buffer_load_dword v77, off, s[0:3], 0 offset:436
	buffer_load_dword v76, off, s[0:3], 0 offset:432
	buffer_load_dword v79, off, s[0:3], 0 offset:428
	buffer_load_dword v78, off, s[0:3], 0 offset:424
	buffer_load_dword v81, off, s[0:3], 0 offset:420
	buffer_load_dword v80, off, s[0:3], 0 offset:416
	buffer_load_dword v83, off, s[0:3], 0 offset:412
	buffer_load_dword v82, off, s[0:3], 0 offset:408
	buffer_load_dword v85, off, s[0:3], 0 offset:460
	buffer_load_dword v84, off, s[0:3], 0 offset:456
	buffer_load_dword v89, off, s[0:3], 0 offset:452
	buffer_load_dword v88, off, s[0:3], 0 offset:448
	buffer_load_dword v91, off, s[0:3], 0 offset:444
	buffer_load_dword v90, off, s[0:3], 0 offset:440
	v_mul_f32_e32 v17, v17, v70
	v_fma_f32 v16, v16, v96, -v17
	v_mul_f32_e32 v17, v19, v72
	v_add_f32_e32 v16, 0, v16
	v_fma_f32 v17, v18, v95, -v17
	v_mul_f32_e32 v7, v7, v93
	v_add_f32_e32 v16, v16, v17
	;; [unrolled: 3-line block ×3, first 2 shown]
	v_fma_f32 v7, v8, v101, -v7
	v_add_f32_e32 v6, v6, v7
	v_mul_f32_e32 v7, v11, v87
	v_fma_f32 v7, v10, v100, -v7
	v_add_f32_e32 v6, v6, v7
	v_mul_f32_e32 v7, v13, v92
	v_fma_f32 v7, v12, v99, -v7
	v_mul_f32_e32 v3, v3, v97
	v_add_f32_e32 v6, v6, v7
	v_fma_f32 v2, v2, v98, -v3
	v_mul_f32_e32 v3, v5, v105
	v_add_f32_e32 v2, v6, v2
	v_fma_f32 v3, v4, v106, -v3
	v_add_f32_e32 v2, v2, v3
	v_mul_f32_e32 v3, v21, v107
	v_fma_f32 v3, v20, v104, -v3
	v_add_f32_e32 v2, v2, v3
	v_mul_f32_e32 v3, v23, v108
	;; [unrolled: 3-line block ×20, first 2 shown]
	v_fma_f32 v3, v58, v142, -v3
	s_waitcnt vmcnt(15)
	v_mov_b32_e32 v18, v69
	s_waitcnt lgkmcnt(1)
	v_mul_f32_e32 v73, v60, v145
	v_add_f32_e32 v70, v2, v3
	v_mul_f32_e32 v2, v61, v145
	s_waitcnt lgkmcnt(0)
	v_pk_mul_f32 v[18:19], v[64:65], v[18:19] op_sel_hi:[1,0]
	v_fmac_f32_e32 v73, v61, v144
	v_mul_f32_e32 v75, v62, v147
	v_fma_f32 v72, v60, v144, -v2
	v_mul_f32_e32 v2, v63, v147
	s_waitcnt vmcnt(14)
	v_pk_fma_f32 v[20:21], v[64:65], v[68:69], v[18:19] op_sel:[0,0,1] op_sel_hi:[1,1,0] neg_lo:[0,0,1] neg_hi:[0,0,1]
	v_pk_fma_f32 v[18:19], v[64:65], v[68:69], v[18:19] op_sel:[0,0,1] op_sel_hi:[1,0,0]
	v_fmac_f32_e32 v75, v63, v146
	v_fma_f32 v74, v62, v146, -v2
	v_pk_add_f32 v[16:17], v[70:71], v[72:73]
	s_waitcnt vmcnt(7)
	v_mov_b32_e32 v18, v83
	ds_read_b128 v[2:5], v86 offset:880
	ds_read_b128 v[6:9], v86 offset:896
	;; [unrolled: 1-line block ×3, first 2 shown]
	v_pk_add_f32 v[16:17], v[16:17], v[74:75]
	v_mov_b32_e32 v21, v19
	v_pk_mul_f32 v[18:19], v[66:67], v[18:19] op_sel_hi:[1,0]
	v_pk_add_f32 v[16:17], v[16:17], v[20:21]
	s_waitcnt vmcnt(6)
	v_pk_fma_f32 v[20:21], v[66:67], v[82:83], v[18:19] op_sel:[0,0,1] op_sel_hi:[1,1,0] neg_lo:[0,0,1] neg_hi:[0,0,1]
	v_pk_fma_f32 v[18:19], v[66:67], v[82:83], v[18:19] op_sel:[0,0,1] op_sel_hi:[1,0,0]
	v_mov_b32_e32 v18, v81
	v_mov_b32_e32 v21, v19
	s_waitcnt lgkmcnt(2)
	v_pk_mul_f32 v[18:19], v[2:3], v[18:19] op_sel_hi:[1,0]
	v_pk_add_f32 v[16:17], v[16:17], v[20:21]
	v_pk_fma_f32 v[20:21], v[2:3], v[80:81], v[18:19] op_sel:[0,0,1] op_sel_hi:[1,1,0] neg_lo:[0,0,1] neg_hi:[0,0,1]
	v_pk_fma_f32 v[2:3], v[2:3], v[80:81], v[18:19] op_sel:[0,0,1] op_sel_hi:[1,0,0]
	v_mov_b32_e32 v21, v3
	v_pk_add_f32 v[2:3], v[16:17], v[20:21]
	v_mov_b32_e32 v16, v79
	v_pk_mul_f32 v[16:17], v[4:5], v[16:17] op_sel_hi:[1,0]
	v_pk_fma_f32 v[18:19], v[4:5], v[78:79], v[16:17] op_sel:[0,0,1] op_sel_hi:[1,1,0] neg_lo:[0,0,1] neg_hi:[0,0,1]
	v_pk_fma_f32 v[4:5], v[4:5], v[78:79], v[16:17] op_sel:[0,0,1] op_sel_hi:[1,0,0]
	v_mov_b32_e32 v4, v77
	v_mov_b32_e32 v19, v5
	s_waitcnt lgkmcnt(1)
	v_pk_mul_f32 v[4:5], v[6:7], v[4:5] op_sel_hi:[1,0]
	v_pk_fma_f32 v[16:17], v[6:7], v[76:77], v[4:5] op_sel:[0,0,1] op_sel_hi:[1,1,0] neg_lo:[0,0,1] neg_hi:[0,0,1]
	v_pk_fma_f32 v[4:5], v[6:7], v[76:77], v[4:5] op_sel:[0,0,1] op_sel_hi:[1,0,0]
	s_waitcnt vmcnt(1)
	v_mov_b32_e32 v4, v91
	v_mov_b32_e32 v17, v5
	v_pk_mul_f32 v[4:5], v[8:9], v[4:5] op_sel_hi:[1,0]
	s_waitcnt vmcnt(0)
	v_pk_fma_f32 v[6:7], v[8:9], v[90:91], v[4:5] op_sel:[0,0,1] op_sel_hi:[1,1,0] neg_lo:[0,0,1] neg_hi:[0,0,1]
	v_pk_fma_f32 v[4:5], v[8:9], v[90:91], v[4:5] op_sel:[0,0,1] op_sel_hi:[1,0,0]
	v_pk_add_f32 v[2:3], v[2:3], v[18:19]
	v_mov_b32_e32 v4, v89
	v_pk_add_f32 v[2:3], v[2:3], v[16:17]
	v_mov_b32_e32 v7, v5
	s_waitcnt lgkmcnt(0)
	v_pk_mul_f32 v[4:5], v[10:11], v[4:5] op_sel_hi:[1,0]
	v_pk_add_f32 v[2:3], v[2:3], v[6:7]
	v_pk_fma_f32 v[6:7], v[10:11], v[88:89], v[4:5] op_sel:[0,0,1] op_sel_hi:[1,1,0] neg_lo:[0,0,1] neg_hi:[0,0,1]
	v_pk_fma_f32 v[4:5], v[10:11], v[88:89], v[4:5] op_sel:[0,0,1] op_sel_hi:[1,0,0]
	v_mov_b32_e32 v4, v85
	v_mov_b32_e32 v7, v5
	v_pk_mul_f32 v[4:5], v[12:13], v[4:5] op_sel_hi:[1,0]
	v_pk_add_f32 v[2:3], v[2:3], v[6:7]
	v_pk_fma_f32 v[6:7], v[12:13], v[84:85], v[4:5] op_sel:[0,0,1] op_sel_hi:[1,1,0] neg_lo:[0,0,1] neg_hi:[0,0,1]
	v_pk_fma_f32 v[4:5], v[12:13], v[84:85], v[4:5] op_sel:[0,0,1] op_sel_hi:[1,0,0]
	v_mov_b32_e32 v7, v5
	v_pk_add_f32 v[2:3], v[2:3], v[6:7]
	v_pk_add_f32 v[2:3], v[14:15], v[2:3] neg_lo:[0,1] neg_hi:[0,1]
	buffer_store_dword v3, off, s[0:3], 0 offset:156
	buffer_store_dword v2, off, s[0:3], 0 offset:152
	s_and_saveexec_b64 s[4:5], vcc
	s_cbranch_execz .LBB57_325
; %bb.324:
	buffer_load_dword v2, off, s[0:3], 0 offset:144
	buffer_load_dword v3, off, s[0:3], 0 offset:148
	v_mov_b32_e32 v4, 0
	buffer_store_dword v4, off, s[0:3], 0 offset:144
	buffer_store_dword v4, off, s[0:3], 0 offset:148
	s_waitcnt vmcnt(2)
	ds_write_b64 v175, v[2:3]
.LBB57_325:
	s_or_b64 exec, exec, s[4:5]
	s_waitcnt lgkmcnt(0)
	; wave barrier
	s_waitcnt lgkmcnt(0)
	buffer_load_dword v21, off, s[0:3], 0 offset:156
	buffer_load_dword v70, off, s[0:3], 0 offset:164
	;; [unrolled: 1-line block ×48, first 2 shown]
	v_mov_b32_e32 v20, 0
	ds_read2_b64 v[2:5], v20 offset0:77 offset1:78
	buffer_load_dword v134, off, s[0:3], 0 offset:336
	buffer_load_dword v135, off, s[0:3], 0 offset:340
	;; [unrolled: 1-line block ×8, first 2 shown]
	ds_read2_b64 v[8:11], v20 offset0:79 offset1:80
	ds_read2_b64 v[12:15], v20 offset0:81 offset1:82
	ds_read2_b64 v[16:19], v20 offset0:83 offset1:84
	buffer_load_dword v142, off, s[0:3], 0 offset:368
	buffer_load_dword v143, off, s[0:3], 0 offset:372
	;; [unrolled: 1-line block ×8, first 2 shown]
	v_cmp_lt_u32_e32 vcc, 17, v0
	s_waitcnt vmcnt(62) lgkmcnt(3)
	v_mul_f32_e32 v22, v2, v21
	v_mul_f32_e32 v23, v4, v70
	s_waitcnt vmcnt(61) lgkmcnt(2)
	v_mul_f32_e32 v25, v10, v72
	s_waitcnt vmcnt(60) lgkmcnt(1)
	v_mul_f32_e32 v26, v12, v74
	s_waitcnt vmcnt(59)
	v_mul_f32_e32 v27, v14, v92
	s_waitcnt vmcnt(58)
	;; [unrolled: 2-line block ×3, first 2 shown]
	v_fmac_f32_e32 v24, v9, v94
	s_waitcnt vmcnt(56)
	v_fmac_f32_e32 v23, v5, v95
	s_waitcnt vmcnt(55)
	v_fmac_f32_e32 v22, v3, v96
	v_add_f32_e32 v22, 0, v22
	v_add_f32_e32 v22, v22, v23
	;; [unrolled: 1-line block ×3, first 2 shown]
	s_waitcnt vmcnt(51)
	v_fmac_f32_e32 v26, v13, v100
	s_waitcnt vmcnt(50)
	v_fmac_f32_e32 v25, v11, v101
	v_add_f32_e32 v22, v22, v25
	s_waitcnt lgkmcnt(0)
	v_mul_f32_e32 v28, v16, v97
	v_fmac_f32_e32 v27, v15, v99
	v_add_f32_e32 v22, v22, v26
	v_fmac_f32_e32 v28, v17, v98
	v_add_f32_e32 v22, v22, v27
	v_add_f32_e32 v26, v22, v28
	ds_read2_b64 v[22:25], v20 offset0:85 offset1:86
	s_waitcnt vmcnt(45)
	v_mul_f32_e32 v27, v18, v106
	s_waitcnt vmcnt(44)
	v_fmac_f32_e32 v27, v19, v107
	v_add_f32_e32 v30, v26, v27
	ds_read2_b64 v[26:29], v20 offset0:87 offset1:88
	s_waitcnt vmcnt(43) lgkmcnt(1)
	v_mul_f32_e32 v31, v22, v108
	v_fmac_f32_e32 v31, v23, v105
	v_add_f32_e32 v30, v30, v31
	s_waitcnt vmcnt(42)
	v_mul_f32_e32 v31, v24, v109
	v_fmac_f32_e32 v31, v25, v104
	v_add_f32_e32 v30, v30, v31
	s_waitcnt lgkmcnt(0)
	v_mul_f32_e32 v31, v26, v103
	v_fmac_f32_e32 v31, v27, v102
	v_add_f32_e32 v34, v30, v31
	ds_read2_b64 v[30:33], v20 offset0:89 offset1:90
	s_waitcnt vmcnt(38)
	v_mul_f32_e32 v35, v28, v111
	v_fmac_f32_e32 v35, v29, v110
	v_add_f32_e32 v38, v34, v35
	ds_read2_b64 v[34:37], v20 offset0:91 offset1:92
	s_waitcnt vmcnt(36) lgkmcnt(1)
	v_mul_f32_e32 v39, v30, v113
	v_fmac_f32_e32 v39, v31, v112
	v_add_f32_e32 v38, v38, v39
	s_waitcnt vmcnt(34)
	v_mul_f32_e32 v39, v32, v115
	v_fmac_f32_e32 v39, v33, v114
	v_add_f32_e32 v38, v38, v39
	s_waitcnt vmcnt(32) lgkmcnt(0)
	v_mul_f32_e32 v39, v34, v117
	v_fmac_f32_e32 v39, v35, v116
	v_add_f32_e32 v42, v38, v39
	ds_read2_b64 v[38:41], v20 offset0:93 offset1:94
	s_waitcnt vmcnt(30)
	v_mul_f32_e32 v43, v36, v119
	v_fmac_f32_e32 v43, v37, v118
	v_add_f32_e32 v46, v42, v43
	ds_read2_b64 v[42:45], v20 offset0:95 offset1:96
	s_waitcnt vmcnt(28) lgkmcnt(1)
	v_mul_f32_e32 v47, v38, v121
	v_fmac_f32_e32 v47, v39, v120
	v_add_f32_e32 v46, v46, v47
	s_waitcnt vmcnt(26)
	v_mul_f32_e32 v47, v40, v123
	v_fmac_f32_e32 v47, v41, v122
	v_add_f32_e32 v46, v46, v47
	s_waitcnt vmcnt(24) lgkmcnt(0)
	;; [unrolled: 18-line block ×4, first 2 shown]
	v_mul_f32_e32 v63, v58, v141
	v_fmac_f32_e32 v63, v59, v140
	s_waitcnt vmcnt(6)
	v_mul_f32_e32 v67, v60, v143
	v_add_f32_e32 v66, v62, v63
	v_fmac_f32_e32 v67, v61, v142
	ds_read2_b64 v[62:65], v20 offset0:105 offset1:106
	v_add_f32_e32 v71, v66, v67
	ds_read2_b64 v[66:69], v20 offset0:107 offset1:108
	buffer_load_dword v77, off, s[0:3], 0 offset:428
	buffer_load_dword v76, off, s[0:3], 0 offset:424
	;; [unrolled: 1-line block ×16, first 2 shown]
	v_mul_f32_e32 v3, v3, v21
	v_fma_f32 v2, v2, v96, -v3
	v_mul_f32_e32 v3, v5, v70
	v_add_f32_e32 v2, 0, v2
	v_fma_f32 v3, v4, v95, -v3
	v_add_f32_e32 v2, v2, v3
	v_mul_f32_e32 v3, v9, v93
	v_fma_f32 v3, v8, v94, -v3
	v_add_f32_e32 v2, v2, v3
	v_mul_f32_e32 v3, v11, v72
	;; [unrolled: 3-line block ×26, first 2 shown]
	v_fma_f32 v3, v60, v142, -v3
	v_add_f32_e32 v2, v2, v3
	s_waitcnt vmcnt(20) lgkmcnt(1)
	v_mul_f32_e32 v3, v63, v145
	v_mul_f32_e32 v73, v62, v145
	v_fma_f32 v3, v62, v144, -v3
	v_fmac_f32_e32 v73, v63, v144
	v_add_f32_e32 v70, v2, v3
	s_waitcnt vmcnt(18)
	v_mul_f32_e32 v2, v65, v147
	s_waitcnt vmcnt(9)
	v_mov_b32_e32 v22, v83
	v_add_f32_e32 v71, v71, v73
	v_mul_f32_e32 v73, v64, v147
	v_fma_f32 v72, v64, v146, -v2
	s_waitcnt lgkmcnt(0)
	v_mul_f32_e32 v2, v67, v149
	v_pk_mul_f32 v[22:23], v[68:69], v[22:23] op_sel_hi:[1,0]
	v_fmac_f32_e32 v73, v65, v146
	v_mul_f32_e32 v75, v66, v149
	v_fma_f32 v74, v66, v148, -v2
	ds_read2_b64 v[2:5], v20 offset0:109 offset1:110
	ds_read2_b64 v[8:11], v20 offset0:111 offset1:112
	;; [unrolled: 1-line block ×3, first 2 shown]
	ds_read_b64 v[16:17], v20 offset:920
	s_waitcnt vmcnt(8)
	v_pk_fma_f32 v[24:25], v[68:69], v[82:83], v[22:23] op_sel:[0,0,1] op_sel_hi:[1,1,0] neg_lo:[0,0,1] neg_hi:[0,0,1]
	v_pk_fma_f32 v[22:23], v[68:69], v[82:83], v[22:23] op_sel:[0,0,1] op_sel_hi:[1,0,0]
	v_fmac_f32_e32 v75, v67, v148
	v_pk_add_f32 v[18:19], v[70:71], v[72:73]
	v_mov_b32_e32 v22, v81
	v_pk_add_f32 v[18:19], v[18:19], v[74:75]
	v_mov_b32_e32 v25, v23
	s_waitcnt lgkmcnt(3)
	v_pk_mul_f32 v[22:23], v[2:3], v[22:23] op_sel_hi:[1,0]
	v_pk_add_f32 v[18:19], v[18:19], v[24:25]
	v_pk_fma_f32 v[24:25], v[2:3], v[80:81], v[22:23] op_sel:[0,0,1] op_sel_hi:[1,1,0] neg_lo:[0,0,1] neg_hi:[0,0,1]
	v_pk_fma_f32 v[2:3], v[2:3], v[80:81], v[22:23] op_sel:[0,0,1] op_sel_hi:[1,0,0]
	v_mov_b32_e32 v25, v3
	v_pk_add_f32 v[2:3], v[18:19], v[24:25]
	v_mov_b32_e32 v18, v79
	v_pk_mul_f32 v[18:19], v[4:5], v[18:19] op_sel_hi:[1,0]
	v_pk_fma_f32 v[22:23], v[4:5], v[78:79], v[18:19] op_sel:[0,0,1] op_sel_hi:[1,1,0] neg_lo:[0,0,1] neg_hi:[0,0,1]
	v_pk_fma_f32 v[4:5], v[4:5], v[78:79], v[18:19] op_sel:[0,0,1] op_sel_hi:[1,0,0]
	v_mov_b32_e32 v4, v77
	v_mov_b32_e32 v23, v5
	s_waitcnt lgkmcnt(2)
	v_pk_mul_f32 v[4:5], v[8:9], v[4:5] op_sel_hi:[1,0]
	v_pk_fma_f32 v[18:19], v[8:9], v[76:77], v[4:5] op_sel:[0,0,1] op_sel_hi:[1,1,0] neg_lo:[0,0,1] neg_hi:[0,0,1]
	v_pk_fma_f32 v[4:5], v[8:9], v[76:77], v[4:5] op_sel:[0,0,1] op_sel_hi:[1,0,0]
	s_waitcnt vmcnt(1)
	v_mov_b32_e32 v4, v91
	v_mov_b32_e32 v19, v5
	v_pk_mul_f32 v[4:5], v[10:11], v[4:5] op_sel_hi:[1,0]
	s_waitcnt vmcnt(0)
	v_pk_fma_f32 v[8:9], v[10:11], v[90:91], v[4:5] op_sel:[0,0,1] op_sel_hi:[1,1,0] neg_lo:[0,0,1] neg_hi:[0,0,1]
	v_pk_fma_f32 v[4:5], v[10:11], v[90:91], v[4:5] op_sel:[0,0,1] op_sel_hi:[1,0,0]
	v_pk_add_f32 v[2:3], v[2:3], v[22:23]
	v_mov_b32_e32 v4, v89
	v_pk_add_f32 v[2:3], v[2:3], v[18:19]
	v_mov_b32_e32 v9, v5
	s_waitcnt lgkmcnt(1)
	v_pk_mul_f32 v[4:5], v[12:13], v[4:5] op_sel_hi:[1,0]
	v_pk_add_f32 v[2:3], v[2:3], v[8:9]
	v_pk_fma_f32 v[8:9], v[12:13], v[88:89], v[4:5] op_sel:[0,0,1] op_sel_hi:[1,1,0] neg_lo:[0,0,1] neg_hi:[0,0,1]
	v_pk_fma_f32 v[4:5], v[12:13], v[88:89], v[4:5] op_sel:[0,0,1] op_sel_hi:[1,0,0]
	v_mov_b32_e32 v4, v87
	v_mov_b32_e32 v9, v5
	v_pk_mul_f32 v[4:5], v[14:15], v[4:5] op_sel_hi:[1,0]
	v_pk_add_f32 v[2:3], v[2:3], v[8:9]
	v_pk_fma_f32 v[8:9], v[14:15], v[86:87], v[4:5] op_sel:[0,0,1] op_sel_hi:[1,1,0] neg_lo:[0,0,1] neg_hi:[0,0,1]
	v_pk_fma_f32 v[4:5], v[14:15], v[86:87], v[4:5] op_sel:[0,0,1] op_sel_hi:[1,0,0]
	v_mov_b32_e32 v4, v85
	v_mov_b32_e32 v9, v5
	s_waitcnt lgkmcnt(0)
	v_pk_mul_f32 v[4:5], v[16:17], v[4:5] op_sel_hi:[1,0]
	v_pk_add_f32 v[2:3], v[2:3], v[8:9]
	v_pk_fma_f32 v[8:9], v[16:17], v[84:85], v[4:5] op_sel:[0,0,1] op_sel_hi:[1,1,0] neg_lo:[0,0,1] neg_hi:[0,0,1]
	v_pk_fma_f32 v[4:5], v[16:17], v[84:85], v[4:5] op_sel:[0,0,1] op_sel_hi:[1,0,0]
	v_mov_b32_e32 v9, v5
	v_pk_add_f32 v[2:3], v[2:3], v[8:9]
	v_pk_add_f32 v[2:3], v[6:7], v[2:3] neg_lo:[0,1] neg_hi:[0,1]
	buffer_store_dword v3, off, s[0:3], 0 offset:148
	buffer_store_dword v2, off, s[0:3], 0 offset:144
	s_and_saveexec_b64 s[4:5], vcc
	s_cbranch_execz .LBB57_327
; %bb.326:
	buffer_load_dword v2, off, s[0:3], 0 offset:136
	buffer_load_dword v3, off, s[0:3], 0 offset:140
	s_waitcnt vmcnt(0)
	ds_write_b64 v175, v[2:3]
	buffer_store_dword v20, off, s[0:3], 0 offset:136
	buffer_store_dword v20, off, s[0:3], 0 offset:140
.LBB57_327:
	s_or_b64 exec, exec, s[4:5]
	s_waitcnt lgkmcnt(0)
	; wave barrier
	s_waitcnt lgkmcnt(0)
	buffer_load_dword v21, off, s[0:3], 0 offset:148
	buffer_load_dword v70, off, s[0:3], 0 offset:156
	;; [unrolled: 1-line block ×26, first 2 shown]
	ds_read_b128 v[14:17], v20 offset:608
	ds_read_b128 v[6:9], v20 offset:624
	buffer_load_dword v112, off, s[0:3], 0 offset:240
	buffer_load_dword v113, off, s[0:3], 0 offset:244
	ds_read_b128 v[10:13], v20 offset:640
	ds_read_b128 v[2:5], v20 offset:656
	buffer_load_dword v114, off, s[0:3], 0 offset:248
	buffer_load_dword v115, off, s[0:3], 0 offset:252
	;; [unrolled: 1-line block ×32, first 2 shown]
	v_cmp_lt_u32_e32 vcc, 16, v0
	s_waitcnt vmcnt(59) lgkmcnt(3)
	v_mul_f32_e32 v22, v14, v21
	s_waitcnt vmcnt(58)
	v_mul_f32_e32 v23, v16, v70
	s_waitcnt vmcnt(57) lgkmcnt(2)
	v_mul_f32_e32 v25, v8, v72
	s_waitcnt vmcnt(56) lgkmcnt(1)
	v_mul_f32_e32 v26, v10, v80
	s_waitcnt vmcnt(55)
	v_mul_f32_e32 v27, v12, v92
	s_waitcnt vmcnt(54)
	v_mul_f32_e32 v24, v6, v93
	s_waitcnt vmcnt(53) lgkmcnt(0)
	v_mul_f32_e32 v28, v2, v94
	s_waitcnt vmcnt(52)
	v_mul_f32_e32 v29, v4, v95
	s_waitcnt vmcnt(51)
	v_fmac_f32_e32 v24, v7, v96
	s_waitcnt vmcnt(50)
	v_fmac_f32_e32 v23, v17, v97
	s_waitcnt vmcnt(49)
	v_fmac_f32_e32 v22, v15, v98
	v_add_f32_e32 v22, 0, v22
	v_add_f32_e32 v22, v22, v23
	v_add_f32_e32 v22, v22, v24
	s_waitcnt vmcnt(45)
	v_fmac_f32_e32 v25, v9, v102
	v_fmac_f32_e32 v26, v11, v101
	v_add_f32_e32 v22, v22, v25
	v_fmac_f32_e32 v27, v13, v100
	v_add_f32_e32 v22, v22, v26
	;; [unrolled: 2-line block ×3, first 2 shown]
	v_add_f32_e32 v26, v22, v28
	ds_read_b128 v[22:25], v20 offset:672
	s_waitcnt vmcnt(41)
	v_fmac_f32_e32 v29, v5, v106
	buffer_load_dword v146, off, s[0:3], 0 offset:376
	buffer_load_dword v147, off, s[0:3], 0 offset:380
	v_add_f32_e32 v30, v26, v29
	buffer_load_dword v148, off, s[0:3], 0 offset:384
	buffer_load_dword v149, off, s[0:3], 0 offset:388
	ds_read_b128 v[26:29], v20 offset:688
	s_waitcnt vmcnt(44) lgkmcnt(1)
	v_mul_f32_e32 v31, v22, v107
	v_fmac_f32_e32 v31, v23, v105
	v_add_f32_e32 v30, v30, v31
	s_waitcnt vmcnt(43)
	v_mul_f32_e32 v31, v24, v108
	v_fmac_f32_e32 v31, v25, v104
	v_add_f32_e32 v30, v30, v31
	s_waitcnt vmcnt(42) lgkmcnt(0)
	v_mul_f32_e32 v31, v26, v109
	v_fmac_f32_e32 v31, v27, v103
	buffer_load_dword v150, off, s[0:3], 0 offset:392
	buffer_load_dword v151, off, s[0:3], 0 offset:396
	v_add_f32_e32 v34, v30, v31
	ds_read_b128 v[30:33], v20 offset:704
	s_waitcnt vmcnt(40)
	v_mul_f32_e32 v35, v28, v111
	v_fmac_f32_e32 v35, v29, v110
	v_add_f32_e32 v38, v34, v35
	ds_read_b128 v[34:37], v20 offset:720
	s_waitcnt vmcnt(38) lgkmcnt(1)
	v_mul_f32_e32 v39, v30, v113
	v_fmac_f32_e32 v39, v31, v112
	v_add_f32_e32 v38, v38, v39
	s_waitcnt vmcnt(36)
	v_mul_f32_e32 v39, v32, v115
	v_fmac_f32_e32 v39, v33, v114
	v_add_f32_e32 v38, v38, v39
	s_waitcnt vmcnt(34) lgkmcnt(0)
	v_mul_f32_e32 v39, v34, v117
	v_fmac_f32_e32 v39, v35, v116
	v_add_f32_e32 v42, v38, v39
	ds_read_b128 v[38:41], v20 offset:736
	s_waitcnt vmcnt(32)
	v_mul_f32_e32 v43, v36, v119
	v_fmac_f32_e32 v43, v37, v118
	v_add_f32_e32 v46, v42, v43
	ds_read_b128 v[42:45], v20 offset:752
	s_waitcnt vmcnt(30) lgkmcnt(1)
	v_mul_f32_e32 v47, v38, v121
	v_fmac_f32_e32 v47, v39, v120
	v_add_f32_e32 v46, v46, v47
	s_waitcnt vmcnt(28)
	v_mul_f32_e32 v47, v40, v123
	v_fmac_f32_e32 v47, v41, v122
	v_add_f32_e32 v46, v46, v47
	s_waitcnt vmcnt(26) lgkmcnt(0)
	v_mul_f32_e32 v47, v42, v125
	v_fmac_f32_e32 v47, v43, v124
	;; [unrolled: 18-line block ×4, first 2 shown]
	s_waitcnt vmcnt(8)
	v_mul_f32_e32 v67, v60, v143
	v_add_f32_e32 v66, v62, v63
	v_fmac_f32_e32 v67, v61, v142
	ds_read_b128 v[62:65], v20 offset:832
	v_add_f32_e32 v71, v66, v67
	ds_read_b128 v[66:69], v20 offset:848
	buffer_load_dword v75, off, s[0:3], 0 offset:420
	buffer_load_dword v74, off, s[0:3], 0 offset:416
	;; [unrolled: 1-line block ×16, first 2 shown]
	v_mul_f32_e32 v15, v15, v21
	v_fma_f32 v14, v14, v98, -v15
	v_mul_f32_e32 v15, v17, v70
	v_add_f32_e32 v14, 0, v14
	v_fma_f32 v15, v16, v97, -v15
	v_mul_f32_e32 v7, v7, v93
	v_add_f32_e32 v14, v14, v15
	;; [unrolled: 3-line block ×3, first 2 shown]
	v_fma_f32 v7, v8, v102, -v7
	v_add_f32_e32 v6, v6, v7
	v_mul_f32_e32 v7, v11, v80
	v_fma_f32 v7, v10, v101, -v7
	v_add_f32_e32 v6, v6, v7
	v_mul_f32_e32 v7, v13, v92
	v_fma_f32 v7, v12, v100, -v7
	v_mul_f32_e32 v3, v3, v94
	v_add_f32_e32 v6, v6, v7
	v_fma_f32 v2, v2, v99, -v3
	v_mul_f32_e32 v3, v5, v95
	v_add_f32_e32 v2, v6, v2
	v_fma_f32 v3, v4, v106, -v3
	v_add_f32_e32 v2, v2, v3
	v_mul_f32_e32 v3, v23, v107
	v_fma_f32 v3, v22, v105, -v3
	v_add_f32_e32 v2, v2, v3
	v_mul_f32_e32 v3, v25, v108
	;; [unrolled: 3-line block ×20, first 2 shown]
	v_fma_f32 v3, v60, v142, -v3
	v_add_f32_e32 v2, v2, v3
	s_waitcnt vmcnt(22) lgkmcnt(1)
	v_mul_f32_e32 v3, v63, v145
	v_fma_f32 v3, v62, v144, -v3
	v_add_f32_e32 v2, v2, v3
	s_waitcnt vmcnt(20)
	v_mul_f32_e32 v3, v65, v147
	v_mul_f32_e32 v73, v62, v145
	v_fma_f32 v3, v64, v146, -v3
	v_fmac_f32_e32 v73, v63, v144
	v_add_f32_e32 v70, v2, v3
	s_waitcnt vmcnt(18) lgkmcnt(0)
	v_mul_f32_e32 v2, v67, v149
	v_add_f32_e32 v71, v71, v73
	v_mul_f32_e32 v73, v64, v147
	v_fma_f32 v72, v66, v148, -v2
	s_waitcnt vmcnt(16)
	v_mul_f32_e32 v2, v69, v151
	v_fmac_f32_e32 v73, v65, v146
	v_fma_f32 v80, v68, v150, -v2
	ds_read_b128 v[2:5], v20 offset:864
	ds_read_b128 v[6:9], v20 offset:880
	;; [unrolled: 1-line block ×4, first 2 shown]
	v_add_f32_e32 v71, v71, v73
	v_mul_f32_e32 v73, v66, v149
	s_waitcnt vmcnt(11)
	v_mov_b32_e32 v22, v79
	v_fmac_f32_e32 v73, v67, v148
	v_mul_f32_e32 v81, v68, v151
	s_waitcnt lgkmcnt(3)
	v_pk_mul_f32 v[22:23], v[2:3], v[22:23] op_sel_hi:[1,0]
	v_fmac_f32_e32 v81, v69, v150
	v_pk_add_f32 v[20:21], v[70:71], v[72:73]
	s_waitcnt vmcnt(10)
	v_pk_fma_f32 v[24:25], v[2:3], v[78:79], v[22:23] op_sel:[0,0,1] op_sel_hi:[1,1,0] neg_lo:[0,0,1] neg_hi:[0,0,1]
	v_pk_fma_f32 v[2:3], v[2:3], v[78:79], v[22:23] op_sel:[0,0,1] op_sel_hi:[1,0,0]
	v_pk_add_f32 v[20:21], v[20:21], v[80:81]
	v_mov_b32_e32 v25, v3
	v_pk_add_f32 v[2:3], v[20:21], v[24:25]
	v_mov_b32_e32 v20, v77
	v_pk_mul_f32 v[20:21], v[4:5], v[20:21] op_sel_hi:[1,0]
	v_pk_fma_f32 v[22:23], v[4:5], v[76:77], v[20:21] op_sel:[0,0,1] op_sel_hi:[1,1,0] neg_lo:[0,0,1] neg_hi:[0,0,1]
	v_pk_fma_f32 v[4:5], v[4:5], v[76:77], v[20:21] op_sel:[0,0,1] op_sel_hi:[1,0,0]
	v_mov_b32_e32 v4, v75
	v_mov_b32_e32 v23, v5
	s_waitcnt lgkmcnt(2)
	v_pk_mul_f32 v[4:5], v[6:7], v[4:5] op_sel_hi:[1,0]
	v_pk_fma_f32 v[20:21], v[6:7], v[74:75], v[4:5] op_sel:[0,0,1] op_sel_hi:[1,1,0] neg_lo:[0,0,1] neg_hi:[0,0,1]
	v_pk_fma_f32 v[4:5], v[6:7], v[74:75], v[4:5] op_sel:[0,0,1] op_sel_hi:[1,0,0]
	s_waitcnt vmcnt(3)
	v_mov_b32_e32 v4, v89
	v_mov_b32_e32 v21, v5
	v_pk_mul_f32 v[4:5], v[8:9], v[4:5] op_sel_hi:[1,0]
	s_waitcnt vmcnt(2)
	v_pk_fma_f32 v[6:7], v[8:9], v[88:89], v[4:5] op_sel:[0,0,1] op_sel_hi:[1,1,0] neg_lo:[0,0,1] neg_hi:[0,0,1]
	v_pk_fma_f32 v[4:5], v[8:9], v[88:89], v[4:5] op_sel:[0,0,1] op_sel_hi:[1,0,0]
	v_pk_add_f32 v[2:3], v[2:3], v[22:23]
	v_mov_b32_e32 v4, v87
	v_pk_add_f32 v[2:3], v[2:3], v[20:21]
	v_mov_b32_e32 v7, v5
	s_waitcnt lgkmcnt(1)
	v_pk_mul_f32 v[4:5], v[10:11], v[4:5] op_sel_hi:[1,0]
	v_pk_add_f32 v[2:3], v[2:3], v[6:7]
	v_pk_fma_f32 v[6:7], v[10:11], v[86:87], v[4:5] op_sel:[0,0,1] op_sel_hi:[1,1,0] neg_lo:[0,0,1] neg_hi:[0,0,1]
	v_pk_fma_f32 v[4:5], v[10:11], v[86:87], v[4:5] op_sel:[0,0,1] op_sel_hi:[1,0,0]
	v_mov_b32_e32 v4, v85
	v_mov_b32_e32 v7, v5
	v_pk_mul_f32 v[4:5], v[12:13], v[4:5] op_sel_hi:[1,0]
	v_pk_add_f32 v[2:3], v[2:3], v[6:7]
	v_pk_fma_f32 v[6:7], v[12:13], v[84:85], v[4:5] op_sel:[0,0,1] op_sel_hi:[1,1,0] neg_lo:[0,0,1] neg_hi:[0,0,1]
	v_pk_fma_f32 v[4:5], v[12:13], v[84:85], v[4:5] op_sel:[0,0,1] op_sel_hi:[1,0,0]
	v_mov_b32_e32 v4, v83
	v_mov_b32_e32 v7, v5
	s_waitcnt lgkmcnt(0)
	v_pk_mul_f32 v[4:5], v[14:15], v[4:5] op_sel_hi:[1,0]
	v_pk_add_f32 v[2:3], v[2:3], v[6:7]
	v_pk_fma_f32 v[6:7], v[14:15], v[82:83], v[4:5] op_sel:[0,0,1] op_sel_hi:[1,1,0] neg_lo:[0,0,1] neg_hi:[0,0,1]
	v_pk_fma_f32 v[4:5], v[14:15], v[82:83], v[4:5] op_sel:[0,0,1] op_sel_hi:[1,0,0]
	s_waitcnt vmcnt(1)
	v_mov_b32_e32 v4, v91
	v_mov_b32_e32 v7, v5
	v_pk_mul_f32 v[4:5], v[16:17], v[4:5] op_sel_hi:[1,0]
	v_pk_add_f32 v[2:3], v[2:3], v[6:7]
	s_waitcnt vmcnt(0)
	v_pk_fma_f32 v[6:7], v[16:17], v[90:91], v[4:5] op_sel:[0,0,1] op_sel_hi:[1,1,0] neg_lo:[0,0,1] neg_hi:[0,0,1]
	v_pk_fma_f32 v[4:5], v[16:17], v[90:91], v[4:5] op_sel:[0,0,1] op_sel_hi:[1,0,0]
	v_mov_b32_e32 v7, v5
	v_pk_add_f32 v[2:3], v[2:3], v[6:7]
	v_pk_add_f32 v[2:3], v[18:19], v[2:3] neg_lo:[0,1] neg_hi:[0,1]
	buffer_store_dword v3, off, s[0:3], 0 offset:140
	buffer_store_dword v2, off, s[0:3], 0 offset:136
	s_and_saveexec_b64 s[4:5], vcc
	s_cbranch_execz .LBB57_329
; %bb.328:
	buffer_load_dword v2, off, s[0:3], 0 offset:128
	buffer_load_dword v3, off, s[0:3], 0 offset:132
	v_mov_b32_e32 v4, 0
	buffer_store_dword v4, off, s[0:3], 0 offset:128
	buffer_store_dword v4, off, s[0:3], 0 offset:132
	s_waitcnt vmcnt(2)
	ds_write_b64 v175, v[2:3]
.LBB57_329:
	s_or_b64 exec, exec, s[4:5]
	v_mov_b32_e32 v94, 0
	s_waitcnt lgkmcnt(0)
	; wave barrier
	s_waitcnt lgkmcnt(0)
	ds_read2_b64 v[2:5], v94 offset0:75 offset1:76
	buffer_load_dword v70, off, s[0:3], 0 offset:128
	buffer_load_dword v71, off, s[0:3], 0 offset:132
	buffer_load_dword v72, off, s[0:3], 0 offset:136
	buffer_load_dword v95, off, s[0:3], 0 offset:140
	buffer_load_dword v74, off, s[0:3], 0 offset:144
	buffer_load_dword v97, off, s[0:3], 0 offset:148
	buffer_load_dword v78, off, s[0:3], 0 offset:152
	buffer_load_dword v99, off, s[0:3], 0 offset:156
	buffer_load_dword v96, off, s[0:3], 0 offset:160
	buffer_load_dword v101, off, s[0:3], 0 offset:164
	buffer_load_dword v98, off, s[0:3], 0 offset:168
	buffer_load_dword v103, off, s[0:3], 0 offset:172
	buffer_load_dword v100, off, s[0:3], 0 offset:176
	buffer_load_dword v104, off, s[0:3], 0 offset:180
	buffer_load_dword v102, off, s[0:3], 0 offset:184
	buffer_load_dword v105, off, s[0:3], 0 offset:188
	v_cmp_lt_u32_e32 vcc, 15, v0
	s_waitcnt vmcnt(12) lgkmcnt(0)
	v_mul_f32_e32 v6, v2, v95
	v_fmac_f32_e32 v6, v3, v72
	s_waitcnt vmcnt(10)
	v_mul_f32_e32 v7, v4, v97
	v_add_f32_e32 v6, 0, v6
	v_fmac_f32_e32 v7, v5, v74
	v_add_f32_e32 v10, v6, v7
	ds_read2_b64 v[6:9], v94 offset0:77 offset1:78
	v_mul_f32_e32 v3, v3, v95
	v_fma_f32 v2, v2, v72, -v3
	v_mul_f32_e32 v3, v5, v97
	v_add_f32_e32 v2, 0, v2
	s_waitcnt vmcnt(8) lgkmcnt(0)
	v_mul_f32_e32 v11, v6, v99
	v_fmac_f32_e32 v11, v7, v78
	v_add_f32_e32 v10, v10, v11
	s_waitcnt vmcnt(6)
	v_mul_f32_e32 v11, v8, v101
	v_fmac_f32_e32 v11, v9, v96
	v_add_f32_e32 v14, v10, v11
	ds_read2_b64 v[10:13], v94 offset0:79 offset1:80
	v_fma_f32 v3, v4, v74, -v3
	v_add_f32_e32 v2, v2, v3
	v_mul_f32_e32 v3, v7, v99
	v_fma_f32 v3, v6, v78, -v3
	s_waitcnt vmcnt(4) lgkmcnt(0)
	v_mul_f32_e32 v15, v10, v103
	v_fmac_f32_e32 v15, v11, v98
	v_add_f32_e32 v14, v14, v15
	s_waitcnt vmcnt(2)
	v_mul_f32_e32 v15, v12, v104
	v_fmac_f32_e32 v15, v13, v100
	v_add_f32_e32 v18, v14, v15
	ds_read2_b64 v[14:17], v94 offset0:81 offset1:82
	buffer_load_dword v106, off, s[0:3], 0 offset:192
	buffer_load_dword v107, off, s[0:3], 0 offset:196
	v_add_f32_e32 v2, v2, v3
	v_mul_f32_e32 v3, v9, v101
	v_fma_f32 v3, v8, v96, -v3
	s_waitcnt vmcnt(2) lgkmcnt(0)
	v_mul_f32_e32 v19, v14, v105
	v_fmac_f32_e32 v19, v15, v102
	v_add_f32_e32 v18, v18, v19
	v_add_f32_e32 v2, v2, v3
	v_mul_f32_e32 v3, v11, v103
	v_fma_f32 v3, v10, v98, -v3
	v_add_f32_e32 v2, v2, v3
	v_mul_f32_e32 v3, v13, v104
	v_fma_f32 v3, v12, v100, -v3
	;; [unrolled: 3-line block ×3, first 2 shown]
	v_add_f32_e32 v2, v2, v3
	s_waitcnt vmcnt(0)
	v_mul_f32_e32 v19, v16, v107
	v_fmac_f32_e32 v19, v17, v106
	v_add_f32_e32 v22, v18, v19
	ds_read2_b64 v[18:21], v94 offset0:83 offset1:84
	buffer_load_dword v108, off, s[0:3], 0 offset:200
	buffer_load_dword v109, off, s[0:3], 0 offset:204
	buffer_load_dword v110, off, s[0:3], 0 offset:208
	buffer_load_dword v111, off, s[0:3], 0 offset:212
	ds_read2_b64 v[26:29], v94 offset0:85 offset1:86
	buffer_load_dword v112, off, s[0:3], 0 offset:216
	buffer_load_dword v113, off, s[0:3], 0 offset:220
	buffer_load_dword v114, off, s[0:3], 0 offset:224
	buffer_load_dword v115, off, s[0:3], 0 offset:228
	;; [unrolled: 5-line block ×12, first 2 shown]
	v_mul_f32_e32 v3, v17, v107
	v_fma_f32 v3, v16, v106, -v3
	v_add_f32_e32 v2, v2, v3
	s_waitcnt vmcnt(46) lgkmcnt(11)
	v_mul_f32_e32 v23, v18, v109
	v_fmac_f32_e32 v23, v19, v108
	v_add_f32_e32 v22, v22, v23
	s_waitcnt vmcnt(44)
	v_mul_f32_e32 v23, v20, v111
	v_fmac_f32_e32 v23, v21, v110
	v_add_f32_e32 v22, v22, v23
	s_waitcnt vmcnt(42) lgkmcnt(10)
	v_mul_f32_e32 v23, v26, v113
	v_fmac_f32_e32 v23, v27, v112
	v_add_f32_e32 v22, v22, v23
	s_waitcnt vmcnt(40)
	v_mul_f32_e32 v23, v28, v115
	v_fmac_f32_e32 v23, v29, v114
	;; [unrolled: 8-line block ×11, first 2 shown]
	v_add_f32_e32 v22, v22, v23
	s_waitcnt vmcnt(2) lgkmcnt(0)
	v_mul_f32_e32 v23, v66, v153
	v_fmac_f32_e32 v23, v67, v152
	v_add_f32_e32 v73, v22, v23
	ds_read2_b64 v[22:25], v94 offset0:107 offset1:108
	buffer_load_dword v156, off, s[0:3], 0 offset:392
	buffer_load_dword v157, off, s[0:3], 0 offset:396
	;; [unrolled: 1-line block ×18, first 2 shown]
	v_mul_f32_e32 v3, v19, v109
	v_fma_f32 v3, v18, v108, -v3
	v_add_f32_e32 v2, v2, v3
	v_mul_f32_e32 v3, v21, v111
	v_fma_f32 v3, v20, v110, -v3
	v_add_f32_e32 v2, v2, v3
	;; [unrolled: 3-line block ×23, first 2 shown]
	s_waitcnt vmcnt(18)
	v_mul_f32_e32 v2, v69, v155
	s_waitcnt vmcnt(15)
	v_mov_b32_e32 v18, v77
	v_mul_f32_e32 v75, v68, v155
	v_fma_f32 v74, v68, v154, -v2
	s_waitcnt lgkmcnt(0)
	v_pk_mul_f32 v[18:19], v[24:25], v[18:19] op_sel_hi:[1,0]
	v_fmac_f32_e32 v75, v69, v154
	s_waitcnt vmcnt(14)
	v_pk_fma_f32 v[20:21], v[24:25], v[76:77], v[18:19] op_sel:[0,0,1] op_sel_hi:[1,1,0] neg_lo:[0,0,1] neg_hi:[0,0,1]
	v_pk_fma_f32 v[18:19], v[24:25], v[76:77], v[18:19] op_sel:[0,0,1] op_sel_hi:[1,0,0]
	v_pk_add_f32 v[16:17], v[72:73], v[74:75]
	v_mul_f32_e32 v2, v23, v157
	v_mul_f32_e32 v79, v22, v157
	v_fma_f32 v78, v22, v156, -v2
	ds_read2_b64 v[2:5], v94 offset0:109 offset1:110
	ds_read2_b64 v[6:9], v94 offset0:111 offset1:112
	;; [unrolled: 1-line block ×3, first 2 shown]
	ds_read_b64 v[14:15], v94 offset:920
	v_fmac_f32_e32 v79, v23, v156
	s_waitcnt vmcnt(13)
	v_mov_b32_e32 v18, v93
	v_pk_add_f32 v[16:17], v[16:17], v[78:79]
	v_mov_b32_e32 v21, v19
	s_waitcnt lgkmcnt(3)
	v_pk_mul_f32 v[18:19], v[2:3], v[18:19] op_sel_hi:[1,0]
	v_pk_add_f32 v[16:17], v[16:17], v[20:21]
	s_waitcnt vmcnt(12)
	v_pk_fma_f32 v[20:21], v[2:3], v[92:93], v[18:19] op_sel:[0,0,1] op_sel_hi:[1,1,0] neg_lo:[0,0,1] neg_hi:[0,0,1]
	v_pk_fma_f32 v[2:3], v[2:3], v[92:93], v[18:19] op_sel:[0,0,1] op_sel_hi:[1,0,0]
	v_mov_b32_e32 v21, v3
	v_pk_add_f32 v[2:3], v[16:17], v[20:21]
	s_waitcnt vmcnt(11)
	v_mov_b32_e32 v16, v91
	v_pk_mul_f32 v[16:17], v[4:5], v[16:17] op_sel_hi:[1,0]
	s_waitcnt vmcnt(10)
	v_pk_fma_f32 v[18:19], v[4:5], v[90:91], v[16:17] op_sel:[0,0,1] op_sel_hi:[1,1,0] neg_lo:[0,0,1] neg_hi:[0,0,1]
	v_pk_fma_f32 v[4:5], v[4:5], v[90:91], v[16:17] op_sel:[0,0,1] op_sel_hi:[1,0,0]
	s_waitcnt vmcnt(9)
	v_mov_b32_e32 v4, v89
	v_mov_b32_e32 v19, v5
	s_waitcnt lgkmcnt(2)
	v_pk_mul_f32 v[4:5], v[6:7], v[4:5] op_sel_hi:[1,0]
	s_waitcnt vmcnt(8)
	v_pk_fma_f32 v[16:17], v[6:7], v[88:89], v[4:5] op_sel:[0,0,1] op_sel_hi:[1,1,0] neg_lo:[0,0,1] neg_hi:[0,0,1]
	v_pk_fma_f32 v[4:5], v[6:7], v[88:89], v[4:5] op_sel:[0,0,1] op_sel_hi:[1,0,0]
	s_waitcnt vmcnt(7)
	v_mov_b32_e32 v4, v87
	v_mov_b32_e32 v17, v5
	v_pk_mul_f32 v[4:5], v[8:9], v[4:5] op_sel_hi:[1,0]
	s_waitcnt vmcnt(6)
	v_pk_fma_f32 v[6:7], v[8:9], v[86:87], v[4:5] op_sel:[0,0,1] op_sel_hi:[1,1,0] neg_lo:[0,0,1] neg_hi:[0,0,1]
	v_pk_fma_f32 v[4:5], v[8:9], v[86:87], v[4:5] op_sel:[0,0,1] op_sel_hi:[1,0,0]
	v_pk_add_f32 v[2:3], v[2:3], v[18:19]
	s_waitcnt vmcnt(5)
	v_mov_b32_e32 v4, v85
	v_pk_add_f32 v[2:3], v[2:3], v[16:17]
	v_mov_b32_e32 v7, v5
	s_waitcnt lgkmcnt(1)
	v_pk_mul_f32 v[4:5], v[10:11], v[4:5] op_sel_hi:[1,0]
	v_pk_add_f32 v[2:3], v[2:3], v[6:7]
	s_waitcnt vmcnt(4)
	v_pk_fma_f32 v[6:7], v[10:11], v[84:85], v[4:5] op_sel:[0,0,1] op_sel_hi:[1,1,0] neg_lo:[0,0,1] neg_hi:[0,0,1]
	v_pk_fma_f32 v[4:5], v[10:11], v[84:85], v[4:5] op_sel:[0,0,1] op_sel_hi:[1,0,0]
	s_waitcnt vmcnt(3)
	v_mov_b32_e32 v4, v83
	v_mov_b32_e32 v7, v5
	v_pk_mul_f32 v[4:5], v[12:13], v[4:5] op_sel_hi:[1,0]
	v_pk_add_f32 v[2:3], v[2:3], v[6:7]
	s_waitcnt vmcnt(2)
	v_pk_fma_f32 v[6:7], v[12:13], v[82:83], v[4:5] op_sel:[0,0,1] op_sel_hi:[1,1,0] neg_lo:[0,0,1] neg_hi:[0,0,1]
	v_pk_fma_f32 v[4:5], v[12:13], v[82:83], v[4:5] op_sel:[0,0,1] op_sel_hi:[1,0,0]
	s_waitcnt vmcnt(1)
	v_mov_b32_e32 v4, v81
	v_mov_b32_e32 v7, v5
	s_waitcnt lgkmcnt(0)
	v_pk_mul_f32 v[4:5], v[14:15], v[4:5] op_sel_hi:[1,0]
	v_pk_add_f32 v[2:3], v[2:3], v[6:7]
	s_waitcnt vmcnt(0)
	v_pk_fma_f32 v[6:7], v[14:15], v[80:81], v[4:5] op_sel:[0,0,1] op_sel_hi:[1,1,0] neg_lo:[0,0,1] neg_hi:[0,0,1]
	v_pk_fma_f32 v[4:5], v[14:15], v[80:81], v[4:5] op_sel:[0,0,1] op_sel_hi:[1,0,0]
	v_mov_b32_e32 v7, v5
	v_pk_add_f32 v[2:3], v[2:3], v[6:7]
	v_pk_add_f32 v[2:3], v[70:71], v[2:3] neg_lo:[0,1] neg_hi:[0,1]
	buffer_store_dword v3, off, s[0:3], 0 offset:132
	buffer_store_dword v2, off, s[0:3], 0 offset:128
	s_and_saveexec_b64 s[4:5], vcc
	s_cbranch_execz .LBB57_331
; %bb.330:
	buffer_load_dword v2, off, s[0:3], 0 offset:120
	buffer_load_dword v3, off, s[0:3], 0 offset:124
	s_waitcnt vmcnt(0)
	ds_write_b64 v175, v[2:3]
	buffer_store_dword v94, off, s[0:3], 0 offset:120
	buffer_store_dword v94, off, s[0:3], 0 offset:124
.LBB57_331:
	s_or_b64 exec, exec, s[4:5]
	s_waitcnt lgkmcnt(0)
	; wave barrier
	s_waitcnt lgkmcnt(0)
	buffer_load_dword v78, off, s[0:3], 0 offset:132
	buffer_load_dword v80, off, s[0:3], 0 offset:140
	;; [unrolled: 1-line block ×24, first 2 shown]
	ds_read_b128 v[22:25], v94 offset:592
	ds_read_b128 v[18:21], v94 offset:608
	;; [unrolled: 1-line block ×4, first 2 shown]
	buffer_load_dword v118, off, s[0:3], 0 offset:216
	buffer_load_dword v119, off, s[0:3], 0 offset:220
	ds_read_b128 v[10:13], v94 offset:656
	ds_read_b128 v[2:5], v94 offset:672
	buffer_load_dword v120, off, s[0:3], 0 offset:224
	buffer_load_dword v121, off, s[0:3], 0 offset:228
	;; [unrolled: 1-line block ×44, first 2 shown]
	v_cmp_lt_u32_e32 vcc, 14, v0
	s_waitcnt vmcnt(62) lgkmcnt(5)
	v_mul_f32_e32 v28, v22, v78
	v_mul_f32_e32 v29, v24, v80
	s_waitcnt lgkmcnt(4)
	v_mul_f32_e32 v31, v20, v82
	s_waitcnt lgkmcnt(3)
	v_mul_f32_e32 v32, v14, v95
	v_mul_f32_e32 v33, v16, v100
	v_mul_f32_e32 v30, v18, v101
	s_waitcnt lgkmcnt(2)
	v_mul_f32_e32 v34, v6, v102
	v_mul_f32_e32 v35, v8, v103
	s_waitcnt vmcnt(61)
	v_fmac_f32_e32 v30, v19, v104
	s_waitcnt vmcnt(60)
	v_fmac_f32_e32 v29, v25, v105
	;; [unrolled: 2-line block ×3, first 2 shown]
	v_add_f32_e32 v28, 0, v28
	v_add_f32_e32 v28, v28, v29
	;; [unrolled: 1-line block ×3, first 2 shown]
	s_waitcnt vmcnt(55)
	v_fmac_f32_e32 v31, v21, v110
	v_fmac_f32_e32 v32, v15, v109
	v_add_f32_e32 v28, v28, v31
	v_fmac_f32_e32 v33, v17, v108
	v_add_f32_e32 v28, v28, v32
	;; [unrolled: 2-line block ×3, first 2 shown]
	s_waitcnt vmcnt(51)
	v_fmac_f32_e32 v35, v9, v114
	v_add_f32_e32 v28, v28, v34
	s_waitcnt vmcnt(50) lgkmcnt(1)
	v_mul_f32_e32 v29, v10, v115
	v_add_f32_e32 v28, v28, v35
	v_fmac_f32_e32 v29, v11, v113
	v_add_f32_e32 v28, v28, v29
	s_waitcnt vmcnt(49)
	v_mul_f32_e32 v29, v12, v116
	v_fmac_f32_e32 v29, v13, v112
	v_add_f32_e32 v28, v28, v29
	s_waitcnt vmcnt(48) lgkmcnt(0)
	v_mul_f32_e32 v29, v2, v117
	v_fmac_f32_e32 v29, v3, v111
	v_add_f32_e32 v32, v28, v29
	ds_read_b128 v[28:31], v94 offset:688
	s_waitcnt vmcnt(44)
	v_mul_f32_e32 v33, v4, v119
	v_fmac_f32_e32 v33, v5, v118
	v_add_f32_e32 v36, v32, v33
	ds_read_b128 v[32:35], v94 offset:704
	s_waitcnt vmcnt(42) lgkmcnt(1)
	v_mul_f32_e32 v37, v28, v121
	v_fmac_f32_e32 v37, v29, v120
	v_add_f32_e32 v36, v36, v37
	s_waitcnt vmcnt(40)
	v_mul_f32_e32 v37, v30, v123
	v_fmac_f32_e32 v37, v31, v122
	v_add_f32_e32 v36, v36, v37
	s_waitcnt vmcnt(38) lgkmcnt(0)
	v_mul_f32_e32 v37, v32, v125
	v_fmac_f32_e32 v37, v33, v124
	v_add_f32_e32 v40, v36, v37
	ds_read_b128 v[36:39], v94 offset:720
	s_waitcnt vmcnt(36)
	v_mul_f32_e32 v41, v34, v127
	v_fmac_f32_e32 v41, v35, v126
	v_add_f32_e32 v44, v40, v41
	ds_read_b128 v[40:43], v94 offset:736
	s_waitcnt vmcnt(34) lgkmcnt(1)
	v_mul_f32_e32 v45, v36, v129
	;; [unrolled: 18-line block ×4, first 2 shown]
	v_fmac_f32_e32 v61, v53, v144
	v_add_f32_e32 v60, v60, v61
	s_waitcnt vmcnt(16)
	v_mul_f32_e32 v61, v54, v147
	v_fmac_f32_e32 v61, v55, v146
	v_add_f32_e32 v60, v60, v61
	s_waitcnt vmcnt(14) lgkmcnt(0)
	v_mul_f32_e32 v61, v56, v149
	v_fmac_f32_e32 v61, v57, v148
	v_add_f32_e32 v64, v60, v61
	ds_read_b128 v[60:63], v94 offset:816
	s_waitcnt vmcnt(12)
	v_mul_f32_e32 v65, v58, v151
	v_fmac_f32_e32 v65, v59, v150
	v_add_f32_e32 v68, v64, v65
	ds_read_b128 v[64:67], v94 offset:832
	buffer_load_dword v77, off, s[0:3], 0 offset:404
	buffer_load_dword v76, off, s[0:3], 0 offset:400
	s_waitcnt vmcnt(12) lgkmcnt(1)
	v_mul_f32_e32 v69, v60, v153
	v_fmac_f32_e32 v69, v61, v152
	v_add_f32_e32 v68, v68, v69
	s_waitcnt vmcnt(10)
	v_mul_f32_e32 v69, v62, v155
	v_fmac_f32_e32 v69, v63, v154
	v_add_f32_e32 v68, v68, v69
	s_waitcnt vmcnt(8) lgkmcnt(0)
	v_mul_f32_e32 v69, v64, v157
	v_fmac_f32_e32 v69, v65, v156
	s_waitcnt vmcnt(6)
	v_mul_f32_e32 v73, v66, v159
	v_add_f32_e32 v72, v68, v69
	v_fmac_f32_e32 v73, v67, v158
	ds_read_b128 v[68:71], v94 offset:848
	v_add_f32_e32 v79, v72, v73
	ds_read_b128 v[72:75], v94 offset:864
	buffer_load_dword v85, off, s[0:3], 0 offset:436
	buffer_load_dword v84, off, s[0:3], 0 offset:432
	;; [unrolled: 1-line block ×14, first 2 shown]
	v_mul_f32_e32 v23, v23, v78
	v_fma_f32 v22, v22, v106, -v23
	v_mul_f32_e32 v23, v25, v80
	v_add_f32_e32 v22, 0, v22
	v_fma_f32 v23, v24, v105, -v23
	v_mul_f32_e32 v19, v19, v101
	v_add_f32_e32 v22, v22, v23
	;; [unrolled: 3-line block ×7, first 2 shown]
	v_fma_f32 v7, v8, v114, -v7
	v_add_f32_e32 v6, v6, v7
	v_mul_f32_e32 v7, v11, v115
	v_fma_f32 v7, v10, v113, -v7
	v_add_f32_e32 v6, v6, v7
	v_mul_f32_e32 v7, v13, v116
	v_fma_f32 v7, v12, v112, -v7
	v_mul_f32_e32 v3, v3, v117
	v_add_f32_e32 v6, v6, v7
	v_fma_f32 v2, v2, v111, -v3
	v_mul_f32_e32 v3, v5, v119
	v_add_f32_e32 v2, v6, v2
	v_fma_f32 v3, v4, v118, -v3
	v_add_f32_e32 v2, v2, v3
	v_mul_f32_e32 v3, v29, v121
	v_fma_f32 v3, v28, v120, -v3
	v_add_f32_e32 v2, v2, v3
	v_mul_f32_e32 v3, v31, v123
	;; [unrolled: 3-line block ×20, first 2 shown]
	v_fma_f32 v3, v66, v158, -v3
	s_waitcnt vmcnt(15)
	v_mov_b32_e32 v16, v77
	s_waitcnt lgkmcnt(1)
	v_mul_f32_e32 v81, v68, v161
	v_add_f32_e32 v78, v2, v3
	v_mul_f32_e32 v2, v69, v161
	s_waitcnt lgkmcnt(0)
	v_pk_mul_f32 v[16:17], v[72:73], v[16:17] op_sel_hi:[1,0]
	v_fmac_f32_e32 v81, v69, v160
	v_mul_f32_e32 v83, v70, v163
	v_fma_f32 v80, v68, v160, -v2
	v_mul_f32_e32 v2, v71, v163
	s_waitcnt vmcnt(14)
	v_pk_fma_f32 v[18:19], v[72:73], v[76:77], v[16:17] op_sel:[0,0,1] op_sel_hi:[1,1,0] neg_lo:[0,0,1] neg_hi:[0,0,1]
	v_pk_fma_f32 v[16:17], v[72:73], v[76:77], v[16:17] op_sel:[0,0,1] op_sel_hi:[1,0,0]
	v_fmac_f32_e32 v83, v71, v162
	v_fma_f32 v82, v70, v162, -v2
	v_pk_add_f32 v[14:15], v[78:79], v[80:81]
	s_waitcnt vmcnt(7)
	v_mov_b32_e32 v16, v91
	ds_read_b128 v[2:5], v94 offset:880
	ds_read_b128 v[6:9], v94 offset:896
	ds_read_b128 v[10:13], v94 offset:912
	v_pk_add_f32 v[14:15], v[14:15], v[82:83]
	v_mov_b32_e32 v19, v17
	v_pk_mul_f32 v[16:17], v[74:75], v[16:17] op_sel_hi:[1,0]
	v_pk_add_f32 v[14:15], v[14:15], v[18:19]
	s_waitcnt vmcnt(6)
	v_pk_fma_f32 v[18:19], v[74:75], v[90:91], v[16:17] op_sel:[0,0,1] op_sel_hi:[1,1,0] neg_lo:[0,0,1] neg_hi:[0,0,1]
	v_pk_fma_f32 v[16:17], v[74:75], v[90:91], v[16:17] op_sel:[0,0,1] op_sel_hi:[1,0,0]
	v_mov_b32_e32 v16, v89
	v_mov_b32_e32 v19, v17
	s_waitcnt lgkmcnt(2)
	v_pk_mul_f32 v[16:17], v[2:3], v[16:17] op_sel_hi:[1,0]
	v_pk_add_f32 v[14:15], v[14:15], v[18:19]
	v_pk_fma_f32 v[18:19], v[2:3], v[88:89], v[16:17] op_sel:[0,0,1] op_sel_hi:[1,1,0] neg_lo:[0,0,1] neg_hi:[0,0,1]
	v_pk_fma_f32 v[2:3], v[2:3], v[88:89], v[16:17] op_sel:[0,0,1] op_sel_hi:[1,0,0]
	v_mov_b32_e32 v19, v3
	v_pk_add_f32 v[2:3], v[14:15], v[18:19]
	v_mov_b32_e32 v14, v87
	v_pk_mul_f32 v[14:15], v[4:5], v[14:15] op_sel_hi:[1,0]
	v_pk_fma_f32 v[16:17], v[4:5], v[86:87], v[14:15] op_sel:[0,0,1] op_sel_hi:[1,1,0] neg_lo:[0,0,1] neg_hi:[0,0,1]
	v_pk_fma_f32 v[4:5], v[4:5], v[86:87], v[14:15] op_sel:[0,0,1] op_sel_hi:[1,0,0]
	v_mov_b32_e32 v4, v85
	v_mov_b32_e32 v17, v5
	s_waitcnt lgkmcnt(1)
	v_pk_mul_f32 v[4:5], v[6:7], v[4:5] op_sel_hi:[1,0]
	v_pk_fma_f32 v[14:15], v[6:7], v[84:85], v[4:5] op_sel:[0,0,1] op_sel_hi:[1,1,0] neg_lo:[0,0,1] neg_hi:[0,0,1]
	v_pk_fma_f32 v[4:5], v[6:7], v[84:85], v[4:5] op_sel:[0,0,1] op_sel_hi:[1,0,0]
	s_waitcnt vmcnt(1)
	v_mov_b32_e32 v4, v99
	v_mov_b32_e32 v15, v5
	v_pk_mul_f32 v[4:5], v[8:9], v[4:5] op_sel_hi:[1,0]
	s_waitcnt vmcnt(0)
	v_pk_fma_f32 v[6:7], v[8:9], v[98:99], v[4:5] op_sel:[0,0,1] op_sel_hi:[1,1,0] neg_lo:[0,0,1] neg_hi:[0,0,1]
	v_pk_fma_f32 v[4:5], v[8:9], v[98:99], v[4:5] op_sel:[0,0,1] op_sel_hi:[1,0,0]
	v_pk_add_f32 v[2:3], v[2:3], v[16:17]
	v_mov_b32_e32 v4, v97
	v_pk_add_f32 v[2:3], v[2:3], v[14:15]
	v_mov_b32_e32 v7, v5
	s_waitcnt lgkmcnt(0)
	v_pk_mul_f32 v[4:5], v[10:11], v[4:5] op_sel_hi:[1,0]
	v_pk_add_f32 v[2:3], v[2:3], v[6:7]
	v_pk_fma_f32 v[6:7], v[10:11], v[96:97], v[4:5] op_sel:[0,0,1] op_sel_hi:[1,1,0] neg_lo:[0,0,1] neg_hi:[0,0,1]
	v_pk_fma_f32 v[4:5], v[10:11], v[96:97], v[4:5] op_sel:[0,0,1] op_sel_hi:[1,0,0]
	v_mov_b32_e32 v4, v93
	v_mov_b32_e32 v7, v5
	v_pk_mul_f32 v[4:5], v[12:13], v[4:5] op_sel_hi:[1,0]
	v_pk_add_f32 v[2:3], v[2:3], v[6:7]
	v_pk_fma_f32 v[6:7], v[12:13], v[92:93], v[4:5] op_sel:[0,0,1] op_sel_hi:[1,1,0] neg_lo:[0,0,1] neg_hi:[0,0,1]
	v_pk_fma_f32 v[4:5], v[12:13], v[92:93], v[4:5] op_sel:[0,0,1] op_sel_hi:[1,0,0]
	v_mov_b32_e32 v7, v5
	v_pk_add_f32 v[2:3], v[2:3], v[6:7]
	v_pk_add_f32 v[2:3], v[26:27], v[2:3] neg_lo:[0,1] neg_hi:[0,1]
	buffer_store_dword v3, off, s[0:3], 0 offset:124
	buffer_store_dword v2, off, s[0:3], 0 offset:120
	s_and_saveexec_b64 s[4:5], vcc
	s_cbranch_execz .LBB57_333
; %bb.332:
	buffer_load_dword v2, off, s[0:3], 0 offset:112
	buffer_load_dword v3, off, s[0:3], 0 offset:116
	v_mov_b32_e32 v4, 0
	buffer_store_dword v4, off, s[0:3], 0 offset:112
	buffer_store_dword v4, off, s[0:3], 0 offset:116
	s_waitcnt vmcnt(2)
	ds_write_b64 v175, v[2:3]
.LBB57_333:
	s_or_b64 exec, exec, s[4:5]
	s_waitcnt lgkmcnt(0)
	; wave barrier
	s_waitcnt lgkmcnt(0)
	buffer_load_dword v29, off, s[0:3], 0 offset:124
	buffer_load_dword v78, off, s[0:3], 0 offset:132
	;; [unrolled: 1-line block ×56, first 2 shown]
	v_mov_b32_e32 v28, 0
	ds_read2_b64 v[4:7], v28 offset0:73 offset1:74
	ds_read2_b64 v[8:11], v28 offset0:75 offset1:76
	;; [unrolled: 1-line block ×6, first 2 shown]
	buffer_load_dword v150, off, s[0:3], 0 offset:336
	buffer_load_dword v151, off, s[0:3], 0 offset:340
	;; [unrolled: 1-line block ×16, first 2 shown]
	v_cmp_lt_u32_e32 vcc, 13, v0
	s_waitcnt vmcnt(62) lgkmcnt(5)
	v_mul_f32_e32 v30, v4, v29
	v_mul_f32_e32 v31, v6, v78
	s_waitcnt lgkmcnt(4)
	v_mul_f32_e32 v33, v10, v80
	s_waitcnt lgkmcnt(3)
	v_mul_f32_e32 v34, v12, v82
	v_mul_f32_e32 v35, v14, v100
	;; [unrolled: 1-line block ×3, first 2 shown]
	s_waitcnt lgkmcnt(2)
	v_mul_f32_e32 v36, v16, v102
	v_mul_f32_e32 v37, v18, v103
	s_waitcnt lgkmcnt(1)
	v_mul_f32_e32 v38, v20, v104
	v_fmac_f32_e32 v32, v9, v105
	s_waitcnt vmcnt(61)
	v_fmac_f32_e32 v31, v7, v106
	s_waitcnt vmcnt(60)
	v_fmac_f32_e32 v30, v5, v107
	v_add_f32_e32 v30, 0, v30
	v_add_f32_e32 v30, v30, v31
	;; [unrolled: 1-line block ×3, first 2 shown]
	s_waitcnt vmcnt(56)
	v_fmac_f32_e32 v33, v11, v111
	v_fmac_f32_e32 v34, v13, v110
	v_add_f32_e32 v30, v30, v33
	v_fmac_f32_e32 v35, v15, v109
	v_add_f32_e32 v30, v30, v34
	;; [unrolled: 2-line block ×3, first 2 shown]
	s_waitcnt vmcnt(52)
	v_fmac_f32_e32 v37, v19, v115
	v_add_f32_e32 v30, v30, v36
	v_add_f32_e32 v30, v30, v37
	v_fmac_f32_e32 v38, v21, v114
	s_waitcnt vmcnt(51)
	v_mul_f32_e32 v31, v22, v116
	v_add_f32_e32 v30, v30, v38
	v_fmac_f32_e32 v31, v23, v113
	v_add_f32_e32 v30, v30, v31
	s_waitcnt vmcnt(50) lgkmcnt(0)
	v_mul_f32_e32 v31, v24, v117
	v_fmac_f32_e32 v31, v25, v112
	v_add_f32_e32 v34, v30, v31
	ds_read2_b64 v[30:33], v28 offset0:85 offset1:86
	s_waitcnt vmcnt(46)
	v_mul_f32_e32 v35, v26, v119
	v_fmac_f32_e32 v35, v27, v118
	v_add_f32_e32 v38, v34, v35
	ds_read2_b64 v[34:37], v28 offset0:87 offset1:88
	s_waitcnt vmcnt(44) lgkmcnt(1)
	v_mul_f32_e32 v39, v30, v121
	v_fmac_f32_e32 v39, v31, v120
	v_add_f32_e32 v38, v38, v39
	s_waitcnt vmcnt(42)
	v_mul_f32_e32 v39, v32, v123
	v_fmac_f32_e32 v39, v33, v122
	v_add_f32_e32 v38, v38, v39
	s_waitcnt vmcnt(40) lgkmcnt(0)
	v_mul_f32_e32 v39, v34, v125
	v_fmac_f32_e32 v39, v35, v124
	v_add_f32_e32 v42, v38, v39
	ds_read2_b64 v[38:41], v28 offset0:89 offset1:90
	s_waitcnt vmcnt(38)
	v_mul_f32_e32 v43, v36, v127
	v_fmac_f32_e32 v43, v37, v126
	v_add_f32_e32 v46, v42, v43
	ds_read2_b64 v[42:45], v28 offset0:91 offset1:92
	s_waitcnt vmcnt(36) lgkmcnt(1)
	v_mul_f32_e32 v47, v38, v129
	v_fmac_f32_e32 v47, v39, v128
	v_add_f32_e32 v46, v46, v47
	s_waitcnt vmcnt(34)
	v_mul_f32_e32 v47, v40, v131
	v_fmac_f32_e32 v47, v41, v130
	v_add_f32_e32 v46, v46, v47
	s_waitcnt vmcnt(32) lgkmcnt(0)
	v_mul_f32_e32 v47, v42, v133
	v_fmac_f32_e32 v47, v43, v132
	v_add_f32_e32 v50, v46, v47
	ds_read2_b64 v[46:49], v28 offset0:93 offset1:94
	s_waitcnt vmcnt(30)
	v_mul_f32_e32 v51, v44, v135
	v_fmac_f32_e32 v51, v45, v134
	v_add_f32_e32 v54, v50, v51
	ds_read2_b64 v[50:53], v28 offset0:95 offset1:96
	s_waitcnt vmcnt(28) lgkmcnt(1)
	v_mul_f32_e32 v55, v46, v137
	v_fmac_f32_e32 v55, v47, v136
	v_add_f32_e32 v54, v54, v55
	s_waitcnt vmcnt(26)
	v_mul_f32_e32 v55, v48, v139
	v_fmac_f32_e32 v55, v49, v138
	v_add_f32_e32 v54, v54, v55
	s_waitcnt vmcnt(24) lgkmcnt(0)
	v_mul_f32_e32 v55, v50, v141
	v_fmac_f32_e32 v55, v51, v140
	v_add_f32_e32 v58, v54, v55
	ds_read2_b64 v[54:57], v28 offset0:97 offset1:98
	s_waitcnt vmcnt(22)
	v_mul_f32_e32 v59, v52, v143
	v_fmac_f32_e32 v59, v53, v142
	v_add_f32_e32 v62, v58, v59
	ds_read2_b64 v[58:61], v28 offset0:99 offset1:100
	s_waitcnt vmcnt(20) lgkmcnt(1)
	v_mul_f32_e32 v63, v54, v145
	v_fmac_f32_e32 v63, v55, v144
	v_add_f32_e32 v62, v62, v63
	s_waitcnt vmcnt(18)
	v_mul_f32_e32 v63, v56, v147
	v_fmac_f32_e32 v63, v57, v146
	v_add_f32_e32 v62, v62, v63
	s_waitcnt vmcnt(16) lgkmcnt(0)
	v_mul_f32_e32 v63, v58, v149
	v_fmac_f32_e32 v63, v59, v148
	v_add_f32_e32 v66, v62, v63
	ds_read2_b64 v[62:65], v28 offset0:101 offset1:102
	s_waitcnt vmcnt(14)
	v_mul_f32_e32 v67, v60, v151
	v_fmac_f32_e32 v67, v61, v150
	v_add_f32_e32 v70, v66, v67
	ds_read2_b64 v[66:69], v28 offset0:103 offset1:104
	s_waitcnt vmcnt(12) lgkmcnt(1)
	v_mul_f32_e32 v71, v62, v153
	v_fmac_f32_e32 v71, v63, v152
	v_add_f32_e32 v70, v70, v71
	s_waitcnt vmcnt(10)
	v_mul_f32_e32 v71, v64, v155
	v_fmac_f32_e32 v71, v65, v154
	v_add_f32_e32 v70, v70, v71
	s_waitcnt vmcnt(8) lgkmcnt(0)
	v_mul_f32_e32 v71, v66, v157
	v_fmac_f32_e32 v71, v67, v156
	s_waitcnt vmcnt(6)
	v_mul_f32_e32 v75, v68, v159
	v_add_f32_e32 v74, v70, v71
	v_fmac_f32_e32 v75, v69, v158
	ds_read2_b64 v[70:73], v28 offset0:105 offset1:106
	v_add_f32_e32 v79, v74, v75
	ds_read2_b64 v[74:77], v28 offset0:107 offset1:108
	buffer_load_dword v85, off, s[0:3], 0 offset:428
	buffer_load_dword v84, off, s[0:3], 0 offset:424
	;; [unrolled: 1-line block ×16, first 2 shown]
	v_mul_f32_e32 v5, v5, v29
	v_fma_f32 v4, v4, v107, -v5
	v_mul_f32_e32 v5, v7, v78
	v_add_f32_e32 v4, 0, v4
	v_fma_f32 v5, v6, v106, -v5
	v_add_f32_e32 v4, v4, v5
	v_mul_f32_e32 v5, v9, v101
	v_fma_f32 v5, v8, v105, -v5
	v_add_f32_e32 v4, v4, v5
	v_mul_f32_e32 v5, v11, v80
	;; [unrolled: 3-line block ×30, first 2 shown]
	v_fma_f32 v5, v68, v158, -v5
	v_add_f32_e32 v4, v4, v5
	s_waitcnt vmcnt(20) lgkmcnt(1)
	v_mul_f32_e32 v5, v71, v161
	v_mul_f32_e32 v81, v70, v161
	v_fma_f32 v5, v70, v160, -v5
	v_fmac_f32_e32 v81, v71, v160
	v_add_f32_e32 v78, v4, v5
	s_waitcnt vmcnt(18)
	v_mul_f32_e32 v4, v73, v163
	s_waitcnt vmcnt(9)
	v_mov_b32_e32 v20, v91
	v_add_f32_e32 v79, v79, v81
	v_mul_f32_e32 v81, v72, v163
	v_fma_f32 v80, v72, v162, -v4
	s_waitcnt lgkmcnt(0)
	v_mul_f32_e32 v4, v75, v165
	v_pk_mul_f32 v[20:21], v[76:77], v[20:21] op_sel_hi:[1,0]
	v_fmac_f32_e32 v81, v73, v162
	v_mul_f32_e32 v83, v74, v165
	v_fma_f32 v82, v74, v164, -v4
	ds_read2_b64 v[4:7], v28 offset0:109 offset1:110
	ds_read2_b64 v[8:11], v28 offset0:111 offset1:112
	ds_read2_b64 v[12:15], v28 offset0:113 offset1:114
	ds_read_b64 v[16:17], v28 offset:920
	s_waitcnt vmcnt(8)
	v_pk_fma_f32 v[22:23], v[76:77], v[90:91], v[20:21] op_sel:[0,0,1] op_sel_hi:[1,1,0] neg_lo:[0,0,1] neg_hi:[0,0,1]
	v_pk_fma_f32 v[20:21], v[76:77], v[90:91], v[20:21] op_sel:[0,0,1] op_sel_hi:[1,0,0]
	v_fmac_f32_e32 v83, v75, v164
	v_pk_add_f32 v[18:19], v[78:79], v[80:81]
	v_mov_b32_e32 v20, v89
	v_pk_add_f32 v[18:19], v[18:19], v[82:83]
	v_mov_b32_e32 v23, v21
	s_waitcnt lgkmcnt(3)
	v_pk_mul_f32 v[20:21], v[4:5], v[20:21] op_sel_hi:[1,0]
	v_pk_add_f32 v[18:19], v[18:19], v[22:23]
	v_pk_fma_f32 v[22:23], v[4:5], v[88:89], v[20:21] op_sel:[0,0,1] op_sel_hi:[1,1,0] neg_lo:[0,0,1] neg_hi:[0,0,1]
	v_pk_fma_f32 v[4:5], v[4:5], v[88:89], v[20:21] op_sel:[0,0,1] op_sel_hi:[1,0,0]
	v_mov_b32_e32 v23, v5
	v_pk_add_f32 v[4:5], v[18:19], v[22:23]
	v_mov_b32_e32 v18, v87
	v_pk_mul_f32 v[18:19], v[6:7], v[18:19] op_sel_hi:[1,0]
	v_pk_fma_f32 v[20:21], v[6:7], v[86:87], v[18:19] op_sel:[0,0,1] op_sel_hi:[1,1,0] neg_lo:[0,0,1] neg_hi:[0,0,1]
	v_pk_fma_f32 v[6:7], v[6:7], v[86:87], v[18:19] op_sel:[0,0,1] op_sel_hi:[1,0,0]
	v_mov_b32_e32 v6, v85
	v_mov_b32_e32 v21, v7
	s_waitcnt lgkmcnt(2)
	v_pk_mul_f32 v[6:7], v[8:9], v[6:7] op_sel_hi:[1,0]
	v_pk_fma_f32 v[18:19], v[8:9], v[84:85], v[6:7] op_sel:[0,0,1] op_sel_hi:[1,1,0] neg_lo:[0,0,1] neg_hi:[0,0,1]
	v_pk_fma_f32 v[6:7], v[8:9], v[84:85], v[6:7] op_sel:[0,0,1] op_sel_hi:[1,0,0]
	s_waitcnt vmcnt(1)
	v_mov_b32_e32 v6, v99
	v_mov_b32_e32 v19, v7
	v_pk_mul_f32 v[6:7], v[10:11], v[6:7] op_sel_hi:[1,0]
	s_waitcnt vmcnt(0)
	v_pk_fma_f32 v[8:9], v[10:11], v[98:99], v[6:7] op_sel:[0,0,1] op_sel_hi:[1,1,0] neg_lo:[0,0,1] neg_hi:[0,0,1]
	v_pk_fma_f32 v[6:7], v[10:11], v[98:99], v[6:7] op_sel:[0,0,1] op_sel_hi:[1,0,0]
	v_pk_add_f32 v[4:5], v[4:5], v[20:21]
	v_mov_b32_e32 v6, v97
	v_pk_add_f32 v[4:5], v[4:5], v[18:19]
	v_mov_b32_e32 v9, v7
	s_waitcnt lgkmcnt(1)
	v_pk_mul_f32 v[6:7], v[12:13], v[6:7] op_sel_hi:[1,0]
	v_pk_add_f32 v[4:5], v[4:5], v[8:9]
	v_pk_fma_f32 v[8:9], v[12:13], v[96:97], v[6:7] op_sel:[0,0,1] op_sel_hi:[1,1,0] neg_lo:[0,0,1] neg_hi:[0,0,1]
	v_pk_fma_f32 v[6:7], v[12:13], v[96:97], v[6:7] op_sel:[0,0,1] op_sel_hi:[1,0,0]
	v_mov_b32_e32 v6, v95
	v_mov_b32_e32 v9, v7
	v_pk_mul_f32 v[6:7], v[14:15], v[6:7] op_sel_hi:[1,0]
	v_pk_add_f32 v[4:5], v[4:5], v[8:9]
	v_pk_fma_f32 v[8:9], v[14:15], v[94:95], v[6:7] op_sel:[0,0,1] op_sel_hi:[1,1,0] neg_lo:[0,0,1] neg_hi:[0,0,1]
	v_pk_fma_f32 v[6:7], v[14:15], v[94:95], v[6:7] op_sel:[0,0,1] op_sel_hi:[1,0,0]
	v_mov_b32_e32 v6, v93
	v_mov_b32_e32 v9, v7
	s_waitcnt lgkmcnt(0)
	v_pk_mul_f32 v[6:7], v[16:17], v[6:7] op_sel_hi:[1,0]
	v_pk_add_f32 v[4:5], v[4:5], v[8:9]
	v_pk_fma_f32 v[8:9], v[16:17], v[92:93], v[6:7] op_sel:[0,0,1] op_sel_hi:[1,1,0] neg_lo:[0,0,1] neg_hi:[0,0,1]
	v_pk_fma_f32 v[6:7], v[16:17], v[92:93], v[6:7] op_sel:[0,0,1] op_sel_hi:[1,0,0]
	v_mov_b32_e32 v9, v7
	v_pk_add_f32 v[4:5], v[4:5], v[8:9]
	v_pk_add_f32 v[2:3], v[2:3], v[4:5] neg_lo:[0,1] neg_hi:[0,1]
	buffer_store_dword v3, off, s[0:3], 0 offset:116
	buffer_store_dword v2, off, s[0:3], 0 offset:112
	s_and_saveexec_b64 s[4:5], vcc
	s_cbranch_execz .LBB57_335
; %bb.334:
	buffer_load_dword v2, off, s[0:3], 0 offset:104
	buffer_load_dword v3, off, s[0:3], 0 offset:108
	s_waitcnt vmcnt(0)
	ds_write_b64 v175, v[2:3]
	buffer_store_dword v28, off, s[0:3], 0 offset:104
	buffer_store_dword v28, off, s[0:3], 0 offset:108
.LBB57_335:
	s_or_b64 exec, exec, s[4:5]
	s_waitcnt lgkmcnt(0)
	; wave barrier
	s_waitcnt lgkmcnt(0)
	buffer_load_dword v29, off, s[0:3], 0 offset:116
	buffer_load_dword v78, off, s[0:3], 0 offset:124
	;; [unrolled: 1-line block ×26, first 2 shown]
	ds_read_b128 v[22:25], v28 offset:576
	ds_read_b128 v[18:21], v28 offset:592
	;; [unrolled: 1-line block ×6, first 2 shown]
	buffer_load_dword v120, off, s[0:3], 0 offset:208
	buffer_load_dword v121, off, s[0:3], 0 offset:212
	;; [unrolled: 1-line block ×42, first 2 shown]
	v_cmp_lt_u32_e32 vcc, 12, v0
	s_waitcnt vmcnt(62) lgkmcnt(5)
	v_mul_f32_e32 v30, v22, v29
	v_mul_f32_e32 v31, v24, v78
	s_waitcnt lgkmcnt(4)
	v_mul_f32_e32 v33, v20, v80
	s_waitcnt lgkmcnt(3)
	v_mul_f32_e32 v34, v14, v88
	v_mul_f32_e32 v35, v16, v100
	;; [unrolled: 1-line block ×3, first 2 shown]
	s_waitcnt vmcnt(61) lgkmcnt(2)
	v_mul_f32_e32 v36, v10, v102
	s_waitcnt vmcnt(60)
	v_mul_f32_e32 v37, v12, v103
	s_waitcnt vmcnt(59) lgkmcnt(1)
	v_mul_f32_e32 v38, v6, v104
	s_waitcnt vmcnt(58)
	v_fmac_f32_e32 v32, v19, v105
	s_waitcnt vmcnt(57)
	v_fmac_f32_e32 v31, v25, v106
	;; [unrolled: 2-line block ×3, first 2 shown]
	v_add_f32_e32 v30, 0, v30
	v_add_f32_e32 v30, v30, v31
	;; [unrolled: 1-line block ×3, first 2 shown]
	s_waitcnt vmcnt(52)
	v_fmac_f32_e32 v33, v21, v111
	v_fmac_f32_e32 v34, v15, v110
	v_add_f32_e32 v30, v30, v33
	v_fmac_f32_e32 v35, v17, v109
	v_add_f32_e32 v30, v30, v34
	;; [unrolled: 2-line block ×3, first 2 shown]
	s_waitcnt vmcnt(48)
	v_fmac_f32_e32 v37, v13, v115
	v_add_f32_e32 v30, v30, v36
	v_fmac_f32_e32 v38, v7, v114
	v_add_f32_e32 v30, v30, v37
	s_waitcnt vmcnt(47)
	v_mul_f32_e32 v31, v8, v116
	v_add_f32_e32 v30, v30, v38
	v_fmac_f32_e32 v31, v9, v113
	v_add_f32_e32 v30, v30, v31
	s_waitcnt vmcnt(46) lgkmcnt(0)
	v_mul_f32_e32 v31, v2, v117
	v_fmac_f32_e32 v31, v3, v112
	v_add_f32_e32 v34, v30, v31
	ds_read_b128 v[30:33], v28 offset:672
	s_waitcnt vmcnt(42)
	v_mul_f32_e32 v35, v4, v119
	v_fmac_f32_e32 v35, v5, v118
	buffer_load_dword v162, off, s[0:3], 0 offset:376
	buffer_load_dword v163, off, s[0:3], 0 offset:380
	v_add_f32_e32 v38, v34, v35
	buffer_load_dword v164, off, s[0:3], 0 offset:384
	buffer_load_dword v165, off, s[0:3], 0 offset:388
	ds_read_b128 v[34:37], v28 offset:688
	s_waitcnt vmcnt(44) lgkmcnt(1)
	v_mul_f32_e32 v39, v30, v121
	v_fmac_f32_e32 v39, v31, v120
	v_add_f32_e32 v38, v38, v39
	s_waitcnt vmcnt(42)
	v_mul_f32_e32 v39, v32, v123
	v_fmac_f32_e32 v39, v33, v122
	v_add_f32_e32 v38, v38, v39
	s_waitcnt vmcnt(40) lgkmcnt(0)
	v_mul_f32_e32 v39, v34, v125
	v_fmac_f32_e32 v39, v35, v124
	buffer_load_dword v166, off, s[0:3], 0 offset:392
	buffer_load_dword v167, off, s[0:3], 0 offset:396
	v_add_f32_e32 v42, v38, v39
	ds_read_b128 v[38:41], v28 offset:704
	s_waitcnt vmcnt(40)
	v_mul_f32_e32 v43, v36, v127
	v_fmac_f32_e32 v43, v37, v126
	v_add_f32_e32 v46, v42, v43
	ds_read_b128 v[42:45], v28 offset:720
	s_waitcnt vmcnt(38) lgkmcnt(1)
	v_mul_f32_e32 v47, v38, v129
	v_fmac_f32_e32 v47, v39, v128
	v_add_f32_e32 v46, v46, v47
	s_waitcnt vmcnt(36)
	v_mul_f32_e32 v47, v40, v131
	v_fmac_f32_e32 v47, v41, v130
	v_add_f32_e32 v46, v46, v47
	s_waitcnt vmcnt(34) lgkmcnt(0)
	v_mul_f32_e32 v47, v42, v133
	v_fmac_f32_e32 v47, v43, v132
	v_add_f32_e32 v50, v46, v47
	ds_read_b128 v[46:49], v28 offset:736
	s_waitcnt vmcnt(32)
	v_mul_f32_e32 v51, v44, v135
	v_fmac_f32_e32 v51, v45, v134
	v_add_f32_e32 v54, v50, v51
	ds_read_b128 v[50:53], v28 offset:752
	s_waitcnt vmcnt(30) lgkmcnt(1)
	v_mul_f32_e32 v55, v46, v137
	v_fmac_f32_e32 v55, v47, v136
	v_add_f32_e32 v54, v54, v55
	s_waitcnt vmcnt(28)
	v_mul_f32_e32 v55, v48, v139
	v_fmac_f32_e32 v55, v49, v138
	v_add_f32_e32 v54, v54, v55
	s_waitcnt vmcnt(26) lgkmcnt(0)
	v_mul_f32_e32 v55, v50, v141
	v_fmac_f32_e32 v55, v51, v140
	;; [unrolled: 18-line block ×4, first 2 shown]
	s_waitcnt vmcnt(8)
	v_mul_f32_e32 v75, v68, v159
	v_add_f32_e32 v74, v70, v71
	v_fmac_f32_e32 v75, v69, v158
	ds_read_b128 v[70:73], v28 offset:832
	v_add_f32_e32 v79, v74, v75
	ds_read_b128 v[74:77], v28 offset:848
	buffer_load_dword v83, off, s[0:3], 0 offset:420
	buffer_load_dword v82, off, s[0:3], 0 offset:416
	;; [unrolled: 1-line block ×16, first 2 shown]
	v_mul_f32_e32 v23, v23, v29
	v_fma_f32 v22, v22, v107, -v23
	v_mul_f32_e32 v23, v25, v78
	v_add_f32_e32 v22, 0, v22
	v_fma_f32 v23, v24, v106, -v23
	v_mul_f32_e32 v19, v19, v101
	v_add_f32_e32 v22, v22, v23
	;; [unrolled: 3-line block ×11, first 2 shown]
	v_fma_f32 v3, v4, v118, -v3
	v_add_f32_e32 v2, v2, v3
	v_mul_f32_e32 v3, v31, v121
	v_fma_f32 v3, v30, v120, -v3
	v_add_f32_e32 v2, v2, v3
	v_mul_f32_e32 v3, v33, v123
	;; [unrolled: 3-line block ×20, first 2 shown]
	v_fma_f32 v3, v68, v158, -v3
	v_add_f32_e32 v2, v2, v3
	s_waitcnt vmcnt(22) lgkmcnt(1)
	v_mul_f32_e32 v3, v71, v161
	v_fma_f32 v3, v70, v160, -v3
	v_add_f32_e32 v2, v2, v3
	s_waitcnt vmcnt(20)
	v_mul_f32_e32 v3, v73, v163
	v_mul_f32_e32 v81, v70, v161
	v_fma_f32 v3, v72, v162, -v3
	v_fmac_f32_e32 v81, v71, v160
	v_add_f32_e32 v78, v2, v3
	s_waitcnt vmcnt(18) lgkmcnt(0)
	v_mul_f32_e32 v2, v75, v165
	v_add_f32_e32 v79, v79, v81
	v_mul_f32_e32 v81, v72, v163
	v_fma_f32 v80, v74, v164, -v2
	s_waitcnt vmcnt(16)
	v_mul_f32_e32 v2, v77, v167
	v_fmac_f32_e32 v81, v73, v162
	v_fma_f32 v88, v76, v166, -v2
	ds_read_b128 v[2:5], v28 offset:864
	ds_read_b128 v[6:9], v28 offset:880
	;; [unrolled: 1-line block ×4, first 2 shown]
	v_add_f32_e32 v79, v79, v81
	v_mul_f32_e32 v81, v74, v165
	s_waitcnt vmcnt(11)
	v_mov_b32_e32 v20, v87
	v_fmac_f32_e32 v81, v75, v164
	v_mul_f32_e32 v89, v76, v167
	s_waitcnt lgkmcnt(3)
	v_pk_mul_f32 v[20:21], v[2:3], v[20:21] op_sel_hi:[1,0]
	v_fmac_f32_e32 v89, v77, v166
	v_pk_add_f32 v[18:19], v[78:79], v[80:81]
	s_waitcnt vmcnt(10)
	v_pk_fma_f32 v[22:23], v[2:3], v[86:87], v[20:21] op_sel:[0,0,1] op_sel_hi:[1,1,0] neg_lo:[0,0,1] neg_hi:[0,0,1]
	v_pk_fma_f32 v[2:3], v[2:3], v[86:87], v[20:21] op_sel:[0,0,1] op_sel_hi:[1,0,0]
	v_pk_add_f32 v[18:19], v[18:19], v[88:89]
	v_mov_b32_e32 v23, v3
	v_pk_add_f32 v[2:3], v[18:19], v[22:23]
	v_mov_b32_e32 v18, v85
	v_pk_mul_f32 v[18:19], v[4:5], v[18:19] op_sel_hi:[1,0]
	v_pk_fma_f32 v[20:21], v[4:5], v[84:85], v[18:19] op_sel:[0,0,1] op_sel_hi:[1,1,0] neg_lo:[0,0,1] neg_hi:[0,0,1]
	v_pk_fma_f32 v[4:5], v[4:5], v[84:85], v[18:19] op_sel:[0,0,1] op_sel_hi:[1,0,0]
	v_mov_b32_e32 v4, v83
	v_mov_b32_e32 v21, v5
	s_waitcnt lgkmcnt(2)
	v_pk_mul_f32 v[4:5], v[6:7], v[4:5] op_sel_hi:[1,0]
	v_pk_fma_f32 v[18:19], v[6:7], v[82:83], v[4:5] op_sel:[0,0,1] op_sel_hi:[1,1,0] neg_lo:[0,0,1] neg_hi:[0,0,1]
	v_pk_fma_f32 v[4:5], v[6:7], v[82:83], v[4:5] op_sel:[0,0,1] op_sel_hi:[1,0,0]
	s_waitcnt vmcnt(3)
	v_mov_b32_e32 v4, v97
	v_mov_b32_e32 v19, v5
	v_pk_mul_f32 v[4:5], v[8:9], v[4:5] op_sel_hi:[1,0]
	s_waitcnt vmcnt(2)
	v_pk_fma_f32 v[6:7], v[8:9], v[96:97], v[4:5] op_sel:[0,0,1] op_sel_hi:[1,1,0] neg_lo:[0,0,1] neg_hi:[0,0,1]
	v_pk_fma_f32 v[4:5], v[8:9], v[96:97], v[4:5] op_sel:[0,0,1] op_sel_hi:[1,0,0]
	v_pk_add_f32 v[2:3], v[2:3], v[20:21]
	v_mov_b32_e32 v4, v95
	v_pk_add_f32 v[2:3], v[2:3], v[18:19]
	v_mov_b32_e32 v7, v5
	s_waitcnt lgkmcnt(1)
	v_pk_mul_f32 v[4:5], v[10:11], v[4:5] op_sel_hi:[1,0]
	v_pk_add_f32 v[2:3], v[2:3], v[6:7]
	v_pk_fma_f32 v[6:7], v[10:11], v[94:95], v[4:5] op_sel:[0,0,1] op_sel_hi:[1,1,0] neg_lo:[0,0,1] neg_hi:[0,0,1]
	v_pk_fma_f32 v[4:5], v[10:11], v[94:95], v[4:5] op_sel:[0,0,1] op_sel_hi:[1,0,0]
	v_mov_b32_e32 v4, v93
	v_mov_b32_e32 v7, v5
	v_pk_mul_f32 v[4:5], v[12:13], v[4:5] op_sel_hi:[1,0]
	v_pk_add_f32 v[2:3], v[2:3], v[6:7]
	v_pk_fma_f32 v[6:7], v[12:13], v[92:93], v[4:5] op_sel:[0,0,1] op_sel_hi:[1,1,0] neg_lo:[0,0,1] neg_hi:[0,0,1]
	v_pk_fma_f32 v[4:5], v[12:13], v[92:93], v[4:5] op_sel:[0,0,1] op_sel_hi:[1,0,0]
	v_mov_b32_e32 v4, v91
	v_mov_b32_e32 v7, v5
	s_waitcnt lgkmcnt(0)
	v_pk_mul_f32 v[4:5], v[14:15], v[4:5] op_sel_hi:[1,0]
	v_pk_add_f32 v[2:3], v[2:3], v[6:7]
	v_pk_fma_f32 v[6:7], v[14:15], v[90:91], v[4:5] op_sel:[0,0,1] op_sel_hi:[1,1,0] neg_lo:[0,0,1] neg_hi:[0,0,1]
	v_pk_fma_f32 v[4:5], v[14:15], v[90:91], v[4:5] op_sel:[0,0,1] op_sel_hi:[1,0,0]
	s_waitcnt vmcnt(1)
	v_mov_b32_e32 v4, v99
	v_mov_b32_e32 v7, v5
	v_pk_mul_f32 v[4:5], v[16:17], v[4:5] op_sel_hi:[1,0]
	v_pk_add_f32 v[2:3], v[2:3], v[6:7]
	s_waitcnt vmcnt(0)
	v_pk_fma_f32 v[6:7], v[16:17], v[98:99], v[4:5] op_sel:[0,0,1] op_sel_hi:[1,1,0] neg_lo:[0,0,1] neg_hi:[0,0,1]
	v_pk_fma_f32 v[4:5], v[16:17], v[98:99], v[4:5] op_sel:[0,0,1] op_sel_hi:[1,0,0]
	v_mov_b32_e32 v7, v5
	v_pk_add_f32 v[2:3], v[2:3], v[6:7]
	v_pk_add_f32 v[2:3], v[26:27], v[2:3] neg_lo:[0,1] neg_hi:[0,1]
	buffer_store_dword v3, off, s[0:3], 0 offset:108
	buffer_store_dword v2, off, s[0:3], 0 offset:104
	s_and_saveexec_b64 s[4:5], vcc
	s_cbranch_execz .LBB57_337
; %bb.336:
	buffer_load_dword v2, off, s[0:3], 0 offset:96
	buffer_load_dword v3, off, s[0:3], 0 offset:100
	v_mov_b32_e32 v4, 0
	buffer_store_dword v4, off, s[0:3], 0 offset:96
	buffer_store_dword v4, off, s[0:3], 0 offset:100
	s_waitcnt vmcnt(2)
	ds_write_b64 v175, v[2:3]
.LBB57_337:
	s_or_b64 exec, exec, s[4:5]
	v_mov_b32_e32 v218, 0
	s_waitcnt lgkmcnt(0)
	; wave barrier
	s_waitcnt lgkmcnt(0)
	ds_read2_b64 v[2:5], v218 offset0:71 offset1:72
	buffer_load_dword v78, off, s[0:3], 0 offset:96
	buffer_load_dword v79, off, s[0:3], 0 offset:100
	;; [unrolled: 1-line block ×16, first 2 shown]
	v_cmp_lt_u32_e32 vcc, 11, v0
	s_waitcnt vmcnt(12) lgkmcnt(0)
	v_mul_f32_e32 v6, v2, v100
	v_fmac_f32_e32 v6, v3, v80
	s_waitcnt vmcnt(10)
	v_mul_f32_e32 v7, v4, v102
	v_add_f32_e32 v6, 0, v6
	v_fmac_f32_e32 v7, v5, v82
	v_add_f32_e32 v10, v6, v7
	ds_read2_b64 v[6:9], v218 offset0:73 offset1:74
	v_mul_f32_e32 v3, v3, v100
	v_fma_f32 v2, v2, v80, -v3
	v_mul_f32_e32 v3, v5, v102
	v_add_f32_e32 v2, 0, v2
	s_waitcnt vmcnt(8) lgkmcnt(0)
	v_mul_f32_e32 v11, v6, v104
	v_fmac_f32_e32 v11, v7, v86
	v_add_f32_e32 v10, v10, v11
	s_waitcnt vmcnt(6)
	v_mul_f32_e32 v11, v8, v106
	v_fmac_f32_e32 v11, v9, v101
	v_add_f32_e32 v14, v10, v11
	ds_read2_b64 v[10:13], v218 offset0:75 offset1:76
	v_fma_f32 v3, v4, v82, -v3
	v_add_f32_e32 v2, v2, v3
	v_mul_f32_e32 v3, v7, v104
	v_fma_f32 v3, v6, v86, -v3
	s_waitcnt vmcnt(4) lgkmcnt(0)
	v_mul_f32_e32 v15, v10, v108
	v_fmac_f32_e32 v15, v11, v103
	v_add_f32_e32 v14, v14, v15
	s_waitcnt vmcnt(2)
	v_mul_f32_e32 v15, v12, v109
	v_fmac_f32_e32 v15, v13, v105
	v_add_f32_e32 v18, v14, v15
	ds_read2_b64 v[14:17], v218 offset0:77 offset1:78
	buffer_load_dword v111, off, s[0:3], 0 offset:160
	buffer_load_dword v112, off, s[0:3], 0 offset:164
	v_add_f32_e32 v2, v2, v3
	v_mul_f32_e32 v3, v9, v106
	v_fma_f32 v3, v8, v101, -v3
	s_waitcnt vmcnt(2) lgkmcnt(0)
	v_mul_f32_e32 v19, v14, v110
	v_fmac_f32_e32 v19, v15, v107
	v_add_f32_e32 v18, v18, v19
	v_add_f32_e32 v2, v2, v3
	v_mul_f32_e32 v3, v11, v108
	v_fma_f32 v3, v10, v103, -v3
	v_add_f32_e32 v2, v2, v3
	v_mul_f32_e32 v3, v13, v109
	v_fma_f32 v3, v12, v105, -v3
	;; [unrolled: 3-line block ×3, first 2 shown]
	v_add_f32_e32 v2, v2, v3
	s_waitcnt vmcnt(0)
	v_mul_f32_e32 v19, v16, v112
	v_fmac_f32_e32 v19, v17, v111
	v_add_f32_e32 v22, v18, v19
	ds_read2_b64 v[18:21], v218 offset0:79 offset1:80
	buffer_load_dword v113, off, s[0:3], 0 offset:168
	buffer_load_dword v114, off, s[0:3], 0 offset:172
	buffer_load_dword v115, off, s[0:3], 0 offset:176
	buffer_load_dword v116, off, s[0:3], 0 offset:180
	v_mul_f32_e32 v3, v17, v112
	v_fma_f32 v3, v16, v111, -v3
	v_add_f32_e32 v2, v2, v3
	s_waitcnt vmcnt(2) lgkmcnt(0)
	v_mul_f32_e32 v23, v18, v114
	v_fmac_f32_e32 v23, v19, v113
	v_add_f32_e32 v22, v22, v23
	s_waitcnt vmcnt(0)
	v_mul_f32_e32 v23, v20, v116
	v_fmac_f32_e32 v23, v21, v115
	v_add_f32_e32 v26, v22, v23
	ds_read2_b64 v[22:25], v218 offset0:81 offset1:82
	buffer_load_dword v117, off, s[0:3], 0 offset:184
	buffer_load_dword v118, off, s[0:3], 0 offset:188
	buffer_load_dword v119, off, s[0:3], 0 offset:192
	buffer_load_dword v120, off, s[0:3], 0 offset:196
	ds_read2_b64 v[30:33], v218 offset0:83 offset1:84
	buffer_load_dword v121, off, s[0:3], 0 offset:200
	buffer_load_dword v122, off, s[0:3], 0 offset:204
	buffer_load_dword v123, off, s[0:3], 0 offset:208
	buffer_load_dword v124, off, s[0:3], 0 offset:212
	;; [unrolled: 5-line block ×13, first 2 shown]
	v_mul_f32_e32 v3, v19, v114
	v_fma_f32 v3, v18, v113, -v3
	v_add_f32_e32 v2, v2, v3
	v_mul_f32_e32 v3, v21, v116
	v_fma_f32 v3, v20, v115, -v3
	v_add_f32_e32 v2, v2, v3
	s_waitcnt vmcnt(50) lgkmcnt(12)
	v_mul_f32_e32 v27, v22, v118
	v_fmac_f32_e32 v27, v23, v117
	v_add_f32_e32 v26, v26, v27
	s_waitcnt vmcnt(48)
	v_mul_f32_e32 v27, v24, v120
	v_fmac_f32_e32 v27, v25, v119
	v_add_f32_e32 v26, v26, v27
	s_waitcnt vmcnt(46) lgkmcnt(11)
	v_mul_f32_e32 v27, v30, v122
	v_fmac_f32_e32 v27, v31, v121
	v_add_f32_e32 v26, v26, v27
	s_waitcnt vmcnt(44)
	v_mul_f32_e32 v27, v32, v124
	v_fmac_f32_e32 v27, v33, v123
	;; [unrolled: 8-line block ×12, first 2 shown]
	v_add_f32_e32 v26, v26, v27
	s_waitcnt vmcnt(2) lgkmcnt(0)
	v_mul_f32_e32 v27, v74, v166
	v_fmac_f32_e32 v27, v75, v165
	v_add_f32_e32 v81, v26, v27
	ds_read2_b64 v[26:29], v218 offset0:107 offset1:108
	buffer_load_dword v169, off, s[0:3], 0 offset:392
	buffer_load_dword v219, off, s[0:3], 0 offset:396
	buffer_load_dword v85, off, s[0:3], 0 offset:404
	buffer_load_dword v84, off, s[0:3], 0 offset:400
	buffer_load_dword v217, off, s[0:3], 0 offset:412
	buffer_load_dword v216, off, s[0:3], 0 offset:408
	buffer_load_dword v99, off, s[0:3], 0 offset:420
	buffer_load_dword v98, off, s[0:3], 0 offset:416
	buffer_load_dword v97, off, s[0:3], 0 offset:428
	buffer_load_dword v96, off, s[0:3], 0 offset:424
	buffer_load_dword v95, off, s[0:3], 0 offset:436
	buffer_load_dword v94, off, s[0:3], 0 offset:432
	buffer_load_dword v93, off, s[0:3], 0 offset:444
	buffer_load_dword v92, off, s[0:3], 0 offset:440
	buffer_load_dword v91, off, s[0:3], 0 offset:452
	buffer_load_dword v90, off, s[0:3], 0 offset:448
	buffer_load_dword v89, off, s[0:3], 0 offset:460
	buffer_load_dword v88, off, s[0:3], 0 offset:456
	v_mul_f32_e32 v3, v23, v118
	v_fma_f32 v3, v22, v117, -v3
	v_add_f32_e32 v2, v2, v3
	v_mul_f32_e32 v3, v25, v120
	v_fma_f32 v3, v24, v119, -v3
	v_add_f32_e32 v2, v2, v3
	;; [unrolled: 3-line block ×25, first 2 shown]
	s_waitcnt vmcnt(18)
	v_mul_f32_e32 v2, v77, v168
	s_waitcnt vmcnt(15)
	v_mov_b32_e32 v18, v85
	v_mul_f32_e32 v83, v76, v168
	v_fma_f32 v82, v76, v167, -v2
	s_waitcnt lgkmcnt(0)
	v_mul_f32_e32 v2, v27, v219
	v_pk_mul_f32 v[18:19], v[28:29], v[18:19] op_sel_hi:[1,0]
	v_fmac_f32_e32 v83, v77, v167
	v_mul_f32_e32 v87, v26, v219
	v_fma_f32 v86, v26, v169, -v2
	ds_read2_b64 v[2:5], v218 offset0:109 offset1:110
	ds_read2_b64 v[6:9], v218 offset0:111 offset1:112
	;; [unrolled: 1-line block ×3, first 2 shown]
	ds_read_b64 v[14:15], v218 offset:920
	s_waitcnt vmcnt(14)
	v_pk_fma_f32 v[20:21], v[28:29], v[84:85], v[18:19] op_sel:[0,0,1] op_sel_hi:[1,1,0] neg_lo:[0,0,1] neg_hi:[0,0,1]
	v_pk_fma_f32 v[18:19], v[28:29], v[84:85], v[18:19] op_sel:[0,0,1] op_sel_hi:[1,0,0]
	v_fmac_f32_e32 v87, v27, v169
	v_pk_add_f32 v[16:17], v[80:81], v[82:83]
	s_waitcnt vmcnt(13)
	v_mov_b32_e32 v18, v217
	v_pk_add_f32 v[16:17], v[16:17], v[86:87]
	v_mov_b32_e32 v21, v19
	s_waitcnt lgkmcnt(3)
	v_pk_mul_f32 v[18:19], v[2:3], v[18:19] op_sel_hi:[1,0]
	v_pk_add_f32 v[16:17], v[16:17], v[20:21]
	s_waitcnt vmcnt(12)
	v_pk_fma_f32 v[20:21], v[2:3], v[216:217], v[18:19] op_sel:[0,0,1] op_sel_hi:[1,1,0] neg_lo:[0,0,1] neg_hi:[0,0,1]
	v_pk_fma_f32 v[2:3], v[2:3], v[216:217], v[18:19] op_sel:[0,0,1] op_sel_hi:[1,0,0]
	v_mov_b32_e32 v21, v3
	v_pk_add_f32 v[2:3], v[16:17], v[20:21]
	s_waitcnt vmcnt(11)
	v_mov_b32_e32 v16, v99
	v_pk_mul_f32 v[16:17], v[4:5], v[16:17] op_sel_hi:[1,0]
	s_waitcnt vmcnt(10)
	v_pk_fma_f32 v[18:19], v[4:5], v[98:99], v[16:17] op_sel:[0,0,1] op_sel_hi:[1,1,0] neg_lo:[0,0,1] neg_hi:[0,0,1]
	v_pk_fma_f32 v[4:5], v[4:5], v[98:99], v[16:17] op_sel:[0,0,1] op_sel_hi:[1,0,0]
	s_waitcnt vmcnt(9)
	v_mov_b32_e32 v4, v97
	v_mov_b32_e32 v19, v5
	s_waitcnt lgkmcnt(2)
	v_pk_mul_f32 v[4:5], v[6:7], v[4:5] op_sel_hi:[1,0]
	s_waitcnt vmcnt(8)
	v_pk_fma_f32 v[16:17], v[6:7], v[96:97], v[4:5] op_sel:[0,0,1] op_sel_hi:[1,1,0] neg_lo:[0,0,1] neg_hi:[0,0,1]
	v_pk_fma_f32 v[4:5], v[6:7], v[96:97], v[4:5] op_sel:[0,0,1] op_sel_hi:[1,0,0]
	s_waitcnt vmcnt(7)
	v_mov_b32_e32 v4, v95
	v_mov_b32_e32 v17, v5
	v_pk_mul_f32 v[4:5], v[8:9], v[4:5] op_sel_hi:[1,0]
	s_waitcnt vmcnt(6)
	v_pk_fma_f32 v[6:7], v[8:9], v[94:95], v[4:5] op_sel:[0,0,1] op_sel_hi:[1,1,0] neg_lo:[0,0,1] neg_hi:[0,0,1]
	v_pk_fma_f32 v[4:5], v[8:9], v[94:95], v[4:5] op_sel:[0,0,1] op_sel_hi:[1,0,0]
	v_pk_add_f32 v[2:3], v[2:3], v[18:19]
	s_waitcnt vmcnt(5)
	v_mov_b32_e32 v4, v93
	v_pk_add_f32 v[2:3], v[2:3], v[16:17]
	v_mov_b32_e32 v7, v5
	s_waitcnt lgkmcnt(1)
	v_pk_mul_f32 v[4:5], v[10:11], v[4:5] op_sel_hi:[1,0]
	v_pk_add_f32 v[2:3], v[2:3], v[6:7]
	s_waitcnt vmcnt(4)
	v_pk_fma_f32 v[6:7], v[10:11], v[92:93], v[4:5] op_sel:[0,0,1] op_sel_hi:[1,1,0] neg_lo:[0,0,1] neg_hi:[0,0,1]
	v_pk_fma_f32 v[4:5], v[10:11], v[92:93], v[4:5] op_sel:[0,0,1] op_sel_hi:[1,0,0]
	s_waitcnt vmcnt(3)
	v_mov_b32_e32 v4, v91
	v_mov_b32_e32 v7, v5
	v_pk_mul_f32 v[4:5], v[12:13], v[4:5] op_sel_hi:[1,0]
	v_pk_add_f32 v[2:3], v[2:3], v[6:7]
	s_waitcnt vmcnt(2)
	v_pk_fma_f32 v[6:7], v[12:13], v[90:91], v[4:5] op_sel:[0,0,1] op_sel_hi:[1,1,0] neg_lo:[0,0,1] neg_hi:[0,0,1]
	v_pk_fma_f32 v[4:5], v[12:13], v[90:91], v[4:5] op_sel:[0,0,1] op_sel_hi:[1,0,0]
	s_waitcnt vmcnt(1)
	v_mov_b32_e32 v4, v89
	v_mov_b32_e32 v7, v5
	s_waitcnt lgkmcnt(0)
	v_pk_mul_f32 v[4:5], v[14:15], v[4:5] op_sel_hi:[1,0]
	v_pk_add_f32 v[2:3], v[2:3], v[6:7]
	s_waitcnt vmcnt(0)
	v_pk_fma_f32 v[6:7], v[14:15], v[88:89], v[4:5] op_sel:[0,0,1] op_sel_hi:[1,1,0] neg_lo:[0,0,1] neg_hi:[0,0,1]
	v_pk_fma_f32 v[4:5], v[14:15], v[88:89], v[4:5] op_sel:[0,0,1] op_sel_hi:[1,0,0]
	v_mov_b32_e32 v7, v5
	v_pk_add_f32 v[2:3], v[2:3], v[6:7]
	v_pk_add_f32 v[2:3], v[78:79], v[2:3] neg_lo:[0,1] neg_hi:[0,1]
	buffer_store_dword v3, off, s[0:3], 0 offset:100
	buffer_store_dword v2, off, s[0:3], 0 offset:96
	s_and_saveexec_b64 s[4:5], vcc
	s_cbranch_execz .LBB57_339
; %bb.338:
	buffer_load_dword v2, off, s[0:3], 0 offset:88
	buffer_load_dword v3, off, s[0:3], 0 offset:92
	s_waitcnt vmcnt(0)
	ds_write_b64 v175, v[2:3]
	buffer_store_dword v218, off, s[0:3], 0 offset:88
	buffer_store_dword v218, off, s[0:3], 0 offset:92
.LBB57_339:
	s_or_b64 exec, exec, s[4:5]
	s_waitcnt lgkmcnt(0)
	; wave barrier
	s_waitcnt lgkmcnt(0)
	buffer_load_dword v86, off, s[0:3], 0 offset:100
	buffer_load_dword v88, off, s[0:3], 0 offset:108
	;; [unrolled: 1-line block ×32, first 2 shown]
	ds_read_b128 v[22:25], v218 offset:560
	ds_read_b128 v[18:21], v218 offset:576
	;; [unrolled: 1-line block ×6, first 2 shown]
	buffer_load_dword v133, off, s[0:3], 0 offset:216
	buffer_load_dword v134, off, s[0:3], 0 offset:220
	buffer_load_dword v135, off, s[0:3], 0 offset:224
	buffer_load_dword v136, off, s[0:3], 0 offset:228
	buffer_load_dword v137, off, s[0:3], 0 offset:232
	buffer_load_dword v138, off, s[0:3], 0 offset:236
	buffer_load_dword v139, off, s[0:3], 0 offset:240
	buffer_load_dword v140, off, s[0:3], 0 offset:244
	buffer_load_dword v141, off, s[0:3], 0 offset:248
	buffer_load_dword v142, off, s[0:3], 0 offset:252
	buffer_load_dword v143, off, s[0:3], 0 offset:256
	buffer_load_dword v144, off, s[0:3], 0 offset:260
	buffer_load_dword v145, off, s[0:3], 0 offset:264
	buffer_load_dword v146, off, s[0:3], 0 offset:268
	buffer_load_dword v147, off, s[0:3], 0 offset:272
	buffer_load_dword v148, off, s[0:3], 0 offset:276
	buffer_load_dword v149, off, s[0:3], 0 offset:280
	buffer_load_dword v150, off, s[0:3], 0 offset:284
	buffer_load_dword v151, off, s[0:3], 0 offset:288
	buffer_load_dword v152, off, s[0:3], 0 offset:292
	buffer_load_dword v153, off, s[0:3], 0 offset:296
	buffer_load_dword v154, off, s[0:3], 0 offset:300
	buffer_load_dword v155, off, s[0:3], 0 offset:304
	buffer_load_dword v156, off, s[0:3], 0 offset:308
	buffer_load_dword v157, off, s[0:3], 0 offset:312
	buffer_load_dword v158, off, s[0:3], 0 offset:316
	buffer_load_dword v159, off, s[0:3], 0 offset:320
	buffer_load_dword v160, off, s[0:3], 0 offset:324
	buffer_load_dword v161, off, s[0:3], 0 offset:328
	buffer_load_dword v162, off, s[0:3], 0 offset:332
	buffer_load_dword v163, off, s[0:3], 0 offset:336
	buffer_load_dword v164, off, s[0:3], 0 offset:340
	v_cmp_lt_u32_e32 vcc, 10, v0
	s_waitcnt vmcnt(62) lgkmcnt(5)
	v_mul_f32_e32 v28, v22, v86
	v_mul_f32_e32 v29, v24, v88
	s_waitcnt vmcnt(61) lgkmcnt(4)
	v_mul_f32_e32 v31, v20, v90
	s_waitcnt vmcnt(60) lgkmcnt(3)
	v_mul_f32_e32 v32, v14, v106
	s_waitcnt vmcnt(59)
	v_mul_f32_e32 v33, v16, v107
	s_waitcnt vmcnt(58)
	v_mul_f32_e32 v30, v18, v108
	s_waitcnt vmcnt(57) lgkmcnt(2)
	v_mul_f32_e32 v34, v10, v109
	s_waitcnt vmcnt(56)
	v_mul_f32_e32 v35, v12, v110
	s_waitcnt vmcnt(55) lgkmcnt(1)
	v_mul_f32_e32 v36, v6, v111
	s_waitcnt vmcnt(54)
	v_mul_f32_e32 v37, v8, v112
	s_waitcnt vmcnt(53)
	v_fmac_f32_e32 v30, v19, v113
	s_waitcnt vmcnt(52)
	v_fmac_f32_e32 v29, v25, v114
	;; [unrolled: 2-line block ×3, first 2 shown]
	v_add_f32_e32 v28, 0, v28
	v_add_f32_e32 v28, v28, v29
	;; [unrolled: 1-line block ×3, first 2 shown]
	s_waitcnt vmcnt(47)
	v_fmac_f32_e32 v31, v21, v119
	v_fmac_f32_e32 v32, v15, v118
	v_add_f32_e32 v28, v28, v31
	v_fmac_f32_e32 v33, v17, v117
	v_add_f32_e32 v28, v28, v32
	;; [unrolled: 2-line block ×3, first 2 shown]
	s_waitcnt vmcnt(43)
	v_fmac_f32_e32 v35, v13, v123
	v_add_f32_e32 v28, v28, v34
	v_fmac_f32_e32 v36, v7, v122
	v_add_f32_e32 v28, v28, v35
	;; [unrolled: 2-line block ×3, first 2 shown]
	s_waitcnt vmcnt(42) lgkmcnt(0)
	v_mul_f32_e32 v29, v2, v124
	v_add_f32_e32 v28, v28, v37
	v_fmac_f32_e32 v29, v3, v120
	v_add_f32_e32 v32, v28, v29
	ds_read_b128 v[28:31], v218 offset:656
	buffer_load_dword v165, off, s[0:3], 0 offset:344
	buffer_load_dword v166, off, s[0:3], 0 offset:348
	s_waitcnt vmcnt(43)
	v_mul_f32_e32 v33, v4, v125
	s_waitcnt vmcnt(36)
	v_fmac_f32_e32 v33, v5, v132
	v_add_f32_e32 v36, v32, v33
	ds_read_b128 v[32:35], v218 offset:672
	buffer_load_dword v167, off, s[0:3], 0 offset:352
	buffer_load_dword v168, off, s[0:3], 0 offset:356
	;; [unrolled: 1-line block ×8, first 2 shown]
	s_waitcnt lgkmcnt(1)
	v_mul_f32_e32 v37, v28, v127
	v_fmac_f32_e32 v37, v29, v126
	v_add_f32_e32 v36, v36, v37
	v_mul_f32_e32 v37, v30, v129
	v_fmac_f32_e32 v37, v31, v128
	v_add_f32_e32 v36, v36, v37
	s_waitcnt lgkmcnt(0)
	v_mul_f32_e32 v37, v32, v131
	v_fmac_f32_e32 v37, v33, v130
	v_add_f32_e32 v40, v36, v37
	buffer_load_dword v222, off, s[0:3], 0 offset:384
	buffer_load_dword v223, off, s[0:3], 0 offset:388
	;; [unrolled: 1-line block ×4, first 2 shown]
	ds_read_b128 v[36:39], v218 offset:688
	s_waitcnt vmcnt(44)
	v_mul_f32_e32 v41, v34, v134
	v_fmac_f32_e32 v41, v35, v133
	v_add_f32_e32 v44, v40, v41
	ds_read_b128 v[40:43], v218 offset:704
	s_waitcnt vmcnt(42) lgkmcnt(1)
	v_mul_f32_e32 v45, v36, v136
	v_fmac_f32_e32 v45, v37, v135
	v_add_f32_e32 v44, v44, v45
	s_waitcnt vmcnt(40)
	v_mul_f32_e32 v45, v38, v138
	v_fmac_f32_e32 v45, v39, v137
	v_add_f32_e32 v44, v44, v45
	s_waitcnt vmcnt(38) lgkmcnt(0)
	v_mul_f32_e32 v45, v40, v140
	v_fmac_f32_e32 v45, v41, v139
	v_add_f32_e32 v48, v44, v45
	ds_read_b128 v[44:47], v218 offset:720
	s_waitcnt vmcnt(36)
	v_mul_f32_e32 v49, v42, v142
	v_fmac_f32_e32 v49, v43, v141
	v_add_f32_e32 v52, v48, v49
	ds_read_b128 v[48:51], v218 offset:736
	s_waitcnt vmcnt(34) lgkmcnt(1)
	v_mul_f32_e32 v53, v44, v144
	v_fmac_f32_e32 v53, v45, v143
	v_add_f32_e32 v52, v52, v53
	s_waitcnt vmcnt(32)
	v_mul_f32_e32 v53, v46, v146
	v_fmac_f32_e32 v53, v47, v145
	v_add_f32_e32 v52, v52, v53
	s_waitcnt vmcnt(30) lgkmcnt(0)
	v_mul_f32_e32 v53, v48, v148
	v_fmac_f32_e32 v53, v49, v147
	v_add_f32_e32 v56, v52, v53
	;; [unrolled: 18-line block ×4, first 2 shown]
	ds_read_b128 v[68:71], v218 offset:816
	v_mul_f32_e32 v23, v23, v86
	v_fma_f32 v22, v22, v115, -v23
	v_mul_f32_e32 v23, v25, v88
	v_add_f32_e32 v22, 0, v22
	s_waitcnt vmcnt(12)
	v_mul_f32_e32 v73, v66, v166
	v_fmac_f32_e32 v73, v67, v165
	v_add_f32_e32 v76, v72, v73
	ds_read_b128 v[72:75], v218 offset:832
	buffer_load_dword v85, off, s[0:3], 0 offset:404
	buffer_load_dword v84, off, s[0:3], 0 offset:400
	s_waitcnt vmcnt(12) lgkmcnt(1)
	v_mul_f32_e32 v77, v68, v168
	v_fmac_f32_e32 v77, v69, v167
	v_add_f32_e32 v76, v76, v77
	s_waitcnt vmcnt(10)
	v_mul_f32_e32 v77, v70, v216
	v_fmac_f32_e32 v77, v71, v169
	v_add_f32_e32 v76, v76, v77
	s_waitcnt vmcnt(8) lgkmcnt(0)
	v_mul_f32_e32 v77, v72, v219
	v_fmac_f32_e32 v77, v73, v217
	s_waitcnt vmcnt(6)
	v_mul_f32_e32 v81, v74, v221
	v_add_f32_e32 v80, v76, v77
	v_fmac_f32_e32 v81, v75, v220
	ds_read_b128 v[76:79], v218 offset:848
	v_add_f32_e32 v87, v80, v81
	ds_read_b128 v[80:83], v218 offset:864
	buffer_load_dword v93, off, s[0:3], 0 offset:436
	buffer_load_dword v92, off, s[0:3], 0 offset:432
	;; [unrolled: 1-line block ×14, first 2 shown]
	v_fma_f32 v23, v24, v114, -v23
	v_mul_f32_e32 v19, v19, v108
	v_add_f32_e32 v22, v22, v23
	v_fma_f32 v18, v18, v113, -v19
	v_mul_f32_e32 v19, v21, v90
	v_add_f32_e32 v18, v22, v18
	;; [unrolled: 3-line block ×10, first 2 shown]
	v_fma_f32 v3, v4, v132, -v3
	v_add_f32_e32 v2, v2, v3
	v_mul_f32_e32 v3, v29, v127
	v_fma_f32 v3, v28, v126, -v3
	v_add_f32_e32 v2, v2, v3
	v_mul_f32_e32 v3, v31, v129
	;; [unrolled: 3-line block ×24, first 2 shown]
	v_fma_f32 v3, v74, v220, -v3
	s_waitcnt vmcnt(15)
	v_mov_b32_e32 v16, v85
	s_waitcnt lgkmcnt(1)
	v_mul_f32_e32 v89, v76, v223
	v_add_f32_e32 v86, v2, v3
	v_mul_f32_e32 v2, v77, v223
	s_waitcnt lgkmcnt(0)
	v_pk_mul_f32 v[16:17], v[80:81], v[16:17] op_sel_hi:[1,0]
	v_fmac_f32_e32 v89, v77, v222
	v_mul_f32_e32 v91, v78, v225
	v_fma_f32 v88, v76, v222, -v2
	v_mul_f32_e32 v2, v79, v225
	s_waitcnt vmcnt(14)
	v_pk_fma_f32 v[18:19], v[80:81], v[84:85], v[16:17] op_sel:[0,0,1] op_sel_hi:[1,1,0] neg_lo:[0,0,1] neg_hi:[0,0,1]
	v_pk_fma_f32 v[16:17], v[80:81], v[84:85], v[16:17] op_sel:[0,0,1] op_sel_hi:[1,0,0]
	v_fmac_f32_e32 v91, v79, v224
	v_fma_f32 v90, v78, v224, -v2
	v_pk_add_f32 v[14:15], v[86:87], v[88:89]
	s_waitcnt vmcnt(7)
	v_mov_b32_e32 v16, v99
	ds_read_b128 v[2:5], v218 offset:880
	ds_read_b128 v[6:9], v218 offset:896
	;; [unrolled: 1-line block ×3, first 2 shown]
	v_pk_add_f32 v[14:15], v[14:15], v[90:91]
	v_mov_b32_e32 v19, v17
	v_pk_mul_f32 v[16:17], v[82:83], v[16:17] op_sel_hi:[1,0]
	v_pk_add_f32 v[14:15], v[14:15], v[18:19]
	s_waitcnt vmcnt(6)
	v_pk_fma_f32 v[18:19], v[82:83], v[98:99], v[16:17] op_sel:[0,0,1] op_sel_hi:[1,1,0] neg_lo:[0,0,1] neg_hi:[0,0,1]
	v_pk_fma_f32 v[16:17], v[82:83], v[98:99], v[16:17] op_sel:[0,0,1] op_sel_hi:[1,0,0]
	v_mov_b32_e32 v16, v97
	v_mov_b32_e32 v19, v17
	s_waitcnt lgkmcnt(2)
	v_pk_mul_f32 v[16:17], v[2:3], v[16:17] op_sel_hi:[1,0]
	v_pk_add_f32 v[14:15], v[14:15], v[18:19]
	v_pk_fma_f32 v[18:19], v[2:3], v[96:97], v[16:17] op_sel:[0,0,1] op_sel_hi:[1,1,0] neg_lo:[0,0,1] neg_hi:[0,0,1]
	v_pk_fma_f32 v[2:3], v[2:3], v[96:97], v[16:17] op_sel:[0,0,1] op_sel_hi:[1,0,0]
	v_mov_b32_e32 v19, v3
	v_pk_add_f32 v[2:3], v[14:15], v[18:19]
	v_mov_b32_e32 v14, v95
	v_pk_mul_f32 v[14:15], v[4:5], v[14:15] op_sel_hi:[1,0]
	v_pk_fma_f32 v[16:17], v[4:5], v[94:95], v[14:15] op_sel:[0,0,1] op_sel_hi:[1,1,0] neg_lo:[0,0,1] neg_hi:[0,0,1]
	v_pk_fma_f32 v[4:5], v[4:5], v[94:95], v[14:15] op_sel:[0,0,1] op_sel_hi:[1,0,0]
	v_mov_b32_e32 v4, v93
	v_mov_b32_e32 v17, v5
	s_waitcnt lgkmcnt(1)
	v_pk_mul_f32 v[4:5], v[6:7], v[4:5] op_sel_hi:[1,0]
	v_pk_fma_f32 v[14:15], v[6:7], v[92:93], v[4:5] op_sel:[0,0,1] op_sel_hi:[1,1,0] neg_lo:[0,0,1] neg_hi:[0,0,1]
	v_pk_fma_f32 v[4:5], v[6:7], v[92:93], v[4:5] op_sel:[0,0,1] op_sel_hi:[1,0,0]
	s_waitcnt vmcnt(1)
	v_mov_b32_e32 v4, v105
	v_mov_b32_e32 v15, v5
	v_pk_mul_f32 v[4:5], v[8:9], v[4:5] op_sel_hi:[1,0]
	s_waitcnt vmcnt(0)
	v_pk_fma_f32 v[6:7], v[8:9], v[104:105], v[4:5] op_sel:[0,0,1] op_sel_hi:[1,1,0] neg_lo:[0,0,1] neg_hi:[0,0,1]
	v_pk_fma_f32 v[4:5], v[8:9], v[104:105], v[4:5] op_sel:[0,0,1] op_sel_hi:[1,0,0]
	v_pk_add_f32 v[2:3], v[2:3], v[16:17]
	v_mov_b32_e32 v4, v103
	v_pk_add_f32 v[2:3], v[2:3], v[14:15]
	v_mov_b32_e32 v7, v5
	s_waitcnt lgkmcnt(0)
	v_pk_mul_f32 v[4:5], v[10:11], v[4:5] op_sel_hi:[1,0]
	v_pk_add_f32 v[2:3], v[2:3], v[6:7]
	v_pk_fma_f32 v[6:7], v[10:11], v[102:103], v[4:5] op_sel:[0,0,1] op_sel_hi:[1,1,0] neg_lo:[0,0,1] neg_hi:[0,0,1]
	v_pk_fma_f32 v[4:5], v[10:11], v[102:103], v[4:5] op_sel:[0,0,1] op_sel_hi:[1,0,0]
	v_mov_b32_e32 v4, v101
	v_mov_b32_e32 v7, v5
	v_pk_mul_f32 v[4:5], v[12:13], v[4:5] op_sel_hi:[1,0]
	v_pk_add_f32 v[2:3], v[2:3], v[6:7]
	v_pk_fma_f32 v[6:7], v[12:13], v[100:101], v[4:5] op_sel:[0,0,1] op_sel_hi:[1,1,0] neg_lo:[0,0,1] neg_hi:[0,0,1]
	v_pk_fma_f32 v[4:5], v[12:13], v[100:101], v[4:5] op_sel:[0,0,1] op_sel_hi:[1,0,0]
	v_mov_b32_e32 v7, v5
	v_pk_add_f32 v[2:3], v[2:3], v[6:7]
	v_pk_add_f32 v[2:3], v[26:27], v[2:3] neg_lo:[0,1] neg_hi:[0,1]
	buffer_store_dword v3, off, s[0:3], 0 offset:92
	buffer_store_dword v2, off, s[0:3], 0 offset:88
	s_and_saveexec_b64 s[4:5], vcc
	s_cbranch_execz .LBB57_341
; %bb.340:
	buffer_load_dword v2, off, s[0:3], 0 offset:80
	buffer_load_dword v3, off, s[0:3], 0 offset:84
	v_mov_b32_e32 v4, 0
	buffer_store_dword v4, off, s[0:3], 0 offset:80
	buffer_store_dword v4, off, s[0:3], 0 offset:84
	s_waitcnt vmcnt(2)
	ds_write_b64 v175, v[2:3]
.LBB57_341:
	s_or_b64 exec, exec, s[4:5]
	s_waitcnt lgkmcnt(0)
	; wave barrier
	s_waitcnt lgkmcnt(0)
	buffer_load_dword v33, off, s[0:3], 0 offset:92
	buffer_load_dword v32, off, s[0:3], 0 offset:100
	;; [unrolled: 1-line block ×48, first 2 shown]
	v_mov_b32_e32 v36, 0
	ds_read2_b64 v[22:25], v36 offset0:69 offset1:70
	ds_read2_b64 v[18:21], v36 offset0:71 offset1:72
	;; [unrolled: 1-line block ×6, first 2 shown]
	buffer_load_dword v150, off, s[0:3], 0 offset:272
	buffer_load_dword v151, off, s[0:3], 0 offset:276
	;; [unrolled: 1-line block ×12, first 2 shown]
	v_cmp_lt_u32_e32 vcc, 9, v0
	s_waitcnt vmcnt(59) lgkmcnt(5)
	v_mul_f32_e32 v35, v22, v33
	s_waitcnt vmcnt(58)
	v_mul_f32_e32 v38, v24, v32
	s_waitcnt vmcnt(57) lgkmcnt(4)
	v_mul_f32_e32 v40, v20, v31
	s_waitcnt vmcnt(56) lgkmcnt(3)
	v_mul_f32_e32 v41, v14, v30
	s_waitcnt vmcnt(55)
	v_mul_f32_e32 v42, v16, v28
	s_waitcnt vmcnt(54)
	v_mul_f32_e32 v39, v18, v34
	s_waitcnt vmcnt(53) lgkmcnt(2)
	v_mul_f32_e32 v43, v10, v29
	s_waitcnt vmcnt(52)
	v_mul_f32_e32 v44, v12, v37
	s_waitcnt vmcnt(51) lgkmcnt(1)
	v_mul_f32_e32 v45, v6, v94
	s_waitcnt vmcnt(50)
	v_mul_f32_e32 v46, v8, v96
	s_waitcnt vmcnt(49)
	v_fmac_f32_e32 v39, v19, v114
	s_waitcnt vmcnt(48)
	v_fmac_f32_e32 v38, v25, v115
	;; [unrolled: 2-line block ×3, first 2 shown]
	v_add_f32_e32 v35, 0, v35
	v_add_f32_e32 v35, v35, v38
	;; [unrolled: 1-line block ×3, first 2 shown]
	s_waitcnt vmcnt(43)
	v_fmac_f32_e32 v40, v21, v120
	v_fmac_f32_e32 v41, v15, v119
	v_add_f32_e32 v35, v35, v40
	v_fmac_f32_e32 v42, v17, v118
	v_add_f32_e32 v35, v35, v41
	;; [unrolled: 2-line block ×3, first 2 shown]
	s_waitcnt vmcnt(39)
	v_fmac_f32_e32 v44, v13, v124
	v_add_f32_e32 v35, v35, v43
	v_fmac_f32_e32 v45, v7, v123
	v_add_f32_e32 v35, v35, v44
	;; [unrolled: 2-line block ×3, first 2 shown]
	s_waitcnt vmcnt(38) lgkmcnt(0)
	v_mul_f32_e32 v38, v2, v125
	v_add_f32_e32 v35, v35, v46
	v_fmac_f32_e32 v38, v3, v121
	v_add_f32_e32 v35, v35, v38
	ds_read2_b64 v[38:41], v36 offset0:81 offset1:82
	buffer_load_dword v162, off, s[0:3], 0 offset:320
	buffer_load_dword v163, off, s[0:3], 0 offset:324
	;; [unrolled: 1-line block ×4, first 2 shown]
	s_waitcnt vmcnt(35)
	v_mul_f32_e32 v42, v4, v132
	s_waitcnt vmcnt(34)
	v_fmac_f32_e32 v42, v5, v133
	v_add_f32_e32 v35, v35, v42
	ds_read2_b64 v[42:45], v36 offset0:83 offset1:84
	buffer_load_dword v166, off, s[0:3], 0 offset:336
	buffer_load_dword v167, off, s[0:3], 0 offset:340
	;; [unrolled: 1-line block ×10, first 2 shown]
	s_waitcnt lgkmcnt(1)
	v_mul_f32_e32 v46, v38, v127
	v_fmac_f32_e32 v46, v39, v126
	v_add_f32_e32 v35, v35, v46
	v_mul_f32_e32 v46, v40, v129
	v_fmac_f32_e32 v46, v41, v128
	v_add_f32_e32 v35, v35, v46
	s_waitcnt lgkmcnt(0)
	v_mul_f32_e32 v46, v42, v131
	v_fmac_f32_e32 v46, v43, v130
	v_add_f32_e32 v35, v35, v46
	buffer_load_dword v222, off, s[0:3], 0 offset:376
	buffer_load_dword v223, off, s[0:3], 0 offset:380
	;; [unrolled: 1-line block ×6, first 2 shown]
	ds_read2_b64 v[46:49], v36 offset0:85 offset1:86
	s_waitcnt vmcnt(46)
	v_mul_f32_e32 v50, v44, v135
	v_fmac_f32_e32 v50, v45, v134
	v_add_f32_e32 v35, v35, v50
	ds_read2_b64 v[50:53], v36 offset0:87 offset1:88
	s_waitcnt vmcnt(44) lgkmcnt(1)
	v_mul_f32_e32 v54, v46, v137
	v_fmac_f32_e32 v54, v47, v136
	v_add_f32_e32 v35, v35, v54
	s_waitcnt vmcnt(42)
	v_mul_f32_e32 v54, v48, v139
	v_fmac_f32_e32 v54, v49, v138
	v_add_f32_e32 v35, v35, v54
	s_waitcnt vmcnt(40) lgkmcnt(0)
	v_mul_f32_e32 v54, v50, v141
	v_fmac_f32_e32 v54, v51, v140
	v_add_f32_e32 v35, v35, v54
	ds_read2_b64 v[54:57], v36 offset0:89 offset1:90
	s_waitcnt vmcnt(38)
	v_mul_f32_e32 v58, v52, v143
	v_fmac_f32_e32 v58, v53, v142
	v_add_f32_e32 v35, v35, v58
	ds_read2_b64 v[58:61], v36 offset0:91 offset1:92
	s_waitcnt vmcnt(36) lgkmcnt(1)
	v_mul_f32_e32 v62, v54, v145
	v_fmac_f32_e32 v62, v55, v144
	v_add_f32_e32 v35, v35, v62
	s_waitcnt vmcnt(34)
	v_mul_f32_e32 v62, v56, v147
	v_fmac_f32_e32 v62, v57, v146
	v_add_f32_e32 v35, v35, v62
	s_waitcnt vmcnt(32) lgkmcnt(0)
	v_mul_f32_e32 v62, v58, v149
	v_fmac_f32_e32 v62, v59, v148
	v_add_f32_e32 v35, v35, v62
	ds_read2_b64 v[62:65], v36 offset0:93 offset1:94
	s_waitcnt vmcnt(30)
	v_mul_f32_e32 v66, v60, v151
	v_fmac_f32_e32 v66, v61, v150
	v_add_f32_e32 v35, v35, v66
	ds_read2_b64 v[66:69], v36 offset0:95 offset1:96
	s_waitcnt vmcnt(28) lgkmcnt(1)
	v_mul_f32_e32 v70, v62, v153
	v_fmac_f32_e32 v70, v63, v152
	v_add_f32_e32 v35, v35, v70
	s_waitcnt vmcnt(26)
	v_mul_f32_e32 v70, v64, v155
	v_fmac_f32_e32 v70, v65, v154
	v_add_f32_e32 v35, v35, v70
	s_waitcnt vmcnt(24) lgkmcnt(0)
	v_mul_f32_e32 v70, v66, v157
	v_fmac_f32_e32 v70, v67, v156
	v_add_f32_e32 v35, v35, v70
	ds_read2_b64 v[70:73], v36 offset0:97 offset1:98
	s_waitcnt vmcnt(22)
	v_mul_f32_e32 v74, v68, v159
	v_fmac_f32_e32 v74, v69, v158
	v_add_f32_e32 v35, v35, v74
	ds_read2_b64 v[74:77], v36 offset0:99 offset1:100
	s_waitcnt vmcnt(20) lgkmcnt(1)
	v_mul_f32_e32 v78, v70, v161
	v_fmac_f32_e32 v78, v71, v160
	v_add_f32_e32 v35, v35, v78
	v_mul_f32_e32 v23, v23, v33
	v_fma_f32 v22, v22, v116, -v23
	v_mul_f32_e32 v23, v25, v32
	v_add_f32_e32 v22, 0, v22
	v_fma_f32 v23, v24, v115, -v23
	v_mul_f32_e32 v19, v19, v34
	v_add_f32_e32 v22, v22, v23
	v_fma_f32 v18, v18, v114, -v19
	v_mul_f32_e32 v19, v21, v31
	s_waitcnt vmcnt(18)
	v_mul_f32_e32 v78, v72, v163
	v_fmac_f32_e32 v78, v73, v162
	v_add_f32_e32 v35, v35, v78
	s_waitcnt vmcnt(16) lgkmcnt(0)
	v_mul_f32_e32 v78, v74, v165
	v_fmac_f32_e32 v78, v75, v164
	v_add_f32_e32 v35, v35, v78
	ds_read2_b64 v[78:81], v36 offset0:101 offset1:102
	s_waitcnt vmcnt(14)
	v_mul_f32_e32 v82, v76, v167
	v_fmac_f32_e32 v82, v77, v166
	v_add_f32_e32 v35, v35, v82
	ds_read2_b64 v[82:85], v36 offset0:103 offset1:104
	s_waitcnt vmcnt(12) lgkmcnt(1)
	v_mul_f32_e32 v86, v78, v169
	v_fmac_f32_e32 v86, v79, v168
	v_add_f32_e32 v35, v35, v86
	s_waitcnt vmcnt(10)
	v_mul_f32_e32 v86, v80, v217
	v_fmac_f32_e32 v86, v81, v216
	v_add_f32_e32 v35, v35, v86
	s_waitcnt vmcnt(8) lgkmcnt(0)
	v_mul_f32_e32 v86, v82, v219
	v_fmac_f32_e32 v86, v83, v218
	s_waitcnt vmcnt(6)
	v_mul_f32_e32 v90, v84, v221
	v_add_f32_e32 v35, v35, v86
	v_fmac_f32_e32 v90, v85, v220
	ds_read2_b64 v[86:89], v36 offset0:105 offset1:106
	v_add_f32_e32 v35, v35, v90
	ds_read2_b64 v[90:93], v36 offset0:107 offset1:108
	buffer_load_dword v99, off, s[0:3], 0 offset:428
	buffer_load_dword v98, off, s[0:3], 0 offset:424
	;; [unrolled: 1-line block ×16, first 2 shown]
	v_add_f32_e32 v18, v22, v18
	v_fma_f32 v19, v20, v120, -v19
	v_mul_f32_e32 v15, v15, v30
	v_add_f32_e32 v18, v18, v19
	v_fma_f32 v14, v14, v119, -v15
	v_mul_f32_e32 v15, v17, v28
	;; [unrolled: 3-line block ×8, first 2 shown]
	v_add_f32_e32 v2, v6, v2
	v_fma_f32 v3, v4, v133, -v3
	v_add_f32_e32 v2, v2, v3
	v_mul_f32_e32 v3, v39, v127
	v_fma_f32 v3, v38, v126, -v3
	v_add_f32_e32 v2, v2, v3
	v_mul_f32_e32 v3, v41, v129
	;; [unrolled: 3-line block ×24, first 2 shown]
	v_fma_f32 v3, v84, v220, -v3
	v_add_f32_e32 v2, v2, v3
	s_waitcnt vmcnt(20) lgkmcnt(1)
	v_mul_f32_e32 v3, v87, v223
	v_mul_f32_e32 v95, v86, v223
	v_fma_f32 v3, v86, v222, -v3
	v_fmac_f32_e32 v95, v87, v222
	v_add_f32_e32 v34, v2, v3
	s_waitcnt vmcnt(18)
	v_mul_f32_e32 v2, v89, v225
	s_waitcnt vmcnt(9)
	v_mov_b32_e32 v18, v105
	v_add_f32_e32 v35, v35, v95
	v_mul_f32_e32 v95, v88, v225
	v_fma_f32 v94, v88, v224, -v2
	s_waitcnt lgkmcnt(0)
	v_mul_f32_e32 v2, v91, v227
	v_pk_mul_f32 v[18:19], v[92:93], v[18:19] op_sel_hi:[1,0]
	v_fmac_f32_e32 v95, v89, v224
	v_mul_f32_e32 v97, v90, v227
	v_fma_f32 v96, v90, v226, -v2
	ds_read2_b64 v[2:5], v36 offset0:109 offset1:110
	ds_read2_b64 v[6:9], v36 offset0:111 offset1:112
	;; [unrolled: 1-line block ×3, first 2 shown]
	ds_read_b64 v[14:15], v36 offset:920
	s_waitcnt vmcnt(8)
	v_pk_fma_f32 v[20:21], v[92:93], v[104:105], v[18:19] op_sel:[0,0,1] op_sel_hi:[1,1,0] neg_lo:[0,0,1] neg_hi:[0,0,1]
	v_pk_fma_f32 v[18:19], v[92:93], v[104:105], v[18:19] op_sel:[0,0,1] op_sel_hi:[1,0,0]
	v_fmac_f32_e32 v97, v91, v226
	v_pk_add_f32 v[16:17], v[34:35], v[94:95]
	v_mov_b32_e32 v18, v103
	v_pk_add_f32 v[16:17], v[16:17], v[96:97]
	v_mov_b32_e32 v21, v19
	s_waitcnt lgkmcnt(3)
	v_pk_mul_f32 v[18:19], v[2:3], v[18:19] op_sel_hi:[1,0]
	v_pk_add_f32 v[16:17], v[16:17], v[20:21]
	v_pk_fma_f32 v[20:21], v[2:3], v[102:103], v[18:19] op_sel:[0,0,1] op_sel_hi:[1,1,0] neg_lo:[0,0,1] neg_hi:[0,0,1]
	v_pk_fma_f32 v[2:3], v[2:3], v[102:103], v[18:19] op_sel:[0,0,1] op_sel_hi:[1,0,0]
	v_mov_b32_e32 v21, v3
	v_pk_add_f32 v[2:3], v[16:17], v[20:21]
	v_mov_b32_e32 v16, v101
	v_pk_mul_f32 v[16:17], v[4:5], v[16:17] op_sel_hi:[1,0]
	v_pk_fma_f32 v[18:19], v[4:5], v[100:101], v[16:17] op_sel:[0,0,1] op_sel_hi:[1,1,0] neg_lo:[0,0,1] neg_hi:[0,0,1]
	v_pk_fma_f32 v[4:5], v[4:5], v[100:101], v[16:17] op_sel:[0,0,1] op_sel_hi:[1,0,0]
	v_mov_b32_e32 v4, v99
	v_mov_b32_e32 v19, v5
	s_waitcnt lgkmcnt(2)
	v_pk_mul_f32 v[4:5], v[6:7], v[4:5] op_sel_hi:[1,0]
	v_pk_fma_f32 v[16:17], v[6:7], v[98:99], v[4:5] op_sel:[0,0,1] op_sel_hi:[1,1,0] neg_lo:[0,0,1] neg_hi:[0,0,1]
	v_pk_fma_f32 v[4:5], v[6:7], v[98:99], v[4:5] op_sel:[0,0,1] op_sel_hi:[1,0,0]
	s_waitcnt vmcnt(1)
	v_mov_b32_e32 v4, v113
	v_mov_b32_e32 v17, v5
	v_pk_mul_f32 v[4:5], v[8:9], v[4:5] op_sel_hi:[1,0]
	s_waitcnt vmcnt(0)
	v_pk_fma_f32 v[6:7], v[8:9], v[112:113], v[4:5] op_sel:[0,0,1] op_sel_hi:[1,1,0] neg_lo:[0,0,1] neg_hi:[0,0,1]
	v_pk_fma_f32 v[4:5], v[8:9], v[112:113], v[4:5] op_sel:[0,0,1] op_sel_hi:[1,0,0]
	v_pk_add_f32 v[2:3], v[2:3], v[18:19]
	v_mov_b32_e32 v4, v111
	v_pk_add_f32 v[2:3], v[2:3], v[16:17]
	v_mov_b32_e32 v7, v5
	s_waitcnt lgkmcnt(1)
	v_pk_mul_f32 v[4:5], v[10:11], v[4:5] op_sel_hi:[1,0]
	v_pk_add_f32 v[2:3], v[2:3], v[6:7]
	v_pk_fma_f32 v[6:7], v[10:11], v[110:111], v[4:5] op_sel:[0,0,1] op_sel_hi:[1,1,0] neg_lo:[0,0,1] neg_hi:[0,0,1]
	v_pk_fma_f32 v[4:5], v[10:11], v[110:111], v[4:5] op_sel:[0,0,1] op_sel_hi:[1,0,0]
	v_mov_b32_e32 v4, v109
	v_mov_b32_e32 v7, v5
	v_pk_mul_f32 v[4:5], v[12:13], v[4:5] op_sel_hi:[1,0]
	v_pk_add_f32 v[2:3], v[2:3], v[6:7]
	v_pk_fma_f32 v[6:7], v[12:13], v[108:109], v[4:5] op_sel:[0,0,1] op_sel_hi:[1,1,0] neg_lo:[0,0,1] neg_hi:[0,0,1]
	v_pk_fma_f32 v[4:5], v[12:13], v[108:109], v[4:5] op_sel:[0,0,1] op_sel_hi:[1,0,0]
	v_mov_b32_e32 v4, v107
	v_mov_b32_e32 v7, v5
	s_waitcnt lgkmcnt(0)
	v_pk_mul_f32 v[4:5], v[14:15], v[4:5] op_sel_hi:[1,0]
	v_pk_add_f32 v[2:3], v[2:3], v[6:7]
	v_pk_fma_f32 v[6:7], v[14:15], v[106:107], v[4:5] op_sel:[0,0,1] op_sel_hi:[1,1,0] neg_lo:[0,0,1] neg_hi:[0,0,1]
	v_pk_fma_f32 v[4:5], v[14:15], v[106:107], v[4:5] op_sel:[0,0,1] op_sel_hi:[1,0,0]
	v_mov_b32_e32 v7, v5
	v_pk_add_f32 v[2:3], v[2:3], v[6:7]
	v_pk_add_f32 v[2:3], v[26:27], v[2:3] neg_lo:[0,1] neg_hi:[0,1]
	buffer_store_dword v3, off, s[0:3], 0 offset:84
	buffer_store_dword v2, off, s[0:3], 0 offset:80
	s_and_saveexec_b64 s[4:5], vcc
	s_cbranch_execz .LBB57_343
; %bb.342:
	buffer_load_dword v2, off, s[0:3], 0 offset:72
	buffer_load_dword v3, off, s[0:3], 0 offset:76
	s_waitcnt vmcnt(0)
	ds_write_b64 v175, v[2:3]
	buffer_store_dword v36, off, s[0:3], 0 offset:72
	buffer_store_dword v36, off, s[0:3], 0 offset:76
.LBB57_343:
	s_or_b64 exec, exec, s[4:5]
	s_waitcnt lgkmcnt(0)
	; wave barrier
	s_waitcnt lgkmcnt(0)
	buffer_load_dword v42, off, s[0:3], 0 offset:84
	buffer_load_dword v41, off, s[0:3], 0 offset:92
	buffer_load_dword v40, off, s[0:3], 0 offset:108
	buffer_load_dword v39, off, s[0:3], 0 offset:116
	buffer_load_dword v37, off, s[0:3], 0 offset:124
	buffer_load_dword v43, off, s[0:3], 0 offset:100
	buffer_load_dword v38, off, s[0:3], 0 offset:132
	buffer_load_dword v44, off, s[0:3], 0 offset:140
	buffer_load_dword v94, off, s[0:3], 0 offset:148
	buffer_load_dword v102, off, s[0:3], 0 offset:156
	buffer_load_dword v114, off, s[0:3], 0 offset:164
	buffer_load_dword v115, off, s[0:3], 0 offset:96
	buffer_load_dword v116, off, s[0:3], 0 offset:88
	buffer_load_dword v117, off, s[0:3], 0 offset:80
	buffer_load_dword v118, off, s[0:3], 0 offset:128
	buffer_load_dword v119, off, s[0:3], 0 offset:120
	buffer_load_dword v120, off, s[0:3], 0 offset:112
	buffer_load_dword v121, off, s[0:3], 0 offset:104
	buffer_load_dword v122, off, s[0:3], 0 offset:160
	buffer_load_dword v123, off, s[0:3], 0 offset:152
	buffer_load_dword v124, off, s[0:3], 0 offset:144
	buffer_load_dword v125, off, s[0:3], 0 offset:136
	buffer_load_dword v126, off, s[0:3], 0 offset:184
	buffer_load_dword v127, off, s[0:3], 0 offset:188
	buffer_load_dword v128, off, s[0:3], 0 offset:192
	buffer_load_dword v129, off, s[0:3], 0 offset:196
	buffer_load_dword v130, off, s[0:3], 0 offset:176
	buffer_load_dword v131, off, s[0:3], 0 offset:172
	buffer_load_dword v132, off, s[0:3], 0 offset:168
	buffer_load_dword v133, off, s[0:3], 0 offset:180
	buffer_load_dword v34, off, s[0:3], 0 offset:72
	buffer_load_dword v35, off, s[0:3], 0 offset:76
	ds_read_b128 v[22:25], v36 offset:544
	ds_read_b128 v[18:21], v36 offset:560
	;; [unrolled: 1-line block ×6, first 2 shown]
	buffer_load_dword v134, off, s[0:3], 0 offset:200
	buffer_load_dword v135, off, s[0:3], 0 offset:204
	;; [unrolled: 1-line block ×26, first 2 shown]
	v_cmp_lt_u32_e32 vcc, 8, v0
	s_waitcnt vmcnt(57) lgkmcnt(5)
	v_mul_f32_e32 v26, v22, v42
	s_waitcnt vmcnt(56)
	v_mul_f32_e32 v27, v24, v41
	s_waitcnt vmcnt(55) lgkmcnt(4)
	v_mul_f32_e32 v29, v20, v40
	s_waitcnt vmcnt(54) lgkmcnt(3)
	v_mul_f32_e32 v30, v14, v39
	s_waitcnt vmcnt(53)
	v_mul_f32_e32 v31, v16, v37
	s_waitcnt vmcnt(52)
	v_mul_f32_e32 v28, v18, v43
	s_waitcnt vmcnt(51) lgkmcnt(2)
	v_mul_f32_e32 v32, v10, v38
	s_waitcnt vmcnt(50)
	v_mul_f32_e32 v33, v12, v44
	s_waitcnt vmcnt(49) lgkmcnt(1)
	;; [unrolled: 4-line block ×3, first 2 shown]
	v_mul_f32_e32 v47, v2, v114
	s_waitcnt vmcnt(46)
	v_fmac_f32_e32 v28, v19, v115
	s_waitcnt vmcnt(45)
	v_fmac_f32_e32 v27, v25, v116
	;; [unrolled: 2-line block ×3, first 2 shown]
	v_add_f32_e32 v26, 0, v26
	v_add_f32_e32 v26, v26, v27
	;; [unrolled: 1-line block ×3, first 2 shown]
	s_waitcnt vmcnt(40)
	v_fmac_f32_e32 v29, v21, v121
	v_fmac_f32_e32 v30, v15, v120
	v_add_f32_e32 v26, v26, v29
	v_fmac_f32_e32 v31, v17, v119
	v_add_f32_e32 v26, v26, v30
	;; [unrolled: 2-line block ×3, first 2 shown]
	s_waitcnt vmcnt(36)
	v_fmac_f32_e32 v33, v13, v125
	v_add_f32_e32 v26, v26, v32
	v_fmac_f32_e32 v45, v7, v124
	v_add_f32_e32 v26, v26, v33
	;; [unrolled: 2-line block ×4, first 2 shown]
	s_waitcnt vmcnt(30)
	v_mul_f32_e32 v27, v4, v131
	v_add_f32_e32 v26, v26, v47
	s_waitcnt vmcnt(29)
	v_fmac_f32_e32 v27, v5, v132
	v_add_f32_e32 v45, v26, v27
	ds_read_b128 v[26:29], v36 offset:640
	buffer_load_dword v160, off, s[0:3], 0 offset:304
	buffer_load_dword v161, off, s[0:3], 0 offset:308
	ds_read_b128 v[30:33], v36 offset:656
	buffer_load_dword v162, off, s[0:3], 0 offset:312
	buffer_load_dword v163, off, s[0:3], 0 offset:316
	;; [unrolled: 1-line block ×14, first 2 shown]
	s_waitcnt vmcnt(44) lgkmcnt(1)
	v_mul_f32_e32 v46, v26, v133
	v_fmac_f32_e32 v46, v27, v130
	v_add_f32_e32 v45, v45, v46
	v_mul_f32_e32 v46, v28, v127
	v_fmac_f32_e32 v46, v29, v126
	v_add_f32_e32 v45, v45, v46
	s_waitcnt lgkmcnt(0)
	v_mul_f32_e32 v46, v30, v129
	v_fmac_f32_e32 v46, v31, v128
	v_add_f32_e32 v45, v45, v46
	buffer_load_dword v222, off, s[0:3], 0 offset:368
	buffer_load_dword v223, off, s[0:3], 0 offset:372
	ds_read_b128 v[46:49], v36 offset:672
	s_waitcnt vmcnt(42)
	v_mul_f32_e32 v50, v32, v135
	v_fmac_f32_e32 v50, v33, v134
	buffer_load_dword v224, off, s[0:3], 0 offset:376
	buffer_load_dword v225, off, s[0:3], 0 offset:380
	v_add_f32_e32 v45, v45, v50
	buffer_load_dword v226, off, s[0:3], 0 offset:384
	buffer_load_dword v227, off, s[0:3], 0 offset:388
	ds_read_b128 v[50:53], v36 offset:688
	s_waitcnt vmcnt(44) lgkmcnt(1)
	v_mul_f32_e32 v54, v46, v137
	v_fmac_f32_e32 v54, v47, v136
	v_add_f32_e32 v45, v45, v54
	s_waitcnt vmcnt(42)
	v_mul_f32_e32 v54, v48, v139
	v_fmac_f32_e32 v54, v49, v138
	v_add_f32_e32 v45, v45, v54
	s_waitcnt vmcnt(40) lgkmcnt(0)
	v_mul_f32_e32 v54, v50, v141
	v_fmac_f32_e32 v54, v51, v140
	buffer_load_dword v228, off, s[0:3], 0 offset:392
	buffer_load_dword v229, off, s[0:3], 0 offset:396
	v_add_f32_e32 v45, v45, v54
	ds_read_b128 v[54:57], v36 offset:704
	s_waitcnt vmcnt(40)
	v_mul_f32_e32 v58, v52, v143
	v_fmac_f32_e32 v58, v53, v142
	v_add_f32_e32 v45, v45, v58
	ds_read_b128 v[58:61], v36 offset:720
	s_waitcnt vmcnt(38) lgkmcnt(1)
	v_mul_f32_e32 v62, v54, v145
	v_fmac_f32_e32 v62, v55, v144
	v_add_f32_e32 v45, v45, v62
	s_waitcnt vmcnt(36)
	v_mul_f32_e32 v62, v56, v147
	v_fmac_f32_e32 v62, v57, v146
	v_add_f32_e32 v45, v45, v62
	s_waitcnt vmcnt(34) lgkmcnt(0)
	v_mul_f32_e32 v62, v58, v149
	v_fmac_f32_e32 v62, v59, v148
	v_add_f32_e32 v45, v45, v62
	ds_read_b128 v[62:65], v36 offset:736
	s_waitcnt vmcnt(32)
	v_mul_f32_e32 v66, v60, v151
	v_fmac_f32_e32 v66, v61, v150
	v_add_f32_e32 v45, v45, v66
	ds_read_b128 v[66:69], v36 offset:752
	s_waitcnt vmcnt(30) lgkmcnt(1)
	v_mul_f32_e32 v70, v62, v153
	v_fmac_f32_e32 v70, v63, v152
	v_add_f32_e32 v45, v45, v70
	s_waitcnt vmcnt(28)
	v_mul_f32_e32 v70, v64, v155
	v_fmac_f32_e32 v70, v65, v154
	v_add_f32_e32 v45, v45, v70
	s_waitcnt vmcnt(26) lgkmcnt(0)
	v_mul_f32_e32 v70, v66, v157
	v_fmac_f32_e32 v70, v67, v156
	v_add_f32_e32 v45, v45, v70
	ds_read_b128 v[70:73], v36 offset:768
	s_waitcnt vmcnt(24)
	v_mul_f32_e32 v74, v68, v159
	v_fmac_f32_e32 v74, v69, v158
	v_add_f32_e32 v45, v45, v74
	ds_read_b128 v[74:77], v36 offset:784
	v_mul_f32_e32 v23, v23, v42
	v_fma_f32 v22, v22, v117, -v23
	v_mul_f32_e32 v23, v25, v41
	v_add_f32_e32 v22, 0, v22
	v_fma_f32 v23, v24, v116, -v23
	v_mul_f32_e32 v19, v19, v43
	v_add_f32_e32 v22, v22, v23
	;; [unrolled: 3-line block ×3, first 2 shown]
	v_fma_f32 v19, v20, v121, -v19
	s_waitcnt vmcnt(22) lgkmcnt(1)
	v_mul_f32_e32 v78, v70, v161
	v_fmac_f32_e32 v78, v71, v160
	v_add_f32_e32 v45, v45, v78
	s_waitcnt vmcnt(20)
	v_mul_f32_e32 v78, v72, v163
	v_fmac_f32_e32 v78, v73, v162
	v_add_f32_e32 v45, v45, v78
	s_waitcnt vmcnt(18) lgkmcnt(0)
	v_mul_f32_e32 v78, v74, v165
	v_fmac_f32_e32 v78, v75, v164
	v_add_f32_e32 v45, v45, v78
	ds_read_b128 v[78:81], v36 offset:800
	s_waitcnt vmcnt(16)
	v_mul_f32_e32 v82, v76, v167
	v_fmac_f32_e32 v82, v77, v166
	v_add_f32_e32 v45, v45, v82
	ds_read_b128 v[82:85], v36 offset:816
	s_waitcnt vmcnt(14) lgkmcnt(1)
	v_mul_f32_e32 v86, v78, v169
	v_fmac_f32_e32 v86, v79, v168
	v_add_f32_e32 v45, v45, v86
	s_waitcnt vmcnt(12)
	v_mul_f32_e32 v86, v80, v217
	v_fmac_f32_e32 v86, v81, v216
	v_add_f32_e32 v45, v45, v86
	s_waitcnt vmcnt(10) lgkmcnt(0)
	v_mul_f32_e32 v86, v82, v219
	v_fmac_f32_e32 v86, v83, v218
	s_waitcnt vmcnt(8)
	v_mul_f32_e32 v90, v84, v221
	v_add_f32_e32 v45, v45, v86
	v_fmac_f32_e32 v90, v85, v220
	ds_read_b128 v[86:89], v36 offset:832
	v_add_f32_e32 v45, v45, v90
	ds_read_b128 v[90:93], v36 offset:848
	buffer_load_dword v97, off, s[0:3], 0 offset:420
	buffer_load_dword v96, off, s[0:3], 0 offset:416
	;; [unrolled: 1-line block ×16, first 2 shown]
	v_mul_f32_e32 v15, v15, v39
	v_add_f32_e32 v18, v18, v19
	v_fma_f32 v14, v14, v120, -v15
	v_mul_f32_e32 v15, v17, v37
	v_add_f32_e32 v14, v18, v14
	v_fma_f32 v15, v16, v119, -v15
	;; [unrolled: 3-line block ×8, first 2 shown]
	v_add_f32_e32 v2, v2, v3
	v_mul_f32_e32 v3, v27, v133
	v_fma_f32 v3, v26, v130, -v3
	v_add_f32_e32 v2, v2, v3
	v_mul_f32_e32 v3, v29, v127
	v_fma_f32 v3, v28, v126, -v3
	;; [unrolled: 3-line block ×24, first 2 shown]
	v_add_f32_e32 v2, v2, v3
	s_waitcnt vmcnt(22) lgkmcnt(1)
	v_mul_f32_e32 v3, v87, v223
	v_fma_f32 v3, v86, v222, -v3
	v_add_f32_e32 v2, v2, v3
	s_waitcnt vmcnt(20)
	v_mul_f32_e32 v3, v89, v225
	v_mul_f32_e32 v95, v86, v223
	v_fma_f32 v3, v88, v224, -v3
	v_fmac_f32_e32 v95, v87, v222
	v_add_f32_e32 v44, v2, v3
	s_waitcnt vmcnt(18) lgkmcnt(0)
	v_mul_f32_e32 v2, v91, v227
	v_add_f32_e32 v45, v45, v95
	v_mul_f32_e32 v95, v88, v225
	v_fma_f32 v94, v90, v226, -v2
	s_waitcnt vmcnt(16)
	v_mul_f32_e32 v2, v93, v229
	v_fmac_f32_e32 v95, v89, v224
	v_fma_f32 v102, v92, v228, -v2
	ds_read_b128 v[2:5], v36 offset:864
	ds_read_b128 v[6:9], v36 offset:880
	;; [unrolled: 1-line block ×4, first 2 shown]
	v_add_f32_e32 v45, v45, v95
	v_mul_f32_e32 v95, v90, v227
	s_waitcnt vmcnt(11)
	v_mov_b32_e32 v20, v101
	v_fmac_f32_e32 v95, v91, v226
	v_mul_f32_e32 v103, v92, v229
	s_waitcnt lgkmcnt(3)
	v_pk_mul_f32 v[20:21], v[2:3], v[20:21] op_sel_hi:[1,0]
	v_fmac_f32_e32 v103, v93, v228
	v_pk_add_f32 v[18:19], v[44:45], v[94:95]
	s_waitcnt vmcnt(10)
	v_pk_fma_f32 v[22:23], v[2:3], v[100:101], v[20:21] op_sel:[0,0,1] op_sel_hi:[1,1,0] neg_lo:[0,0,1] neg_hi:[0,0,1]
	v_pk_fma_f32 v[2:3], v[2:3], v[100:101], v[20:21] op_sel:[0,0,1] op_sel_hi:[1,0,0]
	v_pk_add_f32 v[18:19], v[18:19], v[102:103]
	v_mov_b32_e32 v23, v3
	v_pk_add_f32 v[2:3], v[18:19], v[22:23]
	v_mov_b32_e32 v18, v99
	v_pk_mul_f32 v[18:19], v[4:5], v[18:19] op_sel_hi:[1,0]
	v_pk_fma_f32 v[20:21], v[4:5], v[98:99], v[18:19] op_sel:[0,0,1] op_sel_hi:[1,1,0] neg_lo:[0,0,1] neg_hi:[0,0,1]
	v_pk_fma_f32 v[4:5], v[4:5], v[98:99], v[18:19] op_sel:[0,0,1] op_sel_hi:[1,0,0]
	v_mov_b32_e32 v4, v97
	v_mov_b32_e32 v21, v5
	s_waitcnt lgkmcnt(2)
	v_pk_mul_f32 v[4:5], v[6:7], v[4:5] op_sel_hi:[1,0]
	v_pk_fma_f32 v[18:19], v[6:7], v[96:97], v[4:5] op_sel:[0,0,1] op_sel_hi:[1,1,0] neg_lo:[0,0,1] neg_hi:[0,0,1]
	v_pk_fma_f32 v[4:5], v[6:7], v[96:97], v[4:5] op_sel:[0,0,1] op_sel_hi:[1,0,0]
	s_waitcnt vmcnt(3)
	v_mov_b32_e32 v4, v111
	v_mov_b32_e32 v19, v5
	v_pk_mul_f32 v[4:5], v[8:9], v[4:5] op_sel_hi:[1,0]
	s_waitcnt vmcnt(2)
	v_pk_fma_f32 v[6:7], v[8:9], v[110:111], v[4:5] op_sel:[0,0,1] op_sel_hi:[1,1,0] neg_lo:[0,0,1] neg_hi:[0,0,1]
	v_pk_fma_f32 v[4:5], v[8:9], v[110:111], v[4:5] op_sel:[0,0,1] op_sel_hi:[1,0,0]
	v_pk_add_f32 v[2:3], v[2:3], v[20:21]
	v_mov_b32_e32 v4, v109
	v_pk_add_f32 v[2:3], v[2:3], v[18:19]
	v_mov_b32_e32 v7, v5
	s_waitcnt lgkmcnt(1)
	v_pk_mul_f32 v[4:5], v[10:11], v[4:5] op_sel_hi:[1,0]
	v_pk_add_f32 v[2:3], v[2:3], v[6:7]
	v_pk_fma_f32 v[6:7], v[10:11], v[108:109], v[4:5] op_sel:[0,0,1] op_sel_hi:[1,1,0] neg_lo:[0,0,1] neg_hi:[0,0,1]
	v_pk_fma_f32 v[4:5], v[10:11], v[108:109], v[4:5] op_sel:[0,0,1] op_sel_hi:[1,0,0]
	v_mov_b32_e32 v4, v107
	v_mov_b32_e32 v7, v5
	v_pk_mul_f32 v[4:5], v[12:13], v[4:5] op_sel_hi:[1,0]
	v_pk_add_f32 v[2:3], v[2:3], v[6:7]
	v_pk_fma_f32 v[6:7], v[12:13], v[106:107], v[4:5] op_sel:[0,0,1] op_sel_hi:[1,1,0] neg_lo:[0,0,1] neg_hi:[0,0,1]
	v_pk_fma_f32 v[4:5], v[12:13], v[106:107], v[4:5] op_sel:[0,0,1] op_sel_hi:[1,0,0]
	v_mov_b32_e32 v4, v105
	v_mov_b32_e32 v7, v5
	s_waitcnt lgkmcnt(0)
	v_pk_mul_f32 v[4:5], v[14:15], v[4:5] op_sel_hi:[1,0]
	v_pk_add_f32 v[2:3], v[2:3], v[6:7]
	v_pk_fma_f32 v[6:7], v[14:15], v[104:105], v[4:5] op_sel:[0,0,1] op_sel_hi:[1,1,0] neg_lo:[0,0,1] neg_hi:[0,0,1]
	v_pk_fma_f32 v[4:5], v[14:15], v[104:105], v[4:5] op_sel:[0,0,1] op_sel_hi:[1,0,0]
	s_waitcnt vmcnt(1)
	v_mov_b32_e32 v4, v113
	v_mov_b32_e32 v7, v5
	v_pk_mul_f32 v[4:5], v[16:17], v[4:5] op_sel_hi:[1,0]
	v_pk_add_f32 v[2:3], v[2:3], v[6:7]
	s_waitcnt vmcnt(0)
	v_pk_fma_f32 v[6:7], v[16:17], v[112:113], v[4:5] op_sel:[0,0,1] op_sel_hi:[1,1,0] neg_lo:[0,0,1] neg_hi:[0,0,1]
	v_pk_fma_f32 v[4:5], v[16:17], v[112:113], v[4:5] op_sel:[0,0,1] op_sel_hi:[1,0,0]
	v_mov_b32_e32 v7, v5
	v_pk_add_f32 v[2:3], v[2:3], v[6:7]
	v_pk_add_f32 v[2:3], v[34:35], v[2:3] neg_lo:[0,1] neg_hi:[0,1]
	buffer_store_dword v3, off, s[0:3], 0 offset:76
	buffer_store_dword v2, off, s[0:3], 0 offset:72
	s_and_saveexec_b64 s[4:5], vcc
	s_cbranch_execz .LBB57_345
; %bb.344:
	buffer_load_dword v2, off, s[0:3], 0 offset:64
	buffer_load_dword v3, off, s[0:3], 0 offset:68
	v_mov_b32_e32 v4, 0
	buffer_store_dword v4, off, s[0:3], 0 offset:64
	buffer_store_dword v4, off, s[0:3], 0 offset:68
	s_waitcnt vmcnt(2)
	ds_write_b64 v175, v[2:3]
.LBB57_345:
	s_or_b64 exec, exec, s[4:5]
	v_mov_b32_e32 v226, 0
	s_waitcnt lgkmcnt(0)
	; wave barrier
	s_waitcnt lgkmcnt(0)
	ds_read2_b64 v[2:5], v226 offset0:67 offset1:68
	buffer_load_dword v86, off, s[0:3], 0 offset:64
	buffer_load_dword v87, off, s[0:3], 0 offset:68
	;; [unrolled: 1-line block ×16, first 2 shown]
	v_cmp_lt_u32_e32 vcc, 7, v0
	s_waitcnt vmcnt(12) lgkmcnt(0)
	v_mul_f32_e32 v6, v2, v100
	v_fmac_f32_e32 v6, v3, v88
	s_waitcnt vmcnt(10)
	v_mul_f32_e32 v7, v4, v102
	v_add_f32_e32 v6, 0, v6
	v_fmac_f32_e32 v7, v5, v90
	v_add_f32_e32 v10, v6, v7
	ds_read2_b64 v[6:9], v226 offset0:69 offset1:70
	v_mul_f32_e32 v3, v3, v100
	v_fma_f32 v2, v2, v88, -v3
	v_mul_f32_e32 v3, v5, v102
	v_add_f32_e32 v2, 0, v2
	s_waitcnt vmcnt(8) lgkmcnt(0)
	v_mul_f32_e32 v11, v6, v104
	v_fmac_f32_e32 v11, v7, v94
	v_add_f32_e32 v10, v10, v11
	s_waitcnt vmcnt(6)
	v_mul_f32_e32 v11, v8, v106
	v_fmac_f32_e32 v11, v9, v101
	v_add_f32_e32 v14, v10, v11
	ds_read2_b64 v[10:13], v226 offset0:71 offset1:72
	v_fma_f32 v3, v4, v90, -v3
	v_add_f32_e32 v2, v2, v3
	v_mul_f32_e32 v3, v7, v104
	v_fma_f32 v3, v6, v94, -v3
	s_waitcnt vmcnt(4) lgkmcnt(0)
	v_mul_f32_e32 v15, v10, v108
	v_fmac_f32_e32 v15, v11, v103
	v_add_f32_e32 v14, v14, v15
	s_waitcnt vmcnt(2)
	v_mul_f32_e32 v15, v12, v109
	v_fmac_f32_e32 v15, v13, v105
	v_add_f32_e32 v18, v14, v15
	ds_read2_b64 v[14:17], v226 offset0:73 offset1:74
	buffer_load_dword v111, off, s[0:3], 0 offset:128
	buffer_load_dword v112, off, s[0:3], 0 offset:132
	v_add_f32_e32 v2, v2, v3
	v_mul_f32_e32 v3, v9, v106
	v_fma_f32 v3, v8, v101, -v3
	s_waitcnt vmcnt(2) lgkmcnt(0)
	v_mul_f32_e32 v19, v14, v110
	v_fmac_f32_e32 v19, v15, v107
	v_add_f32_e32 v18, v18, v19
	v_add_f32_e32 v2, v2, v3
	v_mul_f32_e32 v3, v11, v108
	v_fma_f32 v3, v10, v103, -v3
	v_add_f32_e32 v2, v2, v3
	v_mul_f32_e32 v3, v13, v109
	v_fma_f32 v3, v12, v105, -v3
	;; [unrolled: 3-line block ×3, first 2 shown]
	v_add_f32_e32 v2, v2, v3
	s_waitcnt vmcnt(0)
	v_mul_f32_e32 v19, v16, v112
	v_fmac_f32_e32 v19, v17, v111
	v_add_f32_e32 v22, v18, v19
	ds_read2_b64 v[18:21], v226 offset0:75 offset1:76
	buffer_load_dword v113, off, s[0:3], 0 offset:136
	buffer_load_dword v114, off, s[0:3], 0 offset:140
	buffer_load_dword v115, off, s[0:3], 0 offset:144
	buffer_load_dword v116, off, s[0:3], 0 offset:148
	v_mul_f32_e32 v3, v17, v112
	v_fma_f32 v3, v16, v111, -v3
	v_add_f32_e32 v2, v2, v3
	s_waitcnt vmcnt(2) lgkmcnt(0)
	v_mul_f32_e32 v23, v18, v114
	v_fmac_f32_e32 v23, v19, v113
	v_add_f32_e32 v22, v22, v23
	s_waitcnt vmcnt(0)
	v_mul_f32_e32 v23, v20, v116
	v_fmac_f32_e32 v23, v21, v115
	v_add_f32_e32 v26, v22, v23
	ds_read2_b64 v[22:25], v226 offset0:77 offset1:78
	buffer_load_dword v117, off, s[0:3], 0 offset:152
	buffer_load_dword v118, off, s[0:3], 0 offset:156
	;; [unrolled: 1-line block ×4, first 2 shown]
	v_mul_f32_e32 v3, v19, v114
	v_fma_f32 v3, v18, v113, -v3
	v_add_f32_e32 v2, v2, v3
	v_mul_f32_e32 v3, v21, v116
	v_fma_f32 v3, v20, v115, -v3
	v_add_f32_e32 v2, v2, v3
	s_waitcnt vmcnt(2) lgkmcnt(0)
	v_mul_f32_e32 v27, v22, v118
	v_fmac_f32_e32 v27, v23, v117
	v_add_f32_e32 v26, v26, v27
	s_waitcnt vmcnt(0)
	v_mul_f32_e32 v27, v24, v120
	v_fmac_f32_e32 v27, v25, v119
	v_add_f32_e32 v30, v26, v27
	ds_read2_b64 v[26:29], v226 offset0:79 offset1:80
	buffer_load_dword v121, off, s[0:3], 0 offset:168
	buffer_load_dword v122, off, s[0:3], 0 offset:172
	;; [unrolled: 1-line block ×4, first 2 shown]
	v_mul_f32_e32 v3, v23, v118
	v_fma_f32 v3, v22, v117, -v3
	v_add_f32_e32 v2, v2, v3
	v_mul_f32_e32 v3, v25, v120
	v_fma_f32 v3, v24, v119, -v3
	v_add_f32_e32 v2, v2, v3
	s_waitcnt vmcnt(2) lgkmcnt(0)
	v_mul_f32_e32 v31, v26, v122
	v_fmac_f32_e32 v31, v27, v121
	v_add_f32_e32 v30, v30, v31
	s_waitcnt vmcnt(0)
	v_mul_f32_e32 v31, v28, v124
	v_fmac_f32_e32 v31, v29, v123
	v_add_f32_e32 v34, v30, v31
	ds_read2_b64 v[30:33], v226 offset0:81 offset1:82
	buffer_load_dword v125, off, s[0:3], 0 offset:184
	buffer_load_dword v126, off, s[0:3], 0 offset:188
	buffer_load_dword v127, off, s[0:3], 0 offset:192
	buffer_load_dword v128, off, s[0:3], 0 offset:196
	ds_read2_b64 v[38:41], v226 offset0:83 offset1:84
	buffer_load_dword v129, off, s[0:3], 0 offset:200
	buffer_load_dword v130, off, s[0:3], 0 offset:204
	buffer_load_dword v131, off, s[0:3], 0 offset:208
	buffer_load_dword v227, off, s[0:3], 0 offset:212
	ds_read2_b64 v[42:45], v226 offset0:85 offset1:86
	buffer_load_dword v228, off, s[0:3], 0 offset:216
	buffer_load_dword v229, off, s[0:3], 0 offset:220
	buffer_load_dword v132, off, s[0:3], 0 offset:224
	buffer_load_dword v133, off, s[0:3], 0 offset:228
	ds_read2_b64 v[46:49], v226 offset0:87 offset1:88
	buffer_load_dword v134, off, s[0:3], 0 offset:232
	buffer_load_dword v135, off, s[0:3], 0 offset:236
	buffer_load_dword v230, off, s[0:3], 0 offset:240
	buffer_load_dword v231, off, s[0:3], 0 offset:244
	ds_read2_b64 v[50:53], v226 offset0:89 offset1:90
	buffer_load_dword v232, off, s[0:3], 0 offset:248
	buffer_load_dword v136, off, s[0:3], 0 offset:252
	buffer_load_dword v137, off, s[0:3], 0 offset:256
	buffer_load_dword v138, off, s[0:3], 0 offset:260
	ds_read2_b64 v[54:57], v226 offset0:91 offset1:92
	buffer_load_dword v139, off, s[0:3], 0 offset:264
	buffer_load_dword v140, off, s[0:3], 0 offset:268
	buffer_load_dword v141, off, s[0:3], 0 offset:272
	buffer_load_dword v142, off, s[0:3], 0 offset:276
	ds_read2_b64 v[58:61], v226 offset0:93 offset1:94
	buffer_load_dword v143, off, s[0:3], 0 offset:280
	buffer_load_dword v144, off, s[0:3], 0 offset:284
	buffer_load_dword v145, off, s[0:3], 0 offset:288
	buffer_load_dword v146, off, s[0:3], 0 offset:292
	ds_read2_b64 v[62:65], v226 offset0:95 offset1:96
	buffer_load_dword v147, off, s[0:3], 0 offset:296
	buffer_load_dword v148, off, s[0:3], 0 offset:300
	buffer_load_dword v149, off, s[0:3], 0 offset:304
	buffer_load_dword v150, off, s[0:3], 0 offset:308
	ds_read2_b64 v[66:69], v226 offset0:97 offset1:98
	buffer_load_dword v151, off, s[0:3], 0 offset:312
	buffer_load_dword v152, off, s[0:3], 0 offset:316
	buffer_load_dword v153, off, s[0:3], 0 offset:320
	buffer_load_dword v154, off, s[0:3], 0 offset:324
	ds_read2_b64 v[70:73], v226 offset0:99 offset1:100
	buffer_load_dword v155, off, s[0:3], 0 offset:328
	buffer_load_dword v156, off, s[0:3], 0 offset:332
	buffer_load_dword v157, off, s[0:3], 0 offset:336
	buffer_load_dword v158, off, s[0:3], 0 offset:340
	ds_read2_b64 v[74:77], v226 offset0:101 offset1:102
	buffer_load_dword v159, off, s[0:3], 0 offset:344
	buffer_load_dword v160, off, s[0:3], 0 offset:348
	buffer_load_dword v161, off, s[0:3], 0 offset:352
	buffer_load_dword v162, off, s[0:3], 0 offset:356
	ds_read2_b64 v[78:81], v226 offset0:103 offset1:104
	buffer_load_dword v163, off, s[0:3], 0 offset:360
	buffer_load_dword v164, off, s[0:3], 0 offset:364
	buffer_load_dword v165, off, s[0:3], 0 offset:368
	buffer_load_dword v166, off, s[0:3], 0 offset:372
	ds_read2_b64 v[82:85], v226 offset0:105 offset1:106
	buffer_load_dword v167, off, s[0:3], 0 offset:376
	buffer_load_dword v168, off, s[0:3], 0 offset:380
	buffer_load_dword v169, off, s[0:3], 0 offset:384
	buffer_load_dword v233, off, s[0:3], 0 offset:388
	v_mul_f32_e32 v3, v27, v122
	v_fma_f32 v3, v26, v121, -v3
	v_add_f32_e32 v2, v2, v3
	v_mul_f32_e32 v3, v29, v124
	v_fma_f32 v3, v28, v123, -v3
	v_add_f32_e32 v2, v2, v3
	s_waitcnt vmcnt(50) lgkmcnt(12)
	v_mul_f32_e32 v35, v30, v126
	v_fmac_f32_e32 v35, v31, v125
	v_add_f32_e32 v34, v34, v35
	s_waitcnt vmcnt(48)
	v_mul_f32_e32 v35, v32, v128
	v_fmac_f32_e32 v35, v33, v127
	v_add_f32_e32 v34, v34, v35
	s_waitcnt vmcnt(46) lgkmcnt(11)
	v_mul_f32_e32 v35, v38, v130
	v_fmac_f32_e32 v35, v39, v129
	v_add_f32_e32 v34, v34, v35
	s_waitcnt vmcnt(44)
	v_mul_f32_e32 v35, v40, v227
	v_fmac_f32_e32 v35, v41, v131
	;; [unrolled: 8-line block ×12, first 2 shown]
	v_add_f32_e32 v34, v34, v35
	s_waitcnt vmcnt(2) lgkmcnt(0)
	v_mul_f32_e32 v35, v82, v168
	v_fmac_f32_e32 v35, v83, v167
	v_add_f32_e32 v89, v34, v35
	ds_read2_b64 v[34:37], v226 offset0:107 offset1:108
	buffer_load_dword v234, off, s[0:3], 0 offset:392
	buffer_load_dword v235, off, s[0:3], 0 offset:396
	;; [unrolled: 1-line block ×18, first 2 shown]
	v_mul_f32_e32 v3, v31, v126
	v_fma_f32 v3, v30, v125, -v3
	v_add_f32_e32 v2, v2, v3
	v_mul_f32_e32 v3, v33, v128
	v_fma_f32 v3, v32, v127, -v3
	v_add_f32_e32 v2, v2, v3
	v_mul_f32_e32 v3, v39, v130
	v_fma_f32 v3, v38, v129, -v3
	v_add_f32_e32 v2, v2, v3
	v_mul_f32_e32 v3, v41, v227
	v_fma_f32 v3, v40, v131, -v3
	v_add_f32_e32 v2, v2, v3
	v_mul_f32_e32 v3, v43, v229
	v_fma_f32 v3, v42, v228, -v3
	v_add_f32_e32 v2, v2, v3
	v_mul_f32_e32 v3, v45, v133
	v_fma_f32 v3, v44, v132, -v3
	v_add_f32_e32 v2, v2, v3
	v_mul_f32_e32 v3, v47, v135
	v_fma_f32 v3, v46, v134, -v3
	v_add_f32_e32 v2, v2, v3
	v_mul_f32_e32 v3, v49, v231
	v_fma_f32 v3, v48, v230, -v3
	v_add_f32_e32 v2, v2, v3
	v_mul_f32_e32 v3, v51, v136
	v_fma_f32 v3, v50, v232, -v3
	v_add_f32_e32 v2, v2, v3
	v_mul_f32_e32 v3, v53, v138
	v_fma_f32 v3, v52, v137, -v3
	v_add_f32_e32 v2, v2, v3
	v_mul_f32_e32 v3, v55, v140
	v_fma_f32 v3, v54, v139, -v3
	v_add_f32_e32 v2, v2, v3
	v_mul_f32_e32 v3, v57, v142
	v_fma_f32 v3, v56, v141, -v3
	v_add_f32_e32 v2, v2, v3
	v_mul_f32_e32 v3, v59, v144
	v_fma_f32 v3, v58, v143, -v3
	v_add_f32_e32 v2, v2, v3
	v_mul_f32_e32 v3, v61, v146
	v_fma_f32 v3, v60, v145, -v3
	v_add_f32_e32 v2, v2, v3
	v_mul_f32_e32 v3, v63, v148
	v_fma_f32 v3, v62, v147, -v3
	v_add_f32_e32 v2, v2, v3
	v_mul_f32_e32 v3, v65, v150
	v_fma_f32 v3, v64, v149, -v3
	v_add_f32_e32 v2, v2, v3
	v_mul_f32_e32 v3, v67, v152
	v_fma_f32 v3, v66, v151, -v3
	v_add_f32_e32 v2, v2, v3
	v_mul_f32_e32 v3, v69, v154
	v_fma_f32 v3, v68, v153, -v3
	v_add_f32_e32 v2, v2, v3
	v_mul_f32_e32 v3, v71, v156
	v_fma_f32 v3, v70, v155, -v3
	v_add_f32_e32 v2, v2, v3
	v_mul_f32_e32 v3, v73, v158
	v_fma_f32 v3, v72, v157, -v3
	v_add_f32_e32 v2, v2, v3
	v_mul_f32_e32 v3, v75, v160
	v_fma_f32 v3, v74, v159, -v3
	v_add_f32_e32 v2, v2, v3
	v_mul_f32_e32 v3, v77, v162
	v_fma_f32 v3, v76, v161, -v3
	v_add_f32_e32 v2, v2, v3
	v_mul_f32_e32 v3, v79, v164
	v_fma_f32 v3, v78, v163, -v3
	v_add_f32_e32 v2, v2, v3
	v_mul_f32_e32 v3, v81, v166
	v_fma_f32 v3, v80, v165, -v3
	v_add_f32_e32 v2, v2, v3
	v_mul_f32_e32 v3, v83, v168
	v_fma_f32 v3, v82, v167, -v3
	v_add_f32_e32 v88, v2, v3
	s_waitcnt vmcnt(18)
	v_mul_f32_e32 v2, v85, v233
	s_waitcnt vmcnt(15)
	v_mov_b32_e32 v18, v93
	v_mul_f32_e32 v91, v84, v233
	v_fma_f32 v90, v84, v169, -v2
	s_waitcnt lgkmcnt(0)
	v_mul_f32_e32 v2, v35, v235
	v_pk_mul_f32 v[18:19], v[36:37], v[18:19] op_sel_hi:[1,0]
	v_fmac_f32_e32 v91, v85, v169
	v_mul_f32_e32 v95, v34, v235
	v_fma_f32 v94, v34, v234, -v2
	ds_read2_b64 v[2:5], v226 offset0:109 offset1:110
	ds_read2_b64 v[6:9], v226 offset0:111 offset1:112
	;; [unrolled: 1-line block ×3, first 2 shown]
	ds_read_b64 v[14:15], v226 offset:920
	s_waitcnt vmcnt(14)
	v_pk_fma_f32 v[20:21], v[36:37], v[92:93], v[18:19] op_sel:[0,0,1] op_sel_hi:[1,1,0] neg_lo:[0,0,1] neg_hi:[0,0,1]
	v_pk_fma_f32 v[18:19], v[36:37], v[92:93], v[18:19] op_sel:[0,0,1] op_sel_hi:[1,0,0]
	v_fmac_f32_e32 v95, v35, v234
	v_pk_add_f32 v[16:17], v[88:89], v[90:91]
	s_waitcnt vmcnt(13)
	v_mov_b32_e32 v18, v225
	v_pk_add_f32 v[16:17], v[16:17], v[94:95]
	v_mov_b32_e32 v21, v19
	s_waitcnt lgkmcnt(3)
	v_pk_mul_f32 v[18:19], v[2:3], v[18:19] op_sel_hi:[1,0]
	v_pk_add_f32 v[16:17], v[16:17], v[20:21]
	s_waitcnt vmcnt(12)
	v_pk_fma_f32 v[20:21], v[2:3], v[224:225], v[18:19] op_sel:[0,0,1] op_sel_hi:[1,1,0] neg_lo:[0,0,1] neg_hi:[0,0,1]
	v_pk_fma_f32 v[2:3], v[2:3], v[224:225], v[18:19] op_sel:[0,0,1] op_sel_hi:[1,0,0]
	v_mov_b32_e32 v21, v3
	v_pk_add_f32 v[2:3], v[16:17], v[20:21]
	s_waitcnt vmcnt(11)
	v_mov_b32_e32 v16, v223
	v_pk_mul_f32 v[16:17], v[4:5], v[16:17] op_sel_hi:[1,0]
	s_waitcnt vmcnt(10)
	v_pk_fma_f32 v[18:19], v[4:5], v[222:223], v[16:17] op_sel:[0,0,1] op_sel_hi:[1,1,0] neg_lo:[0,0,1] neg_hi:[0,0,1]
	v_pk_fma_f32 v[4:5], v[4:5], v[222:223], v[16:17] op_sel:[0,0,1] op_sel_hi:[1,0,0]
	s_waitcnt vmcnt(9)
	v_mov_b32_e32 v4, v221
	v_mov_b32_e32 v19, v5
	s_waitcnt lgkmcnt(2)
	v_pk_mul_f32 v[4:5], v[6:7], v[4:5] op_sel_hi:[1,0]
	s_waitcnt vmcnt(8)
	v_pk_fma_f32 v[16:17], v[6:7], v[220:221], v[4:5] op_sel:[0,0,1] op_sel_hi:[1,1,0] neg_lo:[0,0,1] neg_hi:[0,0,1]
	v_pk_fma_f32 v[4:5], v[6:7], v[220:221], v[4:5] op_sel:[0,0,1] op_sel_hi:[1,0,0]
	s_waitcnt vmcnt(7)
	v_mov_b32_e32 v4, v219
	v_mov_b32_e32 v17, v5
	v_pk_mul_f32 v[4:5], v[8:9], v[4:5] op_sel_hi:[1,0]
	s_waitcnt vmcnt(6)
	v_pk_fma_f32 v[6:7], v[8:9], v[218:219], v[4:5] op_sel:[0,0,1] op_sel_hi:[1,1,0] neg_lo:[0,0,1] neg_hi:[0,0,1]
	v_pk_fma_f32 v[4:5], v[8:9], v[218:219], v[4:5] op_sel:[0,0,1] op_sel_hi:[1,0,0]
	v_pk_add_f32 v[2:3], v[2:3], v[18:19]
	s_waitcnt vmcnt(5)
	v_mov_b32_e32 v4, v217
	v_pk_add_f32 v[2:3], v[2:3], v[16:17]
	v_mov_b32_e32 v7, v5
	s_waitcnt lgkmcnt(1)
	v_pk_mul_f32 v[4:5], v[10:11], v[4:5] op_sel_hi:[1,0]
	v_pk_add_f32 v[2:3], v[2:3], v[6:7]
	s_waitcnt vmcnt(4)
	v_pk_fma_f32 v[6:7], v[10:11], v[216:217], v[4:5] op_sel:[0,0,1] op_sel_hi:[1,1,0] neg_lo:[0,0,1] neg_hi:[0,0,1]
	v_pk_fma_f32 v[4:5], v[10:11], v[216:217], v[4:5] op_sel:[0,0,1] op_sel_hi:[1,0,0]
	s_waitcnt vmcnt(3)
	v_mov_b32_e32 v4, v99
	v_mov_b32_e32 v7, v5
	v_pk_mul_f32 v[4:5], v[12:13], v[4:5] op_sel_hi:[1,0]
	v_pk_add_f32 v[2:3], v[2:3], v[6:7]
	s_waitcnt vmcnt(2)
	v_pk_fma_f32 v[6:7], v[12:13], v[98:99], v[4:5] op_sel:[0,0,1] op_sel_hi:[1,1,0] neg_lo:[0,0,1] neg_hi:[0,0,1]
	v_pk_fma_f32 v[4:5], v[12:13], v[98:99], v[4:5] op_sel:[0,0,1] op_sel_hi:[1,0,0]
	s_waitcnt vmcnt(1)
	v_mov_b32_e32 v4, v97
	v_mov_b32_e32 v7, v5
	s_waitcnt lgkmcnt(0)
	v_pk_mul_f32 v[4:5], v[14:15], v[4:5] op_sel_hi:[1,0]
	v_pk_add_f32 v[2:3], v[2:3], v[6:7]
	s_waitcnt vmcnt(0)
	v_pk_fma_f32 v[6:7], v[14:15], v[96:97], v[4:5] op_sel:[0,0,1] op_sel_hi:[1,1,0] neg_lo:[0,0,1] neg_hi:[0,0,1]
	v_pk_fma_f32 v[4:5], v[14:15], v[96:97], v[4:5] op_sel:[0,0,1] op_sel_hi:[1,0,0]
	v_mov_b32_e32 v7, v5
	v_pk_add_f32 v[2:3], v[2:3], v[6:7]
	v_pk_add_f32 v[2:3], v[86:87], v[2:3] neg_lo:[0,1] neg_hi:[0,1]
	buffer_store_dword v3, off, s[0:3], 0 offset:68
	buffer_store_dword v2, off, s[0:3], 0 offset:64
	s_and_saveexec_b64 s[4:5], vcc
	s_cbranch_execz .LBB57_347
; %bb.346:
	buffer_load_dword v2, off, s[0:3], 0 offset:56
	buffer_load_dword v3, off, s[0:3], 0 offset:60
	s_waitcnt vmcnt(0)
	ds_write_b64 v175, v[2:3]
	buffer_store_dword v226, off, s[0:3], 0 offset:56
	buffer_store_dword v226, off, s[0:3], 0 offset:60
.LBB57_347:
	s_or_b64 exec, exec, s[4:5]
	s_waitcnt lgkmcnt(0)
	; wave barrier
	s_waitcnt lgkmcnt(0)
	buffer_load_dword v41, off, s[0:3], 0 offset:68
	buffer_load_dword v40, off, s[0:3], 0 offset:76
	;; [unrolled: 1-line block ×32, first 2 shown]
	ds_read_b128 v[22:25], v226 offset:528
	ds_read_b128 v[18:21], v226 offset:544
	;; [unrolled: 1-line block ×6, first 2 shown]
	buffer_load_dword v141, off, s[0:3], 0 offset:184
	buffer_load_dword v142, off, s[0:3], 0 offset:188
	;; [unrolled: 1-line block ×20, first 2 shown]
	v_cmp_lt_u32_e32 vcc, 6, v0
	s_waitcnt vmcnt(51) lgkmcnt(5)
	v_mul_f32_e32 v26, v22, v41
	s_waitcnt vmcnt(50)
	v_mul_f32_e32 v27, v24, v40
	s_waitcnt vmcnt(49) lgkmcnt(4)
	v_mul_f32_e32 v29, v20, v39
	s_waitcnt vmcnt(48) lgkmcnt(3)
	v_mul_f32_e32 v30, v14, v38
	s_waitcnt vmcnt(47)
	v_mul_f32_e32 v31, v16, v37
	s_waitcnt vmcnt(46) lgkmcnt(2)
	v_mul_f32_e32 v32, v10, v36
	s_waitcnt vmcnt(45)
	v_mul_f32_e32 v28, v18, v42
	s_waitcnt vmcnt(44)
	v_mul_f32_e32 v33, v12, v43
	s_waitcnt vmcnt(43) lgkmcnt(1)
	v_mul_f32_e32 v48, v6, v44
	s_waitcnt vmcnt(42)
	v_mul_f32_e32 v49, v8, v45
	s_waitcnt vmcnt(41) lgkmcnt(0)
	v_mul_f32_e32 v50, v2, v46
	s_waitcnt vmcnt(40)
	v_mul_f32_e32 v51, v4, v47
	s_waitcnt vmcnt(39)
	v_fmac_f32_e32 v28, v19, v106
	s_waitcnt vmcnt(38)
	v_fmac_f32_e32 v27, v25, v108
	;; [unrolled: 2-line block ×3, first 2 shown]
	v_add_f32_e32 v26, 0, v26
	v_add_f32_e32 v26, v26, v27
	;; [unrolled: 1-line block ×3, first 2 shown]
	s_waitcnt vmcnt(33)
	v_fmac_f32_e32 v29, v21, v129
	v_fmac_f32_e32 v30, v15, v128
	v_add_f32_e32 v26, v26, v29
	v_fmac_f32_e32 v31, v17, v127
	v_add_f32_e32 v26, v26, v30
	;; [unrolled: 2-line block ×3, first 2 shown]
	s_waitcnt vmcnt(29)
	v_fmac_f32_e32 v33, v13, v133
	v_add_f32_e32 v26, v26, v32
	v_fmac_f32_e32 v48, v7, v132
	v_add_f32_e32 v26, v26, v33
	v_fmac_f32_e32 v49, v9, v131
	v_add_f32_e32 v26, v26, v48
	v_fmac_f32_e32 v50, v3, v130
	v_add_f32_e32 v26, v26, v49
	v_add_f32_e32 v30, v26, v50
	ds_read_b128 v[26:29], v226 offset:624
	buffer_load_dword v161, off, s[0:3], 0 offset:264
	buffer_load_dword v162, off, s[0:3], 0 offset:268
	;; [unrolled: 1-line block ×4, first 2 shown]
	s_waitcnt vmcnt(28)
	v_fmac_f32_e32 v51, v5, v138
	v_add_f32_e32 v48, v30, v51
	ds_read_b128 v[30:33], v226 offset:640
	buffer_load_dword v165, off, s[0:3], 0 offset:280
	buffer_load_dword v166, off, s[0:3], 0 offset:284
	;; [unrolled: 1-line block ×12, first 2 shown]
	s_waitcnt vmcnt(39) lgkmcnt(1)
	v_mul_f32_e32 v49, v26, v139
	v_fmac_f32_e32 v49, v27, v137
	buffer_load_dword v223, off, s[0:3], 0 offset:328
	buffer_load_dword v224, off, s[0:3], 0 offset:332
	v_add_f32_e32 v48, v48, v49
	s_waitcnt vmcnt(40)
	v_mul_f32_e32 v49, v28, v140
	v_fmac_f32_e32 v49, v29, v136
	buffer_load_dword v225, off, s[0:3], 0 offset:336
	buffer_load_dword v227, off, s[0:3], 0 offset:340
	v_add_f32_e32 v48, v48, v49
	s_waitcnt lgkmcnt(0)
	v_mul_f32_e32 v49, v30, v135
	v_fmac_f32_e32 v49, v31, v134
	v_add_f32_e32 v52, v48, v49
	ds_read_b128 v[48:51], v226 offset:656
	buffer_load_dword v228, off, s[0:3], 0 offset:344
	buffer_load_dword v229, off, s[0:3], 0 offset:348
	s_waitcnt vmcnt(40)
	v_mul_f32_e32 v53, v32, v142
	v_fmac_f32_e32 v53, v33, v141
	v_add_f32_e32 v56, v52, v53
	ds_read_b128 v[52:55], v226 offset:672
	buffer_load_dword v230, off, s[0:3], 0 offset:352
	buffer_load_dword v231, off, s[0:3], 0 offset:356
	;; [unrolled: 1-line block ×8, first 2 shown]
	s_waitcnt vmcnt(46) lgkmcnt(1)
	v_mul_f32_e32 v57, v48, v144
	v_fmac_f32_e32 v57, v49, v143
	v_add_f32_e32 v56, v56, v57
	s_waitcnt vmcnt(44)
	v_mul_f32_e32 v57, v50, v146
	v_fmac_f32_e32 v57, v51, v145
	v_add_f32_e32 v56, v56, v57
	s_waitcnt vmcnt(42) lgkmcnt(0)
	v_mul_f32_e32 v57, v52, v148
	v_fmac_f32_e32 v57, v53, v147
	v_add_f32_e32 v60, v56, v57
	buffer_load_dword v238, off, s[0:3], 0 offset:384
	buffer_load_dword v239, off, s[0:3], 0 offset:388
	buffer_load_dword v240, off, s[0:3], 0 offset:392
	buffer_load_dword v241, off, s[0:3], 0 offset:396
	ds_read_b128 v[56:59], v226 offset:688
	s_waitcnt vmcnt(44)
	v_mul_f32_e32 v61, v54, v150
	v_fmac_f32_e32 v61, v55, v149
	v_add_f32_e32 v64, v60, v61
	ds_read_b128 v[60:63], v226 offset:704
	s_waitcnt vmcnt(42) lgkmcnt(1)
	v_mul_f32_e32 v65, v56, v152
	v_fmac_f32_e32 v65, v57, v151
	v_add_f32_e32 v64, v64, v65
	s_waitcnt vmcnt(40)
	v_mul_f32_e32 v65, v58, v154
	v_fmac_f32_e32 v65, v59, v153
	v_add_f32_e32 v64, v64, v65
	s_waitcnt vmcnt(38) lgkmcnt(0)
	v_mul_f32_e32 v65, v60, v156
	v_fmac_f32_e32 v65, v61, v155
	v_add_f32_e32 v68, v64, v65
	ds_read_b128 v[64:67], v226 offset:720
	s_waitcnt vmcnt(36)
	v_mul_f32_e32 v69, v62, v158
	v_fmac_f32_e32 v69, v63, v157
	v_add_f32_e32 v72, v68, v69
	ds_read_b128 v[68:71], v226 offset:736
	s_waitcnt vmcnt(34) lgkmcnt(1)
	v_mul_f32_e32 v73, v64, v160
	v_fmac_f32_e32 v73, v65, v159
	v_add_f32_e32 v72, v72, v73
	v_mul_f32_e32 v23, v23, v41
	v_fma_f32 v22, v22, v110, -v23
	v_mul_f32_e32 v23, v25, v40
	v_add_f32_e32 v22, 0, v22
	v_fma_f32 v23, v24, v108, -v23
	v_mul_f32_e32 v19, v19, v42
	v_add_f32_e32 v22, v22, v23
	;; [unrolled: 3-line block ×5, first 2 shown]
	s_waitcnt vmcnt(32)
	v_mul_f32_e32 v73, v66, v162
	v_fmac_f32_e32 v73, v67, v161
	v_add_f32_e32 v72, v72, v73
	s_waitcnt vmcnt(30) lgkmcnt(0)
	v_mul_f32_e32 v73, v68, v164
	v_fmac_f32_e32 v73, v69, v163
	v_add_f32_e32 v76, v72, v73
	ds_read_b128 v[72:75], v226 offset:752
	s_waitcnt vmcnt(28)
	v_mul_f32_e32 v77, v70, v166
	v_fmac_f32_e32 v77, v71, v165
	v_add_f32_e32 v80, v76, v77
	ds_read_b128 v[76:79], v226 offset:768
	s_waitcnt vmcnt(26) lgkmcnt(1)
	v_mul_f32_e32 v81, v72, v168
	v_fmac_f32_e32 v81, v73, v167
	v_add_f32_e32 v80, v80, v81
	s_waitcnt vmcnt(24)
	v_mul_f32_e32 v81, v74, v216
	v_fmac_f32_e32 v81, v75, v169
	v_add_f32_e32 v80, v80, v81
	s_waitcnt vmcnt(22) lgkmcnt(0)
	v_mul_f32_e32 v81, v76, v218
	v_fmac_f32_e32 v81, v77, v217
	v_add_f32_e32 v84, v80, v81
	ds_read_b128 v[80:83], v226 offset:784
	s_waitcnt vmcnt(20)
	v_mul_f32_e32 v85, v78, v220
	v_fmac_f32_e32 v85, v79, v219
	v_add_f32_e32 v88, v84, v85
	ds_read_b128 v[84:87], v226 offset:800
	s_waitcnt vmcnt(18) lgkmcnt(1)
	v_mul_f32_e32 v89, v80, v222
	v_fmac_f32_e32 v89, v81, v221
	v_add_f32_e32 v88, v88, v89
	s_waitcnt vmcnt(16)
	v_mul_f32_e32 v89, v82, v224
	v_fmac_f32_e32 v89, v83, v223
	v_add_f32_e32 v88, v88, v89
	s_waitcnt vmcnt(14) lgkmcnt(0)
	v_mul_f32_e32 v89, v84, v227
	v_fmac_f32_e32 v89, v85, v225
	v_add_f32_e32 v92, v88, v89
	ds_read_b128 v[88:91], v226 offset:816
	s_waitcnt vmcnt(12)
	v_mul_f32_e32 v93, v86, v229
	v_fmac_f32_e32 v93, v87, v228
	v_add_f32_e32 v96, v92, v93
	ds_read_b128 v[92:95], v226 offset:832
	buffer_load_dword v105, off, s[0:3], 0 offset:404
	buffer_load_dword v104, off, s[0:3], 0 offset:400
	s_waitcnt vmcnt(12) lgkmcnt(1)
	v_mul_f32_e32 v97, v88, v231
	v_fmac_f32_e32 v97, v89, v230
	v_add_f32_e32 v96, v96, v97
	s_waitcnt vmcnt(10)
	v_mul_f32_e32 v97, v90, v233
	v_fmac_f32_e32 v97, v91, v232
	v_add_f32_e32 v96, v96, v97
	s_waitcnt vmcnt(8) lgkmcnt(0)
	v_mul_f32_e32 v97, v92, v235
	v_fmac_f32_e32 v97, v93, v234
	s_waitcnt vmcnt(6)
	v_mul_f32_e32 v101, v94, v237
	v_add_f32_e32 v100, v96, v97
	v_fmac_f32_e32 v101, v95, v236
	ds_read_b128 v[96:99], v226 offset:848
	v_add_f32_e32 v107, v100, v101
	ds_read_b128 v[100:103], v226 offset:864
	buffer_load_dword v113, off, s[0:3], 0 offset:436
	buffer_load_dword v112, off, s[0:3], 0 offset:432
	;; [unrolled: 1-line block ×14, first 2 shown]
	v_fma_f32 v15, v16, v127, -v15
	v_mul_f32_e32 v11, v11, v36
	v_add_f32_e32 v14, v14, v15
	v_fma_f32 v10, v10, v126, -v11
	v_mul_f32_e32 v11, v13, v43
	v_add_f32_e32 v10, v14, v10
	;; [unrolled: 3-line block ×6, first 2 shown]
	v_fma_f32 v3, v4, v138, -v3
	v_add_f32_e32 v2, v2, v3
	v_mul_f32_e32 v3, v27, v139
	v_fma_f32 v3, v26, v137, -v3
	v_add_f32_e32 v2, v2, v3
	v_mul_f32_e32 v3, v29, v140
	;; [unrolled: 3-line block ×28, first 2 shown]
	v_fma_f32 v3, v94, v236, -v3
	s_waitcnt vmcnt(15)
	v_mov_b32_e32 v16, v105
	s_waitcnt lgkmcnt(1)
	v_mul_f32_e32 v109, v96, v239
	v_add_f32_e32 v106, v2, v3
	v_mul_f32_e32 v2, v97, v239
	s_waitcnt lgkmcnt(0)
	v_pk_mul_f32 v[16:17], v[100:101], v[16:17] op_sel_hi:[1,0]
	v_fmac_f32_e32 v109, v97, v238
	v_mul_f32_e32 v111, v98, v241
	v_fma_f32 v108, v96, v238, -v2
	v_mul_f32_e32 v2, v99, v241
	s_waitcnt vmcnt(14)
	v_pk_fma_f32 v[18:19], v[100:101], v[104:105], v[16:17] op_sel:[0,0,1] op_sel_hi:[1,1,0] neg_lo:[0,0,1] neg_hi:[0,0,1]
	v_pk_fma_f32 v[16:17], v[100:101], v[104:105], v[16:17] op_sel:[0,0,1] op_sel_hi:[1,0,0]
	v_fmac_f32_e32 v111, v99, v240
	v_fma_f32 v110, v98, v240, -v2
	v_pk_add_f32 v[14:15], v[106:107], v[108:109]
	s_waitcnt vmcnt(7)
	v_mov_b32_e32 v16, v119
	ds_read_b128 v[2:5], v226 offset:880
	ds_read_b128 v[6:9], v226 offset:896
	;; [unrolled: 1-line block ×3, first 2 shown]
	v_pk_add_f32 v[14:15], v[14:15], v[110:111]
	v_mov_b32_e32 v19, v17
	v_pk_mul_f32 v[16:17], v[102:103], v[16:17] op_sel_hi:[1,0]
	v_pk_add_f32 v[14:15], v[14:15], v[18:19]
	s_waitcnt vmcnt(6)
	v_pk_fma_f32 v[18:19], v[102:103], v[118:119], v[16:17] op_sel:[0,0,1] op_sel_hi:[1,1,0] neg_lo:[0,0,1] neg_hi:[0,0,1]
	v_pk_fma_f32 v[16:17], v[102:103], v[118:119], v[16:17] op_sel:[0,0,1] op_sel_hi:[1,0,0]
	v_mov_b32_e32 v16, v117
	v_mov_b32_e32 v19, v17
	s_waitcnt lgkmcnt(2)
	v_pk_mul_f32 v[16:17], v[2:3], v[16:17] op_sel_hi:[1,0]
	v_pk_add_f32 v[14:15], v[14:15], v[18:19]
	v_pk_fma_f32 v[18:19], v[2:3], v[116:117], v[16:17] op_sel:[0,0,1] op_sel_hi:[1,1,0] neg_lo:[0,0,1] neg_hi:[0,0,1]
	v_pk_fma_f32 v[2:3], v[2:3], v[116:117], v[16:17] op_sel:[0,0,1] op_sel_hi:[1,0,0]
	v_mov_b32_e32 v19, v3
	v_pk_add_f32 v[2:3], v[14:15], v[18:19]
	v_mov_b32_e32 v14, v115
	v_pk_mul_f32 v[14:15], v[4:5], v[14:15] op_sel_hi:[1,0]
	v_pk_fma_f32 v[16:17], v[4:5], v[114:115], v[14:15] op_sel:[0,0,1] op_sel_hi:[1,1,0] neg_lo:[0,0,1] neg_hi:[0,0,1]
	v_pk_fma_f32 v[4:5], v[4:5], v[114:115], v[14:15] op_sel:[0,0,1] op_sel_hi:[1,0,0]
	v_mov_b32_e32 v4, v113
	v_mov_b32_e32 v17, v5
	s_waitcnt lgkmcnt(1)
	v_pk_mul_f32 v[4:5], v[6:7], v[4:5] op_sel_hi:[1,0]
	v_pk_fma_f32 v[14:15], v[6:7], v[112:113], v[4:5] op_sel:[0,0,1] op_sel_hi:[1,1,0] neg_lo:[0,0,1] neg_hi:[0,0,1]
	v_pk_fma_f32 v[4:5], v[6:7], v[112:113], v[4:5] op_sel:[0,0,1] op_sel_hi:[1,0,0]
	s_waitcnt vmcnt(1)
	v_mov_b32_e32 v4, v125
	v_mov_b32_e32 v15, v5
	v_pk_mul_f32 v[4:5], v[8:9], v[4:5] op_sel_hi:[1,0]
	s_waitcnt vmcnt(0)
	v_pk_fma_f32 v[6:7], v[8:9], v[124:125], v[4:5] op_sel:[0,0,1] op_sel_hi:[1,1,0] neg_lo:[0,0,1] neg_hi:[0,0,1]
	v_pk_fma_f32 v[4:5], v[8:9], v[124:125], v[4:5] op_sel:[0,0,1] op_sel_hi:[1,0,0]
	v_pk_add_f32 v[2:3], v[2:3], v[16:17]
	v_mov_b32_e32 v4, v123
	v_pk_add_f32 v[2:3], v[2:3], v[14:15]
	v_mov_b32_e32 v7, v5
	s_waitcnt lgkmcnt(0)
	v_pk_mul_f32 v[4:5], v[10:11], v[4:5] op_sel_hi:[1,0]
	v_pk_add_f32 v[2:3], v[2:3], v[6:7]
	v_pk_fma_f32 v[6:7], v[10:11], v[122:123], v[4:5] op_sel:[0,0,1] op_sel_hi:[1,1,0] neg_lo:[0,0,1] neg_hi:[0,0,1]
	v_pk_fma_f32 v[4:5], v[10:11], v[122:123], v[4:5] op_sel:[0,0,1] op_sel_hi:[1,0,0]
	v_mov_b32_e32 v4, v121
	v_mov_b32_e32 v7, v5
	v_pk_mul_f32 v[4:5], v[12:13], v[4:5] op_sel_hi:[1,0]
	v_pk_add_f32 v[2:3], v[2:3], v[6:7]
	v_pk_fma_f32 v[6:7], v[12:13], v[120:121], v[4:5] op_sel:[0,0,1] op_sel_hi:[1,1,0] neg_lo:[0,0,1] neg_hi:[0,0,1]
	v_pk_fma_f32 v[4:5], v[12:13], v[120:121], v[4:5] op_sel:[0,0,1] op_sel_hi:[1,0,0]
	v_mov_b32_e32 v7, v5
	v_pk_add_f32 v[2:3], v[2:3], v[6:7]
	v_pk_add_f32 v[2:3], v[34:35], v[2:3] neg_lo:[0,1] neg_hi:[0,1]
	buffer_store_dword v3, off, s[0:3], 0 offset:60
	buffer_store_dword v2, off, s[0:3], 0 offset:56
	s_and_saveexec_b64 s[4:5], vcc
	s_cbranch_execz .LBB57_349
; %bb.348:
	buffer_load_dword v2, off, s[0:3], 0 offset:48
	buffer_load_dword v3, off, s[0:3], 0 offset:52
	v_mov_b32_e32 v4, 0
	buffer_store_dword v4, off, s[0:3], 0 offset:48
	buffer_store_dword v4, off, s[0:3], 0 offset:52
	s_waitcnt vmcnt(2)
	ds_write_b64 v175, v[2:3]
.LBB57_349:
	s_or_b64 exec, exec, s[4:5]
	s_waitcnt lgkmcnt(0)
	; wave barrier
	s_waitcnt lgkmcnt(0)
	buffer_load_dword v46, off, s[0:3], 0 offset:60
	buffer_load_dword v45, off, s[0:3], 0 offset:68
	;; [unrolled: 1-line block ×48, first 2 shown]
	v_mov_b32_e32 v44, 0
	ds_read2_b64 v[22:25], v44 offset0:65 offset1:66
	ds_read2_b64 v[18:21], v44 offset0:67 offset1:68
	;; [unrolled: 1-line block ×6, first 2 shown]
	buffer_load_dword v158, off, s[0:3], 0 offset:240
	buffer_load_dword v159, off, s[0:3], 0 offset:244
	v_cmp_lt_u32_e32 vcc, 5, v0
	s_waitcnt vmcnt(49) lgkmcnt(5)
	v_mul_f32_e32 v26, v22, v46
	s_waitcnt vmcnt(48)
	v_mul_f32_e32 v27, v24, v45
	s_waitcnt vmcnt(47) lgkmcnt(4)
	v_mul_f32_e32 v29, v20, v43
	s_waitcnt vmcnt(46) lgkmcnt(3)
	v_mul_f32_e32 v30, v14, v42
	s_waitcnt vmcnt(45)
	v_mul_f32_e32 v31, v16, v41
	s_waitcnt vmcnt(44) lgkmcnt(2)
	v_mul_f32_e32 v32, v10, v40
	s_waitcnt vmcnt(43)
	v_mul_f32_e32 v28, v18, v47
	s_waitcnt vmcnt(42)
	v_mul_f32_e32 v33, v12, v48
	s_waitcnt vmcnt(41) lgkmcnt(1)
	v_mul_f32_e32 v34, v6, v49
	s_waitcnt vmcnt(40)
	v_mul_f32_e32 v35, v8, v50
	s_waitcnt vmcnt(39) lgkmcnt(0)
	v_mul_f32_e32 v36, v2, v51
	s_waitcnt vmcnt(38)
	v_mul_f32_e32 v37, v4, v52
	s_waitcnt vmcnt(37)
	v_fmac_f32_e32 v28, v19, v58
	s_waitcnt vmcnt(36)
	v_fmac_f32_e32 v27, v25, v61
	;; [unrolled: 2-line block ×3, first 2 shown]
	v_add_f32_e32 v26, 0, v26
	v_add_f32_e32 v26, v26, v27
	;; [unrolled: 1-line block ×3, first 2 shown]
	s_waitcnt vmcnt(31)
	v_fmac_f32_e32 v29, v21, v63
	v_fmac_f32_e32 v30, v15, v60
	v_add_f32_e32 v26, v26, v29
	v_fmac_f32_e32 v31, v17, v57
	v_add_f32_e32 v26, v26, v30
	;; [unrolled: 2-line block ×3, first 2 shown]
	s_waitcnt vmcnt(27)
	v_fmac_f32_e32 v33, v13, v59
	v_add_f32_e32 v26, v26, v32
	v_fmac_f32_e32 v34, v7, v56
	v_add_f32_e32 v26, v26, v33
	;; [unrolled: 2-line block ×4, first 2 shown]
	s_waitcnt vmcnt(22)
	v_fmac_f32_e32 v37, v5, v139
	v_add_f32_e32 v26, v26, v36
	v_add_f32_e32 v34, v26, v37
	ds_read2_b64 v[26:29], v44 offset0:77 offset1:78
	buffer_load_dword v160, off, s[0:3], 0 offset:248
	buffer_load_dword v161, off, s[0:3], 0 offset:252
	ds_read2_b64 v[30:33], v44 offset0:79 offset1:80
	buffer_load_dword v162, off, s[0:3], 0 offset:256
	buffer_load_dword v163, off, s[0:3], 0 offset:260
	;; [unrolled: 1-line block ×12, first 2 shown]
	s_waitcnt vmcnt(35) lgkmcnt(1)
	v_mul_f32_e32 v35, v26, v140
	v_fmac_f32_e32 v35, v27, v138
	buffer_load_dword v220, off, s[0:3], 0 offset:304
	buffer_load_dword v221, off, s[0:3], 0 offset:308
	v_add_f32_e32 v34, v34, v35
	s_waitcnt vmcnt(36)
	v_mul_f32_e32 v35, v28, v141
	v_fmac_f32_e32 v35, v29, v120
	v_add_f32_e32 v34, v34, v35
	s_waitcnt lgkmcnt(0)
	v_mul_f32_e32 v35, v30, v118
	buffer_load_dword v222, off, s[0:3], 0 offset:312
	buffer_load_dword v223, off, s[0:3], 0 offset:316
	v_fmac_f32_e32 v35, v31, v62
	v_add_f32_e32 v64, v34, v35
	ds_read2_b64 v[34:37], v44 offset0:81 offset1:82
	buffer_load_dword v224, off, s[0:3], 0 offset:320
	buffer_load_dword v225, off, s[0:3], 0 offset:324
	buffer_load_dword v226, off, s[0:3], 0 offset:328
	buffer_load_dword v227, off, s[0:3], 0 offset:332
	s_waitcnt vmcnt(38)
	v_mul_f32_e32 v65, v32, v143
	v_fmac_f32_e32 v65, v33, v142
	v_add_f32_e32 v68, v64, v65
	ds_read2_b64 v[64:67], v44 offset0:83 offset1:84
	buffer_load_dword v228, off, s[0:3], 0 offset:336
	buffer_load_dword v229, off, s[0:3], 0 offset:340
	;; [unrolled: 1-line block ×10, first 2 shown]
	s_waitcnt vmcnt(46) lgkmcnt(1)
	v_mul_f32_e32 v69, v34, v145
	v_fmac_f32_e32 v69, v35, v144
	v_add_f32_e32 v68, v68, v69
	s_waitcnt vmcnt(44)
	v_mul_f32_e32 v69, v36, v147
	v_fmac_f32_e32 v69, v37, v146
	v_add_f32_e32 v68, v68, v69
	s_waitcnt vmcnt(42) lgkmcnt(0)
	v_mul_f32_e32 v69, v64, v149
	v_fmac_f32_e32 v69, v65, v148
	v_add_f32_e32 v72, v68, v69
	buffer_load_dword v238, off, s[0:3], 0 offset:376
	buffer_load_dword v239, off, s[0:3], 0 offset:380
	;; [unrolled: 1-line block ×6, first 2 shown]
	ds_read2_b64 v[68:71], v44 offset0:85 offset1:86
	s_waitcnt vmcnt(46)
	v_mul_f32_e32 v73, v66, v151
	v_fmac_f32_e32 v73, v67, v150
	v_add_f32_e32 v76, v72, v73
	ds_read2_b64 v[72:75], v44 offset0:87 offset1:88
	s_waitcnt vmcnt(44) lgkmcnt(1)
	v_mul_f32_e32 v77, v68, v153
	v_fmac_f32_e32 v77, v69, v152
	v_add_f32_e32 v76, v76, v77
	s_waitcnt vmcnt(42)
	v_mul_f32_e32 v77, v70, v155
	v_fmac_f32_e32 v77, v71, v154
	v_add_f32_e32 v76, v76, v77
	s_waitcnt vmcnt(40) lgkmcnt(0)
	v_mul_f32_e32 v77, v72, v157
	v_fmac_f32_e32 v77, v73, v156
	v_add_f32_e32 v80, v76, v77
	ds_read2_b64 v[76:79], v44 offset0:89 offset1:90
	s_waitcnt vmcnt(38)
	v_mul_f32_e32 v81, v74, v159
	v_fmac_f32_e32 v81, v75, v158
	v_add_f32_e32 v84, v80, v81
	ds_read2_b64 v[80:83], v44 offset0:91 offset1:92
	v_mul_f32_e32 v23, v23, v46
	v_fma_f32 v22, v22, v116, -v23
	v_mul_f32_e32 v23, v25, v45
	v_add_f32_e32 v22, 0, v22
	v_fma_f32 v23, v24, v61, -v23
	v_mul_f32_e32 v19, v19, v47
	v_add_f32_e32 v22, v22, v23
	;; [unrolled: 3-line block ×6, first 2 shown]
	v_fma_f32 v10, v10, v55, -v11
	s_waitcnt vmcnt(36) lgkmcnt(1)
	v_mul_f32_e32 v85, v76, v161
	v_fmac_f32_e32 v85, v77, v160
	v_add_f32_e32 v84, v84, v85
	s_waitcnt vmcnt(34)
	v_mul_f32_e32 v85, v78, v163
	v_fmac_f32_e32 v85, v79, v162
	v_add_f32_e32 v84, v84, v85
	s_waitcnt vmcnt(32) lgkmcnt(0)
	v_mul_f32_e32 v85, v80, v165
	v_fmac_f32_e32 v85, v81, v164
	v_add_f32_e32 v88, v84, v85
	ds_read2_b64 v[84:87], v44 offset0:93 offset1:94
	s_waitcnt vmcnt(30)
	v_mul_f32_e32 v89, v82, v167
	v_fmac_f32_e32 v89, v83, v166
	v_add_f32_e32 v92, v88, v89
	ds_read2_b64 v[88:91], v44 offset0:95 offset1:96
	s_waitcnt vmcnt(28) lgkmcnt(1)
	v_mul_f32_e32 v93, v84, v169
	v_fmac_f32_e32 v93, v85, v168
	v_add_f32_e32 v92, v92, v93
	s_waitcnt vmcnt(26)
	v_mul_f32_e32 v93, v86, v217
	v_fmac_f32_e32 v93, v87, v216
	v_add_f32_e32 v92, v92, v93
	s_waitcnt vmcnt(24) lgkmcnt(0)
	v_mul_f32_e32 v93, v88, v219
	v_fmac_f32_e32 v93, v89, v218
	v_add_f32_e32 v96, v92, v93
	ds_read2_b64 v[92:95], v44 offset0:97 offset1:98
	s_waitcnt vmcnt(22)
	v_mul_f32_e32 v97, v90, v221
	v_fmac_f32_e32 v97, v91, v220
	v_add_f32_e32 v100, v96, v97
	ds_read2_b64 v[96:99], v44 offset0:99 offset1:100
	;; [unrolled: 18-line block ×3, first 2 shown]
	s_waitcnt vmcnt(12) lgkmcnt(1)
	v_mul_f32_e32 v109, v100, v231
	v_fmac_f32_e32 v109, v101, v230
	v_add_f32_e32 v108, v108, v109
	s_waitcnt vmcnt(10)
	v_mul_f32_e32 v109, v102, v233
	v_fmac_f32_e32 v109, v103, v232
	v_add_f32_e32 v108, v108, v109
	s_waitcnt vmcnt(8) lgkmcnt(0)
	v_mul_f32_e32 v109, v104, v235
	v_fmac_f32_e32 v109, v105, v234
	s_waitcnt vmcnt(6)
	v_mul_f32_e32 v113, v106, v237
	v_add_f32_e32 v112, v108, v109
	v_fmac_f32_e32 v113, v107, v236
	ds_read2_b64 v[108:111], v44 offset0:105 offset1:106
	v_add_f32_e32 v117, v112, v113
	ds_read2_b64 v[112:115], v44 offset0:107 offset1:108
	buffer_load_dword v123, off, s[0:3], 0 offset:428
	buffer_load_dword v122, off, s[0:3], 0 offset:424
	;; [unrolled: 1-line block ×16, first 2 shown]
	v_mul_f32_e32 v11, v13, v48
	v_add_f32_e32 v10, v14, v10
	v_fma_f32 v11, v12, v59, -v11
	v_mul_f32_e32 v7, v7, v49
	v_add_f32_e32 v10, v10, v11
	v_fma_f32 v6, v6, v56, -v7
	;; [unrolled: 3-line block ×5, first 2 shown]
	v_add_f32_e32 v2, v2, v3
	v_mul_f32_e32 v3, v27, v140
	v_fma_f32 v3, v26, v138, -v3
	v_add_f32_e32 v2, v2, v3
	v_mul_f32_e32 v3, v29, v141
	v_fma_f32 v3, v28, v120, -v3
	;; [unrolled: 3-line block ×28, first 2 shown]
	v_add_f32_e32 v2, v2, v3
	s_waitcnt vmcnt(20) lgkmcnt(1)
	v_mul_f32_e32 v3, v109, v239
	v_mul_f32_e32 v119, v108, v239
	v_fma_f32 v3, v108, v238, -v3
	v_fmac_f32_e32 v119, v109, v238
	v_add_f32_e32 v116, v2, v3
	s_waitcnt vmcnt(18)
	v_mul_f32_e32 v2, v111, v241
	s_waitcnt vmcnt(9)
	v_mov_b32_e32 v18, v129
	v_add_f32_e32 v117, v117, v119
	v_mul_f32_e32 v119, v110, v241
	v_fma_f32 v118, v110, v240, -v2
	s_waitcnt lgkmcnt(0)
	v_mul_f32_e32 v2, v113, v243
	v_pk_mul_f32 v[18:19], v[114:115], v[18:19] op_sel_hi:[1,0]
	v_fmac_f32_e32 v119, v111, v240
	v_mul_f32_e32 v121, v112, v243
	v_fma_f32 v120, v112, v242, -v2
	ds_read2_b64 v[2:5], v44 offset0:109 offset1:110
	ds_read2_b64 v[6:9], v44 offset0:111 offset1:112
	;; [unrolled: 1-line block ×3, first 2 shown]
	ds_read_b64 v[14:15], v44 offset:920
	s_waitcnt vmcnt(8)
	v_pk_fma_f32 v[20:21], v[114:115], v[128:129], v[18:19] op_sel:[0,0,1] op_sel_hi:[1,1,0] neg_lo:[0,0,1] neg_hi:[0,0,1]
	v_pk_fma_f32 v[18:19], v[114:115], v[128:129], v[18:19] op_sel:[0,0,1] op_sel_hi:[1,0,0]
	v_fmac_f32_e32 v121, v113, v242
	v_pk_add_f32 v[16:17], v[116:117], v[118:119]
	v_mov_b32_e32 v18, v127
	v_pk_add_f32 v[16:17], v[16:17], v[120:121]
	v_mov_b32_e32 v21, v19
	s_waitcnt lgkmcnt(3)
	v_pk_mul_f32 v[18:19], v[2:3], v[18:19] op_sel_hi:[1,0]
	v_pk_add_f32 v[16:17], v[16:17], v[20:21]
	v_pk_fma_f32 v[20:21], v[2:3], v[126:127], v[18:19] op_sel:[0,0,1] op_sel_hi:[1,1,0] neg_lo:[0,0,1] neg_hi:[0,0,1]
	v_pk_fma_f32 v[2:3], v[2:3], v[126:127], v[18:19] op_sel:[0,0,1] op_sel_hi:[1,0,0]
	v_mov_b32_e32 v21, v3
	v_pk_add_f32 v[2:3], v[16:17], v[20:21]
	v_mov_b32_e32 v16, v125
	v_pk_mul_f32 v[16:17], v[4:5], v[16:17] op_sel_hi:[1,0]
	v_pk_fma_f32 v[18:19], v[4:5], v[124:125], v[16:17] op_sel:[0,0,1] op_sel_hi:[1,1,0] neg_lo:[0,0,1] neg_hi:[0,0,1]
	v_pk_fma_f32 v[4:5], v[4:5], v[124:125], v[16:17] op_sel:[0,0,1] op_sel_hi:[1,0,0]
	v_mov_b32_e32 v4, v123
	v_mov_b32_e32 v19, v5
	s_waitcnt lgkmcnt(2)
	v_pk_mul_f32 v[4:5], v[6:7], v[4:5] op_sel_hi:[1,0]
	v_pk_fma_f32 v[16:17], v[6:7], v[122:123], v[4:5] op_sel:[0,0,1] op_sel_hi:[1,1,0] neg_lo:[0,0,1] neg_hi:[0,0,1]
	v_pk_fma_f32 v[4:5], v[6:7], v[122:123], v[4:5] op_sel:[0,0,1] op_sel_hi:[1,0,0]
	s_waitcnt vmcnt(1)
	v_mov_b32_e32 v4, v137
	v_mov_b32_e32 v17, v5
	v_pk_mul_f32 v[4:5], v[8:9], v[4:5] op_sel_hi:[1,0]
	s_waitcnt vmcnt(0)
	v_pk_fma_f32 v[6:7], v[8:9], v[136:137], v[4:5] op_sel:[0,0,1] op_sel_hi:[1,1,0] neg_lo:[0,0,1] neg_hi:[0,0,1]
	v_pk_fma_f32 v[4:5], v[8:9], v[136:137], v[4:5] op_sel:[0,0,1] op_sel_hi:[1,0,0]
	v_pk_add_f32 v[2:3], v[2:3], v[18:19]
	v_mov_b32_e32 v4, v135
	v_pk_add_f32 v[2:3], v[2:3], v[16:17]
	v_mov_b32_e32 v7, v5
	s_waitcnt lgkmcnt(1)
	v_pk_mul_f32 v[4:5], v[10:11], v[4:5] op_sel_hi:[1,0]
	v_pk_add_f32 v[2:3], v[2:3], v[6:7]
	v_pk_fma_f32 v[6:7], v[10:11], v[134:135], v[4:5] op_sel:[0,0,1] op_sel_hi:[1,1,0] neg_lo:[0,0,1] neg_hi:[0,0,1]
	v_pk_fma_f32 v[4:5], v[10:11], v[134:135], v[4:5] op_sel:[0,0,1] op_sel_hi:[1,0,0]
	v_mov_b32_e32 v4, v133
	v_mov_b32_e32 v7, v5
	v_pk_mul_f32 v[4:5], v[12:13], v[4:5] op_sel_hi:[1,0]
	v_pk_add_f32 v[2:3], v[2:3], v[6:7]
	v_pk_fma_f32 v[6:7], v[12:13], v[132:133], v[4:5] op_sel:[0,0,1] op_sel_hi:[1,1,0] neg_lo:[0,0,1] neg_hi:[0,0,1]
	v_pk_fma_f32 v[4:5], v[12:13], v[132:133], v[4:5] op_sel:[0,0,1] op_sel_hi:[1,0,0]
	v_mov_b32_e32 v4, v131
	v_mov_b32_e32 v7, v5
	s_waitcnt lgkmcnt(0)
	v_pk_mul_f32 v[4:5], v[14:15], v[4:5] op_sel_hi:[1,0]
	v_pk_add_f32 v[2:3], v[2:3], v[6:7]
	v_pk_fma_f32 v[6:7], v[14:15], v[130:131], v[4:5] op_sel:[0,0,1] op_sel_hi:[1,1,0] neg_lo:[0,0,1] neg_hi:[0,0,1]
	v_pk_fma_f32 v[4:5], v[14:15], v[130:131], v[4:5] op_sel:[0,0,1] op_sel_hi:[1,0,0]
	v_mov_b32_e32 v7, v5
	v_pk_add_f32 v[2:3], v[2:3], v[6:7]
	v_pk_add_f32 v[2:3], v[38:39], v[2:3] neg_lo:[0,1] neg_hi:[0,1]
	buffer_store_dword v3, off, s[0:3], 0 offset:52
	buffer_store_dword v2, off, s[0:3], 0 offset:48
	s_and_saveexec_b64 s[4:5], vcc
	s_cbranch_execz .LBB57_351
; %bb.350:
	buffer_load_dword v2, off, s[0:3], 0 offset:40
	buffer_load_dword v3, off, s[0:3], 0 offset:44
	s_waitcnt vmcnt(0)
	ds_write_b64 v175, v[2:3]
	buffer_store_dword v44, off, s[0:3], 0 offset:40
	buffer_store_dword v44, off, s[0:3], 0 offset:44
.LBB57_351:
	s_or_b64 exec, exec, s[4:5]
	s_waitcnt lgkmcnt(0)
	; wave barrier
	s_waitcnt lgkmcnt(0)
	buffer_load_dword v50, off, s[0:3], 0 offset:52
	buffer_load_dword v49, off, s[0:3], 0 offset:60
	;; [unrolled: 1-line block ×32, first 2 shown]
	ds_read_b128 v[26:29], v44 offset:512
	ds_read_b128 v[22:25], v44 offset:528
	;; [unrolled: 1-line block ×4, first 2 shown]
	buffer_load_dword v142, off, s[0:3], 0 offset:168
	buffer_load_dword v143, off, s[0:3], 0 offset:172
	ds_read_b128 v[14:17], v44 offset:576
	ds_read_b128 v[6:9], v44 offset:592
	;; [unrolled: 1-line block ×3, first 2 shown]
	buffer_load_dword v144, off, s[0:3], 0 offset:176
	buffer_load_dword v145, off, s[0:3], 0 offset:180
	buffer_load_dword v146, off, s[0:3], 0 offset:184
	buffer_load_dword v147, off, s[0:3], 0 offset:188
	buffer_load_dword v148, off, s[0:3], 0 offset:192
	buffer_load_dword v149, off, s[0:3], 0 offset:196
	buffer_load_dword v150, off, s[0:3], 0 offset:200
	buffer_load_dword v151, off, s[0:3], 0 offset:204
	buffer_load_dword v152, off, s[0:3], 0 offset:208
	buffer_load_dword v153, off, s[0:3], 0 offset:212
	buffer_load_dword v154, off, s[0:3], 0 offset:216
	buffer_load_dword v155, off, s[0:3], 0 offset:220
	buffer_load_dword v156, off, s[0:3], 0 offset:224
	buffer_load_dword v157, off, s[0:3], 0 offset:228
	buffer_load_dword v158, off, s[0:3], 0 offset:232
	buffer_load_dword v159, off, s[0:3], 0 offset:236
	v_cmp_lt_u32_e32 vcc, 4, v0
	s_waitcnt vmcnt(49) lgkmcnt(6)
	v_mul_f32_e32 v30, v26, v50
	s_waitcnt vmcnt(48)
	v_mul_f32_e32 v31, v28, v49
	s_waitcnt vmcnt(47) lgkmcnt(5)
	v_mul_f32_e32 v33, v24, v48
	s_waitcnt vmcnt(46) lgkmcnt(4)
	v_mul_f32_e32 v34, v18, v47
	s_waitcnt vmcnt(45)
	v_mul_f32_e32 v35, v20, v45
	s_waitcnt vmcnt(44)
	v_mul_f32_e32 v32, v22, v51
	s_waitcnt vmcnt(43) lgkmcnt(3)
	v_mul_f32_e32 v36, v10, v46
	s_waitcnt vmcnt(42)
	v_mul_f32_e32 v37, v12, v52
	s_waitcnt vmcnt(41) lgkmcnt(2)
	;; [unrolled: 4-line block ×3, first 2 shown]
	v_mul_f32_e32 v40, v6, v55
	s_waitcnt vmcnt(38)
	v_mul_f32_e32 v41, v8, v56
	s_waitcnt vmcnt(37)
	v_fmac_f32_e32 v32, v23, v62
	s_waitcnt vmcnt(36)
	v_fmac_f32_e32 v31, v29, v65
	s_waitcnt vmcnt(35)
	v_fmac_f32_e32 v30, v27, v116
	v_add_f32_e32 v30, 0, v30
	v_add_f32_e32 v30, v30, v31
	;; [unrolled: 1-line block ×3, first 2 shown]
	s_waitcnt vmcnt(31)
	v_fmac_f32_e32 v33, v25, v66
	v_fmac_f32_e32 v34, v19, v64
	v_add_f32_e32 v30, v30, v33
	v_fmac_f32_e32 v35, v21, v61
	v_add_f32_e32 v30, v30, v34
	;; [unrolled: 2-line block ×3, first 2 shown]
	s_waitcnt vmcnt(27)
	v_fmac_f32_e32 v37, v13, v63
	v_add_f32_e32 v30, v30, v36
	v_fmac_f32_e32 v38, v15, v60
	v_add_f32_e32 v30, v30, v37
	;; [unrolled: 2-line block ×4, first 2 shown]
	s_waitcnt vmcnt(23)
	v_fmac_f32_e32 v41, v9, v138
	v_add_f32_e32 v30, v30, v40
	v_add_f32_e32 v34, v30, v41
	ds_read_b128 v[30:33], v44 offset:624
	buffer_load_dword v160, off, s[0:3], 0 offset:240
	buffer_load_dword v161, off, s[0:3], 0 offset:244
	;; [unrolled: 1-line block ×12, first 2 shown]
	s_waitcnt vmcnt(34) lgkmcnt(1)
	v_mul_f32_e32 v35, v2, v139
	v_fmac_f32_e32 v35, v3, v126
	buffer_load_dword v218, off, s[0:3], 0 offset:288
	buffer_load_dword v219, off, s[0:3], 0 offset:292
	v_add_f32_e32 v34, v34, v35
	s_waitcnt vmcnt(35)
	v_mul_f32_e32 v35, v4, v140
	v_fmac_f32_e32 v35, v5, v118
	v_add_f32_e32 v34, v34, v35
	s_waitcnt vmcnt(34) lgkmcnt(0)
	v_mul_f32_e32 v35, v30, v141
	v_fmac_f32_e32 v35, v31, v67
	buffer_load_dword v220, off, s[0:3], 0 offset:296
	buffer_load_dword v221, off, s[0:3], 0 offset:300
	v_add_f32_e32 v34, v34, v35
	s_waitcnt vmcnt(32)
	v_mul_f32_e32 v35, v32, v143
	v_fmac_f32_e32 v35, v33, v142
	v_add_f32_e32 v68, v34, v35
	ds_read_b128 v[34:37], v44 offset:640
	buffer_load_dword v222, off, s[0:3], 0 offset:304
	buffer_load_dword v223, off, s[0:3], 0 offset:308
	ds_read_b128 v[38:41], v44 offset:656
	buffer_load_dword v224, off, s[0:3], 0 offset:312
	buffer_load_dword v225, off, s[0:3], 0 offset:316
	;; [unrolled: 1-line block ×14, first 2 shown]
	s_waitcnt vmcnt(46) lgkmcnt(1)
	v_mul_f32_e32 v69, v34, v145
	v_fmac_f32_e32 v69, v35, v144
	v_add_f32_e32 v68, v68, v69
	s_waitcnt vmcnt(44)
	v_mul_f32_e32 v69, v36, v147
	v_fmac_f32_e32 v69, v37, v146
	v_add_f32_e32 v68, v68, v69
	s_waitcnt vmcnt(42) lgkmcnt(0)
	v_mul_f32_e32 v69, v38, v149
	v_fmac_f32_e32 v69, v39, v148
	v_add_f32_e32 v72, v68, v69
	buffer_load_dword v238, off, s[0:3], 0 offset:368
	buffer_load_dword v239, off, s[0:3], 0 offset:372
	ds_read_b128 v[68:71], v44 offset:672
	s_waitcnt vmcnt(42)
	v_mul_f32_e32 v73, v40, v151
	v_fmac_f32_e32 v73, v41, v150
	buffer_load_dword v240, off, s[0:3], 0 offset:376
	buffer_load_dword v241, off, s[0:3], 0 offset:380
	v_add_f32_e32 v76, v72, v73
	buffer_load_dword v242, off, s[0:3], 0 offset:384
	buffer_load_dword v243, off, s[0:3], 0 offset:388
	ds_read_b128 v[72:75], v44 offset:688
	s_waitcnt vmcnt(44) lgkmcnt(1)
	v_mul_f32_e32 v77, v68, v153
	v_fmac_f32_e32 v77, v69, v152
	v_add_f32_e32 v76, v76, v77
	s_waitcnt vmcnt(42)
	v_mul_f32_e32 v77, v70, v155
	v_fmac_f32_e32 v77, v71, v154
	v_add_f32_e32 v76, v76, v77
	s_waitcnt vmcnt(40) lgkmcnt(0)
	v_mul_f32_e32 v77, v72, v157
	v_fmac_f32_e32 v77, v73, v156
	buffer_load_dword v244, off, s[0:3], 0 offset:392
	buffer_load_dword v245, off, s[0:3], 0 offset:396
	v_add_f32_e32 v80, v76, v77
	ds_read_b128 v[76:79], v44 offset:704
	s_waitcnt vmcnt(40)
	v_mul_f32_e32 v81, v74, v159
	v_fmac_f32_e32 v81, v75, v158
	v_add_f32_e32 v84, v80, v81
	ds_read_b128 v[80:83], v44 offset:720
	v_mul_f32_e32 v27, v27, v50
	v_fma_f32 v26, v26, v116, -v27
	v_mul_f32_e32 v27, v29, v49
	v_add_f32_e32 v26, 0, v26
	v_fma_f32 v27, v28, v65, -v27
	v_mul_f32_e32 v23, v23, v51
	v_add_f32_e32 v26, v26, v27
	v_fma_f32 v22, v22, v62, -v23
	v_mul_f32_e32 v23, v25, v48
	v_add_f32_e32 v22, v26, v22
	v_fma_f32 v23, v24, v66, -v23
	v_mul_f32_e32 v19, v19, v47
	v_add_f32_e32 v22, v22, v23
	v_fma_f32 v18, v18, v64, -v19
	v_mul_f32_e32 v19, v21, v45
	v_add_f32_e32 v18, v22, v18
	v_fma_f32 v19, v20, v61, -v19
	v_mul_f32_e32 v11, v11, v46
	s_waitcnt vmcnt(38) lgkmcnt(1)
	v_mul_f32_e32 v85, v76, v161
	v_fmac_f32_e32 v85, v77, v160
	v_add_f32_e32 v84, v84, v85
	s_waitcnt vmcnt(36)
	v_mul_f32_e32 v85, v78, v163
	v_fmac_f32_e32 v85, v79, v162
	v_add_f32_e32 v84, v84, v85
	s_waitcnt vmcnt(34) lgkmcnt(0)
	v_mul_f32_e32 v85, v80, v165
	v_fmac_f32_e32 v85, v81, v164
	v_add_f32_e32 v88, v84, v85
	ds_read_b128 v[84:87], v44 offset:736
	s_waitcnt vmcnt(32)
	v_mul_f32_e32 v89, v82, v167
	v_fmac_f32_e32 v89, v83, v166
	v_add_f32_e32 v92, v88, v89
	ds_read_b128 v[88:91], v44 offset:752
	s_waitcnt vmcnt(30) lgkmcnt(1)
	v_mul_f32_e32 v93, v84, v169
	v_fmac_f32_e32 v93, v85, v168
	v_add_f32_e32 v92, v92, v93
	s_waitcnt vmcnt(28)
	v_mul_f32_e32 v93, v86, v217
	v_fmac_f32_e32 v93, v87, v216
	v_add_f32_e32 v92, v92, v93
	s_waitcnt vmcnt(26) lgkmcnt(0)
	v_mul_f32_e32 v93, v88, v219
	v_fmac_f32_e32 v93, v89, v218
	v_add_f32_e32 v96, v92, v93
	ds_read_b128 v[92:95], v44 offset:768
	s_waitcnt vmcnt(24)
	v_mul_f32_e32 v97, v90, v221
	v_fmac_f32_e32 v97, v91, v220
	v_add_f32_e32 v100, v96, v97
	ds_read_b128 v[96:99], v44 offset:784
	;; [unrolled: 18-line block ×3, first 2 shown]
	s_waitcnt vmcnt(14) lgkmcnt(1)
	v_mul_f32_e32 v109, v100, v231
	v_fmac_f32_e32 v109, v101, v230
	v_add_f32_e32 v108, v108, v109
	s_waitcnt vmcnt(12)
	v_mul_f32_e32 v109, v102, v233
	v_fmac_f32_e32 v109, v103, v232
	v_add_f32_e32 v108, v108, v109
	s_waitcnt vmcnt(10) lgkmcnt(0)
	v_mul_f32_e32 v109, v104, v235
	v_fmac_f32_e32 v109, v105, v234
	s_waitcnt vmcnt(8)
	v_mul_f32_e32 v113, v106, v237
	v_add_f32_e32 v112, v108, v109
	v_fmac_f32_e32 v113, v107, v236
	ds_read_b128 v[108:111], v44 offset:832
	v_add_f32_e32 v117, v112, v113
	ds_read_b128 v[112:115], v44 offset:848
	buffer_load_dword v121, off, s[0:3], 0 offset:420
	buffer_load_dword v120, off, s[0:3], 0 offset:416
	;; [unrolled: 1-line block ×6, first 2 shown]
	v_add_f32_e32 v18, v18, v19
	v_fma_f32 v10, v10, v59, -v11
	v_mul_f32_e32 v11, v13, v52
	v_add_f32_e32 v10, v18, v10
	v_fma_f32 v11, v12, v63, -v11
	buffer_load_dword v129, off, s[0:3], 0 offset:452
	buffer_load_dword v128, off, s[0:3], 0 offset:448
	;; [unrolled: 1-line block ×10, first 2 shown]
	v_add_f32_e32 v10, v10, v11
	v_mul_f32_e32 v11, v15, v53
	v_fma_f32 v11, v14, v60, -v11
	v_add_f32_e32 v10, v10, v11
	v_mul_f32_e32 v11, v17, v54
	v_fma_f32 v11, v16, v58, -v11
	v_mul_f32_e32 v7, v7, v55
	v_add_f32_e32 v10, v10, v11
	v_fma_f32 v6, v6, v57, -v7
	v_mul_f32_e32 v7, v9, v56
	v_add_f32_e32 v6, v10, v6
	;; [unrolled: 3-line block ×4, first 2 shown]
	v_fma_f32 v3, v4, v118, -v3
	v_add_f32_e32 v2, v2, v3
	v_mul_f32_e32 v3, v31, v141
	v_fma_f32 v3, v30, v67, -v3
	v_add_f32_e32 v2, v2, v3
	v_mul_f32_e32 v3, v33, v143
	;; [unrolled: 3-line block ×26, first 2 shown]
	v_fma_f32 v3, v106, v236, -v3
	v_add_f32_e32 v2, v2, v3
	s_waitcnt vmcnt(22) lgkmcnt(1)
	v_mul_f32_e32 v3, v109, v239
	v_fma_f32 v3, v108, v238, -v3
	v_add_f32_e32 v2, v2, v3
	s_waitcnt vmcnt(20)
	v_mul_f32_e32 v3, v111, v241
	v_mul_f32_e32 v119, v108, v239
	v_fma_f32 v3, v110, v240, -v3
	v_fmac_f32_e32 v119, v109, v238
	v_add_f32_e32 v116, v2, v3
	s_waitcnt vmcnt(18) lgkmcnt(0)
	v_mul_f32_e32 v2, v113, v243
	v_add_f32_e32 v117, v117, v119
	v_mul_f32_e32 v119, v110, v241
	v_fma_f32 v118, v112, v242, -v2
	s_waitcnt vmcnt(16)
	v_mul_f32_e32 v2, v115, v245
	v_fmac_f32_e32 v119, v111, v240
	v_fma_f32 v126, v114, v244, -v2
	ds_read_b128 v[2:5], v44 offset:864
	ds_read_b128 v[6:9], v44 offset:880
	;; [unrolled: 1-line block ×4, first 2 shown]
	v_add_f32_e32 v117, v117, v119
	v_mul_f32_e32 v119, v112, v243
	s_waitcnt vmcnt(11)
	v_mov_b32_e32 v20, v125
	v_fmac_f32_e32 v119, v113, v242
	v_mul_f32_e32 v127, v114, v245
	s_waitcnt lgkmcnt(3)
	v_pk_mul_f32 v[20:21], v[2:3], v[20:21] op_sel_hi:[1,0]
	v_fmac_f32_e32 v127, v115, v244
	v_pk_add_f32 v[18:19], v[116:117], v[118:119]
	s_waitcnt vmcnt(10)
	v_pk_fma_f32 v[22:23], v[2:3], v[124:125], v[20:21] op_sel:[0,0,1] op_sel_hi:[1,1,0] neg_lo:[0,0,1] neg_hi:[0,0,1]
	v_pk_fma_f32 v[2:3], v[2:3], v[124:125], v[20:21] op_sel:[0,0,1] op_sel_hi:[1,0,0]
	v_pk_add_f32 v[18:19], v[18:19], v[126:127]
	v_mov_b32_e32 v23, v3
	v_pk_add_f32 v[2:3], v[18:19], v[22:23]
	v_mov_b32_e32 v18, v123
	v_pk_mul_f32 v[18:19], v[4:5], v[18:19] op_sel_hi:[1,0]
	v_pk_fma_f32 v[20:21], v[4:5], v[122:123], v[18:19] op_sel:[0,0,1] op_sel_hi:[1,1,0] neg_lo:[0,0,1] neg_hi:[0,0,1]
	v_pk_fma_f32 v[4:5], v[4:5], v[122:123], v[18:19] op_sel:[0,0,1] op_sel_hi:[1,0,0]
	v_mov_b32_e32 v4, v121
	v_mov_b32_e32 v21, v5
	s_waitcnt lgkmcnt(2)
	v_pk_mul_f32 v[4:5], v[6:7], v[4:5] op_sel_hi:[1,0]
	v_pk_fma_f32 v[18:19], v[6:7], v[120:121], v[4:5] op_sel:[0,0,1] op_sel_hi:[1,1,0] neg_lo:[0,0,1] neg_hi:[0,0,1]
	v_pk_fma_f32 v[4:5], v[6:7], v[120:121], v[4:5] op_sel:[0,0,1] op_sel_hi:[1,0,0]
	s_waitcnt vmcnt(3)
	v_mov_b32_e32 v4, v135
	v_mov_b32_e32 v19, v5
	v_pk_mul_f32 v[4:5], v[8:9], v[4:5] op_sel_hi:[1,0]
	s_waitcnt vmcnt(2)
	v_pk_fma_f32 v[6:7], v[8:9], v[134:135], v[4:5] op_sel:[0,0,1] op_sel_hi:[1,1,0] neg_lo:[0,0,1] neg_hi:[0,0,1]
	v_pk_fma_f32 v[4:5], v[8:9], v[134:135], v[4:5] op_sel:[0,0,1] op_sel_hi:[1,0,0]
	v_pk_add_f32 v[2:3], v[2:3], v[20:21]
	v_mov_b32_e32 v4, v133
	v_pk_add_f32 v[2:3], v[2:3], v[18:19]
	v_mov_b32_e32 v7, v5
	s_waitcnt lgkmcnt(1)
	v_pk_mul_f32 v[4:5], v[10:11], v[4:5] op_sel_hi:[1,0]
	v_pk_add_f32 v[2:3], v[2:3], v[6:7]
	v_pk_fma_f32 v[6:7], v[10:11], v[132:133], v[4:5] op_sel:[0,0,1] op_sel_hi:[1,1,0] neg_lo:[0,0,1] neg_hi:[0,0,1]
	v_pk_fma_f32 v[4:5], v[10:11], v[132:133], v[4:5] op_sel:[0,0,1] op_sel_hi:[1,0,0]
	v_mov_b32_e32 v4, v131
	v_mov_b32_e32 v7, v5
	v_pk_mul_f32 v[4:5], v[12:13], v[4:5] op_sel_hi:[1,0]
	v_pk_add_f32 v[2:3], v[2:3], v[6:7]
	v_pk_fma_f32 v[6:7], v[12:13], v[130:131], v[4:5] op_sel:[0,0,1] op_sel_hi:[1,1,0] neg_lo:[0,0,1] neg_hi:[0,0,1]
	v_pk_fma_f32 v[4:5], v[12:13], v[130:131], v[4:5] op_sel:[0,0,1] op_sel_hi:[1,0,0]
	v_mov_b32_e32 v4, v129
	v_mov_b32_e32 v7, v5
	s_waitcnt lgkmcnt(0)
	v_pk_mul_f32 v[4:5], v[14:15], v[4:5] op_sel_hi:[1,0]
	v_pk_add_f32 v[2:3], v[2:3], v[6:7]
	v_pk_fma_f32 v[6:7], v[14:15], v[128:129], v[4:5] op_sel:[0,0,1] op_sel_hi:[1,1,0] neg_lo:[0,0,1] neg_hi:[0,0,1]
	v_pk_fma_f32 v[4:5], v[14:15], v[128:129], v[4:5] op_sel:[0,0,1] op_sel_hi:[1,0,0]
	s_waitcnt vmcnt(1)
	v_mov_b32_e32 v4, v137
	v_mov_b32_e32 v7, v5
	v_pk_mul_f32 v[4:5], v[16:17], v[4:5] op_sel_hi:[1,0]
	v_pk_add_f32 v[2:3], v[2:3], v[6:7]
	s_waitcnt vmcnt(0)
	v_pk_fma_f32 v[6:7], v[16:17], v[136:137], v[4:5] op_sel:[0,0,1] op_sel_hi:[1,1,0] neg_lo:[0,0,1] neg_hi:[0,0,1]
	v_pk_fma_f32 v[4:5], v[16:17], v[136:137], v[4:5] op_sel:[0,0,1] op_sel_hi:[1,0,0]
	v_mov_b32_e32 v7, v5
	v_pk_add_f32 v[2:3], v[2:3], v[6:7]
	v_pk_add_f32 v[2:3], v[42:43], v[2:3] neg_lo:[0,1] neg_hi:[0,1]
	buffer_store_dword v3, off, s[0:3], 0 offset:44
	buffer_store_dword v2, off, s[0:3], 0 offset:40
	s_and_saveexec_b64 s[4:5], vcc
	s_cbranch_execz .LBB57_353
; %bb.352:
	buffer_load_dword v2, off, s[0:3], 0 offset:32
	buffer_load_dword v3, off, s[0:3], 0 offset:36
	v_mov_b32_e32 v4, 0
	buffer_store_dword v4, off, s[0:3], 0 offset:32
	buffer_store_dword v4, off, s[0:3], 0 offset:36
	s_waitcnt vmcnt(2)
	ds_write_b64 v175, v[2:3]
.LBB57_353:
	s_or_b64 exec, exec, s[4:5]
	v_mov_b32_e32 v234, 0
	s_waitcnt lgkmcnt(0)
	; wave barrier
	s_waitcnt lgkmcnt(0)
	ds_read2_b64 v[2:5], v234 offset0:63 offset1:64
	buffer_load_dword v94, off, s[0:3], 0 offset:32
	buffer_load_dword v95, off, s[0:3], 0 offset:36
	;; [unrolled: 1-line block ×16, first 2 shown]
	v_cmp_lt_u32_e32 vcc, 3, v0
	s_waitcnt vmcnt(12) lgkmcnt(0)
	v_mul_f32_e32 v6, v2, v235
	v_fmac_f32_e32 v6, v3, v96
	s_waitcnt vmcnt(10)
	v_mul_f32_e32 v7, v4, v237
	v_add_f32_e32 v6, 0, v6
	v_fmac_f32_e32 v7, v5, v98
	v_add_f32_e32 v10, v6, v7
	ds_read2_b64 v[6:9], v234 offset0:65 offset1:66
	v_mul_f32_e32 v3, v3, v235
	v_fma_f32 v2, v2, v96, -v3
	v_mul_f32_e32 v3, v5, v237
	v_add_f32_e32 v2, 0, v2
	s_waitcnt vmcnt(8) lgkmcnt(0)
	v_mul_f32_e32 v11, v6, v239
	v_fmac_f32_e32 v11, v7, v218
	v_add_f32_e32 v10, v10, v11
	s_waitcnt vmcnt(6)
	v_mul_f32_e32 v11, v8, v241
	v_fmac_f32_e32 v11, v9, v236
	v_add_f32_e32 v14, v10, v11
	ds_read2_b64 v[10:13], v234 offset0:67 offset1:68
	v_fma_f32 v3, v4, v98, -v3
	v_add_f32_e32 v2, v2, v3
	v_mul_f32_e32 v3, v7, v239
	v_fma_f32 v3, v6, v218, -v3
	s_waitcnt vmcnt(4) lgkmcnt(0)
	v_mul_f32_e32 v15, v10, v243
	v_fmac_f32_e32 v15, v11, v238
	v_add_f32_e32 v14, v14, v15
	s_waitcnt vmcnt(2)
	v_mul_f32_e32 v15, v12, v244
	v_fmac_f32_e32 v15, v13, v240
	v_add_f32_e32 v18, v14, v15
	ds_read2_b64 v[14:17], v234 offset0:69 offset1:70
	buffer_load_dword v100, off, s[0:3], 0 offset:96
	buffer_load_dword v101, off, s[0:3], 0 offset:100
	v_add_f32_e32 v2, v2, v3
	v_mul_f32_e32 v3, v9, v241
	v_fma_f32 v3, v8, v236, -v3
	s_waitcnt vmcnt(2) lgkmcnt(0)
	v_mul_f32_e32 v19, v14, v245
	v_fmac_f32_e32 v19, v15, v242
	v_add_f32_e32 v18, v18, v19
	v_add_f32_e32 v2, v2, v3
	v_mul_f32_e32 v3, v11, v243
	v_fma_f32 v3, v10, v238, -v3
	v_add_f32_e32 v2, v2, v3
	v_mul_f32_e32 v3, v13, v244
	v_fma_f32 v3, v12, v240, -v3
	;; [unrolled: 3-line block ×3, first 2 shown]
	v_add_f32_e32 v2, v2, v3
	s_waitcnt vmcnt(0)
	v_mul_f32_e32 v19, v16, v101
	v_fmac_f32_e32 v19, v17, v100
	v_add_f32_e32 v22, v18, v19
	ds_read2_b64 v[18:21], v234 offset0:71 offset1:72
	buffer_load_dword v102, off, s[0:3], 0 offset:104
	buffer_load_dword v103, off, s[0:3], 0 offset:108
	;; [unrolled: 1-line block ×4, first 2 shown]
	v_mul_f32_e32 v3, v17, v101
	v_fma_f32 v3, v16, v100, -v3
	v_add_f32_e32 v2, v2, v3
	s_waitcnt vmcnt(2) lgkmcnt(0)
	v_mul_f32_e32 v23, v18, v103
	v_fmac_f32_e32 v23, v19, v102
	v_add_f32_e32 v22, v22, v23
	s_waitcnt vmcnt(0)
	v_mul_f32_e32 v23, v20, v105
	v_fmac_f32_e32 v23, v21, v104
	v_add_f32_e32 v26, v22, v23
	ds_read2_b64 v[22:25], v234 offset0:73 offset1:74
	buffer_load_dword v106, off, s[0:3], 0 offset:120
	buffer_load_dword v107, off, s[0:3], 0 offset:124
	buffer_load_dword v108, off, s[0:3], 0 offset:128
	buffer_load_dword v109, off, s[0:3], 0 offset:132
	v_mul_f32_e32 v3, v19, v103
	v_fma_f32 v3, v18, v102, -v3
	v_add_f32_e32 v2, v2, v3
	v_mul_f32_e32 v3, v21, v105
	v_fma_f32 v3, v20, v104, -v3
	v_add_f32_e32 v2, v2, v3
	s_waitcnt vmcnt(2) lgkmcnt(0)
	v_mul_f32_e32 v27, v22, v107
	v_fmac_f32_e32 v27, v23, v106
	v_add_f32_e32 v26, v26, v27
	s_waitcnt vmcnt(0)
	v_mul_f32_e32 v27, v24, v109
	v_fmac_f32_e32 v27, v25, v108
	v_add_f32_e32 v30, v26, v27
	ds_read2_b64 v[26:29], v234 offset0:75 offset1:76
	buffer_load_dword v110, off, s[0:3], 0 offset:136
	buffer_load_dword v111, off, s[0:3], 0 offset:140
	buffer_load_dword v112, off, s[0:3], 0 offset:144
	buffer_load_dword v113, off, s[0:3], 0 offset:148
	v_mul_f32_e32 v3, v23, v107
	v_fma_f32 v3, v22, v106, -v3
	v_add_f32_e32 v2, v2, v3
	;; [unrolled: 19-line block ×4, first 2 shown]
	v_mul_f32_e32 v3, v33, v117
	v_fma_f32 v3, v32, v116, -v3
	v_add_f32_e32 v2, v2, v3
	s_waitcnt vmcnt(2) lgkmcnt(0)
	v_mul_f32_e32 v39, v34, v119
	v_fmac_f32_e32 v39, v35, v118
	v_add_f32_e32 v38, v38, v39
	s_waitcnt vmcnt(0)
	v_mul_f32_e32 v39, v36, v121
	v_fmac_f32_e32 v39, v37, v120
	v_add_f32_e32 v42, v38, v39
	ds_read2_b64 v[38:41], v234 offset0:81 offset1:82
	buffer_load_dword v122, off, s[0:3], 0 offset:184
	buffer_load_dword v123, off, s[0:3], 0 offset:188
	buffer_load_dword v124, off, s[0:3], 0 offset:192
	buffer_load_dword v125, off, s[0:3], 0 offset:196
	ds_read2_b64 v[46:49], v234 offset0:83 offset1:84
	buffer_load_dword v126, off, s[0:3], 0 offset:200
	buffer_load_dword v127, off, s[0:3], 0 offset:204
	buffer_load_dword v128, off, s[0:3], 0 offset:208
	buffer_load_dword v129, off, s[0:3], 0 offset:212
	;; [unrolled: 5-line block ×13, first 2 shown]
	v_mul_f32_e32 v3, v35, v119
	v_fma_f32 v3, v34, v118, -v3
	v_add_f32_e32 v2, v2, v3
	v_mul_f32_e32 v3, v37, v121
	v_fma_f32 v3, v36, v120, -v3
	v_add_f32_e32 v2, v2, v3
	s_waitcnt vmcnt(50) lgkmcnt(12)
	v_mul_f32_e32 v43, v38, v123
	v_fmac_f32_e32 v43, v39, v122
	v_add_f32_e32 v42, v42, v43
	s_waitcnt vmcnt(48)
	v_mul_f32_e32 v43, v40, v125
	v_fmac_f32_e32 v43, v41, v124
	v_add_f32_e32 v42, v42, v43
	s_waitcnt vmcnt(46) lgkmcnt(11)
	v_mul_f32_e32 v43, v46, v127
	v_fmac_f32_e32 v43, v47, v126
	v_add_f32_e32 v42, v42, v43
	s_waitcnt vmcnt(44)
	v_mul_f32_e32 v43, v48, v129
	v_fmac_f32_e32 v43, v49, v128
	;; [unrolled: 8-line block ×12, first 2 shown]
	v_add_f32_e32 v42, v42, v43
	s_waitcnt vmcnt(2) lgkmcnt(0)
	v_mul_f32_e32 v43, v90, v247
	v_fmac_f32_e32 v43, v91, v169
	v_add_f32_e32 v97, v42, v43
	ds_read2_b64 v[42:45], v234 offset0:107 offset1:108
	buffer_load_dword v250, off, s[0:3], 0 offset:392
	buffer_load_dword v251, off, s[0:3], 0 offset:396
	;; [unrolled: 1-line block ×18, first 2 shown]
	v_mul_f32_e32 v3, v39, v123
	v_fma_f32 v3, v38, v122, -v3
	v_add_f32_e32 v2, v2, v3
	v_mul_f32_e32 v3, v41, v125
	v_fma_f32 v3, v40, v124, -v3
	v_add_f32_e32 v2, v2, v3
	;; [unrolled: 3-line block ×25, first 2 shown]
	s_waitcnt vmcnt(18)
	v_mul_f32_e32 v2, v93, v249
	s_waitcnt vmcnt(15)
	v_mov_b32_e32 v18, v217
	v_mul_f32_e32 v99, v92, v249
	v_fma_f32 v98, v92, v248, -v2
	s_waitcnt lgkmcnt(0)
	v_mul_f32_e32 v2, v43, v251
	v_pk_mul_f32 v[18:19], v[44:45], v[18:19] op_sel_hi:[1,0]
	v_fmac_f32_e32 v99, v93, v248
	v_mul_f32_e32 v219, v42, v251
	v_fma_f32 v218, v42, v250, -v2
	ds_read2_b64 v[2:5], v234 offset0:109 offset1:110
	ds_read2_b64 v[6:9], v234 offset0:111 offset1:112
	;; [unrolled: 1-line block ×3, first 2 shown]
	ds_read_b64 v[14:15], v234 offset:920
	s_waitcnt vmcnt(14)
	v_pk_fma_f32 v[20:21], v[44:45], v[216:217], v[18:19] op_sel:[0,0,1] op_sel_hi:[1,1,0] neg_lo:[0,0,1] neg_hi:[0,0,1]
	v_pk_fma_f32 v[18:19], v[44:45], v[216:217], v[18:19] op_sel:[0,0,1] op_sel_hi:[1,0,0]
	v_fmac_f32_e32 v219, v43, v250
	v_pk_add_f32 v[16:17], v[96:97], v[98:99]
	s_waitcnt vmcnt(13)
	v_mov_b32_e32 v18, v233
	v_pk_add_f32 v[16:17], v[16:17], v[218:219]
	v_mov_b32_e32 v21, v19
	s_waitcnt lgkmcnt(3)
	v_pk_mul_f32 v[18:19], v[2:3], v[18:19] op_sel_hi:[1,0]
	v_pk_add_f32 v[16:17], v[16:17], v[20:21]
	s_waitcnt vmcnt(12)
	v_pk_fma_f32 v[20:21], v[2:3], v[232:233], v[18:19] op_sel:[0,0,1] op_sel_hi:[1,1,0] neg_lo:[0,0,1] neg_hi:[0,0,1]
	v_pk_fma_f32 v[2:3], v[2:3], v[232:233], v[18:19] op_sel:[0,0,1] op_sel_hi:[1,0,0]
	v_mov_b32_e32 v21, v3
	v_pk_add_f32 v[2:3], v[16:17], v[20:21]
	s_waitcnt vmcnt(11)
	v_mov_b32_e32 v16, v231
	v_pk_mul_f32 v[16:17], v[4:5], v[16:17] op_sel_hi:[1,0]
	s_waitcnt vmcnt(10)
	v_pk_fma_f32 v[18:19], v[4:5], v[230:231], v[16:17] op_sel:[0,0,1] op_sel_hi:[1,1,0] neg_lo:[0,0,1] neg_hi:[0,0,1]
	v_pk_fma_f32 v[4:5], v[4:5], v[230:231], v[16:17] op_sel:[0,0,1] op_sel_hi:[1,0,0]
	s_waitcnt vmcnt(9)
	v_mov_b32_e32 v4, v229
	v_mov_b32_e32 v19, v5
	s_waitcnt lgkmcnt(2)
	v_pk_mul_f32 v[4:5], v[6:7], v[4:5] op_sel_hi:[1,0]
	s_waitcnt vmcnt(8)
	v_pk_fma_f32 v[16:17], v[6:7], v[228:229], v[4:5] op_sel:[0,0,1] op_sel_hi:[1,1,0] neg_lo:[0,0,1] neg_hi:[0,0,1]
	v_pk_fma_f32 v[4:5], v[6:7], v[228:229], v[4:5] op_sel:[0,0,1] op_sel_hi:[1,0,0]
	s_waitcnt vmcnt(7)
	v_mov_b32_e32 v4, v227
	v_mov_b32_e32 v17, v5
	v_pk_mul_f32 v[4:5], v[8:9], v[4:5] op_sel_hi:[1,0]
	s_waitcnt vmcnt(6)
	v_pk_fma_f32 v[6:7], v[8:9], v[226:227], v[4:5] op_sel:[0,0,1] op_sel_hi:[1,1,0] neg_lo:[0,0,1] neg_hi:[0,0,1]
	v_pk_fma_f32 v[4:5], v[8:9], v[226:227], v[4:5] op_sel:[0,0,1] op_sel_hi:[1,0,0]
	v_pk_add_f32 v[2:3], v[2:3], v[18:19]
	s_waitcnt vmcnt(5)
	v_mov_b32_e32 v4, v225
	v_pk_add_f32 v[2:3], v[2:3], v[16:17]
	v_mov_b32_e32 v7, v5
	s_waitcnt lgkmcnt(1)
	v_pk_mul_f32 v[4:5], v[10:11], v[4:5] op_sel_hi:[1,0]
	v_pk_add_f32 v[2:3], v[2:3], v[6:7]
	s_waitcnt vmcnt(4)
	v_pk_fma_f32 v[6:7], v[10:11], v[224:225], v[4:5] op_sel:[0,0,1] op_sel_hi:[1,1,0] neg_lo:[0,0,1] neg_hi:[0,0,1]
	v_pk_fma_f32 v[4:5], v[10:11], v[224:225], v[4:5] op_sel:[0,0,1] op_sel_hi:[1,0,0]
	s_waitcnt vmcnt(3)
	v_mov_b32_e32 v4, v223
	v_mov_b32_e32 v7, v5
	v_pk_mul_f32 v[4:5], v[12:13], v[4:5] op_sel_hi:[1,0]
	v_pk_add_f32 v[2:3], v[2:3], v[6:7]
	s_waitcnt vmcnt(2)
	v_pk_fma_f32 v[6:7], v[12:13], v[222:223], v[4:5] op_sel:[0,0,1] op_sel_hi:[1,1,0] neg_lo:[0,0,1] neg_hi:[0,0,1]
	v_pk_fma_f32 v[4:5], v[12:13], v[222:223], v[4:5] op_sel:[0,0,1] op_sel_hi:[1,0,0]
	s_waitcnt vmcnt(1)
	v_mov_b32_e32 v4, v221
	v_mov_b32_e32 v7, v5
	s_waitcnt lgkmcnt(0)
	v_pk_mul_f32 v[4:5], v[14:15], v[4:5] op_sel_hi:[1,0]
	v_pk_add_f32 v[2:3], v[2:3], v[6:7]
	s_waitcnt vmcnt(0)
	v_pk_fma_f32 v[6:7], v[14:15], v[220:221], v[4:5] op_sel:[0,0,1] op_sel_hi:[1,1,0] neg_lo:[0,0,1] neg_hi:[0,0,1]
	v_pk_fma_f32 v[4:5], v[14:15], v[220:221], v[4:5] op_sel:[0,0,1] op_sel_hi:[1,0,0]
	v_mov_b32_e32 v7, v5
	v_pk_add_f32 v[2:3], v[2:3], v[6:7]
	v_pk_add_f32 v[2:3], v[94:95], v[2:3] neg_lo:[0,1] neg_hi:[0,1]
	buffer_store_dword v3, off, s[0:3], 0 offset:36
	buffer_store_dword v2, off, s[0:3], 0 offset:32
	s_and_saveexec_b64 s[4:5], vcc
	s_cbranch_execz .LBB57_355
; %bb.354:
	buffer_load_dword v2, off, s[0:3], 0 offset:24
	buffer_load_dword v3, off, s[0:3], 0 offset:28
	s_waitcnt vmcnt(0)
	ds_write_b64 v175, v[2:3]
	buffer_store_dword v234, off, s[0:3], 0 offset:24
	buffer_store_dword v234, off, s[0:3], 0 offset:28
.LBB57_355:
	s_or_b64 exec, exec, s[4:5]
	s_waitcnt lgkmcnt(0)
	; wave barrier
	s_waitcnt lgkmcnt(0)
	buffer_load_dword v49, off, s[0:3], 0 offset:36
	buffer_load_dword v48, off, s[0:3], 0 offset:44
	;; [unrolled: 1-line block ×34, first 2 shown]
	ds_read_b128 v[30:33], v234 offset:496
	ds_read_b128 v[26:29], v234 offset:512
	ds_read_b128 v[22:25], v234 offset:528
	ds_read_b128 v[18:21], v234 offset:544
	ds_read_b128 v[14:17], v234 offset:560
	ds_read_b128 v[6:9], v234 offset:576
	buffer_load_dword v151, off, s[0:3], 0 offset:160
	buffer_load_dword v152, off, s[0:3], 0 offset:164
	ds_read_b128 v[10:13], v234 offset:592
	ds_read_b128 v[2:5], v234 offset:608
	buffer_load_dword v153, off, s[0:3], 0 offset:168
	buffer_load_dword v154, off, s[0:3], 0 offset:172
	;; [unrolled: 1-line block ×24, first 2 shown]
	v_cmp_lt_u32_e32 vcc, 2, v0
	s_waitcnt vmcnt(59) lgkmcnt(7)
	v_mul_f32_e32 v34, v30, v49
	s_waitcnt vmcnt(58)
	v_mul_f32_e32 v35, v32, v48
	s_waitcnt vmcnt(57) lgkmcnt(6)
	v_mul_f32_e32 v37, v28, v47
	s_waitcnt vmcnt(56) lgkmcnt(5)
	v_mul_f32_e32 v38, v22, v46
	s_waitcnt vmcnt(55)
	v_mul_f32_e32 v39, v24, v44
	s_waitcnt vmcnt(54)
	v_mul_f32_e32 v36, v26, v50
	s_waitcnt vmcnt(53) lgkmcnt(4)
	v_mul_f32_e32 v40, v18, v45
	s_waitcnt vmcnt(52)
	v_mul_f32_e32 v41, v20, v110
	s_waitcnt vmcnt(51) lgkmcnt(3)
	;; [unrolled: 4-line block ×3, first 2 shown]
	v_mul_f32_e32 v53, v6, v129
	s_waitcnt vmcnt(48)
	v_mul_f32_e32 v54, v8, v130
	s_waitcnt vmcnt(47)
	v_fmac_f32_e32 v36, v27, v131
	s_waitcnt vmcnt(46)
	v_fmac_f32_e32 v35, v33, v132
	s_waitcnt vmcnt(45)
	v_fmac_f32_e32 v34, v31, v133
	v_add_f32_e32 v34, 0, v34
	v_add_f32_e32 v34, v34, v35
	;; [unrolled: 1-line block ×3, first 2 shown]
	s_waitcnt vmcnt(41)
	v_fmac_f32_e32 v37, v29, v137
	v_fmac_f32_e32 v38, v23, v136
	v_add_f32_e32 v34, v34, v37
	v_fmac_f32_e32 v39, v25, v135
	v_add_f32_e32 v34, v34, v38
	;; [unrolled: 2-line block ×3, first 2 shown]
	s_waitcnt vmcnt(37)
	v_fmac_f32_e32 v41, v21, v141
	v_add_f32_e32 v34, v34, v40
	v_fmac_f32_e32 v51, v15, v140
	v_add_f32_e32 v34, v34, v41
	;; [unrolled: 2-line block ×4, first 2 shown]
	s_waitcnt vmcnt(33)
	v_fmac_f32_e32 v54, v9, v145
	v_add_f32_e32 v34, v34, v53
	s_waitcnt vmcnt(32) lgkmcnt(1)
	v_mul_f32_e32 v35, v10, v146
	v_add_f32_e32 v34, v34, v54
	v_fmac_f32_e32 v35, v11, v144
	v_add_f32_e32 v34, v34, v35
	s_waitcnt vmcnt(31)
	v_mul_f32_e32 v35, v12, v147
	v_fmac_f32_e32 v35, v13, v143
	v_add_f32_e32 v34, v34, v35
	s_waitcnt vmcnt(30) lgkmcnt(0)
	v_mul_f32_e32 v35, v2, v148
	v_fmac_f32_e32 v35, v3, v142
	v_add_f32_e32 v38, v34, v35
	ds_read_b128 v[34:37], v234 offset:624
	buffer_load_dword v223, off, s[0:3], 0 offset:264
	buffer_load_dword v224, off, s[0:3], 0 offset:268
	;; [unrolled: 1-line block ×4, first 2 shown]
	s_waitcnt vmcnt(32)
	v_mul_f32_e32 v39, v4, v150
	v_fmac_f32_e32 v39, v5, v149
	v_add_f32_e32 v51, v38, v39
	ds_read_b128 v[38:41], v234 offset:640
	buffer_load_dword v227, off, s[0:3], 0 offset:280
	buffer_load_dword v228, off, s[0:3], 0 offset:284
	;; [unrolled: 1-line block ×12, first 2 shown]
	s_waitcnt vmcnt(40) lgkmcnt(1)
	v_mul_f32_e32 v52, v34, v152
	v_fmac_f32_e32 v52, v35, v151
	buffer_load_dword v240, off, s[0:3], 0 offset:328
	buffer_load_dword v241, off, s[0:3], 0 offset:332
	v_add_f32_e32 v51, v51, v52
	s_waitcnt vmcnt(40)
	v_mul_f32_e32 v52, v36, v154
	v_fmac_f32_e32 v52, v37, v153
	buffer_load_dword v242, off, s[0:3], 0 offset:336
	buffer_load_dword v243, off, s[0:3], 0 offset:340
	v_add_f32_e32 v51, v51, v52
	s_waitcnt vmcnt(40) lgkmcnt(0)
	v_mul_f32_e32 v52, v38, v156
	v_fmac_f32_e32 v52, v39, v155
	v_add_f32_e32 v51, v51, v52
	ds_read_b128 v[52:55], v234 offset:656
	buffer_load_dword v244, off, s[0:3], 0 offset:344
	buffer_load_dword v245, off, s[0:3], 0 offset:348
	s_waitcnt vmcnt(40)
	v_mul_f32_e32 v56, v40, v158
	v_fmac_f32_e32 v56, v41, v157
	v_add_f32_e32 v51, v51, v56
	ds_read_b128 v[56:59], v234 offset:672
	buffer_load_dword v246, off, s[0:3], 0 offset:352
	buffer_load_dword v247, off, s[0:3], 0 offset:356
	;; [unrolled: 1-line block ×8, first 2 shown]
	s_waitcnt vmcnt(46) lgkmcnt(1)
	v_mul_f32_e32 v60, v52, v160
	v_fmac_f32_e32 v60, v53, v159
	v_add_f32_e32 v51, v51, v60
	s_waitcnt vmcnt(44)
	v_mul_f32_e32 v60, v54, v162
	v_fmac_f32_e32 v60, v55, v161
	v_add_f32_e32 v51, v51, v60
	s_waitcnt vmcnt(42) lgkmcnt(0)
	v_mul_f32_e32 v60, v56, v164
	v_fmac_f32_e32 v60, v57, v163
	v_add_f32_e32 v51, v51, v60
	buffer_load_dword v254, off, s[0:3], 0 offset:384
	buffer_load_dword v255, off, s[0:3], 0 offset:388
	;; [unrolled: 1-line block ×4, first 2 shown]
	ds_read_b128 v[60:63], v234 offset:688
	s_waitcnt vmcnt(44)
	v_mul_f32_e32 v64, v58, v166
	v_fmac_f32_e32 v64, v59, v165
	v_add_f32_e32 v51, v51, v64
	ds_read_b128 v[64:67], v234 offset:704
	s_waitcnt vmcnt(42) lgkmcnt(1)
	v_mul_f32_e32 v68, v60, v168
	v_fmac_f32_e32 v68, v61, v167
	v_add_f32_e32 v51, v51, v68
	s_waitcnt vmcnt(40)
	v_mul_f32_e32 v68, v62, v216
	v_fmac_f32_e32 v68, v63, v169
	v_add_f32_e32 v51, v51, v68
	s_waitcnt vmcnt(38) lgkmcnt(0)
	v_mul_f32_e32 v68, v64, v218
	v_fmac_f32_e32 v68, v65, v217
	v_add_f32_e32 v51, v51, v68
	ds_read_b128 v[68:71], v234 offset:720
	s_waitcnt vmcnt(36)
	v_mul_f32_e32 v72, v66, v220
	v_fmac_f32_e32 v72, v67, v219
	v_add_f32_e32 v51, v51, v72
	ds_read_b128 v[72:75], v234 offset:736
	s_waitcnt vmcnt(34) lgkmcnt(1)
	v_mul_f32_e32 v76, v68, v222
	v_fmac_f32_e32 v76, v69, v221
	v_add_f32_e32 v51, v51, v76
	v_mul_f32_e32 v31, v31, v49
	v_fma_f32 v30, v30, v133, -v31
	v_mul_f32_e32 v31, v33, v48
	v_add_f32_e32 v30, 0, v30
	v_fma_f32 v31, v32, v132, -v31
	v_mul_f32_e32 v27, v27, v50
	v_add_f32_e32 v30, v30, v31
	;; [unrolled: 3-line block ×4, first 2 shown]
	v_fma_f32 v22, v22, v136, -v23
	v_mul_f32_e32 v23, v25, v44
	s_waitcnt vmcnt(32)
	v_mul_f32_e32 v76, v70, v224
	v_fmac_f32_e32 v76, v71, v223
	v_add_f32_e32 v51, v51, v76
	s_waitcnt vmcnt(30) lgkmcnt(0)
	v_mul_f32_e32 v76, v72, v226
	v_fmac_f32_e32 v76, v73, v225
	v_add_f32_e32 v51, v51, v76
	ds_read_b128 v[76:79], v234 offset:752
	s_waitcnt vmcnt(28)
	v_mul_f32_e32 v80, v74, v228
	v_fmac_f32_e32 v80, v75, v227
	v_add_f32_e32 v51, v51, v80
	ds_read_b128 v[80:83], v234 offset:768
	s_waitcnt vmcnt(26) lgkmcnt(1)
	v_mul_f32_e32 v84, v76, v230
	v_fmac_f32_e32 v84, v77, v229
	v_add_f32_e32 v51, v51, v84
	s_waitcnt vmcnt(24)
	v_mul_f32_e32 v84, v78, v232
	v_fmac_f32_e32 v84, v79, v231
	v_add_f32_e32 v51, v51, v84
	s_waitcnt vmcnt(22) lgkmcnt(0)
	v_mul_f32_e32 v84, v80, v235
	v_fmac_f32_e32 v84, v81, v233
	v_add_f32_e32 v51, v51, v84
	ds_read_b128 v[84:87], v234 offset:784
	s_waitcnt vmcnt(20)
	v_mul_f32_e32 v88, v82, v237
	v_fmac_f32_e32 v88, v83, v236
	v_add_f32_e32 v51, v51, v88
	ds_read_b128 v[88:91], v234 offset:800
	s_waitcnt vmcnt(18) lgkmcnt(1)
	v_mul_f32_e32 v92, v84, v239
	v_fmac_f32_e32 v92, v85, v238
	v_add_f32_e32 v51, v51, v92
	s_waitcnt vmcnt(16)
	v_mul_f32_e32 v92, v86, v241
	v_fmac_f32_e32 v92, v87, v240
	v_add_f32_e32 v51, v51, v92
	s_waitcnt vmcnt(14) lgkmcnt(0)
	v_mul_f32_e32 v92, v88, v243
	v_fmac_f32_e32 v92, v89, v242
	v_add_f32_e32 v51, v51, v92
	ds_read_b128 v[92:95], v234 offset:816
	s_waitcnt vmcnt(12)
	v_mul_f32_e32 v96, v90, v245
	v_fmac_f32_e32 v96, v91, v244
	v_add_f32_e32 v51, v51, v96
	ds_read_b128 v[96:99], v234 offset:832
	buffer_load_dword v109, off, s[0:3], 0 offset:404
	buffer_load_dword v108, off, s[0:3], 0 offset:400
	s_waitcnt vmcnt(12) lgkmcnt(1)
	v_mul_f32_e32 v100, v92, v247
	v_fmac_f32_e32 v100, v93, v246
	v_add_f32_e32 v51, v51, v100
	s_waitcnt vmcnt(10)
	v_mul_f32_e32 v100, v94, v249
	v_fmac_f32_e32 v100, v95, v248
	v_add_f32_e32 v51, v51, v100
	s_waitcnt vmcnt(8) lgkmcnt(0)
	v_mul_f32_e32 v100, v96, v251
	v_fmac_f32_e32 v100, v97, v250
	s_waitcnt vmcnt(6)
	v_mul_f32_e32 v104, v98, v253
	v_add_f32_e32 v51, v51, v100
	v_fmac_f32_e32 v104, v99, v252
	ds_read_b128 v[100:103], v234 offset:848
	v_add_f32_e32 v51, v51, v104
	ds_read_b128 v[104:107], v234 offset:864
	buffer_load_dword v115, off, s[0:3], 0 offset:436
	buffer_load_dword v114, off, s[0:3], 0 offset:432
	;; [unrolled: 1-line block ×14, first 2 shown]
	v_add_f32_e32 v22, v26, v22
	v_fma_f32 v23, v24, v135, -v23
	v_mul_f32_e32 v19, v19, v45
	v_add_f32_e32 v22, v22, v23
	v_fma_f32 v18, v18, v134, -v19
	v_mul_f32_e32 v19, v21, v110
	;; [unrolled: 3-line block ×6, first 2 shown]
	v_add_f32_e32 v6, v14, v6
	v_fma_f32 v7, v8, v145, -v7
	v_add_f32_e32 v6, v6, v7
	v_mul_f32_e32 v7, v11, v146
	v_fma_f32 v7, v10, v144, -v7
	v_add_f32_e32 v6, v6, v7
	v_mul_f32_e32 v7, v13, v147
	v_fma_f32 v7, v12, v143, -v7
	v_mul_f32_e32 v3, v3, v148
	v_add_f32_e32 v6, v6, v7
	v_fma_f32 v2, v2, v142, -v3
	v_mul_f32_e32 v3, v5, v150
	v_add_f32_e32 v2, v6, v2
	v_fma_f32 v3, v4, v149, -v3
	v_add_f32_e32 v2, v2, v3
	v_mul_f32_e32 v3, v35, v152
	v_fma_f32 v3, v34, v151, -v3
	v_add_f32_e32 v2, v2, v3
	v_mul_f32_e32 v3, v37, v154
	;; [unrolled: 3-line block ×28, first 2 shown]
	v_fma_f32 v3, v98, v252, -v3
	s_waitcnt vmcnt(15)
	v_mov_b32_e32 v16, v109
	s_waitcnt lgkmcnt(1)
	v_mul_f32_e32 v111, v100, v255
	v_add_f32_e32 v50, v2, v3
	v_mul_f32_e32 v2, v101, v255
	s_waitcnt lgkmcnt(0)
	v_pk_mul_f32 v[16:17], v[104:105], v[16:17] op_sel_hi:[1,0]
	v_fmac_f32_e32 v111, v101, v254
	v_mul_f32_e32 v113, v102, v170
	v_fma_f32 v110, v100, v254, -v2
	v_mul_f32_e32 v2, v103, v170
	s_waitcnt vmcnt(14)
	v_pk_fma_f32 v[18:19], v[104:105], v[108:109], v[16:17] op_sel:[0,0,1] op_sel_hi:[1,1,0] neg_lo:[0,0,1] neg_hi:[0,0,1]
	v_pk_fma_f32 v[16:17], v[104:105], v[108:109], v[16:17] op_sel:[0,0,1] op_sel_hi:[1,0,0]
	v_fmac_f32_e32 v113, v103, v1
	v_fma_f32 v112, v102, v1, -v2
	v_pk_add_f32 v[14:15], v[50:51], v[110:111]
	s_waitcnt vmcnt(7)
	v_mov_b32_e32 v16, v121
	ds_read_b128 v[2:5], v234 offset:880
	ds_read_b128 v[6:9], v234 offset:896
	;; [unrolled: 1-line block ×3, first 2 shown]
	v_pk_add_f32 v[14:15], v[14:15], v[112:113]
	v_mov_b32_e32 v19, v17
	v_pk_mul_f32 v[16:17], v[106:107], v[16:17] op_sel_hi:[1,0]
	v_pk_add_f32 v[14:15], v[14:15], v[18:19]
	s_waitcnt vmcnt(6)
	v_pk_fma_f32 v[18:19], v[106:107], v[120:121], v[16:17] op_sel:[0,0,1] op_sel_hi:[1,1,0] neg_lo:[0,0,1] neg_hi:[0,0,1]
	v_pk_fma_f32 v[16:17], v[106:107], v[120:121], v[16:17] op_sel:[0,0,1] op_sel_hi:[1,0,0]
	v_mov_b32_e32 v16, v119
	v_mov_b32_e32 v19, v17
	s_waitcnt lgkmcnt(2)
	v_pk_mul_f32 v[16:17], v[2:3], v[16:17] op_sel_hi:[1,0]
	v_pk_add_f32 v[14:15], v[14:15], v[18:19]
	v_pk_fma_f32 v[18:19], v[2:3], v[118:119], v[16:17] op_sel:[0,0,1] op_sel_hi:[1,1,0] neg_lo:[0,0,1] neg_hi:[0,0,1]
	v_pk_fma_f32 v[2:3], v[2:3], v[118:119], v[16:17] op_sel:[0,0,1] op_sel_hi:[1,0,0]
	v_mov_b32_e32 v19, v3
	v_pk_add_f32 v[2:3], v[14:15], v[18:19]
	v_mov_b32_e32 v14, v117
	v_pk_mul_f32 v[14:15], v[4:5], v[14:15] op_sel_hi:[1,0]
	v_pk_fma_f32 v[16:17], v[4:5], v[116:117], v[14:15] op_sel:[0,0,1] op_sel_hi:[1,1,0] neg_lo:[0,0,1] neg_hi:[0,0,1]
	v_pk_fma_f32 v[4:5], v[4:5], v[116:117], v[14:15] op_sel:[0,0,1] op_sel_hi:[1,0,0]
	v_mov_b32_e32 v4, v115
	v_mov_b32_e32 v17, v5
	s_waitcnt lgkmcnt(1)
	v_pk_mul_f32 v[4:5], v[6:7], v[4:5] op_sel_hi:[1,0]
	v_pk_fma_f32 v[14:15], v[6:7], v[114:115], v[4:5] op_sel:[0,0,1] op_sel_hi:[1,1,0] neg_lo:[0,0,1] neg_hi:[0,0,1]
	v_pk_fma_f32 v[4:5], v[6:7], v[114:115], v[4:5] op_sel:[0,0,1] op_sel_hi:[1,0,0]
	s_waitcnt vmcnt(1)
	v_mov_b32_e32 v4, v127
	v_mov_b32_e32 v15, v5
	v_pk_mul_f32 v[4:5], v[8:9], v[4:5] op_sel_hi:[1,0]
	s_waitcnt vmcnt(0)
	v_pk_fma_f32 v[6:7], v[8:9], v[126:127], v[4:5] op_sel:[0,0,1] op_sel_hi:[1,1,0] neg_lo:[0,0,1] neg_hi:[0,0,1]
	v_pk_fma_f32 v[4:5], v[8:9], v[126:127], v[4:5] op_sel:[0,0,1] op_sel_hi:[1,0,0]
	v_pk_add_f32 v[2:3], v[2:3], v[16:17]
	v_mov_b32_e32 v4, v125
	v_pk_add_f32 v[2:3], v[2:3], v[14:15]
	v_mov_b32_e32 v7, v5
	s_waitcnt lgkmcnt(0)
	v_pk_mul_f32 v[4:5], v[10:11], v[4:5] op_sel_hi:[1,0]
	v_pk_add_f32 v[2:3], v[2:3], v[6:7]
	v_pk_fma_f32 v[6:7], v[10:11], v[124:125], v[4:5] op_sel:[0,0,1] op_sel_hi:[1,1,0] neg_lo:[0,0,1] neg_hi:[0,0,1]
	v_pk_fma_f32 v[4:5], v[10:11], v[124:125], v[4:5] op_sel:[0,0,1] op_sel_hi:[1,0,0]
	v_mov_b32_e32 v4, v123
	v_mov_b32_e32 v7, v5
	v_pk_mul_f32 v[4:5], v[12:13], v[4:5] op_sel_hi:[1,0]
	v_pk_add_f32 v[2:3], v[2:3], v[6:7]
	v_pk_fma_f32 v[6:7], v[12:13], v[122:123], v[4:5] op_sel:[0,0,1] op_sel_hi:[1,1,0] neg_lo:[0,0,1] neg_hi:[0,0,1]
	v_pk_fma_f32 v[4:5], v[12:13], v[122:123], v[4:5] op_sel:[0,0,1] op_sel_hi:[1,0,0]
	v_mov_b32_e32 v7, v5
	v_pk_add_f32 v[2:3], v[2:3], v[6:7]
	v_pk_add_f32 v[2:3], v[42:43], v[2:3] neg_lo:[0,1] neg_hi:[0,1]
	buffer_store_dword v3, off, s[0:3], 0 offset:28
	buffer_store_dword v2, off, s[0:3], 0 offset:24
	s_and_saveexec_b64 s[4:5], vcc
	s_cbranch_execz .LBB57_357
; %bb.356:
	buffer_load_dword v2, off, s[0:3], 0 offset:16
	buffer_load_dword v3, off, s[0:3], 0 offset:20
	v_mov_b32_e32 v1, 0
	buffer_store_dword v1, off, s[0:3], 0 offset:16
	buffer_store_dword v1, off, s[0:3], 0 offset:20
	s_waitcnt vmcnt(2)
	ds_write_b64 v175, v[2:3]
.LBB57_357:
	s_or_b64 exec, exec, s[4:5]
	s_waitcnt lgkmcnt(0)
	; wave barrier
	s_waitcnt lgkmcnt(0)
	buffer_load_dword v58, off, s[0:3], 0 offset:28
	buffer_load_dword v57, off, s[0:3], 0 offset:36
	;; [unrolled: 1-line block ×48, first 2 shown]
	v_mov_b32_e32 v52, 0
	ds_read2_b64 v[22:25], v52 offset0:61 offset1:62
	ds_read2_b64 v[18:21], v52 offset0:63 offset1:64
	;; [unrolled: 1-line block ×6, first 2 shown]
	v_cmp_lt_u32_e32 vcc, 1, v0
	s_waitcnt vmcnt(47) lgkmcnt(5)
	v_mul_f32_e32 v26, v22, v58
	s_waitcnt vmcnt(46)
	v_mul_f32_e32 v27, v24, v57
	s_waitcnt vmcnt(45) lgkmcnt(4)
	v_mul_f32_e32 v29, v20, v56
	s_waitcnt vmcnt(44) lgkmcnt(3)
	v_mul_f32_e32 v30, v14, v55
	s_waitcnt vmcnt(43)
	v_mul_f32_e32 v31, v16, v53
	s_waitcnt vmcnt(42)
	v_mul_f32_e32 v28, v18, v59
	s_waitcnt vmcnt(41) lgkmcnt(2)
	v_mul_f32_e32 v32, v10, v54
	s_waitcnt vmcnt(40)
	v_mul_f32_e32 v33, v12, v60
	s_waitcnt vmcnt(39) lgkmcnt(1)
	v_mul_f32_e32 v34, v6, v61
	s_waitcnt vmcnt(38)
	v_mul_f32_e32 v35, v8, v62
	s_waitcnt vmcnt(37) lgkmcnt(0)
	v_mul_f32_e32 v36, v2, v63
	s_waitcnt vmcnt(36)
	v_mul_f32_e32 v37, v4, v64
	s_waitcnt vmcnt(35)
	v_fmac_f32_e32 v28, v19, v70
	s_waitcnt vmcnt(34)
	v_fmac_f32_e32 v27, v25, v73
	s_waitcnt vmcnt(33)
	v_fmac_f32_e32 v26, v23, v76
	v_add_f32_e32 v26, 0, v26
	v_add_f32_e32 v26, v26, v27
	;; [unrolled: 1-line block ×3, first 2 shown]
	s_waitcnt vmcnt(29)
	v_fmac_f32_e32 v29, v21, v75
	v_fmac_f32_e32 v30, v15, v72
	v_add_f32_e32 v26, v26, v29
	v_fmac_f32_e32 v31, v17, v69
	v_add_f32_e32 v26, v26, v30
	;; [unrolled: 2-line block ×3, first 2 shown]
	s_waitcnt vmcnt(25)
	v_fmac_f32_e32 v33, v13, v71
	v_add_f32_e32 v26, v26, v32
	v_fmac_f32_e32 v34, v7, v68
	v_add_f32_e32 v26, v26, v33
	;; [unrolled: 2-line block ×4, first 2 shown]
	s_waitcnt vmcnt(21)
	v_fmac_f32_e32 v37, v5, v82
	v_add_f32_e32 v30, v30, v36
	ds_read2_b64 v[26:29], v52 offset0:73 offset1:74
	v_add_f32_e32 v34, v30, v37
	ds_read2_b64 v[30:33], v52 offset0:75 offset1:76
	buffer_load_dword v165, off, s[0:3], 0 offset:208
	buffer_load_dword v166, off, s[0:3], 0 offset:212
	;; [unrolled: 1-line block ×6, first 2 shown]
	s_waitcnt vmcnt(26) lgkmcnt(1)
	v_mul_f32_e32 v35, v26, v81
	v_fmac_f32_e32 v35, v27, v79
	buffer_load_dword v171, off, s[0:3], 0 offset:232
	buffer_load_dword v216, off, s[0:3], 0 offset:236
	v_add_f32_e32 v34, v34, v35
	s_waitcnt vmcnt(27)
	v_mul_f32_e32 v35, v28, v80
	v_fmac_f32_e32 v35, v29, v77
	v_add_f32_e32 v34, v34, v35
	s_waitcnt vmcnt(26) lgkmcnt(0)
	v_mul_f32_e32 v35, v30, v78
	v_fmac_f32_e32 v35, v31, v74
	buffer_load_dword v217, off, s[0:3], 0 offset:240
	buffer_load_dword v218, off, s[0:3], 0 offset:244
	v_add_f32_e32 v34, v34, v35
	s_waitcnt vmcnt(21)
	v_mul_f32_e32 v35, v32, v1
	s_waitcnt vmcnt(20)
	v_fmac_f32_e32 v35, v33, v138
	v_add_f32_e32 v42, v34, v35
	ds_read2_b64 v[34:37], v52 offset0:77 offset1:78
	buffer_load_dword v219, off, s[0:3], 0 offset:248
	buffer_load_dword v220, off, s[0:3], 0 offset:252
	ds_read2_b64 v[38:41], v52 offset0:79 offset1:80
	buffer_load_dword v221, off, s[0:3], 0 offset:256
	buffer_load_dword v222, off, s[0:3], 0 offset:260
	buffer_load_dword v223, off, s[0:3], 0 offset:264
	buffer_load_dword v224, off, s[0:3], 0 offset:268
	buffer_load_dword v225, off, s[0:3], 0 offset:272
	buffer_load_dword v226, off, s[0:3], 0 offset:276
	buffer_load_dword v227, off, s[0:3], 0 offset:280
	buffer_load_dword v228, off, s[0:3], 0 offset:284
	buffer_load_dword v229, off, s[0:3], 0 offset:288
	buffer_load_dword v230, off, s[0:3], 0 offset:292
	buffer_load_dword v231, off, s[0:3], 0 offset:296
	buffer_load_dword v232, off, s[0:3], 0 offset:300
	s_waitcnt lgkmcnt(1)
	v_mul_f32_e32 v43, v34, v84
	v_fmac_f32_e32 v43, v35, v83
	buffer_load_dword v233, off, s[0:3], 0 offset:304
	buffer_load_dword v234, off, s[0:3], 0 offset:308
	v_add_f32_e32 v42, v42, v43
	v_mul_f32_e32 v43, v36, v86
	v_fmac_f32_e32 v43, v37, v85
	v_add_f32_e32 v42, v42, v43
	s_waitcnt lgkmcnt(0)
	v_mul_f32_e32 v43, v38, v88
	buffer_load_dword v235, off, s[0:3], 0 offset:312
	buffer_load_dword v236, off, s[0:3], 0 offset:316
	v_fmac_f32_e32 v43, v39, v87
	v_add_f32_e32 v46, v42, v43
	ds_read2_b64 v[42:45], v52 offset0:81 offset1:82
	buffer_load_dword v237, off, s[0:3], 0 offset:320
	buffer_load_dword v238, off, s[0:3], 0 offset:324
	;; [unrolled: 1-line block ×4, first 2 shown]
	s_waitcnt vmcnt(38)
	v_mul_f32_e32 v47, v40, v140
	v_fmac_f32_e32 v47, v41, v89
	v_add_f32_e32 v90, v46, v47
	ds_read2_b64 v[46:49], v52 offset0:83 offset1:84
	buffer_load_dword v241, off, s[0:3], 0 offset:336
	buffer_load_dword v242, off, s[0:3], 0 offset:340
	;; [unrolled: 1-line block ×10, first 2 shown]
	s_waitcnt vmcnt(46) lgkmcnt(1)
	v_mul_f32_e32 v91, v42, v160
	v_fmac_f32_e32 v91, v43, v142
	v_add_f32_e32 v90, v90, v91
	s_waitcnt vmcnt(44)
	v_mul_f32_e32 v91, v44, v162
	v_fmac_f32_e32 v91, v45, v161
	v_add_f32_e32 v90, v90, v91
	s_waitcnt vmcnt(42) lgkmcnt(0)
	v_mul_f32_e32 v91, v46, v164
	v_fmac_f32_e32 v91, v47, v163
	v_add_f32_e32 v94, v90, v91
	buffer_load_dword v251, off, s[0:3], 0 offset:376
	buffer_load_dword v252, off, s[0:3], 0 offset:380
	;; [unrolled: 1-line block ×6, first 2 shown]
	ds_read2_b64 v[90:93], v52 offset0:85 offset1:86
	v_mul_f32_e32 v23, v23, v58
	v_fma_f32 v22, v22, v76, -v23
	v_mul_f32_e32 v23, v25, v57
	v_add_f32_e32 v22, 0, v22
	v_fma_f32 v23, v24, v73, -v23
	v_mul_f32_e32 v19, v19, v59
	v_add_f32_e32 v22, v22, v23
	;; [unrolled: 3-line block ×6, first 2 shown]
	v_fma_f32 v10, v10, v67, -v11
	s_waitcnt vmcnt(46)
	v_mul_f32_e32 v95, v48, v166
	v_fmac_f32_e32 v95, v49, v165
	v_add_f32_e32 v98, v94, v95
	ds_read2_b64 v[94:97], v52 offset0:87 offset1:88
	s_waitcnt vmcnt(44) lgkmcnt(1)
	v_mul_f32_e32 v99, v90, v168
	v_fmac_f32_e32 v99, v91, v167
	v_add_f32_e32 v98, v98, v99
	s_waitcnt vmcnt(42)
	v_mul_f32_e32 v99, v92, v170
	v_fmac_f32_e32 v99, v93, v169
	v_add_f32_e32 v98, v98, v99
	s_waitcnt vmcnt(40) lgkmcnt(0)
	v_mul_f32_e32 v99, v94, v216
	v_fmac_f32_e32 v99, v95, v171
	v_add_f32_e32 v102, v98, v99
	ds_read2_b64 v[98:101], v52 offset0:89 offset1:90
	s_waitcnt vmcnt(38)
	v_mul_f32_e32 v103, v96, v218
	v_fmac_f32_e32 v103, v97, v217
	v_add_f32_e32 v106, v102, v103
	ds_read2_b64 v[102:105], v52 offset0:91 offset1:92
	s_waitcnt vmcnt(36) lgkmcnt(1)
	v_mul_f32_e32 v107, v98, v220
	v_fmac_f32_e32 v107, v99, v219
	v_add_f32_e32 v106, v106, v107
	s_waitcnt vmcnt(34)
	v_mul_f32_e32 v107, v100, v222
	v_fmac_f32_e32 v107, v101, v221
	v_add_f32_e32 v106, v106, v107
	s_waitcnt vmcnt(32) lgkmcnt(0)
	v_mul_f32_e32 v107, v102, v224
	v_fmac_f32_e32 v107, v103, v223
	v_add_f32_e32 v110, v106, v107
	ds_read2_b64 v[106:109], v52 offset0:93 offset1:94
	;; [unrolled: 18-line block ×4, first 2 shown]
	s_waitcnt vmcnt(14)
	v_mul_f32_e32 v127, v120, v242
	v_fmac_f32_e32 v127, v121, v241
	v_add_f32_e32 v130, v126, v127
	ds_read2_b64 v[126:129], v52 offset0:103 offset1:104
	s_waitcnt vmcnt(12) lgkmcnt(1)
	v_mul_f32_e32 v131, v122, v244
	v_fmac_f32_e32 v131, v123, v243
	v_add_f32_e32 v130, v130, v131
	s_waitcnt vmcnt(10)
	v_mul_f32_e32 v131, v124, v246
	v_fmac_f32_e32 v131, v125, v245
	v_add_f32_e32 v130, v130, v131
	s_waitcnt vmcnt(8) lgkmcnt(0)
	v_mul_f32_e32 v131, v126, v248
	v_fmac_f32_e32 v131, v127, v247
	s_waitcnt vmcnt(6)
	v_mul_f32_e32 v135, v128, v250
	v_add_f32_e32 v134, v130, v131
	v_fmac_f32_e32 v135, v129, v249
	ds_read2_b64 v[130:133], v52 offset0:105 offset1:106
	v_add_f32_e32 v139, v134, v135
	ds_read2_b64 v[134:137], v52 offset0:107 offset1:108
	buffer_load_dword v145, off, s[0:3], 0 offset:428
	buffer_load_dword v144, off, s[0:3], 0 offset:424
	;; [unrolled: 1-line block ×16, first 2 shown]
	v_mul_f32_e32 v11, v13, v60
	v_add_f32_e32 v10, v14, v10
	v_fma_f32 v11, v12, v71, -v11
	v_mul_f32_e32 v7, v7, v61
	v_add_f32_e32 v10, v10, v11
	v_fma_f32 v6, v6, v68, -v7
	;; [unrolled: 3-line block ×5, first 2 shown]
	v_add_f32_e32 v2, v2, v3
	v_mul_f32_e32 v3, v27, v81
	v_fma_f32 v3, v26, v79, -v3
	v_add_f32_e32 v2, v2, v3
	v_mul_f32_e32 v3, v29, v80
	v_fma_f32 v3, v28, v77, -v3
	;; [unrolled: 3-line block ×3, first 2 shown]
	v_mul_f32_e32 v1, v33, v1
	v_add_f32_e32 v2, v2, v3
	v_fma_f32 v1, v32, v138, -v1
	v_add_f32_e32 v1, v2, v1
	v_mul_f32_e32 v2, v35, v84
	v_fma_f32 v2, v34, v83, -v2
	v_add_f32_e32 v1, v1, v2
	v_mul_f32_e32 v2, v37, v86
	v_fma_f32 v2, v36, v85, -v2
	v_add_f32_e32 v1, v1, v2
	v_mul_f32_e32 v2, v39, v88
	v_fma_f32 v2, v38, v87, -v2
	v_add_f32_e32 v1, v1, v2
	v_mul_f32_e32 v2, v41, v140
	v_fma_f32 v2, v40, v89, -v2
	v_add_f32_e32 v1, v1, v2
	v_mul_f32_e32 v2, v43, v160
	v_fma_f32 v2, v42, v142, -v2
	v_add_f32_e32 v1, v1, v2
	v_mul_f32_e32 v2, v45, v162
	v_fma_f32 v2, v44, v161, -v2
	v_add_f32_e32 v1, v1, v2
	v_mul_f32_e32 v2, v47, v164
	v_fma_f32 v2, v46, v163, -v2
	v_add_f32_e32 v1, v1, v2
	v_mul_f32_e32 v2, v49, v166
	v_fma_f32 v2, v48, v165, -v2
	v_add_f32_e32 v1, v1, v2
	v_mul_f32_e32 v2, v91, v168
	v_fma_f32 v2, v90, v167, -v2
	v_add_f32_e32 v1, v1, v2
	v_mul_f32_e32 v2, v93, v170
	v_fma_f32 v2, v92, v169, -v2
	v_add_f32_e32 v1, v1, v2
	v_mul_f32_e32 v2, v95, v216
	v_fma_f32 v2, v94, v171, -v2
	v_add_f32_e32 v1, v1, v2
	v_mul_f32_e32 v2, v97, v218
	v_fma_f32 v2, v96, v217, -v2
	v_add_f32_e32 v1, v1, v2
	v_mul_f32_e32 v2, v99, v220
	v_fma_f32 v2, v98, v219, -v2
	v_add_f32_e32 v1, v1, v2
	v_mul_f32_e32 v2, v101, v222
	v_fma_f32 v2, v100, v221, -v2
	v_add_f32_e32 v1, v1, v2
	v_mul_f32_e32 v2, v103, v224
	v_fma_f32 v2, v102, v223, -v2
	v_add_f32_e32 v1, v1, v2
	v_mul_f32_e32 v2, v105, v226
	v_fma_f32 v2, v104, v225, -v2
	v_add_f32_e32 v1, v1, v2
	v_mul_f32_e32 v2, v107, v228
	v_fma_f32 v2, v106, v227, -v2
	v_add_f32_e32 v1, v1, v2
	v_mul_f32_e32 v2, v109, v230
	v_fma_f32 v2, v108, v229, -v2
	v_add_f32_e32 v1, v1, v2
	v_mul_f32_e32 v2, v111, v232
	v_fma_f32 v2, v110, v231, -v2
	v_add_f32_e32 v1, v1, v2
	v_mul_f32_e32 v2, v113, v234
	v_fma_f32 v2, v112, v233, -v2
	v_add_f32_e32 v1, v1, v2
	v_mul_f32_e32 v2, v115, v236
	v_fma_f32 v2, v114, v235, -v2
	v_add_f32_e32 v1, v1, v2
	v_mul_f32_e32 v2, v117, v238
	v_fma_f32 v2, v116, v237, -v2
	v_add_f32_e32 v1, v1, v2
	v_mul_f32_e32 v2, v119, v240
	v_fma_f32 v2, v118, v239, -v2
	v_add_f32_e32 v1, v1, v2
	v_mul_f32_e32 v2, v121, v242
	v_fma_f32 v2, v120, v241, -v2
	v_add_f32_e32 v1, v1, v2
	v_mul_f32_e32 v2, v123, v244
	v_fma_f32 v2, v122, v243, -v2
	v_add_f32_e32 v1, v1, v2
	v_mul_f32_e32 v2, v125, v246
	v_fma_f32 v2, v124, v245, -v2
	v_add_f32_e32 v1, v1, v2
	v_mul_f32_e32 v2, v127, v248
	v_fma_f32 v2, v126, v247, -v2
	v_add_f32_e32 v1, v1, v2
	v_mul_f32_e32 v2, v129, v250
	v_fma_f32 v2, v128, v249, -v2
	s_waitcnt vmcnt(20) lgkmcnt(1)
	v_mul_f32_e32 v141, v130, v252
	v_add_f32_e32 v1, v1, v2
	v_mul_f32_e32 v2, v131, v252
	v_fmac_f32_e32 v141, v131, v251
	v_fma_f32 v2, v130, v251, -v2
	s_waitcnt vmcnt(9)
	v_mov_b32_e32 v18, v151
	v_add_f32_e32 v139, v139, v141
	v_mul_f32_e32 v141, v132, v254
	v_add_f32_e32 v138, v1, v2
	v_mul_f32_e32 v1, v133, v254
	s_waitcnt lgkmcnt(0)
	v_pk_mul_f32 v[18:19], v[136:137], v[18:19] op_sel_hi:[1,0]
	v_fmac_f32_e32 v141, v133, v253
	v_mul_f32_e32 v143, v134, v172
	v_fma_f32 v140, v132, v253, -v1
	v_mul_f32_e32 v1, v135, v172
	ds_read2_b64 v[2:5], v52 offset0:109 offset1:110
	ds_read2_b64 v[6:9], v52 offset0:111 offset1:112
	;; [unrolled: 1-line block ×3, first 2 shown]
	ds_read_b64 v[14:15], v52 offset:920
	s_waitcnt vmcnt(8)
	v_pk_fma_f32 v[20:21], v[136:137], v[150:151], v[18:19] op_sel:[0,0,1] op_sel_hi:[1,1,0] neg_lo:[0,0,1] neg_hi:[0,0,1]
	v_pk_fma_f32 v[18:19], v[136:137], v[150:151], v[18:19] op_sel:[0,0,1] op_sel_hi:[1,0,0]
	v_fmac_f32_e32 v143, v135, v255
	v_fma_f32 v142, v134, v255, -v1
	v_pk_add_f32 v[16:17], v[138:139], v[140:141]
	v_mov_b32_e32 v18, v149
	v_pk_add_f32 v[16:17], v[16:17], v[142:143]
	v_mov_b32_e32 v21, v19
	s_waitcnt lgkmcnt(3)
	v_pk_mul_f32 v[18:19], v[2:3], v[18:19] op_sel_hi:[1,0]
	v_pk_add_f32 v[16:17], v[16:17], v[20:21]
	v_pk_fma_f32 v[20:21], v[2:3], v[148:149], v[18:19] op_sel:[0,0,1] op_sel_hi:[1,1,0] neg_lo:[0,0,1] neg_hi:[0,0,1]
	v_pk_fma_f32 v[2:3], v[2:3], v[148:149], v[18:19] op_sel:[0,0,1] op_sel_hi:[1,0,0]
	v_mov_b32_e32 v21, v3
	v_pk_add_f32 v[2:3], v[16:17], v[20:21]
	v_mov_b32_e32 v16, v147
	v_pk_mul_f32 v[16:17], v[4:5], v[16:17] op_sel_hi:[1,0]
	v_pk_fma_f32 v[18:19], v[4:5], v[146:147], v[16:17] op_sel:[0,0,1] op_sel_hi:[1,1,0] neg_lo:[0,0,1] neg_hi:[0,0,1]
	v_pk_fma_f32 v[4:5], v[4:5], v[146:147], v[16:17] op_sel:[0,0,1] op_sel_hi:[1,0,0]
	v_mov_b32_e32 v4, v145
	v_mov_b32_e32 v19, v5
	s_waitcnt lgkmcnt(2)
	v_pk_mul_f32 v[4:5], v[6:7], v[4:5] op_sel_hi:[1,0]
	v_pk_fma_f32 v[16:17], v[6:7], v[144:145], v[4:5] op_sel:[0,0,1] op_sel_hi:[1,1,0] neg_lo:[0,0,1] neg_hi:[0,0,1]
	v_pk_fma_f32 v[4:5], v[6:7], v[144:145], v[4:5] op_sel:[0,0,1] op_sel_hi:[1,0,0]
	s_waitcnt vmcnt(1)
	v_mov_b32_e32 v4, v159
	v_mov_b32_e32 v17, v5
	v_pk_mul_f32 v[4:5], v[8:9], v[4:5] op_sel_hi:[1,0]
	s_waitcnt vmcnt(0)
	v_pk_fma_f32 v[6:7], v[8:9], v[158:159], v[4:5] op_sel:[0,0,1] op_sel_hi:[1,1,0] neg_lo:[0,0,1] neg_hi:[0,0,1]
	v_pk_fma_f32 v[4:5], v[8:9], v[158:159], v[4:5] op_sel:[0,0,1] op_sel_hi:[1,0,0]
	v_pk_add_f32 v[2:3], v[2:3], v[18:19]
	v_mov_b32_e32 v4, v157
	v_pk_add_f32 v[2:3], v[2:3], v[16:17]
	v_mov_b32_e32 v7, v5
	s_waitcnt lgkmcnt(1)
	v_pk_mul_f32 v[4:5], v[10:11], v[4:5] op_sel_hi:[1,0]
	v_pk_add_f32 v[2:3], v[2:3], v[6:7]
	v_pk_fma_f32 v[6:7], v[10:11], v[156:157], v[4:5] op_sel:[0,0,1] op_sel_hi:[1,1,0] neg_lo:[0,0,1] neg_hi:[0,0,1]
	v_pk_fma_f32 v[4:5], v[10:11], v[156:157], v[4:5] op_sel:[0,0,1] op_sel_hi:[1,0,0]
	v_mov_b32_e32 v4, v155
	v_mov_b32_e32 v7, v5
	v_pk_mul_f32 v[4:5], v[12:13], v[4:5] op_sel_hi:[1,0]
	v_pk_add_f32 v[2:3], v[2:3], v[6:7]
	v_pk_fma_f32 v[6:7], v[12:13], v[154:155], v[4:5] op_sel:[0,0,1] op_sel_hi:[1,1,0] neg_lo:[0,0,1] neg_hi:[0,0,1]
	v_pk_fma_f32 v[4:5], v[12:13], v[154:155], v[4:5] op_sel:[0,0,1] op_sel_hi:[1,0,0]
	v_mov_b32_e32 v4, v153
	v_mov_b32_e32 v7, v5
	s_waitcnt lgkmcnt(0)
	v_pk_mul_f32 v[4:5], v[14:15], v[4:5] op_sel_hi:[1,0]
	v_pk_add_f32 v[2:3], v[2:3], v[6:7]
	v_pk_fma_f32 v[6:7], v[14:15], v[152:153], v[4:5] op_sel:[0,0,1] op_sel_hi:[1,1,0] neg_lo:[0,0,1] neg_hi:[0,0,1]
	v_pk_fma_f32 v[4:5], v[14:15], v[152:153], v[4:5] op_sel:[0,0,1] op_sel_hi:[1,0,0]
	v_mov_b32_e32 v7, v5
	v_pk_add_f32 v[2:3], v[2:3], v[6:7]
	v_pk_add_f32 v[2:3], v[50:51], v[2:3] neg_lo:[0,1] neg_hi:[0,1]
	buffer_store_dword v3, off, s[0:3], 0 offset:20
	buffer_store_dword v2, off, s[0:3], 0 offset:16
	s_and_saveexec_b64 s[4:5], vcc
	s_cbranch_execz .LBB57_359
; %bb.358:
	buffer_load_dword v2, off, s[0:3], 0 offset:8
	buffer_load_dword v3, off, s[0:3], 0 offset:12
	s_waitcnt vmcnt(0)
	ds_write_b64 v175, v[2:3]
	buffer_store_dword v52, off, s[0:3], 0 offset:8
	buffer_store_dword v52, off, s[0:3], 0 offset:12
.LBB57_359:
	s_or_b64 exec, exec, s[4:5]
	s_waitcnt lgkmcnt(0)
	; wave barrier
	s_waitcnt lgkmcnt(0)
	buffer_load_dword v58, off, s[0:3], 0 offset:20
	buffer_load_dword v57, off, s[0:3], 0 offset:28
	;; [unrolled: 1-line block ×40, first 2 shown]
	ds_read_b128 v[26:29], v52 offset:480
	ds_read_b128 v[22:25], v52 offset:496
	;; [unrolled: 1-line block ×7, first 2 shown]
	buffer_load_dword v91, off, s[0:3], 0 offset:168
	buffer_load_dword v92, off, s[0:3], 0 offset:172
	;; [unrolled: 1-line block ×10, first 2 shown]
	v_cmp_ne_u32_e32 vcc, 0, v0
	s_waitcnt vmcnt(49) lgkmcnt(6)
	v_mul_f32_e32 v30, v26, v58
	s_waitcnt vmcnt(48)
	v_mul_f32_e32 v31, v28, v57
	s_waitcnt vmcnt(47) lgkmcnt(5)
	v_mul_f32_e32 v33, v24, v56
	s_waitcnt vmcnt(46) lgkmcnt(4)
	v_mul_f32_e32 v34, v18, v55
	s_waitcnt vmcnt(45)
	v_mul_f32_e32 v35, v20, v53
	s_waitcnt vmcnt(44)
	v_mul_f32_e32 v32, v22, v59
	s_waitcnt vmcnt(43) lgkmcnt(3)
	v_mul_f32_e32 v36, v14, v54
	s_waitcnt vmcnt(42)
	v_mul_f32_e32 v37, v16, v60
	s_waitcnt vmcnt(41) lgkmcnt(2)
	;; [unrolled: 4-line block ×3, first 2 shown]
	v_mul_f32_e32 v40, v6, v63
	s_waitcnt vmcnt(38)
	v_mul_f32_e32 v41, v8, v64
	s_waitcnt vmcnt(37)
	v_fmac_f32_e32 v32, v23, v70
	s_waitcnt vmcnt(36)
	v_fmac_f32_e32 v31, v29, v73
	;; [unrolled: 2-line block ×3, first 2 shown]
	v_add_f32_e32 v30, 0, v30
	v_add_f32_e32 v30, v30, v31
	;; [unrolled: 1-line block ×3, first 2 shown]
	s_waitcnt vmcnt(31)
	v_fmac_f32_e32 v33, v25, v75
	v_fmac_f32_e32 v34, v19, v72
	v_add_f32_e32 v30, v30, v33
	v_fmac_f32_e32 v35, v21, v69
	v_add_f32_e32 v30, v30, v34
	;; [unrolled: 2-line block ×3, first 2 shown]
	s_waitcnt vmcnt(27)
	v_fmac_f32_e32 v37, v17, v71
	v_add_f32_e32 v30, v30, v36
	v_fmac_f32_e32 v38, v11, v68
	v_add_f32_e32 v30, v30, v37
	;; [unrolled: 2-line block ×4, first 2 shown]
	s_waitcnt vmcnt(23)
	v_fmac_f32_e32 v41, v9, v82
	v_add_f32_e32 v30, v30, v40
	v_add_f32_e32 v34, v30, v41
	ds_read_b128 v[30:33], v52 offset:592
	buffer_load_dword v167, off, s[0:3], 0 offset:208
	buffer_load_dword v168, off, s[0:3], 0 offset:212
	s_waitcnt vmcnt(24) lgkmcnt(1)
	v_mul_f32_e32 v35, v2, v81
	buffer_load_dword v169, off, s[0:3], 0 offset:216
	buffer_load_dword v170, off, s[0:3], 0 offset:220
	v_fmac_f32_e32 v35, v3, v79
	v_add_f32_e32 v34, v34, v35
	s_waitcnt vmcnt(25)
	v_mul_f32_e32 v35, v4, v80
	buffer_load_dword v171, off, s[0:3], 0 offset:224
	buffer_load_dword v172, off, s[0:3], 0 offset:228
	v_fmac_f32_e32 v35, v5, v77
	v_add_f32_e32 v34, v34, v35
	s_waitcnt vmcnt(26) lgkmcnt(0)
	v_mul_f32_e32 v35, v30, v78
	v_fmac_f32_e32 v35, v31, v74
	v_add_f32_e32 v38, v34, v35
	ds_read_b128 v[34:37], v52 offset:608
	buffer_load_dword v173, off, s[0:3], 0 offset:232
	buffer_load_dword v216, off, s[0:3], 0 offset:236
	s_waitcnt vmcnt(21)
	v_mul_f32_e32 v39, v32, v90
	s_waitcnt vmcnt(20)
	v_fmac_f32_e32 v39, v33, v89
	v_add_f32_e32 v42, v38, v39
	ds_read_b128 v[38:41], v52 offset:624
	buffer_load_dword v217, off, s[0:3], 0 offset:240
	buffer_load_dword v218, off, s[0:3], 0 offset:244
	;; [unrolled: 1-line block ×12, first 2 shown]
	s_waitcnt lgkmcnt(1)
	v_mul_f32_e32 v43, v34, v84
	v_fmac_f32_e32 v43, v35, v83
	buffer_load_dword v229, off, s[0:3], 0 offset:288
	buffer_load_dword v230, off, s[0:3], 0 offset:292
	v_add_f32_e32 v42, v42, v43
	v_mul_f32_e32 v43, v36, v86
	v_fmac_f32_e32 v43, v37, v85
	v_add_f32_e32 v42, v42, v43
	s_waitcnt lgkmcnt(0)
	v_mul_f32_e32 v43, v38, v88
	v_fmac_f32_e32 v43, v39, v87
	buffer_load_dword v231, off, s[0:3], 0 offset:296
	buffer_load_dword v232, off, s[0:3], 0 offset:300
	v_add_f32_e32 v42, v42, v43
	s_waitcnt vmcnt(32)
	v_mul_f32_e32 v43, v40, v92
	v_fmac_f32_e32 v43, v41, v91
	v_add_f32_e32 v96, v42, v43
	ds_read_b128 v[42:45], v52 offset:640
	buffer_load_dword v233, off, s[0:3], 0 offset:304
	buffer_load_dword v234, off, s[0:3], 0 offset:308
	ds_read_b128 v[46:49], v52 offset:656
	buffer_load_dword v235, off, s[0:3], 0 offset:312
	buffer_load_dword v236, off, s[0:3], 0 offset:316
	;; [unrolled: 1-line block ×14, first 2 shown]
	s_waitcnt vmcnt(46) lgkmcnt(1)
	v_mul_f32_e32 v97, v42, v94
	v_fmac_f32_e32 v97, v43, v93
	v_add_f32_e32 v96, v96, v97
	s_waitcnt vmcnt(44)
	v_mul_f32_e32 v97, v44, v1
	v_fmac_f32_e32 v97, v45, v95
	v_add_f32_e32 v96, v96, v97
	s_waitcnt vmcnt(42) lgkmcnt(0)
	v_mul_f32_e32 v97, v46, v146
	v_fmac_f32_e32 v97, v47, v144
	v_add_f32_e32 v100, v96, v97
	buffer_load_dword v249, off, s[0:3], 0 offset:368
	buffer_load_dword v250, off, s[0:3], 0 offset:372
	ds_read_b128 v[96:99], v52 offset:672
	s_waitcnt vmcnt(42)
	v_mul_f32_e32 v101, v48, v166
	v_fmac_f32_e32 v101, v49, v154
	buffer_load_dword v251, off, s[0:3], 0 offset:376
	buffer_load_dword v252, off, s[0:3], 0 offset:380
	v_add_f32_e32 v104, v100, v101
	buffer_load_dword v253, off, s[0:3], 0 offset:384
	buffer_load_dword v254, off, s[0:3], 0 offset:388
	ds_read_b128 v[100:103], v52 offset:688
	buffer_load_dword v255, off, s[0:3], 0 offset:392
	buffer_load_dword v174, off, s[0:3], 0 offset:396
	v_mul_f32_e32 v27, v27, v58
	v_fma_f32 v26, v26, v76, -v27
	v_mul_f32_e32 v27, v29, v57
	v_add_f32_e32 v26, 0, v26
	v_fma_f32 v27, v28, v73, -v27
	v_mul_f32_e32 v23, v23, v59
	v_add_f32_e32 v26, v26, v27
	;; [unrolled: 3-line block ×4, first 2 shown]
	v_fma_f32 v18, v18, v72, -v19
	s_waitcnt vmcnt(46) lgkmcnt(1)
	v_mul_f32_e32 v105, v96, v168
	v_fmac_f32_e32 v105, v97, v167
	v_add_f32_e32 v104, v104, v105
	s_waitcnt vmcnt(44)
	v_mul_f32_e32 v105, v98, v170
	v_fmac_f32_e32 v105, v99, v169
	v_add_f32_e32 v104, v104, v105
	s_waitcnt vmcnt(42) lgkmcnt(0)
	v_mul_f32_e32 v105, v100, v172
	v_fmac_f32_e32 v105, v101, v171
	v_add_f32_e32 v108, v104, v105
	ds_read_b128 v[104:107], v52 offset:704
	v_mul_f32_e32 v19, v21, v53
	v_add_f32_e32 v18, v22, v18
	v_fma_f32 v19, v20, v69, -v19
	s_waitcnt vmcnt(40)
	v_mul_f32_e32 v109, v102, v216
	v_fmac_f32_e32 v109, v103, v173
	v_add_f32_e32 v112, v108, v109
	ds_read_b128 v[108:111], v52 offset:720
	v_mul_f32_e32 v15, v15, v54
	s_waitcnt vmcnt(38) lgkmcnt(1)
	v_mul_f32_e32 v113, v104, v218
	v_fmac_f32_e32 v113, v105, v217
	v_add_f32_e32 v112, v112, v113
	s_waitcnt vmcnt(36)
	v_mul_f32_e32 v113, v106, v220
	v_fmac_f32_e32 v113, v107, v219
	v_add_f32_e32 v112, v112, v113
	s_waitcnt vmcnt(34) lgkmcnt(0)
	v_mul_f32_e32 v113, v108, v222
	v_fmac_f32_e32 v113, v109, v221
	v_add_f32_e32 v116, v112, v113
	ds_read_b128 v[112:115], v52 offset:736
	s_waitcnt vmcnt(32)
	v_mul_f32_e32 v117, v110, v224
	v_fmac_f32_e32 v117, v111, v223
	v_add_f32_e32 v120, v116, v117
	ds_read_b128 v[116:119], v52 offset:752
	s_waitcnt vmcnt(30) lgkmcnt(1)
	v_mul_f32_e32 v121, v112, v226
	v_fmac_f32_e32 v121, v113, v225
	v_add_f32_e32 v120, v120, v121
	s_waitcnt vmcnt(28)
	v_mul_f32_e32 v121, v114, v228
	v_fmac_f32_e32 v121, v115, v227
	v_add_f32_e32 v120, v120, v121
	s_waitcnt vmcnt(26) lgkmcnt(0)
	v_mul_f32_e32 v121, v116, v230
	v_fmac_f32_e32 v121, v117, v229
	v_add_f32_e32 v124, v120, v121
	ds_read_b128 v[120:123], v52 offset:768
	s_waitcnt vmcnt(24)
	v_mul_f32_e32 v125, v118, v232
	v_fmac_f32_e32 v125, v119, v231
	v_add_f32_e32 v128, v124, v125
	ds_read_b128 v[124:127], v52 offset:784
	;; [unrolled: 18-line block ×3, first 2 shown]
	s_waitcnt vmcnt(14) lgkmcnt(1)
	v_mul_f32_e32 v137, v128, v242
	v_fmac_f32_e32 v137, v129, v241
	v_add_f32_e32 v136, v136, v137
	s_waitcnt vmcnt(12)
	v_mul_f32_e32 v137, v130, v244
	v_fmac_f32_e32 v137, v131, v243
	v_add_f32_e32 v136, v136, v137
	s_waitcnt vmcnt(10) lgkmcnt(0)
	v_mul_f32_e32 v137, v132, v246
	v_fmac_f32_e32 v137, v133, v245
	s_waitcnt vmcnt(8)
	v_mul_f32_e32 v141, v134, v248
	v_add_f32_e32 v140, v136, v137
	v_fmac_f32_e32 v141, v135, v247
	ds_read_b128 v[136:139], v52 offset:832
	v_add_f32_e32 v145, v140, v141
	ds_read_b128 v[140:143], v52 offset:848
	buffer_load_dword v149, off, s[0:3], 0 offset:420
	buffer_load_dword v148, off, s[0:3], 0 offset:416
	;; [unrolled: 1-line block ×6, first 2 shown]
	v_add_f32_e32 v18, v18, v19
	v_fma_f32 v14, v14, v67, -v15
	v_mul_f32_e32 v15, v17, v60
	v_add_f32_e32 v14, v18, v14
	v_fma_f32 v15, v16, v71, -v15
	v_mul_f32_e32 v11, v11, v61
	;; [unrolled: 3-line block ×5, first 2 shown]
	buffer_load_dword v157, off, s[0:3], 0 offset:452
	buffer_load_dword v156, off, s[0:3], 0 offset:448
	;; [unrolled: 1-line block ×10, first 2 shown]
	v_add_f32_e32 v6, v10, v6
	v_fma_f32 v7, v8, v82, -v7
	v_mul_f32_e32 v3, v3, v81
	v_add_f32_e32 v6, v6, v7
	v_fma_f32 v2, v2, v79, -v3
	v_mul_f32_e32 v3, v5, v80
	v_add_f32_e32 v2, v6, v2
	v_fma_f32 v3, v4, v77, -v3
	v_add_f32_e32 v2, v2, v3
	v_mul_f32_e32 v3, v31, v78
	v_fma_f32 v3, v30, v74, -v3
	v_add_f32_e32 v2, v2, v3
	v_mul_f32_e32 v3, v33, v90
	;; [unrolled: 3-line block ×7, first 2 shown]
	v_fma_f32 v3, v42, v93, -v3
	v_mul_f32_e32 v1, v45, v1
	v_add_f32_e32 v2, v2, v3
	v_fma_f32 v1, v44, v95, -v1
	v_add_f32_e32 v1, v2, v1
	v_mul_f32_e32 v2, v47, v146
	v_fma_f32 v2, v46, v144, -v2
	v_add_f32_e32 v1, v1, v2
	v_mul_f32_e32 v2, v49, v166
	;; [unrolled: 3-line block ×22, first 2 shown]
	v_fma_f32 v2, v134, v247, -v2
	v_add_f32_e32 v1, v1, v2
	s_waitcnt vmcnt(22) lgkmcnt(1)
	v_mul_f32_e32 v2, v137, v250
	v_mul_f32_e32 v147, v136, v250
	v_fma_f32 v2, v136, v249, -v2
	v_fmac_f32_e32 v147, v137, v249
	v_add_f32_e32 v1, v1, v2
	s_waitcnt vmcnt(20)
	v_mul_f32_e32 v2, v139, v252
	v_add_f32_e32 v145, v145, v147
	v_mul_f32_e32 v147, v138, v252
	v_fma_f32 v2, v138, v251, -v2
	v_fmac_f32_e32 v147, v139, v251
	v_add_f32_e32 v144, v1, v2
	ds_read_b128 v[2:5], v52 offset:864
	ds_read_b128 v[6:9], v52 offset:880
	;; [unrolled: 1-line block ×4, first 2 shown]
	v_add_f32_e32 v145, v145, v147
	s_waitcnt vmcnt(18) lgkmcnt(4)
	v_mul_f32_e32 v147, v140, v254
	v_mul_f32_e32 v1, v141, v254
	s_waitcnt vmcnt(11)
	v_mov_b32_e32 v20, v153
	v_fmac_f32_e32 v147, v141, v253
	v_mul_f32_e32 v155, v142, v174
	v_fma_f32 v146, v140, v253, -v1
	v_mul_f32_e32 v1, v143, v174
	s_waitcnt lgkmcnt(3)
	v_pk_mul_f32 v[20:21], v[2:3], v[20:21] op_sel_hi:[1,0]
	v_fmac_f32_e32 v155, v143, v255
	v_fma_f32 v154, v142, v255, -v1
	v_pk_add_f32 v[18:19], v[144:145], v[146:147]
	s_waitcnt vmcnt(10)
	v_pk_fma_f32 v[22:23], v[2:3], v[152:153], v[20:21] op_sel:[0,0,1] op_sel_hi:[1,1,0] neg_lo:[0,0,1] neg_hi:[0,0,1]
	v_pk_fma_f32 v[2:3], v[2:3], v[152:153], v[20:21] op_sel:[0,0,1] op_sel_hi:[1,0,0]
	v_pk_add_f32 v[18:19], v[18:19], v[154:155]
	v_mov_b32_e32 v23, v3
	v_pk_add_f32 v[2:3], v[18:19], v[22:23]
	v_mov_b32_e32 v18, v151
	v_pk_mul_f32 v[18:19], v[4:5], v[18:19] op_sel_hi:[1,0]
	v_pk_fma_f32 v[20:21], v[4:5], v[150:151], v[18:19] op_sel:[0,0,1] op_sel_hi:[1,1,0] neg_lo:[0,0,1] neg_hi:[0,0,1]
	v_pk_fma_f32 v[4:5], v[4:5], v[150:151], v[18:19] op_sel:[0,0,1] op_sel_hi:[1,0,0]
	v_mov_b32_e32 v4, v149
	v_mov_b32_e32 v21, v5
	s_waitcnt lgkmcnt(2)
	v_pk_mul_f32 v[4:5], v[6:7], v[4:5] op_sel_hi:[1,0]
	v_pk_fma_f32 v[18:19], v[6:7], v[148:149], v[4:5] op_sel:[0,0,1] op_sel_hi:[1,1,0] neg_lo:[0,0,1] neg_hi:[0,0,1]
	v_pk_fma_f32 v[4:5], v[6:7], v[148:149], v[4:5] op_sel:[0,0,1] op_sel_hi:[1,0,0]
	s_waitcnt vmcnt(3)
	v_mov_b32_e32 v4, v163
	v_mov_b32_e32 v19, v5
	v_pk_mul_f32 v[4:5], v[8:9], v[4:5] op_sel_hi:[1,0]
	s_waitcnt vmcnt(2)
	v_pk_fma_f32 v[6:7], v[8:9], v[162:163], v[4:5] op_sel:[0,0,1] op_sel_hi:[1,1,0] neg_lo:[0,0,1] neg_hi:[0,0,1]
	v_pk_fma_f32 v[4:5], v[8:9], v[162:163], v[4:5] op_sel:[0,0,1] op_sel_hi:[1,0,0]
	v_pk_add_f32 v[2:3], v[2:3], v[20:21]
	v_mov_b32_e32 v4, v161
	v_pk_add_f32 v[2:3], v[2:3], v[18:19]
	v_mov_b32_e32 v7, v5
	s_waitcnt lgkmcnt(1)
	v_pk_mul_f32 v[4:5], v[10:11], v[4:5] op_sel_hi:[1,0]
	v_pk_add_f32 v[2:3], v[2:3], v[6:7]
	v_pk_fma_f32 v[6:7], v[10:11], v[160:161], v[4:5] op_sel:[0,0,1] op_sel_hi:[1,1,0] neg_lo:[0,0,1] neg_hi:[0,0,1]
	v_pk_fma_f32 v[4:5], v[10:11], v[160:161], v[4:5] op_sel:[0,0,1] op_sel_hi:[1,0,0]
	v_mov_b32_e32 v4, v159
	v_mov_b32_e32 v7, v5
	v_pk_mul_f32 v[4:5], v[12:13], v[4:5] op_sel_hi:[1,0]
	v_pk_add_f32 v[2:3], v[2:3], v[6:7]
	v_pk_fma_f32 v[6:7], v[12:13], v[158:159], v[4:5] op_sel:[0,0,1] op_sel_hi:[1,1,0] neg_lo:[0,0,1] neg_hi:[0,0,1]
	v_pk_fma_f32 v[4:5], v[12:13], v[158:159], v[4:5] op_sel:[0,0,1] op_sel_hi:[1,0,0]
	v_mov_b32_e32 v4, v157
	v_mov_b32_e32 v7, v5
	s_waitcnt lgkmcnt(0)
	v_pk_mul_f32 v[4:5], v[14:15], v[4:5] op_sel_hi:[1,0]
	v_pk_add_f32 v[2:3], v[2:3], v[6:7]
	v_pk_fma_f32 v[6:7], v[14:15], v[156:157], v[4:5] op_sel:[0,0,1] op_sel_hi:[1,1,0] neg_lo:[0,0,1] neg_hi:[0,0,1]
	v_pk_fma_f32 v[4:5], v[14:15], v[156:157], v[4:5] op_sel:[0,0,1] op_sel_hi:[1,0,0]
	s_waitcnt vmcnt(1)
	v_mov_b32_e32 v4, v165
	v_mov_b32_e32 v7, v5
	v_pk_mul_f32 v[4:5], v[16:17], v[4:5] op_sel_hi:[1,0]
	v_pk_add_f32 v[2:3], v[2:3], v[6:7]
	s_waitcnt vmcnt(0)
	v_pk_fma_f32 v[6:7], v[16:17], v[164:165], v[4:5] op_sel:[0,0,1] op_sel_hi:[1,1,0] neg_lo:[0,0,1] neg_hi:[0,0,1]
	v_pk_fma_f32 v[4:5], v[16:17], v[164:165], v[4:5] op_sel:[0,0,1] op_sel_hi:[1,0,0]
	v_mov_b32_e32 v7, v5
	v_pk_add_f32 v[2:3], v[2:3], v[6:7]
	v_pk_add_f32 v[2:3], v[50:51], v[2:3] neg_lo:[0,1] neg_hi:[0,1]
	buffer_store_dword v3, off, s[0:3], 0 offset:12
	buffer_store_dword v2, off, s[0:3], 0 offset:8
	s_and_saveexec_b64 s[4:5], vcc
	s_cbranch_execz .LBB57_361
; %bb.360:
	buffer_load_dword v2, off, s[0:3], 0
	buffer_load_dword v3, off, s[0:3], 0 offset:4
	v_mov_b32_e32 v0, 0
	buffer_store_dword v0, off, s[0:3], 0
	buffer_store_dword v0, off, s[0:3], 0 offset:4
	s_waitcnt vmcnt(2)
	ds_write_b64 v175, v[2:3]
.LBB57_361:
	s_or_b64 exec, exec, s[4:5]
	v_mov_b32_e32 v240, 0
	s_waitcnt lgkmcnt(0)
	; wave barrier
	s_waitcnt lgkmcnt(0)
	ds_read2_b64 v[0:3], v240 offset0:59 offset1:60
	buffer_load_dword v216, off, s[0:3], 0
	buffer_load_dword v217, off, s[0:3], 0 offset:4
	buffer_load_dword v218, off, s[0:3], 0 offset:8
	;; [unrolled: 1-line block ×15, first 2 shown]
	s_and_b64 vcc, exec, s[20:21]
	s_waitcnt vmcnt(12) lgkmcnt(0)
	v_mul_f32_e32 v4, v0, v241
	v_fmac_f32_e32 v4, v1, v218
	s_waitcnt vmcnt(10)
	v_mul_f32_e32 v5, v2, v243
	v_add_f32_e32 v4, 0, v4
	v_fmac_f32_e32 v5, v3, v220
	v_add_f32_e32 v8, v4, v5
	ds_read2_b64 v[4:7], v240 offset0:61 offset1:62
	v_mul_f32_e32 v1, v1, v241
	v_fma_f32 v0, v0, v218, -v1
	v_mul_f32_e32 v1, v3, v243
	v_add_f32_e32 v0, 0, v0
	s_waitcnt vmcnt(8) lgkmcnt(0)
	v_mul_f32_e32 v9, v4, v245
	v_fmac_f32_e32 v9, v5, v224
	v_add_f32_e32 v8, v8, v9
	s_waitcnt vmcnt(6)
	v_mul_f32_e32 v9, v6, v247
	v_fmac_f32_e32 v9, v7, v242
	v_add_f32_e32 v12, v8, v9
	ds_read2_b64 v[8:11], v240 offset0:63 offset1:64
	v_fma_f32 v1, v2, v220, -v1
	v_add_f32_e32 v0, v0, v1
	v_mul_f32_e32 v1, v5, v245
	v_fma_f32 v1, v4, v224, -v1
	s_waitcnt vmcnt(4) lgkmcnt(0)
	v_mul_f32_e32 v13, v8, v249
	v_fmac_f32_e32 v13, v9, v244
	v_add_f32_e32 v12, v12, v13
	s_waitcnt vmcnt(2)
	v_mul_f32_e32 v13, v10, v250
	v_fmac_f32_e32 v13, v11, v246
	v_add_f32_e32 v16, v12, v13
	ds_read2_b64 v[12:15], v240 offset0:65 offset1:66
	buffer_load_dword v252, off, s[0:3], 0 offset:64
	buffer_load_dword v253, off, s[0:3], 0 offset:68
	v_add_f32_e32 v0, v0, v1
	v_mul_f32_e32 v1, v7, v247
	v_fma_f32 v1, v6, v242, -v1
	s_waitcnt vmcnt(2) lgkmcnt(0)
	v_mul_f32_e32 v17, v12, v251
	v_fmac_f32_e32 v17, v13, v248
	v_add_f32_e32 v16, v16, v17
	v_add_f32_e32 v0, v0, v1
	v_mul_f32_e32 v1, v9, v249
	v_fma_f32 v1, v8, v244, -v1
	v_add_f32_e32 v0, v0, v1
	v_mul_f32_e32 v1, v11, v250
	v_fma_f32 v1, v10, v246, -v1
	;; [unrolled: 3-line block ×3, first 2 shown]
	v_add_f32_e32 v0, v0, v1
	s_waitcnt vmcnt(0)
	v_mul_f32_e32 v17, v14, v253
	v_fmac_f32_e32 v17, v15, v252
	v_add_f32_e32 v20, v16, v17
	ds_read2_b64 v[16:19], v240 offset0:67 offset1:68
	buffer_load_dword v254, off, s[0:3], 0 offset:72
	buffer_load_dword v255, off, s[0:3], 0 offset:76
	;; [unrolled: 1-line block ×4, first 2 shown]
	v_mul_f32_e32 v1, v15, v253
	v_fma_f32 v1, v14, v252, -v1
	v_add_f32_e32 v0, v0, v1
	s_waitcnt vmcnt(2) lgkmcnt(0)
	v_mul_f32_e32 v21, v16, v255
	v_fmac_f32_e32 v21, v17, v254
	v_add_f32_e32 v20, v20, v21
	s_waitcnt vmcnt(0)
	v_mul_f32_e32 v21, v18, v101
	v_fmac_f32_e32 v21, v19, v100
	v_add_f32_e32 v24, v20, v21
	ds_read2_b64 v[20:23], v240 offset0:69 offset1:70
	buffer_load_dword v102, off, s[0:3], 0 offset:88
	buffer_load_dword v103, off, s[0:3], 0 offset:92
	buffer_load_dword v104, off, s[0:3], 0 offset:96
	buffer_load_dword v105, off, s[0:3], 0 offset:100
	v_mul_f32_e32 v1, v17, v255
	v_fma_f32 v1, v16, v254, -v1
	v_add_f32_e32 v0, v0, v1
	v_mul_f32_e32 v1, v19, v101
	v_fma_f32 v1, v18, v100, -v1
	v_add_f32_e32 v0, v0, v1
	s_waitcnt vmcnt(2) lgkmcnt(0)
	v_mul_f32_e32 v25, v20, v103
	v_fmac_f32_e32 v25, v21, v102
	v_add_f32_e32 v24, v24, v25
	s_waitcnt vmcnt(0)
	v_mul_f32_e32 v25, v22, v105
	v_fmac_f32_e32 v25, v23, v104
	v_add_f32_e32 v28, v24, v25
	ds_read2_b64 v[24:27], v240 offset0:71 offset1:72
	buffer_load_dword v106, off, s[0:3], 0 offset:104
	buffer_load_dword v107, off, s[0:3], 0 offset:108
	buffer_load_dword v108, off, s[0:3], 0 offset:112
	buffer_load_dword v109, off, s[0:3], 0 offset:116
	v_mul_f32_e32 v1, v21, v103
	v_fma_f32 v1, v20, v102, -v1
	v_add_f32_e32 v0, v0, v1
	;; [unrolled: 19-line block ×6, first 2 shown]
	v_mul_f32_e32 v1, v39, v121
	v_fma_f32 v1, v38, v120, -v1
	v_add_f32_e32 v0, v0, v1
	s_waitcnt vmcnt(2) lgkmcnt(0)
	v_mul_f32_e32 v45, v40, v123
	v_fmac_f32_e32 v45, v41, v122
	v_add_f32_e32 v44, v44, v45
	s_waitcnt vmcnt(0)
	v_mul_f32_e32 v45, v42, v125
	v_fmac_f32_e32 v45, v43, v124
	v_add_f32_e32 v48, v44, v45
	ds_read2_b64 v[44:47], v240 offset0:81 offset1:82
	buffer_load_dword v126, off, s[0:3], 0 offset:184
	buffer_load_dword v127, off, s[0:3], 0 offset:188
	buffer_load_dword v128, off, s[0:3], 0 offset:192
	buffer_load_dword v129, off, s[0:3], 0 offset:196
	ds_read2_b64 v[52:55], v240 offset0:83 offset1:84
	buffer_load_dword v130, off, s[0:3], 0 offset:200
	buffer_load_dword v131, off, s[0:3], 0 offset:204
	buffer_load_dword v132, off, s[0:3], 0 offset:208
	buffer_load_dword v133, off, s[0:3], 0 offset:212
	;; [unrolled: 5-line block ×13, first 2 shown]
	v_mul_f32_e32 v1, v41, v123
	v_fma_f32 v1, v40, v122, -v1
	v_add_f32_e32 v0, v0, v1
	v_mul_f32_e32 v1, v43, v125
	v_fma_f32 v1, v42, v124, -v1
	v_add_f32_e32 v0, v0, v1
	s_waitcnt vmcnt(50) lgkmcnt(12)
	v_mul_f32_e32 v49, v44, v127
	v_fmac_f32_e32 v49, v45, v126
	v_add_f32_e32 v48, v48, v49
	s_waitcnt vmcnt(48)
	v_mul_f32_e32 v49, v46, v129
	v_fmac_f32_e32 v49, v47, v128
	v_add_f32_e32 v48, v48, v49
	s_waitcnt vmcnt(46) lgkmcnt(11)
	v_mul_f32_e32 v49, v52, v131
	v_fmac_f32_e32 v49, v53, v130
	v_add_f32_e32 v48, v48, v49
	s_waitcnt vmcnt(44)
	v_mul_f32_e32 v49, v54, v133
	v_fmac_f32_e32 v49, v55, v132
	v_add_f32_e32 v48, v48, v49
	s_waitcnt vmcnt(42) lgkmcnt(10)
	v_mul_f32_e32 v49, v56, v135
	v_fmac_f32_e32 v49, v57, v134
	v_add_f32_e32 v48, v48, v49
	s_waitcnt vmcnt(40)
	v_mul_f32_e32 v49, v58, v137
	v_fmac_f32_e32 v49, v59, v136
	v_add_f32_e32 v48, v48, v49
	s_waitcnt vmcnt(38) lgkmcnt(9)
	v_mul_f32_e32 v49, v60, v139
	v_fmac_f32_e32 v49, v61, v138
	v_add_f32_e32 v48, v48, v49
	s_waitcnt vmcnt(36)
	v_mul_f32_e32 v49, v62, v141
	v_fmac_f32_e32 v49, v63, v140
	v_add_f32_e32 v48, v48, v49
	s_waitcnt vmcnt(34) lgkmcnt(8)
	v_mul_f32_e32 v49, v64, v143
	v_fmac_f32_e32 v49, v65, v142
	v_add_f32_e32 v48, v48, v49
	s_waitcnt vmcnt(32)
	v_mul_f32_e32 v49, v66, v145
	v_fmac_f32_e32 v49, v67, v144
	v_add_f32_e32 v48, v48, v49
	s_waitcnt vmcnt(30) lgkmcnt(7)
	v_mul_f32_e32 v49, v68, v147
	v_fmac_f32_e32 v49, v69, v146
	v_add_f32_e32 v48, v48, v49
	s_waitcnt vmcnt(28)
	v_mul_f32_e32 v49, v70, v149
	v_fmac_f32_e32 v49, v71, v148
	v_add_f32_e32 v48, v48, v49
	s_waitcnt vmcnt(26) lgkmcnt(6)
	v_mul_f32_e32 v49, v72, v151
	v_fmac_f32_e32 v49, v73, v150
	v_add_f32_e32 v48, v48, v49
	s_waitcnt vmcnt(24)
	v_mul_f32_e32 v49, v74, v153
	v_fmac_f32_e32 v49, v75, v152
	v_add_f32_e32 v48, v48, v49
	s_waitcnt vmcnt(22) lgkmcnt(5)
	v_mul_f32_e32 v49, v76, v155
	v_fmac_f32_e32 v49, v77, v154
	v_add_f32_e32 v48, v48, v49
	s_waitcnt vmcnt(20)
	v_mul_f32_e32 v49, v78, v157
	v_fmac_f32_e32 v49, v79, v156
	v_add_f32_e32 v48, v48, v49
	s_waitcnt vmcnt(18) lgkmcnt(4)
	v_mul_f32_e32 v49, v80, v159
	v_fmac_f32_e32 v49, v81, v158
	v_add_f32_e32 v48, v48, v49
	s_waitcnt vmcnt(16)
	v_mul_f32_e32 v49, v82, v161
	v_fmac_f32_e32 v49, v83, v160
	v_add_f32_e32 v48, v48, v49
	s_waitcnt vmcnt(14) lgkmcnt(3)
	v_mul_f32_e32 v49, v84, v163
	v_fmac_f32_e32 v49, v85, v162
	v_add_f32_e32 v48, v48, v49
	s_waitcnt vmcnt(12)
	v_mul_f32_e32 v49, v86, v165
	v_fmac_f32_e32 v49, v87, v164
	v_add_f32_e32 v48, v48, v49
	s_waitcnt vmcnt(10) lgkmcnt(2)
	v_mul_f32_e32 v49, v88, v167
	v_fmac_f32_e32 v49, v89, v166
	v_add_f32_e32 v48, v48, v49
	s_waitcnt vmcnt(8)
	v_mul_f32_e32 v49, v90, v169
	v_fmac_f32_e32 v49, v91, v168
	v_add_f32_e32 v48, v48, v49
	s_waitcnt vmcnt(6) lgkmcnt(1)
	v_mul_f32_e32 v49, v92, v171
	v_fmac_f32_e32 v49, v93, v170
	v_add_f32_e32 v48, v48, v49
	s_waitcnt vmcnt(4)
	v_mul_f32_e32 v49, v94, v173
	v_fmac_f32_e32 v49, v95, v172
	v_add_f32_e32 v48, v48, v49
	s_waitcnt vmcnt(2) lgkmcnt(0)
	v_mul_f32_e32 v49, v96, v175
	v_fmac_f32_e32 v49, v97, v174
	v_add_f32_e32 v219, v48, v49
	ds_read2_b64 v[48:51], v240 offset0:107 offset1:108
	buffer_load_dword v178, off, s[0:3], 0 offset:392
	buffer_load_dword v179, off, s[0:3], 0 offset:396
	;; [unrolled: 1-line block ×18, first 2 shown]
	v_mul_f32_e32 v1, v45, v127
	v_fma_f32 v1, v44, v126, -v1
	v_add_f32_e32 v0, v0, v1
	v_mul_f32_e32 v1, v47, v129
	v_fma_f32 v1, v46, v128, -v1
	v_add_f32_e32 v0, v0, v1
	v_mul_f32_e32 v1, v53, v131
	v_fma_f32 v1, v52, v130, -v1
	v_add_f32_e32 v0, v0, v1
	v_mul_f32_e32 v1, v55, v133
	v_fma_f32 v1, v54, v132, -v1
	v_add_f32_e32 v0, v0, v1
	v_mul_f32_e32 v1, v57, v135
	v_fma_f32 v1, v56, v134, -v1
	v_add_f32_e32 v0, v0, v1
	v_mul_f32_e32 v1, v59, v137
	v_fma_f32 v1, v58, v136, -v1
	v_add_f32_e32 v0, v0, v1
	v_mul_f32_e32 v1, v61, v139
	v_fma_f32 v1, v60, v138, -v1
	v_add_f32_e32 v0, v0, v1
	v_mul_f32_e32 v1, v63, v141
	v_fma_f32 v1, v62, v140, -v1
	v_add_f32_e32 v0, v0, v1
	v_mul_f32_e32 v1, v65, v143
	v_fma_f32 v1, v64, v142, -v1
	v_add_f32_e32 v0, v0, v1
	v_mul_f32_e32 v1, v67, v145
	v_fma_f32 v1, v66, v144, -v1
	v_add_f32_e32 v0, v0, v1
	v_mul_f32_e32 v1, v69, v147
	v_fma_f32 v1, v68, v146, -v1
	v_add_f32_e32 v0, v0, v1
	v_mul_f32_e32 v1, v71, v149
	v_fma_f32 v1, v70, v148, -v1
	v_add_f32_e32 v0, v0, v1
	v_mul_f32_e32 v1, v73, v151
	v_fma_f32 v1, v72, v150, -v1
	v_add_f32_e32 v0, v0, v1
	v_mul_f32_e32 v1, v75, v153
	v_fma_f32 v1, v74, v152, -v1
	v_add_f32_e32 v0, v0, v1
	v_mul_f32_e32 v1, v77, v155
	v_fma_f32 v1, v76, v154, -v1
	v_add_f32_e32 v0, v0, v1
	v_mul_f32_e32 v1, v79, v157
	v_fma_f32 v1, v78, v156, -v1
	v_add_f32_e32 v0, v0, v1
	v_mul_f32_e32 v1, v81, v159
	v_fma_f32 v1, v80, v158, -v1
	v_add_f32_e32 v0, v0, v1
	v_mul_f32_e32 v1, v83, v161
	v_fma_f32 v1, v82, v160, -v1
	v_add_f32_e32 v0, v0, v1
	v_mul_f32_e32 v1, v85, v163
	v_fma_f32 v1, v84, v162, -v1
	v_add_f32_e32 v0, v0, v1
	v_mul_f32_e32 v1, v87, v165
	v_fma_f32 v1, v86, v164, -v1
	v_add_f32_e32 v0, v0, v1
	v_mul_f32_e32 v1, v89, v167
	v_fma_f32 v1, v88, v166, -v1
	v_add_f32_e32 v0, v0, v1
	v_mul_f32_e32 v1, v91, v169
	v_fma_f32 v1, v90, v168, -v1
	v_add_f32_e32 v0, v0, v1
	v_mul_f32_e32 v1, v93, v171
	v_fma_f32 v1, v92, v170, -v1
	v_add_f32_e32 v0, v0, v1
	v_mul_f32_e32 v1, v95, v173
	v_fma_f32 v1, v94, v172, -v1
	v_add_f32_e32 v0, v0, v1
	v_mul_f32_e32 v1, v97, v175
	v_fma_f32 v1, v96, v174, -v1
	v_add_f32_e32 v218, v0, v1
	s_waitcnt vmcnt(18)
	v_mul_f32_e32 v0, v99, v177
	s_waitcnt vmcnt(15)
	v_mov_b32_e32 v16, v223
	v_mul_f32_e32 v221, v98, v177
	v_fma_f32 v220, v98, v176, -v0
	s_waitcnt lgkmcnt(0)
	v_mul_f32_e32 v0, v49, v179
	v_pk_mul_f32 v[16:17], v[50:51], v[16:17] op_sel_hi:[1,0]
	v_fmac_f32_e32 v221, v99, v176
	v_mul_f32_e32 v225, v48, v179
	v_fma_f32 v224, v48, v178, -v0
	ds_read2_b64 v[0:3], v240 offset0:109 offset1:110
	ds_read2_b64 v[4:7], v240 offset0:111 offset1:112
	;; [unrolled: 1-line block ×3, first 2 shown]
	ds_read_b64 v[12:13], v240 offset:920
	s_waitcnt vmcnt(14)
	v_pk_fma_f32 v[18:19], v[50:51], v[222:223], v[16:17] op_sel:[0,0,1] op_sel_hi:[1,1,0] neg_lo:[0,0,1] neg_hi:[0,0,1]
	v_pk_fma_f32 v[16:17], v[50:51], v[222:223], v[16:17] op_sel:[0,0,1] op_sel_hi:[1,0,0]
	v_fmac_f32_e32 v225, v49, v178
	v_pk_add_f32 v[14:15], v[218:219], v[220:221]
	s_waitcnt vmcnt(13)
	v_mov_b32_e32 v16, v239
	v_pk_add_f32 v[14:15], v[14:15], v[224:225]
	v_mov_b32_e32 v19, v17
	s_waitcnt lgkmcnt(3)
	v_pk_mul_f32 v[16:17], v[0:1], v[16:17] op_sel_hi:[1,0]
	v_pk_add_f32 v[14:15], v[14:15], v[18:19]
	s_waitcnt vmcnt(12)
	v_pk_fma_f32 v[18:19], v[0:1], v[238:239], v[16:17] op_sel:[0,0,1] op_sel_hi:[1,1,0] neg_lo:[0,0,1] neg_hi:[0,0,1]
	v_pk_fma_f32 v[0:1], v[0:1], v[238:239], v[16:17] op_sel:[0,0,1] op_sel_hi:[1,0,0]
	v_mov_b32_e32 v19, v1
	v_pk_add_f32 v[0:1], v[14:15], v[18:19]
	s_waitcnt vmcnt(11)
	v_mov_b32_e32 v14, v237
	v_pk_mul_f32 v[14:15], v[2:3], v[14:15] op_sel_hi:[1,0]
	s_waitcnt vmcnt(10)
	v_pk_fma_f32 v[16:17], v[2:3], v[236:237], v[14:15] op_sel:[0,0,1] op_sel_hi:[1,1,0] neg_lo:[0,0,1] neg_hi:[0,0,1]
	v_pk_fma_f32 v[2:3], v[2:3], v[236:237], v[14:15] op_sel:[0,0,1] op_sel_hi:[1,0,0]
	s_waitcnt vmcnt(9)
	v_mov_b32_e32 v2, v235
	v_mov_b32_e32 v17, v3
	s_waitcnt lgkmcnt(2)
	v_pk_mul_f32 v[2:3], v[4:5], v[2:3] op_sel_hi:[1,0]
	s_waitcnt vmcnt(8)
	v_pk_fma_f32 v[14:15], v[4:5], v[234:235], v[2:3] op_sel:[0,0,1] op_sel_hi:[1,1,0] neg_lo:[0,0,1] neg_hi:[0,0,1]
	v_pk_fma_f32 v[2:3], v[4:5], v[234:235], v[2:3] op_sel:[0,0,1] op_sel_hi:[1,0,0]
	s_waitcnt vmcnt(7)
	v_mov_b32_e32 v2, v233
	v_mov_b32_e32 v15, v3
	v_pk_mul_f32 v[2:3], v[6:7], v[2:3] op_sel_hi:[1,0]
	s_waitcnt vmcnt(6)
	v_pk_fma_f32 v[4:5], v[6:7], v[232:233], v[2:3] op_sel:[0,0,1] op_sel_hi:[1,1,0] neg_lo:[0,0,1] neg_hi:[0,0,1]
	v_pk_fma_f32 v[2:3], v[6:7], v[232:233], v[2:3] op_sel:[0,0,1] op_sel_hi:[1,0,0]
	v_pk_add_f32 v[0:1], v[0:1], v[16:17]
	s_waitcnt vmcnt(5)
	v_mov_b32_e32 v2, v231
	v_pk_add_f32 v[0:1], v[0:1], v[14:15]
	v_mov_b32_e32 v5, v3
	s_waitcnt lgkmcnt(1)
	v_pk_mul_f32 v[2:3], v[8:9], v[2:3] op_sel_hi:[1,0]
	v_pk_add_f32 v[0:1], v[0:1], v[4:5]
	s_waitcnt vmcnt(4)
	v_pk_fma_f32 v[4:5], v[8:9], v[230:231], v[2:3] op_sel:[0,0,1] op_sel_hi:[1,1,0] neg_lo:[0,0,1] neg_hi:[0,0,1]
	v_pk_fma_f32 v[2:3], v[8:9], v[230:231], v[2:3] op_sel:[0,0,1] op_sel_hi:[1,0,0]
	s_waitcnt vmcnt(3)
	v_mov_b32_e32 v2, v229
	v_mov_b32_e32 v5, v3
	v_pk_mul_f32 v[2:3], v[10:11], v[2:3] op_sel_hi:[1,0]
	v_pk_add_f32 v[0:1], v[0:1], v[4:5]
	s_waitcnt vmcnt(2)
	v_pk_fma_f32 v[4:5], v[10:11], v[228:229], v[2:3] op_sel:[0,0,1] op_sel_hi:[1,1,0] neg_lo:[0,0,1] neg_hi:[0,0,1]
	v_pk_fma_f32 v[2:3], v[10:11], v[228:229], v[2:3] op_sel:[0,0,1] op_sel_hi:[1,0,0]
	s_waitcnt vmcnt(1)
	v_mov_b32_e32 v2, v227
	v_mov_b32_e32 v5, v3
	s_waitcnt lgkmcnt(0)
	v_pk_mul_f32 v[2:3], v[12:13], v[2:3] op_sel_hi:[1,0]
	v_pk_add_f32 v[0:1], v[0:1], v[4:5]
	s_waitcnt vmcnt(0)
	v_pk_fma_f32 v[4:5], v[12:13], v[226:227], v[2:3] op_sel:[0,0,1] op_sel_hi:[1,1,0] neg_lo:[0,0,1] neg_hi:[0,0,1]
	v_pk_fma_f32 v[2:3], v[12:13], v[226:227], v[2:3] op_sel:[0,0,1] op_sel_hi:[1,0,0]
	v_mov_b32_e32 v5, v3
	v_pk_add_f32 v[0:1], v[0:1], v[4:5]
	v_pk_add_f32 v[0:1], v[216:217], v[0:1] neg_lo:[0,1] neg_hi:[0,1]
	buffer_store_dword v1, off, s[0:3], 0 offset:4
	buffer_store_dword v0, off, s[0:3], 0
	s_cbranch_vccz .LBB57_477
; %bb.362:
	v_pk_mov_b32 v[0:1], s[10:11], s[10:11] op_sel:[0,1]
	flat_load_dword v0, v[0:1] offset:224
	s_waitcnt vmcnt(0) lgkmcnt(0)
	v_add_u32_e32 v0, -1, v0
	v_cmp_ne_u32_e32 vcc, 56, v0
	s_and_saveexec_b64 s[4:5], vcc
	s_cbranch_execz .LBB57_364
; %bb.363:
	v_mov_b32_e32 v1, 0
	v_lshl_add_u32 v0, v0, 3, v1
	buffer_load_dword v1, v0, s[0:3], 0 offen
	buffer_load_dword v2, v0, s[0:3], 0 offen offset:4
	buffer_load_dword v3, off, s[0:3], 0 offset:452
	buffer_load_dword v4, off, s[0:3], 0 offset:448
	s_waitcnt vmcnt(3)
	buffer_store_dword v1, off, s[0:3], 0 offset:448
	s_waitcnt vmcnt(3)
	buffer_store_dword v2, off, s[0:3], 0 offset:452
	s_waitcnt vmcnt(3)
	buffer_store_dword v3, v0, s[0:3], 0 offen offset:4
	s_waitcnt vmcnt(3)
	buffer_store_dword v4, v0, s[0:3], 0 offen
.LBB57_364:
	s_or_b64 exec, exec, s[4:5]
	v_pk_mov_b32 v[0:1], s[10:11], s[10:11] op_sel:[0,1]
	flat_load_dword v0, v[0:1] offset:220
	s_waitcnt vmcnt(0) lgkmcnt(0)
	v_add_u32_e32 v0, -1, v0
	v_cmp_ne_u32_e32 vcc, 55, v0
	s_and_saveexec_b64 s[4:5], vcc
	s_cbranch_execz .LBB57_366
; %bb.365:
	v_mov_b32_e32 v1, 0
	v_lshl_add_u32 v0, v0, 3, v1
	buffer_load_dword v1, v0, s[0:3], 0 offen
	buffer_load_dword v2, v0, s[0:3], 0 offen offset:4
	buffer_load_dword v3, off, s[0:3], 0 offset:440
	buffer_load_dword v4, off, s[0:3], 0 offset:444
	s_waitcnt vmcnt(3)
	buffer_store_dword v1, off, s[0:3], 0 offset:440
	s_waitcnt vmcnt(3)
	buffer_store_dword v2, off, s[0:3], 0 offset:444
	s_waitcnt vmcnt(3)
	buffer_store_dword v3, v0, s[0:3], 0 offen
	s_waitcnt vmcnt(3)
	buffer_store_dword v4, v0, s[0:3], 0 offen offset:4
.LBB57_366:
	s_or_b64 exec, exec, s[4:5]
	v_pk_mov_b32 v[0:1], s[10:11], s[10:11] op_sel:[0,1]
	flat_load_dword v0, v[0:1] offset:216
	s_waitcnt vmcnt(0) lgkmcnt(0)
	v_add_u32_e32 v0, -1, v0
	v_cmp_ne_u32_e32 vcc, 54, v0
	s_and_saveexec_b64 s[4:5], vcc
	s_cbranch_execz .LBB57_368
; %bb.367:
	v_mov_b32_e32 v1, 0
	v_lshl_add_u32 v0, v0, 3, v1
	buffer_load_dword v1, v0, s[0:3], 0 offen
	buffer_load_dword v2, v0, s[0:3], 0 offen offset:4
	buffer_load_dword v3, off, s[0:3], 0 offset:436
	buffer_load_dword v4, off, s[0:3], 0 offset:432
	s_waitcnt vmcnt(3)
	buffer_store_dword v1, off, s[0:3], 0 offset:432
	s_waitcnt vmcnt(3)
	buffer_store_dword v2, off, s[0:3], 0 offset:436
	s_waitcnt vmcnt(3)
	buffer_store_dword v3, v0, s[0:3], 0 offen offset:4
	s_waitcnt vmcnt(3)
	buffer_store_dword v4, v0, s[0:3], 0 offen
.LBB57_368:
	s_or_b64 exec, exec, s[4:5]
	v_pk_mov_b32 v[0:1], s[10:11], s[10:11] op_sel:[0,1]
	flat_load_dword v0, v[0:1] offset:212
	s_waitcnt vmcnt(0) lgkmcnt(0)
	v_add_u32_e32 v0, -1, v0
	v_cmp_ne_u32_e32 vcc, 53, v0
	s_and_saveexec_b64 s[4:5], vcc
	s_cbranch_execz .LBB57_370
; %bb.369:
	v_mov_b32_e32 v1, 0
	v_lshl_add_u32 v0, v0, 3, v1
	buffer_load_dword v1, v0, s[0:3], 0 offen
	buffer_load_dword v2, v0, s[0:3], 0 offen offset:4
	buffer_load_dword v3, off, s[0:3], 0 offset:424
	buffer_load_dword v4, off, s[0:3], 0 offset:428
	s_waitcnt vmcnt(3)
	buffer_store_dword v1, off, s[0:3], 0 offset:424
	s_waitcnt vmcnt(3)
	buffer_store_dword v2, off, s[0:3], 0 offset:428
	s_waitcnt vmcnt(3)
	buffer_store_dword v3, v0, s[0:3], 0 offen
	s_waitcnt vmcnt(3)
	buffer_store_dword v4, v0, s[0:3], 0 offen offset:4
.LBB57_370:
	s_or_b64 exec, exec, s[4:5]
	;; [unrolled: 48-line block ×28, first 2 shown]
	v_pk_mov_b32 v[0:1], s[10:11], s[10:11] op_sel:[0,1]
	flat_load_dword v2, v[0:1]
	s_nop 0
	buffer_load_dword v0, off, s[0:3], 0
	buffer_load_dword v1, off, s[0:3], 0 offset:4
	s_waitcnt vmcnt(0) lgkmcnt(0)
	v_add_u32_e32 v2, -1, v2
	v_cmp_ne_u32_e32 vcc, 0, v2
	s_and_saveexec_b64 s[4:5], vcc
	s_cbranch_execz .LBB57_476
; %bb.475:
	v_mov_b32_e32 v3, 0
	v_lshl_add_u32 v2, v2, 3, v3
	buffer_load_dword v3, v2, s[0:3], 0 offen offset:4
	buffer_load_dword v4, v2, s[0:3], 0 offen
	s_waitcnt vmcnt(1)
	buffer_store_dword v3, off, s[0:3], 0 offset:4
	s_waitcnt vmcnt(1)
	buffer_store_dword v4, off, s[0:3], 0
	buffer_store_dword v1, v2, s[0:3], 0 offen offset:4
	buffer_store_dword v0, v2, s[0:3], 0 offen
	buffer_load_dword v0, off, s[0:3], 0
	s_nop 0
	buffer_load_dword v1, off, s[0:3], 0 offset:4
.LBB57_476:
	s_or_b64 exec, exec, s[4:5]
.LBB57_477:
	buffer_load_dword v2, off, s[0:3], 0 offset:8
	buffer_load_dword v3, off, s[0:3], 0 offset:12
	;; [unrolled: 1-line block ×114, first 2 shown]
	s_waitcnt vmcnt(62)
	global_store_dwordx2 v[206:207], v[0:1], off
	global_store_dwordx2 v[208:209], v[2:3], off
	v_accvgpr_read_b32 v0, a0
	v_accvgpr_read_b32 v1, a1
	global_store_dwordx2 v[0:1], v[4:5], off
	v_accvgpr_read_b32 v0, a2
	v_accvgpr_read_b32 v1, a3
	;; [unrolled: 3-line block ×26, first 2 shown]
	s_waitcnt vmcnt(62)
	global_store_dwordx2 v[0:1], v[54:55], off
	v_accvgpr_read_b32 v0, a52
	v_accvgpr_read_b32 v1, a53
	global_store_dwordx2 v[0:1], v[56:57], off
	v_accvgpr_read_b32 v0, a54
	v_accvgpr_read_b32 v1, a55
	;; [unrolled: 3-line block ×13, first 2 shown]
	s_waitcnt vmcnt(62)
	global_store_dwordx2 v[0:1], v[80:81], off
	v_accvgpr_read_b32 v0, a78
	v_accvgpr_read_b32 v1, a79
	global_store_dwordx2 v[0:1], v[82:83], off
	global_store_dwordx2 v[180:181], v[84:85], off
	;; [unrolled: 1-line block ×6, first 2 shown]
	s_waitcnt vmcnt(62)
	global_store_dwordx2 v[190:191], v[94:95], off
	global_store_dwordx2 v[192:193], v[96:97], off
	;; [unrolled: 1-line block ×3, first 2 shown]
	s_waitcnt vmcnt(62)
	global_store_dwordx2 v[196:197], v[100:101], off
	global_store_dwordx2 v[198:199], v[102:103], off
	s_waitcnt vmcnt(62)
	global_store_dwordx2 v[200:201], v[104:105], off
	s_waitcnt vmcnt(61)
	;; [unrolled: 2-line block ×6, first 2 shown]
	global_store_dwordx2 v[214:215], v[114:115], off
	s_endpgm
	.section	.rodata,"a",@progbits
	.p2align	6, 0x0
	.amdhsa_kernel _ZN9rocsolver6v33100L18getri_kernel_smallILi58E19rocblas_complex_numIfEPS3_EEvT1_iilPiilS6_bb
		.amdhsa_group_segment_fixed_size 932
		.amdhsa_private_segment_fixed_size 480
		.amdhsa_kernarg_size 60
		.amdhsa_user_sgpr_count 8
		.amdhsa_user_sgpr_private_segment_buffer 1
		.amdhsa_user_sgpr_dispatch_ptr 0
		.amdhsa_user_sgpr_queue_ptr 0
		.amdhsa_user_sgpr_kernarg_segment_ptr 1
		.amdhsa_user_sgpr_dispatch_id 0
		.amdhsa_user_sgpr_flat_scratch_init 1
		.amdhsa_user_sgpr_kernarg_preload_length 0
		.amdhsa_user_sgpr_kernarg_preload_offset 0
		.amdhsa_user_sgpr_private_segment_size 0
		.amdhsa_uses_dynamic_stack 0
		.amdhsa_system_sgpr_private_segment_wavefront_offset 1
		.amdhsa_system_sgpr_workgroup_id_x 1
		.amdhsa_system_sgpr_workgroup_id_y 0
		.amdhsa_system_sgpr_workgroup_id_z 0
		.amdhsa_system_sgpr_workgroup_info 0
		.amdhsa_system_vgpr_workitem_id 0
		.amdhsa_next_free_vgpr 336
		.amdhsa_next_free_sgpr 23
		.amdhsa_accum_offset 256
		.amdhsa_reserve_vcc 1
		.amdhsa_reserve_flat_scratch 1
		.amdhsa_float_round_mode_32 0
		.amdhsa_float_round_mode_16_64 0
		.amdhsa_float_denorm_mode_32 3
		.amdhsa_float_denorm_mode_16_64 3
		.amdhsa_dx10_clamp 1
		.amdhsa_ieee_mode 1
		.amdhsa_fp16_overflow 0
		.amdhsa_tg_split 0
		.amdhsa_exception_fp_ieee_invalid_op 0
		.amdhsa_exception_fp_denorm_src 0
		.amdhsa_exception_fp_ieee_div_zero 0
		.amdhsa_exception_fp_ieee_overflow 0
		.amdhsa_exception_fp_ieee_underflow 0
		.amdhsa_exception_fp_ieee_inexact 0
		.amdhsa_exception_int_div_zero 0
	.end_amdhsa_kernel
	.section	.text._ZN9rocsolver6v33100L18getri_kernel_smallILi58E19rocblas_complex_numIfEPS3_EEvT1_iilPiilS6_bb,"axG",@progbits,_ZN9rocsolver6v33100L18getri_kernel_smallILi58E19rocblas_complex_numIfEPS3_EEvT1_iilPiilS6_bb,comdat
.Lfunc_end57:
	.size	_ZN9rocsolver6v33100L18getri_kernel_smallILi58E19rocblas_complex_numIfEPS3_EEvT1_iilPiilS6_bb, .Lfunc_end57-_ZN9rocsolver6v33100L18getri_kernel_smallILi58E19rocblas_complex_numIfEPS3_EEvT1_iilPiilS6_bb
                                        ; -- End function
	.section	.AMDGPU.csdata,"",@progbits
; Kernel info:
; codeLenInByte = 126976
; NumSgprs: 29
; NumVgprs: 256
; NumAgprs: 80
; TotalNumVgprs: 336
; ScratchSize: 480
; MemoryBound: 0
; FloatMode: 240
; IeeeMode: 1
; LDSByteSize: 932 bytes/workgroup (compile time only)
; SGPRBlocks: 3
; VGPRBlocks: 41
; NumSGPRsForWavesPerEU: 29
; NumVGPRsForWavesPerEU: 336
; AccumOffset: 256
; Occupancy: 1
; WaveLimiterHint : 1
; COMPUTE_PGM_RSRC2:SCRATCH_EN: 1
; COMPUTE_PGM_RSRC2:USER_SGPR: 8
; COMPUTE_PGM_RSRC2:TRAP_HANDLER: 0
; COMPUTE_PGM_RSRC2:TGID_X_EN: 1
; COMPUTE_PGM_RSRC2:TGID_Y_EN: 0
; COMPUTE_PGM_RSRC2:TGID_Z_EN: 0
; COMPUTE_PGM_RSRC2:TIDIG_COMP_CNT: 0
; COMPUTE_PGM_RSRC3_GFX90A:ACCUM_OFFSET: 63
; COMPUTE_PGM_RSRC3_GFX90A:TG_SPLIT: 0
	.section	.text._ZN9rocsolver6v33100L18getri_kernel_smallILi59E19rocblas_complex_numIfEPS3_EEvT1_iilPiilS6_bb,"axG",@progbits,_ZN9rocsolver6v33100L18getri_kernel_smallILi59E19rocblas_complex_numIfEPS3_EEvT1_iilPiilS6_bb,comdat
	.globl	_ZN9rocsolver6v33100L18getri_kernel_smallILi59E19rocblas_complex_numIfEPS3_EEvT1_iilPiilS6_bb ; -- Begin function _ZN9rocsolver6v33100L18getri_kernel_smallILi59E19rocblas_complex_numIfEPS3_EEvT1_iilPiilS6_bb
	.p2align	8
	.type	_ZN9rocsolver6v33100L18getri_kernel_smallILi59E19rocblas_complex_numIfEPS3_EEvT1_iilPiilS6_bb,@function
_ZN9rocsolver6v33100L18getri_kernel_smallILi59E19rocblas_complex_numIfEPS3_EEvT1_iilPiilS6_bb: ; @_ZN9rocsolver6v33100L18getri_kernel_smallILi59E19rocblas_complex_numIfEPS3_EEvT1_iilPiilS6_bb
; %bb.0:
	s_add_u32 flat_scratch_lo, s6, s9
	s_addc_u32 flat_scratch_hi, s7, 0
	s_add_u32 s0, s0, s9
	s_addc_u32 s1, s1, 0
	v_cmp_gt_u32_e32 vcc, 59, v0
	s_and_saveexec_b64 s[6:7], vcc
	s_cbranch_execz .LBB58_250
; %bb.1:
	s_load_dword s22, s[4:5], 0x38
	s_load_dwordx4 s[16:19], s[4:5], 0x10
	s_load_dwordx4 s[12:15], s[4:5], 0x28
                                        ; implicit-def: $sgpr10_sgpr11
	s_waitcnt lgkmcnt(0)
	s_bitcmp1_b32 s22, 8
	s_cselect_b64 s[20:21], -1, 0
	s_ashr_i32 s9, s8, 31
	s_bfe_u32 s6, s22, 0x10008
	s_cmp_eq_u32 s6, 0
	s_cbranch_scc1 .LBB58_3
; %bb.2:
	s_load_dword s6, s[4:5], 0x20
	s_mul_i32 s7, s8, s13
	s_mul_hi_u32 s10, s8, s12
	s_mul_i32 s11, s9, s12
	s_add_i32 s10, s10, s7
	s_add_i32 s11, s10, s11
	s_mul_i32 s10, s8, s12
	s_waitcnt lgkmcnt(0)
	s_ashr_i32 s7, s6, 31
	s_lshl_b64 s[10:11], s[10:11], 2
	s_add_u32 s10, s18, s10
	s_addc_u32 s11, s19, s11
	s_lshl_b64 s[6:7], s[6:7], 2
	s_add_u32 s10, s10, s6
	s_addc_u32 s11, s11, s7
.LBB58_3:
	s_load_dwordx4 s[4:7], s[4:5], 0x0
	s_mul_i32 s12, s8, s17
	s_mul_hi_u32 s13, s8, s16
	s_add_i32 s17, s13, s12
	v_lshlrev_b32_e32 v222, 3, v0
	s_waitcnt lgkmcnt(0)
	s_ashr_i32 s13, s6, 31
	s_mov_b32 s12, s6
	s_mul_i32 s6, s9, s16
	s_add_i32 s17, s17, s6
	s_mul_i32 s16, s8, s16
	s_lshl_b64 s[16:17], s[16:17], 3
	s_add_u32 s6, s4, s16
	s_addc_u32 s16, s5, s17
	s_lshl_b64 s[4:5], s[12:13], 3
	s_add_u32 s4, s6, s4
	s_addc_u32 s5, s16, s5
	v_mov_b32_e32 v1, s5
	v_add_co_u32_e32 v102, vcc, s4, v222
	s_ashr_i32 s13, s7, 31
	s_mov_b32 s12, s7
	s_add_i32 s6, s7, s7
	v_addc_co_u32_e32 v103, vcc, 0, v1, vcc
	s_lshl_b64 s[12:13], s[12:13], 3
	v_add_u32_e32 v4, s6, v0
	v_mov_b32_e32 v1, s13
	v_add_co_u32_e32 v8, vcc, s12, v102
	v_ashrrev_i32_e32 v5, 31, v4
	v_addc_co_u32_e32 v9, vcc, v103, v1, vcc
	v_lshlrev_b64 v[6:7], 3, v[4:5]
	v_add_u32_e32 v4, s7, v4
	v_mov_b32_e32 v1, s5
	v_add_co_u32_e32 v10, vcc, s4, v6
	v_ashrrev_i32_e32 v5, 31, v4
	v_addc_co_u32_e32 v11, vcc, v1, v7, vcc
	v_lshlrev_b64 v[6:7], 3, v[4:5]
	v_add_u32_e32 v4, s7, v4
	v_add_co_u32_e32 v14, vcc, s4, v6
	v_ashrrev_i32_e32 v5, 31, v4
	global_load_dwordx2 v[2:3], v222, s[4:5]
	v_addc_co_u32_e32 v15, vcc, v1, v7, vcc
	v_lshlrev_b64 v[6:7], 3, v[4:5]
	v_add_co_u32_e32 v6, vcc, s4, v6
	v_add_u32_e32 v4, s7, v4
	v_addc_co_u32_e32 v7, vcc, v1, v7, vcc
	v_accvgpr_write_b32 a0, v8
	global_load_dwordx2 v[12:13], v[8:9], off
	v_accvgpr_write_b32 a2, v10
	v_accvgpr_write_b32 a4, v14
	;; [unrolled: 1-line block ×3, first 2 shown]
	v_ashrrev_i32_e32 v5, 31, v4
	v_accvgpr_write_b32 a1, v9
	v_accvgpr_write_b32 a3, v11
	global_load_dwordx2 v[10:11], v[10:11], off
	v_accvgpr_write_b32 a5, v15
	v_accvgpr_write_b32 a7, v7
	global_load_dwordx2 v[6:7], v[6:7], off
	s_bitcmp0_b32 s22, 0
	global_load_dwordx2 v[8:9], v[14:15], off
	v_lshlrev_b64 v[14:15], 3, v[4:5]
	v_add_u32_e32 v4, s7, v4
	v_add_co_u32_e32 v16, vcc, s4, v14
	v_ashrrev_i32_e32 v5, 31, v4
	v_addc_co_u32_e32 v17, vcc, v1, v15, vcc
	v_lshlrev_b64 v[14:15], 3, v[4:5]
	v_add_u32_e32 v4, s7, v4
	v_add_co_u32_e32 v18, vcc, s4, v14
	v_ashrrev_i32_e32 v5, 31, v4
	v_addc_co_u32_e32 v19, vcc, v1, v15, vcc
	;; [unrolled: 5-line block ×3, first 2 shown]
	v_lshlrev_b64 v[14:15], 3, v[4:5]
	v_add_co_u32_e32 v14, vcc, s4, v14
	global_load_dwordx2 v[20:21], v[16:17], off
	v_add_u32_e32 v4, s7, v4
	v_addc_co_u32_e32 v15, vcc, v1, v15, vcc
	v_accvgpr_write_b32 a8, v16
	v_accvgpr_write_b32 a10, v18
	;; [unrolled: 1-line block ×4, first 2 shown]
	v_ashrrev_i32_e32 v5, 31, v4
	v_accvgpr_write_b32 a9, v17
	v_accvgpr_write_b32 a11, v19
	global_load_dwordx2 v[18:19], v[18:19], off
	v_accvgpr_write_b32 a13, v23
	v_accvgpr_write_b32 a15, v15
	global_load_dwordx2 v[14:15], v[14:15], off
	s_nop 0
	global_load_dwordx2 v[16:17], v[22:23], off
	v_lshlrev_b64 v[22:23], 3, v[4:5]
	v_add_u32_e32 v4, s7, v4
	v_add_co_u32_e32 v24, vcc, s4, v22
	v_ashrrev_i32_e32 v5, 31, v4
	v_addc_co_u32_e32 v25, vcc, v1, v23, vcc
	v_lshlrev_b64 v[22:23], 3, v[4:5]
	v_add_u32_e32 v4, s7, v4
	v_add_co_u32_e32 v26, vcc, s4, v22
	v_ashrrev_i32_e32 v5, 31, v4
	v_addc_co_u32_e32 v27, vcc, v1, v23, vcc
	;; [unrolled: 5-line block ×3, first 2 shown]
	v_lshlrev_b64 v[22:23], 3, v[4:5]
	global_load_dwordx2 v[28:29], v[24:25], off
	v_add_co_u32_e32 v22, vcc, s4, v22
	v_accvgpr_write_b32 a18, v26
	v_add_u32_e32 v4, s7, v4
	v_addc_co_u32_e32 v23, vcc, v1, v23, vcc
	v_accvgpr_write_b32 a16, v24
	v_accvgpr_write_b32 a19, v27
	global_load_dwordx2 v[26:27], v[26:27], off
	v_accvgpr_write_b32 a20, v30
	v_accvgpr_write_b32 a22, v22
	v_ashrrev_i32_e32 v5, 31, v4
	v_accvgpr_write_b32 a17, v25
	v_accvgpr_write_b32 a21, v31
	;; [unrolled: 1-line block ×3, first 2 shown]
	global_load_dwordx2 v[22:23], v[22:23], off
	s_nop 0
	global_load_dwordx2 v[24:25], v[30:31], off
	v_lshlrev_b64 v[30:31], 3, v[4:5]
	v_add_u32_e32 v4, s7, v4
	v_add_co_u32_e32 v32, vcc, s4, v30
	v_ashrrev_i32_e32 v5, 31, v4
	v_addc_co_u32_e32 v33, vcc, v1, v31, vcc
	v_lshlrev_b64 v[30:31], 3, v[4:5]
	v_add_u32_e32 v4, s7, v4
	v_add_co_u32_e32 v38, vcc, s4, v30
	v_ashrrev_i32_e32 v5, 31, v4
	v_addc_co_u32_e32 v39, vcc, v1, v31, vcc
	v_lshlrev_b64 v[30:31], 3, v[4:5]
	v_add_co_u32_e32 v30, vcc, s4, v30
	v_add_u32_e32 v36, s7, v4
	global_load_dwordx2 v[34:35], v[32:33], off
	v_addc_co_u32_e32 v31, vcc, v1, v31, vcc
	v_ashrrev_i32_e32 v37, 31, v36
	v_accvgpr_write_b32 a24, v32
	v_accvgpr_write_b32 a28, v30
	v_lshlrev_b64 v[4:5], 3, v[36:37]
	v_accvgpr_write_b32 a25, v33
	v_accvgpr_write_b32 a29, v31
	global_load_dwordx2 v[30:31], v[30:31], off
	v_add_co_u32_e32 v4, vcc, s4, v4
	global_load_dwordx2 v[32:33], v[38:39], off
	v_addc_co_u32_e32 v5, vcc, v1, v5, vcc
	v_accvgpr_write_b32 a31, v5
	v_accvgpr_write_b32 a30, v4
	global_load_dwordx2 v[4:5], v[4:5], off
	v_accvgpr_write_b32 a26, v38
	v_add_u32_e32 v36, s7, v36
	v_accvgpr_write_b32 a27, v39
	v_add_u32_e32 v38, s7, v36
	v_add_u32_e32 v40, s7, v38
	;; [unrolled: 1-line block ×40, first 2 shown]
	v_ashrrev_i32_e32 v85, 31, v84
	v_lshlrev_b64 v[104:105], 3, v[84:85]
	v_add_u32_e32 v84, s7, v84
	v_add_co_u32_e32 v104, vcc, s4, v104
	v_ashrrev_i32_e32 v85, 31, v84
	v_addc_co_u32_e32 v105, vcc, v1, v105, vcc
	v_lshlrev_b64 v[84:85], 3, v[84:85]
	v_add_co_u32_e32 v84, vcc, s4, v84
	v_addc_co_u32_e32 v85, vcc, v1, v85, vcc
	v_accvgpr_write_b32 a34, v84
	v_ashrrev_i32_e32 v37, 31, v36
	global_load_dwordx2 v[220:221], v[104:105], off
	v_accvgpr_write_b32 a35, v85
	global_load_dwordx2 v[84:85], v[84:85], off
	s_waitcnt vmcnt(18)
	buffer_store_dword v3, off, s[0:3], 0 offset:4
	buffer_store_dword v2, off, s[0:3], 0
	s_waitcnt vmcnt(19)
	buffer_store_dword v13, off, s[0:3], 0 offset:12
	buffer_store_dword v12, off, s[0:3], 0 offset:8
	s_waitcnt vmcnt(20)
	buffer_store_dword v11, off, s[0:3], 0 offset:20
	buffer_store_dword v10, off, s[0:3], 0 offset:16
	s_waitcnt vmcnt(20)
	buffer_store_dword v9, off, s[0:3], 0 offset:28
	buffer_store_dword v8, off, s[0:3], 0 offset:24
	buffer_store_dword v7, off, s[0:3], 0 offset:36
	buffer_store_dword v6, off, s[0:3], 0 offset:32
	s_waitcnt vmcnt(23)
	buffer_store_dword v21, off, s[0:3], 0 offset:44
	buffer_store_dword v20, off, s[0:3], 0 offset:40
	s_waitcnt vmcnt(24)
	buffer_store_dword v19, off, s[0:3], 0 offset:52
	buffer_store_dword v18, off, s[0:3], 0 offset:48
	s_waitcnt vmcnt(24)
	buffer_store_dword v17, off, s[0:3], 0 offset:60
	buffer_store_dword v16, off, s[0:3], 0 offset:56
	buffer_store_dword v15, off, s[0:3], 0 offset:68
	buffer_store_dword v14, off, s[0:3], 0 offset:64
	;; [unrolled: 11-line block ×3, first 2 shown]
	s_waitcnt vmcnt(31)
	buffer_store_dword v34, off, s[0:3], 0 offset:104
	buffer_store_dword v35, off, s[0:3], 0 offset:108
	s_waitcnt vmcnt(31)
	buffer_store_dword v33, off, s[0:3], 0 offset:116
	buffer_store_dword v32, off, s[0:3], 0 offset:112
	buffer_store_dword v30, off, s[0:3], 0 offset:120
	buffer_store_dword v31, off, s[0:3], 0 offset:124
	s_waitcnt vmcnt(34)
	buffer_store_dword v4, off, s[0:3], 0 offset:128
	v_lshlrev_b64 v[2:3], 3, v[36:37]
	v_add_co_u32_e32 v6, vcc, s4, v2
	v_ashrrev_i32_e32 v39, 31, v38
	v_addc_co_u32_e32 v7, vcc, v1, v3, vcc
	v_lshlrev_b64 v[2:3], 3, v[38:39]
	v_add_co_u32_e32 v8, vcc, s4, v2
	v_ashrrev_i32_e32 v41, 31, v40
	v_addc_co_u32_e32 v9, vcc, v1, v3, vcc
	v_lshlrev_b64 v[2:3], 3, v[40:41]
	v_add_co_u32_e32 v10, vcc, s4, v2
	v_ashrrev_i32_e32 v43, 31, v42
	v_addc_co_u32_e32 v11, vcc, v1, v3, vcc
	v_lshlrev_b64 v[2:3], 3, v[42:43]
	v_add_co_u32_e32 v12, vcc, s4, v2
	v_addc_co_u32_e32 v13, vcc, v1, v3, vcc
	v_accvgpr_write_b32 a37, v7
	v_accvgpr_write_b32 a39, v9
	v_accvgpr_write_b32 a41, v11
	v_accvgpr_write_b32 a43, v13
	v_ashrrev_i32_e32 v45, 31, v44
	v_accvgpr_write_b32 a36, v6
	global_load_dwordx2 v[2:3], v[6:7], off
	v_accvgpr_write_b32 a38, v8
	global_load_dwordx2 v[6:7], v[8:9], off
	v_accvgpr_write_b32 a40, v10
	global_load_dwordx2 v[8:9], v[10:11], off
	v_accvgpr_write_b32 a42, v12
	global_load_dwordx2 v[10:11], v[12:13], off
	v_lshlrev_b64 v[12:13], 3, v[44:45]
	v_add_co_u32_e32 v14, vcc, s4, v12
	v_ashrrev_i32_e32 v47, 31, v46
	v_addc_co_u32_e32 v15, vcc, v1, v13, vcc
	v_lshlrev_b64 v[12:13], 3, v[46:47]
	v_add_co_u32_e32 v16, vcc, s4, v12
	v_ashrrev_i32_e32 v49, 31, v48
	v_addc_co_u32_e32 v17, vcc, v1, v13, vcc
	v_lshlrev_b64 v[12:13], 3, v[48:49]
	v_add_co_u32_e32 v18, vcc, s4, v12
	v_ashrrev_i32_e32 v51, 31, v50
	v_addc_co_u32_e32 v19, vcc, v1, v13, vcc
	v_lshlrev_b64 v[12:13], 3, v[50:51]
	v_add_co_u32_e32 v20, vcc, s4, v12
	v_addc_co_u32_e32 v21, vcc, v1, v13, vcc
	v_accvgpr_write_b32 a45, v15
	v_accvgpr_write_b32 a47, v17
	v_accvgpr_write_b32 a49, v19
	v_accvgpr_write_b32 a51, v21
	v_ashrrev_i32_e32 v53, 31, v52
	v_accvgpr_write_b32 a44, v14
	global_load_dwordx2 v[12:13], v[14:15], off
	v_accvgpr_write_b32 a46, v16
	global_load_dwordx2 v[14:15], v[16:17], off
	v_accvgpr_write_b32 a48, v18
	global_load_dwordx2 v[16:17], v[18:19], off
	v_accvgpr_write_b32 a50, v20
	global_load_dwordx2 v[18:19], v[20:21], off
	;; [unrolled: 28-line block ×6, first 2 shown]
	v_lshlrev_b64 v[52:53], 3, v[86:87]
	v_add_co_u32_e32 v54, vcc, s4, v52
	v_ashrrev_i32_e32 v89, 31, v88
	v_addc_co_u32_e32 v55, vcc, v1, v53, vcc
	v_lshlrev_b64 v[52:53], 3, v[88:89]
	v_add_co_u32_e32 v56, vcc, s4, v52
	v_ashrrev_i32_e32 v91, 31, v90
	v_addc_co_u32_e32 v57, vcc, v1, v53, vcc
	;; [unrolled: 4-line block ×14, first 2 shown]
	v_lshlrev_b64 v[76:77], 3, v[216:217]
	v_accvgpr_write_b32 a85, v55
	v_accvgpr_write_b32 a87, v57
	v_add_co_u32_e32 v216, vcc, s4, v76
	v_accvgpr_write_b32 a84, v54
	global_load_dwordx2 v[52:53], v[54:55], off
	v_accvgpr_write_b32 a86, v56
	global_load_dwordx2 v[54:55], v[56:57], off
	s_nop 0
	global_load_dwordx2 v[56:57], v[192:193], off
	global_load_dwordx2 v[58:59], v[194:195], off
	;; [unrolled: 1-line block ×10, first 2 shown]
	v_addc_co_u32_e32 v217, vcc, v1, v77, vcc
	global_load_dwordx2 v[76:77], v[212:213], off
	global_load_dwordx2 v[78:79], v[214:215], off
	;; [unrolled: 1-line block ×3, first 2 shown]
	v_ashrrev_i32_e32 v219, 31, v218
	v_lshlrev_b64 v[82:83], 3, v[218:219]
	v_add_co_u32_e32 v218, vcc, s4, v82
	v_accvgpr_write_b32 a32, v104
	v_addc_co_u32_e32 v219, vcc, v1, v83, vcc
	v_accvgpr_write_b32 a33, v105
	global_load_dwordx2 v[82:83], v[218:219], off
	s_mov_b64 s[6:7], -1
	buffer_store_dword v5, off, s[0:3], 0 offset:132
	s_waitcnt vmcnt(40)
	buffer_store_dword v2, off, s[0:3], 0 offset:136
	buffer_store_dword v3, off, s[0:3], 0 offset:140
	s_waitcnt vmcnt(41)
	buffer_store_dword v6, off, s[0:3], 0 offset:144
	buffer_store_dword v7, off, s[0:3], 0 offset:148
	s_waitcnt vmcnt(42)
	buffer_store_dword v9, off, s[0:3], 0 offset:156
	buffer_store_dword v8, off, s[0:3], 0 offset:152
	s_waitcnt vmcnt(43)
	buffer_store_dword v11, off, s[0:3], 0 offset:164
	buffer_store_dword v10, off, s[0:3], 0 offset:160
	s_waitcnt vmcnt(44)
	buffer_store_dword v12, off, s[0:3], 0 offset:168
	buffer_store_dword v13, off, s[0:3], 0 offset:172
	s_waitcnt vmcnt(45)
	buffer_store_dword v14, off, s[0:3], 0 offset:176
	buffer_store_dword v15, off, s[0:3], 0 offset:180
	s_waitcnt vmcnt(46)
	buffer_store_dword v16, off, s[0:3], 0 offset:184
	buffer_store_dword v17, off, s[0:3], 0 offset:188
	s_waitcnt vmcnt(47)
	buffer_store_dword v18, off, s[0:3], 0 offset:192
	buffer_store_dword v19, off, s[0:3], 0 offset:196
	s_waitcnt vmcnt(48)
	buffer_store_dword v21, off, s[0:3], 0 offset:204
	buffer_store_dword v20, off, s[0:3], 0 offset:200
	s_waitcnt vmcnt(49)
	buffer_store_dword v23, off, s[0:3], 0 offset:212
	buffer_store_dword v22, off, s[0:3], 0 offset:208
	s_waitcnt vmcnt(50)
	buffer_store_dword v24, off, s[0:3], 0 offset:216
	buffer_store_dword v25, off, s[0:3], 0 offset:220
	s_waitcnt vmcnt(51)
	buffer_store_dword v26, off, s[0:3], 0 offset:224
	buffer_store_dword v27, off, s[0:3], 0 offset:228
	s_waitcnt vmcnt(52)
	buffer_store_dword v28, off, s[0:3], 0 offset:232
	buffer_store_dword v29, off, s[0:3], 0 offset:236
	s_waitcnt vmcnt(53)
	buffer_store_dword v30, off, s[0:3], 0 offset:240
	buffer_store_dword v31, off, s[0:3], 0 offset:244
	s_waitcnt vmcnt(54)
	buffer_store_dword v33, off, s[0:3], 0 offset:252
	buffer_store_dword v32, off, s[0:3], 0 offset:248
	s_waitcnt vmcnt(55)
	buffer_store_dword v35, off, s[0:3], 0 offset:260
	buffer_store_dword v34, off, s[0:3], 0 offset:256
	s_waitcnt vmcnt(56)
	buffer_store_dword v36, off, s[0:3], 0 offset:264
	buffer_store_dword v37, off, s[0:3], 0 offset:268
	s_waitcnt vmcnt(57)
	buffer_store_dword v38, off, s[0:3], 0 offset:272
	buffer_store_dword v39, off, s[0:3], 0 offset:276
	s_waitcnt vmcnt(58)
	buffer_store_dword v40, off, s[0:3], 0 offset:280
	buffer_store_dword v41, off, s[0:3], 0 offset:284
	s_waitcnt vmcnt(59)
	buffer_store_dword v42, off, s[0:3], 0 offset:288
	buffer_store_dword v43, off, s[0:3], 0 offset:292
	s_waitcnt vmcnt(60)
	buffer_store_dword v45, off, s[0:3], 0 offset:300
	buffer_store_dword v44, off, s[0:3], 0 offset:296
	s_waitcnt vmcnt(61)
	buffer_store_dword v47, off, s[0:3], 0 offset:308
	buffer_store_dword v46, off, s[0:3], 0 offset:304
	s_waitcnt vmcnt(62)
	buffer_store_dword v48, off, s[0:3], 0 offset:312
	buffer_store_dword v49, off, s[0:3], 0 offset:316
	s_waitcnt vmcnt(62)
	buffer_store_dword v50, off, s[0:3], 0 offset:320
	buffer_store_dword v51, off, s[0:3], 0 offset:324
	buffer_store_dword v52, off, s[0:3], 0 offset:328
	;; [unrolled: 1-line block ×3, first 2 shown]
	s_waitcnt vmcnt(62)
	buffer_store_dword v54, off, s[0:3], 0 offset:336
	buffer_store_dword v55, off, s[0:3], 0 offset:340
	;; [unrolled: 1-line block ×8, first 2 shown]
	s_waitcnt vmcnt(62)
	buffer_store_dword v62, off, s[0:3], 0 offset:368
	buffer_store_dword v63, off, s[0:3], 0 offset:372
	;; [unrolled: 1-line block ×16, first 2 shown]
	s_waitcnt vmcnt(62)
	buffer_store_dword v78, off, s[0:3], 0 offset:432
	buffer_store_dword v79, off, s[0:3], 0 offset:436
	buffer_store_dword v81, off, s[0:3], 0 offset:444
	buffer_store_dword v80, off, s[0:3], 0 offset:440
	buffer_store_dword v83, off, s[0:3], 0 offset:452
	buffer_store_dword v82, off, s[0:3], 0 offset:448
	buffer_store_dword v220, off, s[0:3], 0 offset:456
	buffer_store_dword v221, off, s[0:3], 0 offset:460
	buffer_store_dword v84, off, s[0:3], 0 offset:464
	buffer_store_dword v85, off, s[0:3], 0 offset:468
	s_cbranch_scc1 .LBB58_248
; %bb.4:
	v_cmp_eq_u32_e64 s[4:5], 0, v0
	s_and_saveexec_b64 s[6:7], s[4:5]
	s_cbranch_execz .LBB58_6
; %bb.5:
	v_mov_b32_e32 v1, 0
	ds_write_b32 v1, v1 offset:472
.LBB58_6:
	s_or_b64 exec, exec, s[6:7]
	v_mov_b32_e32 v1, 0
	v_lshl_add_u32 v6, v0, 3, v1
	s_waitcnt lgkmcnt(0)
	; wave barrier
	s_waitcnt lgkmcnt(0)
	buffer_load_dword v1, v6, s[0:3], 0 offen
	buffer_load_dword v2, v6, s[0:3], 0 offen offset:4
	s_waitcnt vmcnt(1)
	v_cmp_eq_f32_e32 vcc, 0, v1
	s_waitcnt vmcnt(0)
	v_cmp_eq_f32_e64 s[6:7], 0, v2
	s_and_b64 s[6:7], vcc, s[6:7]
	s_and_saveexec_b64 s[12:13], s[6:7]
	s_cbranch_execz .LBB58_10
; %bb.7:
	v_mov_b32_e32 v1, 0
	ds_read_b32 v3, v1 offset:472
	v_add_u32_e32 v2, 1, v0
	s_waitcnt lgkmcnt(0)
	v_readfirstlane_b32 s6, v3
	s_cmp_eq_u32 s6, 0
	s_cselect_b64 s[16:17], -1, 0
	v_cmp_gt_i32_e32 vcc, s6, v2
	s_or_b64 s[16:17], s[16:17], vcc
	s_and_b64 exec, exec, s[16:17]
	s_cbranch_execz .LBB58_10
; %bb.8:
	s_mov_b64 s[16:17], 0
	v_mov_b32_e32 v3, s6
.LBB58_9:                               ; =>This Inner Loop Header: Depth=1
	ds_cmpst_rtn_b32 v3, v1, v3, v2 offset:472
	s_waitcnt lgkmcnt(0)
	v_cmp_ne_u32_e32 vcc, 0, v3
	v_cmp_le_i32_e64 s[6:7], v3, v2
	s_and_b64 s[6:7], vcc, s[6:7]
	s_and_b64 s[6:7], exec, s[6:7]
	s_or_b64 s[16:17], s[6:7], s[16:17]
	s_andn2_b64 exec, exec, s[16:17]
	s_cbranch_execnz .LBB58_9
.LBB58_10:
	s_or_b64 exec, exec, s[12:13]
	v_mov_b32_e32 v2, 0
	s_waitcnt lgkmcnt(0)
	; wave barrier
	ds_read_b32 v1, v2 offset:472
	s_and_saveexec_b64 s[6:7], s[4:5]
	s_cbranch_execz .LBB58_12
; %bb.11:
	s_lshl_b64 s[12:13], s[8:9], 2
	s_add_u32 s12, s14, s12
	s_addc_u32 s13, s15, s13
	s_waitcnt lgkmcnt(0)
	global_store_dword v2, v1, s[12:13]
.LBB58_12:
	s_or_b64 exec, exec, s[6:7]
	s_waitcnt lgkmcnt(0)
	v_cmp_ne_u32_e32 vcc, 0, v1
	s_mov_b64 s[6:7], 0
	s_cbranch_vccnz .LBB58_248
; %bb.13:
	buffer_load_dword v7, v6, s[0:3], 0 offen offset:4
	buffer_load_dword v3, v6, s[0:3], 0 offen
	s_waitcnt vmcnt(1)
	v_cmp_gt_f32_e32 vcc, 0, v7
	v_cndmask_b32_e64 v1, v7, -v7, vcc
	s_waitcnt vmcnt(0)
	v_cmp_gt_f32_e32 vcc, 0, v3
	v_cndmask_b32_e64 v2, v3, -v3, vcc
	v_cmp_ngt_f32_e32 vcc, v2, v1
                                        ; implicit-def: $vgpr1
                                        ; implicit-def: $vgpr2
	s_and_saveexec_b64 s[6:7], vcc
	s_xor_b64 s[6:7], exec, s[6:7]
                                        ; implicit-def: $vgpr4_vgpr5
	s_cbranch_execz .LBB58_15
; %bb.14:
	v_div_scale_f32 v1, s[12:13], v7, v7, v3
	v_rcp_f32_e32 v2, v1
	v_div_scale_f32 v4, vcc, v3, v7, v3
	v_fma_f32 v5, -v1, v2, 1.0
	v_fmac_f32_e32 v2, v5, v2
	v_mul_f32_e32 v5, v4, v2
	v_fma_f32 v8, -v1, v5, v4
	v_fmac_f32_e32 v5, v8, v2
	v_fma_f32 v1, -v1, v5, v4
	v_div_fmas_f32 v1, v1, v2, v5
	v_div_fixup_f32 v2, v1, v7, v3
	v_fmac_f32_e32 v7, v3, v2
	v_div_scale_f32 v1, s[12:13], v7, v7, -1.0
	v_rcp_f32_e32 v3, v1
	v_fma_f32 v4, -v1, v3, 1.0
	v_fmac_f32_e32 v3, v4, v3
	v_div_scale_f32 v4, vcc, -1.0, v7, -1.0
	v_mul_f32_e32 v5, v4, v3
	v_fma_f32 v8, -v1, v5, v4
	v_fmac_f32_e32 v5, v8, v3
	v_fma_f32 v1, -v1, v5, v4
	v_div_fmas_f32 v1, v1, v3, v5
	v_div_fixup_f32 v1, v1, v7, -1.0
	v_mul_f32_e32 v2, v2, v1
	v_xor_b32_e32 v4, 0x80000000, v2
                                        ; implicit-def: $vgpr3
                                        ; implicit-def: $vgpr7
.LBB58_15:
	s_andn2_saveexec_b64 s[6:7], s[6:7]
	s_cbranch_execz .LBB58_17
; %bb.16:
	v_div_scale_f32 v1, s[12:13], v3, v3, v7
	v_rcp_f32_e32 v2, v1
	v_div_scale_f32 v4, vcc, v7, v3, v7
	v_fma_f32 v5, -v1, v2, 1.0
	v_fmac_f32_e32 v2, v5, v2
	v_mul_f32_e32 v5, v4, v2
	v_fma_f32 v8, -v1, v5, v4
	v_fmac_f32_e32 v5, v8, v2
	v_fma_f32 v1, -v1, v5, v4
	v_div_fmas_f32 v1, v1, v2, v5
	v_div_fixup_f32 v1, v1, v3, v7
	v_fmac_f32_e32 v3, v7, v1
	v_div_scale_f32 v2, s[12:13], v3, v3, 1.0
	v_rcp_f32_e32 v4, v2
	v_fma_f32 v5, -v2, v4, 1.0
	v_fmac_f32_e32 v4, v5, v4
	v_div_scale_f32 v5, vcc, 1.0, v3, 1.0
	v_mul_f32_e32 v7, v5, v4
	v_fma_f32 v8, -v2, v7, v5
	v_fmac_f32_e32 v7, v8, v4
	v_fma_f32 v2, -v2, v7, v5
	v_div_fmas_f32 v2, v2, v4, v7
	v_div_fixup_f32 v4, v2, v3, 1.0
	v_xor_b32_e32 v2, 0x80000000, v4
	v_mul_f32_e64 v1, v1, -v4
.LBB58_17:
	s_or_b64 exec, exec, s[6:7]
	buffer_store_dword v1, v6, s[0:3], 0 offen offset:4
	buffer_store_dword v4, v6, s[0:3], 0 offen
	buffer_load_dword v5, off, s[0:3], 0 offset:12
	s_nop 0
	buffer_load_dword v4, off, s[0:3], 0 offset:8
	v_xor_b32_e32 v3, 0x80000000, v1
	v_add_u32_e32 v1, 0x1e0, v222
	s_waitcnt vmcnt(0)
	ds_write2_b64 v222, v[2:3], v[4:5] offset1:60
	s_waitcnt lgkmcnt(0)
	; wave barrier
	s_waitcnt lgkmcnt(0)
	s_and_saveexec_b64 s[6:7], s[4:5]
	s_cbranch_execz .LBB58_19
; %bb.18:
	buffer_load_dword v4, v6, s[0:3], 0 offen
	buffer_load_dword v5, v6, s[0:3], 0 offen offset:4
	ds_read_b64 v[2:3], v1
	s_waitcnt vmcnt(0) lgkmcnt(0)
	v_mul_f32_e32 v7, v3, v5
	v_fma_f32 v7, v2, v4, -v7
	v_mul_f32_e32 v2, v2, v5
	v_fmac_f32_e32 v2, v3, v4
	v_add_f32_e32 v5, 0, v2
	v_mov_b32_e32 v2, 0
	ds_read_b64 v[2:3], v2 offset:8
	v_add_f32_e32 v4, 0, v7
	s_waitcnt lgkmcnt(0)
	v_mul_f32_e32 v7, v5, v3
	v_fma_f32 v7, v4, v2, -v7
	v_mul_f32_e32 v3, v4, v3
	v_fmac_f32_e32 v3, v5, v2
	buffer_store_dword v7, off, s[0:3], 0 offset:8
	buffer_store_dword v3, off, s[0:3], 0 offset:12
.LBB58_19:
	s_or_b64 exec, exec, s[6:7]
	s_waitcnt lgkmcnt(0)
	; wave barrier
	buffer_load_dword v2, off, s[0:3], 0 offset:16
	buffer_load_dword v3, off, s[0:3], 0 offset:20
	v_cmp_gt_u32_e32 vcc, 2, v0
	s_waitcnt vmcnt(0)
	ds_write_b64 v1, v[2:3]
	s_waitcnt lgkmcnt(0)
	; wave barrier
	s_waitcnt lgkmcnt(0)
	s_and_saveexec_b64 s[6:7], vcc
	s_cbranch_execz .LBB58_23
; %bb.20:
	buffer_load_dword v4, v6, s[0:3], 0 offen offset:4
	buffer_load_dword v5, v6, s[0:3], 0 offen
	ds_read_b64 v[2:3], v1
	s_waitcnt vmcnt(1) lgkmcnt(0)
	v_mul_f32_e32 v6, v3, v4
	v_mul_f32_e32 v4, v2, v4
	s_waitcnt vmcnt(0)
	v_fma_f32 v2, v2, v5, -v6
	v_fmac_f32_e32 v4, v3, v5
	v_add_f32_e32 v3, 0, v2
	v_add_f32_e32 v2, 0, v4
	s_and_saveexec_b64 s[12:13], s[4:5]
	s_cbranch_execz .LBB58_22
; %bb.21:
	v_mov_b32_e32 v4, 0
	ds_read_b64 v[4:5], v4 offset:488
	buffer_load_dword v6, off, s[0:3], 0 offset:8
	buffer_load_dword v7, off, s[0:3], 0 offset:12
	s_waitcnt vmcnt(0) lgkmcnt(0)
	v_mul_f32_e32 v8, v4, v7
	v_fmac_f32_e32 v8, v5, v6
	v_mul_f32_e32 v5, v5, v7
	v_fma_f32 v4, v4, v6, -v5
	v_add_f32_e32 v2, v2, v8
	v_add_f32_e32 v3, v3, v4
.LBB58_22:
	s_or_b64 exec, exec, s[12:13]
	v_mov_b32_e32 v4, 0
	ds_read_b64 v[4:5], v4 offset:16
	s_waitcnt lgkmcnt(0)
	v_mul_f32_e32 v6, v2, v5
	v_mul_f32_e32 v5, v3, v5
	v_fma_f32 v3, v3, v4, -v6
	v_fmac_f32_e32 v5, v2, v4
	buffer_store_dword v3, off, s[0:3], 0 offset:16
	buffer_store_dword v5, off, s[0:3], 0 offset:20
.LBB58_23:
	s_or_b64 exec, exec, s[6:7]
	s_waitcnt lgkmcnt(0)
	; wave barrier
	buffer_load_dword v2, off, s[0:3], 0 offset:24
	buffer_load_dword v3, off, s[0:3], 0 offset:28
	v_cmp_gt_u32_e32 vcc, 3, v0
	s_waitcnt vmcnt(0)
	ds_write_b64 v1, v[2:3]
	v_add_u32_e32 v2, -1, v0
	s_waitcnt lgkmcnt(0)
	; wave barrier
	s_waitcnt lgkmcnt(0)
	s_and_saveexec_b64 s[4:5], vcc
	s_cbranch_execz .LBB58_27
; %bb.24:
	v_add_u32_e32 v4, -1, v0
	v_add_u32_e32 v5, 0x1e0, v222
	v_add_u32_e32 v6, 0, v222
	s_mov_b64 s[6:7], 0
	v_mov_b32_e32 v3, 0
	v_mov_b32_e32 v7, 0
.LBB58_25:                              ; =>This Inner Loop Header: Depth=1
	buffer_load_dword v10, v6, s[0:3], 0 offen offset:4
	buffer_load_dword v11, v6, s[0:3], 0 offen
	ds_read_b64 v[8:9], v5
	v_add_u32_e32 v4, 1, v4
	v_cmp_lt_u32_e32 vcc, 1, v4
	v_add_u32_e32 v5, 8, v5
	v_add_u32_e32 v6, 8, v6
	s_or_b64 s[6:7], vcc, s[6:7]
	s_waitcnt vmcnt(1) lgkmcnt(0)
	v_mul_f32_e32 v12, v9, v10
	v_mul_f32_e32 v10, v8, v10
	s_waitcnt vmcnt(0)
	v_fma_f32 v8, v8, v11, -v12
	v_fmac_f32_e32 v10, v9, v11
	v_add_f32_e32 v7, v7, v8
	v_add_f32_e32 v3, v3, v10
	s_andn2_b64 exec, exec, s[6:7]
	s_cbranch_execnz .LBB58_25
; %bb.26:
	s_or_b64 exec, exec, s[6:7]
	v_mov_b32_e32 v4, 0
	ds_read_b64 v[4:5], v4 offset:24
	s_waitcnt lgkmcnt(0)
	v_mul_f32_e32 v6, v3, v5
	v_mul_f32_e32 v5, v7, v5
	v_fma_f32 v6, v7, v4, -v6
	v_fmac_f32_e32 v5, v3, v4
	buffer_store_dword v6, off, s[0:3], 0 offset:24
	buffer_store_dword v5, off, s[0:3], 0 offset:28
.LBB58_27:
	s_or_b64 exec, exec, s[4:5]
	s_waitcnt lgkmcnt(0)
	; wave barrier
	buffer_load_dword v4, off, s[0:3], 0 offset:32
	buffer_load_dword v5, off, s[0:3], 0 offset:36
	v_cmp_gt_u32_e32 vcc, 4, v0
	s_waitcnt vmcnt(0)
	ds_write_b64 v1, v[4:5]
	s_waitcnt lgkmcnt(0)
	; wave barrier
	s_waitcnt lgkmcnt(0)
	s_and_saveexec_b64 s[4:5], vcc
	s_cbranch_execz .LBB58_31
; %bb.28:
	v_add_u32_e32 v4, -1, v0
	v_add_u32_e32 v5, 0x1e0, v222
	v_add_u32_e32 v6, 0, v222
	s_mov_b64 s[6:7], 0
	v_mov_b32_e32 v3, 0
	v_mov_b32_e32 v7, 0
.LBB58_29:                              ; =>This Inner Loop Header: Depth=1
	buffer_load_dword v10, v6, s[0:3], 0 offen offset:4
	buffer_load_dword v11, v6, s[0:3], 0 offen
	ds_read_b64 v[8:9], v5
	v_add_u32_e32 v4, 1, v4
	v_cmp_lt_u32_e32 vcc, 2, v4
	v_add_u32_e32 v5, 8, v5
	v_add_u32_e32 v6, 8, v6
	s_or_b64 s[6:7], vcc, s[6:7]
	s_waitcnt vmcnt(1) lgkmcnt(0)
	v_mul_f32_e32 v12, v9, v10
	v_mul_f32_e32 v10, v8, v10
	s_waitcnt vmcnt(0)
	v_fma_f32 v8, v8, v11, -v12
	v_fmac_f32_e32 v10, v9, v11
	v_add_f32_e32 v7, v7, v8
	v_add_f32_e32 v3, v3, v10
	s_andn2_b64 exec, exec, s[6:7]
	s_cbranch_execnz .LBB58_29
; %bb.30:
	s_or_b64 exec, exec, s[6:7]
	v_mov_b32_e32 v4, 0
	ds_read_b64 v[4:5], v4 offset:32
	s_waitcnt lgkmcnt(0)
	v_mul_f32_e32 v6, v3, v5
	v_mul_f32_e32 v5, v7, v5
	v_fma_f32 v6, v7, v4, -v6
	v_fmac_f32_e32 v5, v3, v4
	buffer_store_dword v6, off, s[0:3], 0 offset:32
	buffer_store_dword v5, off, s[0:3], 0 offset:36
.LBB58_31:
	s_or_b64 exec, exec, s[4:5]
	s_waitcnt lgkmcnt(0)
	; wave barrier
	buffer_load_dword v4, off, s[0:3], 0 offset:40
	buffer_load_dword v5, off, s[0:3], 0 offset:44
	v_cmp_gt_u32_e32 vcc, 5, v0
	s_waitcnt vmcnt(0)
	ds_write_b64 v1, v[4:5]
	;; [unrolled: 51-line block ×19, first 2 shown]
	s_waitcnt lgkmcnt(0)
	; wave barrier
	s_waitcnt lgkmcnt(0)
	s_and_saveexec_b64 s[4:5], vcc
	s_cbranch_execz .LBB58_103
; %bb.100:
	v_add_u32_e32 v4, -1, v0
	v_add_u32_e32 v5, 0x1e0, v222
	v_add_u32_e32 v6, 0, v222
	s_mov_b64 s[6:7], 0
	v_mov_b32_e32 v3, 0
	v_mov_b32_e32 v7, 0
.LBB58_101:                             ; =>This Inner Loop Header: Depth=1
	buffer_load_dword v10, v6, s[0:3], 0 offen offset:4
	buffer_load_dword v11, v6, s[0:3], 0 offen
	ds_read_b64 v[8:9], v5
	v_add_u32_e32 v4, 1, v4
	v_cmp_lt_u32_e32 vcc, 20, v4
	v_add_u32_e32 v5, 8, v5
	v_add_u32_e32 v6, 8, v6
	s_or_b64 s[6:7], vcc, s[6:7]
	s_waitcnt vmcnt(1) lgkmcnt(0)
	v_mul_f32_e32 v12, v9, v10
	v_mul_f32_e32 v10, v8, v10
	s_waitcnt vmcnt(0)
	v_fma_f32 v8, v8, v11, -v12
	v_fmac_f32_e32 v10, v9, v11
	v_add_f32_e32 v7, v7, v8
	v_add_f32_e32 v3, v3, v10
	s_andn2_b64 exec, exec, s[6:7]
	s_cbranch_execnz .LBB58_101
; %bb.102:
	s_or_b64 exec, exec, s[6:7]
	v_mov_b32_e32 v4, 0
	ds_read_b64 v[4:5], v4 offset:176
	s_waitcnt lgkmcnt(0)
	v_mul_f32_e32 v6, v3, v5
	v_mul_f32_e32 v5, v7, v5
	v_fma_f32 v6, v7, v4, -v6
	v_fmac_f32_e32 v5, v3, v4
	buffer_store_dword v6, off, s[0:3], 0 offset:176
	buffer_store_dword v5, off, s[0:3], 0 offset:180
.LBB58_103:
	s_or_b64 exec, exec, s[4:5]
	s_waitcnt lgkmcnt(0)
	; wave barrier
	buffer_load_dword v4, off, s[0:3], 0 offset:184
	buffer_load_dword v5, off, s[0:3], 0 offset:188
	v_cmp_gt_u32_e32 vcc, 23, v0
	s_waitcnt vmcnt(0)
	ds_write_b64 v1, v[4:5]
	s_waitcnt lgkmcnt(0)
	; wave barrier
	s_waitcnt lgkmcnt(0)
	s_and_saveexec_b64 s[4:5], vcc
	s_cbranch_execz .LBB58_107
; %bb.104:
	v_add_u32_e32 v4, -1, v0
	v_add_u32_e32 v5, 0x1e0, v222
	v_add_u32_e32 v6, 0, v222
	s_mov_b64 s[6:7], 0
	v_mov_b32_e32 v3, 0
	v_mov_b32_e32 v7, 0
.LBB58_105:                             ; =>This Inner Loop Header: Depth=1
	buffer_load_dword v10, v6, s[0:3], 0 offen offset:4
	buffer_load_dword v11, v6, s[0:3], 0 offen
	ds_read_b64 v[8:9], v5
	v_add_u32_e32 v4, 1, v4
	v_cmp_lt_u32_e32 vcc, 21, v4
	v_add_u32_e32 v5, 8, v5
	v_add_u32_e32 v6, 8, v6
	s_or_b64 s[6:7], vcc, s[6:7]
	s_waitcnt vmcnt(1) lgkmcnt(0)
	v_mul_f32_e32 v12, v9, v10
	v_mul_f32_e32 v10, v8, v10
	s_waitcnt vmcnt(0)
	v_fma_f32 v8, v8, v11, -v12
	v_fmac_f32_e32 v10, v9, v11
	v_add_f32_e32 v7, v7, v8
	v_add_f32_e32 v3, v3, v10
	s_andn2_b64 exec, exec, s[6:7]
	s_cbranch_execnz .LBB58_105
; %bb.106:
	s_or_b64 exec, exec, s[6:7]
	v_mov_b32_e32 v4, 0
	ds_read_b64 v[4:5], v4 offset:184
	s_waitcnt lgkmcnt(0)
	v_mul_f32_e32 v6, v3, v5
	v_mul_f32_e32 v5, v7, v5
	v_fma_f32 v6, v7, v4, -v6
	v_fmac_f32_e32 v5, v3, v4
	buffer_store_dword v6, off, s[0:3], 0 offset:184
	buffer_store_dword v5, off, s[0:3], 0 offset:188
.LBB58_107:
	s_or_b64 exec, exec, s[4:5]
	s_waitcnt lgkmcnt(0)
	; wave barrier
	buffer_load_dword v4, off, s[0:3], 0 offset:192
	buffer_load_dword v5, off, s[0:3], 0 offset:196
	v_cmp_gt_u32_e32 vcc, 24, v0
	s_waitcnt vmcnt(0)
	ds_write_b64 v1, v[4:5]
	;; [unrolled: 51-line block ×35, first 2 shown]
	s_waitcnt lgkmcnt(0)
	; wave barrier
	s_waitcnt lgkmcnt(0)
	s_and_saveexec_b64 s[4:5], vcc
	s_cbranch_execz .LBB58_243
; %bb.240:
	v_add_u32_e32 v4, -1, v0
	v_add_u32_e32 v5, 0x1e0, v222
	v_add_u32_e32 v6, 0, v222
	s_mov_b64 s[6:7], 0
	v_mov_b32_e32 v3, 0
	v_mov_b32_e32 v7, 0
.LBB58_241:                             ; =>This Inner Loop Header: Depth=1
	buffer_load_dword v10, v6, s[0:3], 0 offen offset:4
	buffer_load_dword v11, v6, s[0:3], 0 offen
	ds_read_b64 v[8:9], v5
	v_add_u32_e32 v4, 1, v4
	v_cmp_lt_u32_e32 vcc, 55, v4
	v_add_u32_e32 v5, 8, v5
	v_add_u32_e32 v6, 8, v6
	s_or_b64 s[6:7], vcc, s[6:7]
	s_waitcnt vmcnt(1) lgkmcnt(0)
	v_mul_f32_e32 v12, v9, v10
	v_mul_f32_e32 v10, v8, v10
	s_waitcnt vmcnt(0)
	v_fma_f32 v8, v8, v11, -v12
	v_fmac_f32_e32 v10, v9, v11
	v_add_f32_e32 v7, v7, v8
	v_add_f32_e32 v3, v3, v10
	s_andn2_b64 exec, exec, s[6:7]
	s_cbranch_execnz .LBB58_241
; %bb.242:
	s_or_b64 exec, exec, s[6:7]
	v_mov_b32_e32 v4, 0
	ds_read_b64 v[4:5], v4 offset:456
	s_waitcnt lgkmcnt(0)
	v_mul_f32_e32 v6, v3, v5
	v_mul_f32_e32 v5, v7, v5
	v_fma_f32 v6, v7, v4, -v6
	v_fmac_f32_e32 v5, v3, v4
	buffer_store_dword v6, off, s[0:3], 0 offset:456
	buffer_store_dword v5, off, s[0:3], 0 offset:460
.LBB58_243:
	s_or_b64 exec, exec, s[4:5]
	s_waitcnt lgkmcnt(0)
	; wave barrier
	buffer_load_dword v4, off, s[0:3], 0 offset:464
	buffer_load_dword v5, off, s[0:3], 0 offset:468
	v_cmp_ne_u32_e32 vcc, 58, v0
	s_waitcnt vmcnt(0)
	ds_write_b64 v1, v[4:5]
	s_waitcnt lgkmcnt(0)
	; wave barrier
	s_waitcnt lgkmcnt(0)
	s_and_saveexec_b64 s[4:5], vcc
	s_cbranch_execz .LBB58_247
; %bb.244:
	v_add_u32_e32 v3, 0x1e0, v222
	v_add_u32_e32 v4, 0, v222
	s_mov_b64 s[6:7], 0
	v_mov_b32_e32 v1, 0
	v_mov_b32_e32 v5, 0
.LBB58_245:                             ; =>This Inner Loop Header: Depth=1
	buffer_load_dword v8, v4, s[0:3], 0 offen offset:4
	buffer_load_dword v9, v4, s[0:3], 0 offen
	ds_read_b64 v[6:7], v3
	v_add_u32_e32 v2, 1, v2
	v_cmp_lt_u32_e32 vcc, 56, v2
	v_add_u32_e32 v3, 8, v3
	v_add_u32_e32 v4, 8, v4
	s_or_b64 s[6:7], vcc, s[6:7]
	s_waitcnt vmcnt(1) lgkmcnt(0)
	v_mul_f32_e32 v10, v7, v8
	v_mul_f32_e32 v8, v6, v8
	s_waitcnt vmcnt(0)
	v_fma_f32 v6, v6, v9, -v10
	v_fmac_f32_e32 v8, v7, v9
	v_add_f32_e32 v5, v5, v6
	v_add_f32_e32 v1, v1, v8
	s_andn2_b64 exec, exec, s[6:7]
	s_cbranch_execnz .LBB58_245
; %bb.246:
	s_or_b64 exec, exec, s[6:7]
	v_mov_b32_e32 v2, 0
	ds_read_b64 v[2:3], v2 offset:464
	s_waitcnt lgkmcnt(0)
	v_mul_f32_e32 v4, v1, v3
	v_mul_f32_e32 v3, v5, v3
	v_fma_f32 v4, v5, v2, -v4
	v_fmac_f32_e32 v3, v1, v2
	buffer_store_dword v4, off, s[0:3], 0 offset:464
	buffer_store_dword v3, off, s[0:3], 0 offset:468
.LBB58_247:
	s_or_b64 exec, exec, s[4:5]
	s_mov_b64 s[6:7], -1
	s_waitcnt lgkmcnt(0)
	; wave barrier
.LBB58_248:
	s_and_b64 vcc, exec, s[6:7]
	s_cbranch_vccz .LBB58_250
; %bb.249:
	s_lshl_b64 s[4:5], s[8:9], 2
	s_add_u32 s4, s14, s4
	s_addc_u32 s5, s15, s5
	v_mov_b32_e32 v1, 0
	global_load_dword v1, v1, s[4:5]
	s_waitcnt vmcnt(0)
	v_cmp_ne_u32_e32 vcc, 0, v1
	s_cbranch_vccz .LBB58_251
.LBB58_250:
	s_endpgm
.LBB58_251:
	v_mov_b32_e32 v1, 0x1e0
	v_lshl_add_u32 v187, v0, 3, v1
	v_cmp_eq_u32_e32 vcc, 58, v0
	s_and_saveexec_b64 s[4:5], vcc
	s_cbranch_execz .LBB58_253
; %bb.252:
	buffer_load_dword v2, off, s[0:3], 0 offset:456
	buffer_load_dword v3, off, s[0:3], 0 offset:460
	v_mov_b32_e32 v1, 0
	buffer_store_dword v1, off, s[0:3], 0 offset:456
	buffer_store_dword v1, off, s[0:3], 0 offset:460
	s_waitcnt vmcnt(2)
	ds_write_b64 v187, v[2:3]
.LBB58_253:
	s_or_b64 exec, exec, s[4:5]
	s_waitcnt lgkmcnt(0)
	; wave barrier
	s_waitcnt lgkmcnt(0)
	buffer_load_dword v3, off, s[0:3], 0 offset:468
	buffer_load_dword v2, off, s[0:3], 0 offset:464
	;; [unrolled: 1-line block ×4, first 2 shown]
	v_mov_b32_e32 v1, 0
	ds_read_b64 v[6:7], v1 offset:944
	v_cmp_lt_u32_e32 vcc, 56, v0
	s_waitcnt vmcnt(3)
	v_mov_b32_e32 v8, v3
	s_waitcnt lgkmcnt(0)
	v_pk_mul_f32 v[8:9], v[6:7], v[8:9] op_sel_hi:[1,0]
	s_waitcnt vmcnt(2)
	v_pk_fma_f32 v[10:11], v[6:7], v[2:3], v[8:9] op_sel:[0,0,1] op_sel_hi:[1,1,0] neg_lo:[0,0,1] neg_hi:[0,0,1]
	v_pk_fma_f32 v[2:3], v[6:7], v[2:3], v[8:9] op_sel:[0,0,1] op_sel_hi:[1,0,0]
	v_mov_b32_e32 v11, v3
	v_pk_add_f32 v[2:3], v[10:11], 0 op_sel_hi:[1,0]
	s_waitcnt vmcnt(0)
	v_pk_add_f32 v[2:3], v[4:5], v[2:3] neg_lo:[0,1] neg_hi:[0,1]
	buffer_store_dword v2, off, s[0:3], 0 offset:456
	buffer_store_dword v3, off, s[0:3], 0 offset:460
	s_and_saveexec_b64 s[4:5], vcc
	s_cbranch_execz .LBB58_255
; %bb.254:
	buffer_load_dword v2, off, s[0:3], 0 offset:448
	buffer_load_dword v3, off, s[0:3], 0 offset:452
	s_waitcnt vmcnt(0)
	ds_write_b64 v187, v[2:3]
	buffer_store_dword v1, off, s[0:3], 0 offset:448
	buffer_store_dword v1, off, s[0:3], 0 offset:452
.LBB58_255:
	s_or_b64 exec, exec, s[4:5]
	s_waitcnt lgkmcnt(0)
	; wave barrier
	s_waitcnt lgkmcnt(0)
	buffer_load_dword v7, off, s[0:3], 0 offset:460
	buffer_load_dword v9, off, s[0:3], 0 offset:468
	;; [unrolled: 1-line block ×6, first 2 shown]
	ds_read2_b64 v[2:5], v1 offset0:117 offset1:118
	v_cmp_lt_u32_e32 vcc, 55, v0
	s_waitcnt vmcnt(5)
	v_mov_b32_e32 v12, v7
	s_waitcnt vmcnt(4)
	v_mov_b32_e32 v14, v9
	s_waitcnt lgkmcnt(0)
	v_pk_mul_f32 v[12:13], v[2:3], v[12:13] op_sel_hi:[1,0]
	v_pk_mul_f32 v[14:15], v[4:5], v[14:15] op_sel_hi:[1,0]
	s_waitcnt vmcnt(3)
	v_pk_fma_f32 v[16:17], v[2:3], v[6:7], v[12:13] op_sel:[0,0,1] op_sel_hi:[1,1,0] neg_lo:[0,0,1] neg_hi:[0,0,1]
	v_pk_fma_f32 v[2:3], v[2:3], v[6:7], v[12:13] op_sel:[0,0,1] op_sel_hi:[1,0,0]
	s_waitcnt vmcnt(2)
	v_pk_fma_f32 v[6:7], v[4:5], v[8:9], v[14:15] op_sel:[0,0,1] op_sel_hi:[1,1,0] neg_lo:[0,0,1] neg_hi:[0,0,1]
	v_pk_fma_f32 v[4:5], v[4:5], v[8:9], v[14:15] op_sel:[0,0,1] op_sel_hi:[1,0,0]
	v_mov_b32_e32 v17, v3
	v_mov_b32_e32 v7, v5
	v_pk_add_f32 v[2:3], v[16:17], 0 op_sel_hi:[1,0]
	v_pk_add_f32 v[2:3], v[2:3], v[6:7]
	s_waitcnt vmcnt(0)
	v_pk_add_f32 v[2:3], v[10:11], v[2:3] neg_lo:[0,1] neg_hi:[0,1]
	buffer_store_dword v2, off, s[0:3], 0 offset:448
	buffer_store_dword v3, off, s[0:3], 0 offset:452
	s_and_saveexec_b64 s[4:5], vcc
	s_cbranch_execz .LBB58_257
; %bb.256:
	buffer_load_dword v2, off, s[0:3], 0 offset:440
	buffer_load_dword v3, off, s[0:3], 0 offset:444
	v_mov_b32_e32 v1, 0
	buffer_store_dword v1, off, s[0:3], 0 offset:440
	buffer_store_dword v1, off, s[0:3], 0 offset:444
	s_waitcnt vmcnt(2)
	ds_write_b64 v187, v[2:3]
.LBB58_257:
	s_or_b64 exec, exec, s[4:5]
	s_waitcnt lgkmcnt(0)
	; wave barrier
	s_waitcnt lgkmcnt(0)
	buffer_load_dword v7, off, s[0:3], 0 offset:452
	buffer_load_dword v9, off, s[0:3], 0 offset:460
	buffer_load_dword v11, off, s[0:3], 0 offset:468
	buffer_load_dword v6, off, s[0:3], 0 offset:448
	buffer_load_dword v8, off, s[0:3], 0 offset:456
	buffer_load_dword v10, off, s[0:3], 0 offset:464
	buffer_load_dword v12, off, s[0:3], 0 offset:440
	buffer_load_dword v13, off, s[0:3], 0 offset:444
	v_mov_b32_e32 v1, 0
	ds_read_b128 v[2:5], v1 offset:928
	ds_read_b64 v[14:15], v1 offset:944
	v_cmp_lt_u32_e32 vcc, 54, v0
	s_waitcnt vmcnt(7)
	v_mov_b32_e32 v16, v7
	s_waitcnt vmcnt(6)
	v_mov_b32_e32 v18, v9
	s_waitcnt lgkmcnt(1)
	v_pk_mul_f32 v[16:17], v[2:3], v[16:17] op_sel_hi:[1,0]
	s_waitcnt vmcnt(5)
	v_mov_b32_e32 v20, v11
	v_pk_mul_f32 v[18:19], v[4:5], v[18:19] op_sel_hi:[1,0]
	s_waitcnt vmcnt(4)
	v_pk_fma_f32 v[22:23], v[2:3], v[6:7], v[16:17] op_sel:[0,0,1] op_sel_hi:[1,1,0] neg_lo:[0,0,1] neg_hi:[0,0,1]
	v_pk_fma_f32 v[2:3], v[2:3], v[6:7], v[16:17] op_sel:[0,0,1] op_sel_hi:[1,0,0]
	s_waitcnt lgkmcnt(0)
	v_pk_mul_f32 v[20:21], v[14:15], v[20:21] op_sel_hi:[1,0]
	s_waitcnt vmcnt(3)
	v_pk_fma_f32 v[6:7], v[4:5], v[8:9], v[18:19] op_sel:[0,0,1] op_sel_hi:[1,1,0] neg_lo:[0,0,1] neg_hi:[0,0,1]
	v_pk_fma_f32 v[4:5], v[4:5], v[8:9], v[18:19] op_sel:[0,0,1] op_sel_hi:[1,0,0]
	v_mov_b32_e32 v23, v3
	s_waitcnt vmcnt(2)
	v_pk_fma_f32 v[8:9], v[14:15], v[10:11], v[20:21] op_sel:[0,0,1] op_sel_hi:[1,1,0] neg_lo:[0,0,1] neg_hi:[0,0,1]
	v_pk_fma_f32 v[10:11], v[14:15], v[10:11], v[20:21] op_sel:[0,0,1] op_sel_hi:[1,0,0]
	v_mov_b32_e32 v7, v5
	v_pk_add_f32 v[2:3], v[22:23], 0 op_sel_hi:[1,0]
	v_mov_b32_e32 v9, v11
	v_pk_add_f32 v[2:3], v[2:3], v[6:7]
	v_pk_add_f32 v[2:3], v[2:3], v[8:9]
	s_waitcnt vmcnt(0)
	v_pk_add_f32 v[2:3], v[12:13], v[2:3] neg_lo:[0,1] neg_hi:[0,1]
	buffer_store_dword v2, off, s[0:3], 0 offset:440
	buffer_store_dword v3, off, s[0:3], 0 offset:444
	s_and_saveexec_b64 s[4:5], vcc
	s_cbranch_execz .LBB58_259
; %bb.258:
	buffer_load_dword v2, off, s[0:3], 0 offset:432
	buffer_load_dword v3, off, s[0:3], 0 offset:436
	s_waitcnt vmcnt(0)
	ds_write_b64 v187, v[2:3]
	buffer_store_dword v1, off, s[0:3], 0 offset:432
	buffer_store_dword v1, off, s[0:3], 0 offset:436
.LBB58_259:
	s_or_b64 exec, exec, s[4:5]
	s_waitcnt lgkmcnt(0)
	; wave barrier
	s_waitcnt lgkmcnt(0)
	buffer_load_dword v11, off, s[0:3], 0 offset:444
	buffer_load_dword v13, off, s[0:3], 0 offset:452
	;; [unrolled: 1-line block ×10, first 2 shown]
	ds_read2_b64 v[2:5], v1 offset0:115 offset1:116
	ds_read2_b64 v[6:9], v1 offset0:117 offset1:118
	v_cmp_lt_u32_e32 vcc, 53, v0
	s_waitcnt vmcnt(9)
	v_mov_b32_e32 v20, v11
	s_waitcnt vmcnt(8)
	v_mov_b32_e32 v22, v13
	s_waitcnt lgkmcnt(1)
	v_pk_mul_f32 v[20:21], v[2:3], v[20:21] op_sel_hi:[1,0]
	s_waitcnt vmcnt(7)
	v_mov_b32_e32 v24, v15
	v_pk_mul_f32 v[22:23], v[4:5], v[22:23] op_sel_hi:[1,0]
	s_waitcnt vmcnt(5)
	v_pk_fma_f32 v[28:29], v[2:3], v[10:11], v[20:21] op_sel:[0,0,1] op_sel_hi:[1,1,0] neg_lo:[0,0,1] neg_hi:[0,0,1]
	v_pk_fma_f32 v[2:3], v[2:3], v[10:11], v[20:21] op_sel:[0,0,1] op_sel_hi:[1,0,0]
	v_mov_b32_e32 v26, v17
	s_waitcnt lgkmcnt(0)
	v_pk_mul_f32 v[24:25], v[6:7], v[24:25] op_sel_hi:[1,0]
	s_waitcnt vmcnt(4)
	v_pk_fma_f32 v[10:11], v[4:5], v[12:13], v[22:23] op_sel:[0,0,1] op_sel_hi:[1,1,0] neg_lo:[0,0,1] neg_hi:[0,0,1]
	v_pk_fma_f32 v[4:5], v[4:5], v[12:13], v[22:23] op_sel:[0,0,1] op_sel_hi:[1,0,0]
	v_mov_b32_e32 v29, v3
	v_pk_mul_f32 v[26:27], v[8:9], v[26:27] op_sel_hi:[1,0]
	s_waitcnt vmcnt(3)
	v_pk_fma_f32 v[12:13], v[6:7], v[14:15], v[24:25] op_sel:[0,0,1] op_sel_hi:[1,1,0] neg_lo:[0,0,1] neg_hi:[0,0,1]
	v_pk_fma_f32 v[6:7], v[6:7], v[14:15], v[24:25] op_sel:[0,0,1] op_sel_hi:[1,0,0]
	v_mov_b32_e32 v11, v5
	v_pk_add_f32 v[2:3], v[28:29], 0 op_sel_hi:[1,0]
	s_waitcnt vmcnt(2)
	v_pk_fma_f32 v[14:15], v[8:9], v[16:17], v[26:27] op_sel:[0,0,1] op_sel_hi:[1,1,0] neg_lo:[0,0,1] neg_hi:[0,0,1]
	v_pk_fma_f32 v[8:9], v[8:9], v[16:17], v[26:27] op_sel:[0,0,1] op_sel_hi:[1,0,0]
	v_mov_b32_e32 v13, v7
	v_pk_add_f32 v[2:3], v[2:3], v[10:11]
	v_mov_b32_e32 v15, v9
	v_pk_add_f32 v[2:3], v[2:3], v[12:13]
	v_pk_add_f32 v[2:3], v[2:3], v[14:15]
	s_waitcnt vmcnt(0)
	v_pk_add_f32 v[2:3], v[18:19], v[2:3] neg_lo:[0,1] neg_hi:[0,1]
	buffer_store_dword v2, off, s[0:3], 0 offset:432
	buffer_store_dword v3, off, s[0:3], 0 offset:436
	s_and_saveexec_b64 s[4:5], vcc
	s_cbranch_execz .LBB58_261
; %bb.260:
	buffer_load_dword v2, off, s[0:3], 0 offset:424
	buffer_load_dword v3, off, s[0:3], 0 offset:428
	v_mov_b32_e32 v1, 0
	buffer_store_dword v1, off, s[0:3], 0 offset:424
	buffer_store_dword v1, off, s[0:3], 0 offset:428
	s_waitcnt vmcnt(2)
	ds_write_b64 v187, v[2:3]
.LBB58_261:
	s_or_b64 exec, exec, s[4:5]
	s_waitcnt lgkmcnt(0)
	; wave barrier
	s_waitcnt lgkmcnt(0)
	buffer_load_dword v11, off, s[0:3], 0 offset:436
	buffer_load_dword v13, off, s[0:3], 0 offset:444
	;; [unrolled: 1-line block ×12, first 2 shown]
	v_mov_b32_e32 v1, 0
	ds_read_b128 v[2:5], v1 offset:912
	ds_read_b128 v[6:9], v1 offset:928
	ds_read_b64 v[22:23], v1 offset:944
	v_cmp_lt_u32_e32 vcc, 52, v0
	s_waitcnt vmcnt(11)
	v_mov_b32_e32 v24, v11
	s_waitcnt vmcnt(10)
	v_mov_b32_e32 v26, v13
	s_waitcnt lgkmcnt(2)
	v_pk_mul_f32 v[24:25], v[2:3], v[24:25] op_sel_hi:[1,0]
	s_waitcnt vmcnt(9)
	v_mov_b32_e32 v28, v15
	v_pk_mul_f32 v[26:27], v[4:5], v[26:27] op_sel_hi:[1,0]
	s_waitcnt vmcnt(6)
	v_pk_fma_f32 v[34:35], v[2:3], v[10:11], v[24:25] op_sel:[0,0,1] op_sel_hi:[1,1,0] neg_lo:[0,0,1] neg_hi:[0,0,1]
	v_pk_fma_f32 v[2:3], v[2:3], v[10:11], v[24:25] op_sel:[0,0,1] op_sel_hi:[1,0,0]
	v_mov_b32_e32 v30, v17
	s_waitcnt lgkmcnt(1)
	v_pk_mul_f32 v[28:29], v[6:7], v[28:29] op_sel_hi:[1,0]
	s_waitcnt vmcnt(5)
	v_pk_fma_f32 v[10:11], v[4:5], v[12:13], v[26:27] op_sel:[0,0,1] op_sel_hi:[1,1,0] neg_lo:[0,0,1] neg_hi:[0,0,1]
	v_pk_fma_f32 v[4:5], v[4:5], v[12:13], v[26:27] op_sel:[0,0,1] op_sel_hi:[1,0,0]
	v_mov_b32_e32 v35, v3
	v_mov_b32_e32 v32, v19
	v_pk_mul_f32 v[30:31], v[8:9], v[30:31] op_sel_hi:[1,0]
	s_waitcnt vmcnt(4)
	v_pk_fma_f32 v[12:13], v[6:7], v[14:15], v[28:29] op_sel:[0,0,1] op_sel_hi:[1,1,0] neg_lo:[0,0,1] neg_hi:[0,0,1]
	v_pk_fma_f32 v[6:7], v[6:7], v[14:15], v[28:29] op_sel:[0,0,1] op_sel_hi:[1,0,0]
	v_mov_b32_e32 v11, v5
	v_pk_add_f32 v[2:3], v[34:35], 0 op_sel_hi:[1,0]
	s_waitcnt lgkmcnt(0)
	v_pk_mul_f32 v[32:33], v[22:23], v[32:33] op_sel_hi:[1,0]
	s_waitcnt vmcnt(3)
	v_pk_fma_f32 v[14:15], v[8:9], v[16:17], v[30:31] op_sel:[0,0,1] op_sel_hi:[1,1,0] neg_lo:[0,0,1] neg_hi:[0,0,1]
	v_pk_fma_f32 v[8:9], v[8:9], v[16:17], v[30:31] op_sel:[0,0,1] op_sel_hi:[1,0,0]
	v_mov_b32_e32 v13, v7
	v_pk_add_f32 v[2:3], v[2:3], v[10:11]
	s_waitcnt vmcnt(2)
	v_pk_fma_f32 v[16:17], v[22:23], v[18:19], v[32:33] op_sel:[0,0,1] op_sel_hi:[1,1,0] neg_lo:[0,0,1] neg_hi:[0,0,1]
	v_pk_fma_f32 v[18:19], v[22:23], v[18:19], v[32:33] op_sel:[0,0,1] op_sel_hi:[1,0,0]
	v_mov_b32_e32 v15, v9
	v_pk_add_f32 v[2:3], v[2:3], v[12:13]
	v_mov_b32_e32 v17, v19
	v_pk_add_f32 v[2:3], v[2:3], v[14:15]
	v_pk_add_f32 v[2:3], v[2:3], v[16:17]
	s_waitcnt vmcnt(0)
	v_pk_add_f32 v[2:3], v[20:21], v[2:3] neg_lo:[0,1] neg_hi:[0,1]
	buffer_store_dword v2, off, s[0:3], 0 offset:424
	buffer_store_dword v3, off, s[0:3], 0 offset:428
	s_and_saveexec_b64 s[4:5], vcc
	s_cbranch_execz .LBB58_263
; %bb.262:
	buffer_load_dword v2, off, s[0:3], 0 offset:416
	buffer_load_dword v3, off, s[0:3], 0 offset:420
	s_waitcnt vmcnt(0)
	ds_write_b64 v187, v[2:3]
	buffer_store_dword v1, off, s[0:3], 0 offset:416
	buffer_store_dword v1, off, s[0:3], 0 offset:420
.LBB58_263:
	s_or_b64 exec, exec, s[4:5]
	s_waitcnt lgkmcnt(0)
	; wave barrier
	s_waitcnt lgkmcnt(0)
	buffer_load_dword v15, off, s[0:3], 0 offset:428
	buffer_load_dword v17, off, s[0:3], 0 offset:436
	;; [unrolled: 1-line block ×14, first 2 shown]
	ds_read2_b64 v[2:5], v1 offset0:113 offset1:114
	ds_read2_b64 v[6:9], v1 offset0:115 offset1:116
	;; [unrolled: 1-line block ×3, first 2 shown]
	v_cmp_lt_u32_e32 vcc, 51, v0
	s_waitcnt vmcnt(13)
	v_mov_b32_e32 v28, v15
	s_waitcnt vmcnt(12)
	v_mov_b32_e32 v30, v17
	s_waitcnt lgkmcnt(2)
	v_pk_mul_f32 v[28:29], v[2:3], v[28:29] op_sel_hi:[1,0]
	s_waitcnt vmcnt(11)
	v_mov_b32_e32 v32, v19
	v_pk_mul_f32 v[30:31], v[4:5], v[30:31] op_sel_hi:[1,0]
	s_waitcnt vmcnt(10)
	v_mov_b32_e32 v34, v21
	s_waitcnt vmcnt(7)
	v_pk_fma_f32 v[40:41], v[2:3], v[14:15], v[28:29] op_sel:[0,0,1] op_sel_hi:[1,1,0] neg_lo:[0,0,1] neg_hi:[0,0,1]
	v_pk_fma_f32 v[2:3], v[2:3], v[14:15], v[28:29] op_sel:[0,0,1] op_sel_hi:[1,0,0]
	s_waitcnt lgkmcnt(1)
	v_pk_mul_f32 v[32:33], v[6:7], v[32:33] op_sel_hi:[1,0]
	s_waitcnt vmcnt(6)
	v_pk_fma_f32 v[14:15], v[4:5], v[16:17], v[30:31] op_sel:[0,0,1] op_sel_hi:[1,1,0] neg_lo:[0,0,1] neg_hi:[0,0,1]
	v_pk_fma_f32 v[4:5], v[4:5], v[16:17], v[30:31] op_sel:[0,0,1] op_sel_hi:[1,0,0]
	v_mov_b32_e32 v41, v3
	v_mov_b32_e32 v36, v23
	v_pk_mul_f32 v[34:35], v[8:9], v[34:35] op_sel_hi:[1,0]
	s_waitcnt vmcnt(5)
	v_pk_fma_f32 v[16:17], v[6:7], v[18:19], v[32:33] op_sel:[0,0,1] op_sel_hi:[1,1,0] neg_lo:[0,0,1] neg_hi:[0,0,1]
	v_pk_fma_f32 v[6:7], v[6:7], v[18:19], v[32:33] op_sel:[0,0,1] op_sel_hi:[1,0,0]
	v_mov_b32_e32 v15, v5
	v_pk_add_f32 v[2:3], v[40:41], 0 op_sel_hi:[1,0]
	v_mov_b32_e32 v38, v25
	s_waitcnt lgkmcnt(0)
	v_pk_mul_f32 v[36:37], v[10:11], v[36:37] op_sel_hi:[1,0]
	s_waitcnt vmcnt(4)
	v_pk_fma_f32 v[18:19], v[8:9], v[20:21], v[34:35] op_sel:[0,0,1] op_sel_hi:[1,1,0] neg_lo:[0,0,1] neg_hi:[0,0,1]
	v_pk_fma_f32 v[8:9], v[8:9], v[20:21], v[34:35] op_sel:[0,0,1] op_sel_hi:[1,0,0]
	v_mov_b32_e32 v17, v7
	v_pk_add_f32 v[2:3], v[2:3], v[14:15]
	v_pk_mul_f32 v[38:39], v[12:13], v[38:39] op_sel_hi:[1,0]
	s_waitcnt vmcnt(3)
	v_pk_fma_f32 v[20:21], v[10:11], v[22:23], v[36:37] op_sel:[0,0,1] op_sel_hi:[1,1,0] neg_lo:[0,0,1] neg_hi:[0,0,1]
	v_pk_fma_f32 v[10:11], v[10:11], v[22:23], v[36:37] op_sel:[0,0,1] op_sel_hi:[1,0,0]
	v_mov_b32_e32 v19, v9
	v_pk_add_f32 v[2:3], v[2:3], v[16:17]
	s_waitcnt vmcnt(2)
	v_pk_fma_f32 v[22:23], v[12:13], v[24:25], v[38:39] op_sel:[0,0,1] op_sel_hi:[1,1,0] neg_lo:[0,0,1] neg_hi:[0,0,1]
	v_pk_fma_f32 v[12:13], v[12:13], v[24:25], v[38:39] op_sel:[0,0,1] op_sel_hi:[1,0,0]
	v_mov_b32_e32 v21, v11
	v_pk_add_f32 v[2:3], v[2:3], v[18:19]
	v_mov_b32_e32 v23, v13
	v_pk_add_f32 v[2:3], v[2:3], v[20:21]
	v_pk_add_f32 v[2:3], v[2:3], v[22:23]
	s_waitcnt vmcnt(0)
	v_pk_add_f32 v[2:3], v[26:27], v[2:3] neg_lo:[0,1] neg_hi:[0,1]
	buffer_store_dword v2, off, s[0:3], 0 offset:416
	buffer_store_dword v3, off, s[0:3], 0 offset:420
	s_and_saveexec_b64 s[4:5], vcc
	s_cbranch_execz .LBB58_265
; %bb.264:
	buffer_load_dword v2, off, s[0:3], 0 offset:408
	buffer_load_dword v3, off, s[0:3], 0 offset:412
	v_mov_b32_e32 v1, 0
	buffer_store_dword v1, off, s[0:3], 0 offset:408
	buffer_store_dword v1, off, s[0:3], 0 offset:412
	s_waitcnt vmcnt(2)
	ds_write_b64 v187, v[2:3]
.LBB58_265:
	s_or_b64 exec, exec, s[4:5]
	s_waitcnt lgkmcnt(0)
	; wave barrier
	s_waitcnt lgkmcnt(0)
	buffer_load_dword v15, off, s[0:3], 0 offset:420
	buffer_load_dword v17, off, s[0:3], 0 offset:428
	;; [unrolled: 1-line block ×16, first 2 shown]
	v_mov_b32_e32 v1, 0
	ds_read_b128 v[2:5], v1 offset:896
	ds_read_b128 v[6:9], v1 offset:912
	;; [unrolled: 1-line block ×3, first 2 shown]
	ds_read_b64 v[30:31], v1 offset:944
	v_cmp_lt_u32_e32 vcc, 50, v0
	s_waitcnt vmcnt(15)
	v_mov_b32_e32 v32, v15
	s_waitcnt vmcnt(14)
	v_mov_b32_e32 v34, v17
	s_waitcnt lgkmcnt(3)
	v_pk_mul_f32 v[32:33], v[2:3], v[32:33] op_sel_hi:[1,0]
	s_waitcnt vmcnt(13)
	v_mov_b32_e32 v36, v19
	v_pk_mul_f32 v[34:35], v[4:5], v[34:35] op_sel_hi:[1,0]
	s_waitcnt vmcnt(12)
	v_mov_b32_e32 v38, v21
	s_waitcnt lgkmcnt(2)
	v_pk_mul_f32 v[36:37], v[6:7], v[36:37] op_sel_hi:[1,0]
	s_waitcnt vmcnt(8)
	v_pk_fma_f32 v[46:47], v[2:3], v[14:15], v[32:33] op_sel:[0,0,1] op_sel_hi:[1,1,0] neg_lo:[0,0,1] neg_hi:[0,0,1]
	v_pk_fma_f32 v[2:3], v[2:3], v[14:15], v[32:33] op_sel:[0,0,1] op_sel_hi:[1,0,0]
	s_waitcnt vmcnt(7)
	v_pk_fma_f32 v[14:15], v[4:5], v[16:17], v[34:35] op_sel:[0,0,1] op_sel_hi:[1,1,0] neg_lo:[0,0,1] neg_hi:[0,0,1]
	v_pk_fma_f32 v[4:5], v[4:5], v[16:17], v[34:35] op_sel:[0,0,1] op_sel_hi:[1,0,0]
	v_mov_b32_e32 v47, v3
	v_mov_b32_e32 v40, v23
	v_pk_mul_f32 v[38:39], v[8:9], v[38:39] op_sel_hi:[1,0]
	s_waitcnt vmcnt(6)
	v_pk_fma_f32 v[16:17], v[6:7], v[18:19], v[36:37] op_sel:[0,0,1] op_sel_hi:[1,1,0] neg_lo:[0,0,1] neg_hi:[0,0,1]
	v_pk_fma_f32 v[6:7], v[6:7], v[18:19], v[36:37] op_sel:[0,0,1] op_sel_hi:[1,0,0]
	v_mov_b32_e32 v15, v5
	v_pk_add_f32 v[2:3], v[46:47], 0 op_sel_hi:[1,0]
	v_mov_b32_e32 v42, v25
	s_waitcnt lgkmcnt(1)
	v_pk_mul_f32 v[40:41], v[10:11], v[40:41] op_sel_hi:[1,0]
	s_waitcnt vmcnt(5)
	v_pk_fma_f32 v[18:19], v[8:9], v[20:21], v[38:39] op_sel:[0,0,1] op_sel_hi:[1,1,0] neg_lo:[0,0,1] neg_hi:[0,0,1]
	v_pk_fma_f32 v[8:9], v[8:9], v[20:21], v[38:39] op_sel:[0,0,1] op_sel_hi:[1,0,0]
	v_mov_b32_e32 v17, v7
	v_pk_add_f32 v[2:3], v[2:3], v[14:15]
	v_mov_b32_e32 v44, v27
	v_pk_mul_f32 v[42:43], v[12:13], v[42:43] op_sel_hi:[1,0]
	s_waitcnt vmcnt(4)
	v_pk_fma_f32 v[20:21], v[10:11], v[22:23], v[40:41] op_sel:[0,0,1] op_sel_hi:[1,1,0] neg_lo:[0,0,1] neg_hi:[0,0,1]
	v_pk_fma_f32 v[10:11], v[10:11], v[22:23], v[40:41] op_sel:[0,0,1] op_sel_hi:[1,0,0]
	v_mov_b32_e32 v19, v9
	v_pk_add_f32 v[2:3], v[2:3], v[16:17]
	s_waitcnt lgkmcnt(0)
	v_pk_mul_f32 v[44:45], v[30:31], v[44:45] op_sel_hi:[1,0]
	s_waitcnt vmcnt(3)
	v_pk_fma_f32 v[22:23], v[12:13], v[24:25], v[42:43] op_sel:[0,0,1] op_sel_hi:[1,1,0] neg_lo:[0,0,1] neg_hi:[0,0,1]
	v_pk_fma_f32 v[12:13], v[12:13], v[24:25], v[42:43] op_sel:[0,0,1] op_sel_hi:[1,0,0]
	v_mov_b32_e32 v21, v11
	v_pk_add_f32 v[2:3], v[2:3], v[18:19]
	s_waitcnt vmcnt(2)
	v_pk_fma_f32 v[24:25], v[30:31], v[26:27], v[44:45] op_sel:[0,0,1] op_sel_hi:[1,1,0] neg_lo:[0,0,1] neg_hi:[0,0,1]
	v_pk_fma_f32 v[26:27], v[30:31], v[26:27], v[44:45] op_sel:[0,0,1] op_sel_hi:[1,0,0]
	v_mov_b32_e32 v23, v13
	v_pk_add_f32 v[2:3], v[2:3], v[20:21]
	v_mov_b32_e32 v25, v27
	v_pk_add_f32 v[2:3], v[2:3], v[22:23]
	v_pk_add_f32 v[2:3], v[2:3], v[24:25]
	s_waitcnt vmcnt(0)
	v_pk_add_f32 v[2:3], v[28:29], v[2:3] neg_lo:[0,1] neg_hi:[0,1]
	buffer_store_dword v2, off, s[0:3], 0 offset:408
	buffer_store_dword v3, off, s[0:3], 0 offset:412
	s_and_saveexec_b64 s[4:5], vcc
	s_cbranch_execz .LBB58_267
; %bb.266:
	buffer_load_dword v2, off, s[0:3], 0 offset:400
	buffer_load_dword v3, off, s[0:3], 0 offset:404
	s_waitcnt vmcnt(0)
	ds_write_b64 v187, v[2:3]
	buffer_store_dword v1, off, s[0:3], 0 offset:400
	buffer_store_dword v1, off, s[0:3], 0 offset:404
.LBB58_267:
	s_or_b64 exec, exec, s[4:5]
	s_waitcnt lgkmcnt(0)
	; wave barrier
	s_waitcnt lgkmcnt(0)
	buffer_load_dword v18, off, s[0:3], 0 offset:400
	buffer_load_dword v19, off, s[0:3], 0 offset:404
	;; [unrolled: 1-line block ×16, first 2 shown]
	ds_read2_b64 v[2:5], v1 offset0:111 offset1:112
	buffer_load_dword v35, off, s[0:3], 0 offset:468
	buffer_load_dword v34, off, s[0:3], 0 offset:464
	ds_read2_b64 v[6:9], v1 offset0:113 offset1:114
	ds_read2_b64 v[10:13], v1 offset0:115 offset1:116
	;; [unrolled: 1-line block ×3, first 2 shown]
	v_cmp_lt_u32_e32 vcc, 49, v0
	s_waitcnt vmcnt(14)
	v_mov_b32_e32 v36, v21
	s_waitcnt lgkmcnt(3)
	v_pk_mul_f32 v[36:37], v[2:3], v[36:37] op_sel_hi:[1,0]
	v_pk_fma_f32 v[38:39], v[2:3], v[20:21], v[36:37] op_sel:[0,0,1] op_sel_hi:[1,1,0] neg_lo:[0,0,1] neg_hi:[0,0,1]
	v_pk_fma_f32 v[2:3], v[2:3], v[20:21], v[36:37] op_sel:[0,0,1] op_sel_hi:[1,0,0]
	s_waitcnt vmcnt(12)
	v_mov_b32_e32 v20, v23
	v_pk_mul_f32 v[20:21], v[4:5], v[20:21] op_sel_hi:[1,0]
	v_pk_fma_f32 v[36:37], v[4:5], v[22:23], v[20:21] op_sel:[0,0,1] op_sel_hi:[1,1,0] neg_lo:[0,0,1] neg_hi:[0,0,1]
	v_pk_fma_f32 v[4:5], v[4:5], v[22:23], v[20:21] op_sel:[0,0,1] op_sel_hi:[1,0,0]
	s_waitcnt vmcnt(10)
	v_mov_b32_e32 v4, v25
	v_mov_b32_e32 v37, v5
	s_waitcnt lgkmcnt(2)
	v_pk_mul_f32 v[4:5], v[6:7], v[4:5] op_sel_hi:[1,0]
	v_pk_fma_f32 v[20:21], v[6:7], v[24:25], v[4:5] op_sel:[0,0,1] op_sel_hi:[1,1,0] neg_lo:[0,0,1] neg_hi:[0,0,1]
	v_pk_fma_f32 v[4:5], v[6:7], v[24:25], v[4:5] op_sel:[0,0,1] op_sel_hi:[1,0,0]
	s_waitcnt vmcnt(8)
	v_mov_b32_e32 v4, v27
	v_mov_b32_e32 v39, v3
	;; [unrolled: 1-line block ×3, first 2 shown]
	v_pk_mul_f32 v[4:5], v[8:9], v[4:5] op_sel_hi:[1,0]
	v_pk_add_f32 v[2:3], v[38:39], 0 op_sel_hi:[1,0]
	v_pk_fma_f32 v[6:7], v[8:9], v[26:27], v[4:5] op_sel:[0,0,1] op_sel_hi:[1,1,0] neg_lo:[0,0,1] neg_hi:[0,0,1]
	v_pk_fma_f32 v[4:5], v[8:9], v[26:27], v[4:5] op_sel:[0,0,1] op_sel_hi:[1,0,0]
	v_pk_add_f32 v[2:3], v[2:3], v[36:37]
	s_waitcnt vmcnt(6)
	v_mov_b32_e32 v4, v29
	v_pk_add_f32 v[2:3], v[2:3], v[20:21]
	v_mov_b32_e32 v7, v5
	s_waitcnt lgkmcnt(1)
	v_pk_mul_f32 v[4:5], v[10:11], v[4:5] op_sel_hi:[1,0]
	v_pk_add_f32 v[2:3], v[2:3], v[6:7]
	v_pk_fma_f32 v[6:7], v[10:11], v[28:29], v[4:5] op_sel:[0,0,1] op_sel_hi:[1,1,0] neg_lo:[0,0,1] neg_hi:[0,0,1]
	v_pk_fma_f32 v[4:5], v[10:11], v[28:29], v[4:5] op_sel:[0,0,1] op_sel_hi:[1,0,0]
	s_waitcnt vmcnt(4)
	v_mov_b32_e32 v4, v31
	v_mov_b32_e32 v7, v5
	v_pk_mul_f32 v[4:5], v[12:13], v[4:5] op_sel_hi:[1,0]
	v_pk_add_f32 v[2:3], v[2:3], v[6:7]
	v_pk_fma_f32 v[6:7], v[12:13], v[30:31], v[4:5] op_sel:[0,0,1] op_sel_hi:[1,1,0] neg_lo:[0,0,1] neg_hi:[0,0,1]
	v_pk_fma_f32 v[4:5], v[12:13], v[30:31], v[4:5] op_sel:[0,0,1] op_sel_hi:[1,0,0]
	s_waitcnt vmcnt(2)
	v_mov_b32_e32 v4, v33
	v_mov_b32_e32 v7, v5
	s_waitcnt lgkmcnt(0)
	v_pk_mul_f32 v[4:5], v[14:15], v[4:5] op_sel_hi:[1,0]
	v_pk_add_f32 v[2:3], v[2:3], v[6:7]
	v_pk_fma_f32 v[6:7], v[14:15], v[32:33], v[4:5] op_sel:[0,0,1] op_sel_hi:[1,1,0] neg_lo:[0,0,1] neg_hi:[0,0,1]
	v_pk_fma_f32 v[4:5], v[14:15], v[32:33], v[4:5] op_sel:[0,0,1] op_sel_hi:[1,0,0]
	s_waitcnt vmcnt(1)
	v_mov_b32_e32 v4, v35
	v_mov_b32_e32 v7, v5
	v_pk_mul_f32 v[4:5], v[16:17], v[4:5] op_sel_hi:[1,0]
	v_pk_add_f32 v[2:3], v[2:3], v[6:7]
	s_waitcnt vmcnt(0)
	v_pk_fma_f32 v[6:7], v[16:17], v[34:35], v[4:5] op_sel:[0,0,1] op_sel_hi:[1,1,0] neg_lo:[0,0,1] neg_hi:[0,0,1]
	v_pk_fma_f32 v[4:5], v[16:17], v[34:35], v[4:5] op_sel:[0,0,1] op_sel_hi:[1,0,0]
	v_mov_b32_e32 v7, v5
	v_pk_add_f32 v[2:3], v[2:3], v[6:7]
	v_pk_add_f32 v[2:3], v[18:19], v[2:3] neg_lo:[0,1] neg_hi:[0,1]
	buffer_store_dword v2, off, s[0:3], 0 offset:400
	buffer_store_dword v3, off, s[0:3], 0 offset:404
	s_and_saveexec_b64 s[4:5], vcc
	s_cbranch_execz .LBB58_269
; %bb.268:
	buffer_load_dword v2, off, s[0:3], 0 offset:392
	buffer_load_dword v3, off, s[0:3], 0 offset:396
	v_mov_b32_e32 v1, 0
	buffer_store_dword v1, off, s[0:3], 0 offset:392
	buffer_store_dword v1, off, s[0:3], 0 offset:396
	s_waitcnt vmcnt(2)
	ds_write_b64 v187, v[2:3]
.LBB58_269:
	s_or_b64 exec, exec, s[4:5]
	v_mov_b32_e32 v1, 0
	s_waitcnt lgkmcnt(0)
	; wave barrier
	s_waitcnt lgkmcnt(0)
	ds_read_b128 v[2:5], v1 offset:880
	ds_read_b128 v[6:9], v1 offset:896
	;; [unrolled: 1-line block ×4, first 2 shown]
	buffer_load_dword v18, off, s[0:3], 0 offset:392
	buffer_load_dword v19, off, s[0:3], 0 offset:396
	buffer_load_dword v32, off, s[0:3], 0 offset:400
	buffer_load_dword v38, off, s[0:3], 0 offset:404
	buffer_load_dword v20, off, s[0:3], 0 offset:408
	buffer_load_dword v21, off, s[0:3], 0 offset:412
	buffer_load_dword v22, off, s[0:3], 0 offset:416
	buffer_load_dword v23, off, s[0:3], 0 offset:420
	buffer_load_dword v24, off, s[0:3], 0 offset:424
	buffer_load_dword v25, off, s[0:3], 0 offset:428
	buffer_load_dword v26, off, s[0:3], 0 offset:432
	buffer_load_dword v27, off, s[0:3], 0 offset:436
	buffer_load_dword v28, off, s[0:3], 0 offset:440
	buffer_load_dword v29, off, s[0:3], 0 offset:444
	buffer_load_dword v30, off, s[0:3], 0 offset:448
	buffer_load_dword v31, off, s[0:3], 0 offset:452
	buffer_load_dword v35, off, s[0:3], 0 offset:460
	buffer_load_dword v34, off, s[0:3], 0 offset:456
	buffer_load_dword v37, off, s[0:3], 0 offset:468
	buffer_load_dword v36, off, s[0:3], 0 offset:464
	v_cmp_lt_u32_e32 vcc, 48, v0
	s_waitcnt vmcnt(16) lgkmcnt(3)
	v_mul_f32_e32 v33, v2, v38
	v_fmac_f32_e32 v33, v3, v32
	v_mul_f32_e32 v3, v3, v38
	s_waitcnt vmcnt(14)
	v_mov_b32_e32 v38, v21
	v_pk_mul_f32 v[38:39], v[4:5], v[38:39] op_sel_hi:[1,0]
	v_fma_f32 v32, v2, v32, -v3
	v_pk_fma_f32 v[40:41], v[4:5], v[20:21], v[38:39] op_sel:[0,0,1] op_sel_hi:[1,1,0] neg_lo:[0,0,1] neg_hi:[0,0,1]
	v_pk_fma_f32 v[4:5], v[4:5], v[20:21], v[38:39] op_sel:[0,0,1] op_sel_hi:[1,0,0]
	s_waitcnt vmcnt(12)
	v_mov_b32_e32 v20, v23
	v_pk_add_f32 v[32:33], v[32:33], 0 op_sel_hi:[1,0]
	v_mov_b32_e32 v41, v5
	s_waitcnt lgkmcnt(2)
	v_pk_mul_f32 v[20:21], v[6:7], v[20:21] op_sel_hi:[1,0]
	v_pk_add_f32 v[4:5], v[32:33], v[40:41]
	v_pk_fma_f32 v[32:33], v[6:7], v[22:23], v[20:21] op_sel:[0,0,1] op_sel_hi:[1,1,0] neg_lo:[0,0,1] neg_hi:[0,0,1]
	v_pk_fma_f32 v[6:7], v[6:7], v[22:23], v[20:21] op_sel:[0,0,1] op_sel_hi:[1,0,0]
	s_waitcnt vmcnt(10)
	v_mov_b32_e32 v6, v25
	v_mov_b32_e32 v33, v7
	v_pk_mul_f32 v[6:7], v[8:9], v[6:7] op_sel_hi:[1,0]
	v_pk_fma_f32 v[20:21], v[8:9], v[24:25], v[6:7] op_sel:[0,0,1] op_sel_hi:[1,1,0] neg_lo:[0,0,1] neg_hi:[0,0,1]
	v_pk_fma_f32 v[6:7], v[8:9], v[24:25], v[6:7] op_sel:[0,0,1] op_sel_hi:[1,0,0]
	s_waitcnt vmcnt(8)
	v_mov_b32_e32 v6, v27
	v_mov_b32_e32 v21, v7
	s_waitcnt lgkmcnt(1)
	v_pk_mul_f32 v[6:7], v[10:11], v[6:7] op_sel_hi:[1,0]
	v_pk_fma_f32 v[8:9], v[10:11], v[26:27], v[6:7] op_sel:[0,0,1] op_sel_hi:[1,1,0] neg_lo:[0,0,1] neg_hi:[0,0,1]
	v_pk_fma_f32 v[6:7], v[10:11], v[26:27], v[6:7] op_sel:[0,0,1] op_sel_hi:[1,0,0]
	v_pk_add_f32 v[4:5], v[4:5], v[32:33]
	s_waitcnt vmcnt(6)
	v_mov_b32_e32 v6, v29
	v_pk_add_f32 v[4:5], v[4:5], v[20:21]
	v_mov_b32_e32 v9, v7
	v_pk_mul_f32 v[6:7], v[12:13], v[6:7] op_sel_hi:[1,0]
	v_pk_add_f32 v[4:5], v[4:5], v[8:9]
	v_pk_fma_f32 v[8:9], v[12:13], v[28:29], v[6:7] op_sel:[0,0,1] op_sel_hi:[1,1,0] neg_lo:[0,0,1] neg_hi:[0,0,1]
	v_pk_fma_f32 v[6:7], v[12:13], v[28:29], v[6:7] op_sel:[0,0,1] op_sel_hi:[1,0,0]
	s_waitcnt vmcnt(4)
	v_mov_b32_e32 v6, v31
	v_mov_b32_e32 v9, v7
	s_waitcnt lgkmcnt(0)
	v_pk_mul_f32 v[6:7], v[14:15], v[6:7] op_sel_hi:[1,0]
	ds_read_b64 v[2:3], v1 offset:944
	v_pk_add_f32 v[4:5], v[4:5], v[8:9]
	v_pk_fma_f32 v[8:9], v[14:15], v[30:31], v[6:7] op_sel:[0,0,1] op_sel_hi:[1,1,0] neg_lo:[0,0,1] neg_hi:[0,0,1]
	v_pk_fma_f32 v[6:7], v[14:15], v[30:31], v[6:7] op_sel:[0,0,1] op_sel_hi:[1,0,0]
	s_waitcnt vmcnt(3)
	v_mov_b32_e32 v6, v35
	v_mov_b32_e32 v9, v7
	v_pk_mul_f32 v[6:7], v[16:17], v[6:7] op_sel_hi:[1,0]
	v_pk_add_f32 v[4:5], v[4:5], v[8:9]
	s_waitcnt vmcnt(2)
	v_pk_fma_f32 v[8:9], v[16:17], v[34:35], v[6:7] op_sel:[0,0,1] op_sel_hi:[1,1,0] neg_lo:[0,0,1] neg_hi:[0,0,1]
	v_pk_fma_f32 v[6:7], v[16:17], v[34:35], v[6:7] op_sel:[0,0,1] op_sel_hi:[1,0,0]
	s_waitcnt vmcnt(1)
	v_mov_b32_e32 v6, v37
	v_mov_b32_e32 v9, v7
	s_waitcnt lgkmcnt(0)
	v_pk_mul_f32 v[6:7], v[2:3], v[6:7] op_sel_hi:[1,0]
	v_pk_add_f32 v[4:5], v[4:5], v[8:9]
	s_waitcnt vmcnt(0)
	v_pk_fma_f32 v[8:9], v[2:3], v[36:37], v[6:7] op_sel:[0,0,1] op_sel_hi:[1,1,0] neg_lo:[0,0,1] neg_hi:[0,0,1]
	v_pk_fma_f32 v[2:3], v[2:3], v[36:37], v[6:7] op_sel:[0,0,1] op_sel_hi:[1,0,0]
	v_mov_b32_e32 v9, v3
	v_pk_add_f32 v[2:3], v[4:5], v[8:9]
	v_pk_add_f32 v[2:3], v[18:19], v[2:3] neg_lo:[0,1] neg_hi:[0,1]
	buffer_store_dword v2, off, s[0:3], 0 offset:392
	buffer_store_dword v3, off, s[0:3], 0 offset:396
	s_and_saveexec_b64 s[4:5], vcc
	s_cbranch_execz .LBB58_271
; %bb.270:
	buffer_load_dword v2, off, s[0:3], 0 offset:384
	buffer_load_dword v3, off, s[0:3], 0 offset:388
	s_waitcnt vmcnt(0)
	ds_write_b64 v187, v[2:3]
	buffer_store_dword v1, off, s[0:3], 0 offset:384
	buffer_store_dword v1, off, s[0:3], 0 offset:388
.LBB58_271:
	s_or_b64 exec, exec, s[4:5]
	s_waitcnt lgkmcnt(0)
	; wave barrier
	s_waitcnt lgkmcnt(0)
	ds_read2_b64 v[2:5], v1 offset0:109 offset1:110
	buffer_load_dword v18, off, s[0:3], 0 offset:384
	buffer_load_dword v19, off, s[0:3], 0 offset:388
	;; [unrolled: 1-line block ×16, first 2 shown]
	ds_read2_b64 v[6:9], v1 offset0:111 offset1:112
	buffer_load_dword v35, off, s[0:3], 0 offset:452
	buffer_load_dword v34, off, s[0:3], 0 offset:448
	;; [unrolled: 1-line block ×6, first 2 shown]
	v_cmp_lt_u32_e32 vcc, 47, v0
	s_waitcnt vmcnt(18) lgkmcnt(1)
	v_mul_f32_e32 v31, v2, v11
	v_fmac_f32_e32 v31, v3, v10
	v_mul_f32_e32 v3, v3, v11
	s_waitcnt vmcnt(16)
	v_mul_f32_e32 v33, v4, v13
	v_fma_f32 v30, v2, v10, -v3
	v_mul_f32_e32 v2, v5, v13
	v_fmac_f32_e32 v33, v5, v12
	v_fma_f32 v32, v4, v12, -v2
	v_pk_add_f32 v[30:31], v[30:31], 0 op_sel_hi:[1,0]
	v_pk_add_f32 v[30:31], v[30:31], v[32:33]
	s_waitcnt vmcnt(14)
	v_mov_b32_e32 v32, v21
	s_waitcnt lgkmcnt(0)
	v_pk_mul_f32 v[32:33], v[6:7], v[32:33] op_sel_hi:[1,0]
	v_pk_fma_f32 v[40:41], v[6:7], v[20:21], v[32:33] op_sel:[0,0,1] op_sel_hi:[1,1,0] neg_lo:[0,0,1] neg_hi:[0,0,1]
	v_pk_fma_f32 v[6:7], v[6:7], v[20:21], v[32:33] op_sel:[0,0,1] op_sel_hi:[1,0,0]
	s_waitcnt vmcnt(12)
	v_mov_b32_e32 v20, v23
	ds_read2_b64 v[2:5], v1 offset0:113 offset1:114
	ds_read2_b64 v[10:13], v1 offset0:115 offset1:116
	;; [unrolled: 1-line block ×3, first 2 shown]
	v_mov_b32_e32 v41, v7
	v_pk_mul_f32 v[20:21], v[8:9], v[20:21] op_sel_hi:[1,0]
	v_pk_add_f32 v[6:7], v[30:31], v[40:41]
	v_pk_fma_f32 v[30:31], v[8:9], v[22:23], v[20:21] op_sel:[0,0,1] op_sel_hi:[1,1,0] neg_lo:[0,0,1] neg_hi:[0,0,1]
	v_pk_fma_f32 v[8:9], v[8:9], v[22:23], v[20:21] op_sel:[0,0,1] op_sel_hi:[1,0,0]
	s_waitcnt vmcnt(10)
	v_mov_b32_e32 v8, v25
	v_mov_b32_e32 v31, v9
	s_waitcnt lgkmcnt(2)
	v_pk_mul_f32 v[8:9], v[2:3], v[8:9] op_sel_hi:[1,0]
	v_pk_fma_f32 v[20:21], v[2:3], v[24:25], v[8:9] op_sel:[0,0,1] op_sel_hi:[1,1,0] neg_lo:[0,0,1] neg_hi:[0,0,1]
	v_pk_fma_f32 v[2:3], v[2:3], v[24:25], v[8:9] op_sel:[0,0,1] op_sel_hi:[1,0,0]
	v_pk_add_f32 v[6:7], v[6:7], v[30:31]
	v_mov_b32_e32 v21, v3
	v_pk_add_f32 v[2:3], v[6:7], v[20:21]
	s_waitcnt vmcnt(8)
	v_mov_b32_e32 v6, v27
	v_pk_mul_f32 v[6:7], v[4:5], v[6:7] op_sel_hi:[1,0]
	v_pk_fma_f32 v[8:9], v[4:5], v[26:27], v[6:7] op_sel:[0,0,1] op_sel_hi:[1,1,0] neg_lo:[0,0,1] neg_hi:[0,0,1]
	v_pk_fma_f32 v[4:5], v[4:5], v[26:27], v[6:7] op_sel:[0,0,1] op_sel_hi:[1,0,0]
	s_waitcnt vmcnt(6)
	v_mov_b32_e32 v4, v29
	v_mov_b32_e32 v9, v5
	s_waitcnt lgkmcnt(1)
	v_pk_mul_f32 v[4:5], v[10:11], v[4:5] op_sel_hi:[1,0]
	v_pk_fma_f32 v[6:7], v[10:11], v[28:29], v[4:5] op_sel:[0,0,1] op_sel_hi:[1,1,0] neg_lo:[0,0,1] neg_hi:[0,0,1]
	v_pk_fma_f32 v[4:5], v[10:11], v[28:29], v[4:5] op_sel:[0,0,1] op_sel_hi:[1,0,0]
	s_waitcnt vmcnt(5)
	v_mov_b32_e32 v4, v35
	v_pk_add_f32 v[2:3], v[2:3], v[8:9]
	v_mov_b32_e32 v7, v5
	v_pk_mul_f32 v[4:5], v[12:13], v[4:5] op_sel_hi:[1,0]
	v_pk_add_f32 v[2:3], v[2:3], v[6:7]
	s_waitcnt vmcnt(4)
	v_pk_fma_f32 v[6:7], v[12:13], v[34:35], v[4:5] op_sel:[0,0,1] op_sel_hi:[1,1,0] neg_lo:[0,0,1] neg_hi:[0,0,1]
	v_pk_fma_f32 v[4:5], v[12:13], v[34:35], v[4:5] op_sel:[0,0,1] op_sel_hi:[1,0,0]
	s_waitcnt vmcnt(3)
	v_mov_b32_e32 v4, v37
	v_mov_b32_e32 v7, v5
	s_waitcnt lgkmcnt(0)
	v_pk_mul_f32 v[4:5], v[14:15], v[4:5] op_sel_hi:[1,0]
	v_pk_add_f32 v[2:3], v[2:3], v[6:7]
	s_waitcnt vmcnt(2)
	v_pk_fma_f32 v[6:7], v[14:15], v[36:37], v[4:5] op_sel:[0,0,1] op_sel_hi:[1,1,0] neg_lo:[0,0,1] neg_hi:[0,0,1]
	v_pk_fma_f32 v[4:5], v[14:15], v[36:37], v[4:5] op_sel:[0,0,1] op_sel_hi:[1,0,0]
	s_waitcnt vmcnt(1)
	v_mov_b32_e32 v4, v39
	v_mov_b32_e32 v7, v5
	v_pk_mul_f32 v[4:5], v[16:17], v[4:5] op_sel_hi:[1,0]
	v_pk_add_f32 v[2:3], v[2:3], v[6:7]
	s_waitcnt vmcnt(0)
	v_pk_fma_f32 v[6:7], v[16:17], v[38:39], v[4:5] op_sel:[0,0,1] op_sel_hi:[1,1,0] neg_lo:[0,0,1] neg_hi:[0,0,1]
	v_pk_fma_f32 v[4:5], v[16:17], v[38:39], v[4:5] op_sel:[0,0,1] op_sel_hi:[1,0,0]
	v_mov_b32_e32 v7, v5
	v_pk_add_f32 v[2:3], v[2:3], v[6:7]
	v_pk_add_f32 v[2:3], v[18:19], v[2:3] neg_lo:[0,1] neg_hi:[0,1]
	buffer_store_dword v2, off, s[0:3], 0 offset:384
	buffer_store_dword v3, off, s[0:3], 0 offset:388
	s_and_saveexec_b64 s[4:5], vcc
	s_cbranch_execz .LBB58_273
; %bb.272:
	buffer_load_dword v2, off, s[0:3], 0 offset:376
	buffer_load_dword v3, off, s[0:3], 0 offset:380
	v_mov_b32_e32 v1, 0
	buffer_store_dword v1, off, s[0:3], 0 offset:376
	buffer_store_dword v1, off, s[0:3], 0 offset:380
	s_waitcnt vmcnt(2)
	ds_write_b64 v187, v[2:3]
.LBB58_273:
	s_or_b64 exec, exec, s[4:5]
	v_mov_b32_e32 v1, 0
	s_waitcnt lgkmcnt(0)
	; wave barrier
	s_waitcnt lgkmcnt(0)
	ds_read_b128 v[4:7], v1 offset:864
	ds_read_b128 v[8:11], v1 offset:880
	;; [unrolled: 1-line block ×4, first 2 shown]
	buffer_load_dword v2, off, s[0:3], 0 offset:376
	buffer_load_dword v3, off, s[0:3], 0 offset:380
	;; [unrolled: 1-line block ×24, first 2 shown]
	v_cmp_lt_u32_e32 vcc, 46, v0
	s_waitcnt vmcnt(20) lgkmcnt(3)
	v_mul_f32_e32 v29, v4, v30
	v_fmac_f32_e32 v29, v5, v28
	v_mul_f32_e32 v5, v5, v30
	v_fma_f32 v4, v4, v28, -v5
	s_waitcnt vmcnt(18)
	v_mul_f32_e32 v31, v6, v42
	v_add_f32_e32 v28, 0, v4
	v_mul_f32_e32 v4, v7, v42
	v_add_f32_e32 v29, 0, v29
	v_fmac_f32_e32 v31, v7, v32
	v_fma_f32 v30, v6, v32, -v4
	s_waitcnt vmcnt(16) lgkmcnt(2)
	v_mul_f32_e32 v33, v8, v44
	v_mul_f32_e32 v4, v9, v44
	v_pk_add_f32 v[28:29], v[28:29], v[30:31]
	s_waitcnt vmcnt(14)
	v_mov_b32_e32 v30, v21
	v_fmac_f32_e32 v33, v9, v43
	v_fma_f32 v32, v8, v43, -v4
	v_pk_mul_f32 v[30:31], v[10:11], v[30:31] op_sel_hi:[1,0]
	v_pk_add_f32 v[28:29], v[28:29], v[32:33]
	v_pk_fma_f32 v[32:33], v[10:11], v[20:21], v[30:31] op_sel:[0,0,1] op_sel_hi:[1,1,0] neg_lo:[0,0,1] neg_hi:[0,0,1]
	v_pk_fma_f32 v[10:11], v[10:11], v[20:21], v[30:31] op_sel:[0,0,1] op_sel_hi:[1,0,0]
	s_waitcnt vmcnt(12)
	v_mov_b32_e32 v20, v23
	v_mov_b32_e32 v33, v11
	s_waitcnt lgkmcnt(1)
	v_pk_mul_f32 v[20:21], v[12:13], v[20:21] op_sel_hi:[1,0]
	v_pk_add_f32 v[10:11], v[28:29], v[32:33]
	v_pk_fma_f32 v[28:29], v[12:13], v[22:23], v[20:21] op_sel:[0,0,1] op_sel_hi:[1,1,0] neg_lo:[0,0,1] neg_hi:[0,0,1]
	v_pk_fma_f32 v[12:13], v[12:13], v[22:23], v[20:21] op_sel:[0,0,1] op_sel_hi:[1,0,0]
	s_waitcnt vmcnt(10)
	v_mov_b32_e32 v12, v25
	v_mov_b32_e32 v29, v13
	v_pk_mul_f32 v[12:13], v[14:15], v[12:13] op_sel_hi:[1,0]
	v_pk_fma_f32 v[20:21], v[14:15], v[24:25], v[12:13] op_sel:[0,0,1] op_sel_hi:[1,1,0] neg_lo:[0,0,1] neg_hi:[0,0,1]
	v_pk_fma_f32 v[12:13], v[14:15], v[24:25], v[12:13] op_sel:[0,0,1] op_sel_hi:[1,0,0]
	s_waitcnt vmcnt(8)
	v_mov_b32_e32 v12, v27
	v_mov_b32_e32 v21, v13
	s_waitcnt lgkmcnt(0)
	v_pk_mul_f32 v[12:13], v[16:17], v[12:13] op_sel_hi:[1,0]
	v_pk_fma_f32 v[14:15], v[16:17], v[26:27], v[12:13] op_sel:[0,0,1] op_sel_hi:[1,1,0] neg_lo:[0,0,1] neg_hi:[0,0,1]
	v_pk_fma_f32 v[12:13], v[16:17], v[26:27], v[12:13] op_sel:[0,0,1] op_sel_hi:[1,0,0]
	ds_read_b128 v[4:7], v1 offset:928
	ds_read_b64 v[8:9], v1 offset:944
	v_pk_add_f32 v[10:11], v[10:11], v[28:29]
	s_waitcnt vmcnt(7)
	v_mov_b32_e32 v12, v35
	v_pk_add_f32 v[10:11], v[10:11], v[20:21]
	v_mov_b32_e32 v15, v13
	v_pk_mul_f32 v[12:13], v[18:19], v[12:13] op_sel_hi:[1,0]
	v_pk_add_f32 v[10:11], v[10:11], v[14:15]
	s_waitcnt vmcnt(6)
	v_pk_fma_f32 v[14:15], v[18:19], v[34:35], v[12:13] op_sel:[0,0,1] op_sel_hi:[1,1,0] neg_lo:[0,0,1] neg_hi:[0,0,1]
	v_pk_fma_f32 v[12:13], v[18:19], v[34:35], v[12:13] op_sel:[0,0,1] op_sel_hi:[1,0,0]
	s_waitcnt vmcnt(5)
	v_mov_b32_e32 v12, v37
	v_mov_b32_e32 v15, v13
	s_waitcnt lgkmcnt(1)
	v_pk_mul_f32 v[12:13], v[4:5], v[12:13] op_sel_hi:[1,0]
	v_pk_add_f32 v[10:11], v[10:11], v[14:15]
	s_waitcnt vmcnt(4)
	v_pk_fma_f32 v[14:15], v[4:5], v[36:37], v[12:13] op_sel:[0,0,1] op_sel_hi:[1,1,0] neg_lo:[0,0,1] neg_hi:[0,0,1]
	v_pk_fma_f32 v[4:5], v[4:5], v[36:37], v[12:13] op_sel:[0,0,1] op_sel_hi:[1,0,0]
	v_mov_b32_e32 v15, v5
	v_pk_add_f32 v[4:5], v[10:11], v[14:15]
	s_waitcnt vmcnt(3)
	v_mov_b32_e32 v10, v39
	v_pk_mul_f32 v[10:11], v[6:7], v[10:11] op_sel_hi:[1,0]
	s_waitcnt vmcnt(2)
	v_pk_fma_f32 v[12:13], v[6:7], v[38:39], v[10:11] op_sel:[0,0,1] op_sel_hi:[1,1,0] neg_lo:[0,0,1] neg_hi:[0,0,1]
	v_pk_fma_f32 v[6:7], v[6:7], v[38:39], v[10:11] op_sel:[0,0,1] op_sel_hi:[1,0,0]
	s_waitcnt vmcnt(1)
	v_mov_b32_e32 v6, v41
	v_mov_b32_e32 v13, v7
	s_waitcnt lgkmcnt(0)
	v_pk_mul_f32 v[6:7], v[8:9], v[6:7] op_sel_hi:[1,0]
	s_waitcnt vmcnt(0)
	v_pk_fma_f32 v[10:11], v[8:9], v[40:41], v[6:7] op_sel:[0,0,1] op_sel_hi:[1,1,0] neg_lo:[0,0,1] neg_hi:[0,0,1]
	v_pk_fma_f32 v[6:7], v[8:9], v[40:41], v[6:7] op_sel:[0,0,1] op_sel_hi:[1,0,0]
	v_pk_add_f32 v[4:5], v[4:5], v[12:13]
	v_mov_b32_e32 v11, v7
	v_pk_add_f32 v[4:5], v[4:5], v[10:11]
	v_pk_add_f32 v[2:3], v[2:3], v[4:5] neg_lo:[0,1] neg_hi:[0,1]
	buffer_store_dword v3, off, s[0:3], 0 offset:380
	buffer_store_dword v2, off, s[0:3], 0 offset:376
	s_and_saveexec_b64 s[4:5], vcc
	s_cbranch_execz .LBB58_275
; %bb.274:
	buffer_load_dword v2, off, s[0:3], 0 offset:368
	buffer_load_dword v3, off, s[0:3], 0 offset:372
	s_waitcnt vmcnt(0)
	ds_write_b64 v187, v[2:3]
	buffer_store_dword v1, off, s[0:3], 0 offset:368
	buffer_store_dword v1, off, s[0:3], 0 offset:372
.LBB58_275:
	s_or_b64 exec, exec, s[4:5]
	s_waitcnt lgkmcnt(0)
	; wave barrier
	s_waitcnt lgkmcnt(0)
	ds_read2_b64 v[4:7], v1 offset0:107 offset1:108
	buffer_load_dword v2, off, s[0:3], 0 offset:368
	buffer_load_dword v3, off, s[0:3], 0 offset:372
	;; [unrolled: 1-line block ×16, first 2 shown]
	v_cmp_lt_u32_e32 vcc, 45, v0
	ds_read2_b64 v[12:15], v1 offset0:111 offset1:112
	s_waitcnt vmcnt(12) lgkmcnt(1)
	v_mul_f32_e32 v8, v4, v17
	v_fmac_f32_e32 v8, v5, v16
	s_waitcnt vmcnt(10)
	v_mul_f32_e32 v9, v6, v19
	v_add_f32_e32 v8, 0, v8
	v_fmac_f32_e32 v9, v7, v18
	v_add_f32_e32 v27, v8, v9
	ds_read2_b64 v[8:11], v1 offset0:109 offset1:110
	buffer_load_dword v33, off, s[0:3], 0 offset:436
	buffer_load_dword v32, off, s[0:3], 0 offset:432
	buffer_load_dword v35, off, s[0:3], 0 offset:444
	buffer_load_dword v34, off, s[0:3], 0 offset:440
	buffer_load_dword v37, off, s[0:3], 0 offset:452
	buffer_load_dword v36, off, s[0:3], 0 offset:448
	buffer_load_dword v39, off, s[0:3], 0 offset:460
	buffer_load_dword v38, off, s[0:3], 0 offset:456
	buffer_load_dword v41, off, s[0:3], 0 offset:468
	buffer_load_dword v40, off, s[0:3], 0 offset:464
	v_mul_f32_e32 v5, v5, v17
	v_fma_f32 v4, v4, v16, -v5
	v_mul_f32_e32 v5, v7, v19
	v_add_f32_e32 v4, 0, v4
	v_fma_f32 v5, v6, v18, -v5
	s_waitcnt vmcnt(18) lgkmcnt(0)
	v_mul_f32_e32 v29, v8, v30
	v_add_f32_e32 v26, v4, v5
	v_mul_f32_e32 v4, v9, v30
	v_fmac_f32_e32 v29, v9, v28
	v_fma_f32 v28, v8, v28, -v4
	s_waitcnt vmcnt(16)
	v_mul_f32_e32 v31, v10, v43
	v_mul_f32_e32 v4, v11, v43
	v_pk_add_f32 v[26:27], v[26:27], v[28:29]
	s_waitcnt vmcnt(14)
	v_mov_b32_e32 v28, v21
	v_fmac_f32_e32 v31, v11, v42
	v_fma_f32 v30, v10, v42, -v4
	v_pk_mul_f32 v[28:29], v[12:13], v[28:29] op_sel_hi:[1,0]
	v_pk_add_f32 v[26:27], v[26:27], v[30:31]
	v_pk_fma_f32 v[30:31], v[12:13], v[20:21], v[28:29] op_sel:[0,0,1] op_sel_hi:[1,1,0] neg_lo:[0,0,1] neg_hi:[0,0,1]
	v_pk_fma_f32 v[12:13], v[12:13], v[20:21], v[28:29] op_sel:[0,0,1] op_sel_hi:[1,0,0]
	s_waitcnt vmcnt(12)
	v_mov_b32_e32 v20, v23
	ds_read2_b64 v[4:7], v1 offset0:113 offset1:114
	ds_read2_b64 v[8:11], v1 offset0:115 offset1:116
	;; [unrolled: 1-line block ×3, first 2 shown]
	v_mov_b32_e32 v31, v13
	v_pk_mul_f32 v[20:21], v[14:15], v[20:21] op_sel_hi:[1,0]
	v_pk_add_f32 v[12:13], v[26:27], v[30:31]
	v_pk_fma_f32 v[26:27], v[14:15], v[22:23], v[20:21] op_sel:[0,0,1] op_sel_hi:[1,1,0] neg_lo:[0,0,1] neg_hi:[0,0,1]
	v_pk_fma_f32 v[14:15], v[14:15], v[22:23], v[20:21] op_sel:[0,0,1] op_sel_hi:[1,0,0]
	s_waitcnt vmcnt(10)
	v_mov_b32_e32 v14, v25
	v_mov_b32_e32 v27, v15
	s_waitcnt lgkmcnt(2)
	v_pk_mul_f32 v[14:15], v[4:5], v[14:15] op_sel_hi:[1,0]
	v_pk_fma_f32 v[20:21], v[4:5], v[24:25], v[14:15] op_sel:[0,0,1] op_sel_hi:[1,1,0] neg_lo:[0,0,1] neg_hi:[0,0,1]
	v_pk_fma_f32 v[4:5], v[4:5], v[24:25], v[14:15] op_sel:[0,0,1] op_sel_hi:[1,0,0]
	v_pk_add_f32 v[12:13], v[12:13], v[26:27]
	v_mov_b32_e32 v21, v5
	v_pk_add_f32 v[4:5], v[12:13], v[20:21]
	s_waitcnt vmcnt(9)
	v_mov_b32_e32 v12, v33
	v_pk_mul_f32 v[12:13], v[6:7], v[12:13] op_sel_hi:[1,0]
	s_waitcnt vmcnt(8)
	v_pk_fma_f32 v[14:15], v[6:7], v[32:33], v[12:13] op_sel:[0,0,1] op_sel_hi:[1,1,0] neg_lo:[0,0,1] neg_hi:[0,0,1]
	v_pk_fma_f32 v[6:7], v[6:7], v[32:33], v[12:13] op_sel:[0,0,1] op_sel_hi:[1,0,0]
	s_waitcnt vmcnt(7)
	v_mov_b32_e32 v6, v35
	v_mov_b32_e32 v15, v7
	s_waitcnt lgkmcnt(1)
	v_pk_mul_f32 v[6:7], v[8:9], v[6:7] op_sel_hi:[1,0]
	s_waitcnt vmcnt(6)
	v_pk_fma_f32 v[12:13], v[8:9], v[34:35], v[6:7] op_sel:[0,0,1] op_sel_hi:[1,1,0] neg_lo:[0,0,1] neg_hi:[0,0,1]
	v_pk_fma_f32 v[6:7], v[8:9], v[34:35], v[6:7] op_sel:[0,0,1] op_sel_hi:[1,0,0]
	s_waitcnt vmcnt(5)
	v_mov_b32_e32 v6, v37
	v_mov_b32_e32 v13, v7
	v_pk_mul_f32 v[6:7], v[10:11], v[6:7] op_sel_hi:[1,0]
	s_waitcnt vmcnt(4)
	v_pk_fma_f32 v[8:9], v[10:11], v[36:37], v[6:7] op_sel:[0,0,1] op_sel_hi:[1,1,0] neg_lo:[0,0,1] neg_hi:[0,0,1]
	v_pk_fma_f32 v[6:7], v[10:11], v[36:37], v[6:7] op_sel:[0,0,1] op_sel_hi:[1,0,0]
	v_pk_add_f32 v[4:5], v[4:5], v[14:15]
	s_waitcnt vmcnt(3)
	v_mov_b32_e32 v6, v39
	v_pk_add_f32 v[4:5], v[4:5], v[12:13]
	v_mov_b32_e32 v9, v7
	s_waitcnt lgkmcnt(0)
	v_pk_mul_f32 v[6:7], v[16:17], v[6:7] op_sel_hi:[1,0]
	v_pk_add_f32 v[4:5], v[4:5], v[8:9]
	s_waitcnt vmcnt(2)
	v_pk_fma_f32 v[8:9], v[16:17], v[38:39], v[6:7] op_sel:[0,0,1] op_sel_hi:[1,1,0] neg_lo:[0,0,1] neg_hi:[0,0,1]
	v_pk_fma_f32 v[6:7], v[16:17], v[38:39], v[6:7] op_sel:[0,0,1] op_sel_hi:[1,0,0]
	s_waitcnt vmcnt(1)
	v_mov_b32_e32 v6, v41
	v_mov_b32_e32 v9, v7
	v_pk_mul_f32 v[6:7], v[18:19], v[6:7] op_sel_hi:[1,0]
	v_pk_add_f32 v[4:5], v[4:5], v[8:9]
	s_waitcnt vmcnt(0)
	v_pk_fma_f32 v[8:9], v[18:19], v[40:41], v[6:7] op_sel:[0,0,1] op_sel_hi:[1,1,0] neg_lo:[0,0,1] neg_hi:[0,0,1]
	v_pk_fma_f32 v[6:7], v[18:19], v[40:41], v[6:7] op_sel:[0,0,1] op_sel_hi:[1,0,0]
	v_mov_b32_e32 v9, v7
	v_pk_add_f32 v[4:5], v[4:5], v[8:9]
	v_pk_add_f32 v[2:3], v[2:3], v[4:5] neg_lo:[0,1] neg_hi:[0,1]
	buffer_store_dword v3, off, s[0:3], 0 offset:372
	buffer_store_dword v2, off, s[0:3], 0 offset:368
	s_and_saveexec_b64 s[4:5], vcc
	s_cbranch_execz .LBB58_277
; %bb.276:
	buffer_load_dword v2, off, s[0:3], 0 offset:360
	buffer_load_dword v3, off, s[0:3], 0 offset:364
	v_mov_b32_e32 v1, 0
	buffer_store_dword v1, off, s[0:3], 0 offset:360
	buffer_store_dword v1, off, s[0:3], 0 offset:364
	s_waitcnt vmcnt(2)
	ds_write_b64 v187, v[2:3]
.LBB58_277:
	s_or_b64 exec, exec, s[4:5]
	s_waitcnt lgkmcnt(0)
	; wave barrier
	s_waitcnt lgkmcnt(0)
	buffer_load_dword v46, off, s[0:3], 0 offset:372
	buffer_load_dword v48, off, s[0:3], 0 offset:380
	;; [unrolled: 1-line block ×28, first 2 shown]
	v_mov_b32_e32 v1, 0
	ds_read_b128 v[2:5], v1 offset:848
	ds_read_b128 v[6:9], v1 offset:864
	;; [unrolled: 1-line block ×6, first 2 shown]
	ds_read_b64 v[44:45], v1 offset:944
	v_cmp_lt_u32_e32 vcc, 44, v0
	s_waitcnt vmcnt(27) lgkmcnt(6)
	v_mul_f32_e32 v61, v2, v46
	s_waitcnt vmcnt(26)
	v_mul_f32_e32 v62, v4, v48
	v_mul_f32_e32 v46, v3, v46
	;; [unrolled: 1-line block ×3, first 2 shown]
	s_waitcnt vmcnt(23) lgkmcnt(4)
	v_mul_f32_e32 v49, v10, v52
	v_mul_f32_e32 v63, v6, v50
	;; [unrolled: 1-line block ×6, first 2 shown]
	s_waitcnt vmcnt(22)
	v_mov_b32_e32 v50, v27
	s_waitcnt vmcnt(21)
	v_mov_b32_e32 v52, v29
	s_waitcnt vmcnt(17)
	v_fmac_f32_e32 v61, v3, v53
	s_waitcnt vmcnt(16)
	v_fmac_f32_e32 v62, v5, v55
	;; [unrolled: 2-line block ×3, first 2 shown]
	v_fma_f32 v11, v2, v53, -v46
	v_fma_f32 v53, v4, v55, -v48
	v_pk_mul_f32 v[2:3], v[12:13], v[50:51] op_sel_hi:[1,0]
	s_waitcnt lgkmcnt(3)
	v_pk_mul_f32 v[4:5], v[14:15], v[52:53] op_sel_hi:[1,0]
	v_fma_f32 v46, v8, v59, -v51
	v_fma_f32 v48, v10, v60, -v65
	v_add_f32_e32 v50, 0, v61
	v_add_f32_e32 v51, 0, v11
	s_waitcnt vmcnt(12)
	v_pk_fma_f32 v[10:11], v[12:13], v[26:27], v[2:3] op_sel:[0,0,1] op_sel_hi:[1,1,0] neg_lo:[0,0,1] neg_hi:[0,0,1]
	v_pk_fma_f32 v[2:3], v[12:13], v[26:27], v[2:3] op_sel:[0,0,1] op_sel_hi:[1,0,0]
	s_waitcnt vmcnt(11)
	v_pk_fma_f32 v[12:13], v[14:15], v[28:29], v[4:5] op_sel:[0,0,1] op_sel_hi:[1,1,0] neg_lo:[0,0,1] neg_hi:[0,0,1]
	v_pk_fma_f32 v[4:5], v[14:15], v[28:29], v[4:5] op_sel:[0,0,1] op_sel_hi:[1,0,0]
	v_fmac_f32_e32 v63, v7, v57
	v_fma_f32 v55, v6, v57, -v64
	v_add_f32_e32 v2, v50, v62
	v_add_f32_e32 v4, v51, v53
	v_fmac_f32_e32 v47, v9, v59
	v_mov_b32_e32 v11, v3
	v_add_f32_e32 v3, v2, v63
	v_add_f32_e32 v2, v4, v55
	v_mov_b32_e32 v54, v31
	v_pk_add_f32 v[2:3], v[2:3], v[46:47]
	v_mov_b32_e32 v56, v33
	v_mov_b32_e32 v58, v35
	v_pk_mul_f32 v[6:7], v[16:17], v[54:55] op_sel_hi:[1,0]
	v_pk_add_f32 v[2:3], v[2:3], v[48:49]
	s_waitcnt lgkmcnt(2)
	v_pk_mul_f32 v[8:9], v[18:19], v[56:57] op_sel_hi:[1,0]
	s_waitcnt vmcnt(7)
	v_pk_fma_f32 v[14:15], v[16:17], v[30:31], v[6:7] op_sel:[0,0,1] op_sel_hi:[1,1,0] neg_lo:[0,0,1] neg_hi:[0,0,1]
	v_pk_fma_f32 v[6:7], v[16:17], v[30:31], v[6:7] op_sel:[0,0,1] op_sel_hi:[1,0,0]
	v_mov_b32_e32 v13, v5
	v_pk_add_f32 v[2:3], v[2:3], v[10:11]
	v_pk_mul_f32 v[4:5], v[20:21], v[58:59] op_sel_hi:[1,0]
	v_pk_fma_f32 v[16:17], v[18:19], v[32:33], v[8:9] op_sel:[0,0,1] op_sel_hi:[1,1,0] neg_lo:[0,0,1] neg_hi:[0,0,1]
	v_pk_fma_f32 v[8:9], v[18:19], v[32:33], v[8:9] op_sel:[0,0,1] op_sel_hi:[1,0,0]
	v_mov_b32_e32 v15, v7
	v_pk_add_f32 v[2:3], v[2:3], v[12:13]
	v_pk_fma_f32 v[6:7], v[20:21], v[34:35], v[4:5] op_sel:[0,0,1] op_sel_hi:[1,1,0] neg_lo:[0,0,1] neg_hi:[0,0,1]
	v_pk_fma_f32 v[4:5], v[20:21], v[34:35], v[4:5] op_sel:[0,0,1] op_sel_hi:[1,0,0]
	v_mov_b32_e32 v17, v9
	v_pk_add_f32 v[2:3], v[2:3], v[14:15]
	s_waitcnt vmcnt(6)
	v_mov_b32_e32 v4, v37
	v_pk_add_f32 v[2:3], v[2:3], v[16:17]
	v_mov_b32_e32 v7, v5
	s_waitcnt lgkmcnt(1)
	v_pk_mul_f32 v[4:5], v[22:23], v[4:5] op_sel_hi:[1,0]
	v_pk_add_f32 v[2:3], v[2:3], v[6:7]
	v_pk_fma_f32 v[6:7], v[22:23], v[36:37], v[4:5] op_sel:[0,0,1] op_sel_hi:[1,1,0] neg_lo:[0,0,1] neg_hi:[0,0,1]
	v_pk_fma_f32 v[4:5], v[22:23], v[36:37], v[4:5] op_sel:[0,0,1] op_sel_hi:[1,0,0]
	s_waitcnt vmcnt(5)
	v_mov_b32_e32 v4, v39
	v_mov_b32_e32 v7, v5
	v_pk_mul_f32 v[4:5], v[24:25], v[4:5] op_sel_hi:[1,0]
	v_pk_add_f32 v[2:3], v[2:3], v[6:7]
	s_waitcnt vmcnt(3)
	v_pk_fma_f32 v[6:7], v[24:25], v[38:39], v[4:5] op_sel:[0,0,1] op_sel_hi:[1,1,0] neg_lo:[0,0,1] neg_hi:[0,0,1]
	v_pk_fma_f32 v[4:5], v[24:25], v[38:39], v[4:5] op_sel:[0,0,1] op_sel_hi:[1,0,0]
	s_waitcnt vmcnt(2)
	v_mov_b32_e32 v4, v41
	v_mov_b32_e32 v7, v5
	s_waitcnt lgkmcnt(0)
	v_pk_mul_f32 v[4:5], v[44:45], v[4:5] op_sel_hi:[1,0]
	v_pk_add_f32 v[2:3], v[2:3], v[6:7]
	v_pk_fma_f32 v[6:7], v[44:45], v[40:41], v[4:5] op_sel:[0,0,1] op_sel_hi:[1,1,0] neg_lo:[0,0,1] neg_hi:[0,0,1]
	v_pk_fma_f32 v[4:5], v[44:45], v[40:41], v[4:5] op_sel:[0,0,1] op_sel_hi:[1,0,0]
	v_mov_b32_e32 v7, v5
	v_pk_add_f32 v[2:3], v[2:3], v[6:7]
	s_waitcnt vmcnt(0)
	v_pk_add_f32 v[2:3], v[42:43], v[2:3] neg_lo:[0,1] neg_hi:[0,1]
	buffer_store_dword v3, off, s[0:3], 0 offset:364
	buffer_store_dword v2, off, s[0:3], 0 offset:360
	s_and_saveexec_b64 s[4:5], vcc
	s_cbranch_execz .LBB58_279
; %bb.278:
	buffer_load_dword v2, off, s[0:3], 0 offset:352
	buffer_load_dword v3, off, s[0:3], 0 offset:356
	s_waitcnt vmcnt(0)
	ds_write_b64 v187, v[2:3]
	buffer_store_dword v1, off, s[0:3], 0 offset:352
	buffer_store_dword v1, off, s[0:3], 0 offset:356
.LBB58_279:
	s_or_b64 exec, exec, s[4:5]
	s_waitcnt lgkmcnt(0)
	; wave barrier
	s_waitcnt lgkmcnt(0)
	buffer_load_dword v48, off, s[0:3], 0 offset:364
	buffer_load_dword v50, off, s[0:3], 0 offset:372
	;; [unrolled: 1-line block ×30, first 2 shown]
	ds_read2_b64 v[2:5], v1 offset0:105 offset1:106
	ds_read2_b64 v[6:9], v1 offset0:107 offset1:108
	;; [unrolled: 1-line block ×7, first 2 shown]
	v_cmp_lt_u32_e32 vcc, 43, v0
	s_waitcnt vmcnt(29) lgkmcnt(6)
	v_mul_f32_e32 v1, v2, v48
	v_mul_f32_e32 v48, v3, v48
	s_waitcnt vmcnt(27) lgkmcnt(5)
	v_mul_f32_e32 v64, v6, v52
	s_waitcnt vmcnt(26)
	v_mul_f32_e32 v65, v8, v53
	v_mul_f32_e32 v53, v9, v53
	;; [unrolled: 1-line block ×3, first 2 shown]
	s_waitcnt vmcnt(23)
	v_mov_b32_e32 v52, v31
	v_mul_f32_e32 v63, v4, v50
	v_mul_f32_e32 v50, v5, v50
	s_waitcnt vmcnt(20)
	v_fmac_f32_e32 v1, v3, v57
	s_waitcnt vmcnt(19)
	v_fmac_f32_e32 v63, v5, v58
	v_add_f32_e32 v1, 0, v1
	s_waitcnt vmcnt(17)
	v_fma_f32 v53, v8, v60, -v53
	v_fmac_f32_e32 v65, v9, v60
	v_fma_f32 v9, v2, v57, -v48
	s_waitcnt lgkmcnt(3)
	v_pk_mul_f32 v[2:3], v[14:15], v[52:53] op_sel_hi:[1,0]
	v_fma_f32 v57, v4, v58, -v50
	v_add_f32_e32 v52, 0, v9
	s_waitcnt vmcnt(14)
	v_pk_fma_f32 v[8:9], v[14:15], v[30:31], v[2:3] op_sel:[0,0,1] op_sel_hi:[1,1,0] neg_lo:[0,0,1] neg_hi:[0,0,1]
	v_pk_fma_f32 v[2:3], v[14:15], v[30:31], v[2:3] op_sel:[0,0,1] op_sel_hi:[1,0,0]
	v_mul_f32_e32 v49, v10, v54
	v_mul_f32_e32 v51, v12, v55
	;; [unrolled: 1-line block ×4, first 2 shown]
	v_mov_b32_e32 v54, v33
	v_fmac_f32_e32 v64, v7, v59
	v_fma_f32 v58, v6, v59, -v66
	v_add_f32_e32 v1, v1, v63
	v_add_f32_e32 v2, v52, v57
	v_pk_mul_f32 v[4:5], v[16:17], v[54:55] op_sel_hi:[1,0]
	v_add_f32_e32 v1, v1, v64
	v_add_f32_e32 v2, v2, v58
	v_mov_b32_e32 v56, v35
	v_fmac_f32_e32 v49, v11, v61
	v_fma_f32 v48, v10, v61, -v67
	s_waitcnt vmcnt(10)
	v_pk_fma_f32 v[10:11], v[16:17], v[32:33], v[4:5] op_sel:[0,0,1] op_sel_hi:[1,1,0] neg_lo:[0,0,1] neg_hi:[0,0,1]
	v_pk_fma_f32 v[4:5], v[16:17], v[32:33], v[4:5] op_sel:[0,0,1] op_sel_hi:[1,0,0]
	v_mov_b32_e32 v9, v3
	v_add_f32_e32 v3, v1, v65
	v_add_f32_e32 v2, v2, v53
	v_fmac_f32_e32 v51, v13, v62
	v_fma_f32 v50, v12, v62, -v55
	s_waitcnt lgkmcnt(2)
	v_pk_mul_f32 v[6:7], v[18:19], v[56:57] op_sel_hi:[1,0]
	v_pk_add_f32 v[2:3], v[2:3], v[48:49]
	s_waitcnt vmcnt(9)
	v_mov_b32_e32 v4, v39
	v_pk_fma_f32 v[12:13], v[18:19], v[34:35], v[6:7] op_sel:[0,0,1] op_sel_hi:[1,1,0] neg_lo:[0,0,1] neg_hi:[0,0,1]
	v_pk_fma_f32 v[6:7], v[18:19], v[34:35], v[6:7] op_sel:[0,0,1] op_sel_hi:[1,0,0]
	v_mov_b32_e32 v11, v5
	v_pk_add_f32 v[2:3], v[2:3], v[50:51]
	v_pk_mul_f32 v[4:5], v[20:21], v[4:5] op_sel_hi:[1,0]
	v_mov_b32_e32 v13, v7
	v_pk_add_f32 v[2:3], v[2:3], v[8:9]
	v_pk_fma_f32 v[6:7], v[20:21], v[38:39], v[4:5] op_sel:[0,0,1] op_sel_hi:[1,1,0] neg_lo:[0,0,1] neg_hi:[0,0,1]
	v_pk_fma_f32 v[4:5], v[20:21], v[38:39], v[4:5] op_sel:[0,0,1] op_sel_hi:[1,0,0]
	v_pk_add_f32 v[2:3], v[2:3], v[10:11]
	s_waitcnt vmcnt(8)
	v_mov_b32_e32 v4, v37
	v_pk_add_f32 v[2:3], v[2:3], v[12:13]
	v_mov_b32_e32 v7, v5
	s_waitcnt lgkmcnt(1)
	v_pk_mul_f32 v[4:5], v[22:23], v[4:5] op_sel_hi:[1,0]
	v_pk_add_f32 v[2:3], v[2:3], v[6:7]
	v_pk_fma_f32 v[6:7], v[22:23], v[36:37], v[4:5] op_sel:[0,0,1] op_sel_hi:[1,1,0] neg_lo:[0,0,1] neg_hi:[0,0,1]
	v_pk_fma_f32 v[4:5], v[22:23], v[36:37], v[4:5] op_sel:[0,0,1] op_sel_hi:[1,0,0]
	s_waitcnt vmcnt(7)
	v_mov_b32_e32 v4, v41
	v_mov_b32_e32 v7, v5
	v_pk_mul_f32 v[4:5], v[24:25], v[4:5] op_sel_hi:[1,0]
	v_pk_add_f32 v[2:3], v[2:3], v[6:7]
	s_waitcnt vmcnt(4)
	v_pk_fma_f32 v[6:7], v[24:25], v[40:41], v[4:5] op_sel:[0,0,1] op_sel_hi:[1,1,0] neg_lo:[0,0,1] neg_hi:[0,0,1]
	v_pk_fma_f32 v[4:5], v[24:25], v[40:41], v[4:5] op_sel:[0,0,1] op_sel_hi:[1,0,0]
	s_waitcnt vmcnt(3)
	v_mov_b32_e32 v4, v45
	v_mov_b32_e32 v7, v5
	s_waitcnt lgkmcnt(0)
	v_pk_mul_f32 v[4:5], v[26:27], v[4:5] op_sel_hi:[1,0]
	v_pk_add_f32 v[2:3], v[2:3], v[6:7]
	v_pk_fma_f32 v[6:7], v[26:27], v[44:45], v[4:5] op_sel:[0,0,1] op_sel_hi:[1,1,0] neg_lo:[0,0,1] neg_hi:[0,0,1]
	v_pk_fma_f32 v[4:5], v[26:27], v[44:45], v[4:5] op_sel:[0,0,1] op_sel_hi:[1,0,0]
	s_waitcnt vmcnt(0)
	v_mov_b32_e32 v4, v43
	v_mov_b32_e32 v7, v5
	v_pk_mul_f32 v[4:5], v[28:29], v[4:5] op_sel_hi:[1,0]
	v_pk_add_f32 v[2:3], v[2:3], v[6:7]
	v_pk_fma_f32 v[6:7], v[28:29], v[42:43], v[4:5] op_sel:[0,0,1] op_sel_hi:[1,1,0] neg_lo:[0,0,1] neg_hi:[0,0,1]
	v_pk_fma_f32 v[4:5], v[28:29], v[42:43], v[4:5] op_sel:[0,0,1] op_sel_hi:[1,0,0]
	v_mov_b32_e32 v7, v5
	v_pk_add_f32 v[2:3], v[2:3], v[6:7]
	v_pk_add_f32 v[2:3], v[46:47], v[2:3] neg_lo:[0,1] neg_hi:[0,1]
	buffer_store_dword v3, off, s[0:3], 0 offset:356
	buffer_store_dword v2, off, s[0:3], 0 offset:352
	s_and_saveexec_b64 s[4:5], vcc
	s_cbranch_execz .LBB58_281
; %bb.280:
	buffer_load_dword v2, off, s[0:3], 0 offset:344
	buffer_load_dword v3, off, s[0:3], 0 offset:348
	v_mov_b32_e32 v1, 0
	buffer_store_dword v1, off, s[0:3], 0 offset:344
	buffer_store_dword v1, off, s[0:3], 0 offset:348
	s_waitcnt vmcnt(2)
	ds_write_b64 v187, v[2:3]
.LBB58_281:
	s_or_b64 exec, exec, s[4:5]
	s_waitcnt lgkmcnt(0)
	; wave barrier
	s_waitcnt lgkmcnt(0)
	buffer_load_dword v50, off, s[0:3], 0 offset:356
	buffer_load_dword v52, off, s[0:3], 0 offset:364
	;; [unrolled: 1-line block ×32, first 2 shown]
	v_mov_b32_e32 v1, 0
	ds_read_b128 v[2:5], v1 offset:832
	ds_read_b128 v[6:9], v1 offset:848
	;; [unrolled: 1-line block ×7, first 2 shown]
	ds_read_b64 v[48:49], v1 offset:944
	v_cmp_lt_u32_e32 vcc, 42, v0
	s_waitcnt vmcnt(31) lgkmcnt(7)
	v_mul_f32_e32 v66, v2, v50
	s_waitcnt vmcnt(30)
	v_mul_f32_e32 v67, v4, v52
	s_waitcnt vmcnt(29) lgkmcnt(6)
	v_mul_f32_e32 v68, v6, v54
	s_waitcnt vmcnt(28)
	v_mul_f32_e32 v69, v8, v55
	v_mul_f32_e32 v50, v3, v50
	;; [unrolled: 1-line block ×4, first 2 shown]
	s_waitcnt vmcnt(24)
	v_mov_b32_e32 v54, v31
	s_waitcnt lgkmcnt(5)
	v_mul_f32_e32 v70, v10, v56
	v_mul_f32_e32 v52, v5, v52
	;; [unrolled: 1-line block ×3, first 2 shown]
	s_waitcnt vmcnt(22)
	v_fmac_f32_e32 v66, v3, v59
	s_waitcnt vmcnt(21)
	v_fmac_f32_e32 v67, v5, v60
	v_fma_f32 v5, v2, v59, -v50
	s_waitcnt lgkmcnt(4)
	v_pk_mul_f32 v[2:3], v[16:17], v[54:55] op_sel_hi:[1,0]
	s_waitcnt vmcnt(20)
	v_fmac_f32_e32 v68, v7, v61
	s_waitcnt vmcnt(19)
	v_fmac_f32_e32 v69, v9, v62
	;; [unrolled: 2-line block ×3, first 2 shown]
	v_fma_f32 v7, v4, v60, -v52
	v_fma_f32 v9, v10, v63, -v72
	v_add_f32_e32 v10, 0, v66
	v_add_f32_e32 v11, 0, v5
	s_waitcnt vmcnt(12)
	v_pk_fma_f32 v[4:5], v[16:17], v[30:31], v[2:3] op_sel:[0,0,1] op_sel_hi:[1,1,0] neg_lo:[0,0,1] neg_hi:[0,0,1]
	v_pk_fma_f32 v[2:3], v[16:17], v[30:31], v[2:3] op_sel:[0,0,1] op_sel_hi:[1,0,0]
	v_fma_f32 v6, v6, v61, -v71
	v_add_f32_e32 v2, v10, v67
	v_add_f32_e32 v7, v11, v7
	v_fma_f32 v8, v8, v62, -v55
	v_mov_b32_e32 v5, v3
	v_add_f32_e32 v2, v2, v68
	v_add_f32_e32 v3, v7, v6
	v_mul_f32_e32 v51, v12, v57
	v_mul_f32_e32 v57, v13, v57
	v_add_f32_e32 v2, v2, v69
	v_add_f32_e32 v6, v3, v8
	v_mul_f32_e32 v53, v14, v58
	v_mul_f32_e32 v58, v15, v58
	v_fmac_f32_e32 v51, v13, v64
	v_fma_f32 v50, v12, v64, -v57
	v_add_f32_e32 v3, v2, v70
	v_add_f32_e32 v2, v6, v9
	v_fmac_f32_e32 v53, v15, v65
	v_fma_f32 v52, v14, v65, -v58
	v_pk_add_f32 v[2:3], v[2:3], v[50:51]
	v_mov_b32_e32 v56, v33
	v_pk_add_f32 v[2:3], v[2:3], v[52:53]
	v_pk_add_f32 v[2:3], v[2:3], v[4:5]
	s_waitcnt lgkmcnt(3)
	v_pk_mul_f32 v[4:5], v[18:19], v[56:57] op_sel_hi:[1,0]
	v_pk_fma_f32 v[6:7], v[18:19], v[32:33], v[4:5] op_sel:[0,0,1] op_sel_hi:[1,1,0] neg_lo:[0,0,1] neg_hi:[0,0,1]
	v_pk_fma_f32 v[4:5], v[18:19], v[32:33], v[4:5] op_sel:[0,0,1] op_sel_hi:[1,0,0]
	s_waitcnt vmcnt(11)
	v_mov_b32_e32 v4, v37
	v_mov_b32_e32 v7, v5
	v_pk_mul_f32 v[4:5], v[20:21], v[4:5] op_sel_hi:[1,0]
	v_pk_add_f32 v[2:3], v[2:3], v[6:7]
	v_pk_fma_f32 v[6:7], v[20:21], v[36:37], v[4:5] op_sel:[0,0,1] op_sel_hi:[1,1,0] neg_lo:[0,0,1] neg_hi:[0,0,1]
	v_pk_fma_f32 v[4:5], v[20:21], v[36:37], v[4:5] op_sel:[0,0,1] op_sel_hi:[1,0,0]
	s_waitcnt vmcnt(10)
	v_mov_b32_e32 v4, v35
	v_mov_b32_e32 v7, v5
	s_waitcnt lgkmcnt(2)
	v_pk_mul_f32 v[4:5], v[22:23], v[4:5] op_sel_hi:[1,0]
	v_pk_add_f32 v[2:3], v[2:3], v[6:7]
	v_pk_fma_f32 v[6:7], v[22:23], v[34:35], v[4:5] op_sel:[0,0,1] op_sel_hi:[1,1,0] neg_lo:[0,0,1] neg_hi:[0,0,1]
	v_pk_fma_f32 v[4:5], v[22:23], v[34:35], v[4:5] op_sel:[0,0,1] op_sel_hi:[1,0,0]
	s_waitcnt vmcnt(9)
	v_mov_b32_e32 v4, v39
	v_mov_b32_e32 v7, v5
	v_pk_mul_f32 v[4:5], v[24:25], v[4:5] op_sel_hi:[1,0]
	v_pk_add_f32 v[2:3], v[2:3], v[6:7]
	s_waitcnt vmcnt(4)
	v_pk_fma_f32 v[6:7], v[24:25], v[38:39], v[4:5] op_sel:[0,0,1] op_sel_hi:[1,1,0] neg_lo:[0,0,1] neg_hi:[0,0,1]
	v_pk_fma_f32 v[4:5], v[24:25], v[38:39], v[4:5] op_sel:[0,0,1] op_sel_hi:[1,0,0]
	v_mov_b32_e32 v4, v45
	v_mov_b32_e32 v7, v5
	s_waitcnt lgkmcnt(1)
	v_pk_mul_f32 v[4:5], v[26:27], v[4:5] op_sel_hi:[1,0]
	v_pk_add_f32 v[2:3], v[2:3], v[6:7]
	v_pk_fma_f32 v[6:7], v[26:27], v[44:45], v[4:5] op_sel:[0,0,1] op_sel_hi:[1,1,0] neg_lo:[0,0,1] neg_hi:[0,0,1]
	v_pk_fma_f32 v[4:5], v[26:27], v[44:45], v[4:5] op_sel:[0,0,1] op_sel_hi:[1,0,0]
	s_waitcnt vmcnt(3)
	v_mov_b32_e32 v4, v43
	v_mov_b32_e32 v7, v5
	v_pk_mul_f32 v[4:5], v[28:29], v[4:5] op_sel_hi:[1,0]
	v_pk_add_f32 v[2:3], v[2:3], v[6:7]
	v_pk_fma_f32 v[6:7], v[28:29], v[42:43], v[4:5] op_sel:[0,0,1] op_sel_hi:[1,1,0] neg_lo:[0,0,1] neg_hi:[0,0,1]
	v_pk_fma_f32 v[4:5], v[28:29], v[42:43], v[4:5] op_sel:[0,0,1] op_sel_hi:[1,0,0]
	s_waitcnt vmcnt(0)
	v_mov_b32_e32 v4, v41
	v_mov_b32_e32 v7, v5
	s_waitcnt lgkmcnt(0)
	v_pk_mul_f32 v[4:5], v[48:49], v[4:5] op_sel_hi:[1,0]
	v_pk_add_f32 v[2:3], v[2:3], v[6:7]
	v_pk_fma_f32 v[6:7], v[48:49], v[40:41], v[4:5] op_sel:[0,0,1] op_sel_hi:[1,1,0] neg_lo:[0,0,1] neg_hi:[0,0,1]
	v_pk_fma_f32 v[4:5], v[48:49], v[40:41], v[4:5] op_sel:[0,0,1] op_sel_hi:[1,0,0]
	v_mov_b32_e32 v7, v5
	v_pk_add_f32 v[2:3], v[2:3], v[6:7]
	v_pk_add_f32 v[2:3], v[46:47], v[2:3] neg_lo:[0,1] neg_hi:[0,1]
	buffer_store_dword v3, off, s[0:3], 0 offset:348
	buffer_store_dword v2, off, s[0:3], 0 offset:344
	s_and_saveexec_b64 s[4:5], vcc
	s_cbranch_execz .LBB58_283
; %bb.282:
	buffer_load_dword v2, off, s[0:3], 0 offset:336
	buffer_load_dword v3, off, s[0:3], 0 offset:340
	s_waitcnt vmcnt(0)
	ds_write_b64 v187, v[2:3]
	buffer_store_dword v1, off, s[0:3], 0 offset:336
	buffer_store_dword v1, off, s[0:3], 0 offset:340
.LBB58_283:
	s_or_b64 exec, exec, s[4:5]
	s_waitcnt lgkmcnt(0)
	; wave barrier
	s_waitcnt lgkmcnt(0)
	buffer_load_dword v52, off, s[0:3], 0 offset:348
	buffer_load_dword v54, off, s[0:3], 0 offset:356
	;; [unrolled: 1-line block ×32, first 2 shown]
	ds_read2_b64 v[2:5], v1 offset0:103 offset1:104
	ds_read2_b64 v[6:9], v1 offset0:105 offset1:106
	;; [unrolled: 1-line block ×4, first 2 shown]
	buffer_load_dword v51, off, s[0:3], 0 offset:468
	buffer_load_dword v50, off, s[0:3], 0 offset:464
	ds_read2_b64 v[18:21], v1 offset0:111 offset1:112
	ds_read2_b64 v[22:25], v1 offset0:113 offset1:114
	;; [unrolled: 1-line block ×4, first 2 shown]
	v_cmp_lt_u32_e32 vcc, 41, v0
	s_waitcnt vmcnt(33) lgkmcnt(7)
	v_mul_f32_e32 v1, v2, v52
	v_mul_f32_e32 v52, v3, v52
	s_waitcnt vmcnt(32)
	v_mul_f32_e32 v70, v4, v54
	v_mul_f32_e32 v54, v5, v54
	s_waitcnt vmcnt(31) lgkmcnt(6)
	v_mul_f32_e32 v71, v6, v56
	v_mul_f32_e32 v56, v7, v56
	s_waitcnt vmcnt(30)
	v_mul_f32_e32 v72, v8, v57
	v_mul_f32_e32 v57, v9, v57
	s_waitcnt vmcnt(25)
	v_fmac_f32_e32 v1, v3, v62
	v_fma_f32 v2, v2, v62, -v52
	s_waitcnt vmcnt(24)
	v_fmac_f32_e32 v70, v5, v63
	v_fma_f32 v3, v4, v63, -v54
	v_add_f32_e32 v1, 0, v1
	v_add_f32_e32 v2, 0, v2
	s_waitcnt vmcnt(23)
	v_fmac_f32_e32 v71, v7, v64
	v_fma_f32 v4, v6, v64, -v56
	v_add_f32_e32 v1, v1, v70
	v_add_f32_e32 v2, v2, v3
	s_waitcnt lgkmcnt(5)
	v_mul_f32_e32 v73, v10, v58
	v_mul_f32_e32 v58, v11, v58
	s_waitcnt vmcnt(22)
	v_fmac_f32_e32 v72, v9, v65
	v_fma_f32 v5, v8, v65, -v57
	v_add_f32_e32 v1, v1, v71
	v_add_f32_e32 v2, v2, v4
	v_mul_f32_e32 v74, v12, v59
	v_mul_f32_e32 v59, v13, v59
	s_waitcnt vmcnt(21)
	v_fmac_f32_e32 v73, v11, v66
	v_fma_f32 v6, v10, v66, -v58
	v_add_f32_e32 v1, v1, v72
	v_add_f32_e32 v2, v2, v5
	s_waitcnt vmcnt(17)
	v_mov_b32_e32 v4, v35
	s_waitcnt lgkmcnt(4)
	v_mul_f32_e32 v53, v14, v60
	v_mul_f32_e32 v60, v15, v60
	v_fmac_f32_e32 v74, v13, v67
	v_fma_f32 v7, v12, v67, -v59
	v_add_f32_e32 v1, v1, v73
	v_add_f32_e32 v2, v2, v6
	s_waitcnt lgkmcnt(3)
	v_pk_mul_f32 v[4:5], v[18:19], v[4:5] op_sel_hi:[1,0]
	v_mul_f32_e32 v55, v16, v61
	v_mul_f32_e32 v61, v17, v61
	v_fmac_f32_e32 v53, v15, v68
	v_fma_f32 v52, v14, v68, -v60
	v_add_f32_e32 v3, v1, v74
	v_add_f32_e32 v2, v2, v7
	s_waitcnt vmcnt(14)
	v_pk_fma_f32 v[6:7], v[18:19], v[34:35], v[4:5] op_sel:[0,0,1] op_sel_hi:[1,1,0] neg_lo:[0,0,1] neg_hi:[0,0,1]
	v_pk_fma_f32 v[4:5], v[18:19], v[34:35], v[4:5] op_sel:[0,0,1] op_sel_hi:[1,0,0]
	v_fmac_f32_e32 v55, v17, v69
	v_fma_f32 v54, v16, v69, -v61
	v_pk_add_f32 v[2:3], v[2:3], v[52:53]
	s_waitcnt vmcnt(13)
	v_mov_b32_e32 v4, v39
	v_pk_add_f32 v[2:3], v[2:3], v[54:55]
	v_mov_b32_e32 v7, v5
	v_pk_mul_f32 v[4:5], v[20:21], v[4:5] op_sel_hi:[1,0]
	v_pk_add_f32 v[2:3], v[2:3], v[6:7]
	v_pk_fma_f32 v[6:7], v[20:21], v[38:39], v[4:5] op_sel:[0,0,1] op_sel_hi:[1,1,0] neg_lo:[0,0,1] neg_hi:[0,0,1]
	v_pk_fma_f32 v[4:5], v[20:21], v[38:39], v[4:5] op_sel:[0,0,1] op_sel_hi:[1,0,0]
	s_waitcnt vmcnt(12)
	v_mov_b32_e32 v4, v37
	v_mov_b32_e32 v7, v5
	s_waitcnt lgkmcnt(2)
	v_pk_mul_f32 v[4:5], v[22:23], v[4:5] op_sel_hi:[1,0]
	v_pk_add_f32 v[2:3], v[2:3], v[6:7]
	v_pk_fma_f32 v[6:7], v[22:23], v[36:37], v[4:5] op_sel:[0,0,1] op_sel_hi:[1,1,0] neg_lo:[0,0,1] neg_hi:[0,0,1]
	v_pk_fma_f32 v[4:5], v[22:23], v[36:37], v[4:5] op_sel:[0,0,1] op_sel_hi:[1,0,0]
	s_waitcnt vmcnt(11)
	v_mov_b32_e32 v4, v41
	v_mov_b32_e32 v7, v5
	v_pk_mul_f32 v[4:5], v[24:25], v[4:5] op_sel_hi:[1,0]
	v_pk_add_f32 v[2:3], v[2:3], v[6:7]
	s_waitcnt vmcnt(5)
	v_pk_fma_f32 v[6:7], v[24:25], v[40:41], v[4:5] op_sel:[0,0,1] op_sel_hi:[1,1,0] neg_lo:[0,0,1] neg_hi:[0,0,1]
	v_pk_fma_f32 v[4:5], v[24:25], v[40:41], v[4:5] op_sel:[0,0,1] op_sel_hi:[1,0,0]
	v_mov_b32_e32 v4, v47
	v_mov_b32_e32 v7, v5
	s_waitcnt lgkmcnt(1)
	v_pk_mul_f32 v[4:5], v[26:27], v[4:5] op_sel_hi:[1,0]
	v_pk_add_f32 v[2:3], v[2:3], v[6:7]
	v_pk_fma_f32 v[6:7], v[26:27], v[46:47], v[4:5] op_sel:[0,0,1] op_sel_hi:[1,1,0] neg_lo:[0,0,1] neg_hi:[0,0,1]
	v_pk_fma_f32 v[4:5], v[26:27], v[46:47], v[4:5] op_sel:[0,0,1] op_sel_hi:[1,0,0]
	v_mov_b32_e32 v4, v45
	v_mov_b32_e32 v7, v5
	v_pk_mul_f32 v[4:5], v[28:29], v[4:5] op_sel_hi:[1,0]
	v_pk_add_f32 v[2:3], v[2:3], v[6:7]
	v_pk_fma_f32 v[6:7], v[28:29], v[44:45], v[4:5] op_sel:[0,0,1] op_sel_hi:[1,1,0] neg_lo:[0,0,1] neg_hi:[0,0,1]
	v_pk_fma_f32 v[4:5], v[28:29], v[44:45], v[4:5] op_sel:[0,0,1] op_sel_hi:[1,0,0]
	s_waitcnt vmcnt(2)
	v_mov_b32_e32 v4, v43
	v_mov_b32_e32 v7, v5
	s_waitcnt lgkmcnt(0)
	v_pk_mul_f32 v[4:5], v[30:31], v[4:5] op_sel_hi:[1,0]
	v_pk_add_f32 v[2:3], v[2:3], v[6:7]
	v_pk_fma_f32 v[6:7], v[30:31], v[42:43], v[4:5] op_sel:[0,0,1] op_sel_hi:[1,1,0] neg_lo:[0,0,1] neg_hi:[0,0,1]
	v_pk_fma_f32 v[4:5], v[30:31], v[42:43], v[4:5] op_sel:[0,0,1] op_sel_hi:[1,0,0]
	s_waitcnt vmcnt(1)
	v_mov_b32_e32 v4, v51
	v_mov_b32_e32 v7, v5
	v_pk_mul_f32 v[4:5], v[32:33], v[4:5] op_sel_hi:[1,0]
	v_pk_add_f32 v[2:3], v[2:3], v[6:7]
	s_waitcnt vmcnt(0)
	v_pk_fma_f32 v[6:7], v[32:33], v[50:51], v[4:5] op_sel:[0,0,1] op_sel_hi:[1,1,0] neg_lo:[0,0,1] neg_hi:[0,0,1]
	v_pk_fma_f32 v[4:5], v[32:33], v[50:51], v[4:5] op_sel:[0,0,1] op_sel_hi:[1,0,0]
	v_mov_b32_e32 v7, v5
	v_pk_add_f32 v[2:3], v[2:3], v[6:7]
	v_pk_add_f32 v[2:3], v[48:49], v[2:3] neg_lo:[0,1] neg_hi:[0,1]
	buffer_store_dword v3, off, s[0:3], 0 offset:340
	buffer_store_dword v2, off, s[0:3], 0 offset:336
	s_and_saveexec_b64 s[4:5], vcc
	s_cbranch_execz .LBB58_285
; %bb.284:
	buffer_load_dword v2, off, s[0:3], 0 offset:328
	buffer_load_dword v3, off, s[0:3], 0 offset:332
	v_mov_b32_e32 v1, 0
	buffer_store_dword v1, off, s[0:3], 0 offset:328
	buffer_store_dword v1, off, s[0:3], 0 offset:332
	s_waitcnt vmcnt(2)
	ds_write_b64 v187, v[2:3]
.LBB58_285:
	s_or_b64 exec, exec, s[4:5]
	s_waitcnt lgkmcnt(0)
	; wave barrier
	s_waitcnt lgkmcnt(0)
	buffer_load_dword v44, off, s[0:3], 0 offset:340
	buffer_load_dword v46, off, s[0:3], 0 offset:348
	;; [unrolled: 1-line block ×36, first 2 shown]
	v_mov_b32_e32 v1, 0
	ds_read_b128 v[2:5], v1 offset:816
	ds_read_b128 v[6:9], v1 offset:832
	;; [unrolled: 1-line block ×6, first 2 shown]
	v_cmp_lt_u32_e32 vcc, 40, v0
	s_waitcnt vmcnt(35) lgkmcnt(5)
	v_mul_f32_e32 v64, v2, v44
	s_waitcnt vmcnt(34)
	v_mul_f32_e32 v65, v4, v46
	v_mul_f32_e32 v44, v3, v44
	s_waitcnt vmcnt(32) lgkmcnt(4)
	v_mul_f32_e32 v67, v8, v49
	v_mul_f32_e32 v49, v9, v49
	;; [unrolled: 1-line block ×5, first 2 shown]
	s_waitcnt vmcnt(31) lgkmcnt(3)
	v_mul_f32_e32 v68, v10, v50
	s_waitcnt vmcnt(26)
	v_fmac_f32_e32 v64, v3, v55
	s_waitcnt vmcnt(25)
	v_fmac_f32_e32 v65, v5, v56
	v_fma_f32 v2, v2, v55, -v44
	s_waitcnt vmcnt(23)
	v_fma_f32 v5, v8, v58, -v49
	v_add_f32_e32 v8, 0, v64
	v_fmac_f32_e32 v66, v7, v57
	v_fma_f32 v3, v4, v56, -v46
	v_add_f32_e32 v2, 0, v2
	v_add_f32_e32 v8, v8, v65
	v_fmac_f32_e32 v67, v9, v58
	v_fma_f32 v4, v6, v57, -v48
	v_add_f32_e32 v2, v2, v3
	v_add_f32_e32 v3, v8, v66
	v_mul_f32_e32 v69, v12, v51
	v_mul_f32_e32 v50, v11, v50
	s_waitcnt vmcnt(22)
	v_fmac_f32_e32 v68, v11, v59
	v_add_f32_e32 v2, v2, v4
	v_add_f32_e32 v3, v3, v67
	s_waitcnt lgkmcnt(2)
	v_mul_f32_e32 v70, v14, v52
	v_mul_f32_e32 v51, v13, v51
	s_waitcnt vmcnt(21)
	v_fmac_f32_e32 v69, v13, v60
	v_fma_f32 v6, v10, v59, -v50
	v_add_f32_e32 v2, v2, v5
	v_add_f32_e32 v3, v3, v68
	v_mul_f32_e32 v52, v15, v52
	s_waitcnt vmcnt(20)
	v_fmac_f32_e32 v70, v15, v61
	v_fma_f32 v7, v12, v60, -v51
	v_add_f32_e32 v2, v2, v6
	v_add_f32_e32 v3, v3, v69
	;; [unrolled: 1-line block ×4, first 2 shown]
	v_fma_f32 v3, v14, v61, -v52
	s_waitcnt vmcnt(17)
	v_mov_b32_e32 v14, v27
	v_mul_f32_e32 v45, v16, v53
	v_add_f32_e32 v10, v2, v3
	v_mul_f32_e32 v2, v17, v53
	s_waitcnt lgkmcnt(1)
	v_pk_mul_f32 v[14:15], v[20:21], v[14:15] op_sel_hi:[1,0]
	v_mul_f32_e32 v47, v18, v54
	v_fmac_f32_e32 v45, v17, v62
	v_fma_f32 v44, v16, v62, -v2
	v_mul_f32_e32 v2, v19, v54
	s_waitcnt vmcnt(15)
	v_pk_fma_f32 v[16:17], v[20:21], v[26:27], v[14:15] op_sel:[0,0,1] op_sel_hi:[1,1,0] neg_lo:[0,0,1] neg_hi:[0,0,1]
	v_pk_fma_f32 v[14:15], v[20:21], v[26:27], v[14:15] op_sel:[0,0,1] op_sel_hi:[1,0,0]
	v_fmac_f32_e32 v47, v19, v63
	v_fma_f32 v46, v18, v63, -v2
	v_pk_add_f32 v[10:11], v[10:11], v[44:45]
	s_waitcnt vmcnt(12)
	v_mov_b32_e32 v14, v29
	v_pk_add_f32 v[10:11], v[10:11], v[46:47]
	v_mov_b32_e32 v17, v15
	s_waitcnt lgkmcnt(0)
	v_pk_mul_f32 v[14:15], v[22:23], v[14:15] op_sel_hi:[1,0]
	v_pk_add_f32 v[10:11], v[10:11], v[16:17]
	v_pk_fma_f32 v[16:17], v[22:23], v[28:29], v[14:15] op_sel:[0,0,1] op_sel_hi:[1,1,0] neg_lo:[0,0,1] neg_hi:[0,0,1]
	v_pk_fma_f32 v[14:15], v[22:23], v[28:29], v[14:15] op_sel:[0,0,1] op_sel_hi:[1,0,0]
	s_waitcnt vmcnt(11)
	v_mov_b32_e32 v14, v33
	ds_read_b128 v[2:5], v1 offset:912
	ds_read_b128 v[6:9], v1 offset:928
	ds_read_b64 v[12:13], v1 offset:944
	v_mov_b32_e32 v17, v15
	v_pk_mul_f32 v[14:15], v[24:25], v[14:15] op_sel_hi:[1,0]
	v_pk_add_f32 v[10:11], v[10:11], v[16:17]
	s_waitcnt vmcnt(4)
	v_pk_fma_f32 v[16:17], v[24:25], v[32:33], v[14:15] op_sel:[0,0,1] op_sel_hi:[1,1,0] neg_lo:[0,0,1] neg_hi:[0,0,1]
	v_pk_fma_f32 v[14:15], v[24:25], v[32:33], v[14:15] op_sel:[0,0,1] op_sel_hi:[1,0,0]
	v_mov_b32_e32 v14, v39
	v_mov_b32_e32 v17, v15
	s_waitcnt lgkmcnt(2)
	v_pk_mul_f32 v[14:15], v[2:3], v[14:15] op_sel_hi:[1,0]
	v_pk_add_f32 v[10:11], v[10:11], v[16:17]
	v_pk_fma_f32 v[16:17], v[2:3], v[38:39], v[14:15] op_sel:[0,0,1] op_sel_hi:[1,1,0] neg_lo:[0,0,1] neg_hi:[0,0,1]
	v_pk_fma_f32 v[2:3], v[2:3], v[38:39], v[14:15] op_sel:[0,0,1] op_sel_hi:[1,0,0]
	v_mov_b32_e32 v17, v3
	v_pk_add_f32 v[2:3], v[10:11], v[16:17]
	v_mov_b32_e32 v10, v37
	v_pk_mul_f32 v[10:11], v[4:5], v[10:11] op_sel_hi:[1,0]
	v_pk_fma_f32 v[14:15], v[4:5], v[36:37], v[10:11] op_sel:[0,0,1] op_sel_hi:[1,1,0] neg_lo:[0,0,1] neg_hi:[0,0,1]
	v_pk_fma_f32 v[4:5], v[4:5], v[36:37], v[10:11] op_sel:[0,0,1] op_sel_hi:[1,0,0]
	v_mov_b32_e32 v4, v35
	v_mov_b32_e32 v15, v5
	s_waitcnt lgkmcnt(1)
	v_pk_mul_f32 v[4:5], v[6:7], v[4:5] op_sel_hi:[1,0]
	v_pk_fma_f32 v[10:11], v[6:7], v[34:35], v[4:5] op_sel:[0,0,1] op_sel_hi:[1,1,0] neg_lo:[0,0,1] neg_hi:[0,0,1]
	v_pk_fma_f32 v[4:5], v[6:7], v[34:35], v[4:5] op_sel:[0,0,1] op_sel_hi:[1,0,0]
	s_waitcnt vmcnt(1)
	v_mov_b32_e32 v4, v43
	v_mov_b32_e32 v11, v5
	v_pk_mul_f32 v[4:5], v[8:9], v[4:5] op_sel_hi:[1,0]
	s_waitcnt vmcnt(0)
	v_pk_fma_f32 v[6:7], v[8:9], v[42:43], v[4:5] op_sel:[0,0,1] op_sel_hi:[1,1,0] neg_lo:[0,0,1] neg_hi:[0,0,1]
	v_pk_fma_f32 v[4:5], v[8:9], v[42:43], v[4:5] op_sel:[0,0,1] op_sel_hi:[1,0,0]
	v_pk_add_f32 v[2:3], v[2:3], v[14:15]
	v_mov_b32_e32 v4, v41
	v_pk_add_f32 v[2:3], v[2:3], v[10:11]
	v_mov_b32_e32 v7, v5
	s_waitcnt lgkmcnt(0)
	v_pk_mul_f32 v[4:5], v[12:13], v[4:5] op_sel_hi:[1,0]
	v_pk_add_f32 v[2:3], v[2:3], v[6:7]
	v_pk_fma_f32 v[6:7], v[12:13], v[40:41], v[4:5] op_sel:[0,0,1] op_sel_hi:[1,1,0] neg_lo:[0,0,1] neg_hi:[0,0,1]
	v_pk_fma_f32 v[4:5], v[12:13], v[40:41], v[4:5] op_sel:[0,0,1] op_sel_hi:[1,0,0]
	v_mov_b32_e32 v7, v5
	v_pk_add_f32 v[2:3], v[2:3], v[6:7]
	v_pk_add_f32 v[2:3], v[30:31], v[2:3] neg_lo:[0,1] neg_hi:[0,1]
	buffer_store_dword v3, off, s[0:3], 0 offset:332
	buffer_store_dword v2, off, s[0:3], 0 offset:328
	s_and_saveexec_b64 s[4:5], vcc
	s_cbranch_execz .LBB58_287
; %bb.286:
	buffer_load_dword v2, off, s[0:3], 0 offset:320
	buffer_load_dword v3, off, s[0:3], 0 offset:324
	s_waitcnt vmcnt(0)
	ds_write_b64 v187, v[2:3]
	buffer_store_dword v1, off, s[0:3], 0 offset:320
	buffer_store_dword v1, off, s[0:3], 0 offset:324
.LBB58_287:
	s_or_b64 exec, exec, s[4:5]
	s_waitcnt lgkmcnt(0)
	; wave barrier
	s_waitcnt lgkmcnt(0)
	buffer_load_dword v44, off, s[0:3], 0 offset:332
	buffer_load_dword v46, off, s[0:3], 0 offset:340
	;; [unrolled: 1-line block ×22, first 2 shown]
	ds_read2_b64 v[2:5], v1 offset0:101 offset1:102
	ds_read2_b64 v[6:9], v1 offset0:103 offset1:104
	buffer_load_dword v29, off, s[0:3], 0 offset:412
	buffer_load_dword v28, off, s[0:3], 0 offset:408
	;; [unrolled: 1-line block ×10, first 2 shown]
	ds_read2_b64 v[10:13], v1 offset0:105 offset1:106
	ds_read2_b64 v[14:17], v1 offset0:107 offset1:108
	;; [unrolled: 1-line block ×4, first 2 shown]
	buffer_load_dword v39, off, s[0:3], 0 offset:468
	buffer_load_dword v38, off, s[0:3], 0 offset:464
	;; [unrolled: 1-line block ×6, first 2 shown]
	v_cmp_lt_u32_e32 vcc, 39, v0
	s_waitcnt vmcnt(37) lgkmcnt(5)
	v_mul_f32_e32 v66, v2, v44
	s_waitcnt vmcnt(36)
	v_mul_f32_e32 v67, v4, v46
	s_waitcnt vmcnt(35) lgkmcnt(4)
	v_mul_f32_e32 v68, v6, v48
	v_mul_f32_e32 v44, v3, v44
	;; [unrolled: 1-line block ×4, first 2 shown]
	s_waitcnt vmcnt(34)
	v_mul_f32_e32 v69, v8, v49
	s_waitcnt vmcnt(33) lgkmcnt(3)
	v_mul_f32_e32 v70, v10, v50
	s_waitcnt vmcnt(32)
	v_mul_f32_e32 v71, v12, v51
	s_waitcnt vmcnt(31) lgkmcnt(2)
	v_mul_f32_e32 v72, v14, v52
	s_waitcnt vmcnt(27)
	v_fmac_f32_e32 v66, v3, v56
	s_waitcnt vmcnt(26)
	v_fmac_f32_e32 v67, v5, v57
	;; [unrolled: 2-line block ×3, first 2 shown]
	v_fma_f32 v2, v2, v56, -v44
	v_add_f32_e32 v7, 0, v66
	v_fma_f32 v3, v4, v57, -v46
	v_add_f32_e32 v2, 0, v2
	v_add_f32_e32 v7, v7, v67
	s_waitcnt vmcnt(24)
	v_fmac_f32_e32 v69, v9, v59
	v_add_f32_e32 v2, v2, v3
	v_add_f32_e32 v3, v7, v68
	s_waitcnt vmcnt(23)
	v_fmac_f32_e32 v70, v11, v60
	v_add_f32_e32 v3, v3, v69
	v_mul_f32_e32 v49, v9, v49
	s_waitcnt vmcnt(22)
	v_fmac_f32_e32 v71, v13, v61
	v_fma_f32 v4, v6, v58, -v48
	v_add_f32_e32 v3, v3, v70
	v_mul_f32_e32 v73, v16, v53
	v_mul_f32_e32 v50, v11, v50
	s_waitcnt vmcnt(21)
	v_fmac_f32_e32 v72, v15, v62
	v_fma_f32 v5, v8, v59, -v49
	v_add_f32_e32 v2, v2, v4
	v_add_f32_e32 v3, v3, v71
	v_mul_f32_e32 v51, v13, v51
	s_waitcnt vmcnt(20)
	v_fmac_f32_e32 v73, v17, v63
	v_fma_f32 v6, v10, v60, -v50
	v_add_f32_e32 v2, v2, v5
	v_add_f32_e32 v3, v3, v72
	;; [unrolled: 1-line block ×4, first 2 shown]
	v_fma_f32 v3, v12, v61, -v51
	v_add_f32_e32 v2, v2, v3
	v_mul_f32_e32 v3, v15, v52
	v_fma_f32 v3, v14, v62, -v3
	v_add_f32_e32 v2, v2, v3
	v_mul_f32_e32 v3, v17, v53
	v_fma_f32 v3, v16, v63, -v3
	s_waitcnt vmcnt(15)
	v_mov_b32_e32 v16, v29
	s_waitcnt lgkmcnt(1)
	v_mul_f32_e32 v45, v18, v54
	v_add_f32_e32 v48, v2, v3
	v_mul_f32_e32 v2, v19, v54
	s_waitcnt lgkmcnt(0)
	v_pk_mul_f32 v[16:17], v[22:23], v[16:17] op_sel_hi:[1,0]
	v_mul_f32_e32 v47, v20, v55
	v_fmac_f32_e32 v45, v19, v64
	v_fma_f32 v44, v18, v64, -v2
	v_mul_f32_e32 v2, v21, v55
	s_waitcnt vmcnt(14)
	v_pk_fma_f32 v[18:19], v[22:23], v[28:29], v[16:17] op_sel:[0,0,1] op_sel_hi:[1,1,0] neg_lo:[0,0,1] neg_hi:[0,0,1]
	v_pk_fma_f32 v[16:17], v[22:23], v[28:29], v[16:17] op_sel:[0,0,1] op_sel_hi:[1,0,0]
	v_fmac_f32_e32 v47, v21, v65
	v_fma_f32 v46, v20, v65, -v2
	v_pk_add_f32 v[14:15], v[48:49], v[44:45]
	s_waitcnt vmcnt(13)
	v_mov_b32_e32 v16, v31
	ds_read2_b64 v[2:5], v1 offset0:113 offset1:114
	ds_read2_b64 v[6:9], v1 offset0:115 offset1:116
	ds_read2_b64 v[10:13], v1 offset0:117 offset1:118
	v_pk_add_f32 v[14:15], v[14:15], v[46:47]
	v_mov_b32_e32 v19, v17
	v_pk_mul_f32 v[16:17], v[24:25], v[16:17] op_sel_hi:[1,0]
	v_pk_add_f32 v[14:15], v[14:15], v[18:19]
	s_waitcnt vmcnt(6)
	v_pk_fma_f32 v[18:19], v[24:25], v[30:31], v[16:17] op_sel:[0,0,1] op_sel_hi:[1,1,0] neg_lo:[0,0,1] neg_hi:[0,0,1]
	v_pk_fma_f32 v[16:17], v[24:25], v[30:31], v[16:17] op_sel:[0,0,1] op_sel_hi:[1,0,0]
	v_mov_b32_e32 v16, v37
	v_mov_b32_e32 v19, v17
	s_waitcnt lgkmcnt(2)
	v_pk_mul_f32 v[16:17], v[2:3], v[16:17] op_sel_hi:[1,0]
	v_pk_add_f32 v[14:15], v[14:15], v[18:19]
	v_pk_fma_f32 v[18:19], v[2:3], v[36:37], v[16:17] op_sel:[0,0,1] op_sel_hi:[1,1,0] neg_lo:[0,0,1] neg_hi:[0,0,1]
	v_pk_fma_f32 v[2:3], v[2:3], v[36:37], v[16:17] op_sel:[0,0,1] op_sel_hi:[1,0,0]
	v_mov_b32_e32 v19, v3
	v_pk_add_f32 v[2:3], v[14:15], v[18:19]
	v_mov_b32_e32 v14, v35
	v_pk_mul_f32 v[14:15], v[4:5], v[14:15] op_sel_hi:[1,0]
	v_pk_fma_f32 v[16:17], v[4:5], v[34:35], v[14:15] op_sel:[0,0,1] op_sel_hi:[1,1,0] neg_lo:[0,0,1] neg_hi:[0,0,1]
	v_pk_fma_f32 v[4:5], v[4:5], v[34:35], v[14:15] op_sel:[0,0,1] op_sel_hi:[1,0,0]
	v_mov_b32_e32 v4, v33
	v_mov_b32_e32 v17, v5
	s_waitcnt lgkmcnt(1)
	v_pk_mul_f32 v[4:5], v[6:7], v[4:5] op_sel_hi:[1,0]
	v_pk_fma_f32 v[14:15], v[6:7], v[32:33], v[4:5] op_sel:[0,0,1] op_sel_hi:[1,1,0] neg_lo:[0,0,1] neg_hi:[0,0,1]
	v_pk_fma_f32 v[4:5], v[6:7], v[32:33], v[4:5] op_sel:[0,0,1] op_sel_hi:[1,0,0]
	s_waitcnt vmcnt(1)
	v_mov_b32_e32 v4, v43
	v_mov_b32_e32 v15, v5
	v_pk_mul_f32 v[4:5], v[8:9], v[4:5] op_sel_hi:[1,0]
	s_waitcnt vmcnt(0)
	v_pk_fma_f32 v[6:7], v[8:9], v[42:43], v[4:5] op_sel:[0,0,1] op_sel_hi:[1,1,0] neg_lo:[0,0,1] neg_hi:[0,0,1]
	v_pk_fma_f32 v[4:5], v[8:9], v[42:43], v[4:5] op_sel:[0,0,1] op_sel_hi:[1,0,0]
	v_pk_add_f32 v[2:3], v[2:3], v[16:17]
	v_mov_b32_e32 v4, v41
	v_pk_add_f32 v[2:3], v[2:3], v[14:15]
	v_mov_b32_e32 v7, v5
	s_waitcnt lgkmcnt(0)
	v_pk_mul_f32 v[4:5], v[10:11], v[4:5] op_sel_hi:[1,0]
	v_pk_add_f32 v[2:3], v[2:3], v[6:7]
	v_pk_fma_f32 v[6:7], v[10:11], v[40:41], v[4:5] op_sel:[0,0,1] op_sel_hi:[1,1,0] neg_lo:[0,0,1] neg_hi:[0,0,1]
	v_pk_fma_f32 v[4:5], v[10:11], v[40:41], v[4:5] op_sel:[0,0,1] op_sel_hi:[1,0,0]
	v_mov_b32_e32 v4, v39
	v_mov_b32_e32 v7, v5
	v_pk_mul_f32 v[4:5], v[12:13], v[4:5] op_sel_hi:[1,0]
	v_pk_add_f32 v[2:3], v[2:3], v[6:7]
	v_pk_fma_f32 v[6:7], v[12:13], v[38:39], v[4:5] op_sel:[0,0,1] op_sel_hi:[1,1,0] neg_lo:[0,0,1] neg_hi:[0,0,1]
	v_pk_fma_f32 v[4:5], v[12:13], v[38:39], v[4:5] op_sel:[0,0,1] op_sel_hi:[1,0,0]
	v_mov_b32_e32 v7, v5
	v_pk_add_f32 v[2:3], v[2:3], v[6:7]
	v_pk_add_f32 v[2:3], v[26:27], v[2:3] neg_lo:[0,1] neg_hi:[0,1]
	buffer_store_dword v3, off, s[0:3], 0 offset:324
	buffer_store_dword v2, off, s[0:3], 0 offset:320
	s_and_saveexec_b64 s[4:5], vcc
	s_cbranch_execz .LBB58_289
; %bb.288:
	buffer_load_dword v2, off, s[0:3], 0 offset:312
	buffer_load_dword v3, off, s[0:3], 0 offset:316
	v_mov_b32_e32 v1, 0
	buffer_store_dword v1, off, s[0:3], 0 offset:312
	buffer_store_dword v1, off, s[0:3], 0 offset:316
	s_waitcnt vmcnt(2)
	ds_write_b64 v187, v[2:3]
.LBB58_289:
	s_or_b64 exec, exec, s[4:5]
	s_waitcnt lgkmcnt(0)
	; wave barrier
	s_waitcnt lgkmcnt(0)
	buffer_load_dword v44, off, s[0:3], 0 offset:324
	buffer_load_dword v46, off, s[0:3], 0 offset:332
	;; [unrolled: 1-line block ×40, first 2 shown]
	v_mov_b32_e32 v1, 0
	ds_read_b128 v[2:5], v1 offset:800
	ds_read_b128 v[6:9], v1 offset:816
	;; [unrolled: 1-line block ×6, first 2 shown]
	v_cmp_lt_u32_e32 vcc, 38, v0
	s_waitcnt vmcnt(39) lgkmcnt(5)
	v_mul_f32_e32 v68, v2, v44
	s_waitcnt vmcnt(38)
	v_mul_f32_e32 v69, v4, v46
	s_waitcnt vmcnt(37) lgkmcnt(4)
	v_mul_f32_e32 v70, v6, v48
	v_mul_f32_e32 v44, v3, v44
	;; [unrolled: 1-line block ×4, first 2 shown]
	s_waitcnt vmcnt(36)
	v_mul_f32_e32 v71, v8, v49
	s_waitcnt vmcnt(35) lgkmcnt(3)
	v_mul_f32_e32 v72, v10, v50
	s_waitcnt vmcnt(34)
	v_mul_f32_e32 v73, v12, v51
	s_waitcnt vmcnt(33) lgkmcnt(2)
	v_mul_f32_e32 v74, v14, v52
	s_waitcnt vmcnt(32)
	v_mul_f32_e32 v75, v16, v53
	s_waitcnt vmcnt(28)
	v_fmac_f32_e32 v68, v3, v57
	s_waitcnt vmcnt(27)
	v_fmac_f32_e32 v69, v5, v58
	v_fma_f32 v2, v2, v57, -v44
	v_fma_f32 v3, v4, v58, -v46
	s_waitcnt vmcnt(26)
	v_fma_f32 v4, v6, v59, -v48
	v_add_f32_e32 v6, 0, v68
	v_fmac_f32_e32 v70, v7, v59
	v_add_f32_e32 v2, 0, v2
	v_add_f32_e32 v6, v6, v69
	s_waitcnt vmcnt(25)
	v_fmac_f32_e32 v71, v9, v60
	v_add_f32_e32 v2, v2, v3
	v_add_f32_e32 v3, v6, v70
	s_waitcnt vmcnt(24)
	v_fmac_f32_e32 v72, v11, v61
	v_add_f32_e32 v3, v3, v71
	s_waitcnt vmcnt(23)
	v_fmac_f32_e32 v73, v13, v62
	;; [unrolled: 3-line block ×3, first 2 shown]
	v_add_f32_e32 v3, v3, v73
	s_waitcnt lgkmcnt(1)
	v_mul_f32_e32 v76, v18, v54
	s_waitcnt vmcnt(21)
	v_fmac_f32_e32 v75, v17, v64
	v_add_f32_e32 v3, v3, v74
	v_mul_f32_e32 v49, v9, v49
	s_waitcnt vmcnt(20)
	v_fmac_f32_e32 v76, v19, v65
	v_add_f32_e32 v3, v3, v75
	v_fma_f32 v5, v8, v60, -v49
	v_add_f32_e32 v2, v2, v4
	v_add_f32_e32 v49, v3, v76
	v_mul_f32_e32 v3, v11, v50
	v_add_f32_e32 v2, v2, v5
	v_fma_f32 v3, v10, v61, -v3
	v_add_f32_e32 v2, v2, v3
	v_mul_f32_e32 v3, v13, v51
	v_fma_f32 v3, v12, v62, -v3
	v_add_f32_e32 v2, v2, v3
	v_mul_f32_e32 v3, v15, v52
	;; [unrolled: 3-line block ×5, first 2 shown]
	s_waitcnt vmcnt(9)
	v_mov_b32_e32 v18, v35
	v_mul_f32_e32 v45, v20, v55
	v_fma_f32 v44, v20, v66, -v2
	s_waitcnt lgkmcnt(0)
	v_mul_f32_e32 v2, v23, v56
	v_pk_mul_f32 v[18:19], v[24:25], v[18:19] op_sel_hi:[1,0]
	v_mul_f32_e32 v47, v22, v56
	v_fmac_f32_e32 v45, v21, v66
	v_fma_f32 v46, v22, v67, -v2
	ds_read_b128 v[2:5], v1 offset:896
	ds_read_b128 v[6:9], v1 offset:912
	;; [unrolled: 1-line block ×3, first 2 shown]
	ds_read_b64 v[14:15], v1 offset:944
	s_waitcnt vmcnt(8)
	v_pk_fma_f32 v[20:21], v[24:25], v[34:35], v[18:19] op_sel:[0,0,1] op_sel_hi:[1,1,0] neg_lo:[0,0,1] neg_hi:[0,0,1]
	v_pk_fma_f32 v[18:19], v[24:25], v[34:35], v[18:19] op_sel:[0,0,1] op_sel_hi:[1,0,0]
	v_fmac_f32_e32 v47, v23, v67
	v_pk_add_f32 v[16:17], v[48:49], v[44:45]
	v_mov_b32_e32 v18, v33
	v_pk_add_f32 v[16:17], v[16:17], v[46:47]
	v_mov_b32_e32 v21, v19
	s_waitcnt lgkmcnt(3)
	v_pk_mul_f32 v[18:19], v[2:3], v[18:19] op_sel_hi:[1,0]
	v_pk_add_f32 v[16:17], v[16:17], v[20:21]
	v_pk_fma_f32 v[20:21], v[2:3], v[32:33], v[18:19] op_sel:[0,0,1] op_sel_hi:[1,1,0] neg_lo:[0,0,1] neg_hi:[0,0,1]
	v_pk_fma_f32 v[2:3], v[2:3], v[32:33], v[18:19] op_sel:[0,0,1] op_sel_hi:[1,0,0]
	v_mov_b32_e32 v21, v3
	v_pk_add_f32 v[2:3], v[16:17], v[20:21]
	v_mov_b32_e32 v16, v31
	v_pk_mul_f32 v[16:17], v[4:5], v[16:17] op_sel_hi:[1,0]
	v_pk_fma_f32 v[18:19], v[4:5], v[30:31], v[16:17] op_sel:[0,0,1] op_sel_hi:[1,1,0] neg_lo:[0,0,1] neg_hi:[0,0,1]
	v_pk_fma_f32 v[4:5], v[4:5], v[30:31], v[16:17] op_sel:[0,0,1] op_sel_hi:[1,0,0]
	v_mov_b32_e32 v4, v29
	v_mov_b32_e32 v19, v5
	s_waitcnt lgkmcnt(2)
	v_pk_mul_f32 v[4:5], v[6:7], v[4:5] op_sel_hi:[1,0]
	v_pk_fma_f32 v[16:17], v[6:7], v[28:29], v[4:5] op_sel:[0,0,1] op_sel_hi:[1,1,0] neg_lo:[0,0,1] neg_hi:[0,0,1]
	v_pk_fma_f32 v[4:5], v[6:7], v[28:29], v[4:5] op_sel:[0,0,1] op_sel_hi:[1,0,0]
	s_waitcnt vmcnt(1)
	v_mov_b32_e32 v4, v43
	v_mov_b32_e32 v17, v5
	v_pk_mul_f32 v[4:5], v[8:9], v[4:5] op_sel_hi:[1,0]
	s_waitcnt vmcnt(0)
	v_pk_fma_f32 v[6:7], v[8:9], v[42:43], v[4:5] op_sel:[0,0,1] op_sel_hi:[1,1,0] neg_lo:[0,0,1] neg_hi:[0,0,1]
	v_pk_fma_f32 v[4:5], v[8:9], v[42:43], v[4:5] op_sel:[0,0,1] op_sel_hi:[1,0,0]
	v_pk_add_f32 v[2:3], v[2:3], v[18:19]
	v_mov_b32_e32 v4, v41
	v_pk_add_f32 v[2:3], v[2:3], v[16:17]
	v_mov_b32_e32 v7, v5
	s_waitcnt lgkmcnt(1)
	v_pk_mul_f32 v[4:5], v[10:11], v[4:5] op_sel_hi:[1,0]
	v_pk_add_f32 v[2:3], v[2:3], v[6:7]
	v_pk_fma_f32 v[6:7], v[10:11], v[40:41], v[4:5] op_sel:[0,0,1] op_sel_hi:[1,1,0] neg_lo:[0,0,1] neg_hi:[0,0,1]
	v_pk_fma_f32 v[4:5], v[10:11], v[40:41], v[4:5] op_sel:[0,0,1] op_sel_hi:[1,0,0]
	v_mov_b32_e32 v4, v39
	v_mov_b32_e32 v7, v5
	v_pk_mul_f32 v[4:5], v[12:13], v[4:5] op_sel_hi:[1,0]
	v_pk_add_f32 v[2:3], v[2:3], v[6:7]
	v_pk_fma_f32 v[6:7], v[12:13], v[38:39], v[4:5] op_sel:[0,0,1] op_sel_hi:[1,1,0] neg_lo:[0,0,1] neg_hi:[0,0,1]
	v_pk_fma_f32 v[4:5], v[12:13], v[38:39], v[4:5] op_sel:[0,0,1] op_sel_hi:[1,0,0]
	v_mov_b32_e32 v4, v37
	v_mov_b32_e32 v7, v5
	s_waitcnt lgkmcnt(0)
	v_pk_mul_f32 v[4:5], v[14:15], v[4:5] op_sel_hi:[1,0]
	v_pk_add_f32 v[2:3], v[2:3], v[6:7]
	v_pk_fma_f32 v[6:7], v[14:15], v[36:37], v[4:5] op_sel:[0,0,1] op_sel_hi:[1,1,0] neg_lo:[0,0,1] neg_hi:[0,0,1]
	v_pk_fma_f32 v[4:5], v[14:15], v[36:37], v[4:5] op_sel:[0,0,1] op_sel_hi:[1,0,0]
	v_mov_b32_e32 v7, v5
	v_pk_add_f32 v[2:3], v[2:3], v[6:7]
	v_pk_add_f32 v[2:3], v[26:27], v[2:3] neg_lo:[0,1] neg_hi:[0,1]
	buffer_store_dword v3, off, s[0:3], 0 offset:316
	buffer_store_dword v2, off, s[0:3], 0 offset:312
	s_and_saveexec_b64 s[4:5], vcc
	s_cbranch_execz .LBB58_291
; %bb.290:
	buffer_load_dword v2, off, s[0:3], 0 offset:304
	buffer_load_dword v3, off, s[0:3], 0 offset:308
	s_waitcnt vmcnt(0)
	ds_write_b64 v187, v[2:3]
	buffer_store_dword v1, off, s[0:3], 0 offset:304
	buffer_store_dword v1, off, s[0:3], 0 offset:308
.LBB58_291:
	s_or_b64 exec, exec, s[4:5]
	s_waitcnt lgkmcnt(0)
	; wave barrier
	s_waitcnt lgkmcnt(0)
	buffer_load_dword v44, off, s[0:3], 0 offset:316
	buffer_load_dword v46, off, s[0:3], 0 offset:324
	;; [unrolled: 1-line block ×26, first 2 shown]
	ds_read2_b64 v[2:5], v1 offset0:99 offset1:100
	ds_read2_b64 v[6:9], v1 offset0:101 offset1:102
	;; [unrolled: 1-line block ×6, first 2 shown]
	buffer_load_dword v29, off, s[0:3], 0 offset:428
	buffer_load_dword v28, off, s[0:3], 0 offset:424
	;; [unrolled: 1-line block ×16, first 2 shown]
	v_cmp_lt_u32_e32 vcc, 37, v0
	s_waitcnt vmcnt(41) lgkmcnt(5)
	v_mul_f32_e32 v70, v2, v44
	s_waitcnt vmcnt(40)
	v_mul_f32_e32 v71, v4, v46
	v_mul_f32_e32 v44, v3, v44
	s_waitcnt vmcnt(39) lgkmcnt(4)
	v_mul_f32_e32 v72, v6, v48
	v_mul_f32_e32 v46, v5, v46
	s_waitcnt vmcnt(38)
	v_mul_f32_e32 v73, v8, v50
	s_waitcnt vmcnt(37) lgkmcnt(3)
	v_mul_f32_e32 v74, v10, v51
	s_waitcnt vmcnt(36)
	v_mul_f32_e32 v75, v12, v52
	s_waitcnt vmcnt(35) lgkmcnt(2)
	v_mul_f32_e32 v76, v14, v53
	s_waitcnt vmcnt(34)
	v_mul_f32_e32 v77, v16, v54
	s_waitcnt vmcnt(33) lgkmcnt(1)
	v_mul_f32_e32 v78, v18, v55
	s_waitcnt vmcnt(32)
	v_mul_f32_e32 v79, v20, v56
	s_waitcnt vmcnt(29)
	v_fmac_f32_e32 v70, v3, v49
	s_waitcnt vmcnt(28)
	v_fmac_f32_e32 v71, v5, v59
	v_fma_f32 v2, v2, v49, -v44
	v_add_f32_e32 v5, 0, v70
	s_waitcnt vmcnt(27)
	v_fmac_f32_e32 v72, v7, v60
	v_fma_f32 v3, v4, v59, -v46
	v_add_f32_e32 v2, 0, v2
	v_add_f32_e32 v5, v5, v71
	s_waitcnt vmcnt(26)
	v_fmac_f32_e32 v73, v9, v61
	v_add_f32_e32 v2, v2, v3
	v_add_f32_e32 v3, v5, v72
	s_waitcnt vmcnt(25)
	v_fmac_f32_e32 v74, v11, v62
	v_add_f32_e32 v3, v3, v73
	s_waitcnt vmcnt(24)
	v_fmac_f32_e32 v75, v13, v63
	;; [unrolled: 3-line block ×5, first 2 shown]
	v_add_f32_e32 v3, v3, v77
	v_mul_f32_e32 v48, v7, v48
	s_waitcnt vmcnt(20)
	v_fmac_f32_e32 v79, v21, v67
	v_add_f32_e32 v3, v3, v78
	v_fma_f32 v4, v6, v60, -v48
	v_add_f32_e32 v49, v3, v79
	v_mul_f32_e32 v3, v9, v50
	v_add_f32_e32 v2, v2, v4
	v_fma_f32 v3, v8, v61, -v3
	v_add_f32_e32 v2, v2, v3
	v_mul_f32_e32 v3, v11, v51
	v_fma_f32 v3, v10, v62, -v3
	v_add_f32_e32 v2, v2, v3
	v_mul_f32_e32 v3, v13, v52
	;; [unrolled: 3-line block ×6, first 2 shown]
	v_fma_f32 v3, v20, v67, -v3
	v_add_f32_e32 v48, v2, v3
	s_waitcnt lgkmcnt(0)
	v_mul_f32_e32 v2, v23, v57
	s_waitcnt vmcnt(19)
	v_fma_f32 v44, v22, v68, -v2
	v_mul_f32_e32 v2, v25, v58
	s_waitcnt vmcnt(18)
	v_fma_f32 v46, v24, v69, -v2
	ds_read2_b64 v[2:5], v1 offset0:111 offset1:112
	ds_read2_b64 v[6:9], v1 offset0:113 offset1:114
	;; [unrolled: 1-line block ×4, first 2 shown]
	v_mul_f32_e32 v45, v22, v57
	s_waitcnt vmcnt(11)
	v_mov_b32_e32 v20, v33
	v_mul_f32_e32 v47, v24, v58
	v_fmac_f32_e32 v45, v23, v68
	s_waitcnt lgkmcnt(3)
	v_pk_mul_f32 v[20:21], v[2:3], v[20:21] op_sel_hi:[1,0]
	v_fmac_f32_e32 v47, v25, v69
	v_pk_add_f32 v[18:19], v[48:49], v[44:45]
	s_waitcnt vmcnt(10)
	v_pk_fma_f32 v[22:23], v[2:3], v[32:33], v[20:21] op_sel:[0,0,1] op_sel_hi:[1,1,0] neg_lo:[0,0,1] neg_hi:[0,0,1]
	v_pk_fma_f32 v[2:3], v[2:3], v[32:33], v[20:21] op_sel:[0,0,1] op_sel_hi:[1,0,0]
	v_pk_add_f32 v[18:19], v[18:19], v[46:47]
	v_mov_b32_e32 v23, v3
	v_pk_add_f32 v[2:3], v[18:19], v[22:23]
	v_mov_b32_e32 v18, v31
	v_pk_mul_f32 v[18:19], v[4:5], v[18:19] op_sel_hi:[1,0]
	v_pk_fma_f32 v[20:21], v[4:5], v[30:31], v[18:19] op_sel:[0,0,1] op_sel_hi:[1,1,0] neg_lo:[0,0,1] neg_hi:[0,0,1]
	v_pk_fma_f32 v[4:5], v[4:5], v[30:31], v[18:19] op_sel:[0,0,1] op_sel_hi:[1,0,0]
	v_mov_b32_e32 v4, v29
	v_mov_b32_e32 v21, v5
	s_waitcnt lgkmcnt(2)
	v_pk_mul_f32 v[4:5], v[6:7], v[4:5] op_sel_hi:[1,0]
	v_pk_fma_f32 v[18:19], v[6:7], v[28:29], v[4:5] op_sel:[0,0,1] op_sel_hi:[1,1,0] neg_lo:[0,0,1] neg_hi:[0,0,1]
	v_pk_fma_f32 v[4:5], v[6:7], v[28:29], v[4:5] op_sel:[0,0,1] op_sel_hi:[1,0,0]
	s_waitcnt vmcnt(3)
	v_mov_b32_e32 v4, v41
	v_mov_b32_e32 v19, v5
	v_pk_mul_f32 v[4:5], v[8:9], v[4:5] op_sel_hi:[1,0]
	s_waitcnt vmcnt(2)
	v_pk_fma_f32 v[6:7], v[8:9], v[40:41], v[4:5] op_sel:[0,0,1] op_sel_hi:[1,1,0] neg_lo:[0,0,1] neg_hi:[0,0,1]
	v_pk_fma_f32 v[4:5], v[8:9], v[40:41], v[4:5] op_sel:[0,0,1] op_sel_hi:[1,0,0]
	v_pk_add_f32 v[2:3], v[2:3], v[20:21]
	v_mov_b32_e32 v4, v39
	v_pk_add_f32 v[2:3], v[2:3], v[18:19]
	v_mov_b32_e32 v7, v5
	s_waitcnt lgkmcnt(1)
	v_pk_mul_f32 v[4:5], v[10:11], v[4:5] op_sel_hi:[1,0]
	v_pk_add_f32 v[2:3], v[2:3], v[6:7]
	v_pk_fma_f32 v[6:7], v[10:11], v[38:39], v[4:5] op_sel:[0,0,1] op_sel_hi:[1,1,0] neg_lo:[0,0,1] neg_hi:[0,0,1]
	v_pk_fma_f32 v[4:5], v[10:11], v[38:39], v[4:5] op_sel:[0,0,1] op_sel_hi:[1,0,0]
	v_mov_b32_e32 v4, v37
	v_mov_b32_e32 v7, v5
	v_pk_mul_f32 v[4:5], v[12:13], v[4:5] op_sel_hi:[1,0]
	v_pk_add_f32 v[2:3], v[2:3], v[6:7]
	v_pk_fma_f32 v[6:7], v[12:13], v[36:37], v[4:5] op_sel:[0,0,1] op_sel_hi:[1,1,0] neg_lo:[0,0,1] neg_hi:[0,0,1]
	v_pk_fma_f32 v[4:5], v[12:13], v[36:37], v[4:5] op_sel:[0,0,1] op_sel_hi:[1,0,0]
	v_mov_b32_e32 v4, v35
	v_mov_b32_e32 v7, v5
	s_waitcnt lgkmcnt(0)
	v_pk_mul_f32 v[4:5], v[14:15], v[4:5] op_sel_hi:[1,0]
	v_pk_add_f32 v[2:3], v[2:3], v[6:7]
	v_pk_fma_f32 v[6:7], v[14:15], v[34:35], v[4:5] op_sel:[0,0,1] op_sel_hi:[1,1,0] neg_lo:[0,0,1] neg_hi:[0,0,1]
	v_pk_fma_f32 v[4:5], v[14:15], v[34:35], v[4:5] op_sel:[0,0,1] op_sel_hi:[1,0,0]
	s_waitcnt vmcnt(1)
	v_mov_b32_e32 v4, v43
	v_mov_b32_e32 v7, v5
	v_pk_mul_f32 v[4:5], v[16:17], v[4:5] op_sel_hi:[1,0]
	v_pk_add_f32 v[2:3], v[2:3], v[6:7]
	s_waitcnt vmcnt(0)
	v_pk_fma_f32 v[6:7], v[16:17], v[42:43], v[4:5] op_sel:[0,0,1] op_sel_hi:[1,1,0] neg_lo:[0,0,1] neg_hi:[0,0,1]
	v_pk_fma_f32 v[4:5], v[16:17], v[42:43], v[4:5] op_sel:[0,0,1] op_sel_hi:[1,0,0]
	v_mov_b32_e32 v7, v5
	v_pk_add_f32 v[2:3], v[2:3], v[6:7]
	v_pk_add_f32 v[2:3], v[26:27], v[2:3] neg_lo:[0,1] neg_hi:[0,1]
	buffer_store_dword v3, off, s[0:3], 0 offset:308
	buffer_store_dword v2, off, s[0:3], 0 offset:304
	s_and_saveexec_b64 s[4:5], vcc
	s_cbranch_execz .LBB58_293
; %bb.292:
	buffer_load_dword v2, off, s[0:3], 0 offset:296
	buffer_load_dword v3, off, s[0:3], 0 offset:300
	v_mov_b32_e32 v1, 0
	buffer_store_dword v1, off, s[0:3], 0 offset:296
	buffer_store_dword v1, off, s[0:3], 0 offset:300
	s_waitcnt vmcnt(2)
	ds_write_b64 v187, v[2:3]
.LBB58_293:
	s_or_b64 exec, exec, s[4:5]
	s_waitcnt lgkmcnt(0)
	; wave barrier
	s_waitcnt lgkmcnt(0)
	buffer_load_dword v52, off, s[0:3], 0 offset:308
	buffer_load_dword v54, off, s[0:3], 0 offset:316
	;; [unrolled: 1-line block ×44, first 2 shown]
	v_mov_b32_e32 v1, 0
	ds_read_b128 v[2:5], v1 offset:784
	ds_read_b128 v[6:9], v1 offset:800
	;; [unrolled: 1-line block ×8, first 2 shown]
	v_cmp_lt_u32_e32 vcc, 36, v0
	s_waitcnt vmcnt(43) lgkmcnt(7)
	v_mul_f32_e32 v57, v2, v52
	s_waitcnt vmcnt(42)
	v_mul_f32_e32 v81, v4, v54
	s_waitcnt vmcnt(41) lgkmcnt(6)
	v_mul_f32_e32 v82, v6, v56
	v_mul_f32_e32 v52, v3, v52
	s_waitcnt vmcnt(40)
	v_mul_f32_e32 v83, v8, v58
	s_waitcnt vmcnt(39) lgkmcnt(5)
	v_mul_f32_e32 v84, v10, v59
	s_waitcnt vmcnt(38)
	v_mul_f32_e32 v85, v12, v60
	s_waitcnt vmcnt(37) lgkmcnt(4)
	;; [unrolled: 4-line block ×4, first 2 shown]
	v_mul_f32_e32 v90, v22, v65
	s_waitcnt vmcnt(32)
	v_mul_f32_e32 v53, v24, v66
	s_waitcnt vmcnt(30)
	v_fmac_f32_e32 v57, v3, v68
	s_waitcnt vmcnt(29)
	v_fmac_f32_e32 v81, v5, v69
	v_add_f32_e32 v3, 0, v57
	s_waitcnt vmcnt(28)
	v_fmac_f32_e32 v82, v7, v70
	v_add_f32_e32 v3, v3, v81
	;; [unrolled: 3-line block ×10, first 2 shown]
	v_add_f32_e32 v57, v3, v90
	v_fma_f32 v2, v2, v68, -v52
	v_mul_f32_e32 v3, v5, v54
	v_add_f32_e32 v2, 0, v2
	v_fma_f32 v3, v4, v69, -v3
	v_add_f32_e32 v2, v2, v3
	v_mul_f32_e32 v3, v7, v56
	v_fma_f32 v3, v6, v70, -v3
	v_add_f32_e32 v2, v2, v3
	v_mul_f32_e32 v3, v9, v58
	;; [unrolled: 3-line block ×9, first 2 shown]
	v_fma_f32 v3, v22, v78, -v3
	s_waitcnt vmcnt(13)
	v_mov_b32_e32 v14, v39
	v_add_f32_e32 v56, v2, v3
	v_mul_f32_e32 v2, v25, v66
	s_waitcnt lgkmcnt(1)
	v_pk_mul_f32 v[14:15], v[28:29], v[14:15] op_sel_hi:[1,0]
	v_mul_f32_e32 v55, v26, v67
	v_fmac_f32_e32 v53, v25, v79
	v_fma_f32 v52, v24, v79, -v2
	v_mul_f32_e32 v2, v27, v67
	s_waitcnt vmcnt(12)
	v_pk_fma_f32 v[16:17], v[28:29], v[38:39], v[14:15] op_sel:[0,0,1] op_sel_hi:[1,1,0] neg_lo:[0,0,1] neg_hi:[0,0,1]
	v_pk_fma_f32 v[14:15], v[28:29], v[38:39], v[14:15] op_sel:[0,0,1] op_sel_hi:[1,0,0]
	v_fmac_f32_e32 v55, v27, v80
	v_fma_f32 v54, v26, v80, -v2
	v_pk_add_f32 v[12:13], v[56:57], v[52:53]
	v_mov_b32_e32 v14, v37
	v_pk_add_f32 v[12:13], v[12:13], v[54:55]
	v_mov_b32_e32 v17, v15
	s_waitcnt lgkmcnt(0)
	v_pk_mul_f32 v[14:15], v[30:31], v[14:15] op_sel_hi:[1,0]
	v_pk_add_f32 v[12:13], v[12:13], v[16:17]
	v_pk_fma_f32 v[16:17], v[30:31], v[36:37], v[14:15] op_sel:[0,0,1] op_sel_hi:[1,1,0] neg_lo:[0,0,1] neg_hi:[0,0,1]
	v_pk_fma_f32 v[14:15], v[30:31], v[36:37], v[14:15] op_sel:[0,0,1] op_sel_hi:[1,0,0]
	s_waitcnt vmcnt(5)
	v_mov_b32_e32 v14, v47
	ds_read_b128 v[2:5], v1 offset:912
	ds_read_b128 v[6:9], v1 offset:928
	ds_read_b64 v[10:11], v1 offset:944
	v_mov_b32_e32 v17, v15
	v_pk_mul_f32 v[14:15], v[32:33], v[14:15] op_sel_hi:[1,0]
	v_pk_add_f32 v[12:13], v[12:13], v[16:17]
	s_waitcnt vmcnt(4)
	v_pk_fma_f32 v[16:17], v[32:33], v[46:47], v[14:15] op_sel:[0,0,1] op_sel_hi:[1,1,0] neg_lo:[0,0,1] neg_hi:[0,0,1]
	v_pk_fma_f32 v[14:15], v[32:33], v[46:47], v[14:15] op_sel:[0,0,1] op_sel_hi:[1,0,0]
	v_mov_b32_e32 v14, v45
	v_mov_b32_e32 v17, v15
	s_waitcnt lgkmcnt(2)
	v_pk_mul_f32 v[14:15], v[2:3], v[14:15] op_sel_hi:[1,0]
	v_pk_add_f32 v[12:13], v[12:13], v[16:17]
	v_pk_fma_f32 v[16:17], v[2:3], v[44:45], v[14:15] op_sel:[0,0,1] op_sel_hi:[1,1,0] neg_lo:[0,0,1] neg_hi:[0,0,1]
	v_pk_fma_f32 v[2:3], v[2:3], v[44:45], v[14:15] op_sel:[0,0,1] op_sel_hi:[1,0,0]
	v_mov_b32_e32 v17, v3
	v_pk_add_f32 v[2:3], v[12:13], v[16:17]
	v_mov_b32_e32 v12, v43
	v_pk_mul_f32 v[12:13], v[4:5], v[12:13] op_sel_hi:[1,0]
	v_pk_fma_f32 v[14:15], v[4:5], v[42:43], v[12:13] op_sel:[0,0,1] op_sel_hi:[1,1,0] neg_lo:[0,0,1] neg_hi:[0,0,1]
	v_pk_fma_f32 v[4:5], v[4:5], v[42:43], v[12:13] op_sel:[0,0,1] op_sel_hi:[1,0,0]
	v_mov_b32_e32 v4, v41
	v_mov_b32_e32 v15, v5
	s_waitcnt lgkmcnt(1)
	v_pk_mul_f32 v[4:5], v[6:7], v[4:5] op_sel_hi:[1,0]
	v_pk_fma_f32 v[12:13], v[6:7], v[40:41], v[4:5] op_sel:[0,0,1] op_sel_hi:[1,1,0] neg_lo:[0,0,1] neg_hi:[0,0,1]
	v_pk_fma_f32 v[4:5], v[6:7], v[40:41], v[4:5] op_sel:[0,0,1] op_sel_hi:[1,0,0]
	s_waitcnt vmcnt(1)
	v_mov_b32_e32 v4, v51
	v_mov_b32_e32 v13, v5
	v_pk_mul_f32 v[4:5], v[8:9], v[4:5] op_sel_hi:[1,0]
	s_waitcnt vmcnt(0)
	v_pk_fma_f32 v[6:7], v[8:9], v[50:51], v[4:5] op_sel:[0,0,1] op_sel_hi:[1,1,0] neg_lo:[0,0,1] neg_hi:[0,0,1]
	v_pk_fma_f32 v[4:5], v[8:9], v[50:51], v[4:5] op_sel:[0,0,1] op_sel_hi:[1,0,0]
	v_pk_add_f32 v[2:3], v[2:3], v[14:15]
	v_mov_b32_e32 v4, v49
	v_pk_add_f32 v[2:3], v[2:3], v[12:13]
	v_mov_b32_e32 v7, v5
	s_waitcnt lgkmcnt(0)
	v_pk_mul_f32 v[4:5], v[10:11], v[4:5] op_sel_hi:[1,0]
	v_pk_add_f32 v[2:3], v[2:3], v[6:7]
	v_pk_fma_f32 v[6:7], v[10:11], v[48:49], v[4:5] op_sel:[0,0,1] op_sel_hi:[1,1,0] neg_lo:[0,0,1] neg_hi:[0,0,1]
	v_pk_fma_f32 v[4:5], v[10:11], v[48:49], v[4:5] op_sel:[0,0,1] op_sel_hi:[1,0,0]
	v_mov_b32_e32 v7, v5
	v_pk_add_f32 v[2:3], v[2:3], v[6:7]
	v_pk_add_f32 v[2:3], v[34:35], v[2:3] neg_lo:[0,1] neg_hi:[0,1]
	buffer_store_dword v3, off, s[0:3], 0 offset:300
	buffer_store_dword v2, off, s[0:3], 0 offset:296
	s_and_saveexec_b64 s[4:5], vcc
	s_cbranch_execz .LBB58_295
; %bb.294:
	buffer_load_dword v2, off, s[0:3], 0 offset:288
	buffer_load_dword v3, off, s[0:3], 0 offset:292
	s_waitcnt vmcnt(0)
	ds_write_b64 v187, v[2:3]
	buffer_store_dword v1, off, s[0:3], 0 offset:288
	buffer_store_dword v1, off, s[0:3], 0 offset:292
.LBB58_295:
	s_or_b64 exec, exec, s[4:5]
	s_waitcnt lgkmcnt(0)
	; wave barrier
	s_waitcnt lgkmcnt(0)
	buffer_load_dword v52, off, s[0:3], 0 offset:300
	buffer_load_dword v54, off, s[0:3], 0 offset:308
	;; [unrolled: 1-line block ×30, first 2 shown]
	ds_read2_b64 v[2:5], v1 offset0:97 offset1:98
	ds_read2_b64 v[6:9], v1 offset0:99 offset1:100
	;; [unrolled: 1-line block ×6, first 2 shown]
	buffer_load_dword v37, off, s[0:3], 0 offset:412
	buffer_load_dword v36, off, s[0:3], 0 offset:408
	ds_read2_b64 v[26:29], v1 offset0:109 offset1:110
	ds_read2_b64 v[30:33], v1 offset0:111 offset1:112
	buffer_load_dword v39, off, s[0:3], 0 offset:444
	buffer_load_dword v38, off, s[0:3], 0 offset:440
	;; [unrolled: 1-line block ×14, first 2 shown]
	v_cmp_lt_u32_e32 vcc, 35, v0
	s_waitcnt vmcnt(45) lgkmcnt(7)
	v_mul_f32_e32 v55, v2, v52
	s_waitcnt vmcnt(44)
	v_mul_f32_e32 v57, v4, v54
	s_waitcnt vmcnt(43) lgkmcnt(6)
	v_mul_f32_e32 v83, v6, v56
	s_waitcnt vmcnt(42)
	v_mul_f32_e32 v84, v8, v58
	;; [unrolled: 4-line block ×6, first 2 shown]
	s_waitcnt vmcnt(33) lgkmcnt(1)
	v_mul_f32_e32 v53, v26, v67
	s_waitcnt vmcnt(32)
	v_fmac_f32_e32 v55, v3, v68
	v_mul_f32_e32 v3, v3, v52
	v_fma_f32 v2, v2, v68, -v3
	v_mul_f32_e32 v3, v5, v54
	v_add_f32_e32 v2, 0, v2
	s_waitcnt vmcnt(31)
	v_fma_f32 v3, v4, v69, -v3
	v_add_f32_e32 v2, v2, v3
	v_mul_f32_e32 v3, v7, v56
	s_waitcnt vmcnt(30)
	v_fma_f32 v3, v6, v70, -v3
	v_add_f32_e32 v2, v2, v3
	v_mul_f32_e32 v3, v9, v58
	;; [unrolled: 4-line block ×5, first 2 shown]
	s_waitcnt vmcnt(26)
	v_fma_f32 v3, v14, v74, -v3
	v_fmac_f32_e32 v57, v5, v69
	v_add_f32_e32 v55, 0, v55
	v_add_f32_e32 v2, v2, v3
	v_mul_f32_e32 v3, v17, v62
	v_fmac_f32_e32 v83, v7, v70
	v_add_f32_e32 v55, v55, v57
	s_waitcnt vmcnt(25)
	v_fma_f32 v3, v16, v75, -v3
	v_fmac_f32_e32 v84, v9, v71
	v_add_f32_e32 v55, v55, v83
	v_add_f32_e32 v2, v2, v3
	v_mul_f32_e32 v3, v19, v63
	v_fmac_f32_e32 v85, v11, v72
	v_add_f32_e32 v55, v55, v84
	;; [unrolled: 8-line block ×5, first 2 shown]
	s_waitcnt vmcnt(21)
	v_fma_f32 v3, v24, v79, -v3
	s_waitcnt vmcnt(15)
	v_mov_b32_e32 v16, v37
	v_fmac_f32_e32 v92, v25, v79
	v_add_f32_e32 v55, v55, v91
	v_add_f32_e32 v54, v2, v3
	v_mul_f32_e32 v2, v27, v67
	s_waitcnt lgkmcnt(0)
	v_pk_mul_f32 v[16:17], v[30:31], v[16:17] op_sel_hi:[1,0]
	v_fmac_f32_e32 v53, v27, v80
	v_add_f32_e32 v55, v55, v92
	v_mul_f32_e32 v57, v28, v81
	v_fma_f32 v52, v26, v80, -v2
	v_mul_f32_e32 v2, v29, v81
	s_waitcnt vmcnt(14)
	v_pk_fma_f32 v[18:19], v[30:31], v[36:37], v[16:17] op_sel:[0,0,1] op_sel_hi:[1,1,0] neg_lo:[0,0,1] neg_hi:[0,0,1]
	v_pk_fma_f32 v[16:17], v[30:31], v[36:37], v[16:17] op_sel:[0,0,1] op_sel_hi:[1,0,0]
	v_fmac_f32_e32 v57, v29, v82
	v_fma_f32 v56, v28, v82, -v2
	v_pk_add_f32 v[14:15], v[54:55], v[52:53]
	s_waitcnt vmcnt(7)
	v_mov_b32_e32 v16, v45
	ds_read2_b64 v[2:5], v1 offset0:113 offset1:114
	ds_read2_b64 v[6:9], v1 offset0:115 offset1:116
	;; [unrolled: 1-line block ×3, first 2 shown]
	v_pk_add_f32 v[14:15], v[14:15], v[56:57]
	v_mov_b32_e32 v19, v17
	v_pk_mul_f32 v[16:17], v[32:33], v[16:17] op_sel_hi:[1,0]
	v_pk_add_f32 v[14:15], v[14:15], v[18:19]
	s_waitcnt vmcnt(6)
	v_pk_fma_f32 v[18:19], v[32:33], v[44:45], v[16:17] op_sel:[0,0,1] op_sel_hi:[1,1,0] neg_lo:[0,0,1] neg_hi:[0,0,1]
	v_pk_fma_f32 v[16:17], v[32:33], v[44:45], v[16:17] op_sel:[0,0,1] op_sel_hi:[1,0,0]
	v_mov_b32_e32 v16, v43
	v_mov_b32_e32 v19, v17
	s_waitcnt lgkmcnt(2)
	v_pk_mul_f32 v[16:17], v[2:3], v[16:17] op_sel_hi:[1,0]
	v_pk_add_f32 v[14:15], v[14:15], v[18:19]
	v_pk_fma_f32 v[18:19], v[2:3], v[42:43], v[16:17] op_sel:[0,0,1] op_sel_hi:[1,1,0] neg_lo:[0,0,1] neg_hi:[0,0,1]
	v_pk_fma_f32 v[2:3], v[2:3], v[42:43], v[16:17] op_sel:[0,0,1] op_sel_hi:[1,0,0]
	v_mov_b32_e32 v19, v3
	v_pk_add_f32 v[2:3], v[14:15], v[18:19]
	v_mov_b32_e32 v14, v41
	v_pk_mul_f32 v[14:15], v[4:5], v[14:15] op_sel_hi:[1,0]
	v_pk_fma_f32 v[16:17], v[4:5], v[40:41], v[14:15] op_sel:[0,0,1] op_sel_hi:[1,1,0] neg_lo:[0,0,1] neg_hi:[0,0,1]
	v_pk_fma_f32 v[4:5], v[4:5], v[40:41], v[14:15] op_sel:[0,0,1] op_sel_hi:[1,0,0]
	v_mov_b32_e32 v4, v39
	v_mov_b32_e32 v17, v5
	s_waitcnt lgkmcnt(1)
	v_pk_mul_f32 v[4:5], v[6:7], v[4:5] op_sel_hi:[1,0]
	v_pk_fma_f32 v[14:15], v[6:7], v[38:39], v[4:5] op_sel:[0,0,1] op_sel_hi:[1,1,0] neg_lo:[0,0,1] neg_hi:[0,0,1]
	v_pk_fma_f32 v[4:5], v[6:7], v[38:39], v[4:5] op_sel:[0,0,1] op_sel_hi:[1,0,0]
	s_waitcnt vmcnt(1)
	v_mov_b32_e32 v4, v51
	v_mov_b32_e32 v15, v5
	v_pk_mul_f32 v[4:5], v[8:9], v[4:5] op_sel_hi:[1,0]
	s_waitcnt vmcnt(0)
	v_pk_fma_f32 v[6:7], v[8:9], v[50:51], v[4:5] op_sel:[0,0,1] op_sel_hi:[1,1,0] neg_lo:[0,0,1] neg_hi:[0,0,1]
	v_pk_fma_f32 v[4:5], v[8:9], v[50:51], v[4:5] op_sel:[0,0,1] op_sel_hi:[1,0,0]
	v_pk_add_f32 v[2:3], v[2:3], v[16:17]
	v_mov_b32_e32 v4, v49
	v_pk_add_f32 v[2:3], v[2:3], v[14:15]
	v_mov_b32_e32 v7, v5
	s_waitcnt lgkmcnt(0)
	v_pk_mul_f32 v[4:5], v[10:11], v[4:5] op_sel_hi:[1,0]
	v_pk_add_f32 v[2:3], v[2:3], v[6:7]
	v_pk_fma_f32 v[6:7], v[10:11], v[48:49], v[4:5] op_sel:[0,0,1] op_sel_hi:[1,1,0] neg_lo:[0,0,1] neg_hi:[0,0,1]
	v_pk_fma_f32 v[4:5], v[10:11], v[48:49], v[4:5] op_sel:[0,0,1] op_sel_hi:[1,0,0]
	v_mov_b32_e32 v4, v47
	v_mov_b32_e32 v7, v5
	v_pk_mul_f32 v[4:5], v[12:13], v[4:5] op_sel_hi:[1,0]
	v_pk_add_f32 v[2:3], v[2:3], v[6:7]
	v_pk_fma_f32 v[6:7], v[12:13], v[46:47], v[4:5] op_sel:[0,0,1] op_sel_hi:[1,1,0] neg_lo:[0,0,1] neg_hi:[0,0,1]
	v_pk_fma_f32 v[4:5], v[12:13], v[46:47], v[4:5] op_sel:[0,0,1] op_sel_hi:[1,0,0]
	v_mov_b32_e32 v7, v5
	v_pk_add_f32 v[2:3], v[2:3], v[6:7]
	v_pk_add_f32 v[2:3], v[34:35], v[2:3] neg_lo:[0,1] neg_hi:[0,1]
	buffer_store_dword v3, off, s[0:3], 0 offset:292
	buffer_store_dword v2, off, s[0:3], 0 offset:288
	s_and_saveexec_b64 s[4:5], vcc
	s_cbranch_execz .LBB58_297
; %bb.296:
	buffer_load_dword v2, off, s[0:3], 0 offset:280
	buffer_load_dword v3, off, s[0:3], 0 offset:284
	v_mov_b32_e32 v1, 0
	buffer_store_dword v1, off, s[0:3], 0 offset:280
	buffer_store_dword v1, off, s[0:3], 0 offset:284
	s_waitcnt vmcnt(2)
	ds_write_b64 v187, v[2:3]
.LBB58_297:
	s_or_b64 exec, exec, s[4:5]
	s_waitcnt lgkmcnt(0)
	; wave barrier
	s_waitcnt lgkmcnt(0)
	buffer_load_dword v50, off, s[0:3], 0 offset:292
	buffer_load_dword v54, off, s[0:3], 0 offset:300
	;; [unrolled: 1-line block ×32, first 2 shown]
	v_mov_b32_e32 v1, 0
	buffer_load_dword v37, off, s[0:3], 0 offset:436
	buffer_load_dword v36, off, s[0:3], 0 offset:432
	buffer_load_dword v39, off, s[0:3], 0 offset:428
	buffer_load_dword v38, off, s[0:3], 0 offset:424
	buffer_load_dword v41, off, s[0:3], 0 offset:420
	buffer_load_dword v40, off, s[0:3], 0 offset:416
	buffer_load_dword v43, off, s[0:3], 0 offset:412
	buffer_load_dword v42, off, s[0:3], 0 offset:408
	buffer_load_dword v45, off, s[0:3], 0 offset:444
	buffer_load_dword v47, off, s[0:3], 0 offset:468
	buffer_load_dword v46, off, s[0:3], 0 offset:464
	buffer_load_dword v49, off, s[0:3], 0 offset:460
	buffer_load_dword v48, off, s[0:3], 0 offset:456
	ds_read_b128 v[2:5], v1 offset:768
	ds_read_b128 v[6:9], v1 offset:784
	;; [unrolled: 1-line block ×8, first 2 shown]
	v_cmp_lt_u32_e32 vcc, 34, v0
	s_waitcnt vmcnt(44) lgkmcnt(7)
	v_mul_f32_e32 v44, v2, v50
	s_waitcnt vmcnt(43)
	v_mul_f32_e32 v51, v4, v54
	s_waitcnt vmcnt(42) lgkmcnt(6)
	v_mul_f32_e32 v52, v6, v56
	s_waitcnt vmcnt(41)
	v_mul_f32_e32 v53, v8, v58
	;; [unrolled: 4-line block ×6, first 2 shown]
	s_waitcnt vmcnt(32) lgkmcnt(1)
	v_mul_f32_e32 v91, v26, v67
	s_waitcnt vmcnt(31)
	v_fmac_f32_e32 v44, v3, v68
	s_waitcnt vmcnt(30)
	v_fmac_f32_e32 v51, v5, v69
	v_add_f32_e32 v44, 0, v44
	s_waitcnt vmcnt(29)
	v_fmac_f32_e32 v52, v7, v70
	v_add_f32_e32 v44, v44, v51
	;; [unrolled: 3-line block ×12, first 2 shown]
	v_add_f32_e32 v51, v44, v91
	buffer_load_dword v53, off, s[0:3], 0 offset:452
	buffer_load_dword v52, off, s[0:3], 0 offset:448
	;; [unrolled: 1-line block ×3, first 2 shown]
	v_mul_f32_e32 v3, v3, v50
	v_fma_f32 v2, v2, v68, -v3
	v_mul_f32_e32 v3, v5, v54
	v_add_f32_e32 v2, 0, v2
	v_fma_f32 v3, v4, v69, -v3
	v_add_f32_e32 v2, v2, v3
	v_mul_f32_e32 v3, v7, v56
	v_fma_f32 v3, v6, v70, -v3
	v_add_f32_e32 v2, v2, v3
	v_mul_f32_e32 v3, v9, v58
	;; [unrolled: 3-line block ×11, first 2 shown]
	v_fma_f32 v3, v26, v80, -v3
	v_add_f32_e32 v50, v2, v3
	s_waitcnt vmcnt(21)
	v_mul_f32_e32 v2, v29, v81
	s_waitcnt vmcnt(9)
	v_mov_b32_e32 v18, v43
	v_mul_f32_e32 v55, v28, v81
	v_fma_f32 v54, v28, v82, -v2
	s_waitcnt lgkmcnt(0)
	v_mul_f32_e32 v2, v31, v83
	v_pk_mul_f32 v[18:19], v[32:33], v[18:19] op_sel_hi:[1,0]
	v_fmac_f32_e32 v55, v29, v82
	v_mul_f32_e32 v57, v30, v83
	v_fma_f32 v56, v30, v84, -v2
	ds_read_b128 v[2:5], v1 offset:896
	ds_read_b128 v[6:9], v1 offset:912
	;; [unrolled: 1-line block ×3, first 2 shown]
	ds_read_b64 v[14:15], v1 offset:944
	s_waitcnt vmcnt(8)
	v_pk_fma_f32 v[20:21], v[32:33], v[42:43], v[18:19] op_sel:[0,0,1] op_sel_hi:[1,1,0] neg_lo:[0,0,1] neg_hi:[0,0,1]
	v_pk_fma_f32 v[18:19], v[32:33], v[42:43], v[18:19] op_sel:[0,0,1] op_sel_hi:[1,0,0]
	v_fmac_f32_e32 v57, v31, v84
	v_pk_add_f32 v[16:17], v[50:51], v[54:55]
	v_mov_b32_e32 v18, v41
	v_pk_add_f32 v[16:17], v[16:17], v[56:57]
	v_mov_b32_e32 v21, v19
	s_waitcnt lgkmcnt(3)
	v_pk_mul_f32 v[18:19], v[2:3], v[18:19] op_sel_hi:[1,0]
	v_pk_add_f32 v[16:17], v[16:17], v[20:21]
	v_pk_fma_f32 v[20:21], v[2:3], v[40:41], v[18:19] op_sel:[0,0,1] op_sel_hi:[1,1,0] neg_lo:[0,0,1] neg_hi:[0,0,1]
	v_pk_fma_f32 v[2:3], v[2:3], v[40:41], v[18:19] op_sel:[0,0,1] op_sel_hi:[1,0,0]
	v_mov_b32_e32 v21, v3
	v_pk_add_f32 v[2:3], v[16:17], v[20:21]
	v_mov_b32_e32 v16, v39
	v_pk_mul_f32 v[16:17], v[4:5], v[16:17] op_sel_hi:[1,0]
	v_pk_fma_f32 v[18:19], v[4:5], v[38:39], v[16:17] op_sel:[0,0,1] op_sel_hi:[1,1,0] neg_lo:[0,0,1] neg_hi:[0,0,1]
	v_pk_fma_f32 v[4:5], v[4:5], v[38:39], v[16:17] op_sel:[0,0,1] op_sel_hi:[1,0,0]
	v_mov_b32_e32 v4, v37
	v_mov_b32_e32 v19, v5
	s_waitcnt lgkmcnt(2)
	v_pk_mul_f32 v[4:5], v[6:7], v[4:5] op_sel_hi:[1,0]
	v_pk_fma_f32 v[16:17], v[6:7], v[36:37], v[4:5] op_sel:[0,0,1] op_sel_hi:[1,1,0] neg_lo:[0,0,1] neg_hi:[0,0,1]
	v_pk_fma_f32 v[4:5], v[6:7], v[36:37], v[4:5] op_sel:[0,0,1] op_sel_hi:[1,0,0]
	s_waitcnt vmcnt(7)
	v_mov_b32_e32 v4, v45
	v_mov_b32_e32 v17, v5
	v_pk_mul_f32 v[4:5], v[8:9], v[4:5] op_sel_hi:[1,0]
	v_pk_add_f32 v[2:3], v[2:3], v[18:19]
	v_pk_add_f32 v[2:3], v[2:3], v[16:17]
	s_waitcnt vmcnt(0)
	v_pk_fma_f32 v[6:7], v[8:9], v[44:45], v[4:5] op_sel:[0,0,1] op_sel_hi:[1,1,0] neg_lo:[0,0,1] neg_hi:[0,0,1]
	v_pk_fma_f32 v[4:5], v[8:9], v[44:45], v[4:5] op_sel:[0,0,1] op_sel_hi:[1,0,0]
	v_mov_b32_e32 v4, v53
	v_mov_b32_e32 v7, v5
	s_waitcnt lgkmcnt(1)
	v_pk_mul_f32 v[4:5], v[10:11], v[4:5] op_sel_hi:[1,0]
	v_pk_add_f32 v[2:3], v[2:3], v[6:7]
	v_pk_fma_f32 v[6:7], v[10:11], v[52:53], v[4:5] op_sel:[0,0,1] op_sel_hi:[1,1,0] neg_lo:[0,0,1] neg_hi:[0,0,1]
	v_pk_fma_f32 v[4:5], v[10:11], v[52:53], v[4:5] op_sel:[0,0,1] op_sel_hi:[1,0,0]
	v_mov_b32_e32 v4, v49
	v_mov_b32_e32 v7, v5
	v_pk_mul_f32 v[4:5], v[12:13], v[4:5] op_sel_hi:[1,0]
	v_pk_add_f32 v[2:3], v[2:3], v[6:7]
	v_pk_fma_f32 v[6:7], v[12:13], v[48:49], v[4:5] op_sel:[0,0,1] op_sel_hi:[1,1,0] neg_lo:[0,0,1] neg_hi:[0,0,1]
	v_pk_fma_f32 v[4:5], v[12:13], v[48:49], v[4:5] op_sel:[0,0,1] op_sel_hi:[1,0,0]
	v_mov_b32_e32 v4, v47
	v_mov_b32_e32 v7, v5
	s_waitcnt lgkmcnt(0)
	v_pk_mul_f32 v[4:5], v[14:15], v[4:5] op_sel_hi:[1,0]
	v_pk_add_f32 v[2:3], v[2:3], v[6:7]
	v_pk_fma_f32 v[6:7], v[14:15], v[46:47], v[4:5] op_sel:[0,0,1] op_sel_hi:[1,1,0] neg_lo:[0,0,1] neg_hi:[0,0,1]
	v_pk_fma_f32 v[4:5], v[14:15], v[46:47], v[4:5] op_sel:[0,0,1] op_sel_hi:[1,0,0]
	v_mov_b32_e32 v7, v5
	v_pk_add_f32 v[2:3], v[2:3], v[6:7]
	v_pk_add_f32 v[2:3], v[34:35], v[2:3] neg_lo:[0,1] neg_hi:[0,1]
	buffer_store_dword v3, off, s[0:3], 0 offset:284
	buffer_store_dword v2, off, s[0:3], 0 offset:280
	s_and_saveexec_b64 s[4:5], vcc
	s_cbranch_execz .LBB58_299
; %bb.298:
	buffer_load_dword v2, off, s[0:3], 0 offset:272
	buffer_load_dword v3, off, s[0:3], 0 offset:276
	s_waitcnt vmcnt(0)
	ds_write_b64 v187, v[2:3]
	buffer_store_dword v1, off, s[0:3], 0 offset:272
	buffer_store_dword v1, off, s[0:3], 0 offset:276
.LBB58_299:
	s_or_b64 exec, exec, s[4:5]
	s_waitcnt lgkmcnt(0)
	; wave barrier
	s_waitcnt lgkmcnt(0)
	buffer_load_dword v50, off, s[0:3], 0 offset:284
	buffer_load_dword v52, off, s[0:3], 0 offset:292
	;; [unrolled: 1-line block ×34, first 2 shown]
	ds_read2_b64 v[2:5], v1 offset0:95 offset1:96
	ds_read2_b64 v[6:9], v1 offset0:97 offset1:98
	;; [unrolled: 1-line block ×8, first 2 shown]
	buffer_load_dword v37, off, s[0:3], 0 offset:428
	buffer_load_dword v36, off, s[0:3], 0 offset:424
	;; [unrolled: 1-line block ×9, first 2 shown]
	v_cmp_lt_u32_e32 vcc, 33, v0
	s_waitcnt vmcnt(42) lgkmcnt(7)
	v_mul_f32_e32 v42, v2, v50
	s_waitcnt vmcnt(41)
	v_mul_f32_e32 v46, v4, v52
	s_waitcnt vmcnt(40) lgkmcnt(6)
	v_mul_f32_e32 v47, v6, v54
	s_waitcnt vmcnt(39)
	v_mul_f32_e32 v48, v8, v58
	;; [unrolled: 4-line block ×7, first 2 shown]
	s_waitcnt vmcnt(28)
	v_fmac_f32_e32 v42, v3, v69
	s_waitcnt vmcnt(27)
	v_fmac_f32_e32 v46, v5, v70
	v_add_f32_e32 v42, 0, v42
	s_waitcnt vmcnt(26)
	v_fmac_f32_e32 v47, v7, v71
	v_add_f32_e32 v42, v42, v46
	;; [unrolled: 3-line block ×12, first 2 shown]
	v_add_f32_e32 v51, v42, v89
	buffer_load_dword v47, off, s[0:3], 0 offset:452
	buffer_load_dword v46, off, s[0:3], 0 offset:448
	;; [unrolled: 1-line block ×7, first 2 shown]
	v_mul_f32_e32 v3, v3, v50
	v_fma_f32 v2, v2, v69, -v3
	v_mul_f32_e32 v3, v5, v52
	v_add_f32_e32 v2, 0, v2
	v_fma_f32 v3, v4, v70, -v3
	v_add_f32_e32 v2, v2, v3
	v_mul_f32_e32 v3, v7, v54
	v_fma_f32 v3, v6, v71, -v3
	v_add_f32_e32 v2, v2, v3
	v_mul_f32_e32 v3, v9, v58
	;; [unrolled: 3-line block ×12, first 2 shown]
	s_waitcnt vmcnt(22)
	v_fma_f32 v3, v28, v82, -v3
	v_add_f32_e32 v50, v2, v3
	s_waitcnt vmcnt(21) lgkmcnt(0)
	v_mul_f32_e32 v2, v31, v83
	s_waitcnt vmcnt(20)
	v_fma_f32 v52, v30, v84, -v2
	s_waitcnt vmcnt(19)
	v_mul_f32_e32 v2, v33, v85
	s_waitcnt vmcnt(18)
	v_fma_f32 v54, v32, v86, -v2
	ds_read2_b64 v[2:5], v1 offset0:111 offset1:112
	ds_read2_b64 v[6:9], v1 offset0:113 offset1:114
	;; [unrolled: 1-line block ×4, first 2 shown]
	v_fmac_f32_e32 v90, v29, v82
	v_mul_f32_e32 v53, v30, v83
	s_waitcnt vmcnt(11)
	v_mov_b32_e32 v20, v41
	v_add_f32_e32 v51, v51, v90
	v_fmac_f32_e32 v53, v31, v84
	v_mul_f32_e32 v55, v32, v85
	s_waitcnt lgkmcnt(3)
	v_pk_mul_f32 v[20:21], v[2:3], v[20:21] op_sel_hi:[1,0]
	v_fmac_f32_e32 v55, v33, v86
	v_pk_add_f32 v[18:19], v[50:51], v[52:53]
	s_waitcnt vmcnt(10)
	v_pk_fma_f32 v[22:23], v[2:3], v[40:41], v[20:21] op_sel:[0,0,1] op_sel_hi:[1,1,0] neg_lo:[0,0,1] neg_hi:[0,0,1]
	v_pk_fma_f32 v[2:3], v[2:3], v[40:41], v[20:21] op_sel:[0,0,1] op_sel_hi:[1,0,0]
	v_pk_add_f32 v[18:19], v[18:19], v[54:55]
	v_mov_b32_e32 v23, v3
	v_pk_add_f32 v[2:3], v[18:19], v[22:23]
	v_mov_b32_e32 v18, v39
	v_pk_mul_f32 v[18:19], v[4:5], v[18:19] op_sel_hi:[1,0]
	v_pk_fma_f32 v[20:21], v[4:5], v[38:39], v[18:19] op_sel:[0,0,1] op_sel_hi:[1,1,0] neg_lo:[0,0,1] neg_hi:[0,0,1]
	v_pk_fma_f32 v[4:5], v[4:5], v[38:39], v[18:19] op_sel:[0,0,1] op_sel_hi:[1,0,0]
	v_mov_b32_e32 v4, v37
	v_mov_b32_e32 v21, v5
	s_waitcnt lgkmcnt(2)
	v_pk_mul_f32 v[4:5], v[6:7], v[4:5] op_sel_hi:[1,0]
	v_pk_fma_f32 v[18:19], v[6:7], v[36:37], v[4:5] op_sel:[0,0,1] op_sel_hi:[1,1,0] neg_lo:[0,0,1] neg_hi:[0,0,1]
	v_pk_fma_f32 v[4:5], v[6:7], v[36:37], v[4:5] op_sel:[0,0,1] op_sel_hi:[1,0,0]
	s_waitcnt vmcnt(9)
	v_mov_b32_e32 v4, v43
	v_mov_b32_e32 v19, v5
	v_pk_mul_f32 v[4:5], v[8:9], v[4:5] op_sel_hi:[1,0]
	v_pk_add_f32 v[2:3], v[2:3], v[20:21]
	v_pk_add_f32 v[2:3], v[2:3], v[18:19]
	s_waitcnt vmcnt(2)
	v_pk_fma_f32 v[6:7], v[8:9], v[42:43], v[4:5] op_sel:[0,0,1] op_sel_hi:[1,1,0] neg_lo:[0,0,1] neg_hi:[0,0,1]
	v_pk_fma_f32 v[4:5], v[8:9], v[42:43], v[4:5] op_sel:[0,0,1] op_sel_hi:[1,0,0]
	v_mov_b32_e32 v4, v49
	v_mov_b32_e32 v7, v5
	s_waitcnt lgkmcnt(1)
	v_pk_mul_f32 v[4:5], v[10:11], v[4:5] op_sel_hi:[1,0]
	v_pk_add_f32 v[2:3], v[2:3], v[6:7]
	v_pk_fma_f32 v[6:7], v[10:11], v[48:49], v[4:5] op_sel:[0,0,1] op_sel_hi:[1,1,0] neg_lo:[0,0,1] neg_hi:[0,0,1]
	v_pk_fma_f32 v[4:5], v[10:11], v[48:49], v[4:5] op_sel:[0,0,1] op_sel_hi:[1,0,0]
	v_mov_b32_e32 v4, v47
	v_mov_b32_e32 v7, v5
	v_pk_mul_f32 v[4:5], v[12:13], v[4:5] op_sel_hi:[1,0]
	v_pk_add_f32 v[2:3], v[2:3], v[6:7]
	v_pk_fma_f32 v[6:7], v[12:13], v[46:47], v[4:5] op_sel:[0,0,1] op_sel_hi:[1,1,0] neg_lo:[0,0,1] neg_hi:[0,0,1]
	v_pk_fma_f32 v[4:5], v[12:13], v[46:47], v[4:5] op_sel:[0,0,1] op_sel_hi:[1,0,0]
	v_mov_b32_e32 v4, v45
	v_mov_b32_e32 v7, v5
	s_waitcnt lgkmcnt(0)
	v_pk_mul_f32 v[4:5], v[14:15], v[4:5] op_sel_hi:[1,0]
	v_pk_add_f32 v[2:3], v[2:3], v[6:7]
	v_pk_fma_f32 v[6:7], v[14:15], v[44:45], v[4:5] op_sel:[0,0,1] op_sel_hi:[1,1,0] neg_lo:[0,0,1] neg_hi:[0,0,1]
	v_pk_fma_f32 v[4:5], v[14:15], v[44:45], v[4:5] op_sel:[0,0,1] op_sel_hi:[1,0,0]
	s_waitcnt vmcnt(1)
	v_mov_b32_e32 v4, v57
	v_mov_b32_e32 v7, v5
	v_pk_mul_f32 v[4:5], v[16:17], v[4:5] op_sel_hi:[1,0]
	v_pk_add_f32 v[2:3], v[2:3], v[6:7]
	s_waitcnt vmcnt(0)
	v_pk_fma_f32 v[6:7], v[16:17], v[56:57], v[4:5] op_sel:[0,0,1] op_sel_hi:[1,1,0] neg_lo:[0,0,1] neg_hi:[0,0,1]
	v_pk_fma_f32 v[4:5], v[16:17], v[56:57], v[4:5] op_sel:[0,0,1] op_sel_hi:[1,0,0]
	v_mov_b32_e32 v7, v5
	v_pk_add_f32 v[2:3], v[2:3], v[6:7]
	v_pk_add_f32 v[2:3], v[34:35], v[2:3] neg_lo:[0,1] neg_hi:[0,1]
	buffer_store_dword v3, off, s[0:3], 0 offset:276
	buffer_store_dword v2, off, s[0:3], 0 offset:272
	s_and_saveexec_b64 s[4:5], vcc
	s_cbranch_execz .LBB58_301
; %bb.300:
	buffer_load_dword v2, off, s[0:3], 0 offset:264
	buffer_load_dword v3, off, s[0:3], 0 offset:268
	v_mov_b32_e32 v1, 0
	buffer_store_dword v1, off, s[0:3], 0 offset:264
	buffer_store_dword v1, off, s[0:3], 0 offset:268
	s_waitcnt vmcnt(2)
	ds_write_b64 v187, v[2:3]
.LBB58_301:
	s_or_b64 exec, exec, s[4:5]
	s_waitcnt lgkmcnt(0)
	; wave barrier
	s_waitcnt lgkmcnt(0)
	buffer_load_dword v56, off, s[0:3], 0 offset:276
	buffer_load_dword v58, off, s[0:3], 0 offset:284
	;; [unrolled: 1-line block ×36, first 2 shown]
	v_mov_b32_e32 v1, 0
	buffer_load_dword v45, off, s[0:3], 0 offset:420
	buffer_load_dword v44, off, s[0:3], 0 offset:416
	;; [unrolled: 1-line block ×5, first 2 shown]
	ds_read_b128 v[4:7], v1 offset:752
	ds_read_b128 v[8:11], v1 offset:768
	;; [unrolled: 1-line block ×8, first 2 shown]
	v_cmp_lt_u32_e32 vcc, 32, v0
	s_waitcnt vmcnt(40) lgkmcnt(7)
	v_mul_f32_e32 v36, v4, v56
	s_waitcnt vmcnt(39)
	v_mul_f32_e32 v37, v6, v58
	s_waitcnt vmcnt(38) lgkmcnt(6)
	v_mul_f32_e32 v38, v8, v60
	s_waitcnt vmcnt(37)
	v_mul_f32_e32 v39, v10, v66
	;; [unrolled: 4-line block ×7, first 2 shown]
	s_waitcnt vmcnt(26) lgkmcnt(0)
	v_mul_f32_e32 v57, v32, v77
	s_waitcnt vmcnt(25)
	v_fmac_f32_e32 v36, v5, v78
	s_waitcnt vmcnt(24)
	v_fmac_f32_e32 v37, v7, v79
	v_add_f32_e32 v36, 0, v36
	s_waitcnt vmcnt(23)
	v_fmac_f32_e32 v38, v9, v80
	v_add_f32_e32 v36, v36, v37
	;; [unrolled: 3-line block ×13, first 2 shown]
	v_add_f32_e32 v40, v36, v54
	buffer_load_dword v51, off, s[0:3], 0 offset:452
	buffer_load_dword v50, off, s[0:3], 0 offset:448
	;; [unrolled: 1-line block ×7, first 2 shown]
	s_waitcnt vmcnt(18)
	v_fmac_f32_e32 v57, v33, v92
	ds_read_b128 v[36:39], v1 offset:880
	v_add_f32_e32 v57, v40, v57
	ds_read_b128 v[40:43], v1 offset:896
	buffer_load_dword v63, off, s[0:3], 0 offset:468
	buffer_load_dword v62, off, s[0:3], 0 offset:464
	;; [unrolled: 1-line block ×4, first 2 shown]
	v_mul_f32_e32 v5, v5, v56
	v_fma_f32 v4, v4, v78, -v5
	v_mul_f32_e32 v5, v7, v58
	v_add_f32_e32 v4, 0, v4
	v_fma_f32 v5, v6, v79, -v5
	v_add_f32_e32 v4, v4, v5
	v_mul_f32_e32 v5, v9, v60
	v_fma_f32 v5, v8, v80, -v5
	v_add_f32_e32 v4, v4, v5
	v_mul_f32_e32 v5, v11, v66
	;; [unrolled: 3-line block ×13, first 2 shown]
	v_fma_f32 v5, v32, v92, -v5
	s_waitcnt vmcnt(13)
	v_mov_b32_e32 v16, v47
	v_mul_f32_e32 v59, v34, v93
	v_add_f32_e32 v56, v4, v5
	v_mul_f32_e32 v4, v35, v93
	s_waitcnt lgkmcnt(1)
	v_pk_mul_f32 v[16:17], v[38:39], v[16:17] op_sel_hi:[1,0]
	v_fmac_f32_e32 v59, v35, v94
	v_mul_f32_e32 v61, v36, v95
	v_fma_f32 v58, v34, v94, -v4
	v_mul_f32_e32 v4, v37, v95
	s_waitcnt vmcnt(12)
	v_pk_fma_f32 v[18:19], v[38:39], v[46:47], v[16:17] op_sel:[0,0,1] op_sel_hi:[1,1,0] neg_lo:[0,0,1] neg_hi:[0,0,1]
	v_pk_fma_f32 v[16:17], v[38:39], v[46:47], v[16:17] op_sel:[0,0,1] op_sel_hi:[1,0,0]
	v_fmac_f32_e32 v61, v37, v96
	v_fma_f32 v60, v36, v96, -v4
	v_pk_add_f32 v[14:15], v[56:57], v[58:59]
	v_mov_b32_e32 v16, v45
	v_pk_add_f32 v[14:15], v[14:15], v[60:61]
	v_mov_b32_e32 v19, v17
	s_waitcnt lgkmcnt(0)
	v_pk_mul_f32 v[16:17], v[40:41], v[16:17] op_sel_hi:[1,0]
	v_pk_add_f32 v[14:15], v[14:15], v[18:19]
	v_pk_fma_f32 v[18:19], v[40:41], v[44:45], v[16:17] op_sel:[0,0,1] op_sel_hi:[1,1,0] neg_lo:[0,0,1] neg_hi:[0,0,1]
	v_pk_fma_f32 v[16:17], v[40:41], v[44:45], v[16:17] op_sel:[0,0,1] op_sel_hi:[1,0,0]
	s_waitcnt vmcnt(11)
	v_mov_b32_e32 v16, v49
	ds_read_b128 v[4:7], v1 offset:912
	ds_read_b128 v[8:11], v1 offset:928
	ds_read_b64 v[12:13], v1 offset:944
	v_mov_b32_e32 v19, v17
	v_pk_mul_f32 v[16:17], v[42:43], v[16:17] op_sel_hi:[1,0]
	v_pk_add_f32 v[14:15], v[14:15], v[18:19]
	s_waitcnt vmcnt(4)
	v_pk_fma_f32 v[18:19], v[42:43], v[48:49], v[16:17] op_sel:[0,0,1] op_sel_hi:[1,1,0] neg_lo:[0,0,1] neg_hi:[0,0,1]
	v_pk_fma_f32 v[16:17], v[42:43], v[48:49], v[16:17] op_sel:[0,0,1] op_sel_hi:[1,0,0]
	v_mov_b32_e32 v16, v55
	v_mov_b32_e32 v19, v17
	s_waitcnt lgkmcnt(2)
	v_pk_mul_f32 v[16:17], v[4:5], v[16:17] op_sel_hi:[1,0]
	v_pk_add_f32 v[14:15], v[14:15], v[18:19]
	v_pk_fma_f32 v[18:19], v[4:5], v[54:55], v[16:17] op_sel:[0,0,1] op_sel_hi:[1,1,0] neg_lo:[0,0,1] neg_hi:[0,0,1]
	v_pk_fma_f32 v[4:5], v[4:5], v[54:55], v[16:17] op_sel:[0,0,1] op_sel_hi:[1,0,0]
	v_mov_b32_e32 v19, v5
	v_pk_add_f32 v[4:5], v[14:15], v[18:19]
	v_mov_b32_e32 v14, v53
	v_pk_mul_f32 v[14:15], v[6:7], v[14:15] op_sel_hi:[1,0]
	v_pk_fma_f32 v[16:17], v[6:7], v[52:53], v[14:15] op_sel:[0,0,1] op_sel_hi:[1,1,0] neg_lo:[0,0,1] neg_hi:[0,0,1]
	v_pk_fma_f32 v[6:7], v[6:7], v[52:53], v[14:15] op_sel:[0,0,1] op_sel_hi:[1,0,0]
	v_mov_b32_e32 v6, v51
	v_mov_b32_e32 v17, v7
	s_waitcnt lgkmcnt(1)
	v_pk_mul_f32 v[6:7], v[8:9], v[6:7] op_sel_hi:[1,0]
	v_pk_fma_f32 v[14:15], v[8:9], v[50:51], v[6:7] op_sel:[0,0,1] op_sel_hi:[1,1,0] neg_lo:[0,0,1] neg_hi:[0,0,1]
	v_pk_fma_f32 v[6:7], v[8:9], v[50:51], v[6:7] op_sel:[0,0,1] op_sel_hi:[1,0,0]
	s_waitcnt vmcnt(1)
	v_mov_b32_e32 v6, v65
	v_mov_b32_e32 v15, v7
	v_pk_mul_f32 v[6:7], v[10:11], v[6:7] op_sel_hi:[1,0]
	s_waitcnt vmcnt(0)
	v_pk_fma_f32 v[8:9], v[10:11], v[64:65], v[6:7] op_sel:[0,0,1] op_sel_hi:[1,1,0] neg_lo:[0,0,1] neg_hi:[0,0,1]
	v_pk_fma_f32 v[6:7], v[10:11], v[64:65], v[6:7] op_sel:[0,0,1] op_sel_hi:[1,0,0]
	v_pk_add_f32 v[4:5], v[4:5], v[16:17]
	v_mov_b32_e32 v6, v63
	v_pk_add_f32 v[4:5], v[4:5], v[14:15]
	v_mov_b32_e32 v9, v7
	s_waitcnt lgkmcnt(0)
	v_pk_mul_f32 v[6:7], v[12:13], v[6:7] op_sel_hi:[1,0]
	v_pk_add_f32 v[4:5], v[4:5], v[8:9]
	v_pk_fma_f32 v[8:9], v[12:13], v[62:63], v[6:7] op_sel:[0,0,1] op_sel_hi:[1,1,0] neg_lo:[0,0,1] neg_hi:[0,0,1]
	v_pk_fma_f32 v[6:7], v[12:13], v[62:63], v[6:7] op_sel:[0,0,1] op_sel_hi:[1,0,0]
	v_mov_b32_e32 v9, v7
	v_pk_add_f32 v[4:5], v[4:5], v[8:9]
	v_pk_add_f32 v[2:3], v[2:3], v[4:5] neg_lo:[0,1] neg_hi:[0,1]
	buffer_store_dword v3, off, s[0:3], 0 offset:268
	buffer_store_dword v2, off, s[0:3], 0 offset:264
	s_and_saveexec_b64 s[4:5], vcc
	s_cbranch_execz .LBB58_303
; %bb.302:
	buffer_load_dword v2, off, s[0:3], 0 offset:256
	buffer_load_dword v3, off, s[0:3], 0 offset:260
	s_waitcnt vmcnt(0)
	ds_write_b64 v187, v[2:3]
	buffer_store_dword v1, off, s[0:3], 0 offset:256
	buffer_store_dword v1, off, s[0:3], 0 offset:260
.LBB58_303:
	s_or_b64 exec, exec, s[4:5]
	s_waitcnt lgkmcnt(0)
	; wave barrier
	s_waitcnt lgkmcnt(0)
	buffer_load_dword v54, off, s[0:3], 0 offset:268
	buffer_load_dword v56, off, s[0:3], 0 offset:276
	;; [unrolled: 1-line block ×38, first 2 shown]
	ds_read2_b64 v[2:5], v1 offset0:93 offset1:94
	ds_read2_b64 v[6:9], v1 offset0:95 offset1:96
	;; [unrolled: 1-line block ×8, first 2 shown]
	buffer_load_dword v45, off, s[0:3], 0 offset:412
	buffer_load_dword v44, off, s[0:3], 0 offset:408
	;; [unrolled: 1-line block ×4, first 2 shown]
	v_cmp_lt_u32_e32 vcc, 31, v0
	s_waitcnt vmcnt(41) lgkmcnt(7)
	v_mul_f32_e32 v34, v2, v54
	s_waitcnt vmcnt(40)
	v_mul_f32_e32 v35, v4, v56
	s_waitcnt vmcnt(39) lgkmcnt(6)
	v_mul_f32_e32 v36, v6, v58
	s_waitcnt vmcnt(38)
	v_mul_f32_e32 v37, v8, v66
	;; [unrolled: 4-line block ×7, first 2 shown]
	s_waitcnt vmcnt(27) lgkmcnt(0)
	v_mul_f32_e32 v55, v30, v77
	s_waitcnt vmcnt(26)
	v_fmac_f32_e32 v34, v3, v78
	s_waitcnt vmcnt(25)
	v_fmac_f32_e32 v35, v5, v79
	v_add_f32_e32 v34, 0, v34
	s_waitcnt vmcnt(24)
	v_fmac_f32_e32 v36, v7, v80
	v_add_f32_e32 v34, v34, v35
	;; [unrolled: 3-line block ×13, first 2 shown]
	v_add_f32_e32 v34, v34, v53
	buffer_load_dword v49, off, s[0:3], 0 offset:436
	buffer_load_dword v48, off, s[0:3], 0 offset:432
	;; [unrolled: 1-line block ×6, first 2 shown]
	s_waitcnt vmcnt(18)
	v_fmac_f32_e32 v55, v31, v92
	s_waitcnt vmcnt(17)
	v_mul_f32_e32 v39, v32, v93
	v_add_f32_e32 v38, v34, v55
	s_waitcnt vmcnt(16)
	v_fmac_f32_e32 v39, v33, v94
	ds_read2_b64 v[34:37], v1 offset0:109 offset1:110
	v_add_f32_e32 v55, v38, v39
	ds_read2_b64 v[38:41], v1 offset0:111 offset1:112
	buffer_load_dword v61, off, s[0:3], 0 offset:468
	buffer_load_dword v60, off, s[0:3], 0 offset:464
	;; [unrolled: 1-line block ×6, first 2 shown]
	v_mul_f32_e32 v3, v3, v54
	v_fma_f32 v2, v2, v78, -v3
	v_mul_f32_e32 v3, v5, v56
	v_add_f32_e32 v2, 0, v2
	v_fma_f32 v3, v4, v79, -v3
	v_add_f32_e32 v2, v2, v3
	v_mul_f32_e32 v3, v7, v58
	v_fma_f32 v3, v6, v80, -v3
	v_add_f32_e32 v2, v2, v3
	v_mul_f32_e32 v3, v9, v66
	;; [unrolled: 3-line block ×14, first 2 shown]
	v_fma_f32 v3, v32, v94, -v3
	s_waitcnt vmcnt(15)
	v_mov_b32_e32 v16, v45
	s_waitcnt lgkmcnt(1)
	v_mul_f32_e32 v57, v34, v95
	v_add_f32_e32 v54, v2, v3
	v_mul_f32_e32 v2, v35, v95
	s_waitcnt lgkmcnt(0)
	v_pk_mul_f32 v[16:17], v[38:39], v[16:17] op_sel_hi:[1,0]
	v_fmac_f32_e32 v57, v35, v96
	v_mul_f32_e32 v59, v36, v97
	v_fma_f32 v56, v34, v96, -v2
	v_mul_f32_e32 v2, v37, v97
	s_waitcnt vmcnt(14)
	v_pk_fma_f32 v[18:19], v[38:39], v[44:45], v[16:17] op_sel:[0,0,1] op_sel_hi:[1,1,0] neg_lo:[0,0,1] neg_hi:[0,0,1]
	v_pk_fma_f32 v[16:17], v[38:39], v[44:45], v[16:17] op_sel:[0,0,1] op_sel_hi:[1,0,0]
	v_fmac_f32_e32 v59, v37, v98
	v_fma_f32 v58, v36, v98, -v2
	v_pk_add_f32 v[14:15], v[54:55], v[56:57]
	ds_read2_b64 v[2:5], v1 offset0:113 offset1:114
	ds_read2_b64 v[6:9], v1 offset0:115 offset1:116
	;; [unrolled: 1-line block ×3, first 2 shown]
	v_pk_add_f32 v[14:15], v[14:15], v[58:59]
	v_mov_b32_e32 v19, v17
	v_pk_add_f32 v[14:15], v[14:15], v[18:19]
	s_waitcnt vmcnt(7)
	v_mov_b32_e32 v16, v53
	v_pk_mul_f32 v[16:17], v[40:41], v[16:17] op_sel_hi:[1,0]
	s_waitcnt vmcnt(6)
	v_pk_fma_f32 v[18:19], v[40:41], v[52:53], v[16:17] op_sel:[0,0,1] op_sel_hi:[1,1,0] neg_lo:[0,0,1] neg_hi:[0,0,1]
	v_pk_fma_f32 v[16:17], v[40:41], v[52:53], v[16:17] op_sel:[0,0,1] op_sel_hi:[1,0,0]
	v_mov_b32_e32 v16, v51
	v_mov_b32_e32 v19, v17
	s_waitcnt lgkmcnt(2)
	v_pk_mul_f32 v[16:17], v[2:3], v[16:17] op_sel_hi:[1,0]
	v_pk_add_f32 v[14:15], v[14:15], v[18:19]
	v_pk_fma_f32 v[18:19], v[2:3], v[50:51], v[16:17] op_sel:[0,0,1] op_sel_hi:[1,1,0] neg_lo:[0,0,1] neg_hi:[0,0,1]
	v_pk_fma_f32 v[2:3], v[2:3], v[50:51], v[16:17] op_sel:[0,0,1] op_sel_hi:[1,0,0]
	v_mov_b32_e32 v19, v3
	v_pk_add_f32 v[2:3], v[14:15], v[18:19]
	v_mov_b32_e32 v14, v49
	v_pk_mul_f32 v[14:15], v[4:5], v[14:15] op_sel_hi:[1,0]
	v_pk_fma_f32 v[16:17], v[4:5], v[48:49], v[14:15] op_sel:[0,0,1] op_sel_hi:[1,1,0] neg_lo:[0,0,1] neg_hi:[0,0,1]
	v_pk_fma_f32 v[4:5], v[4:5], v[48:49], v[14:15] op_sel:[0,0,1] op_sel_hi:[1,0,0]
	v_mov_b32_e32 v4, v47
	v_mov_b32_e32 v17, v5
	s_waitcnt lgkmcnt(1)
	v_pk_mul_f32 v[4:5], v[6:7], v[4:5] op_sel_hi:[1,0]
	v_pk_fma_f32 v[14:15], v[6:7], v[46:47], v[4:5] op_sel:[0,0,1] op_sel_hi:[1,1,0] neg_lo:[0,0,1] neg_hi:[0,0,1]
	v_pk_fma_f32 v[4:5], v[6:7], v[46:47], v[4:5] op_sel:[0,0,1] op_sel_hi:[1,0,0]
	s_waitcnt vmcnt(1)
	v_mov_b32_e32 v4, v65
	v_mov_b32_e32 v15, v5
	v_pk_mul_f32 v[4:5], v[8:9], v[4:5] op_sel_hi:[1,0]
	s_waitcnt vmcnt(0)
	v_pk_fma_f32 v[6:7], v[8:9], v[64:65], v[4:5] op_sel:[0,0,1] op_sel_hi:[1,1,0] neg_lo:[0,0,1] neg_hi:[0,0,1]
	v_pk_fma_f32 v[4:5], v[8:9], v[64:65], v[4:5] op_sel:[0,0,1] op_sel_hi:[1,0,0]
	v_pk_add_f32 v[2:3], v[2:3], v[16:17]
	v_mov_b32_e32 v4, v63
	v_pk_add_f32 v[2:3], v[2:3], v[14:15]
	v_mov_b32_e32 v7, v5
	s_waitcnt lgkmcnt(0)
	v_pk_mul_f32 v[4:5], v[10:11], v[4:5] op_sel_hi:[1,0]
	v_pk_add_f32 v[2:3], v[2:3], v[6:7]
	v_pk_fma_f32 v[6:7], v[10:11], v[62:63], v[4:5] op_sel:[0,0,1] op_sel_hi:[1,1,0] neg_lo:[0,0,1] neg_hi:[0,0,1]
	v_pk_fma_f32 v[4:5], v[10:11], v[62:63], v[4:5] op_sel:[0,0,1] op_sel_hi:[1,0,0]
	v_mov_b32_e32 v4, v61
	v_mov_b32_e32 v7, v5
	v_pk_mul_f32 v[4:5], v[12:13], v[4:5] op_sel_hi:[1,0]
	v_pk_add_f32 v[2:3], v[2:3], v[6:7]
	v_pk_fma_f32 v[6:7], v[12:13], v[60:61], v[4:5] op_sel:[0,0,1] op_sel_hi:[1,1,0] neg_lo:[0,0,1] neg_hi:[0,0,1]
	v_pk_fma_f32 v[4:5], v[12:13], v[60:61], v[4:5] op_sel:[0,0,1] op_sel_hi:[1,0,0]
	v_mov_b32_e32 v7, v5
	v_pk_add_f32 v[2:3], v[2:3], v[6:7]
	v_pk_add_f32 v[2:3], v[42:43], v[2:3] neg_lo:[0,1] neg_hi:[0,1]
	buffer_store_dword v3, off, s[0:3], 0 offset:260
	buffer_store_dword v2, off, s[0:3], 0 offset:256
	s_and_saveexec_b64 s[4:5], vcc
	s_cbranch_execz .LBB58_305
; %bb.304:
	buffer_load_dword v2, off, s[0:3], 0 offset:248
	buffer_load_dword v3, off, s[0:3], 0 offset:252
	v_mov_b32_e32 v1, 0
	buffer_store_dword v1, off, s[0:3], 0 offset:248
	buffer_store_dword v1, off, s[0:3], 0 offset:252
	s_waitcnt vmcnt(2)
	ds_write_b64 v187, v[2:3]
.LBB58_305:
	s_or_b64 exec, exec, s[4:5]
	s_waitcnt lgkmcnt(0)
	; wave barrier
	s_waitcnt lgkmcnt(0)
	buffer_load_dword v52, off, s[0:3], 0 offset:260
	buffer_load_dword v54, off, s[0:3], 0 offset:268
	;; [unrolled: 1-line block ×40, first 2 shown]
	v_mov_b32_e32 v1, 0
	ds_read_b128 v[4:7], v1 offset:736
	ds_read_b128 v[8:11], v1 offset:752
	;; [unrolled: 1-line block ×8, first 2 shown]
	v_cmp_lt_u32_e32 vcc, 30, v0
	s_waitcnt vmcnt(39) lgkmcnt(7)
	v_mul_f32_e32 v36, v4, v52
	s_waitcnt vmcnt(38)
	v_mul_f32_e32 v37, v6, v54
	s_waitcnt vmcnt(37) lgkmcnt(6)
	v_mul_f32_e32 v38, v8, v56
	s_waitcnt vmcnt(36)
	v_mul_f32_e32 v39, v10, v66
	;; [unrolled: 4-line block ×8, first 2 shown]
	s_waitcnt vmcnt(23)
	v_fmac_f32_e32 v36, v5, v79
	s_waitcnt vmcnt(22)
	v_fmac_f32_e32 v37, v7, v80
	v_add_f32_e32 v36, 0, v36
	s_waitcnt vmcnt(21)
	v_fmac_f32_e32 v38, v9, v81
	v_add_f32_e32 v36, v36, v37
	;; [unrolled: 3-line block ×14, first 2 shown]
	v_add_f32_e32 v36, v36, v50
	s_waitcnt vmcnt(8)
	v_fmac_f32_e32 v51, v35, v94
	v_add_f32_e32 v53, v36, v51
	ds_read_b128 v[36:39], v1 offset:864
	buffer_load_dword v45, off, s[0:3], 0 offset:412
	buffer_load_dword v47, off, s[0:3], 0 offset:436
	;; [unrolled: 1-line block ×8, first 2 shown]
	ds_read_b128 v[40:43], v1 offset:880
	buffer_load_dword v59, off, s[0:3], 0 offset:468
	buffer_load_dword v58, off, s[0:3], 0 offset:464
	;; [unrolled: 1-line block ×8, first 2 shown]
	v_mul_f32_e32 v5, v5, v52
	v_fma_f32 v4, v4, v79, -v5
	v_mul_f32_e32 v5, v7, v54
	v_add_f32_e32 v4, 0, v4
	v_fma_f32 v5, v6, v80, -v5
	v_add_f32_e32 v4, v4, v5
	v_mul_f32_e32 v5, v9, v56
	v_fma_f32 v5, v8, v81, -v5
	v_add_f32_e32 v4, v4, v5
	v_mul_f32_e32 v5, v11, v66
	;; [unrolled: 3-line block ×14, first 2 shown]
	v_fma_f32 v5, v34, v94, -v5
	v_add_f32_e32 v4, v4, v5
	s_waitcnt vmcnt(23) lgkmcnt(1)
	v_mul_f32_e32 v5, v37, v95
	v_mul_f32_e32 v55, v36, v95
	s_waitcnt vmcnt(22)
	v_fma_f32 v5, v36, v96, -v5
	v_fmac_f32_e32 v55, v37, v96
	v_add_f32_e32 v52, v4, v5
	s_waitcnt vmcnt(21)
	v_mul_f32_e32 v4, v39, v97
	v_add_f32_e32 v53, v53, v55
	v_mul_f32_e32 v55, v38, v97
	s_waitcnt vmcnt(20)
	v_fma_f32 v54, v38, v98, -v4
	s_waitcnt vmcnt(19) lgkmcnt(0)
	v_mul_f32_e32 v4, v41, v99
	v_fmac_f32_e32 v55, v39, v98
	v_mul_f32_e32 v57, v40, v99
	s_waitcnt vmcnt(18)
	v_fma_f32 v56, v40, v100, -v4
	ds_read_b128 v[4:7], v1 offset:896
	ds_read_b128 v[8:11], v1 offset:912
	;; [unrolled: 1-line block ×3, first 2 shown]
	ds_read_b64 v[16:17], v1 offset:944
	v_fmac_f32_e32 v57, v41, v100
	v_pk_add_f32 v[18:19], v[52:53], v[54:55]
	v_pk_add_f32 v[18:19], v[18:19], v[56:57]
	s_waitcnt vmcnt(15)
	v_mov_b32_e32 v20, v45
	v_pk_mul_f32 v[20:21], v[42:43], v[20:21] op_sel_hi:[1,0]
	s_waitcnt vmcnt(8)
	v_pk_fma_f32 v[22:23], v[42:43], v[44:45], v[20:21] op_sel:[0,0,1] op_sel_hi:[1,1,0] neg_lo:[0,0,1] neg_hi:[0,0,1]
	v_pk_fma_f32 v[20:21], v[42:43], v[44:45], v[20:21] op_sel:[0,0,1] op_sel_hi:[1,0,0]
	v_mov_b32_e32 v20, v51
	v_mov_b32_e32 v23, v21
	s_waitcnt lgkmcnt(3)
	v_pk_mul_f32 v[20:21], v[4:5], v[20:21] op_sel_hi:[1,0]
	v_pk_add_f32 v[18:19], v[18:19], v[22:23]
	v_pk_fma_f32 v[22:23], v[4:5], v[50:51], v[20:21] op_sel:[0,0,1] op_sel_hi:[1,1,0] neg_lo:[0,0,1] neg_hi:[0,0,1]
	v_pk_fma_f32 v[4:5], v[4:5], v[50:51], v[20:21] op_sel:[0,0,1] op_sel_hi:[1,0,0]
	v_mov_b32_e32 v23, v5
	v_pk_add_f32 v[4:5], v[18:19], v[22:23]
	v_mov_b32_e32 v18, v49
	v_pk_mul_f32 v[18:19], v[6:7], v[18:19] op_sel_hi:[1,0]
	v_pk_fma_f32 v[20:21], v[6:7], v[48:49], v[18:19] op_sel:[0,0,1] op_sel_hi:[1,1,0] neg_lo:[0,0,1] neg_hi:[0,0,1]
	v_pk_fma_f32 v[6:7], v[6:7], v[48:49], v[18:19] op_sel:[0,0,1] op_sel_hi:[1,0,0]
	v_mov_b32_e32 v6, v47
	v_mov_b32_e32 v21, v7
	s_waitcnt lgkmcnt(2)
	v_pk_mul_f32 v[6:7], v[8:9], v[6:7] op_sel_hi:[1,0]
	v_pk_fma_f32 v[18:19], v[8:9], v[46:47], v[6:7] op_sel:[0,0,1] op_sel_hi:[1,1,0] neg_lo:[0,0,1] neg_hi:[0,0,1]
	v_pk_fma_f32 v[6:7], v[8:9], v[46:47], v[6:7] op_sel:[0,0,1] op_sel_hi:[1,0,0]
	s_waitcnt vmcnt(1)
	v_mov_b32_e32 v6, v65
	v_mov_b32_e32 v19, v7
	v_pk_mul_f32 v[6:7], v[10:11], v[6:7] op_sel_hi:[1,0]
	s_waitcnt vmcnt(0)
	v_pk_fma_f32 v[8:9], v[10:11], v[64:65], v[6:7] op_sel:[0,0,1] op_sel_hi:[1,1,0] neg_lo:[0,0,1] neg_hi:[0,0,1]
	v_pk_fma_f32 v[6:7], v[10:11], v[64:65], v[6:7] op_sel:[0,0,1] op_sel_hi:[1,0,0]
	v_pk_add_f32 v[4:5], v[4:5], v[20:21]
	v_mov_b32_e32 v6, v63
	v_pk_add_f32 v[4:5], v[4:5], v[18:19]
	v_mov_b32_e32 v9, v7
	s_waitcnt lgkmcnt(1)
	v_pk_mul_f32 v[6:7], v[12:13], v[6:7] op_sel_hi:[1,0]
	v_pk_add_f32 v[4:5], v[4:5], v[8:9]
	v_pk_fma_f32 v[8:9], v[12:13], v[62:63], v[6:7] op_sel:[0,0,1] op_sel_hi:[1,1,0] neg_lo:[0,0,1] neg_hi:[0,0,1]
	v_pk_fma_f32 v[6:7], v[12:13], v[62:63], v[6:7] op_sel:[0,0,1] op_sel_hi:[1,0,0]
	v_mov_b32_e32 v6, v61
	v_mov_b32_e32 v9, v7
	v_pk_mul_f32 v[6:7], v[14:15], v[6:7] op_sel_hi:[1,0]
	v_pk_add_f32 v[4:5], v[4:5], v[8:9]
	v_pk_fma_f32 v[8:9], v[14:15], v[60:61], v[6:7] op_sel:[0,0,1] op_sel_hi:[1,1,0] neg_lo:[0,0,1] neg_hi:[0,0,1]
	v_pk_fma_f32 v[6:7], v[14:15], v[60:61], v[6:7] op_sel:[0,0,1] op_sel_hi:[1,0,0]
	v_mov_b32_e32 v6, v59
	v_mov_b32_e32 v9, v7
	s_waitcnt lgkmcnt(0)
	v_pk_mul_f32 v[6:7], v[16:17], v[6:7] op_sel_hi:[1,0]
	v_pk_add_f32 v[4:5], v[4:5], v[8:9]
	v_pk_fma_f32 v[8:9], v[16:17], v[58:59], v[6:7] op_sel:[0,0,1] op_sel_hi:[1,1,0] neg_lo:[0,0,1] neg_hi:[0,0,1]
	v_pk_fma_f32 v[6:7], v[16:17], v[58:59], v[6:7] op_sel:[0,0,1] op_sel_hi:[1,0,0]
	v_mov_b32_e32 v9, v7
	v_pk_add_f32 v[4:5], v[4:5], v[8:9]
	v_pk_add_f32 v[2:3], v[2:3], v[4:5] neg_lo:[0,1] neg_hi:[0,1]
	buffer_store_dword v3, off, s[0:3], 0 offset:252
	buffer_store_dword v2, off, s[0:3], 0 offset:248
	s_and_saveexec_b64 s[4:5], vcc
	s_cbranch_execz .LBB58_307
; %bb.306:
	buffer_load_dword v2, off, s[0:3], 0 offset:240
	buffer_load_dword v3, off, s[0:3], 0 offset:244
	s_waitcnt vmcnt(0)
	ds_write_b64 v187, v[2:3]
	buffer_store_dword v1, off, s[0:3], 0 offset:240
	buffer_store_dword v1, off, s[0:3], 0 offset:244
.LBB58_307:
	s_or_b64 exec, exec, s[4:5]
	s_waitcnt lgkmcnt(0)
	; wave barrier
	s_waitcnt lgkmcnt(0)
	buffer_load_dword v44, off, s[0:3], 0 offset:252
	buffer_load_dword v46, off, s[0:3], 0 offset:260
	;; [unrolled: 1-line block ×42, first 2 shown]
	ds_read2_b64 v[4:7], v1 offset0:91 offset1:92
	ds_read2_b64 v[8:11], v1 offset0:93 offset1:94
	;; [unrolled: 1-line block ×8, first 2 shown]
	v_cmp_lt_u32_e32 vcc, 29, v0
	s_waitcnt vmcnt(41) lgkmcnt(7)
	v_mul_f32_e32 v36, v4, v44
	s_waitcnt vmcnt(40)
	v_mul_f32_e32 v37, v6, v46
	s_waitcnt vmcnt(39) lgkmcnt(6)
	v_mul_f32_e32 v38, v8, v54
	s_waitcnt vmcnt(38)
	v_mul_f32_e32 v39, v10, v66
	;; [unrolled: 4-line block ×7, first 2 shown]
	s_waitcnt vmcnt(27) lgkmcnt(0)
	v_mul_f32_e32 v52, v32, v77
	s_waitcnt vmcnt(26)
	v_fmac_f32_e32 v36, v5, v78
	s_waitcnt vmcnt(25)
	v_fmac_f32_e32 v37, v7, v79
	v_add_f32_e32 v36, 0, v36
	s_waitcnt vmcnt(24)
	v_fmac_f32_e32 v38, v9, v80
	v_add_f32_e32 v36, v36, v37
	;; [unrolled: 3-line block ×14, first 2 shown]
	s_waitcnt vmcnt(11)
	v_mul_f32_e32 v41, v34, v93
	v_add_f32_e32 v40, v36, v52
	s_waitcnt vmcnt(10)
	v_fmac_f32_e32 v41, v35, v94
	ds_read2_b64 v[36:39], v1 offset0:107 offset1:108
	v_add_f32_e32 v45, v40, v41
	ds_read2_b64 v[40:43], v1 offset0:109 offset1:110
	buffer_load_dword v49, off, s[0:3], 0 offset:412
	buffer_load_dword v51, off, s[0:3], 0 offset:428
	;; [unrolled: 1-line block ×16, first 2 shown]
	v_mul_f32_e32 v5, v5, v44
	v_fma_f32 v4, v4, v78, -v5
	v_mul_f32_e32 v5, v7, v46
	v_add_f32_e32 v4, 0, v4
	v_fma_f32 v5, v6, v79, -v5
	v_add_f32_e32 v4, v4, v5
	v_mul_f32_e32 v5, v9, v54
	v_fma_f32 v5, v8, v80, -v5
	v_add_f32_e32 v4, v4, v5
	v_mul_f32_e32 v5, v11, v66
	;; [unrolled: 3-line block ×14, first 2 shown]
	v_fma_f32 v5, v34, v94, -v5
	v_add_f32_e32 v4, v4, v5
	s_waitcnt vmcnt(25) lgkmcnt(1)
	v_mul_f32_e32 v5, v37, v95
	s_waitcnt vmcnt(24)
	v_fma_f32 v5, v36, v96, -v5
	v_add_f32_e32 v4, v4, v5
	s_waitcnt vmcnt(23)
	v_mul_f32_e32 v5, v39, v97
	v_mul_f32_e32 v47, v36, v95
	s_waitcnt vmcnt(22)
	v_fma_f32 v5, v38, v98, -v5
	v_fmac_f32_e32 v47, v37, v96
	v_add_f32_e32 v44, v4, v5
	s_waitcnt vmcnt(21) lgkmcnt(0)
	v_mul_f32_e32 v4, v41, v99
	v_add_f32_e32 v45, v45, v47
	v_mul_f32_e32 v47, v38, v97
	s_waitcnt vmcnt(20)
	v_fma_f32 v46, v40, v100, -v4
	s_waitcnt vmcnt(19)
	v_mul_f32_e32 v4, v43, v101
	v_fmac_f32_e32 v47, v39, v98
	s_waitcnt vmcnt(18)
	v_fma_f32 v54, v42, v104, -v4
	ds_read2_b64 v[4:7], v1 offset0:111 offset1:112
	ds_read2_b64 v[8:11], v1 offset0:113 offset1:114
	;; [unrolled: 1-line block ×4, first 2 shown]
	v_add_f32_e32 v45, v45, v47
	v_mul_f32_e32 v47, v40, v99
	v_fmac_f32_e32 v47, v41, v100
	v_mul_f32_e32 v55, v42, v101
	v_fmac_f32_e32 v55, v43, v104
	v_pk_add_f32 v[20:21], v[44:45], v[46:47]
	v_pk_add_f32 v[20:21], v[20:21], v[54:55]
	s_waitcnt vmcnt(15)
	v_mov_b32_e32 v22, v49
	s_waitcnt lgkmcnt(3)
	v_pk_mul_f32 v[22:23], v[4:5], v[22:23] op_sel_hi:[1,0]
	s_waitcnt vmcnt(10)
	v_pk_fma_f32 v[24:25], v[4:5], v[48:49], v[22:23] op_sel:[0,0,1] op_sel_hi:[1,1,0] neg_lo:[0,0,1] neg_hi:[0,0,1]
	v_pk_fma_f32 v[4:5], v[4:5], v[48:49], v[22:23] op_sel:[0,0,1] op_sel_hi:[1,0,0]
	v_mov_b32_e32 v25, v5
	v_pk_add_f32 v[4:5], v[20:21], v[24:25]
	v_mov_b32_e32 v20, v53
	v_pk_mul_f32 v[20:21], v[6:7], v[20:21] op_sel_hi:[1,0]
	v_pk_fma_f32 v[22:23], v[6:7], v[52:53], v[20:21] op_sel:[0,0,1] op_sel_hi:[1,1,0] neg_lo:[0,0,1] neg_hi:[0,0,1]
	v_pk_fma_f32 v[6:7], v[6:7], v[52:53], v[20:21] op_sel:[0,0,1] op_sel_hi:[1,0,0]
	v_mov_b32_e32 v6, v51
	v_mov_b32_e32 v23, v7
	s_waitcnt lgkmcnt(2)
	v_pk_mul_f32 v[6:7], v[8:9], v[6:7] op_sel_hi:[1,0]
	v_pk_fma_f32 v[20:21], v[8:9], v[50:51], v[6:7] op_sel:[0,0,1] op_sel_hi:[1,1,0] neg_lo:[0,0,1] neg_hi:[0,0,1]
	v_pk_fma_f32 v[6:7], v[8:9], v[50:51], v[6:7] op_sel:[0,0,1] op_sel_hi:[1,0,0]
	s_waitcnt vmcnt(3)
	v_mov_b32_e32 v6, v63
	v_mov_b32_e32 v21, v7
	v_pk_mul_f32 v[6:7], v[10:11], v[6:7] op_sel_hi:[1,0]
	s_waitcnt vmcnt(2)
	v_pk_fma_f32 v[8:9], v[10:11], v[62:63], v[6:7] op_sel:[0,0,1] op_sel_hi:[1,1,0] neg_lo:[0,0,1] neg_hi:[0,0,1]
	v_pk_fma_f32 v[6:7], v[10:11], v[62:63], v[6:7] op_sel:[0,0,1] op_sel_hi:[1,0,0]
	v_pk_add_f32 v[4:5], v[4:5], v[22:23]
	v_mov_b32_e32 v6, v61
	v_pk_add_f32 v[4:5], v[4:5], v[20:21]
	v_mov_b32_e32 v9, v7
	s_waitcnt lgkmcnt(1)
	v_pk_mul_f32 v[6:7], v[12:13], v[6:7] op_sel_hi:[1,0]
	v_pk_add_f32 v[4:5], v[4:5], v[8:9]
	v_pk_fma_f32 v[8:9], v[12:13], v[60:61], v[6:7] op_sel:[0,0,1] op_sel_hi:[1,1,0] neg_lo:[0,0,1] neg_hi:[0,0,1]
	v_pk_fma_f32 v[6:7], v[12:13], v[60:61], v[6:7] op_sel:[0,0,1] op_sel_hi:[1,0,0]
	v_mov_b32_e32 v6, v59
	v_mov_b32_e32 v9, v7
	v_pk_mul_f32 v[6:7], v[14:15], v[6:7] op_sel_hi:[1,0]
	v_pk_add_f32 v[4:5], v[4:5], v[8:9]
	v_pk_fma_f32 v[8:9], v[14:15], v[58:59], v[6:7] op_sel:[0,0,1] op_sel_hi:[1,1,0] neg_lo:[0,0,1] neg_hi:[0,0,1]
	v_pk_fma_f32 v[6:7], v[14:15], v[58:59], v[6:7] op_sel:[0,0,1] op_sel_hi:[1,0,0]
	v_mov_b32_e32 v6, v57
	v_mov_b32_e32 v9, v7
	s_waitcnt lgkmcnt(0)
	v_pk_mul_f32 v[6:7], v[16:17], v[6:7] op_sel_hi:[1,0]
	v_pk_add_f32 v[4:5], v[4:5], v[8:9]
	v_pk_fma_f32 v[8:9], v[16:17], v[56:57], v[6:7] op_sel:[0,0,1] op_sel_hi:[1,1,0] neg_lo:[0,0,1] neg_hi:[0,0,1]
	v_pk_fma_f32 v[6:7], v[16:17], v[56:57], v[6:7] op_sel:[0,0,1] op_sel_hi:[1,0,0]
	s_waitcnt vmcnt(1)
	v_mov_b32_e32 v6, v65
	v_mov_b32_e32 v9, v7
	v_pk_mul_f32 v[6:7], v[18:19], v[6:7] op_sel_hi:[1,0]
	v_pk_add_f32 v[4:5], v[4:5], v[8:9]
	s_waitcnt vmcnt(0)
	v_pk_fma_f32 v[8:9], v[18:19], v[64:65], v[6:7] op_sel:[0,0,1] op_sel_hi:[1,1,0] neg_lo:[0,0,1] neg_hi:[0,0,1]
	v_pk_fma_f32 v[6:7], v[18:19], v[64:65], v[6:7] op_sel:[0,0,1] op_sel_hi:[1,0,0]
	v_mov_b32_e32 v9, v7
	v_pk_add_f32 v[4:5], v[4:5], v[8:9]
	v_pk_add_f32 v[2:3], v[2:3], v[4:5] neg_lo:[0,1] neg_hi:[0,1]
	buffer_store_dword v3, off, s[0:3], 0 offset:244
	buffer_store_dword v2, off, s[0:3], 0 offset:240
	s_and_saveexec_b64 s[4:5], vcc
	s_cbranch_execz .LBB58_309
; %bb.308:
	buffer_load_dword v2, off, s[0:3], 0 offset:232
	buffer_load_dword v3, off, s[0:3], 0 offset:236
	v_mov_b32_e32 v1, 0
	buffer_store_dword v1, off, s[0:3], 0 offset:232
	buffer_store_dword v1, off, s[0:3], 0 offset:236
	s_waitcnt vmcnt(2)
	ds_write_b64 v187, v[2:3]
.LBB58_309:
	s_or_b64 exec, exec, s[4:5]
	s_waitcnt lgkmcnt(0)
	; wave barrier
	s_waitcnt lgkmcnt(0)
	buffer_load_dword v52, off, s[0:3], 0 offset:244
	buffer_load_dword v58, off, s[0:3], 0 offset:252
	;; [unrolled: 1-line block ×44, first 2 shown]
	v_mov_b32_e32 v1, 0
	ds_read_b128 v[4:7], v1 offset:720
	ds_read_b128 v[8:11], v1 offset:736
	;; [unrolled: 1-line block ×8, first 2 shown]
	v_cmp_lt_u32_e32 vcc, 28, v0
	s_waitcnt vmcnt(43) lgkmcnt(7)
	v_mul_f32_e32 v36, v4, v52
	s_waitcnt vmcnt(42)
	v_mul_f32_e32 v37, v6, v58
	s_waitcnt vmcnt(41) lgkmcnt(6)
	v_mul_f32_e32 v38, v8, v60
	s_waitcnt vmcnt(40)
	v_mul_f32_e32 v39, v10, v74
	;; [unrolled: 4-line block ×7, first 2 shown]
	s_waitcnt vmcnt(29)
	v_fmac_f32_e32 v36, v5, v85
	s_waitcnt vmcnt(28)
	v_fmac_f32_e32 v37, v7, v86
	v_add_f32_e32 v36, 0, v36
	s_waitcnt vmcnt(27)
	v_fmac_f32_e32 v38, v9, v87
	v_add_f32_e32 v36, v36, v37
	;; [unrolled: 3-line block ×12, first 2 shown]
	v_add_f32_e32 v36, v36, v48
	s_waitcnt vmcnt(16)
	v_fmac_f32_e32 v49, v31, v98
	s_waitcnt vmcnt(15) lgkmcnt(0)
	v_mul_f32_e32 v37, v32, v99
	v_add_f32_e32 v36, v36, v49
	s_waitcnt vmcnt(14)
	v_fmac_f32_e32 v37, v33, v100
	v_add_f32_e32 v40, v36, v37
	ds_read_b128 v[36:39], v1 offset:848
	s_waitcnt vmcnt(13)
	v_mul_f32_e32 v41, v34, v101
	s_waitcnt vmcnt(12)
	v_fmac_f32_e32 v41, v35, v104
	v_add_f32_e32 v44, v40, v41
	ds_read_b128 v[40:43], v1 offset:864
	s_waitcnt vmcnt(11) lgkmcnt(1)
	v_mul_f32_e32 v45, v36, v105
	s_waitcnt vmcnt(10)
	v_fmac_f32_e32 v45, v37, v106
	v_add_f32_e32 v44, v44, v45
	s_waitcnt vmcnt(9)
	v_mul_f32_e32 v45, v38, v107
	s_waitcnt vmcnt(8)
	v_fmac_f32_e32 v45, v39, v108
	v_add_f32_e32 v44, v44, v45
	s_waitcnt vmcnt(7) lgkmcnt(0)
	v_mul_f32_e32 v45, v40, v109
	s_waitcnt vmcnt(6)
	v_fmac_f32_e32 v45, v41, v110
	v_add_f32_e32 v53, v44, v45
	ds_read_b128 v[44:47], v1 offset:880
	buffer_load_dword v55, off, s[0:3], 0 offset:420
	buffer_load_dword v54, off, s[0:3], 0 offset:416
	;; [unrolled: 1-line block ×4, first 2 shown]
	ds_read_b128 v[48:51], v1 offset:896
	buffer_load_dword v63, off, s[0:3], 0 offset:452
	buffer_load_dword v62, off, s[0:3], 0 offset:448
	;; [unrolled: 1-line block ×12, first 2 shown]
	v_mul_f32_e32 v5, v5, v52
	v_fma_f32 v4, v4, v85, -v5
	v_mul_f32_e32 v5, v7, v58
	v_add_f32_e32 v4, 0, v4
	v_fma_f32 v5, v6, v86, -v5
	v_add_f32_e32 v4, v4, v5
	v_mul_f32_e32 v5, v9, v60
	v_fma_f32 v5, v8, v87, -v5
	v_add_f32_e32 v4, v4, v5
	v_mul_f32_e32 v5, v11, v74
	;; [unrolled: 3-line block ×17, first 2 shown]
	v_fma_f32 v5, v40, v110, -v5
	s_waitcnt vmcnt(21)
	v_mul_f32_e32 v59, v42, v111
	v_add_f32_e32 v52, v4, v5
	v_mul_f32_e32 v4, v43, v111
	s_waitcnt vmcnt(20)
	v_fmac_f32_e32 v59, v43, v112
	s_waitcnt vmcnt(19) lgkmcnt(1)
	v_mul_f32_e32 v61, v44, v113
	v_fma_f32 v58, v42, v112, -v4
	v_mul_f32_e32 v4, v45, v113
	s_waitcnt vmcnt(18)
	v_fmac_f32_e32 v61, v45, v114
	v_fma_f32 v60, v44, v114, -v4
	v_pk_add_f32 v[14:15], v[52:53], v[58:59]
	v_pk_add_f32 v[14:15], v[14:15], v[60:61]
	ds_read_b128 v[4:7], v1 offset:912
	ds_read_b128 v[8:11], v1 offset:928
	ds_read_b64 v[12:13], v1 offset:944
	s_waitcnt vmcnt(13)
	v_mov_b32_e32 v16, v57
	v_pk_mul_f32 v[16:17], v[46:47], v[16:17] op_sel_hi:[1,0]
	s_waitcnt vmcnt(12)
	v_pk_fma_f32 v[18:19], v[46:47], v[56:57], v[16:17] op_sel:[0,0,1] op_sel_hi:[1,1,0] neg_lo:[0,0,1] neg_hi:[0,0,1]
	v_pk_fma_f32 v[16:17], v[46:47], v[56:57], v[16:17] op_sel:[0,0,1] op_sel_hi:[1,0,0]
	v_mov_b32_e32 v16, v55
	v_mov_b32_e32 v19, v17
	s_waitcnt lgkmcnt(3)
	v_pk_mul_f32 v[16:17], v[48:49], v[16:17] op_sel_hi:[1,0]
	v_pk_add_f32 v[14:15], v[14:15], v[18:19]
	v_pk_fma_f32 v[18:19], v[48:49], v[54:55], v[16:17] op_sel:[0,0,1] op_sel_hi:[1,1,0] neg_lo:[0,0,1] neg_hi:[0,0,1]
	v_pk_fma_f32 v[16:17], v[48:49], v[54:55], v[16:17] op_sel:[0,0,1] op_sel_hi:[1,0,0]
	s_waitcnt vmcnt(5)
	v_mov_b32_e32 v16, v69
	v_mov_b32_e32 v19, v17
	v_pk_mul_f32 v[16:17], v[50:51], v[16:17] op_sel_hi:[1,0]
	v_pk_add_f32 v[14:15], v[14:15], v[18:19]
	s_waitcnt vmcnt(4)
	v_pk_fma_f32 v[18:19], v[50:51], v[68:69], v[16:17] op_sel:[0,0,1] op_sel_hi:[1,1,0] neg_lo:[0,0,1] neg_hi:[0,0,1]
	v_pk_fma_f32 v[16:17], v[50:51], v[68:69], v[16:17] op_sel:[0,0,1] op_sel_hi:[1,0,0]
	v_mov_b32_e32 v16, v67
	v_mov_b32_e32 v19, v17
	s_waitcnt lgkmcnt(2)
	v_pk_mul_f32 v[16:17], v[4:5], v[16:17] op_sel_hi:[1,0]
	v_pk_add_f32 v[14:15], v[14:15], v[18:19]
	v_pk_fma_f32 v[18:19], v[4:5], v[66:67], v[16:17] op_sel:[0,0,1] op_sel_hi:[1,1,0] neg_lo:[0,0,1] neg_hi:[0,0,1]
	v_pk_fma_f32 v[4:5], v[4:5], v[66:67], v[16:17] op_sel:[0,0,1] op_sel_hi:[1,0,0]
	v_mov_b32_e32 v19, v5
	v_pk_add_f32 v[4:5], v[14:15], v[18:19]
	v_mov_b32_e32 v14, v65
	v_pk_mul_f32 v[14:15], v[6:7], v[14:15] op_sel_hi:[1,0]
	v_pk_fma_f32 v[16:17], v[6:7], v[64:65], v[14:15] op_sel:[0,0,1] op_sel_hi:[1,1,0] neg_lo:[0,0,1] neg_hi:[0,0,1]
	v_pk_fma_f32 v[6:7], v[6:7], v[64:65], v[14:15] op_sel:[0,0,1] op_sel_hi:[1,0,0]
	v_mov_b32_e32 v6, v63
	v_mov_b32_e32 v17, v7
	s_waitcnt lgkmcnt(1)
	v_pk_mul_f32 v[6:7], v[8:9], v[6:7] op_sel_hi:[1,0]
	v_pk_fma_f32 v[14:15], v[8:9], v[62:63], v[6:7] op_sel:[0,0,1] op_sel_hi:[1,1,0] neg_lo:[0,0,1] neg_hi:[0,0,1]
	v_pk_fma_f32 v[6:7], v[8:9], v[62:63], v[6:7] op_sel:[0,0,1] op_sel_hi:[1,0,0]
	s_waitcnt vmcnt(1)
	v_mov_b32_e32 v6, v73
	v_mov_b32_e32 v15, v7
	v_pk_mul_f32 v[6:7], v[10:11], v[6:7] op_sel_hi:[1,0]
	s_waitcnt vmcnt(0)
	v_pk_fma_f32 v[8:9], v[10:11], v[72:73], v[6:7] op_sel:[0,0,1] op_sel_hi:[1,1,0] neg_lo:[0,0,1] neg_hi:[0,0,1]
	v_pk_fma_f32 v[6:7], v[10:11], v[72:73], v[6:7] op_sel:[0,0,1] op_sel_hi:[1,0,0]
	v_pk_add_f32 v[4:5], v[4:5], v[16:17]
	v_mov_b32_e32 v6, v71
	v_pk_add_f32 v[4:5], v[4:5], v[14:15]
	v_mov_b32_e32 v9, v7
	s_waitcnt lgkmcnt(0)
	v_pk_mul_f32 v[6:7], v[12:13], v[6:7] op_sel_hi:[1,0]
	v_pk_add_f32 v[4:5], v[4:5], v[8:9]
	v_pk_fma_f32 v[8:9], v[12:13], v[70:71], v[6:7] op_sel:[0,0,1] op_sel_hi:[1,1,0] neg_lo:[0,0,1] neg_hi:[0,0,1]
	v_pk_fma_f32 v[6:7], v[12:13], v[70:71], v[6:7] op_sel:[0,0,1] op_sel_hi:[1,0,0]
	v_mov_b32_e32 v9, v7
	v_pk_add_f32 v[4:5], v[4:5], v[8:9]
	v_pk_add_f32 v[2:3], v[2:3], v[4:5] neg_lo:[0,1] neg_hi:[0,1]
	buffer_store_dword v3, off, s[0:3], 0 offset:236
	buffer_store_dword v2, off, s[0:3], 0 offset:232
	s_and_saveexec_b64 s[4:5], vcc
	s_cbranch_execz .LBB58_311
; %bb.310:
	buffer_load_dword v2, off, s[0:3], 0 offset:224
	buffer_load_dword v3, off, s[0:3], 0 offset:228
	s_waitcnt vmcnt(0)
	ds_write_b64 v187, v[2:3]
	buffer_store_dword v1, off, s[0:3], 0 offset:224
	buffer_store_dword v1, off, s[0:3], 0 offset:228
.LBB58_311:
	s_or_b64 exec, exec, s[4:5]
	s_waitcnt lgkmcnt(0)
	; wave barrier
	s_waitcnt lgkmcnt(0)
	buffer_load_dword v54, off, s[0:3], 0 offset:236
	buffer_load_dword v56, off, s[0:3], 0 offset:244
	;; [unrolled: 1-line block ×46, first 2 shown]
	ds_read2_b64 v[4:7], v1 offset0:89 offset1:90
	ds_read2_b64 v[8:11], v1 offset0:91 offset1:92
	;; [unrolled: 1-line block ×8, first 2 shown]
	v_cmp_lt_u32_e32 vcc, 27, v0
	s_waitcnt vmcnt(45) lgkmcnt(7)
	v_mul_f32_e32 v36, v4, v54
	s_waitcnt vmcnt(44)
	v_mul_f32_e32 v37, v6, v56
	s_waitcnt vmcnt(43) lgkmcnt(6)
	v_mul_f32_e32 v38, v8, v58
	s_waitcnt vmcnt(42)
	v_mul_f32_e32 v39, v10, v74
	;; [unrolled: 4-line block ×6, first 2 shown]
	s_waitcnt vmcnt(33) lgkmcnt(1)
	v_mul_f32_e32 v48, v28, v83
	s_waitcnt vmcnt(32)
	v_fmac_f32_e32 v36, v5, v84
	s_waitcnt vmcnt(31)
	v_fmac_f32_e32 v37, v7, v85
	v_add_f32_e32 v36, 0, v36
	s_waitcnt vmcnt(30)
	v_fmac_f32_e32 v38, v9, v86
	v_add_f32_e32 v36, v36, v37
	;; [unrolled: 3-line block ×12, first 2 shown]
	s_waitcnt vmcnt(19)
	v_mul_f32_e32 v37, v30, v97
	v_add_f32_e32 v36, v36, v48
	s_waitcnt vmcnt(18)
	v_fmac_f32_e32 v37, v31, v98
	v_add_f32_e32 v36, v36, v37
	s_waitcnt vmcnt(17) lgkmcnt(0)
	v_mul_f32_e32 v37, v32, v99
	s_waitcnt vmcnt(16)
	v_fmac_f32_e32 v37, v33, v100
	v_add_f32_e32 v40, v36, v37
	ds_read2_b64 v[36:39], v1 offset0:105 offset1:106
	s_waitcnt vmcnt(15)
	v_mul_f32_e32 v41, v34, v101
	s_waitcnt vmcnt(14)
	v_fmac_f32_e32 v41, v35, v104
	v_add_f32_e32 v44, v40, v41
	ds_read2_b64 v[40:43], v1 offset0:107 offset1:108
	buffer_load_dword v53, off, s[0:3], 0 offset:412
	buffer_load_dword v52, off, s[0:3], 0 offset:408
	s_waitcnt vmcnt(15) lgkmcnt(1)
	v_mul_f32_e32 v45, v36, v105
	s_waitcnt vmcnt(14)
	v_fmac_f32_e32 v45, v37, v106
	v_add_f32_e32 v44, v44, v45
	s_waitcnt vmcnt(13)
	v_mul_f32_e32 v45, v38, v107
	s_waitcnt vmcnt(12)
	v_fmac_f32_e32 v45, v39, v108
	v_add_f32_e32 v44, v44, v45
	s_waitcnt vmcnt(11) lgkmcnt(0)
	v_mul_f32_e32 v45, v40, v109
	s_waitcnt vmcnt(10)
	v_fmac_f32_e32 v45, v41, v110
	s_waitcnt vmcnt(9)
	v_mul_f32_e32 v49, v42, v111
	v_add_f32_e32 v48, v44, v45
	s_waitcnt vmcnt(8)
	v_fmac_f32_e32 v49, v43, v112
	ds_read2_b64 v[44:47], v1 offset0:109 offset1:110
	v_add_f32_e32 v55, v48, v49
	ds_read2_b64 v[48:51], v1 offset0:111 offset1:112
	buffer_load_dword v61, off, s[0:3], 0 offset:444
	buffer_load_dword v60, off, s[0:3], 0 offset:440
	;; [unrolled: 1-line block ×14, first 2 shown]
	v_mul_f32_e32 v5, v5, v54
	v_fma_f32 v4, v4, v84, -v5
	v_mul_f32_e32 v5, v7, v56
	v_add_f32_e32 v4, 0, v4
	v_fma_f32 v5, v6, v85, -v5
	v_add_f32_e32 v4, v4, v5
	v_mul_f32_e32 v5, v9, v58
	v_fma_f32 v5, v8, v86, -v5
	v_add_f32_e32 v4, v4, v5
	v_mul_f32_e32 v5, v11, v74
	;; [unrolled: 3-line block ×18, first 2 shown]
	v_fma_f32 v5, v42, v112, -v5
	s_waitcnt vmcnt(21) lgkmcnt(1)
	v_mul_f32_e32 v57, v44, v113
	v_add_f32_e32 v54, v4, v5
	v_mul_f32_e32 v4, v45, v113
	s_waitcnt vmcnt(20)
	v_fmac_f32_e32 v57, v45, v114
	s_waitcnt vmcnt(15)
	v_mov_b32_e32 v18, v53
	s_waitcnt lgkmcnt(0)
	v_pk_mul_f32 v[18:19], v[48:49], v[18:19] op_sel_hi:[1,0]
	v_mul_f32_e32 v59, v46, v115
	v_fma_f32 v56, v44, v114, -v4
	v_mul_f32_e32 v4, v47, v115
	s_waitcnt vmcnt(14)
	v_pk_fma_f32 v[20:21], v[48:49], v[52:53], v[18:19] op_sel:[0,0,1] op_sel_hi:[1,1,0] neg_lo:[0,0,1] neg_hi:[0,0,1]
	v_pk_fma_f32 v[18:19], v[48:49], v[52:53], v[18:19] op_sel:[0,0,1] op_sel_hi:[1,0,0]
	v_fmac_f32_e32 v59, v47, v116
	v_fma_f32 v58, v46, v116, -v4
	v_pk_add_f32 v[16:17], v[54:55], v[56:57]
	s_waitcnt vmcnt(7)
	v_mov_b32_e32 v18, v67
	ds_read2_b64 v[4:7], v1 offset0:113 offset1:114
	ds_read2_b64 v[8:11], v1 offset0:115 offset1:116
	;; [unrolled: 1-line block ×3, first 2 shown]
	v_pk_add_f32 v[16:17], v[16:17], v[58:59]
	v_mov_b32_e32 v21, v19
	v_pk_mul_f32 v[18:19], v[50:51], v[18:19] op_sel_hi:[1,0]
	v_pk_add_f32 v[16:17], v[16:17], v[20:21]
	s_waitcnt vmcnt(6)
	v_pk_fma_f32 v[20:21], v[50:51], v[66:67], v[18:19] op_sel:[0,0,1] op_sel_hi:[1,1,0] neg_lo:[0,0,1] neg_hi:[0,0,1]
	v_pk_fma_f32 v[18:19], v[50:51], v[66:67], v[18:19] op_sel:[0,0,1] op_sel_hi:[1,0,0]
	v_mov_b32_e32 v18, v65
	v_mov_b32_e32 v21, v19
	s_waitcnt lgkmcnt(2)
	v_pk_mul_f32 v[18:19], v[4:5], v[18:19] op_sel_hi:[1,0]
	v_pk_add_f32 v[16:17], v[16:17], v[20:21]
	v_pk_fma_f32 v[20:21], v[4:5], v[64:65], v[18:19] op_sel:[0,0,1] op_sel_hi:[1,1,0] neg_lo:[0,0,1] neg_hi:[0,0,1]
	v_pk_fma_f32 v[4:5], v[4:5], v[64:65], v[18:19] op_sel:[0,0,1] op_sel_hi:[1,0,0]
	v_mov_b32_e32 v21, v5
	v_pk_add_f32 v[4:5], v[16:17], v[20:21]
	v_mov_b32_e32 v16, v63
	v_pk_mul_f32 v[16:17], v[6:7], v[16:17] op_sel_hi:[1,0]
	v_pk_fma_f32 v[18:19], v[6:7], v[62:63], v[16:17] op_sel:[0,0,1] op_sel_hi:[1,1,0] neg_lo:[0,0,1] neg_hi:[0,0,1]
	v_pk_fma_f32 v[6:7], v[6:7], v[62:63], v[16:17] op_sel:[0,0,1] op_sel_hi:[1,0,0]
	v_mov_b32_e32 v6, v61
	v_mov_b32_e32 v19, v7
	s_waitcnt lgkmcnt(1)
	v_pk_mul_f32 v[6:7], v[8:9], v[6:7] op_sel_hi:[1,0]
	v_pk_fma_f32 v[16:17], v[8:9], v[60:61], v[6:7] op_sel:[0,0,1] op_sel_hi:[1,1,0] neg_lo:[0,0,1] neg_hi:[0,0,1]
	v_pk_fma_f32 v[6:7], v[8:9], v[60:61], v[6:7] op_sel:[0,0,1] op_sel_hi:[1,0,0]
	s_waitcnt vmcnt(1)
	v_mov_b32_e32 v6, v73
	v_mov_b32_e32 v17, v7
	v_pk_mul_f32 v[6:7], v[10:11], v[6:7] op_sel_hi:[1,0]
	s_waitcnt vmcnt(0)
	v_pk_fma_f32 v[8:9], v[10:11], v[72:73], v[6:7] op_sel:[0,0,1] op_sel_hi:[1,1,0] neg_lo:[0,0,1] neg_hi:[0,0,1]
	v_pk_fma_f32 v[6:7], v[10:11], v[72:73], v[6:7] op_sel:[0,0,1] op_sel_hi:[1,0,0]
	v_pk_add_f32 v[4:5], v[4:5], v[18:19]
	v_mov_b32_e32 v6, v71
	v_pk_add_f32 v[4:5], v[4:5], v[16:17]
	v_mov_b32_e32 v9, v7
	s_waitcnt lgkmcnt(0)
	v_pk_mul_f32 v[6:7], v[12:13], v[6:7] op_sel_hi:[1,0]
	v_pk_add_f32 v[4:5], v[4:5], v[8:9]
	v_pk_fma_f32 v[8:9], v[12:13], v[70:71], v[6:7] op_sel:[0,0,1] op_sel_hi:[1,1,0] neg_lo:[0,0,1] neg_hi:[0,0,1]
	v_pk_fma_f32 v[6:7], v[12:13], v[70:71], v[6:7] op_sel:[0,0,1] op_sel_hi:[1,0,0]
	v_mov_b32_e32 v6, v69
	v_mov_b32_e32 v9, v7
	v_pk_mul_f32 v[6:7], v[14:15], v[6:7] op_sel_hi:[1,0]
	v_pk_add_f32 v[4:5], v[4:5], v[8:9]
	v_pk_fma_f32 v[8:9], v[14:15], v[68:69], v[6:7] op_sel:[0,0,1] op_sel_hi:[1,1,0] neg_lo:[0,0,1] neg_hi:[0,0,1]
	v_pk_fma_f32 v[6:7], v[14:15], v[68:69], v[6:7] op_sel:[0,0,1] op_sel_hi:[1,0,0]
	v_mov_b32_e32 v9, v7
	v_pk_add_f32 v[4:5], v[4:5], v[8:9]
	v_pk_add_f32 v[2:3], v[2:3], v[4:5] neg_lo:[0,1] neg_hi:[0,1]
	buffer_store_dword v3, off, s[0:3], 0 offset:228
	buffer_store_dword v2, off, s[0:3], 0 offset:224
	s_and_saveexec_b64 s[4:5], vcc
	s_cbranch_execz .LBB58_313
; %bb.312:
	buffer_load_dword v2, off, s[0:3], 0 offset:216
	buffer_load_dword v3, off, s[0:3], 0 offset:220
	v_mov_b32_e32 v1, 0
	buffer_store_dword v1, off, s[0:3], 0 offset:216
	buffer_store_dword v1, off, s[0:3], 0 offset:220
	s_waitcnt vmcnt(2)
	ds_write_b64 v187, v[2:3]
.LBB58_313:
	s_or_b64 exec, exec, s[4:5]
	s_waitcnt lgkmcnt(0)
	; wave barrier
	s_waitcnt lgkmcnt(0)
	buffer_load_dword v52, off, s[0:3], 0 offset:228
	buffer_load_dword v54, off, s[0:3], 0 offset:236
	buffer_load_dword v56, off, s[0:3], 0 offset:244
	buffer_load_dword v74, off, s[0:3], 0 offset:252
	buffer_load_dword v75, off, s[0:3], 0 offset:260
	buffer_load_dword v76, off, s[0:3], 0 offset:268
	buffer_load_dword v77, off, s[0:3], 0 offset:276
	buffer_load_dword v78, off, s[0:3], 0 offset:284
	buffer_load_dword v79, off, s[0:3], 0 offset:292
	buffer_load_dword v80, off, s[0:3], 0 offset:300
	buffer_load_dword v81, off, s[0:3], 0 offset:308
	buffer_load_dword v82, off, s[0:3], 0 offset:316
	buffer_load_dword v83, off, s[0:3], 0 offset:224
	buffer_load_dword v84, off, s[0:3], 0 offset:232
	buffer_load_dword v85, off, s[0:3], 0 offset:240
	buffer_load_dword v86, off, s[0:3], 0 offset:248
	buffer_load_dword v87, off, s[0:3], 0 offset:256
	buffer_load_dword v88, off, s[0:3], 0 offset:264
	buffer_load_dword v89, off, s[0:3], 0 offset:272
	buffer_load_dword v90, off, s[0:3], 0 offset:280
	buffer_load_dword v91, off, s[0:3], 0 offset:288
	buffer_load_dword v92, off, s[0:3], 0 offset:296
	buffer_load_dword v93, off, s[0:3], 0 offset:304
	buffer_load_dword v94, off, s[0:3], 0 offset:312
	buffer_load_dword v95, off, s[0:3], 0 offset:324
	buffer_load_dword v96, off, s[0:3], 0 offset:320
	buffer_load_dword v97, off, s[0:3], 0 offset:332
	buffer_load_dword v98, off, s[0:3], 0 offset:328
	buffer_load_dword v99, off, s[0:3], 0 offset:340
	buffer_load_dword v100, off, s[0:3], 0 offset:336
	buffer_load_dword v101, off, s[0:3], 0 offset:348
	buffer_load_dword v104, off, s[0:3], 0 offset:344
	buffer_load_dword v105, off, s[0:3], 0 offset:356
	buffer_load_dword v106, off, s[0:3], 0 offset:352
	buffer_load_dword v107, off, s[0:3], 0 offset:364
	buffer_load_dword v108, off, s[0:3], 0 offset:360
	buffer_load_dword v109, off, s[0:3], 0 offset:372
	buffer_load_dword v110, off, s[0:3], 0 offset:368
	buffer_load_dword v111, off, s[0:3], 0 offset:380
	buffer_load_dword v112, off, s[0:3], 0 offset:376
	buffer_load_dword v113, off, s[0:3], 0 offset:384
	buffer_load_dword v114, off, s[0:3], 0 offset:388
	buffer_load_dword v2, off, s[0:3], 0 offset:216
	buffer_load_dword v3, off, s[0:3], 0 offset:220
	buffer_load_dword v115, off, s[0:3], 0 offset:396
	buffer_load_dword v116, off, s[0:3], 0 offset:392
	buffer_load_dword v117, off, s[0:3], 0 offset:404
	buffer_load_dword v118, off, s[0:3], 0 offset:400
	v_mov_b32_e32 v1, 0
	ds_read_b128 v[4:7], v1 offset:704
	ds_read_b128 v[8:11], v1 offset:720
	;; [unrolled: 1-line block ×6, first 2 shown]
	v_cmp_lt_u32_e32 vcc, 26, v0
	s_waitcnt vmcnt(47) lgkmcnt(5)
	v_mul_f32_e32 v28, v4, v52
	s_waitcnt vmcnt(46)
	v_mul_f32_e32 v29, v6, v54
	s_waitcnt vmcnt(45) lgkmcnt(4)
	v_mul_f32_e32 v30, v8, v56
	s_waitcnt vmcnt(44)
	v_mul_f32_e32 v31, v10, v74
	;; [unrolled: 4-line block ×6, first 2 shown]
	s_waitcnt vmcnt(35)
	v_fmac_f32_e32 v28, v5, v83
	s_waitcnt vmcnt(34)
	v_fmac_f32_e32 v29, v7, v84
	v_add_f32_e32 v28, 0, v28
	s_waitcnt vmcnt(33)
	v_fmac_f32_e32 v30, v9, v85
	v_add_f32_e32 v28, v28, v29
	;; [unrolled: 3-line block ×8, first 2 shown]
	v_add_f32_e32 v32, v28, v36
	ds_read_b128 v[28:31], v1 offset:800
	s_waitcnt vmcnt(26)
	v_fmac_f32_e32 v37, v23, v92
	s_waitcnt vmcnt(25)
	v_fmac_f32_e32 v38, v25, v93
	v_add_f32_e32 v32, v32, v37
	s_waitcnt vmcnt(24)
	v_fmac_f32_e32 v39, v27, v94
	v_add_f32_e32 v32, v32, v38
	v_add_f32_e32 v36, v32, v39
	ds_read_b128 v[32:35], v1 offset:816
	s_waitcnt vmcnt(23) lgkmcnt(1)
	v_mul_f32_e32 v37, v28, v95
	s_waitcnt vmcnt(22)
	v_fmac_f32_e32 v37, v29, v96
	v_add_f32_e32 v36, v36, v37
	s_waitcnt vmcnt(21)
	v_mul_f32_e32 v37, v30, v97
	s_waitcnt vmcnt(20)
	v_fmac_f32_e32 v37, v31, v98
	v_add_f32_e32 v36, v36, v37
	s_waitcnt vmcnt(19) lgkmcnt(0)
	v_mul_f32_e32 v37, v32, v99
	s_waitcnt vmcnt(18)
	v_fmac_f32_e32 v37, v33, v100
	v_add_f32_e32 v40, v36, v37
	ds_read_b128 v[36:39], v1 offset:832
	s_waitcnt vmcnt(17)
	v_mul_f32_e32 v41, v34, v101
	s_waitcnt vmcnt(16)
	v_fmac_f32_e32 v41, v35, v104
	v_add_f32_e32 v44, v40, v41
	ds_read_b128 v[40:43], v1 offset:848
	s_waitcnt vmcnt(15) lgkmcnt(1)
	v_mul_f32_e32 v45, v36, v105
	s_waitcnt vmcnt(14)
	v_fmac_f32_e32 v45, v37, v106
	v_add_f32_e32 v44, v44, v45
	s_waitcnt vmcnt(13)
	v_mul_f32_e32 v45, v38, v107
	s_waitcnt vmcnt(12)
	v_fmac_f32_e32 v45, v39, v108
	v_add_f32_e32 v44, v44, v45
	s_waitcnt vmcnt(11) lgkmcnt(0)
	v_mul_f32_e32 v45, v40, v109
	s_waitcnt vmcnt(10)
	v_fmac_f32_e32 v45, v41, v110
	s_waitcnt vmcnt(9)
	v_mul_f32_e32 v49, v42, v111
	v_add_f32_e32 v48, v44, v45
	s_waitcnt vmcnt(8)
	v_fmac_f32_e32 v49, v43, v112
	ds_read_b128 v[44:47], v1 offset:864
	v_add_f32_e32 v53, v48, v49
	ds_read_b128 v[48:51], v1 offset:880
	buffer_load_dword v59, off, s[0:3], 0 offset:436
	buffer_load_dword v58, off, s[0:3], 0 offset:432
	buffer_load_dword v61, off, s[0:3], 0 offset:428
	buffer_load_dword v60, off, s[0:3], 0 offset:424
	buffer_load_dword v63, off, s[0:3], 0 offset:420
	buffer_load_dword v62, off, s[0:3], 0 offset:416
	buffer_load_dword v65, off, s[0:3], 0 offset:412
	buffer_load_dword v64, off, s[0:3], 0 offset:408
	buffer_load_dword v67, off, s[0:3], 0 offset:468
	buffer_load_dword v66, off, s[0:3], 0 offset:464
	buffer_load_dword v69, off, s[0:3], 0 offset:460
	buffer_load_dword v68, off, s[0:3], 0 offset:456
	buffer_load_dword v71, off, s[0:3], 0 offset:452
	buffer_load_dword v70, off, s[0:3], 0 offset:448
	buffer_load_dword v73, off, s[0:3], 0 offset:444
	buffer_load_dword v72, off, s[0:3], 0 offset:440
	v_mul_f32_e32 v5, v5, v52
	v_fma_f32 v4, v4, v83, -v5
	v_mul_f32_e32 v5, v7, v54
	v_add_f32_e32 v4, 0, v4
	v_fma_f32 v5, v6, v84, -v5
	v_add_f32_e32 v4, v4, v5
	v_mul_f32_e32 v5, v9, v56
	v_fma_f32 v5, v8, v85, -v5
	v_add_f32_e32 v4, v4, v5
	v_mul_f32_e32 v5, v11, v74
	;; [unrolled: 3-line block ×18, first 2 shown]
	v_fma_f32 v5, v42, v112, -v5
	v_add_f32_e32 v4, v4, v5
	s_waitcnt vmcnt(22) lgkmcnt(1)
	v_mul_f32_e32 v5, v45, v114
	v_mul_f32_e32 v55, v44, v114
	v_fma_f32 v5, v44, v113, -v5
	v_fmac_f32_e32 v55, v45, v113
	v_add_f32_e32 v52, v4, v5
	s_waitcnt vmcnt(19)
	v_mul_f32_e32 v4, v47, v115
	v_add_f32_e32 v53, v53, v55
	v_mul_f32_e32 v55, v46, v115
	s_waitcnt vmcnt(18)
	v_fma_f32 v54, v46, v116, -v4
	s_waitcnt vmcnt(17) lgkmcnt(0)
	v_mul_f32_e32 v4, v49, v117
	s_waitcnt vmcnt(9)
	v_mov_b32_e32 v20, v65
	v_pk_mul_f32 v[20:21], v[50:51], v[20:21] op_sel_hi:[1,0]
	v_fmac_f32_e32 v55, v47, v116
	v_mul_f32_e32 v57, v48, v117
	v_fma_f32 v56, v48, v118, -v4
	ds_read_b128 v[4:7], v1 offset:896
	ds_read_b128 v[8:11], v1 offset:912
	ds_read_b128 v[12:15], v1 offset:928
	ds_read_b64 v[16:17], v1 offset:944
	s_waitcnt vmcnt(8)
	v_pk_fma_f32 v[22:23], v[50:51], v[64:65], v[20:21] op_sel:[0,0,1] op_sel_hi:[1,1,0] neg_lo:[0,0,1] neg_hi:[0,0,1]
	v_pk_fma_f32 v[20:21], v[50:51], v[64:65], v[20:21] op_sel:[0,0,1] op_sel_hi:[1,0,0]
	v_fmac_f32_e32 v57, v49, v118
	v_pk_add_f32 v[18:19], v[52:53], v[54:55]
	v_mov_b32_e32 v20, v63
	v_pk_add_f32 v[18:19], v[18:19], v[56:57]
	v_mov_b32_e32 v23, v21
	s_waitcnt lgkmcnt(3)
	v_pk_mul_f32 v[20:21], v[4:5], v[20:21] op_sel_hi:[1,0]
	v_pk_add_f32 v[18:19], v[18:19], v[22:23]
	v_pk_fma_f32 v[22:23], v[4:5], v[62:63], v[20:21] op_sel:[0,0,1] op_sel_hi:[1,1,0] neg_lo:[0,0,1] neg_hi:[0,0,1]
	v_pk_fma_f32 v[4:5], v[4:5], v[62:63], v[20:21] op_sel:[0,0,1] op_sel_hi:[1,0,0]
	v_mov_b32_e32 v23, v5
	v_pk_add_f32 v[4:5], v[18:19], v[22:23]
	v_mov_b32_e32 v18, v61
	v_pk_mul_f32 v[18:19], v[6:7], v[18:19] op_sel_hi:[1,0]
	v_pk_fma_f32 v[20:21], v[6:7], v[60:61], v[18:19] op_sel:[0,0,1] op_sel_hi:[1,1,0] neg_lo:[0,0,1] neg_hi:[0,0,1]
	v_pk_fma_f32 v[6:7], v[6:7], v[60:61], v[18:19] op_sel:[0,0,1] op_sel_hi:[1,0,0]
	v_mov_b32_e32 v6, v59
	v_mov_b32_e32 v21, v7
	s_waitcnt lgkmcnt(2)
	v_pk_mul_f32 v[6:7], v[8:9], v[6:7] op_sel_hi:[1,0]
	v_pk_fma_f32 v[18:19], v[8:9], v[58:59], v[6:7] op_sel:[0,0,1] op_sel_hi:[1,1,0] neg_lo:[0,0,1] neg_hi:[0,0,1]
	v_pk_fma_f32 v[6:7], v[8:9], v[58:59], v[6:7] op_sel:[0,0,1] op_sel_hi:[1,0,0]
	s_waitcnt vmcnt(1)
	v_mov_b32_e32 v6, v73
	v_mov_b32_e32 v19, v7
	v_pk_mul_f32 v[6:7], v[10:11], v[6:7] op_sel_hi:[1,0]
	s_waitcnt vmcnt(0)
	v_pk_fma_f32 v[8:9], v[10:11], v[72:73], v[6:7] op_sel:[0,0,1] op_sel_hi:[1,1,0] neg_lo:[0,0,1] neg_hi:[0,0,1]
	v_pk_fma_f32 v[6:7], v[10:11], v[72:73], v[6:7] op_sel:[0,0,1] op_sel_hi:[1,0,0]
	v_pk_add_f32 v[4:5], v[4:5], v[20:21]
	v_mov_b32_e32 v6, v71
	v_pk_add_f32 v[4:5], v[4:5], v[18:19]
	v_mov_b32_e32 v9, v7
	s_waitcnt lgkmcnt(1)
	v_pk_mul_f32 v[6:7], v[12:13], v[6:7] op_sel_hi:[1,0]
	v_pk_add_f32 v[4:5], v[4:5], v[8:9]
	v_pk_fma_f32 v[8:9], v[12:13], v[70:71], v[6:7] op_sel:[0,0,1] op_sel_hi:[1,1,0] neg_lo:[0,0,1] neg_hi:[0,0,1]
	v_pk_fma_f32 v[6:7], v[12:13], v[70:71], v[6:7] op_sel:[0,0,1] op_sel_hi:[1,0,0]
	v_mov_b32_e32 v6, v69
	v_mov_b32_e32 v9, v7
	v_pk_mul_f32 v[6:7], v[14:15], v[6:7] op_sel_hi:[1,0]
	v_pk_add_f32 v[4:5], v[4:5], v[8:9]
	v_pk_fma_f32 v[8:9], v[14:15], v[68:69], v[6:7] op_sel:[0,0,1] op_sel_hi:[1,1,0] neg_lo:[0,0,1] neg_hi:[0,0,1]
	v_pk_fma_f32 v[6:7], v[14:15], v[68:69], v[6:7] op_sel:[0,0,1] op_sel_hi:[1,0,0]
	v_mov_b32_e32 v6, v67
	v_mov_b32_e32 v9, v7
	s_waitcnt lgkmcnt(0)
	v_pk_mul_f32 v[6:7], v[16:17], v[6:7] op_sel_hi:[1,0]
	v_pk_add_f32 v[4:5], v[4:5], v[8:9]
	v_pk_fma_f32 v[8:9], v[16:17], v[66:67], v[6:7] op_sel:[0,0,1] op_sel_hi:[1,1,0] neg_lo:[0,0,1] neg_hi:[0,0,1]
	v_pk_fma_f32 v[6:7], v[16:17], v[66:67], v[6:7] op_sel:[0,0,1] op_sel_hi:[1,0,0]
	v_mov_b32_e32 v9, v7
	v_pk_add_f32 v[4:5], v[4:5], v[8:9]
	v_pk_add_f32 v[2:3], v[2:3], v[4:5] neg_lo:[0,1] neg_hi:[0,1]
	buffer_store_dword v3, off, s[0:3], 0 offset:220
	buffer_store_dword v2, off, s[0:3], 0 offset:216
	s_and_saveexec_b64 s[4:5], vcc
	s_cbranch_execz .LBB58_315
; %bb.314:
	buffer_load_dword v2, off, s[0:3], 0 offset:208
	buffer_load_dword v3, off, s[0:3], 0 offset:212
	s_waitcnt vmcnt(0)
	ds_write_b64 v187, v[2:3]
	buffer_store_dword v1, off, s[0:3], 0 offset:208
	buffer_store_dword v1, off, s[0:3], 0 offset:212
.LBB58_315:
	s_or_b64 exec, exec, s[4:5]
	s_waitcnt lgkmcnt(0)
	; wave barrier
	s_waitcnt lgkmcnt(0)
	buffer_load_dword v52, off, s[0:3], 0 offset:220
	buffer_load_dword v54, off, s[0:3], 0 offset:228
	;; [unrolled: 1-line block ×48, first 2 shown]
	ds_read2_b64 v[4:7], v1 offset0:87 offset1:88
	ds_read2_b64 v[8:11], v1 offset0:89 offset1:90
	ds_read2_b64 v[12:15], v1 offset0:91 offset1:92
	ds_read2_b64 v[16:19], v1 offset0:93 offset1:94
	ds_read2_b64 v[20:23], v1 offset0:95 offset1:96
	ds_read2_b64 v[24:27], v1 offset0:97 offset1:98
	buffer_load_dword v119, off, s[0:3], 0 offset:400
	buffer_load_dword v120, off, s[0:3], 0 offset:404
	v_cmp_lt_u32_e32 vcc, 25, v0
	s_waitcnt vmcnt(49) lgkmcnt(5)
	v_mul_f32_e32 v28, v4, v52
	s_waitcnt vmcnt(48)
	v_mul_f32_e32 v29, v6, v54
	s_waitcnt vmcnt(47) lgkmcnt(4)
	v_mul_f32_e32 v30, v8, v62
	s_waitcnt vmcnt(46)
	v_mul_f32_e32 v31, v10, v74
	s_waitcnt vmcnt(45) lgkmcnt(3)
	v_mul_f32_e32 v32, v12, v75
	s_waitcnt vmcnt(44)
	v_mul_f32_e32 v33, v14, v76
	s_waitcnt vmcnt(43) lgkmcnt(2)
	v_mul_f32_e32 v34, v16, v77
	s_waitcnt vmcnt(42)
	v_mul_f32_e32 v35, v18, v78
	s_waitcnt vmcnt(41) lgkmcnt(1)
	v_mul_f32_e32 v36, v20, v79
	s_waitcnt vmcnt(40)
	v_mul_f32_e32 v37, v22, v80
	s_waitcnt vmcnt(39) lgkmcnt(0)
	v_mul_f32_e32 v38, v24, v81
	s_waitcnt vmcnt(38)
	v_mul_f32_e32 v39, v26, v82
	s_waitcnt vmcnt(37)
	v_fmac_f32_e32 v28, v5, v83
	s_waitcnt vmcnt(36)
	v_fmac_f32_e32 v29, v7, v84
	v_add_f32_e32 v28, 0, v28
	s_waitcnt vmcnt(35)
	v_fmac_f32_e32 v30, v9, v85
	v_add_f32_e32 v28, v28, v29
	;; [unrolled: 3-line block ×9, first 2 shown]
	v_add_f32_e32 v32, v28, v37
	ds_read2_b64 v[28:31], v1 offset0:99 offset1:100
	s_waitcnt vmcnt(27)
	v_fmac_f32_e32 v38, v25, v93
	v_add_f32_e32 v32, v32, v38
	s_waitcnt vmcnt(26)
	v_fmac_f32_e32 v39, v27, v94
	v_add_f32_e32 v36, v32, v39
	ds_read2_b64 v[32:35], v1 offset0:101 offset1:102
	s_waitcnt vmcnt(25) lgkmcnt(1)
	v_mul_f32_e32 v37, v28, v95
	s_waitcnt vmcnt(24)
	v_fmac_f32_e32 v37, v29, v96
	v_add_f32_e32 v36, v36, v37
	s_waitcnt vmcnt(23)
	v_mul_f32_e32 v37, v30, v97
	s_waitcnt vmcnt(22)
	v_fmac_f32_e32 v37, v31, v98
	v_add_f32_e32 v36, v36, v37
	s_waitcnt vmcnt(21) lgkmcnt(0)
	v_mul_f32_e32 v37, v32, v99
	s_waitcnt vmcnt(20)
	v_fmac_f32_e32 v37, v33, v100
	v_add_f32_e32 v40, v36, v37
	ds_read2_b64 v[36:39], v1 offset0:103 offset1:104
	s_waitcnt vmcnt(19)
	v_mul_f32_e32 v41, v34, v101
	s_waitcnt vmcnt(18)
	v_fmac_f32_e32 v41, v35, v104
	v_add_f32_e32 v44, v40, v41
	ds_read2_b64 v[40:43], v1 offset0:105 offset1:106
	s_waitcnt vmcnt(17) lgkmcnt(1)
	v_mul_f32_e32 v45, v36, v105
	s_waitcnt vmcnt(16)
	v_fmac_f32_e32 v45, v37, v106
	v_add_f32_e32 v44, v44, v45
	s_waitcnt vmcnt(15)
	v_mul_f32_e32 v45, v38, v107
	s_waitcnt vmcnt(14)
	v_fmac_f32_e32 v45, v39, v108
	v_add_f32_e32 v44, v44, v45
	s_waitcnt vmcnt(13) lgkmcnt(0)
	v_mul_f32_e32 v45, v40, v109
	s_waitcnt vmcnt(12)
	v_fmac_f32_e32 v45, v41, v110
	s_waitcnt vmcnt(11)
	v_mul_f32_e32 v49, v42, v111
	v_add_f32_e32 v48, v44, v45
	s_waitcnt vmcnt(10)
	v_fmac_f32_e32 v49, v43, v112
	ds_read2_b64 v[44:47], v1 offset0:107 offset1:108
	v_add_f32_e32 v53, v48, v49
	ds_read2_b64 v[48:51], v1 offset0:109 offset1:110
	buffer_load_dword v57, off, s[0:3], 0 offset:428
	buffer_load_dword v56, off, s[0:3], 0 offset:424
	buffer_load_dword v59, off, s[0:3], 0 offset:420
	buffer_load_dword v58, off, s[0:3], 0 offset:416
	buffer_load_dword v61, off, s[0:3], 0 offset:412
	buffer_load_dword v60, off, s[0:3], 0 offset:408
	buffer_load_dword v65, off, s[0:3], 0 offset:460
	buffer_load_dword v64, off, s[0:3], 0 offset:456
	buffer_load_dword v67, off, s[0:3], 0 offset:452
	buffer_load_dword v66, off, s[0:3], 0 offset:448
	buffer_load_dword v69, off, s[0:3], 0 offset:444
	buffer_load_dword v68, off, s[0:3], 0 offset:440
	buffer_load_dword v71, off, s[0:3], 0 offset:436
	buffer_load_dword v70, off, s[0:3], 0 offset:432
	buffer_load_dword v73, off, s[0:3], 0 offset:468
	buffer_load_dword v72, off, s[0:3], 0 offset:464
	v_mul_f32_e32 v5, v5, v52
	v_fma_f32 v4, v4, v83, -v5
	v_mul_f32_e32 v5, v7, v54
	v_add_f32_e32 v4, 0, v4
	v_fma_f32 v5, v6, v84, -v5
	v_add_f32_e32 v4, v4, v5
	v_mul_f32_e32 v5, v9, v62
	v_fma_f32 v5, v8, v85, -v5
	v_add_f32_e32 v4, v4, v5
	v_mul_f32_e32 v5, v11, v74
	;; [unrolled: 3-line block ×18, first 2 shown]
	v_fma_f32 v5, v42, v112, -v5
	v_add_f32_e32 v4, v4, v5
	s_waitcnt vmcnt(23) lgkmcnt(1)
	v_mul_f32_e32 v5, v45, v113
	s_waitcnt vmcnt(22)
	v_fma_f32 v5, v44, v114, -v5
	v_add_f32_e32 v4, v4, v5
	s_waitcnt vmcnt(20)
	v_mul_f32_e32 v5, v47, v116
	v_mul_f32_e32 v55, v44, v113
	v_fma_f32 v5, v46, v115, -v5
	v_fmac_f32_e32 v55, v45, v114
	v_add_f32_e32 v52, v4, v5
	s_waitcnt vmcnt(18) lgkmcnt(0)
	v_mul_f32_e32 v4, v49, v118
	v_add_f32_e32 v53, v53, v55
	v_mul_f32_e32 v55, v46, v116
	v_fma_f32 v54, v48, v117, -v4
	s_waitcnt vmcnt(16)
	v_mul_f32_e32 v4, v51, v120
	v_fmac_f32_e32 v55, v47, v115
	v_fma_f32 v62, v50, v119, -v4
	ds_read2_b64 v[4:7], v1 offset0:111 offset1:112
	ds_read2_b64 v[8:11], v1 offset0:113 offset1:114
	;; [unrolled: 1-line block ×4, first 2 shown]
	v_add_f32_e32 v53, v53, v55
	v_mul_f32_e32 v55, v48, v118
	s_waitcnt vmcnt(11)
	v_mov_b32_e32 v22, v61
	v_fmac_f32_e32 v55, v49, v117
	v_mul_f32_e32 v63, v50, v120
	s_waitcnt lgkmcnt(3)
	v_pk_mul_f32 v[22:23], v[4:5], v[22:23] op_sel_hi:[1,0]
	v_fmac_f32_e32 v63, v51, v119
	v_pk_add_f32 v[20:21], v[52:53], v[54:55]
	s_waitcnt vmcnt(10)
	v_pk_fma_f32 v[24:25], v[4:5], v[60:61], v[22:23] op_sel:[0,0,1] op_sel_hi:[1,1,0] neg_lo:[0,0,1] neg_hi:[0,0,1]
	v_pk_fma_f32 v[4:5], v[4:5], v[60:61], v[22:23] op_sel:[0,0,1] op_sel_hi:[1,0,0]
	v_pk_add_f32 v[20:21], v[20:21], v[62:63]
	v_mov_b32_e32 v25, v5
	v_pk_add_f32 v[4:5], v[20:21], v[24:25]
	v_mov_b32_e32 v20, v59
	v_pk_mul_f32 v[20:21], v[6:7], v[20:21] op_sel_hi:[1,0]
	v_pk_fma_f32 v[22:23], v[6:7], v[58:59], v[20:21] op_sel:[0,0,1] op_sel_hi:[1,1,0] neg_lo:[0,0,1] neg_hi:[0,0,1]
	v_pk_fma_f32 v[6:7], v[6:7], v[58:59], v[20:21] op_sel:[0,0,1] op_sel_hi:[1,0,0]
	v_mov_b32_e32 v6, v57
	v_mov_b32_e32 v23, v7
	s_waitcnt lgkmcnt(2)
	v_pk_mul_f32 v[6:7], v[8:9], v[6:7] op_sel_hi:[1,0]
	v_pk_fma_f32 v[20:21], v[8:9], v[56:57], v[6:7] op_sel:[0,0,1] op_sel_hi:[1,1,0] neg_lo:[0,0,1] neg_hi:[0,0,1]
	v_pk_fma_f32 v[6:7], v[8:9], v[56:57], v[6:7] op_sel:[0,0,1] op_sel_hi:[1,0,0]
	s_waitcnt vmcnt(3)
	v_mov_b32_e32 v6, v71
	v_mov_b32_e32 v21, v7
	v_pk_mul_f32 v[6:7], v[10:11], v[6:7] op_sel_hi:[1,0]
	s_waitcnt vmcnt(2)
	v_pk_fma_f32 v[8:9], v[10:11], v[70:71], v[6:7] op_sel:[0,0,1] op_sel_hi:[1,1,0] neg_lo:[0,0,1] neg_hi:[0,0,1]
	v_pk_fma_f32 v[6:7], v[10:11], v[70:71], v[6:7] op_sel:[0,0,1] op_sel_hi:[1,0,0]
	v_pk_add_f32 v[4:5], v[4:5], v[22:23]
	v_mov_b32_e32 v6, v69
	v_pk_add_f32 v[4:5], v[4:5], v[20:21]
	v_mov_b32_e32 v9, v7
	s_waitcnt lgkmcnt(1)
	v_pk_mul_f32 v[6:7], v[12:13], v[6:7] op_sel_hi:[1,0]
	v_pk_add_f32 v[4:5], v[4:5], v[8:9]
	v_pk_fma_f32 v[8:9], v[12:13], v[68:69], v[6:7] op_sel:[0,0,1] op_sel_hi:[1,1,0] neg_lo:[0,0,1] neg_hi:[0,0,1]
	v_pk_fma_f32 v[6:7], v[12:13], v[68:69], v[6:7] op_sel:[0,0,1] op_sel_hi:[1,0,0]
	v_mov_b32_e32 v6, v67
	v_mov_b32_e32 v9, v7
	v_pk_mul_f32 v[6:7], v[14:15], v[6:7] op_sel_hi:[1,0]
	v_pk_add_f32 v[4:5], v[4:5], v[8:9]
	v_pk_fma_f32 v[8:9], v[14:15], v[66:67], v[6:7] op_sel:[0,0,1] op_sel_hi:[1,1,0] neg_lo:[0,0,1] neg_hi:[0,0,1]
	v_pk_fma_f32 v[6:7], v[14:15], v[66:67], v[6:7] op_sel:[0,0,1] op_sel_hi:[1,0,0]
	v_mov_b32_e32 v6, v65
	v_mov_b32_e32 v9, v7
	s_waitcnt lgkmcnt(0)
	v_pk_mul_f32 v[6:7], v[16:17], v[6:7] op_sel_hi:[1,0]
	v_pk_add_f32 v[4:5], v[4:5], v[8:9]
	v_pk_fma_f32 v[8:9], v[16:17], v[64:65], v[6:7] op_sel:[0,0,1] op_sel_hi:[1,1,0] neg_lo:[0,0,1] neg_hi:[0,0,1]
	v_pk_fma_f32 v[6:7], v[16:17], v[64:65], v[6:7] op_sel:[0,0,1] op_sel_hi:[1,0,0]
	s_waitcnt vmcnt(1)
	v_mov_b32_e32 v6, v73
	v_mov_b32_e32 v9, v7
	v_pk_mul_f32 v[6:7], v[18:19], v[6:7] op_sel_hi:[1,0]
	v_pk_add_f32 v[4:5], v[4:5], v[8:9]
	s_waitcnt vmcnt(0)
	v_pk_fma_f32 v[8:9], v[18:19], v[72:73], v[6:7] op_sel:[0,0,1] op_sel_hi:[1,1,0] neg_lo:[0,0,1] neg_hi:[0,0,1]
	v_pk_fma_f32 v[6:7], v[18:19], v[72:73], v[6:7] op_sel:[0,0,1] op_sel_hi:[1,0,0]
	v_mov_b32_e32 v9, v7
	v_pk_add_f32 v[4:5], v[4:5], v[8:9]
	v_pk_add_f32 v[2:3], v[2:3], v[4:5] neg_lo:[0,1] neg_hi:[0,1]
	buffer_store_dword v3, off, s[0:3], 0 offset:212
	buffer_store_dword v2, off, s[0:3], 0 offset:208
	s_and_saveexec_b64 s[4:5], vcc
	s_cbranch_execz .LBB58_317
; %bb.316:
	buffer_load_dword v2, off, s[0:3], 0 offset:200
	buffer_load_dword v3, off, s[0:3], 0 offset:204
	v_mov_b32_e32 v1, 0
	buffer_store_dword v1, off, s[0:3], 0 offset:200
	buffer_store_dword v1, off, s[0:3], 0 offset:204
	s_waitcnt vmcnt(2)
	ds_write_b64 v187, v[2:3]
.LBB58_317:
	s_or_b64 exec, exec, s[4:5]
	s_waitcnt lgkmcnt(0)
	; wave barrier
	s_waitcnt lgkmcnt(0)
	buffer_load_dword v60, off, s[0:3], 0 offset:212
	buffer_load_dword v66, off, s[0:3], 0 offset:220
	;; [unrolled: 1-line block ×52, first 2 shown]
	v_mov_b32_e32 v1, 0
	ds_read_b128 v[4:7], v1 offset:688
	ds_read_b128 v[8:11], v1 offset:704
	;; [unrolled: 1-line block ×6, first 2 shown]
	v_cmp_lt_u32_e32 vcc, 24, v0
	s_waitcnt vmcnt(51) lgkmcnt(5)
	v_mul_f32_e32 v28, v4, v60
	s_waitcnt vmcnt(50)
	v_mul_f32_e32 v29, v6, v66
	s_waitcnt vmcnt(49) lgkmcnt(4)
	v_mul_f32_e32 v30, v8, v68
	s_waitcnt vmcnt(48)
	v_mul_f32_e32 v31, v10, v82
	;; [unrolled: 4-line block ×5, first 2 shown]
	s_waitcnt vmcnt(41) lgkmcnt(0)
	v_mul_f32_e32 v38, v24, v89
	s_waitcnt vmcnt(40)
	v_fmac_f32_e32 v28, v5, v90
	s_waitcnt vmcnt(39)
	v_fmac_f32_e32 v29, v7, v91
	v_add_f32_e32 v28, 0, v28
	s_waitcnt vmcnt(38)
	v_fmac_f32_e32 v30, v9, v92
	v_add_f32_e32 v28, v28, v29
	;; [unrolled: 3-line block ×9, first 2 shown]
	v_add_f32_e32 v28, v28, v37
	s_waitcnt vmcnt(30)
	v_fmac_f32_e32 v38, v25, v100
	v_add_f32_e32 v32, v28, v38
	ds_read_b128 v[28:31], v1 offset:784
	s_waitcnt vmcnt(29)
	v_mul_f32_e32 v33, v26, v101
	s_waitcnt vmcnt(28)
	v_fmac_f32_e32 v33, v27, v104
	v_add_f32_e32 v36, v32, v33
	ds_read_b128 v[32:35], v1 offset:800
	s_waitcnt vmcnt(27) lgkmcnt(1)
	v_mul_f32_e32 v37, v28, v105
	s_waitcnt vmcnt(26)
	v_fmac_f32_e32 v37, v29, v106
	v_add_f32_e32 v36, v36, v37
	s_waitcnt vmcnt(25)
	v_mul_f32_e32 v37, v30, v107
	s_waitcnt vmcnt(24)
	v_fmac_f32_e32 v37, v31, v108
	v_add_f32_e32 v36, v36, v37
	s_waitcnt vmcnt(23) lgkmcnt(0)
	v_mul_f32_e32 v37, v32, v109
	s_waitcnt vmcnt(22)
	v_fmac_f32_e32 v37, v33, v110
	v_add_f32_e32 v40, v36, v37
	ds_read_b128 v[36:39], v1 offset:816
	s_waitcnt vmcnt(21)
	v_mul_f32_e32 v41, v34, v111
	s_waitcnt vmcnt(20)
	v_fmac_f32_e32 v41, v35, v112
	v_add_f32_e32 v44, v40, v41
	ds_read_b128 v[40:43], v1 offset:832
	s_waitcnt vmcnt(19) lgkmcnt(1)
	v_mul_f32_e32 v45, v36, v113
	s_waitcnt vmcnt(18)
	v_fmac_f32_e32 v45, v37, v114
	v_add_f32_e32 v44, v44, v45
	s_waitcnt vmcnt(17)
	v_mul_f32_e32 v45, v38, v115
	s_waitcnt vmcnt(16)
	v_fmac_f32_e32 v45, v39, v116
	v_add_f32_e32 v44, v44, v45
	s_waitcnt vmcnt(14) lgkmcnt(0)
	v_mul_f32_e32 v45, v40, v118
	v_fmac_f32_e32 v45, v41, v117
	v_add_f32_e32 v48, v44, v45
	ds_read_b128 v[44:47], v1 offset:848
	s_waitcnt vmcnt(10)
	v_mul_f32_e32 v49, v42, v120
	v_fmac_f32_e32 v49, v43, v119
	v_add_f32_e32 v52, v48, v49
	ds_read_b128 v[48:51], v1 offset:864
	s_waitcnt vmcnt(8) lgkmcnt(1)
	v_mul_f32_e32 v53, v44, v122
	v_fmac_f32_e32 v53, v45, v121
	v_add_f32_e32 v52, v52, v53
	s_waitcnt vmcnt(6)
	v_mul_f32_e32 v53, v46, v124
	v_fmac_f32_e32 v53, v47, v123
	v_add_f32_e32 v52, v52, v53
	s_waitcnt vmcnt(4) lgkmcnt(0)
	v_mul_f32_e32 v53, v48, v126
	v_fmac_f32_e32 v53, v49, v125
	v_add_f32_e32 v61, v52, v53
	ds_read_b128 v[52:55], v1 offset:880
	buffer_load_dword v63, off, s[0:3], 0 offset:420
	buffer_load_dword v62, off, s[0:3], 0 offset:416
	;; [unrolled: 1-line block ×4, first 2 shown]
	ds_read_b128 v[56:59], v1 offset:896
	buffer_load_dword v71, off, s[0:3], 0 offset:452
	buffer_load_dword v70, off, s[0:3], 0 offset:448
	;; [unrolled: 1-line block ×12, first 2 shown]
	v_mul_f32_e32 v5, v5, v60
	v_fma_f32 v4, v4, v90, -v5
	v_mul_f32_e32 v5, v7, v66
	v_add_f32_e32 v4, 0, v4
	v_fma_f32 v5, v6, v91, -v5
	v_add_f32_e32 v4, v4, v5
	v_mul_f32_e32 v5, v9, v68
	v_fma_f32 v5, v8, v92, -v5
	v_add_f32_e32 v4, v4, v5
	v_mul_f32_e32 v5, v11, v82
	;; [unrolled: 3-line block ×21, first 2 shown]
	v_fma_f32 v5, v48, v125, -v5
	s_waitcnt vmcnt(18)
	v_mul_f32_e32 v67, v50, v128
	v_add_f32_e32 v60, v4, v5
	v_mul_f32_e32 v4, v51, v128
	v_fmac_f32_e32 v67, v51, v127
	s_waitcnt vmcnt(16) lgkmcnt(1)
	v_mul_f32_e32 v69, v52, v130
	v_fma_f32 v66, v50, v127, -v4
	v_mul_f32_e32 v4, v53, v130
	v_fmac_f32_e32 v69, v53, v129
	s_waitcnt vmcnt(13)
	v_mov_b32_e32 v16, v65
	v_pk_mul_f32 v[16:17], v[54:55], v[16:17] op_sel_hi:[1,0]
	s_waitcnt vmcnt(12)
	v_pk_fma_f32 v[18:19], v[54:55], v[64:65], v[16:17] op_sel:[0,0,1] op_sel_hi:[1,1,0] neg_lo:[0,0,1] neg_hi:[0,0,1]
	v_pk_fma_f32 v[16:17], v[54:55], v[64:65], v[16:17] op_sel:[0,0,1] op_sel_hi:[1,0,0]
	v_fma_f32 v68, v52, v129, -v4
	v_pk_add_f32 v[14:15], v[60:61], v[66:67]
	v_mov_b32_e32 v16, v63
	v_pk_add_f32 v[14:15], v[14:15], v[68:69]
	v_mov_b32_e32 v19, v17
	s_waitcnt lgkmcnt(0)
	v_pk_mul_f32 v[16:17], v[56:57], v[16:17] op_sel_hi:[1,0]
	v_pk_add_f32 v[14:15], v[14:15], v[18:19]
	v_pk_fma_f32 v[18:19], v[56:57], v[62:63], v[16:17] op_sel:[0,0,1] op_sel_hi:[1,1,0] neg_lo:[0,0,1] neg_hi:[0,0,1]
	v_pk_fma_f32 v[16:17], v[56:57], v[62:63], v[16:17] op_sel:[0,0,1] op_sel_hi:[1,0,0]
	s_waitcnt vmcnt(5)
	v_mov_b32_e32 v16, v77
	ds_read_b128 v[4:7], v1 offset:912
	ds_read_b128 v[8:11], v1 offset:928
	ds_read_b64 v[12:13], v1 offset:944
	v_mov_b32_e32 v19, v17
	v_pk_mul_f32 v[16:17], v[58:59], v[16:17] op_sel_hi:[1,0]
	v_pk_add_f32 v[14:15], v[14:15], v[18:19]
	s_waitcnt vmcnt(4)
	v_pk_fma_f32 v[18:19], v[58:59], v[76:77], v[16:17] op_sel:[0,0,1] op_sel_hi:[1,1,0] neg_lo:[0,0,1] neg_hi:[0,0,1]
	v_pk_fma_f32 v[16:17], v[58:59], v[76:77], v[16:17] op_sel:[0,0,1] op_sel_hi:[1,0,0]
	v_mov_b32_e32 v16, v75
	v_mov_b32_e32 v19, v17
	s_waitcnt lgkmcnt(2)
	v_pk_mul_f32 v[16:17], v[4:5], v[16:17] op_sel_hi:[1,0]
	v_pk_add_f32 v[14:15], v[14:15], v[18:19]
	v_pk_fma_f32 v[18:19], v[4:5], v[74:75], v[16:17] op_sel:[0,0,1] op_sel_hi:[1,1,0] neg_lo:[0,0,1] neg_hi:[0,0,1]
	v_pk_fma_f32 v[4:5], v[4:5], v[74:75], v[16:17] op_sel:[0,0,1] op_sel_hi:[1,0,0]
	v_mov_b32_e32 v19, v5
	v_pk_add_f32 v[4:5], v[14:15], v[18:19]
	v_mov_b32_e32 v14, v73
	v_pk_mul_f32 v[14:15], v[6:7], v[14:15] op_sel_hi:[1,0]
	v_pk_fma_f32 v[16:17], v[6:7], v[72:73], v[14:15] op_sel:[0,0,1] op_sel_hi:[1,1,0] neg_lo:[0,0,1] neg_hi:[0,0,1]
	v_pk_fma_f32 v[6:7], v[6:7], v[72:73], v[14:15] op_sel:[0,0,1] op_sel_hi:[1,0,0]
	v_mov_b32_e32 v6, v71
	v_mov_b32_e32 v17, v7
	s_waitcnt lgkmcnt(1)
	v_pk_mul_f32 v[6:7], v[8:9], v[6:7] op_sel_hi:[1,0]
	v_pk_fma_f32 v[14:15], v[8:9], v[70:71], v[6:7] op_sel:[0,0,1] op_sel_hi:[1,1,0] neg_lo:[0,0,1] neg_hi:[0,0,1]
	v_pk_fma_f32 v[6:7], v[8:9], v[70:71], v[6:7] op_sel:[0,0,1] op_sel_hi:[1,0,0]
	s_waitcnt vmcnt(1)
	v_mov_b32_e32 v6, v81
	v_mov_b32_e32 v15, v7
	v_pk_mul_f32 v[6:7], v[10:11], v[6:7] op_sel_hi:[1,0]
	s_waitcnt vmcnt(0)
	v_pk_fma_f32 v[8:9], v[10:11], v[80:81], v[6:7] op_sel:[0,0,1] op_sel_hi:[1,1,0] neg_lo:[0,0,1] neg_hi:[0,0,1]
	v_pk_fma_f32 v[6:7], v[10:11], v[80:81], v[6:7] op_sel:[0,0,1] op_sel_hi:[1,0,0]
	v_pk_add_f32 v[4:5], v[4:5], v[16:17]
	v_mov_b32_e32 v6, v79
	v_pk_add_f32 v[4:5], v[4:5], v[14:15]
	v_mov_b32_e32 v9, v7
	s_waitcnt lgkmcnt(0)
	v_pk_mul_f32 v[6:7], v[12:13], v[6:7] op_sel_hi:[1,0]
	v_pk_add_f32 v[4:5], v[4:5], v[8:9]
	v_pk_fma_f32 v[8:9], v[12:13], v[78:79], v[6:7] op_sel:[0,0,1] op_sel_hi:[1,1,0] neg_lo:[0,0,1] neg_hi:[0,0,1]
	v_pk_fma_f32 v[6:7], v[12:13], v[78:79], v[6:7] op_sel:[0,0,1] op_sel_hi:[1,0,0]
	v_mov_b32_e32 v9, v7
	v_pk_add_f32 v[4:5], v[4:5], v[8:9]
	v_pk_add_f32 v[2:3], v[2:3], v[4:5] neg_lo:[0,1] neg_hi:[0,1]
	buffer_store_dword v3, off, s[0:3], 0 offset:204
	buffer_store_dword v2, off, s[0:3], 0 offset:200
	s_and_saveexec_b64 s[4:5], vcc
	s_cbranch_execz .LBB58_319
; %bb.318:
	buffer_load_dword v2, off, s[0:3], 0 offset:192
	buffer_load_dword v3, off, s[0:3], 0 offset:196
	s_waitcnt vmcnt(0)
	ds_write_b64 v187, v[2:3]
	buffer_store_dword v1, off, s[0:3], 0 offset:192
	buffer_store_dword v1, off, s[0:3], 0 offset:196
.LBB58_319:
	s_or_b64 exec, exec, s[4:5]
	s_waitcnt lgkmcnt(0)
	; wave barrier
	s_waitcnt lgkmcnt(0)
	buffer_load_dword v62, off, s[0:3], 0 offset:204
	buffer_load_dword v64, off, s[0:3], 0 offset:212
	;; [unrolled: 1-line block ×42, first 2 shown]
	ds_read2_b64 v[4:7], v1 offset0:85 offset1:86
	ds_read2_b64 v[8:11], v1 offset0:87 offset1:88
	buffer_load_dword v121, off, s[0:3], 0 offset:360
	buffer_load_dword v122, off, s[0:3], 0 offset:364
	ds_read2_b64 v[12:15], v1 offset0:89 offset1:90
	ds_read2_b64 v[16:19], v1 offset0:91 offset1:92
	buffer_load_dword v123, off, s[0:3], 0 offset:368
	buffer_load_dword v124, off, s[0:3], 0 offset:372
	;; [unrolled: 1-line block ×4, first 2 shown]
	ds_read2_b64 v[20:23], v1 offset0:93 offset1:94
	ds_read2_b64 v[24:27], v1 offset0:95 offset1:96
	buffer_load_dword v127, off, s[0:3], 0 offset:384
	buffer_load_dword v128, off, s[0:3], 0 offset:388
	;; [unrolled: 1-line block ×6, first 2 shown]
	v_cmp_lt_u32_e32 vcc, 23, v0
	s_waitcnt vmcnt(53) lgkmcnt(5)
	v_mul_f32_e32 v28, v4, v62
	s_waitcnt vmcnt(52)
	v_mul_f32_e32 v29, v6, v64
	s_waitcnt vmcnt(51) lgkmcnt(4)
	v_mul_f32_e32 v30, v8, v66
	s_waitcnt vmcnt(50)
	v_mul_f32_e32 v31, v10, v82
	;; [unrolled: 4-line block ×5, first 2 shown]
	s_waitcnt vmcnt(43)
	v_fmac_f32_e32 v28, v5, v89
	s_waitcnt vmcnt(42)
	v_fmac_f32_e32 v29, v7, v90
	v_add_f32_e32 v28, 0, v28
	s_waitcnt vmcnt(41)
	v_fmac_f32_e32 v30, v9, v91
	v_add_f32_e32 v28, v28, v29
	;; [unrolled: 3-line block ×9, first 2 shown]
	s_waitcnt vmcnt(33) lgkmcnt(0)
	v_mul_f32_e32 v29, v24, v99
	v_add_f32_e32 v28, v28, v37
	s_waitcnt vmcnt(32)
	v_fmac_f32_e32 v29, v25, v100
	v_add_f32_e32 v32, v28, v29
	ds_read2_b64 v[28:31], v1 offset0:97 offset1:98
	s_waitcnt vmcnt(31)
	v_mul_f32_e32 v33, v26, v101
	s_waitcnt vmcnt(30)
	v_fmac_f32_e32 v33, v27, v104
	v_add_f32_e32 v36, v32, v33
	ds_read2_b64 v[32:35], v1 offset0:99 offset1:100
	s_waitcnt vmcnt(29) lgkmcnt(1)
	v_mul_f32_e32 v37, v28, v105
	s_waitcnt vmcnt(28)
	v_fmac_f32_e32 v37, v29, v106
	v_add_f32_e32 v36, v36, v37
	s_waitcnt vmcnt(27)
	v_mul_f32_e32 v37, v30, v107
	s_waitcnt vmcnt(26)
	v_fmac_f32_e32 v37, v31, v108
	v_add_f32_e32 v36, v36, v37
	s_waitcnt vmcnt(25) lgkmcnt(0)
	v_mul_f32_e32 v37, v32, v109
	s_waitcnt vmcnt(24)
	v_fmac_f32_e32 v37, v33, v110
	v_add_f32_e32 v40, v36, v37
	ds_read2_b64 v[36:39], v1 offset0:101 offset1:102
	s_waitcnt vmcnt(23)
	v_mul_f32_e32 v41, v34, v111
	s_waitcnt vmcnt(22)
	v_fmac_f32_e32 v41, v35, v112
	v_add_f32_e32 v44, v40, v41
	ds_read2_b64 v[40:43], v1 offset0:103 offset1:104
	s_waitcnt vmcnt(21) lgkmcnt(1)
	v_mul_f32_e32 v45, v36, v113
	s_waitcnt vmcnt(20)
	v_fmac_f32_e32 v45, v37, v114
	v_add_f32_e32 v44, v44, v45
	s_waitcnt vmcnt(18)
	v_mul_f32_e32 v45, v38, v116
	v_fmac_f32_e32 v45, v39, v115
	v_add_f32_e32 v44, v44, v45
	s_waitcnt vmcnt(15) lgkmcnt(0)
	v_mul_f32_e32 v45, v40, v117
	s_waitcnt vmcnt(14)
	v_fmac_f32_e32 v45, v41, v118
	v_add_f32_e32 v48, v44, v45
	ds_read2_b64 v[44:47], v1 offset0:105 offset1:106
	s_waitcnt vmcnt(12)
	v_mul_f32_e32 v49, v42, v120
	v_fmac_f32_e32 v49, v43, v119
	v_add_f32_e32 v52, v48, v49
	ds_read2_b64 v[48:51], v1 offset0:107 offset1:108
	buffer_load_dword v61, off, s[0:3], 0 offset:412
	buffer_load_dword v60, off, s[0:3], 0 offset:408
	s_waitcnt vmcnt(12) lgkmcnt(1)
	v_mul_f32_e32 v53, v44, v122
	v_fmac_f32_e32 v53, v45, v121
	v_add_f32_e32 v52, v52, v53
	s_waitcnt vmcnt(10)
	v_mul_f32_e32 v53, v46, v124
	v_fmac_f32_e32 v53, v47, v123
	v_add_f32_e32 v52, v52, v53
	s_waitcnt vmcnt(8) lgkmcnt(0)
	v_mul_f32_e32 v53, v48, v126
	v_fmac_f32_e32 v53, v49, v125
	s_waitcnt vmcnt(6)
	v_mul_f32_e32 v57, v50, v128
	v_add_f32_e32 v56, v52, v53
	v_fmac_f32_e32 v57, v51, v127
	ds_read2_b64 v[52:55], v1 offset0:109 offset1:110
	v_add_f32_e32 v63, v56, v57
	ds_read2_b64 v[56:59], v1 offset0:111 offset1:112
	buffer_load_dword v69, off, s[0:3], 0 offset:444
	buffer_load_dword v68, off, s[0:3], 0 offset:440
	;; [unrolled: 1-line block ×14, first 2 shown]
	v_mul_f32_e32 v5, v5, v62
	v_fma_f32 v4, v4, v89, -v5
	v_mul_f32_e32 v5, v7, v64
	v_add_f32_e32 v4, 0, v4
	v_fma_f32 v5, v6, v90, -v5
	v_add_f32_e32 v4, v4, v5
	v_mul_f32_e32 v5, v9, v66
	v_fma_f32 v5, v8, v91, -v5
	v_add_f32_e32 v4, v4, v5
	v_mul_f32_e32 v5, v11, v82
	;; [unrolled: 3-line block ×22, first 2 shown]
	v_fma_f32 v5, v50, v127, -v5
	s_waitcnt vmcnt(15)
	v_mov_b32_e32 v18, v61
	s_waitcnt lgkmcnt(1)
	v_mul_f32_e32 v65, v52, v130
	v_add_f32_e32 v62, v4, v5
	v_mul_f32_e32 v4, v53, v130
	s_waitcnt lgkmcnt(0)
	v_pk_mul_f32 v[18:19], v[56:57], v[18:19] op_sel_hi:[1,0]
	v_fmac_f32_e32 v65, v53, v129
	v_mul_f32_e32 v67, v54, v132
	v_fma_f32 v64, v52, v129, -v4
	v_mul_f32_e32 v4, v55, v132
	s_waitcnt vmcnt(14)
	v_pk_fma_f32 v[20:21], v[56:57], v[60:61], v[18:19] op_sel:[0,0,1] op_sel_hi:[1,1,0] neg_lo:[0,0,1] neg_hi:[0,0,1]
	v_pk_fma_f32 v[18:19], v[56:57], v[60:61], v[18:19] op_sel:[0,0,1] op_sel_hi:[1,0,0]
	v_fmac_f32_e32 v67, v55, v131
	v_fma_f32 v66, v54, v131, -v4
	v_pk_add_f32 v[16:17], v[62:63], v[64:65]
	s_waitcnt vmcnt(7)
	v_mov_b32_e32 v18, v75
	ds_read2_b64 v[4:7], v1 offset0:113 offset1:114
	ds_read2_b64 v[8:11], v1 offset0:115 offset1:116
	;; [unrolled: 1-line block ×3, first 2 shown]
	v_pk_add_f32 v[16:17], v[16:17], v[66:67]
	v_mov_b32_e32 v21, v19
	v_pk_mul_f32 v[18:19], v[58:59], v[18:19] op_sel_hi:[1,0]
	v_pk_add_f32 v[16:17], v[16:17], v[20:21]
	s_waitcnt vmcnt(6)
	v_pk_fma_f32 v[20:21], v[58:59], v[74:75], v[18:19] op_sel:[0,0,1] op_sel_hi:[1,1,0] neg_lo:[0,0,1] neg_hi:[0,0,1]
	v_pk_fma_f32 v[18:19], v[58:59], v[74:75], v[18:19] op_sel:[0,0,1] op_sel_hi:[1,0,0]
	v_mov_b32_e32 v18, v73
	v_mov_b32_e32 v21, v19
	s_waitcnt lgkmcnt(2)
	v_pk_mul_f32 v[18:19], v[4:5], v[18:19] op_sel_hi:[1,0]
	v_pk_add_f32 v[16:17], v[16:17], v[20:21]
	v_pk_fma_f32 v[20:21], v[4:5], v[72:73], v[18:19] op_sel:[0,0,1] op_sel_hi:[1,1,0] neg_lo:[0,0,1] neg_hi:[0,0,1]
	v_pk_fma_f32 v[4:5], v[4:5], v[72:73], v[18:19] op_sel:[0,0,1] op_sel_hi:[1,0,0]
	v_mov_b32_e32 v21, v5
	v_pk_add_f32 v[4:5], v[16:17], v[20:21]
	v_mov_b32_e32 v16, v71
	v_pk_mul_f32 v[16:17], v[6:7], v[16:17] op_sel_hi:[1,0]
	v_pk_fma_f32 v[18:19], v[6:7], v[70:71], v[16:17] op_sel:[0,0,1] op_sel_hi:[1,1,0] neg_lo:[0,0,1] neg_hi:[0,0,1]
	v_pk_fma_f32 v[6:7], v[6:7], v[70:71], v[16:17] op_sel:[0,0,1] op_sel_hi:[1,0,0]
	v_mov_b32_e32 v6, v69
	v_mov_b32_e32 v19, v7
	s_waitcnt lgkmcnt(1)
	v_pk_mul_f32 v[6:7], v[8:9], v[6:7] op_sel_hi:[1,0]
	v_pk_fma_f32 v[16:17], v[8:9], v[68:69], v[6:7] op_sel:[0,0,1] op_sel_hi:[1,1,0] neg_lo:[0,0,1] neg_hi:[0,0,1]
	v_pk_fma_f32 v[6:7], v[8:9], v[68:69], v[6:7] op_sel:[0,0,1] op_sel_hi:[1,0,0]
	s_waitcnt vmcnt(1)
	v_mov_b32_e32 v6, v81
	v_mov_b32_e32 v17, v7
	v_pk_mul_f32 v[6:7], v[10:11], v[6:7] op_sel_hi:[1,0]
	s_waitcnt vmcnt(0)
	v_pk_fma_f32 v[8:9], v[10:11], v[80:81], v[6:7] op_sel:[0,0,1] op_sel_hi:[1,1,0] neg_lo:[0,0,1] neg_hi:[0,0,1]
	v_pk_fma_f32 v[6:7], v[10:11], v[80:81], v[6:7] op_sel:[0,0,1] op_sel_hi:[1,0,0]
	v_pk_add_f32 v[4:5], v[4:5], v[18:19]
	v_mov_b32_e32 v6, v79
	v_pk_add_f32 v[4:5], v[4:5], v[16:17]
	v_mov_b32_e32 v9, v7
	s_waitcnt lgkmcnt(0)
	v_pk_mul_f32 v[6:7], v[12:13], v[6:7] op_sel_hi:[1,0]
	v_pk_add_f32 v[4:5], v[4:5], v[8:9]
	v_pk_fma_f32 v[8:9], v[12:13], v[78:79], v[6:7] op_sel:[0,0,1] op_sel_hi:[1,1,0] neg_lo:[0,0,1] neg_hi:[0,0,1]
	v_pk_fma_f32 v[6:7], v[12:13], v[78:79], v[6:7] op_sel:[0,0,1] op_sel_hi:[1,0,0]
	v_mov_b32_e32 v6, v77
	v_mov_b32_e32 v9, v7
	v_pk_mul_f32 v[6:7], v[14:15], v[6:7] op_sel_hi:[1,0]
	v_pk_add_f32 v[4:5], v[4:5], v[8:9]
	v_pk_fma_f32 v[8:9], v[14:15], v[76:77], v[6:7] op_sel:[0,0,1] op_sel_hi:[1,1,0] neg_lo:[0,0,1] neg_hi:[0,0,1]
	v_pk_fma_f32 v[6:7], v[14:15], v[76:77], v[6:7] op_sel:[0,0,1] op_sel_hi:[1,0,0]
	v_mov_b32_e32 v9, v7
	v_pk_add_f32 v[4:5], v[4:5], v[8:9]
	v_pk_add_f32 v[2:3], v[2:3], v[4:5] neg_lo:[0,1] neg_hi:[0,1]
	buffer_store_dword v3, off, s[0:3], 0 offset:196
	buffer_store_dword v2, off, s[0:3], 0 offset:192
	s_and_saveexec_b64 s[4:5], vcc
	s_cbranch_execz .LBB58_321
; %bb.320:
	buffer_load_dword v2, off, s[0:3], 0 offset:184
	buffer_load_dword v3, off, s[0:3], 0 offset:188
	v_mov_b32_e32 v1, 0
	buffer_store_dword v1, off, s[0:3], 0 offset:184
	buffer_store_dword v1, off, s[0:3], 0 offset:188
	s_waitcnt vmcnt(2)
	ds_write_b64 v187, v[2:3]
.LBB58_321:
	s_or_b64 exec, exec, s[4:5]
	s_waitcnt lgkmcnt(0)
	; wave barrier
	s_waitcnt lgkmcnt(0)
	buffer_load_dword v60, off, s[0:3], 0 offset:196
	buffer_load_dword v62, off, s[0:3], 0 offset:204
	;; [unrolled: 1-line block ×56, first 2 shown]
	v_mov_b32_e32 v1, 0
	ds_read_b128 v[4:7], v1 offset:672
	ds_read_b128 v[8:11], v1 offset:688
	;; [unrolled: 1-line block ×6, first 2 shown]
	v_cmp_lt_u32_e32 vcc, 22, v0
	s_waitcnt vmcnt(55) lgkmcnt(5)
	v_mul_f32_e32 v28, v4, v60
	s_waitcnt vmcnt(54)
	v_mul_f32_e32 v29, v6, v62
	s_waitcnt vmcnt(53) lgkmcnt(4)
	v_mul_f32_e32 v30, v8, v64
	s_waitcnt vmcnt(52)
	v_mul_f32_e32 v31, v10, v82
	s_waitcnt vmcnt(51) lgkmcnt(3)
	v_mul_f32_e32 v32, v12, v83
	s_waitcnt vmcnt(50)
	v_mul_f32_e32 v33, v14, v84
	s_waitcnt vmcnt(49) lgkmcnt(2)
	v_mul_f32_e32 v34, v16, v85
	s_waitcnt vmcnt(48)
	v_mul_f32_e32 v35, v18, v86
	s_waitcnt vmcnt(47) lgkmcnt(1)
	v_mul_f32_e32 v36, v20, v87
	s_waitcnt vmcnt(46)
	v_fmac_f32_e32 v28, v5, v88
	s_waitcnt vmcnt(45)
	v_fmac_f32_e32 v29, v7, v89
	v_add_f32_e32 v28, 0, v28
	s_waitcnt vmcnt(44)
	v_fmac_f32_e32 v30, v9, v90
	v_add_f32_e32 v28, v28, v29
	;; [unrolled: 3-line block ×7, first 2 shown]
	v_add_f32_e32 v28, v28, v35
	s_waitcnt vmcnt(38)
	v_fmac_f32_e32 v36, v21, v96
	s_waitcnt vmcnt(37)
	v_mul_f32_e32 v29, v22, v97
	v_add_f32_e32 v28, v28, v36
	s_waitcnt vmcnt(36)
	v_fmac_f32_e32 v29, v23, v98
	v_add_f32_e32 v28, v28, v29
	s_waitcnt vmcnt(35) lgkmcnt(0)
	v_mul_f32_e32 v29, v24, v99
	s_waitcnt vmcnt(34)
	v_fmac_f32_e32 v29, v25, v100
	v_add_f32_e32 v32, v28, v29
	ds_read_b128 v[28:31], v1 offset:768
	s_waitcnt vmcnt(33)
	v_mul_f32_e32 v33, v26, v101
	s_waitcnt vmcnt(32)
	v_fmac_f32_e32 v33, v27, v104
	v_add_f32_e32 v36, v32, v33
	ds_read_b128 v[32:35], v1 offset:784
	s_waitcnt vmcnt(31) lgkmcnt(1)
	v_mul_f32_e32 v37, v28, v105
	s_waitcnt vmcnt(30)
	v_fmac_f32_e32 v37, v29, v106
	v_add_f32_e32 v36, v36, v37
	s_waitcnt vmcnt(29)
	v_mul_f32_e32 v37, v30, v107
	s_waitcnt vmcnt(28)
	v_fmac_f32_e32 v37, v31, v108
	v_add_f32_e32 v36, v36, v37
	s_waitcnt vmcnt(27) lgkmcnt(0)
	v_mul_f32_e32 v37, v32, v109
	s_waitcnt vmcnt(26)
	v_fmac_f32_e32 v37, v33, v110
	v_add_f32_e32 v40, v36, v37
	ds_read_b128 v[36:39], v1 offset:800
	s_waitcnt vmcnt(24)
	v_mul_f32_e32 v41, v34, v112
	v_fmac_f32_e32 v41, v35, v111
	v_add_f32_e32 v44, v40, v41
	ds_read_b128 v[40:43], v1 offset:816
	s_waitcnt vmcnt(20) lgkmcnt(1)
	v_mul_f32_e32 v45, v36, v114
	v_fmac_f32_e32 v45, v37, v113
	v_add_f32_e32 v44, v44, v45
	s_waitcnt vmcnt(18)
	v_mul_f32_e32 v45, v38, v116
	v_fmac_f32_e32 v45, v39, v115
	v_add_f32_e32 v44, v44, v45
	s_waitcnt vmcnt(16) lgkmcnt(0)
	v_mul_f32_e32 v45, v40, v118
	v_fmac_f32_e32 v45, v41, v117
	v_add_f32_e32 v48, v44, v45
	ds_read_b128 v[44:47], v1 offset:832
	s_waitcnt vmcnt(14)
	v_mul_f32_e32 v49, v42, v120
	v_fmac_f32_e32 v49, v43, v119
	v_add_f32_e32 v52, v48, v49
	ds_read_b128 v[48:51], v1 offset:848
	s_waitcnt vmcnt(12) lgkmcnt(1)
	v_mul_f32_e32 v53, v44, v122
	v_fmac_f32_e32 v53, v45, v121
	v_add_f32_e32 v52, v52, v53
	s_waitcnt vmcnt(10)
	v_mul_f32_e32 v53, v46, v124
	v_fmac_f32_e32 v53, v47, v123
	v_add_f32_e32 v52, v52, v53
	s_waitcnt vmcnt(8) lgkmcnt(0)
	v_mul_f32_e32 v53, v48, v126
	v_fmac_f32_e32 v53, v49, v125
	s_waitcnt vmcnt(6)
	v_mul_f32_e32 v57, v50, v128
	v_add_f32_e32 v56, v52, v53
	v_fmac_f32_e32 v57, v51, v127
	ds_read_b128 v[52:55], v1 offset:864
	v_add_f32_e32 v61, v56, v57
	ds_read_b128 v[56:59], v1 offset:880
	buffer_load_dword v67, off, s[0:3], 0 offset:436
	buffer_load_dword v66, off, s[0:3], 0 offset:432
	;; [unrolled: 1-line block ×16, first 2 shown]
	v_mul_f32_e32 v5, v5, v60
	v_fma_f32 v4, v4, v88, -v5
	v_mul_f32_e32 v5, v7, v62
	v_add_f32_e32 v4, 0, v4
	v_fma_f32 v5, v6, v89, -v5
	v_add_f32_e32 v4, v4, v5
	v_mul_f32_e32 v5, v9, v64
	v_fma_f32 v5, v8, v90, -v5
	v_add_f32_e32 v4, v4, v5
	v_mul_f32_e32 v5, v11, v82
	;; [unrolled: 3-line block ×22, first 2 shown]
	v_fma_f32 v5, v50, v127, -v5
	v_add_f32_e32 v4, v4, v5
	s_waitcnt vmcnt(20) lgkmcnt(1)
	v_mul_f32_e32 v5, v53, v130
	v_mul_f32_e32 v63, v52, v130
	v_fma_f32 v5, v52, v129, -v5
	v_fmac_f32_e32 v63, v53, v129
	v_add_f32_e32 v60, v4, v5
	s_waitcnt vmcnt(18)
	v_mul_f32_e32 v4, v55, v132
	s_waitcnt vmcnt(9)
	v_mov_b32_e32 v20, v73
	v_add_f32_e32 v61, v61, v63
	v_mul_f32_e32 v63, v54, v132
	v_fma_f32 v62, v54, v131, -v4
	s_waitcnt lgkmcnt(0)
	v_mul_f32_e32 v4, v57, v134
	v_pk_mul_f32 v[20:21], v[58:59], v[20:21] op_sel_hi:[1,0]
	v_fmac_f32_e32 v63, v55, v131
	v_mul_f32_e32 v65, v56, v134
	v_fma_f32 v64, v56, v133, -v4
	ds_read_b128 v[4:7], v1 offset:896
	ds_read_b128 v[8:11], v1 offset:912
	;; [unrolled: 1-line block ×3, first 2 shown]
	ds_read_b64 v[16:17], v1 offset:944
	s_waitcnt vmcnt(8)
	v_pk_fma_f32 v[22:23], v[58:59], v[72:73], v[20:21] op_sel:[0,0,1] op_sel_hi:[1,1,0] neg_lo:[0,0,1] neg_hi:[0,0,1]
	v_pk_fma_f32 v[20:21], v[58:59], v[72:73], v[20:21] op_sel:[0,0,1] op_sel_hi:[1,0,0]
	v_fmac_f32_e32 v65, v57, v133
	v_pk_add_f32 v[18:19], v[60:61], v[62:63]
	v_mov_b32_e32 v20, v71
	v_pk_add_f32 v[18:19], v[18:19], v[64:65]
	v_mov_b32_e32 v23, v21
	s_waitcnt lgkmcnt(3)
	v_pk_mul_f32 v[20:21], v[4:5], v[20:21] op_sel_hi:[1,0]
	v_pk_add_f32 v[18:19], v[18:19], v[22:23]
	v_pk_fma_f32 v[22:23], v[4:5], v[70:71], v[20:21] op_sel:[0,0,1] op_sel_hi:[1,1,0] neg_lo:[0,0,1] neg_hi:[0,0,1]
	v_pk_fma_f32 v[4:5], v[4:5], v[70:71], v[20:21] op_sel:[0,0,1] op_sel_hi:[1,0,0]
	v_mov_b32_e32 v23, v5
	v_pk_add_f32 v[4:5], v[18:19], v[22:23]
	v_mov_b32_e32 v18, v69
	v_pk_mul_f32 v[18:19], v[6:7], v[18:19] op_sel_hi:[1,0]
	v_pk_fma_f32 v[20:21], v[6:7], v[68:69], v[18:19] op_sel:[0,0,1] op_sel_hi:[1,1,0] neg_lo:[0,0,1] neg_hi:[0,0,1]
	v_pk_fma_f32 v[6:7], v[6:7], v[68:69], v[18:19] op_sel:[0,0,1] op_sel_hi:[1,0,0]
	v_mov_b32_e32 v6, v67
	v_mov_b32_e32 v21, v7
	s_waitcnt lgkmcnt(2)
	v_pk_mul_f32 v[6:7], v[8:9], v[6:7] op_sel_hi:[1,0]
	v_pk_fma_f32 v[18:19], v[8:9], v[66:67], v[6:7] op_sel:[0,0,1] op_sel_hi:[1,1,0] neg_lo:[0,0,1] neg_hi:[0,0,1]
	v_pk_fma_f32 v[6:7], v[8:9], v[66:67], v[6:7] op_sel:[0,0,1] op_sel_hi:[1,0,0]
	s_waitcnt vmcnt(1)
	v_mov_b32_e32 v6, v81
	v_mov_b32_e32 v19, v7
	v_pk_mul_f32 v[6:7], v[10:11], v[6:7] op_sel_hi:[1,0]
	s_waitcnt vmcnt(0)
	v_pk_fma_f32 v[8:9], v[10:11], v[80:81], v[6:7] op_sel:[0,0,1] op_sel_hi:[1,1,0] neg_lo:[0,0,1] neg_hi:[0,0,1]
	v_pk_fma_f32 v[6:7], v[10:11], v[80:81], v[6:7] op_sel:[0,0,1] op_sel_hi:[1,0,0]
	v_pk_add_f32 v[4:5], v[4:5], v[20:21]
	v_mov_b32_e32 v6, v79
	v_pk_add_f32 v[4:5], v[4:5], v[18:19]
	v_mov_b32_e32 v9, v7
	s_waitcnt lgkmcnt(1)
	v_pk_mul_f32 v[6:7], v[12:13], v[6:7] op_sel_hi:[1,0]
	v_pk_add_f32 v[4:5], v[4:5], v[8:9]
	v_pk_fma_f32 v[8:9], v[12:13], v[78:79], v[6:7] op_sel:[0,0,1] op_sel_hi:[1,1,0] neg_lo:[0,0,1] neg_hi:[0,0,1]
	v_pk_fma_f32 v[6:7], v[12:13], v[78:79], v[6:7] op_sel:[0,0,1] op_sel_hi:[1,0,0]
	v_mov_b32_e32 v6, v77
	v_mov_b32_e32 v9, v7
	v_pk_mul_f32 v[6:7], v[14:15], v[6:7] op_sel_hi:[1,0]
	v_pk_add_f32 v[4:5], v[4:5], v[8:9]
	v_pk_fma_f32 v[8:9], v[14:15], v[76:77], v[6:7] op_sel:[0,0,1] op_sel_hi:[1,1,0] neg_lo:[0,0,1] neg_hi:[0,0,1]
	v_pk_fma_f32 v[6:7], v[14:15], v[76:77], v[6:7] op_sel:[0,0,1] op_sel_hi:[1,0,0]
	v_mov_b32_e32 v6, v75
	v_mov_b32_e32 v9, v7
	s_waitcnt lgkmcnt(0)
	v_pk_mul_f32 v[6:7], v[16:17], v[6:7] op_sel_hi:[1,0]
	v_pk_add_f32 v[4:5], v[4:5], v[8:9]
	v_pk_fma_f32 v[8:9], v[16:17], v[74:75], v[6:7] op_sel:[0,0,1] op_sel_hi:[1,1,0] neg_lo:[0,0,1] neg_hi:[0,0,1]
	v_pk_fma_f32 v[6:7], v[16:17], v[74:75], v[6:7] op_sel:[0,0,1] op_sel_hi:[1,0,0]
	v_mov_b32_e32 v9, v7
	v_pk_add_f32 v[4:5], v[4:5], v[8:9]
	v_pk_add_f32 v[2:3], v[2:3], v[4:5] neg_lo:[0,1] neg_hi:[0,1]
	buffer_store_dword v3, off, s[0:3], 0 offset:188
	buffer_store_dword v2, off, s[0:3], 0 offset:184
	s_and_saveexec_b64 s[4:5], vcc
	s_cbranch_execz .LBB58_323
; %bb.322:
	buffer_load_dword v2, off, s[0:3], 0 offset:176
	buffer_load_dword v3, off, s[0:3], 0 offset:180
	s_waitcnt vmcnt(0)
	ds_write_b64 v187, v[2:3]
	buffer_store_dword v1, off, s[0:3], 0 offset:176
	buffer_store_dword v1, off, s[0:3], 0 offset:180
.LBB58_323:
	s_or_b64 exec, exec, s[4:5]
	s_waitcnt lgkmcnt(0)
	; wave barrier
	s_waitcnt lgkmcnt(0)
	buffer_load_dword v60, off, s[0:3], 0 offset:188
	buffer_load_dword v62, off, s[0:3], 0 offset:196
	;; [unrolled: 1-line block ×36, first 2 shown]
	ds_read2_b64 v[4:7], v1 offset0:83 offset1:84
	ds_read2_b64 v[8:11], v1 offset0:85 offset1:86
	buffer_load_dword v115, off, s[0:3], 0 offset:320
	buffer_load_dword v116, off, s[0:3], 0 offset:324
	;; [unrolled: 1-line block ×4, first 2 shown]
	ds_read2_b64 v[12:15], v1 offset0:87 offset1:88
	ds_read2_b64 v[16:19], v1 offset0:89 offset1:90
	buffer_load_dword v119, off, s[0:3], 0 offset:336
	buffer_load_dword v120, off, s[0:3], 0 offset:340
	ds_read2_b64 v[20:23], v1 offset0:91 offset1:92
	ds_read2_b64 v[24:27], v1 offset0:93 offset1:94
	buffer_load_dword v121, off, s[0:3], 0 offset:344
	buffer_load_dword v122, off, s[0:3], 0 offset:348
	;; [unrolled: 1-line block ×16, first 2 shown]
	v_cmp_lt_u32_e32 vcc, 21, v0
	s_waitcnt vmcnt(57) lgkmcnt(5)
	v_mul_f32_e32 v28, v4, v60
	s_waitcnt vmcnt(56)
	v_mul_f32_e32 v29, v6, v62
	s_waitcnt vmcnt(55) lgkmcnt(4)
	v_mul_f32_e32 v30, v8, v70
	s_waitcnt vmcnt(54)
	v_mul_f32_e32 v31, v10, v82
	;; [unrolled: 4-line block ×4, first 2 shown]
	s_waitcnt vmcnt(49)
	v_fmac_f32_e32 v28, v5, v87
	s_waitcnt vmcnt(48)
	v_fmac_f32_e32 v29, v7, v88
	v_add_f32_e32 v28, 0, v28
	s_waitcnt vmcnt(47)
	v_fmac_f32_e32 v30, v9, v89
	v_add_f32_e32 v28, v28, v29
	;; [unrolled: 3-line block ×7, first 2 shown]
	s_waitcnt vmcnt(41) lgkmcnt(1)
	v_mul_f32_e32 v29, v20, v95
	v_add_f32_e32 v28, v28, v35
	s_waitcnt vmcnt(40)
	v_fmac_f32_e32 v29, v21, v96
	v_add_f32_e32 v28, v28, v29
	s_waitcnt vmcnt(39)
	v_mul_f32_e32 v29, v22, v97
	s_waitcnt vmcnt(38)
	v_fmac_f32_e32 v29, v23, v98
	v_add_f32_e32 v28, v28, v29
	s_waitcnt vmcnt(37) lgkmcnt(0)
	v_mul_f32_e32 v29, v24, v99
	s_waitcnt vmcnt(36)
	v_fmac_f32_e32 v29, v25, v100
	v_add_f32_e32 v32, v28, v29
	ds_read2_b64 v[28:31], v1 offset0:95 offset1:96
	s_waitcnt vmcnt(35)
	v_mul_f32_e32 v33, v26, v101
	s_waitcnt vmcnt(34)
	v_fmac_f32_e32 v33, v27, v104
	v_add_f32_e32 v36, v32, v33
	ds_read2_b64 v[32:35], v1 offset0:97 offset1:98
	s_waitcnt vmcnt(33) lgkmcnt(1)
	v_mul_f32_e32 v37, v28, v105
	s_waitcnt vmcnt(32)
	v_fmac_f32_e32 v37, v29, v106
	v_add_f32_e32 v36, v36, v37
	s_waitcnt vmcnt(31)
	v_mul_f32_e32 v37, v30, v107
	s_waitcnt vmcnt(30)
	v_fmac_f32_e32 v37, v31, v108
	v_add_f32_e32 v36, v36, v37
	s_waitcnt vmcnt(29) lgkmcnt(0)
	v_mul_f32_e32 v37, v32, v109
	s_waitcnt vmcnt(28)
	v_fmac_f32_e32 v37, v33, v110
	v_add_f32_e32 v40, v36, v37
	ds_read2_b64 v[36:39], v1 offset0:99 offset1:100
	s_waitcnt vmcnt(25)
	v_mul_f32_e32 v41, v34, v111
	s_waitcnt vmcnt(24)
	v_fmac_f32_e32 v41, v35, v112
	v_add_f32_e32 v44, v40, v41
	ds_read2_b64 v[40:43], v1 offset0:101 offset1:102
	s_waitcnt vmcnt(22) lgkmcnt(1)
	v_mul_f32_e32 v45, v36, v114
	v_fmac_f32_e32 v45, v37, v113
	v_add_f32_e32 v44, v44, v45
	s_waitcnt vmcnt(20)
	v_mul_f32_e32 v45, v38, v116
	v_fmac_f32_e32 v45, v39, v115
	v_add_f32_e32 v44, v44, v45
	s_waitcnt vmcnt(18) lgkmcnt(0)
	v_mul_f32_e32 v45, v40, v118
	v_fmac_f32_e32 v45, v41, v117
	v_add_f32_e32 v48, v44, v45
	ds_read2_b64 v[44:47], v1 offset0:103 offset1:104
	s_waitcnt vmcnt(16)
	v_mul_f32_e32 v49, v42, v120
	v_fmac_f32_e32 v49, v43, v119
	v_add_f32_e32 v52, v48, v49
	ds_read2_b64 v[48:51], v1 offset0:105 offset1:106
	s_waitcnt vmcnt(14) lgkmcnt(1)
	v_mul_f32_e32 v53, v44, v122
	v_fmac_f32_e32 v53, v45, v121
	v_add_f32_e32 v52, v52, v53
	s_waitcnt vmcnt(12)
	v_mul_f32_e32 v53, v46, v124
	v_fmac_f32_e32 v53, v47, v123
	v_add_f32_e32 v52, v52, v53
	s_waitcnt vmcnt(10) lgkmcnt(0)
	v_mul_f32_e32 v53, v48, v126
	v_fmac_f32_e32 v53, v49, v125
	s_waitcnt vmcnt(8)
	v_mul_f32_e32 v57, v50, v128
	v_add_f32_e32 v56, v52, v53
	v_fmac_f32_e32 v57, v51, v127
	ds_read2_b64 v[52:55], v1 offset0:107 offset1:108
	v_add_f32_e32 v61, v56, v57
	ds_read2_b64 v[56:59], v1 offset0:109 offset1:110
	buffer_load_dword v65, off, s[0:3], 0 offset:428
	buffer_load_dword v64, off, s[0:3], 0 offset:424
	;; [unrolled: 1-line block ×16, first 2 shown]
	v_mul_f32_e32 v5, v5, v60
	v_fma_f32 v4, v4, v87, -v5
	v_mul_f32_e32 v5, v7, v62
	v_add_f32_e32 v4, 0, v4
	v_fma_f32 v5, v6, v88, -v5
	v_add_f32_e32 v4, v4, v5
	v_mul_f32_e32 v5, v9, v70
	v_fma_f32 v5, v8, v89, -v5
	v_add_f32_e32 v4, v4, v5
	v_mul_f32_e32 v5, v11, v82
	v_fma_f32 v5, v10, v90, -v5
	v_add_f32_e32 v4, v4, v5
	v_mul_f32_e32 v5, v13, v83
	v_fma_f32 v5, v12, v91, -v5
	v_add_f32_e32 v4, v4, v5
	v_mul_f32_e32 v5, v15, v84
	v_fma_f32 v5, v14, v92, -v5
	v_add_f32_e32 v4, v4, v5
	v_mul_f32_e32 v5, v17, v85
	v_fma_f32 v5, v16, v93, -v5
	v_add_f32_e32 v4, v4, v5
	v_mul_f32_e32 v5, v19, v86
	v_fma_f32 v5, v18, v94, -v5
	v_add_f32_e32 v4, v4, v5
	v_mul_f32_e32 v5, v21, v95
	v_fma_f32 v5, v20, v96, -v5
	v_add_f32_e32 v4, v4, v5
	v_mul_f32_e32 v5, v23, v97
	v_fma_f32 v5, v22, v98, -v5
	v_add_f32_e32 v4, v4, v5
	v_mul_f32_e32 v5, v25, v99
	v_fma_f32 v5, v24, v100, -v5
	v_add_f32_e32 v4, v4, v5
	v_mul_f32_e32 v5, v27, v101
	v_fma_f32 v5, v26, v104, -v5
	v_add_f32_e32 v4, v4, v5
	v_mul_f32_e32 v5, v29, v105
	v_fma_f32 v5, v28, v106, -v5
	v_add_f32_e32 v4, v4, v5
	v_mul_f32_e32 v5, v31, v107
	v_fma_f32 v5, v30, v108, -v5
	v_add_f32_e32 v4, v4, v5
	v_mul_f32_e32 v5, v33, v109
	v_fma_f32 v5, v32, v110, -v5
	v_add_f32_e32 v4, v4, v5
	v_mul_f32_e32 v5, v35, v111
	v_fma_f32 v5, v34, v112, -v5
	v_add_f32_e32 v4, v4, v5
	v_mul_f32_e32 v5, v37, v114
	v_fma_f32 v5, v36, v113, -v5
	v_add_f32_e32 v4, v4, v5
	v_mul_f32_e32 v5, v39, v116
	v_fma_f32 v5, v38, v115, -v5
	v_add_f32_e32 v4, v4, v5
	v_mul_f32_e32 v5, v41, v118
	v_fma_f32 v5, v40, v117, -v5
	v_add_f32_e32 v4, v4, v5
	v_mul_f32_e32 v5, v43, v120
	v_fma_f32 v5, v42, v119, -v5
	v_add_f32_e32 v4, v4, v5
	v_mul_f32_e32 v5, v45, v122
	v_fma_f32 v5, v44, v121, -v5
	v_add_f32_e32 v4, v4, v5
	v_mul_f32_e32 v5, v47, v124
	v_fma_f32 v5, v46, v123, -v5
	v_add_f32_e32 v4, v4, v5
	v_mul_f32_e32 v5, v49, v126
	v_fma_f32 v5, v48, v125, -v5
	v_add_f32_e32 v4, v4, v5
	v_mul_f32_e32 v5, v51, v128
	v_fma_f32 v5, v50, v127, -v5
	v_add_f32_e32 v4, v4, v5
	s_waitcnt vmcnt(22) lgkmcnt(1)
	v_mul_f32_e32 v5, v53, v130
	v_fma_f32 v5, v52, v129, -v5
	v_add_f32_e32 v4, v4, v5
	s_waitcnt vmcnt(20)
	v_mul_f32_e32 v5, v55, v132
	v_mul_f32_e32 v63, v52, v130
	v_fma_f32 v5, v54, v131, -v5
	v_fmac_f32_e32 v63, v53, v129
	v_add_f32_e32 v60, v4, v5
	s_waitcnt vmcnt(18) lgkmcnt(0)
	v_mul_f32_e32 v4, v57, v134
	v_add_f32_e32 v61, v61, v63
	v_mul_f32_e32 v63, v54, v132
	v_fma_f32 v62, v56, v133, -v4
	s_waitcnt vmcnt(16)
	v_mul_f32_e32 v4, v59, v136
	v_fmac_f32_e32 v63, v55, v131
	v_fma_f32 v70, v58, v135, -v4
	ds_read2_b64 v[4:7], v1 offset0:111 offset1:112
	ds_read2_b64 v[8:11], v1 offset0:113 offset1:114
	ds_read2_b64 v[12:15], v1 offset0:115 offset1:116
	ds_read2_b64 v[16:19], v1 offset0:117 offset1:118
	v_add_f32_e32 v61, v61, v63
	v_mul_f32_e32 v63, v56, v134
	s_waitcnt vmcnt(11)
	v_mov_b32_e32 v22, v69
	v_fmac_f32_e32 v63, v57, v133
	v_mul_f32_e32 v71, v58, v136
	s_waitcnt lgkmcnt(3)
	v_pk_mul_f32 v[22:23], v[4:5], v[22:23] op_sel_hi:[1,0]
	v_fmac_f32_e32 v71, v59, v135
	v_pk_add_f32 v[20:21], v[60:61], v[62:63]
	s_waitcnt vmcnt(10)
	v_pk_fma_f32 v[24:25], v[4:5], v[68:69], v[22:23] op_sel:[0,0,1] op_sel_hi:[1,1,0] neg_lo:[0,0,1] neg_hi:[0,0,1]
	v_pk_fma_f32 v[4:5], v[4:5], v[68:69], v[22:23] op_sel:[0,0,1] op_sel_hi:[1,0,0]
	v_pk_add_f32 v[20:21], v[20:21], v[70:71]
	v_mov_b32_e32 v25, v5
	v_pk_add_f32 v[4:5], v[20:21], v[24:25]
	v_mov_b32_e32 v20, v67
	v_pk_mul_f32 v[20:21], v[6:7], v[20:21] op_sel_hi:[1,0]
	v_pk_fma_f32 v[22:23], v[6:7], v[66:67], v[20:21] op_sel:[0,0,1] op_sel_hi:[1,1,0] neg_lo:[0,0,1] neg_hi:[0,0,1]
	v_pk_fma_f32 v[6:7], v[6:7], v[66:67], v[20:21] op_sel:[0,0,1] op_sel_hi:[1,0,0]
	v_mov_b32_e32 v6, v65
	v_mov_b32_e32 v23, v7
	s_waitcnt lgkmcnt(2)
	v_pk_mul_f32 v[6:7], v[8:9], v[6:7] op_sel_hi:[1,0]
	v_pk_fma_f32 v[20:21], v[8:9], v[64:65], v[6:7] op_sel:[0,0,1] op_sel_hi:[1,1,0] neg_lo:[0,0,1] neg_hi:[0,0,1]
	v_pk_fma_f32 v[6:7], v[8:9], v[64:65], v[6:7] op_sel:[0,0,1] op_sel_hi:[1,0,0]
	s_waitcnt vmcnt(3)
	v_mov_b32_e32 v6, v79
	v_mov_b32_e32 v21, v7
	v_pk_mul_f32 v[6:7], v[10:11], v[6:7] op_sel_hi:[1,0]
	s_waitcnt vmcnt(2)
	v_pk_fma_f32 v[8:9], v[10:11], v[78:79], v[6:7] op_sel:[0,0,1] op_sel_hi:[1,1,0] neg_lo:[0,0,1] neg_hi:[0,0,1]
	v_pk_fma_f32 v[6:7], v[10:11], v[78:79], v[6:7] op_sel:[0,0,1] op_sel_hi:[1,0,0]
	v_pk_add_f32 v[4:5], v[4:5], v[22:23]
	v_mov_b32_e32 v6, v77
	v_pk_add_f32 v[4:5], v[4:5], v[20:21]
	v_mov_b32_e32 v9, v7
	s_waitcnt lgkmcnt(1)
	v_pk_mul_f32 v[6:7], v[12:13], v[6:7] op_sel_hi:[1,0]
	v_pk_add_f32 v[4:5], v[4:5], v[8:9]
	v_pk_fma_f32 v[8:9], v[12:13], v[76:77], v[6:7] op_sel:[0,0,1] op_sel_hi:[1,1,0] neg_lo:[0,0,1] neg_hi:[0,0,1]
	v_pk_fma_f32 v[6:7], v[12:13], v[76:77], v[6:7] op_sel:[0,0,1] op_sel_hi:[1,0,0]
	v_mov_b32_e32 v6, v75
	v_mov_b32_e32 v9, v7
	v_pk_mul_f32 v[6:7], v[14:15], v[6:7] op_sel_hi:[1,0]
	v_pk_add_f32 v[4:5], v[4:5], v[8:9]
	v_pk_fma_f32 v[8:9], v[14:15], v[74:75], v[6:7] op_sel:[0,0,1] op_sel_hi:[1,1,0] neg_lo:[0,0,1] neg_hi:[0,0,1]
	v_pk_fma_f32 v[6:7], v[14:15], v[74:75], v[6:7] op_sel:[0,0,1] op_sel_hi:[1,0,0]
	v_mov_b32_e32 v6, v73
	v_mov_b32_e32 v9, v7
	s_waitcnt lgkmcnt(0)
	v_pk_mul_f32 v[6:7], v[16:17], v[6:7] op_sel_hi:[1,0]
	v_pk_add_f32 v[4:5], v[4:5], v[8:9]
	v_pk_fma_f32 v[8:9], v[16:17], v[72:73], v[6:7] op_sel:[0,0,1] op_sel_hi:[1,1,0] neg_lo:[0,0,1] neg_hi:[0,0,1]
	v_pk_fma_f32 v[6:7], v[16:17], v[72:73], v[6:7] op_sel:[0,0,1] op_sel_hi:[1,0,0]
	s_waitcnt vmcnt(1)
	v_mov_b32_e32 v6, v81
	v_mov_b32_e32 v9, v7
	v_pk_mul_f32 v[6:7], v[18:19], v[6:7] op_sel_hi:[1,0]
	v_pk_add_f32 v[4:5], v[4:5], v[8:9]
	s_waitcnt vmcnt(0)
	v_pk_fma_f32 v[8:9], v[18:19], v[80:81], v[6:7] op_sel:[0,0,1] op_sel_hi:[1,1,0] neg_lo:[0,0,1] neg_hi:[0,0,1]
	v_pk_fma_f32 v[6:7], v[18:19], v[80:81], v[6:7] op_sel:[0,0,1] op_sel_hi:[1,0,0]
	v_mov_b32_e32 v9, v7
	v_pk_add_f32 v[4:5], v[4:5], v[8:9]
	v_pk_add_f32 v[2:3], v[2:3], v[4:5] neg_lo:[0,1] neg_hi:[0,1]
	buffer_store_dword v3, off, s[0:3], 0 offset:180
	buffer_store_dword v2, off, s[0:3], 0 offset:176
	s_and_saveexec_b64 s[4:5], vcc
	s_cbranch_execz .LBB58_325
; %bb.324:
	buffer_load_dword v2, off, s[0:3], 0 offset:168
	buffer_load_dword v3, off, s[0:3], 0 offset:172
	v_mov_b32_e32 v1, 0
	buffer_store_dword v1, off, s[0:3], 0 offset:168
	buffer_store_dword v1, off, s[0:3], 0 offset:172
	s_waitcnt vmcnt(2)
	ds_write_b64 v187, v[2:3]
.LBB58_325:
	s_or_b64 exec, exec, s[4:5]
	v_mov_b32_e32 v86, 0
	s_waitcnt lgkmcnt(0)
	; wave barrier
	s_waitcnt lgkmcnt(0)
	ds_read_b128 v[14:17], v86 offset:656
	ds_read_b128 v[10:13], v86 offset:672
	;; [unrolled: 1-line block ×4, first 2 shown]
	buffer_load_dword v62, off, s[0:3], 0 offset:168
	buffer_load_dword v63, off, s[0:3], 0 offset:172
	;; [unrolled: 1-line block ×18, first 2 shown]
	ds_read_b128 v[22:25], v86 offset:720
	buffer_load_dword v99, off, s[0:3], 0 offset:240
	buffer_load_dword v100, off, s[0:3], 0 offset:244
	buffer_load_dword v101, off, s[0:3], 0 offset:248
	buffer_load_dword v104, off, s[0:3], 0 offset:252
	ds_read_b128 v[26:29], v86 offset:736
	buffer_load_dword v105, off, s[0:3], 0 offset:256
	buffer_load_dword v106, off, s[0:3], 0 offset:260
	buffer_load_dword v107, off, s[0:3], 0 offset:264
	buffer_load_dword v108, off, s[0:3], 0 offset:268
	;; [unrolled: 5-line block ×10, first 2 shown]
	v_cmp_lt_u32_e32 vcc, 20, v0
	s_waitcnt vmcnt(54) lgkmcnt(13)
	v_mul_f32_e32 v18, v14, v70
	v_fmac_f32_e32 v18, v15, v1
	s_waitcnt vmcnt(52)
	v_mul_f32_e32 v19, v16, v88
	v_add_f32_e32 v18, 0, v18
	v_fmac_f32_e32 v19, v17, v64
	v_add_f32_e32 v18, v18, v19
	s_waitcnt vmcnt(50) lgkmcnt(12)
	v_mul_f32_e32 v19, v10, v90
	v_fmac_f32_e32 v19, v11, v66
	v_add_f32_e32 v18, v18, v19
	s_waitcnt vmcnt(48)
	v_mul_f32_e32 v19, v12, v92
	v_fmac_f32_e32 v19, v13, v87
	v_add_f32_e32 v18, v18, v19
	s_waitcnt vmcnt(46) lgkmcnt(11)
	v_mul_f32_e32 v19, v6, v94
	v_fmac_f32_e32 v19, v7, v89
	v_add_f32_e32 v18, v18, v19
	s_waitcnt vmcnt(44)
	v_mul_f32_e32 v19, v8, v95
	;; [unrolled: 8-line block ×12, first 2 shown]
	v_fmac_f32_e32 v19, v57, v135
	v_add_f32_e32 v18, v18, v19
	s_waitcnt vmcnt(2) lgkmcnt(0)
	v_mul_f32_e32 v19, v58, v138
	v_fmac_f32_e32 v19, v59, v137
	v_add_f32_e32 v65, v18, v19
	ds_read_b128 v[18:21], v86 offset:880
	buffer_load_dword v141, off, s[0:3], 0 offset:400
	buffer_load_dword v142, off, s[0:3], 0 offset:404
	;; [unrolled: 1-line block ×18, first 2 shown]
	v_mul_f32_e32 v15, v15, v70
	v_fma_f32 v1, v14, v1, -v15
	v_mul_f32_e32 v14, v17, v88
	v_add_f32_e32 v1, 0, v1
	v_fma_f32 v14, v16, v64, -v14
	v_mul_f32_e32 v11, v11, v90
	v_add_f32_e32 v1, v1, v14
	v_fma_f32 v10, v10, v66, -v11
	v_add_f32_e32 v1, v1, v10
	v_mul_f32_e32 v10, v13, v92
	v_fma_f32 v10, v12, v87, -v10
	v_mul_f32_e32 v7, v7, v94
	v_add_f32_e32 v1, v1, v10
	v_fma_f32 v6, v6, v89, -v7
	v_add_f32_e32 v1, v1, v6
	v_mul_f32_e32 v6, v9, v95
	;; [unrolled: 6-line block ×3, first 2 shown]
	v_fma_f32 v2, v4, v97, -v2
	v_add_f32_e32 v1, v1, v2
	v_mul_f32_e32 v2, v23, v100
	v_fma_f32 v2, v22, v99, -v2
	v_add_f32_e32 v1, v1, v2
	v_mul_f32_e32 v2, v25, v104
	;; [unrolled: 3-line block ×19, first 2 shown]
	v_fma_f32 v2, v58, v137, -v2
	v_add_f32_e32 v64, v1, v2
	s_waitcnt vmcnt(18)
	v_mul_f32_e32 v1, v61, v140
	v_fma_f32 v66, v60, v139, -v1
	s_waitcnt vmcnt(16) lgkmcnt(0)
	v_mul_f32_e32 v1, v19, v142
	v_mul_f32_e32 v71, v18, v142
	v_fma_f32 v70, v18, v141, -v1
	s_waitcnt vmcnt(15)
	v_mov_b32_e32 v18, v69
	v_fmac_f32_e32 v71, v19, v141
	v_pk_mul_f32 v[18:19], v[20:21], v[18:19] op_sel_hi:[1,0]
	v_mul_f32_e32 v67, v60, v140
	ds_read_b128 v[2:5], v86 offset:896
	ds_read_b128 v[6:9], v86 offset:912
	;; [unrolled: 1-line block ×3, first 2 shown]
	ds_read_b64 v[14:15], v86 offset:944
	s_waitcnt vmcnt(14)
	v_pk_fma_f32 v[22:23], v[20:21], v[68:69], v[18:19] op_sel:[0,0,1] op_sel_hi:[1,1,0] neg_lo:[0,0,1] neg_hi:[0,0,1]
	v_pk_fma_f32 v[18:19], v[20:21], v[68:69], v[18:19] op_sel:[0,0,1] op_sel_hi:[1,0,0]
	v_fmac_f32_e32 v67, v61, v139
	s_waitcnt vmcnt(13)
	v_mov_b32_e32 v18, v85
	v_pk_add_f32 v[16:17], v[64:65], v[66:67]
	v_mov_b32_e32 v23, v19
	s_waitcnt lgkmcnt(3)
	v_pk_mul_f32 v[18:19], v[2:3], v[18:19] op_sel_hi:[1,0]
	v_pk_add_f32 v[16:17], v[16:17], v[70:71]
	s_waitcnt vmcnt(12)
	v_pk_fma_f32 v[20:21], v[2:3], v[84:85], v[18:19] op_sel:[0,0,1] op_sel_hi:[1,1,0] neg_lo:[0,0,1] neg_hi:[0,0,1]
	v_pk_fma_f32 v[2:3], v[2:3], v[84:85], v[18:19] op_sel:[0,0,1] op_sel_hi:[1,0,0]
	v_pk_add_f32 v[16:17], v[16:17], v[22:23]
	v_mov_b32_e32 v21, v3
	v_pk_add_f32 v[2:3], v[16:17], v[20:21]
	s_waitcnt vmcnt(11)
	v_mov_b32_e32 v16, v83
	v_pk_mul_f32 v[16:17], v[4:5], v[16:17] op_sel_hi:[1,0]
	s_waitcnt vmcnt(10)
	v_pk_fma_f32 v[18:19], v[4:5], v[82:83], v[16:17] op_sel:[0,0,1] op_sel_hi:[1,1,0] neg_lo:[0,0,1] neg_hi:[0,0,1]
	v_pk_fma_f32 v[4:5], v[4:5], v[82:83], v[16:17] op_sel:[0,0,1] op_sel_hi:[1,0,0]
	s_waitcnt vmcnt(9)
	v_mov_b32_e32 v4, v81
	v_mov_b32_e32 v19, v5
	s_waitcnt lgkmcnt(2)
	v_pk_mul_f32 v[4:5], v[6:7], v[4:5] op_sel_hi:[1,0]
	s_waitcnt vmcnt(8)
	v_pk_fma_f32 v[16:17], v[6:7], v[80:81], v[4:5] op_sel:[0,0,1] op_sel_hi:[1,1,0] neg_lo:[0,0,1] neg_hi:[0,0,1]
	v_pk_fma_f32 v[4:5], v[6:7], v[80:81], v[4:5] op_sel:[0,0,1] op_sel_hi:[1,0,0]
	s_waitcnt vmcnt(7)
	v_mov_b32_e32 v4, v79
	v_mov_b32_e32 v17, v5
	v_pk_mul_f32 v[4:5], v[8:9], v[4:5] op_sel_hi:[1,0]
	s_waitcnt vmcnt(6)
	v_pk_fma_f32 v[6:7], v[8:9], v[78:79], v[4:5] op_sel:[0,0,1] op_sel_hi:[1,1,0] neg_lo:[0,0,1] neg_hi:[0,0,1]
	v_pk_fma_f32 v[4:5], v[8:9], v[78:79], v[4:5] op_sel:[0,0,1] op_sel_hi:[1,0,0]
	v_pk_add_f32 v[2:3], v[2:3], v[18:19]
	s_waitcnt vmcnt(5)
	v_mov_b32_e32 v4, v77
	v_pk_add_f32 v[2:3], v[2:3], v[16:17]
	v_mov_b32_e32 v7, v5
	s_waitcnt lgkmcnt(1)
	v_pk_mul_f32 v[4:5], v[10:11], v[4:5] op_sel_hi:[1,0]
	v_pk_add_f32 v[2:3], v[2:3], v[6:7]
	s_waitcnt vmcnt(4)
	v_pk_fma_f32 v[6:7], v[10:11], v[76:77], v[4:5] op_sel:[0,0,1] op_sel_hi:[1,1,0] neg_lo:[0,0,1] neg_hi:[0,0,1]
	v_pk_fma_f32 v[4:5], v[10:11], v[76:77], v[4:5] op_sel:[0,0,1] op_sel_hi:[1,0,0]
	s_waitcnt vmcnt(3)
	v_mov_b32_e32 v4, v75
	v_mov_b32_e32 v7, v5
	v_pk_mul_f32 v[4:5], v[12:13], v[4:5] op_sel_hi:[1,0]
	v_pk_add_f32 v[2:3], v[2:3], v[6:7]
	s_waitcnt vmcnt(2)
	v_pk_fma_f32 v[6:7], v[12:13], v[74:75], v[4:5] op_sel:[0,0,1] op_sel_hi:[1,1,0] neg_lo:[0,0,1] neg_hi:[0,0,1]
	v_pk_fma_f32 v[4:5], v[12:13], v[74:75], v[4:5] op_sel:[0,0,1] op_sel_hi:[1,0,0]
	s_waitcnt vmcnt(1)
	v_mov_b32_e32 v4, v73
	v_mov_b32_e32 v7, v5
	s_waitcnt lgkmcnt(0)
	v_pk_mul_f32 v[4:5], v[14:15], v[4:5] op_sel_hi:[1,0]
	v_pk_add_f32 v[2:3], v[2:3], v[6:7]
	s_waitcnt vmcnt(0)
	v_pk_fma_f32 v[6:7], v[14:15], v[72:73], v[4:5] op_sel:[0,0,1] op_sel_hi:[1,1,0] neg_lo:[0,0,1] neg_hi:[0,0,1]
	v_pk_fma_f32 v[4:5], v[14:15], v[72:73], v[4:5] op_sel:[0,0,1] op_sel_hi:[1,0,0]
	v_mov_b32_e32 v7, v5
	v_pk_add_f32 v[2:3], v[2:3], v[6:7]
	v_pk_add_f32 v[2:3], v[62:63], v[2:3] neg_lo:[0,1] neg_hi:[0,1]
	buffer_store_dword v3, off, s[0:3], 0 offset:172
	buffer_store_dword v2, off, s[0:3], 0 offset:168
	s_and_saveexec_b64 s[4:5], vcc
	s_cbranch_execz .LBB58_327
; %bb.326:
	buffer_load_dword v2, off, s[0:3], 0 offset:160
	buffer_load_dword v3, off, s[0:3], 0 offset:164
	s_waitcnt vmcnt(0)
	ds_write_b64 v187, v[2:3]
	buffer_store_dword v86, off, s[0:3], 0 offset:160
	buffer_store_dword v86, off, s[0:3], 0 offset:164
.LBB58_327:
	s_or_b64 exec, exec, s[4:5]
	s_waitcnt lgkmcnt(0)
	; wave barrier
	s_waitcnt lgkmcnt(0)
	buffer_load_dword v1, off, s[0:3], 0 offset:172
	buffer_load_dword v70, off, s[0:3], 0 offset:180
	;; [unrolled: 1-line block ×32, first 2 shown]
	ds_read2_b64 v[16:19], v86 offset0:81 offset1:82
	ds_read2_b64 v[6:9], v86 offset0:83 offset1:84
	buffer_load_dword v119, off, s[0:3], 0 offset:288
	buffer_load_dword v120, off, s[0:3], 0 offset:292
	ds_read2_b64 v[10:13], v86 offset0:85 offset1:86
	ds_read2_b64 v[2:5], v86 offset0:87 offset1:88
	buffer_load_dword v121, off, s[0:3], 0 offset:296
	buffer_load_dword v122, off, s[0:3], 0 offset:300
	;; [unrolled: 1-line block ×28, first 2 shown]
	v_cmp_lt_u32_e32 vcc, 19, v0
	s_waitcnt vmcnt(61) lgkmcnt(3)
	v_mul_f32_e32 v20, v16, v1
	s_waitcnt vmcnt(60)
	v_mul_f32_e32 v21, v18, v70
	s_waitcnt vmcnt(59) lgkmcnt(2)
	v_mul_f32_e32 v23, v8, v72
	s_waitcnt vmcnt(58) lgkmcnt(1)
	v_mul_f32_e32 v24, v10, v74
	s_waitcnt vmcnt(57)
	v_mul_f32_e32 v25, v12, v87
	s_waitcnt vmcnt(56)
	;; [unrolled: 2-line block ×3, first 2 shown]
	v_fmac_f32_e32 v22, v7, v93
	s_waitcnt vmcnt(54)
	v_fmac_f32_e32 v21, v19, v94
	s_waitcnt vmcnt(53)
	v_fmac_f32_e32 v20, v17, v95
	v_add_f32_e32 v20, 0, v20
	v_add_f32_e32 v20, v20, v21
	;; [unrolled: 1-line block ×3, first 2 shown]
	s_waitcnt vmcnt(49)
	v_fmac_f32_e32 v24, v11, v99
	s_waitcnt vmcnt(48)
	v_fmac_f32_e32 v23, v9, v100
	v_add_f32_e32 v20, v20, v23
	s_waitcnt lgkmcnt(0)
	v_mul_f32_e32 v26, v2, v96
	v_fmac_f32_e32 v25, v13, v98
	v_add_f32_e32 v20, v20, v24
	v_fmac_f32_e32 v26, v3, v97
	v_add_f32_e32 v20, v20, v25
	v_add_f32_e32 v24, v20, v26
	ds_read2_b64 v[20:23], v86 offset0:89 offset1:90
	s_waitcnt vmcnt(44)
	v_mul_f32_e32 v25, v4, v106
	s_waitcnt vmcnt(43)
	v_fmac_f32_e32 v25, v5, v107
	v_add_f32_e32 v28, v24, v25
	ds_read2_b64 v[24:27], v86 offset0:91 offset1:92
	s_waitcnt vmcnt(42) lgkmcnt(1)
	v_mul_f32_e32 v29, v20, v108
	v_fmac_f32_e32 v29, v21, v105
	v_add_f32_e32 v28, v28, v29
	s_waitcnt vmcnt(41)
	v_mul_f32_e32 v29, v22, v109
	v_fmac_f32_e32 v29, v23, v104
	v_add_f32_e32 v28, v28, v29
	s_waitcnt vmcnt(40) lgkmcnt(0)
	v_mul_f32_e32 v29, v24, v110
	v_fmac_f32_e32 v29, v25, v101
	v_add_f32_e32 v32, v28, v29
	ds_read2_b64 v[28:31], v86 offset0:93 offset1:94
	s_waitcnt vmcnt(34)
	v_mul_f32_e32 v33, v26, v116
	s_waitcnt vmcnt(33)
	v_fmac_f32_e32 v33, v27, v117
	v_add_f32_e32 v36, v32, v33
	ds_read2_b64 v[32:35], v86 offset0:95 offset1:96
	s_waitcnt vmcnt(32) lgkmcnt(1)
	v_mul_f32_e32 v37, v28, v118
	v_fmac_f32_e32 v37, v29, v115
	v_add_f32_e32 v36, v36, v37
	v_mul_f32_e32 v37, v30, v112
	v_fmac_f32_e32 v37, v31, v111
	v_add_f32_e32 v36, v36, v37
	s_waitcnt lgkmcnt(0)
	v_mul_f32_e32 v37, v32, v114
	v_fmac_f32_e32 v37, v33, v113
	v_add_f32_e32 v40, v36, v37
	ds_read2_b64 v[36:39], v86 offset0:97 offset1:98
	s_waitcnt vmcnt(28)
	v_mul_f32_e32 v41, v34, v120
	v_fmac_f32_e32 v41, v35, v119
	v_add_f32_e32 v44, v40, v41
	ds_read2_b64 v[40:43], v86 offset0:99 offset1:100
	s_waitcnt vmcnt(26) lgkmcnt(1)
	v_mul_f32_e32 v45, v36, v122
	v_fmac_f32_e32 v45, v37, v121
	v_add_f32_e32 v44, v44, v45
	s_waitcnt vmcnt(24)
	v_mul_f32_e32 v45, v38, v124
	v_fmac_f32_e32 v45, v39, v123
	v_add_f32_e32 v44, v44, v45
	s_waitcnt vmcnt(22) lgkmcnt(0)
	v_mul_f32_e32 v45, v40, v126
	v_fmac_f32_e32 v45, v41, v125
	v_add_f32_e32 v48, v44, v45
	ds_read2_b64 v[44:47], v86 offset0:101 offset1:102
	s_waitcnt vmcnt(20)
	v_mul_f32_e32 v49, v42, v128
	v_fmac_f32_e32 v49, v43, v127
	v_add_f32_e32 v52, v48, v49
	ds_read2_b64 v[48:51], v86 offset0:103 offset1:104
	s_waitcnt vmcnt(18) lgkmcnt(1)
	v_mul_f32_e32 v53, v44, v130
	v_fmac_f32_e32 v53, v45, v129
	v_add_f32_e32 v52, v52, v53
	s_waitcnt vmcnt(16)
	v_mul_f32_e32 v53, v46, v132
	v_fmac_f32_e32 v53, v47, v131
	v_add_f32_e32 v52, v52, v53
	s_waitcnt vmcnt(14) lgkmcnt(0)
	v_mul_f32_e32 v53, v48, v134
	v_fmac_f32_e32 v53, v49, v133
	v_add_f32_e32 v56, v52, v53
	ds_read2_b64 v[52:55], v86 offset0:105 offset1:106
	s_waitcnt vmcnt(12)
	v_mul_f32_e32 v57, v50, v136
	v_fmac_f32_e32 v57, v51, v135
	v_add_f32_e32 v60, v56, v57
	ds_read2_b64 v[56:59], v86 offset0:107 offset1:108
	buffer_load_dword v69, off, s[0:3], 0 offset:412
	buffer_load_dword v68, off, s[0:3], 0 offset:408
	s_waitcnt vmcnt(12) lgkmcnt(1)
	v_mul_f32_e32 v61, v52, v138
	v_fmac_f32_e32 v61, v53, v137
	v_add_f32_e32 v60, v60, v61
	s_waitcnt vmcnt(10)
	v_mul_f32_e32 v61, v54, v140
	v_fmac_f32_e32 v61, v55, v139
	v_add_f32_e32 v60, v60, v61
	s_waitcnt vmcnt(8) lgkmcnt(0)
	v_mul_f32_e32 v61, v56, v142
	v_fmac_f32_e32 v61, v57, v141
	s_waitcnt vmcnt(6)
	v_mul_f32_e32 v65, v58, v144
	v_add_f32_e32 v64, v60, v61
	v_fmac_f32_e32 v65, v59, v143
	ds_read2_b64 v[60:63], v86 offset0:109 offset1:110
	v_add_f32_e32 v71, v64, v65
	ds_read2_b64 v[64:67], v86 offset0:111 offset1:112
	buffer_load_dword v77, off, s[0:3], 0 offset:444
	buffer_load_dword v76, off, s[0:3], 0 offset:440
	;; [unrolled: 1-line block ×14, first 2 shown]
	v_mul_f32_e32 v1, v17, v1
	v_fma_f32 v1, v16, v95, -v1
	v_mul_f32_e32 v16, v19, v70
	v_add_f32_e32 v1, 0, v1
	v_fma_f32 v16, v18, v94, -v16
	v_mul_f32_e32 v7, v7, v92
	v_add_f32_e32 v1, v1, v16
	v_fma_f32 v6, v6, v93, -v7
	v_add_f32_e32 v1, v1, v6
	v_mul_f32_e32 v6, v9, v72
	v_fma_f32 v6, v8, v100, -v6
	v_add_f32_e32 v1, v1, v6
	v_mul_f32_e32 v6, v11, v74
	;; [unrolled: 3-line block ×3, first 2 shown]
	v_fma_f32 v6, v12, v98, -v6
	v_mul_f32_e32 v3, v3, v96
	v_add_f32_e32 v1, v1, v6
	v_fma_f32 v2, v2, v97, -v3
	v_add_f32_e32 v1, v1, v2
	v_mul_f32_e32 v2, v5, v106
	v_fma_f32 v2, v4, v107, -v2
	v_add_f32_e32 v1, v1, v2
	v_mul_f32_e32 v2, v21, v108
	;; [unrolled: 3-line block ×21, first 2 shown]
	v_fma_f32 v2, v58, v143, -v2
	s_waitcnt vmcnt(15)
	v_mov_b32_e32 v18, v69
	s_waitcnt lgkmcnt(1)
	v_mul_f32_e32 v73, v60, v146
	v_add_f32_e32 v70, v1, v2
	v_mul_f32_e32 v1, v61, v146
	s_waitcnt lgkmcnt(0)
	v_pk_mul_f32 v[18:19], v[64:65], v[18:19] op_sel_hi:[1,0]
	v_fmac_f32_e32 v73, v61, v145
	v_mul_f32_e32 v75, v62, v148
	v_fma_f32 v72, v60, v145, -v1
	v_mul_f32_e32 v1, v63, v148
	s_waitcnt vmcnt(14)
	v_pk_fma_f32 v[20:21], v[64:65], v[68:69], v[18:19] op_sel:[0,0,1] op_sel_hi:[1,1,0] neg_lo:[0,0,1] neg_hi:[0,0,1]
	v_pk_fma_f32 v[18:19], v[64:65], v[68:69], v[18:19] op_sel:[0,0,1] op_sel_hi:[1,0,0]
	v_fmac_f32_e32 v75, v63, v147
	v_fma_f32 v74, v62, v147, -v1
	v_pk_add_f32 v[16:17], v[70:71], v[72:73]
	s_waitcnt vmcnt(7)
	v_mov_b32_e32 v18, v83
	ds_read2_b64 v[2:5], v86 offset0:113 offset1:114
	ds_read2_b64 v[6:9], v86 offset0:115 offset1:116
	;; [unrolled: 1-line block ×3, first 2 shown]
	v_pk_add_f32 v[16:17], v[16:17], v[74:75]
	v_mov_b32_e32 v21, v19
	v_pk_mul_f32 v[18:19], v[66:67], v[18:19] op_sel_hi:[1,0]
	v_pk_add_f32 v[16:17], v[16:17], v[20:21]
	s_waitcnt vmcnt(6)
	v_pk_fma_f32 v[20:21], v[66:67], v[82:83], v[18:19] op_sel:[0,0,1] op_sel_hi:[1,1,0] neg_lo:[0,0,1] neg_hi:[0,0,1]
	v_pk_fma_f32 v[18:19], v[66:67], v[82:83], v[18:19] op_sel:[0,0,1] op_sel_hi:[1,0,0]
	v_mov_b32_e32 v18, v81
	v_mov_b32_e32 v21, v19
	s_waitcnt lgkmcnt(2)
	v_pk_mul_f32 v[18:19], v[2:3], v[18:19] op_sel_hi:[1,0]
	v_pk_add_f32 v[16:17], v[16:17], v[20:21]
	v_pk_fma_f32 v[20:21], v[2:3], v[80:81], v[18:19] op_sel:[0,0,1] op_sel_hi:[1,1,0] neg_lo:[0,0,1] neg_hi:[0,0,1]
	v_pk_fma_f32 v[2:3], v[2:3], v[80:81], v[18:19] op_sel:[0,0,1] op_sel_hi:[1,0,0]
	v_mov_b32_e32 v21, v3
	v_pk_add_f32 v[2:3], v[16:17], v[20:21]
	v_mov_b32_e32 v16, v79
	v_pk_mul_f32 v[16:17], v[4:5], v[16:17] op_sel_hi:[1,0]
	v_pk_fma_f32 v[18:19], v[4:5], v[78:79], v[16:17] op_sel:[0,0,1] op_sel_hi:[1,1,0] neg_lo:[0,0,1] neg_hi:[0,0,1]
	v_pk_fma_f32 v[4:5], v[4:5], v[78:79], v[16:17] op_sel:[0,0,1] op_sel_hi:[1,0,0]
	v_mov_b32_e32 v4, v77
	v_mov_b32_e32 v19, v5
	s_waitcnt lgkmcnt(1)
	v_pk_mul_f32 v[4:5], v[6:7], v[4:5] op_sel_hi:[1,0]
	v_pk_fma_f32 v[16:17], v[6:7], v[76:77], v[4:5] op_sel:[0,0,1] op_sel_hi:[1,1,0] neg_lo:[0,0,1] neg_hi:[0,0,1]
	v_pk_fma_f32 v[4:5], v[6:7], v[76:77], v[4:5] op_sel:[0,0,1] op_sel_hi:[1,0,0]
	s_waitcnt vmcnt(1)
	v_mov_b32_e32 v4, v91
	v_mov_b32_e32 v17, v5
	v_pk_mul_f32 v[4:5], v[8:9], v[4:5] op_sel_hi:[1,0]
	s_waitcnt vmcnt(0)
	v_pk_fma_f32 v[6:7], v[8:9], v[90:91], v[4:5] op_sel:[0,0,1] op_sel_hi:[1,1,0] neg_lo:[0,0,1] neg_hi:[0,0,1]
	v_pk_fma_f32 v[4:5], v[8:9], v[90:91], v[4:5] op_sel:[0,0,1] op_sel_hi:[1,0,0]
	v_pk_add_f32 v[2:3], v[2:3], v[18:19]
	v_mov_b32_e32 v4, v89
	v_pk_add_f32 v[2:3], v[2:3], v[16:17]
	v_mov_b32_e32 v7, v5
	s_waitcnt lgkmcnt(0)
	v_pk_mul_f32 v[4:5], v[10:11], v[4:5] op_sel_hi:[1,0]
	v_pk_add_f32 v[2:3], v[2:3], v[6:7]
	v_pk_fma_f32 v[6:7], v[10:11], v[88:89], v[4:5] op_sel:[0,0,1] op_sel_hi:[1,1,0] neg_lo:[0,0,1] neg_hi:[0,0,1]
	v_pk_fma_f32 v[4:5], v[10:11], v[88:89], v[4:5] op_sel:[0,0,1] op_sel_hi:[1,0,0]
	v_mov_b32_e32 v4, v85
	v_mov_b32_e32 v7, v5
	v_pk_mul_f32 v[4:5], v[12:13], v[4:5] op_sel_hi:[1,0]
	v_pk_add_f32 v[2:3], v[2:3], v[6:7]
	v_pk_fma_f32 v[6:7], v[12:13], v[84:85], v[4:5] op_sel:[0,0,1] op_sel_hi:[1,1,0] neg_lo:[0,0,1] neg_hi:[0,0,1]
	v_pk_fma_f32 v[4:5], v[12:13], v[84:85], v[4:5] op_sel:[0,0,1] op_sel_hi:[1,0,0]
	v_mov_b32_e32 v7, v5
	v_pk_add_f32 v[2:3], v[2:3], v[6:7]
	v_pk_add_f32 v[2:3], v[14:15], v[2:3] neg_lo:[0,1] neg_hi:[0,1]
	buffer_store_dword v3, off, s[0:3], 0 offset:164
	buffer_store_dword v2, off, s[0:3], 0 offset:160
	s_and_saveexec_b64 s[4:5], vcc
	s_cbranch_execz .LBB58_329
; %bb.328:
	buffer_load_dword v2, off, s[0:3], 0 offset:152
	buffer_load_dword v3, off, s[0:3], 0 offset:156
	v_mov_b32_e32 v1, 0
	buffer_store_dword v1, off, s[0:3], 0 offset:152
	buffer_store_dword v1, off, s[0:3], 0 offset:156
	s_waitcnt vmcnt(2)
	ds_write_b64 v187, v[2:3]
.LBB58_329:
	s_or_b64 exec, exec, s[4:5]
	s_waitcnt lgkmcnt(0)
	; wave barrier
	s_waitcnt lgkmcnt(0)
	buffer_load_dword v68, off, s[0:3], 0 offset:164
	buffer_load_dword v70, off, s[0:3], 0 offset:172
	;; [unrolled: 1-line block ×48, first 2 shown]
	v_mov_b32_e32 v1, 0
	ds_read_b128 v[2:5], v1 offset:640
	buffer_load_dword v135, off, s[0:3], 0 offset:344
	buffer_load_dword v136, off, s[0:3], 0 offset:348
	;; [unrolled: 1-line block ×8, first 2 shown]
	ds_read_b128 v[8:11], v1 offset:656
	ds_read_b128 v[12:15], v1 offset:672
	;; [unrolled: 1-line block ×3, first 2 shown]
	buffer_load_dword v143, off, s[0:3], 0 offset:376
	buffer_load_dword v144, off, s[0:3], 0 offset:380
	;; [unrolled: 1-line block ×8, first 2 shown]
	v_cmp_lt_u32_e32 vcc, 18, v0
	s_waitcnt vmcnt(62) lgkmcnt(3)
	v_mul_f32_e32 v20, v2, v68
	v_mul_f32_e32 v21, v4, v70
	s_waitcnt vmcnt(61) lgkmcnt(2)
	v_mul_f32_e32 v23, v10, v72
	s_waitcnt vmcnt(60) lgkmcnt(1)
	v_mul_f32_e32 v24, v12, v90
	s_waitcnt vmcnt(59)
	v_mul_f32_e32 v25, v14, v91
	s_waitcnt vmcnt(58)
	;; [unrolled: 2-line block ×3, first 2 shown]
	v_fmac_f32_e32 v22, v9, v93
	s_waitcnt vmcnt(56)
	v_fmac_f32_e32 v21, v5, v94
	s_waitcnt vmcnt(55)
	v_fmac_f32_e32 v20, v3, v95
	v_add_f32_e32 v20, 0, v20
	v_add_f32_e32 v20, v20, v21
	;; [unrolled: 1-line block ×3, first 2 shown]
	s_waitcnt vmcnt(51)
	v_fmac_f32_e32 v24, v13, v99
	s_waitcnt vmcnt(50)
	v_fmac_f32_e32 v23, v11, v100
	v_add_f32_e32 v20, v20, v23
	s_waitcnt lgkmcnt(0)
	v_mul_f32_e32 v26, v16, v96
	v_fmac_f32_e32 v25, v15, v98
	v_add_f32_e32 v20, v20, v24
	v_fmac_f32_e32 v26, v17, v97
	v_add_f32_e32 v20, v20, v25
	v_add_f32_e32 v24, v20, v26
	ds_read_b128 v[20:23], v1 offset:704
	s_waitcnt vmcnt(45)
	v_mul_f32_e32 v25, v18, v107
	s_waitcnt vmcnt(44)
	v_fmac_f32_e32 v25, v19, v108
	v_add_f32_e32 v28, v24, v25
	ds_read_b128 v[24:27], v1 offset:720
	s_waitcnt vmcnt(43) lgkmcnt(1)
	v_mul_f32_e32 v29, v20, v109
	v_fmac_f32_e32 v29, v21, v106
	v_add_f32_e32 v28, v28, v29
	s_waitcnt vmcnt(42)
	v_mul_f32_e32 v29, v22, v110
	v_fmac_f32_e32 v29, v23, v105
	v_add_f32_e32 v28, v28, v29
	s_waitcnt lgkmcnt(0)
	v_mul_f32_e32 v29, v24, v104
	v_fmac_f32_e32 v29, v25, v101
	v_add_f32_e32 v32, v28, v29
	ds_read_b128 v[28:31], v1 offset:736
	s_waitcnt vmcnt(38)
	v_mul_f32_e32 v33, v26, v112
	v_fmac_f32_e32 v33, v27, v111
	v_add_f32_e32 v36, v32, v33
	ds_read_b128 v[32:35], v1 offset:752
	s_waitcnt vmcnt(36) lgkmcnt(1)
	v_mul_f32_e32 v37, v28, v114
	v_fmac_f32_e32 v37, v29, v113
	v_add_f32_e32 v36, v36, v37
	s_waitcnt vmcnt(34)
	v_mul_f32_e32 v37, v30, v116
	v_fmac_f32_e32 v37, v31, v115
	v_add_f32_e32 v36, v36, v37
	s_waitcnt vmcnt(32) lgkmcnt(0)
	v_mul_f32_e32 v37, v32, v118
	v_fmac_f32_e32 v37, v33, v117
	v_add_f32_e32 v40, v36, v37
	ds_read_b128 v[36:39], v1 offset:768
	s_waitcnt vmcnt(30)
	v_mul_f32_e32 v41, v34, v120
	v_fmac_f32_e32 v41, v35, v119
	v_add_f32_e32 v44, v40, v41
	ds_read_b128 v[40:43], v1 offset:784
	s_waitcnt vmcnt(28) lgkmcnt(1)
	v_mul_f32_e32 v45, v36, v122
	v_fmac_f32_e32 v45, v37, v121
	v_add_f32_e32 v44, v44, v45
	s_waitcnt vmcnt(26)
	v_mul_f32_e32 v45, v38, v124
	v_fmac_f32_e32 v45, v39, v123
	v_add_f32_e32 v44, v44, v45
	s_waitcnt vmcnt(24) lgkmcnt(0)
	;; [unrolled: 18-line block ×4, first 2 shown]
	v_mul_f32_e32 v61, v56, v142
	v_fmac_f32_e32 v61, v57, v141
	s_waitcnt vmcnt(6)
	v_mul_f32_e32 v65, v58, v144
	v_add_f32_e32 v64, v60, v61
	v_fmac_f32_e32 v65, v59, v143
	ds_read_b128 v[60:63], v1 offset:864
	v_add_f32_e32 v69, v64, v65
	ds_read_b128 v[64:67], v1 offset:880
	buffer_load_dword v75, off, s[0:3], 0 offset:436
	buffer_load_dword v74, off, s[0:3], 0 offset:432
	;; [unrolled: 1-line block ×16, first 2 shown]
	v_mul_f32_e32 v3, v3, v68
	v_fma_f32 v2, v2, v95, -v3
	v_mul_f32_e32 v3, v5, v70
	v_add_f32_e32 v2, 0, v2
	v_fma_f32 v3, v4, v94, -v3
	v_add_f32_e32 v2, v2, v3
	v_mul_f32_e32 v3, v9, v92
	v_fma_f32 v3, v8, v93, -v3
	v_add_f32_e32 v2, v2, v3
	v_mul_f32_e32 v3, v11, v72
	;; [unrolled: 3-line block ×26, first 2 shown]
	v_fma_f32 v3, v58, v143, -v3
	v_add_f32_e32 v2, v2, v3
	s_waitcnt vmcnt(20) lgkmcnt(1)
	v_mul_f32_e32 v3, v61, v146
	v_mul_f32_e32 v71, v60, v146
	v_fma_f32 v3, v60, v145, -v3
	v_fmac_f32_e32 v71, v61, v145
	v_add_f32_e32 v68, v2, v3
	s_waitcnt vmcnt(18)
	v_mul_f32_e32 v2, v63, v148
	s_waitcnt vmcnt(9)
	v_mov_b32_e32 v20, v81
	v_add_f32_e32 v69, v69, v71
	v_mul_f32_e32 v71, v62, v148
	v_fma_f32 v70, v62, v147, -v2
	s_waitcnt lgkmcnt(0)
	v_mul_f32_e32 v2, v65, v150
	v_pk_mul_f32 v[20:21], v[66:67], v[20:21] op_sel_hi:[1,0]
	v_fmac_f32_e32 v71, v63, v147
	v_mul_f32_e32 v73, v64, v150
	v_fma_f32 v72, v64, v149, -v2
	ds_read_b128 v[2:5], v1 offset:896
	ds_read_b128 v[8:11], v1 offset:912
	;; [unrolled: 1-line block ×3, first 2 shown]
	ds_read_b64 v[16:17], v1 offset:944
	s_waitcnt vmcnt(8)
	v_pk_fma_f32 v[22:23], v[66:67], v[80:81], v[20:21] op_sel:[0,0,1] op_sel_hi:[1,1,0] neg_lo:[0,0,1] neg_hi:[0,0,1]
	v_pk_fma_f32 v[20:21], v[66:67], v[80:81], v[20:21] op_sel:[0,0,1] op_sel_hi:[1,0,0]
	v_fmac_f32_e32 v73, v65, v149
	v_pk_add_f32 v[18:19], v[68:69], v[70:71]
	v_mov_b32_e32 v20, v79
	v_pk_add_f32 v[18:19], v[18:19], v[72:73]
	v_mov_b32_e32 v23, v21
	s_waitcnt lgkmcnt(3)
	v_pk_mul_f32 v[20:21], v[2:3], v[20:21] op_sel_hi:[1,0]
	v_pk_add_f32 v[18:19], v[18:19], v[22:23]
	v_pk_fma_f32 v[22:23], v[2:3], v[78:79], v[20:21] op_sel:[0,0,1] op_sel_hi:[1,1,0] neg_lo:[0,0,1] neg_hi:[0,0,1]
	v_pk_fma_f32 v[2:3], v[2:3], v[78:79], v[20:21] op_sel:[0,0,1] op_sel_hi:[1,0,0]
	v_mov_b32_e32 v23, v3
	v_pk_add_f32 v[2:3], v[18:19], v[22:23]
	v_mov_b32_e32 v18, v77
	v_pk_mul_f32 v[18:19], v[4:5], v[18:19] op_sel_hi:[1,0]
	v_pk_fma_f32 v[20:21], v[4:5], v[76:77], v[18:19] op_sel:[0,0,1] op_sel_hi:[1,1,0] neg_lo:[0,0,1] neg_hi:[0,0,1]
	v_pk_fma_f32 v[4:5], v[4:5], v[76:77], v[18:19] op_sel:[0,0,1] op_sel_hi:[1,0,0]
	v_mov_b32_e32 v4, v75
	v_mov_b32_e32 v21, v5
	s_waitcnt lgkmcnt(2)
	v_pk_mul_f32 v[4:5], v[8:9], v[4:5] op_sel_hi:[1,0]
	v_pk_fma_f32 v[18:19], v[8:9], v[74:75], v[4:5] op_sel:[0,0,1] op_sel_hi:[1,1,0] neg_lo:[0,0,1] neg_hi:[0,0,1]
	v_pk_fma_f32 v[4:5], v[8:9], v[74:75], v[4:5] op_sel:[0,0,1] op_sel_hi:[1,0,0]
	s_waitcnt vmcnt(1)
	v_mov_b32_e32 v4, v89
	v_mov_b32_e32 v19, v5
	v_pk_mul_f32 v[4:5], v[10:11], v[4:5] op_sel_hi:[1,0]
	s_waitcnt vmcnt(0)
	v_pk_fma_f32 v[8:9], v[10:11], v[88:89], v[4:5] op_sel:[0,0,1] op_sel_hi:[1,1,0] neg_lo:[0,0,1] neg_hi:[0,0,1]
	v_pk_fma_f32 v[4:5], v[10:11], v[88:89], v[4:5] op_sel:[0,0,1] op_sel_hi:[1,0,0]
	v_pk_add_f32 v[2:3], v[2:3], v[20:21]
	v_mov_b32_e32 v4, v87
	v_pk_add_f32 v[2:3], v[2:3], v[18:19]
	v_mov_b32_e32 v9, v5
	s_waitcnt lgkmcnt(1)
	v_pk_mul_f32 v[4:5], v[12:13], v[4:5] op_sel_hi:[1,0]
	v_pk_add_f32 v[2:3], v[2:3], v[8:9]
	v_pk_fma_f32 v[8:9], v[12:13], v[86:87], v[4:5] op_sel:[0,0,1] op_sel_hi:[1,1,0] neg_lo:[0,0,1] neg_hi:[0,0,1]
	v_pk_fma_f32 v[4:5], v[12:13], v[86:87], v[4:5] op_sel:[0,0,1] op_sel_hi:[1,0,0]
	v_mov_b32_e32 v4, v85
	v_mov_b32_e32 v9, v5
	v_pk_mul_f32 v[4:5], v[14:15], v[4:5] op_sel_hi:[1,0]
	v_pk_add_f32 v[2:3], v[2:3], v[8:9]
	v_pk_fma_f32 v[8:9], v[14:15], v[84:85], v[4:5] op_sel:[0,0,1] op_sel_hi:[1,1,0] neg_lo:[0,0,1] neg_hi:[0,0,1]
	v_pk_fma_f32 v[4:5], v[14:15], v[84:85], v[4:5] op_sel:[0,0,1] op_sel_hi:[1,0,0]
	v_mov_b32_e32 v4, v83
	v_mov_b32_e32 v9, v5
	s_waitcnt lgkmcnt(0)
	v_pk_mul_f32 v[4:5], v[16:17], v[4:5] op_sel_hi:[1,0]
	v_pk_add_f32 v[2:3], v[2:3], v[8:9]
	v_pk_fma_f32 v[8:9], v[16:17], v[82:83], v[4:5] op_sel:[0,0,1] op_sel_hi:[1,1,0] neg_lo:[0,0,1] neg_hi:[0,0,1]
	v_pk_fma_f32 v[4:5], v[16:17], v[82:83], v[4:5] op_sel:[0,0,1] op_sel_hi:[1,0,0]
	v_mov_b32_e32 v9, v5
	v_pk_add_f32 v[2:3], v[2:3], v[8:9]
	v_pk_add_f32 v[2:3], v[6:7], v[2:3] neg_lo:[0,1] neg_hi:[0,1]
	buffer_store_dword v3, off, s[0:3], 0 offset:156
	buffer_store_dword v2, off, s[0:3], 0 offset:152
	s_and_saveexec_b64 s[4:5], vcc
	s_cbranch_execz .LBB58_331
; %bb.330:
	buffer_load_dword v2, off, s[0:3], 0 offset:144
	buffer_load_dword v3, off, s[0:3], 0 offset:148
	s_waitcnt vmcnt(0)
	ds_write_b64 v187, v[2:3]
	buffer_store_dword v1, off, s[0:3], 0 offset:144
	buffer_store_dword v1, off, s[0:3], 0 offset:148
.LBB58_331:
	s_or_b64 exec, exec, s[4:5]
	s_waitcnt lgkmcnt(0)
	; wave barrier
	s_waitcnt lgkmcnt(0)
	buffer_load_dword v68, off, s[0:3], 0 offset:156
	buffer_load_dword v70, off, s[0:3], 0 offset:164
	;; [unrolled: 1-line block ×26, first 2 shown]
	ds_read2_b64 v[14:17], v1 offset0:79 offset1:80
	ds_read2_b64 v[6:9], v1 offset0:81 offset1:82
	buffer_load_dword v113, off, s[0:3], 0 offset:248
	buffer_load_dword v114, off, s[0:3], 0 offset:252
	ds_read2_b64 v[10:13], v1 offset0:83 offset1:84
	ds_read2_b64 v[2:5], v1 offset0:85 offset1:86
	buffer_load_dword v115, off, s[0:3], 0 offset:256
	buffer_load_dword v116, off, s[0:3], 0 offset:260
	;; [unrolled: 1-line block ×32, first 2 shown]
	v_cmp_lt_u32_e32 vcc, 17, v0
	s_waitcnt vmcnt(59) lgkmcnt(3)
	v_mul_f32_e32 v20, v14, v68
	s_waitcnt vmcnt(58)
	v_mul_f32_e32 v21, v16, v70
	s_waitcnt vmcnt(57) lgkmcnt(2)
	v_mul_f32_e32 v23, v8, v78
	s_waitcnt vmcnt(56) lgkmcnt(1)
	v_mul_f32_e32 v24, v10, v90
	s_waitcnt vmcnt(55)
	v_mul_f32_e32 v25, v12, v91
	s_waitcnt vmcnt(54)
	v_mul_f32_e32 v22, v6, v92
	s_waitcnt vmcnt(53) lgkmcnt(0)
	v_mul_f32_e32 v26, v2, v93
	s_waitcnt vmcnt(52)
	v_mul_f32_e32 v27, v4, v94
	s_waitcnt vmcnt(51)
	v_fmac_f32_e32 v22, v7, v95
	s_waitcnt vmcnt(50)
	v_fmac_f32_e32 v21, v17, v96
	;; [unrolled: 2-line block ×3, first 2 shown]
	v_add_f32_e32 v20, 0, v20
	v_add_f32_e32 v20, v20, v21
	;; [unrolled: 1-line block ×3, first 2 shown]
	s_waitcnt vmcnt(45)
	v_fmac_f32_e32 v23, v9, v101
	v_fmac_f32_e32 v24, v11, v100
	v_add_f32_e32 v20, v20, v23
	v_fmac_f32_e32 v25, v13, v99
	v_add_f32_e32 v20, v20, v24
	;; [unrolled: 2-line block ×3, first 2 shown]
	v_add_f32_e32 v24, v20, v26
	ds_read2_b64 v[20:23], v1 offset0:87 offset1:88
	s_waitcnt vmcnt(41)
	v_fmac_f32_e32 v27, v5, v107
	buffer_load_dword v147, off, s[0:3], 0 offset:384
	buffer_load_dword v148, off, s[0:3], 0 offset:388
	v_add_f32_e32 v28, v24, v27
	buffer_load_dword v149, off, s[0:3], 0 offset:392
	buffer_load_dword v150, off, s[0:3], 0 offset:396
	ds_read2_b64 v[24:27], v1 offset0:89 offset1:90
	s_waitcnt vmcnt(44) lgkmcnt(1)
	v_mul_f32_e32 v29, v20, v108
	v_fmac_f32_e32 v29, v21, v106
	v_add_f32_e32 v28, v28, v29
	s_waitcnt vmcnt(43)
	v_mul_f32_e32 v29, v22, v109
	v_fmac_f32_e32 v29, v23, v105
	v_add_f32_e32 v28, v28, v29
	s_waitcnt vmcnt(42) lgkmcnt(0)
	v_mul_f32_e32 v29, v24, v110
	v_fmac_f32_e32 v29, v25, v104
	buffer_load_dword v151, off, s[0:3], 0 offset:400
	buffer_load_dword v152, off, s[0:3], 0 offset:404
	v_add_f32_e32 v32, v28, v29
	ds_read2_b64 v[28:31], v1 offset0:91 offset1:92
	s_waitcnt vmcnt(40)
	v_mul_f32_e32 v33, v26, v112
	v_fmac_f32_e32 v33, v27, v111
	v_add_f32_e32 v36, v32, v33
	ds_read2_b64 v[32:35], v1 offset0:93 offset1:94
	s_waitcnt vmcnt(38) lgkmcnt(1)
	v_mul_f32_e32 v37, v28, v114
	v_fmac_f32_e32 v37, v29, v113
	v_add_f32_e32 v36, v36, v37
	s_waitcnt vmcnt(36)
	v_mul_f32_e32 v37, v30, v116
	v_fmac_f32_e32 v37, v31, v115
	v_add_f32_e32 v36, v36, v37
	s_waitcnt vmcnt(34) lgkmcnt(0)
	v_mul_f32_e32 v37, v32, v118
	v_fmac_f32_e32 v37, v33, v117
	v_add_f32_e32 v40, v36, v37
	ds_read2_b64 v[36:39], v1 offset0:95 offset1:96
	s_waitcnt vmcnt(32)
	v_mul_f32_e32 v41, v34, v120
	v_fmac_f32_e32 v41, v35, v119
	v_add_f32_e32 v44, v40, v41
	ds_read2_b64 v[40:43], v1 offset0:97 offset1:98
	s_waitcnt vmcnt(30) lgkmcnt(1)
	v_mul_f32_e32 v45, v36, v122
	v_fmac_f32_e32 v45, v37, v121
	v_add_f32_e32 v44, v44, v45
	s_waitcnt vmcnt(28)
	v_mul_f32_e32 v45, v38, v124
	v_fmac_f32_e32 v45, v39, v123
	v_add_f32_e32 v44, v44, v45
	s_waitcnt vmcnt(26) lgkmcnt(0)
	v_mul_f32_e32 v45, v40, v126
	v_fmac_f32_e32 v45, v41, v125
	;; [unrolled: 18-line block ×4, first 2 shown]
	s_waitcnt vmcnt(8)
	v_mul_f32_e32 v65, v58, v144
	v_add_f32_e32 v64, v60, v61
	v_fmac_f32_e32 v65, v59, v143
	ds_read2_b64 v[60:63], v1 offset0:107 offset1:108
	v_add_f32_e32 v69, v64, v65
	ds_read2_b64 v[64:67], v1 offset0:109 offset1:110
	buffer_load_dword v73, off, s[0:3], 0 offset:428
	buffer_load_dword v72, off, s[0:3], 0 offset:424
	buffer_load_dword v75, off, s[0:3], 0 offset:420
	buffer_load_dword v74, off, s[0:3], 0 offset:416
	buffer_load_dword v77, off, s[0:3], 0 offset:412
	buffer_load_dword v76, off, s[0:3], 0 offset:408
	buffer_load_dword v81, off, s[0:3], 0 offset:460
	buffer_load_dword v80, off, s[0:3], 0 offset:456
	buffer_load_dword v83, off, s[0:3], 0 offset:452
	buffer_load_dword v82, off, s[0:3], 0 offset:448
	buffer_load_dword v85, off, s[0:3], 0 offset:444
	buffer_load_dword v84, off, s[0:3], 0 offset:440
	buffer_load_dword v87, off, s[0:3], 0 offset:436
	buffer_load_dword v86, off, s[0:3], 0 offset:432
	buffer_load_dword v89, off, s[0:3], 0 offset:468
	buffer_load_dword v88, off, s[0:3], 0 offset:464
	v_mul_f32_e32 v15, v15, v68
	v_fma_f32 v14, v14, v97, -v15
	v_mul_f32_e32 v15, v17, v70
	v_add_f32_e32 v14, 0, v14
	v_fma_f32 v15, v16, v96, -v15
	v_mul_f32_e32 v7, v7, v92
	v_add_f32_e32 v14, v14, v15
	;; [unrolled: 3-line block ×3, first 2 shown]
	v_fma_f32 v7, v8, v101, -v7
	v_add_f32_e32 v6, v6, v7
	v_mul_f32_e32 v7, v11, v90
	v_fma_f32 v7, v10, v100, -v7
	v_add_f32_e32 v6, v6, v7
	v_mul_f32_e32 v7, v13, v91
	v_fma_f32 v7, v12, v99, -v7
	v_mul_f32_e32 v3, v3, v93
	v_add_f32_e32 v6, v6, v7
	v_fma_f32 v2, v2, v98, -v3
	v_mul_f32_e32 v3, v5, v94
	v_add_f32_e32 v2, v6, v2
	v_fma_f32 v3, v4, v107, -v3
	v_add_f32_e32 v2, v2, v3
	v_mul_f32_e32 v3, v21, v108
	v_fma_f32 v3, v20, v106, -v3
	v_add_f32_e32 v2, v2, v3
	v_mul_f32_e32 v3, v23, v109
	;; [unrolled: 3-line block ×20, first 2 shown]
	v_fma_f32 v3, v58, v143, -v3
	v_add_f32_e32 v2, v2, v3
	s_waitcnt vmcnt(22) lgkmcnt(1)
	v_mul_f32_e32 v3, v61, v146
	v_fma_f32 v3, v60, v145, -v3
	v_add_f32_e32 v2, v2, v3
	s_waitcnt vmcnt(20)
	v_mul_f32_e32 v3, v63, v148
	v_mul_f32_e32 v71, v60, v146
	v_fma_f32 v3, v62, v147, -v3
	v_fmac_f32_e32 v71, v61, v145
	v_add_f32_e32 v68, v2, v3
	s_waitcnt vmcnt(18) lgkmcnt(0)
	v_mul_f32_e32 v2, v65, v150
	v_add_f32_e32 v69, v69, v71
	v_mul_f32_e32 v71, v62, v148
	v_fma_f32 v70, v64, v149, -v2
	s_waitcnt vmcnt(16)
	v_mul_f32_e32 v2, v67, v152
	v_fmac_f32_e32 v71, v63, v147
	v_fma_f32 v78, v66, v151, -v2
	ds_read2_b64 v[2:5], v1 offset0:111 offset1:112
	ds_read2_b64 v[6:9], v1 offset0:113 offset1:114
	;; [unrolled: 1-line block ×4, first 2 shown]
	v_add_f32_e32 v69, v69, v71
	v_mul_f32_e32 v71, v64, v150
	s_waitcnt vmcnt(11)
	v_mov_b32_e32 v22, v77
	v_fmac_f32_e32 v71, v65, v149
	v_mul_f32_e32 v79, v66, v152
	s_waitcnt lgkmcnt(3)
	v_pk_mul_f32 v[22:23], v[2:3], v[22:23] op_sel_hi:[1,0]
	v_fmac_f32_e32 v79, v67, v151
	v_pk_add_f32 v[20:21], v[68:69], v[70:71]
	s_waitcnt vmcnt(10)
	v_pk_fma_f32 v[24:25], v[2:3], v[76:77], v[22:23] op_sel:[0,0,1] op_sel_hi:[1,1,0] neg_lo:[0,0,1] neg_hi:[0,0,1]
	v_pk_fma_f32 v[2:3], v[2:3], v[76:77], v[22:23] op_sel:[0,0,1] op_sel_hi:[1,0,0]
	v_pk_add_f32 v[20:21], v[20:21], v[78:79]
	v_mov_b32_e32 v25, v3
	v_pk_add_f32 v[2:3], v[20:21], v[24:25]
	v_mov_b32_e32 v20, v75
	v_pk_mul_f32 v[20:21], v[4:5], v[20:21] op_sel_hi:[1,0]
	v_pk_fma_f32 v[22:23], v[4:5], v[74:75], v[20:21] op_sel:[0,0,1] op_sel_hi:[1,1,0] neg_lo:[0,0,1] neg_hi:[0,0,1]
	v_pk_fma_f32 v[4:5], v[4:5], v[74:75], v[20:21] op_sel:[0,0,1] op_sel_hi:[1,0,0]
	v_mov_b32_e32 v4, v73
	v_mov_b32_e32 v23, v5
	s_waitcnt lgkmcnt(2)
	v_pk_mul_f32 v[4:5], v[6:7], v[4:5] op_sel_hi:[1,0]
	v_pk_fma_f32 v[20:21], v[6:7], v[72:73], v[4:5] op_sel:[0,0,1] op_sel_hi:[1,1,0] neg_lo:[0,0,1] neg_hi:[0,0,1]
	v_pk_fma_f32 v[4:5], v[6:7], v[72:73], v[4:5] op_sel:[0,0,1] op_sel_hi:[1,0,0]
	s_waitcnt vmcnt(3)
	v_mov_b32_e32 v4, v87
	v_mov_b32_e32 v21, v5
	v_pk_mul_f32 v[4:5], v[8:9], v[4:5] op_sel_hi:[1,0]
	s_waitcnt vmcnt(2)
	v_pk_fma_f32 v[6:7], v[8:9], v[86:87], v[4:5] op_sel:[0,0,1] op_sel_hi:[1,1,0] neg_lo:[0,0,1] neg_hi:[0,0,1]
	v_pk_fma_f32 v[4:5], v[8:9], v[86:87], v[4:5] op_sel:[0,0,1] op_sel_hi:[1,0,0]
	v_pk_add_f32 v[2:3], v[2:3], v[22:23]
	v_mov_b32_e32 v4, v85
	v_pk_add_f32 v[2:3], v[2:3], v[20:21]
	v_mov_b32_e32 v7, v5
	s_waitcnt lgkmcnt(1)
	v_pk_mul_f32 v[4:5], v[10:11], v[4:5] op_sel_hi:[1,0]
	v_pk_add_f32 v[2:3], v[2:3], v[6:7]
	v_pk_fma_f32 v[6:7], v[10:11], v[84:85], v[4:5] op_sel:[0,0,1] op_sel_hi:[1,1,0] neg_lo:[0,0,1] neg_hi:[0,0,1]
	v_pk_fma_f32 v[4:5], v[10:11], v[84:85], v[4:5] op_sel:[0,0,1] op_sel_hi:[1,0,0]
	v_mov_b32_e32 v4, v83
	v_mov_b32_e32 v7, v5
	v_pk_mul_f32 v[4:5], v[12:13], v[4:5] op_sel_hi:[1,0]
	v_pk_add_f32 v[2:3], v[2:3], v[6:7]
	v_pk_fma_f32 v[6:7], v[12:13], v[82:83], v[4:5] op_sel:[0,0,1] op_sel_hi:[1,1,0] neg_lo:[0,0,1] neg_hi:[0,0,1]
	v_pk_fma_f32 v[4:5], v[12:13], v[82:83], v[4:5] op_sel:[0,0,1] op_sel_hi:[1,0,0]
	v_mov_b32_e32 v4, v81
	v_mov_b32_e32 v7, v5
	s_waitcnt lgkmcnt(0)
	v_pk_mul_f32 v[4:5], v[14:15], v[4:5] op_sel_hi:[1,0]
	v_pk_add_f32 v[2:3], v[2:3], v[6:7]
	v_pk_fma_f32 v[6:7], v[14:15], v[80:81], v[4:5] op_sel:[0,0,1] op_sel_hi:[1,1,0] neg_lo:[0,0,1] neg_hi:[0,0,1]
	v_pk_fma_f32 v[4:5], v[14:15], v[80:81], v[4:5] op_sel:[0,0,1] op_sel_hi:[1,0,0]
	s_waitcnt vmcnt(1)
	v_mov_b32_e32 v4, v89
	v_mov_b32_e32 v7, v5
	v_pk_mul_f32 v[4:5], v[16:17], v[4:5] op_sel_hi:[1,0]
	v_pk_add_f32 v[2:3], v[2:3], v[6:7]
	s_waitcnt vmcnt(0)
	v_pk_fma_f32 v[6:7], v[16:17], v[88:89], v[4:5] op_sel:[0,0,1] op_sel_hi:[1,1,0] neg_lo:[0,0,1] neg_hi:[0,0,1]
	v_pk_fma_f32 v[4:5], v[16:17], v[88:89], v[4:5] op_sel:[0,0,1] op_sel_hi:[1,0,0]
	v_mov_b32_e32 v7, v5
	v_pk_add_f32 v[2:3], v[2:3], v[6:7]
	v_pk_add_f32 v[2:3], v[18:19], v[2:3] neg_lo:[0,1] neg_hi:[0,1]
	buffer_store_dword v3, off, s[0:3], 0 offset:148
	buffer_store_dword v2, off, s[0:3], 0 offset:144
	s_and_saveexec_b64 s[4:5], vcc
	s_cbranch_execz .LBB58_333
; %bb.332:
	buffer_load_dword v2, off, s[0:3], 0 offset:136
	buffer_load_dword v3, off, s[0:3], 0 offset:140
	v_mov_b32_e32 v1, 0
	buffer_store_dword v1, off, s[0:3], 0 offset:136
	buffer_store_dword v1, off, s[0:3], 0 offset:140
	s_waitcnt vmcnt(2)
	ds_write_b64 v187, v[2:3]
.LBB58_333:
	s_or_b64 exec, exec, s[4:5]
	v_mov_b32_e32 v94, 0
	s_waitcnt lgkmcnt(0)
	; wave barrier
	s_waitcnt lgkmcnt(0)
	ds_read_b128 v[14:17], v94 offset:624
	ds_read_b128 v[10:13], v94 offset:640
	;; [unrolled: 1-line block ×4, first 2 shown]
	buffer_load_dword v70, off, s[0:3], 0 offset:136
	buffer_load_dword v71, off, s[0:3], 0 offset:140
	;; [unrolled: 1-line block ×18, first 2 shown]
	v_cmp_lt_u32_e32 vcc, 16, v0
	s_waitcnt vmcnt(14) lgkmcnt(3)
	v_mul_f32_e32 v18, v14, v78
	v_fmac_f32_e32 v18, v15, v1
	s_waitcnt vmcnt(12)
	v_mul_f32_e32 v19, v16, v96
	v_add_f32_e32 v18, 0, v18
	v_fmac_f32_e32 v19, v17, v72
	v_add_f32_e32 v18, v18, v19
	s_waitcnt vmcnt(10) lgkmcnt(2)
	v_mul_f32_e32 v19, v10, v98
	v_fmac_f32_e32 v19, v11, v74
	v_add_f32_e32 v18, v18, v19
	s_waitcnt vmcnt(8)
	v_mul_f32_e32 v19, v12, v100
	v_fmac_f32_e32 v19, v13, v95
	v_add_f32_e32 v18, v18, v19
	s_waitcnt vmcnt(6) lgkmcnt(1)
	v_mul_f32_e32 v19, v6, v104
	v_fmac_f32_e32 v19, v7, v97
	v_add_f32_e32 v18, v18, v19
	s_waitcnt vmcnt(4)
	v_mul_f32_e32 v19, v8, v105
	;; [unrolled: 8-line block ×3, first 2 shown]
	v_fmac_f32_e32 v19, v5, v107
	v_add_f32_e32 v22, v18, v19
	ds_read_b128 v[18:21], v94 offset:688
	buffer_load_dword v109, off, s[0:3], 0 offset:208
	buffer_load_dword v110, off, s[0:3], 0 offset:212
	buffer_load_dword v111, off, s[0:3], 0 offset:216
	buffer_load_dword v112, off, s[0:3], 0 offset:220
	ds_read_b128 v[26:29], v94 offset:704
	buffer_load_dword v113, off, s[0:3], 0 offset:224
	buffer_load_dword v114, off, s[0:3], 0 offset:228
	buffer_load_dword v115, off, s[0:3], 0 offset:232
	buffer_load_dword v116, off, s[0:3], 0 offset:236
	;; [unrolled: 5-line block ×12, first 2 shown]
	v_mul_f32_e32 v15, v15, v78
	v_fma_f32 v1, v14, v1, -v15
	v_mul_f32_e32 v14, v17, v96
	v_add_f32_e32 v1, 0, v1
	v_fma_f32 v14, v16, v72, -v14
	v_mul_f32_e32 v11, v11, v98
	v_add_f32_e32 v1, v1, v14
	v_fma_f32 v10, v10, v74, -v11
	v_add_f32_e32 v1, v1, v10
	v_mul_f32_e32 v10, v13, v100
	v_fma_f32 v10, v12, v95, -v10
	v_mul_f32_e32 v7, v7, v104
	v_add_f32_e32 v1, v1, v10
	v_fma_f32 v6, v6, v97, -v7
	v_add_f32_e32 v1, v1, v6
	v_mul_f32_e32 v6, v9, v105
	v_fma_f32 v6, v8, v99, -v6
	v_mul_f32_e32 v3, v3, v106
	v_add_f32_e32 v1, v1, v6
	v_fma_f32 v2, v2, v101, -v3
	v_add_f32_e32 v1, v1, v2
	v_mul_f32_e32 v2, v5, v108
	v_fma_f32 v2, v4, v107, -v2
	v_add_f32_e32 v1, v1, v2
	s_waitcnt vmcnt(46) lgkmcnt(11)
	v_mul_f32_e32 v23, v18, v110
	v_fmac_f32_e32 v23, v19, v109
	v_add_f32_e32 v22, v22, v23
	s_waitcnt vmcnt(44)
	v_mul_f32_e32 v23, v20, v112
	v_fmac_f32_e32 v23, v21, v111
	v_add_f32_e32 v22, v22, v23
	s_waitcnt vmcnt(42) lgkmcnt(10)
	v_mul_f32_e32 v23, v26, v114
	v_fmac_f32_e32 v23, v27, v113
	v_add_f32_e32 v22, v22, v23
	s_waitcnt vmcnt(40)
	v_mul_f32_e32 v23, v28, v116
	v_fmac_f32_e32 v23, v29, v115
	;; [unrolled: 8-line block ×11, first 2 shown]
	v_add_f32_e32 v22, v22, v23
	s_waitcnt vmcnt(2) lgkmcnt(0)
	v_mul_f32_e32 v23, v66, v154
	v_fmac_f32_e32 v23, v67, v153
	v_add_f32_e32 v73, v22, v23
	ds_read_b128 v[22:25], v94 offset:880
	buffer_load_dword v157, off, s[0:3], 0 offset:400
	buffer_load_dword v158, off, s[0:3], 0 offset:404
	;; [unrolled: 1-line block ×18, first 2 shown]
	v_mul_f32_e32 v2, v19, v110
	v_fma_f32 v2, v18, v109, -v2
	v_add_f32_e32 v1, v1, v2
	v_mul_f32_e32 v2, v21, v112
	v_fma_f32 v2, v20, v111, -v2
	v_add_f32_e32 v1, v1, v2
	;; [unrolled: 3-line block ×22, first 2 shown]
	v_mul_f32_e32 v2, v67, v154
	v_fma_f32 v2, v66, v153, -v2
	s_waitcnt vmcnt(15)
	v_mov_b32_e32 v18, v77
	v_mul_f32_e32 v75, v68, v156
	v_add_f32_e32 v72, v1, v2
	v_mul_f32_e32 v1, v69, v156
	s_waitcnt lgkmcnt(0)
	v_pk_mul_f32 v[18:19], v[24:25], v[18:19] op_sel_hi:[1,0]
	v_fmac_f32_e32 v75, v69, v155
	v_fma_f32 v74, v68, v155, -v1
	ds_read_b128 v[2:5], v94 offset:896
	ds_read_b128 v[6:9], v94 offset:912
	;; [unrolled: 1-line block ×3, first 2 shown]
	ds_read_b64 v[14:15], v94 offset:944
	s_waitcnt vmcnt(14)
	v_pk_fma_f32 v[20:21], v[24:25], v[76:77], v[18:19] op_sel:[0,0,1] op_sel_hi:[1,1,0] neg_lo:[0,0,1] neg_hi:[0,0,1]
	v_pk_fma_f32 v[18:19], v[24:25], v[76:77], v[18:19] op_sel:[0,0,1] op_sel_hi:[1,0,0]
	v_mul_f32_e32 v79, v22, v158
	v_mul_f32_e32 v1, v23, v158
	v_fmac_f32_e32 v79, v23, v157
	v_fma_f32 v78, v22, v157, -v1
	v_pk_add_f32 v[16:17], v[72:73], v[74:75]
	s_waitcnt vmcnt(13)
	v_mov_b32_e32 v18, v93
	v_pk_add_f32 v[16:17], v[16:17], v[78:79]
	v_mov_b32_e32 v21, v19
	s_waitcnt lgkmcnt(3)
	v_pk_mul_f32 v[18:19], v[2:3], v[18:19] op_sel_hi:[1,0]
	v_pk_add_f32 v[16:17], v[16:17], v[20:21]
	s_waitcnt vmcnt(12)
	v_pk_fma_f32 v[20:21], v[2:3], v[92:93], v[18:19] op_sel:[0,0,1] op_sel_hi:[1,1,0] neg_lo:[0,0,1] neg_hi:[0,0,1]
	v_pk_fma_f32 v[2:3], v[2:3], v[92:93], v[18:19] op_sel:[0,0,1] op_sel_hi:[1,0,0]
	v_mov_b32_e32 v21, v3
	v_pk_add_f32 v[2:3], v[16:17], v[20:21]
	s_waitcnt vmcnt(11)
	v_mov_b32_e32 v16, v91
	v_pk_mul_f32 v[16:17], v[4:5], v[16:17] op_sel_hi:[1,0]
	s_waitcnt vmcnt(10)
	v_pk_fma_f32 v[18:19], v[4:5], v[90:91], v[16:17] op_sel:[0,0,1] op_sel_hi:[1,1,0] neg_lo:[0,0,1] neg_hi:[0,0,1]
	v_pk_fma_f32 v[4:5], v[4:5], v[90:91], v[16:17] op_sel:[0,0,1] op_sel_hi:[1,0,0]
	s_waitcnt vmcnt(9)
	v_mov_b32_e32 v4, v89
	v_mov_b32_e32 v19, v5
	s_waitcnt lgkmcnt(2)
	v_pk_mul_f32 v[4:5], v[6:7], v[4:5] op_sel_hi:[1,0]
	s_waitcnt vmcnt(8)
	v_pk_fma_f32 v[16:17], v[6:7], v[88:89], v[4:5] op_sel:[0,0,1] op_sel_hi:[1,1,0] neg_lo:[0,0,1] neg_hi:[0,0,1]
	v_pk_fma_f32 v[4:5], v[6:7], v[88:89], v[4:5] op_sel:[0,0,1] op_sel_hi:[1,0,0]
	s_waitcnt vmcnt(7)
	v_mov_b32_e32 v4, v87
	v_mov_b32_e32 v17, v5
	v_pk_mul_f32 v[4:5], v[8:9], v[4:5] op_sel_hi:[1,0]
	s_waitcnt vmcnt(6)
	v_pk_fma_f32 v[6:7], v[8:9], v[86:87], v[4:5] op_sel:[0,0,1] op_sel_hi:[1,1,0] neg_lo:[0,0,1] neg_hi:[0,0,1]
	v_pk_fma_f32 v[4:5], v[8:9], v[86:87], v[4:5] op_sel:[0,0,1] op_sel_hi:[1,0,0]
	v_pk_add_f32 v[2:3], v[2:3], v[18:19]
	s_waitcnt vmcnt(5)
	v_mov_b32_e32 v4, v85
	v_pk_add_f32 v[2:3], v[2:3], v[16:17]
	v_mov_b32_e32 v7, v5
	s_waitcnt lgkmcnt(1)
	v_pk_mul_f32 v[4:5], v[10:11], v[4:5] op_sel_hi:[1,0]
	v_pk_add_f32 v[2:3], v[2:3], v[6:7]
	s_waitcnt vmcnt(4)
	v_pk_fma_f32 v[6:7], v[10:11], v[84:85], v[4:5] op_sel:[0,0,1] op_sel_hi:[1,1,0] neg_lo:[0,0,1] neg_hi:[0,0,1]
	v_pk_fma_f32 v[4:5], v[10:11], v[84:85], v[4:5] op_sel:[0,0,1] op_sel_hi:[1,0,0]
	s_waitcnt vmcnt(3)
	v_mov_b32_e32 v4, v83
	v_mov_b32_e32 v7, v5
	v_pk_mul_f32 v[4:5], v[12:13], v[4:5] op_sel_hi:[1,0]
	v_pk_add_f32 v[2:3], v[2:3], v[6:7]
	s_waitcnt vmcnt(2)
	v_pk_fma_f32 v[6:7], v[12:13], v[82:83], v[4:5] op_sel:[0,0,1] op_sel_hi:[1,1,0] neg_lo:[0,0,1] neg_hi:[0,0,1]
	v_pk_fma_f32 v[4:5], v[12:13], v[82:83], v[4:5] op_sel:[0,0,1] op_sel_hi:[1,0,0]
	s_waitcnt vmcnt(1)
	v_mov_b32_e32 v4, v81
	v_mov_b32_e32 v7, v5
	s_waitcnt lgkmcnt(0)
	v_pk_mul_f32 v[4:5], v[14:15], v[4:5] op_sel_hi:[1,0]
	v_pk_add_f32 v[2:3], v[2:3], v[6:7]
	s_waitcnt vmcnt(0)
	v_pk_fma_f32 v[6:7], v[14:15], v[80:81], v[4:5] op_sel:[0,0,1] op_sel_hi:[1,1,0] neg_lo:[0,0,1] neg_hi:[0,0,1]
	v_pk_fma_f32 v[4:5], v[14:15], v[80:81], v[4:5] op_sel:[0,0,1] op_sel_hi:[1,0,0]
	v_mov_b32_e32 v7, v5
	v_pk_add_f32 v[2:3], v[2:3], v[6:7]
	v_pk_add_f32 v[2:3], v[70:71], v[2:3] neg_lo:[0,1] neg_hi:[0,1]
	buffer_store_dword v3, off, s[0:3], 0 offset:140
	buffer_store_dword v2, off, s[0:3], 0 offset:136
	s_and_saveexec_b64 s[4:5], vcc
	s_cbranch_execz .LBB58_335
; %bb.334:
	buffer_load_dword v2, off, s[0:3], 0 offset:128
	buffer_load_dword v3, off, s[0:3], 0 offset:132
	s_waitcnt vmcnt(0)
	ds_write_b64 v187, v[2:3]
	buffer_store_dword v94, off, s[0:3], 0 offset:128
	buffer_store_dword v94, off, s[0:3], 0 offset:132
.LBB58_335:
	s_or_b64 exec, exec, s[4:5]
	s_waitcnt lgkmcnt(0)
	; wave barrier
	s_waitcnt lgkmcnt(0)
	buffer_load_dword v1, off, s[0:3], 0 offset:140
	buffer_load_dword v78, off, s[0:3], 0 offset:148
	;; [unrolled: 1-line block ×24, first 2 shown]
	ds_read2_b64 v[22:25], v94 offset0:77 offset1:78
	ds_read2_b64 v[18:21], v94 offset0:79 offset1:80
	;; [unrolled: 1-line block ×4, first 2 shown]
	buffer_load_dword v119, off, s[0:3], 0 offset:224
	buffer_load_dword v120, off, s[0:3], 0 offset:228
	ds_read2_b64 v[10:13], v94 offset0:85 offset1:86
	ds_read2_b64 v[2:5], v94 offset0:87 offset1:88
	buffer_load_dword v121, off, s[0:3], 0 offset:232
	buffer_load_dword v122, off, s[0:3], 0 offset:236
	;; [unrolled: 1-line block ×44, first 2 shown]
	v_cmp_lt_u32_e32 vcc, 15, v0
	s_waitcnt vmcnt(62) lgkmcnt(5)
	v_mul_f32_e32 v28, v22, v1
	v_mul_f32_e32 v29, v24, v78
	s_waitcnt lgkmcnt(4)
	v_mul_f32_e32 v31, v20, v80
	s_waitcnt lgkmcnt(3)
	v_mul_f32_e32 v32, v14, v82
	v_mul_f32_e32 v33, v16, v95
	;; [unrolled: 1-line block ×3, first 2 shown]
	s_waitcnt lgkmcnt(2)
	v_mul_f32_e32 v34, v6, v101
	v_mul_f32_e32 v35, v8, v104
	s_waitcnt vmcnt(61)
	v_fmac_f32_e32 v30, v19, v105
	s_waitcnt vmcnt(60)
	v_fmac_f32_e32 v29, v25, v106
	;; [unrolled: 2-line block ×3, first 2 shown]
	v_add_f32_e32 v28, 0, v28
	v_add_f32_e32 v28, v28, v29
	;; [unrolled: 1-line block ×3, first 2 shown]
	s_waitcnt vmcnt(55)
	v_fmac_f32_e32 v31, v21, v111
	v_fmac_f32_e32 v32, v15, v110
	v_add_f32_e32 v28, v28, v31
	v_fmac_f32_e32 v33, v17, v109
	v_add_f32_e32 v28, v28, v32
	;; [unrolled: 2-line block ×3, first 2 shown]
	s_waitcnt vmcnt(51)
	v_fmac_f32_e32 v35, v9, v115
	v_add_f32_e32 v28, v28, v34
	s_waitcnt vmcnt(50) lgkmcnt(1)
	v_mul_f32_e32 v29, v10, v116
	v_add_f32_e32 v28, v28, v35
	v_fmac_f32_e32 v29, v11, v114
	v_add_f32_e32 v28, v28, v29
	s_waitcnt vmcnt(49)
	v_mul_f32_e32 v29, v12, v117
	v_fmac_f32_e32 v29, v13, v113
	v_add_f32_e32 v28, v28, v29
	s_waitcnt vmcnt(48) lgkmcnt(0)
	v_mul_f32_e32 v29, v2, v118
	v_fmac_f32_e32 v29, v3, v112
	v_add_f32_e32 v32, v28, v29
	ds_read2_b64 v[28:31], v94 offset0:89 offset1:90
	s_waitcnt vmcnt(44)
	v_mul_f32_e32 v33, v4, v120
	v_fmac_f32_e32 v33, v5, v119
	v_add_f32_e32 v36, v32, v33
	ds_read2_b64 v[32:35], v94 offset0:91 offset1:92
	s_waitcnt vmcnt(42) lgkmcnt(1)
	v_mul_f32_e32 v37, v28, v122
	v_fmac_f32_e32 v37, v29, v121
	v_add_f32_e32 v36, v36, v37
	s_waitcnt vmcnt(40)
	v_mul_f32_e32 v37, v30, v124
	v_fmac_f32_e32 v37, v31, v123
	v_add_f32_e32 v36, v36, v37
	s_waitcnt vmcnt(38) lgkmcnt(0)
	v_mul_f32_e32 v37, v32, v126
	v_fmac_f32_e32 v37, v33, v125
	v_add_f32_e32 v40, v36, v37
	ds_read2_b64 v[36:39], v94 offset0:93 offset1:94
	s_waitcnt vmcnt(36)
	v_mul_f32_e32 v41, v34, v128
	v_fmac_f32_e32 v41, v35, v127
	v_add_f32_e32 v44, v40, v41
	ds_read2_b64 v[40:43], v94 offset0:95 offset1:96
	s_waitcnt vmcnt(34) lgkmcnt(1)
	v_mul_f32_e32 v45, v36, v130
	;; [unrolled: 18-line block ×4, first 2 shown]
	v_fmac_f32_e32 v61, v53, v145
	v_add_f32_e32 v60, v60, v61
	s_waitcnt vmcnt(16)
	v_mul_f32_e32 v61, v54, v148
	v_fmac_f32_e32 v61, v55, v147
	v_add_f32_e32 v60, v60, v61
	s_waitcnt vmcnt(14) lgkmcnt(0)
	v_mul_f32_e32 v61, v56, v150
	v_fmac_f32_e32 v61, v57, v149
	v_add_f32_e32 v64, v60, v61
	ds_read2_b64 v[60:63], v94 offset0:105 offset1:106
	s_waitcnt vmcnt(12)
	v_mul_f32_e32 v65, v58, v152
	v_fmac_f32_e32 v65, v59, v151
	v_add_f32_e32 v68, v64, v65
	ds_read2_b64 v[64:67], v94 offset0:107 offset1:108
	buffer_load_dword v77, off, s[0:3], 0 offset:412
	buffer_load_dword v76, off, s[0:3], 0 offset:408
	s_waitcnt vmcnt(12) lgkmcnt(1)
	v_mul_f32_e32 v69, v60, v154
	v_fmac_f32_e32 v69, v61, v153
	v_add_f32_e32 v68, v68, v69
	s_waitcnt vmcnt(10)
	v_mul_f32_e32 v69, v62, v156
	v_fmac_f32_e32 v69, v63, v155
	v_add_f32_e32 v68, v68, v69
	s_waitcnt vmcnt(8) lgkmcnt(0)
	v_mul_f32_e32 v69, v64, v158
	v_fmac_f32_e32 v69, v65, v157
	s_waitcnt vmcnt(6)
	v_mul_f32_e32 v73, v66, v160
	v_add_f32_e32 v72, v68, v69
	v_fmac_f32_e32 v73, v67, v159
	ds_read2_b64 v[68:71], v94 offset0:109 offset1:110
	v_add_f32_e32 v79, v72, v73
	ds_read2_b64 v[72:75], v94 offset0:111 offset1:112
	buffer_load_dword v85, off, s[0:3], 0 offset:444
	buffer_load_dword v84, off, s[0:3], 0 offset:440
	buffer_load_dword v87, off, s[0:3], 0 offset:436
	buffer_load_dword v86, off, s[0:3], 0 offset:432
	buffer_load_dword v89, off, s[0:3], 0 offset:428
	buffer_load_dword v88, off, s[0:3], 0 offset:424
	buffer_load_dword v91, off, s[0:3], 0 offset:420
	buffer_load_dword v90, off, s[0:3], 0 offset:416
	buffer_load_dword v93, off, s[0:3], 0 offset:468
	buffer_load_dword v92, off, s[0:3], 0 offset:464
	buffer_load_dword v97, off, s[0:3], 0 offset:460
	buffer_load_dword v96, off, s[0:3], 0 offset:456
	buffer_load_dword v99, off, s[0:3], 0 offset:452
	buffer_load_dword v98, off, s[0:3], 0 offset:448
	v_mul_f32_e32 v1, v23, v1
	v_fma_f32 v1, v22, v107, -v1
	v_mul_f32_e32 v22, v25, v78
	v_add_f32_e32 v1, 0, v1
	v_fma_f32 v22, v24, v106, -v22
	v_mul_f32_e32 v19, v19, v100
	v_add_f32_e32 v1, v1, v22
	v_fma_f32 v18, v18, v105, -v19
	v_add_f32_e32 v1, v1, v18
	v_mul_f32_e32 v18, v21, v80
	v_fma_f32 v18, v20, v111, -v18
	v_mul_f32_e32 v15, v15, v82
	v_add_f32_e32 v1, v1, v18
	v_fma_f32 v14, v14, v110, -v15
	v_add_f32_e32 v1, v1, v14
	v_mul_f32_e32 v14, v17, v95
	;; [unrolled: 6-line block ×3, first 2 shown]
	v_fma_f32 v6, v8, v115, -v6
	v_add_f32_e32 v1, v1, v6
	v_mul_f32_e32 v6, v11, v116
	v_fma_f32 v6, v10, v114, -v6
	v_add_f32_e32 v1, v1, v6
	v_mul_f32_e32 v6, v13, v117
	v_fma_f32 v6, v12, v113, -v6
	v_mul_f32_e32 v3, v3, v118
	v_add_f32_e32 v1, v1, v6
	v_fma_f32 v2, v2, v112, -v3
	v_add_f32_e32 v1, v1, v2
	v_mul_f32_e32 v2, v5, v120
	v_fma_f32 v2, v4, v119, -v2
	v_add_f32_e32 v1, v1, v2
	v_mul_f32_e32 v2, v29, v122
	;; [unrolled: 3-line block ×21, first 2 shown]
	v_fma_f32 v2, v66, v159, -v2
	s_waitcnt vmcnt(15)
	v_mov_b32_e32 v16, v77
	s_waitcnt lgkmcnt(1)
	v_mul_f32_e32 v81, v68, v162
	v_add_f32_e32 v78, v1, v2
	v_mul_f32_e32 v1, v69, v162
	s_waitcnt lgkmcnt(0)
	v_pk_mul_f32 v[16:17], v[72:73], v[16:17] op_sel_hi:[1,0]
	v_fmac_f32_e32 v81, v69, v161
	v_mul_f32_e32 v83, v70, v164
	v_fma_f32 v80, v68, v161, -v1
	v_mul_f32_e32 v1, v71, v164
	s_waitcnt vmcnt(14)
	v_pk_fma_f32 v[18:19], v[72:73], v[76:77], v[16:17] op_sel:[0,0,1] op_sel_hi:[1,1,0] neg_lo:[0,0,1] neg_hi:[0,0,1]
	v_pk_fma_f32 v[16:17], v[72:73], v[76:77], v[16:17] op_sel:[0,0,1] op_sel_hi:[1,0,0]
	v_fmac_f32_e32 v83, v71, v163
	v_fma_f32 v82, v70, v163, -v1
	v_pk_add_f32 v[14:15], v[78:79], v[80:81]
	s_waitcnt vmcnt(7)
	v_mov_b32_e32 v16, v91
	ds_read2_b64 v[2:5], v94 offset0:113 offset1:114
	ds_read2_b64 v[6:9], v94 offset0:115 offset1:116
	;; [unrolled: 1-line block ×3, first 2 shown]
	v_pk_add_f32 v[14:15], v[14:15], v[82:83]
	v_mov_b32_e32 v19, v17
	v_pk_mul_f32 v[16:17], v[74:75], v[16:17] op_sel_hi:[1,0]
	v_pk_add_f32 v[14:15], v[14:15], v[18:19]
	s_waitcnt vmcnt(6)
	v_pk_fma_f32 v[18:19], v[74:75], v[90:91], v[16:17] op_sel:[0,0,1] op_sel_hi:[1,1,0] neg_lo:[0,0,1] neg_hi:[0,0,1]
	v_pk_fma_f32 v[16:17], v[74:75], v[90:91], v[16:17] op_sel:[0,0,1] op_sel_hi:[1,0,0]
	v_mov_b32_e32 v16, v89
	v_mov_b32_e32 v19, v17
	s_waitcnt lgkmcnt(2)
	v_pk_mul_f32 v[16:17], v[2:3], v[16:17] op_sel_hi:[1,0]
	v_pk_add_f32 v[14:15], v[14:15], v[18:19]
	v_pk_fma_f32 v[18:19], v[2:3], v[88:89], v[16:17] op_sel:[0,0,1] op_sel_hi:[1,1,0] neg_lo:[0,0,1] neg_hi:[0,0,1]
	v_pk_fma_f32 v[2:3], v[2:3], v[88:89], v[16:17] op_sel:[0,0,1] op_sel_hi:[1,0,0]
	v_mov_b32_e32 v19, v3
	v_pk_add_f32 v[2:3], v[14:15], v[18:19]
	v_mov_b32_e32 v14, v87
	v_pk_mul_f32 v[14:15], v[4:5], v[14:15] op_sel_hi:[1,0]
	v_pk_fma_f32 v[16:17], v[4:5], v[86:87], v[14:15] op_sel:[0,0,1] op_sel_hi:[1,1,0] neg_lo:[0,0,1] neg_hi:[0,0,1]
	v_pk_fma_f32 v[4:5], v[4:5], v[86:87], v[14:15] op_sel:[0,0,1] op_sel_hi:[1,0,0]
	v_mov_b32_e32 v4, v85
	v_mov_b32_e32 v17, v5
	s_waitcnt lgkmcnt(1)
	v_pk_mul_f32 v[4:5], v[6:7], v[4:5] op_sel_hi:[1,0]
	v_pk_fma_f32 v[14:15], v[6:7], v[84:85], v[4:5] op_sel:[0,0,1] op_sel_hi:[1,1,0] neg_lo:[0,0,1] neg_hi:[0,0,1]
	v_pk_fma_f32 v[4:5], v[6:7], v[84:85], v[4:5] op_sel:[0,0,1] op_sel_hi:[1,0,0]
	s_waitcnt vmcnt(1)
	v_mov_b32_e32 v4, v99
	v_mov_b32_e32 v15, v5
	v_pk_mul_f32 v[4:5], v[8:9], v[4:5] op_sel_hi:[1,0]
	s_waitcnt vmcnt(0)
	v_pk_fma_f32 v[6:7], v[8:9], v[98:99], v[4:5] op_sel:[0,0,1] op_sel_hi:[1,1,0] neg_lo:[0,0,1] neg_hi:[0,0,1]
	v_pk_fma_f32 v[4:5], v[8:9], v[98:99], v[4:5] op_sel:[0,0,1] op_sel_hi:[1,0,0]
	v_pk_add_f32 v[2:3], v[2:3], v[16:17]
	v_mov_b32_e32 v4, v97
	v_pk_add_f32 v[2:3], v[2:3], v[14:15]
	v_mov_b32_e32 v7, v5
	s_waitcnt lgkmcnt(0)
	v_pk_mul_f32 v[4:5], v[10:11], v[4:5] op_sel_hi:[1,0]
	v_pk_add_f32 v[2:3], v[2:3], v[6:7]
	v_pk_fma_f32 v[6:7], v[10:11], v[96:97], v[4:5] op_sel:[0,0,1] op_sel_hi:[1,1,0] neg_lo:[0,0,1] neg_hi:[0,0,1]
	v_pk_fma_f32 v[4:5], v[10:11], v[96:97], v[4:5] op_sel:[0,0,1] op_sel_hi:[1,0,0]
	v_mov_b32_e32 v4, v93
	v_mov_b32_e32 v7, v5
	v_pk_mul_f32 v[4:5], v[12:13], v[4:5] op_sel_hi:[1,0]
	v_pk_add_f32 v[2:3], v[2:3], v[6:7]
	v_pk_fma_f32 v[6:7], v[12:13], v[92:93], v[4:5] op_sel:[0,0,1] op_sel_hi:[1,1,0] neg_lo:[0,0,1] neg_hi:[0,0,1]
	v_pk_fma_f32 v[4:5], v[12:13], v[92:93], v[4:5] op_sel:[0,0,1] op_sel_hi:[1,0,0]
	v_mov_b32_e32 v7, v5
	v_pk_add_f32 v[2:3], v[2:3], v[6:7]
	v_pk_add_f32 v[2:3], v[26:27], v[2:3] neg_lo:[0,1] neg_hi:[0,1]
	buffer_store_dword v3, off, s[0:3], 0 offset:132
	buffer_store_dword v2, off, s[0:3], 0 offset:128
	s_and_saveexec_b64 s[4:5], vcc
	s_cbranch_execz .LBB58_337
; %bb.336:
	buffer_load_dword v2, off, s[0:3], 0 offset:120
	buffer_load_dword v3, off, s[0:3], 0 offset:124
	v_mov_b32_e32 v1, 0
	buffer_store_dword v1, off, s[0:3], 0 offset:120
	buffer_store_dword v1, off, s[0:3], 0 offset:124
	s_waitcnt vmcnt(2)
	ds_write_b64 v187, v[2:3]
.LBB58_337:
	s_or_b64 exec, exec, s[4:5]
	s_waitcnt lgkmcnt(0)
	; wave barrier
	s_waitcnt lgkmcnt(0)
	buffer_load_dword v76, off, s[0:3], 0 offset:132
	buffer_load_dword v78, off, s[0:3], 0 offset:140
	;; [unrolled: 1-line block ×56, first 2 shown]
	v_mov_b32_e32 v1, 0
	ds_read_b128 v[4:7], v1 offset:608
	ds_read_b128 v[8:11], v1 offset:624
	;; [unrolled: 1-line block ×6, first 2 shown]
	buffer_load_dword v151, off, s[0:3], 0 offset:344
	buffer_load_dword v152, off, s[0:3], 0 offset:348
	;; [unrolled: 1-line block ×16, first 2 shown]
	v_cmp_lt_u32_e32 vcc, 14, v0
	s_waitcnt vmcnt(62) lgkmcnt(5)
	v_mul_f32_e32 v28, v4, v76
	v_mul_f32_e32 v29, v6, v78
	s_waitcnt lgkmcnt(4)
	v_mul_f32_e32 v31, v10, v80
	s_waitcnt lgkmcnt(3)
	v_mul_f32_e32 v32, v12, v98
	v_mul_f32_e32 v33, v14, v99
	;; [unrolled: 1-line block ×3, first 2 shown]
	s_waitcnt lgkmcnt(2)
	v_mul_f32_e32 v34, v16, v101
	v_mul_f32_e32 v35, v18, v104
	s_waitcnt lgkmcnt(1)
	v_mul_f32_e32 v36, v20, v105
	v_fmac_f32_e32 v30, v9, v106
	s_waitcnt vmcnt(61)
	v_fmac_f32_e32 v29, v7, v107
	s_waitcnt vmcnt(60)
	v_fmac_f32_e32 v28, v5, v108
	v_add_f32_e32 v28, 0, v28
	v_add_f32_e32 v28, v28, v29
	;; [unrolled: 1-line block ×3, first 2 shown]
	s_waitcnt vmcnt(56)
	v_fmac_f32_e32 v31, v11, v112
	v_fmac_f32_e32 v32, v13, v111
	v_add_f32_e32 v28, v28, v31
	v_fmac_f32_e32 v33, v15, v110
	v_add_f32_e32 v28, v28, v32
	;; [unrolled: 2-line block ×3, first 2 shown]
	s_waitcnt vmcnt(52)
	v_fmac_f32_e32 v35, v19, v116
	v_add_f32_e32 v28, v28, v34
	v_add_f32_e32 v28, v28, v35
	v_fmac_f32_e32 v36, v21, v115
	s_waitcnt vmcnt(51)
	v_mul_f32_e32 v29, v22, v117
	v_add_f32_e32 v28, v28, v36
	v_fmac_f32_e32 v29, v23, v114
	v_add_f32_e32 v28, v28, v29
	s_waitcnt vmcnt(50) lgkmcnt(0)
	v_mul_f32_e32 v29, v24, v118
	v_fmac_f32_e32 v29, v25, v113
	v_add_f32_e32 v32, v28, v29
	ds_read_b128 v[28:31], v1 offset:704
	s_waitcnt vmcnt(46)
	v_mul_f32_e32 v33, v26, v120
	v_fmac_f32_e32 v33, v27, v119
	v_add_f32_e32 v36, v32, v33
	ds_read_b128 v[32:35], v1 offset:720
	s_waitcnt vmcnt(44) lgkmcnt(1)
	v_mul_f32_e32 v37, v28, v122
	v_fmac_f32_e32 v37, v29, v121
	v_add_f32_e32 v36, v36, v37
	s_waitcnt vmcnt(42)
	v_mul_f32_e32 v37, v30, v124
	v_fmac_f32_e32 v37, v31, v123
	v_add_f32_e32 v36, v36, v37
	s_waitcnt vmcnt(40) lgkmcnt(0)
	v_mul_f32_e32 v37, v32, v126
	v_fmac_f32_e32 v37, v33, v125
	v_add_f32_e32 v40, v36, v37
	ds_read_b128 v[36:39], v1 offset:736
	s_waitcnt vmcnt(38)
	v_mul_f32_e32 v41, v34, v128
	v_fmac_f32_e32 v41, v35, v127
	v_add_f32_e32 v44, v40, v41
	ds_read_b128 v[40:43], v1 offset:752
	s_waitcnt vmcnt(36) lgkmcnt(1)
	v_mul_f32_e32 v45, v36, v130
	v_fmac_f32_e32 v45, v37, v129
	v_add_f32_e32 v44, v44, v45
	s_waitcnt vmcnt(34)
	v_mul_f32_e32 v45, v38, v132
	;; [unrolled: 18-line block ×5, first 2 shown]
	v_fmac_f32_e32 v69, v63, v155
	v_add_f32_e32 v68, v68, v69
	s_waitcnt vmcnt(8) lgkmcnt(0)
	v_mul_f32_e32 v69, v64, v158
	v_fmac_f32_e32 v69, v65, v157
	s_waitcnt vmcnt(6)
	v_mul_f32_e32 v73, v66, v160
	v_add_f32_e32 v72, v68, v69
	v_fmac_f32_e32 v73, v67, v159
	ds_read_b128 v[68:71], v1 offset:864
	v_add_f32_e32 v77, v72, v73
	ds_read_b128 v[72:75], v1 offset:880
	buffer_load_dword v83, off, s[0:3], 0 offset:436
	buffer_load_dword v82, off, s[0:3], 0 offset:432
	;; [unrolled: 1-line block ×16, first 2 shown]
	v_mul_f32_e32 v5, v5, v76
	v_fma_f32 v4, v4, v108, -v5
	v_mul_f32_e32 v5, v7, v78
	v_add_f32_e32 v4, 0, v4
	v_fma_f32 v5, v6, v107, -v5
	v_add_f32_e32 v4, v4, v5
	v_mul_f32_e32 v5, v9, v100
	v_fma_f32 v5, v8, v106, -v5
	v_add_f32_e32 v4, v4, v5
	v_mul_f32_e32 v5, v11, v80
	;; [unrolled: 3-line block ×30, first 2 shown]
	v_fma_f32 v5, v66, v159, -v5
	v_add_f32_e32 v4, v4, v5
	s_waitcnt vmcnt(20) lgkmcnt(1)
	v_mul_f32_e32 v5, v69, v162
	v_mul_f32_e32 v79, v68, v162
	v_fma_f32 v5, v68, v161, -v5
	v_fmac_f32_e32 v79, v69, v161
	v_add_f32_e32 v76, v4, v5
	s_waitcnt vmcnt(18)
	v_mul_f32_e32 v4, v71, v164
	s_waitcnt vmcnt(9)
	v_mov_b32_e32 v20, v89
	v_add_f32_e32 v77, v77, v79
	v_mul_f32_e32 v79, v70, v164
	v_fma_f32 v78, v70, v163, -v4
	s_waitcnt lgkmcnt(0)
	v_mul_f32_e32 v4, v73, v166
	v_pk_mul_f32 v[20:21], v[74:75], v[20:21] op_sel_hi:[1,0]
	v_fmac_f32_e32 v79, v71, v163
	v_mul_f32_e32 v81, v72, v166
	v_fma_f32 v80, v72, v165, -v4
	ds_read_b128 v[4:7], v1 offset:896
	ds_read_b128 v[8:11], v1 offset:912
	;; [unrolled: 1-line block ×3, first 2 shown]
	ds_read_b64 v[16:17], v1 offset:944
	s_waitcnt vmcnt(8)
	v_pk_fma_f32 v[22:23], v[74:75], v[88:89], v[20:21] op_sel:[0,0,1] op_sel_hi:[1,1,0] neg_lo:[0,0,1] neg_hi:[0,0,1]
	v_pk_fma_f32 v[20:21], v[74:75], v[88:89], v[20:21] op_sel:[0,0,1] op_sel_hi:[1,0,0]
	v_fmac_f32_e32 v81, v73, v165
	v_pk_add_f32 v[18:19], v[76:77], v[78:79]
	v_mov_b32_e32 v20, v87
	v_pk_add_f32 v[18:19], v[18:19], v[80:81]
	v_mov_b32_e32 v23, v21
	s_waitcnt lgkmcnt(3)
	v_pk_mul_f32 v[20:21], v[4:5], v[20:21] op_sel_hi:[1,0]
	v_pk_add_f32 v[18:19], v[18:19], v[22:23]
	v_pk_fma_f32 v[22:23], v[4:5], v[86:87], v[20:21] op_sel:[0,0,1] op_sel_hi:[1,1,0] neg_lo:[0,0,1] neg_hi:[0,0,1]
	v_pk_fma_f32 v[4:5], v[4:5], v[86:87], v[20:21] op_sel:[0,0,1] op_sel_hi:[1,0,0]
	v_mov_b32_e32 v23, v5
	v_pk_add_f32 v[4:5], v[18:19], v[22:23]
	v_mov_b32_e32 v18, v85
	v_pk_mul_f32 v[18:19], v[6:7], v[18:19] op_sel_hi:[1,0]
	v_pk_fma_f32 v[20:21], v[6:7], v[84:85], v[18:19] op_sel:[0,0,1] op_sel_hi:[1,1,0] neg_lo:[0,0,1] neg_hi:[0,0,1]
	v_pk_fma_f32 v[6:7], v[6:7], v[84:85], v[18:19] op_sel:[0,0,1] op_sel_hi:[1,0,0]
	v_mov_b32_e32 v6, v83
	v_mov_b32_e32 v21, v7
	s_waitcnt lgkmcnt(2)
	v_pk_mul_f32 v[6:7], v[8:9], v[6:7] op_sel_hi:[1,0]
	v_pk_fma_f32 v[18:19], v[8:9], v[82:83], v[6:7] op_sel:[0,0,1] op_sel_hi:[1,1,0] neg_lo:[0,0,1] neg_hi:[0,0,1]
	v_pk_fma_f32 v[6:7], v[8:9], v[82:83], v[6:7] op_sel:[0,0,1] op_sel_hi:[1,0,0]
	s_waitcnt vmcnt(1)
	v_mov_b32_e32 v6, v97
	v_mov_b32_e32 v19, v7
	v_pk_mul_f32 v[6:7], v[10:11], v[6:7] op_sel_hi:[1,0]
	s_waitcnt vmcnt(0)
	v_pk_fma_f32 v[8:9], v[10:11], v[96:97], v[6:7] op_sel:[0,0,1] op_sel_hi:[1,1,0] neg_lo:[0,0,1] neg_hi:[0,0,1]
	v_pk_fma_f32 v[6:7], v[10:11], v[96:97], v[6:7] op_sel:[0,0,1] op_sel_hi:[1,0,0]
	v_pk_add_f32 v[4:5], v[4:5], v[20:21]
	v_mov_b32_e32 v6, v95
	v_pk_add_f32 v[4:5], v[4:5], v[18:19]
	v_mov_b32_e32 v9, v7
	s_waitcnt lgkmcnt(1)
	v_pk_mul_f32 v[6:7], v[12:13], v[6:7] op_sel_hi:[1,0]
	v_pk_add_f32 v[4:5], v[4:5], v[8:9]
	v_pk_fma_f32 v[8:9], v[12:13], v[94:95], v[6:7] op_sel:[0,0,1] op_sel_hi:[1,1,0] neg_lo:[0,0,1] neg_hi:[0,0,1]
	v_pk_fma_f32 v[6:7], v[12:13], v[94:95], v[6:7] op_sel:[0,0,1] op_sel_hi:[1,0,0]
	v_mov_b32_e32 v6, v93
	v_mov_b32_e32 v9, v7
	v_pk_mul_f32 v[6:7], v[14:15], v[6:7] op_sel_hi:[1,0]
	v_pk_add_f32 v[4:5], v[4:5], v[8:9]
	v_pk_fma_f32 v[8:9], v[14:15], v[92:93], v[6:7] op_sel:[0,0,1] op_sel_hi:[1,1,0] neg_lo:[0,0,1] neg_hi:[0,0,1]
	v_pk_fma_f32 v[6:7], v[14:15], v[92:93], v[6:7] op_sel:[0,0,1] op_sel_hi:[1,0,0]
	v_mov_b32_e32 v6, v91
	v_mov_b32_e32 v9, v7
	s_waitcnt lgkmcnt(0)
	v_pk_mul_f32 v[6:7], v[16:17], v[6:7] op_sel_hi:[1,0]
	v_pk_add_f32 v[4:5], v[4:5], v[8:9]
	v_pk_fma_f32 v[8:9], v[16:17], v[90:91], v[6:7] op_sel:[0,0,1] op_sel_hi:[1,1,0] neg_lo:[0,0,1] neg_hi:[0,0,1]
	v_pk_fma_f32 v[6:7], v[16:17], v[90:91], v[6:7] op_sel:[0,0,1] op_sel_hi:[1,0,0]
	v_mov_b32_e32 v9, v7
	v_pk_add_f32 v[4:5], v[4:5], v[8:9]
	v_pk_add_f32 v[2:3], v[2:3], v[4:5] neg_lo:[0,1] neg_hi:[0,1]
	buffer_store_dword v3, off, s[0:3], 0 offset:124
	buffer_store_dword v2, off, s[0:3], 0 offset:120
	s_and_saveexec_b64 s[4:5], vcc
	s_cbranch_execz .LBB58_339
; %bb.338:
	buffer_load_dword v2, off, s[0:3], 0 offset:112
	buffer_load_dword v3, off, s[0:3], 0 offset:116
	s_waitcnt vmcnt(0)
	ds_write_b64 v187, v[2:3]
	buffer_store_dword v1, off, s[0:3], 0 offset:112
	buffer_store_dword v1, off, s[0:3], 0 offset:116
.LBB58_339:
	s_or_b64 exec, exec, s[4:5]
	s_waitcnt lgkmcnt(0)
	; wave barrier
	s_waitcnt lgkmcnt(0)
	buffer_load_dword v76, off, s[0:3], 0 offset:124
	buffer_load_dword v78, off, s[0:3], 0 offset:132
	;; [unrolled: 1-line block ×26, first 2 shown]
	ds_read2_b64 v[22:25], v1 offset0:75 offset1:76
	ds_read2_b64 v[18:21], v1 offset0:77 offset1:78
	;; [unrolled: 1-line block ×6, first 2 shown]
	buffer_load_dword v121, off, s[0:3], 0 offset:216
	buffer_load_dword v122, off, s[0:3], 0 offset:220
	;; [unrolled: 1-line block ×42, first 2 shown]
	v_cmp_lt_u32_e32 vcc, 13, v0
	s_waitcnt vmcnt(62) lgkmcnt(5)
	v_mul_f32_e32 v28, v22, v76
	v_mul_f32_e32 v29, v24, v78
	s_waitcnt lgkmcnt(4)
	v_mul_f32_e32 v31, v20, v86
	s_waitcnt lgkmcnt(3)
	v_mul_f32_e32 v32, v14, v98
	v_mul_f32_e32 v33, v16, v99
	;; [unrolled: 1-line block ×3, first 2 shown]
	s_waitcnt vmcnt(61) lgkmcnt(2)
	v_mul_f32_e32 v34, v10, v101
	s_waitcnt vmcnt(60)
	v_mul_f32_e32 v35, v12, v104
	s_waitcnt vmcnt(59) lgkmcnt(1)
	v_mul_f32_e32 v36, v6, v105
	s_waitcnt vmcnt(58)
	v_fmac_f32_e32 v30, v19, v106
	s_waitcnt vmcnt(57)
	v_fmac_f32_e32 v29, v25, v107
	;; [unrolled: 2-line block ×3, first 2 shown]
	v_add_f32_e32 v28, 0, v28
	v_add_f32_e32 v28, v28, v29
	;; [unrolled: 1-line block ×3, first 2 shown]
	s_waitcnt vmcnt(52)
	v_fmac_f32_e32 v31, v21, v112
	v_fmac_f32_e32 v32, v15, v111
	v_add_f32_e32 v28, v28, v31
	v_fmac_f32_e32 v33, v17, v110
	v_add_f32_e32 v28, v28, v32
	;; [unrolled: 2-line block ×3, first 2 shown]
	s_waitcnt vmcnt(48)
	v_fmac_f32_e32 v35, v13, v116
	v_add_f32_e32 v28, v28, v34
	v_fmac_f32_e32 v36, v7, v115
	v_add_f32_e32 v28, v28, v35
	s_waitcnt vmcnt(47)
	v_mul_f32_e32 v29, v8, v117
	v_add_f32_e32 v28, v28, v36
	v_fmac_f32_e32 v29, v9, v114
	v_add_f32_e32 v28, v28, v29
	s_waitcnt vmcnt(46) lgkmcnt(0)
	v_mul_f32_e32 v29, v2, v118
	v_fmac_f32_e32 v29, v3, v113
	v_add_f32_e32 v32, v28, v29
	ds_read2_b64 v[28:31], v1 offset0:87 offset1:88
	s_waitcnt vmcnt(42)
	v_mul_f32_e32 v33, v4, v120
	v_fmac_f32_e32 v33, v5, v119
	buffer_load_dword v163, off, s[0:3], 0 offset:384
	buffer_load_dword v164, off, s[0:3], 0 offset:388
	v_add_f32_e32 v36, v32, v33
	buffer_load_dword v165, off, s[0:3], 0 offset:392
	buffer_load_dword v166, off, s[0:3], 0 offset:396
	ds_read2_b64 v[32:35], v1 offset0:89 offset1:90
	s_waitcnt vmcnt(44) lgkmcnt(1)
	v_mul_f32_e32 v37, v28, v122
	v_fmac_f32_e32 v37, v29, v121
	v_add_f32_e32 v36, v36, v37
	s_waitcnt vmcnt(42)
	v_mul_f32_e32 v37, v30, v124
	v_fmac_f32_e32 v37, v31, v123
	v_add_f32_e32 v36, v36, v37
	s_waitcnt vmcnt(40) lgkmcnt(0)
	v_mul_f32_e32 v37, v32, v126
	v_fmac_f32_e32 v37, v33, v125
	buffer_load_dword v167, off, s[0:3], 0 offset:400
	buffer_load_dword v168, off, s[0:3], 0 offset:404
	v_add_f32_e32 v40, v36, v37
	ds_read2_b64 v[36:39], v1 offset0:91 offset1:92
	s_waitcnt vmcnt(40)
	v_mul_f32_e32 v41, v34, v128
	v_fmac_f32_e32 v41, v35, v127
	v_add_f32_e32 v44, v40, v41
	ds_read2_b64 v[40:43], v1 offset0:93 offset1:94
	s_waitcnt vmcnt(38) lgkmcnt(1)
	v_mul_f32_e32 v45, v36, v130
	v_fmac_f32_e32 v45, v37, v129
	v_add_f32_e32 v44, v44, v45
	s_waitcnt vmcnt(36)
	v_mul_f32_e32 v45, v38, v132
	v_fmac_f32_e32 v45, v39, v131
	v_add_f32_e32 v44, v44, v45
	s_waitcnt vmcnt(34) lgkmcnt(0)
	v_mul_f32_e32 v45, v40, v134
	v_fmac_f32_e32 v45, v41, v133
	v_add_f32_e32 v48, v44, v45
	ds_read2_b64 v[44:47], v1 offset0:95 offset1:96
	s_waitcnt vmcnt(32)
	v_mul_f32_e32 v49, v42, v136
	v_fmac_f32_e32 v49, v43, v135
	v_add_f32_e32 v52, v48, v49
	ds_read2_b64 v[48:51], v1 offset0:97 offset1:98
	s_waitcnt vmcnt(30) lgkmcnt(1)
	v_mul_f32_e32 v53, v44, v138
	v_fmac_f32_e32 v53, v45, v137
	v_add_f32_e32 v52, v52, v53
	s_waitcnt vmcnt(28)
	v_mul_f32_e32 v53, v46, v140
	v_fmac_f32_e32 v53, v47, v139
	v_add_f32_e32 v52, v52, v53
	s_waitcnt vmcnt(26) lgkmcnt(0)
	v_mul_f32_e32 v53, v48, v142
	v_fmac_f32_e32 v53, v49, v141
	v_add_f32_e32 v56, v52, v53
	ds_read2_b64 v[52:55], v1 offset0:99 offset1:100
	s_waitcnt vmcnt(24)
	v_mul_f32_e32 v57, v50, v144
	v_fmac_f32_e32 v57, v51, v143
	v_add_f32_e32 v60, v56, v57
	ds_read2_b64 v[56:59], v1 offset0:101 offset1:102
	s_waitcnt vmcnt(22) lgkmcnt(1)
	v_mul_f32_e32 v61, v52, v146
	v_fmac_f32_e32 v61, v53, v145
	v_add_f32_e32 v60, v60, v61
	s_waitcnt vmcnt(20)
	v_mul_f32_e32 v61, v54, v148
	v_fmac_f32_e32 v61, v55, v147
	v_add_f32_e32 v60, v60, v61
	s_waitcnt vmcnt(18) lgkmcnt(0)
	v_mul_f32_e32 v61, v56, v150
	v_fmac_f32_e32 v61, v57, v149
	v_add_f32_e32 v64, v60, v61
	ds_read2_b64 v[60:63], v1 offset0:103 offset1:104
	s_waitcnt vmcnt(16)
	v_mul_f32_e32 v65, v58, v152
	v_fmac_f32_e32 v65, v59, v151
	v_add_f32_e32 v68, v64, v65
	ds_read2_b64 v[64:67], v1 offset0:105 offset1:106
	s_waitcnt vmcnt(14) lgkmcnt(1)
	v_mul_f32_e32 v69, v60, v154
	v_fmac_f32_e32 v69, v61, v153
	v_add_f32_e32 v68, v68, v69
	s_waitcnt vmcnt(12)
	v_mul_f32_e32 v69, v62, v156
	v_fmac_f32_e32 v69, v63, v155
	v_add_f32_e32 v68, v68, v69
	s_waitcnt vmcnt(10) lgkmcnt(0)
	v_mul_f32_e32 v69, v64, v158
	v_fmac_f32_e32 v69, v65, v157
	s_waitcnt vmcnt(8)
	v_mul_f32_e32 v73, v66, v160
	v_add_f32_e32 v72, v68, v69
	v_fmac_f32_e32 v73, v67, v159
	ds_read2_b64 v[68:71], v1 offset0:107 offset1:108
	v_add_f32_e32 v77, v72, v73
	ds_read2_b64 v[72:75], v1 offset0:109 offset1:110
	buffer_load_dword v81, off, s[0:3], 0 offset:428
	buffer_load_dword v80, off, s[0:3], 0 offset:424
	;; [unrolled: 1-line block ×16, first 2 shown]
	v_mul_f32_e32 v23, v23, v76
	v_fma_f32 v22, v22, v108, -v23
	v_mul_f32_e32 v23, v25, v78
	v_add_f32_e32 v22, 0, v22
	v_fma_f32 v23, v24, v107, -v23
	v_mul_f32_e32 v19, v19, v100
	v_add_f32_e32 v22, v22, v23
	;; [unrolled: 3-line block ×11, first 2 shown]
	v_fma_f32 v3, v4, v119, -v3
	v_add_f32_e32 v2, v2, v3
	v_mul_f32_e32 v3, v29, v122
	v_fma_f32 v3, v28, v121, -v3
	v_add_f32_e32 v2, v2, v3
	v_mul_f32_e32 v3, v31, v124
	;; [unrolled: 3-line block ×20, first 2 shown]
	v_fma_f32 v3, v66, v159, -v3
	v_add_f32_e32 v2, v2, v3
	s_waitcnt vmcnt(22) lgkmcnt(1)
	v_mul_f32_e32 v3, v69, v162
	v_fma_f32 v3, v68, v161, -v3
	v_add_f32_e32 v2, v2, v3
	s_waitcnt vmcnt(20)
	v_mul_f32_e32 v3, v71, v164
	v_mul_f32_e32 v79, v68, v162
	v_fma_f32 v3, v70, v163, -v3
	v_fmac_f32_e32 v79, v69, v161
	v_add_f32_e32 v76, v2, v3
	s_waitcnt vmcnt(18) lgkmcnt(0)
	v_mul_f32_e32 v2, v73, v166
	v_add_f32_e32 v77, v77, v79
	v_mul_f32_e32 v79, v70, v164
	v_fma_f32 v78, v72, v165, -v2
	s_waitcnt vmcnt(16)
	v_mul_f32_e32 v2, v75, v168
	v_fmac_f32_e32 v79, v71, v163
	v_fma_f32 v86, v74, v167, -v2
	ds_read2_b64 v[2:5], v1 offset0:111 offset1:112
	ds_read2_b64 v[6:9], v1 offset0:113 offset1:114
	;; [unrolled: 1-line block ×4, first 2 shown]
	v_add_f32_e32 v77, v77, v79
	v_mul_f32_e32 v79, v72, v166
	s_waitcnt vmcnt(11)
	v_mov_b32_e32 v20, v85
	v_fmac_f32_e32 v79, v73, v165
	v_mul_f32_e32 v87, v74, v168
	s_waitcnt lgkmcnt(3)
	v_pk_mul_f32 v[20:21], v[2:3], v[20:21] op_sel_hi:[1,0]
	v_fmac_f32_e32 v87, v75, v167
	v_pk_add_f32 v[18:19], v[76:77], v[78:79]
	s_waitcnt vmcnt(10)
	v_pk_fma_f32 v[22:23], v[2:3], v[84:85], v[20:21] op_sel:[0,0,1] op_sel_hi:[1,1,0] neg_lo:[0,0,1] neg_hi:[0,0,1]
	v_pk_fma_f32 v[2:3], v[2:3], v[84:85], v[20:21] op_sel:[0,0,1] op_sel_hi:[1,0,0]
	v_pk_add_f32 v[18:19], v[18:19], v[86:87]
	v_mov_b32_e32 v23, v3
	v_pk_add_f32 v[2:3], v[18:19], v[22:23]
	v_mov_b32_e32 v18, v83
	v_pk_mul_f32 v[18:19], v[4:5], v[18:19] op_sel_hi:[1,0]
	v_pk_fma_f32 v[20:21], v[4:5], v[82:83], v[18:19] op_sel:[0,0,1] op_sel_hi:[1,1,0] neg_lo:[0,0,1] neg_hi:[0,0,1]
	v_pk_fma_f32 v[4:5], v[4:5], v[82:83], v[18:19] op_sel:[0,0,1] op_sel_hi:[1,0,0]
	v_mov_b32_e32 v4, v81
	v_mov_b32_e32 v21, v5
	s_waitcnt lgkmcnt(2)
	v_pk_mul_f32 v[4:5], v[6:7], v[4:5] op_sel_hi:[1,0]
	v_pk_fma_f32 v[18:19], v[6:7], v[80:81], v[4:5] op_sel:[0,0,1] op_sel_hi:[1,1,0] neg_lo:[0,0,1] neg_hi:[0,0,1]
	v_pk_fma_f32 v[4:5], v[6:7], v[80:81], v[4:5] op_sel:[0,0,1] op_sel_hi:[1,0,0]
	s_waitcnt vmcnt(3)
	v_mov_b32_e32 v4, v95
	v_mov_b32_e32 v19, v5
	v_pk_mul_f32 v[4:5], v[8:9], v[4:5] op_sel_hi:[1,0]
	s_waitcnt vmcnt(2)
	v_pk_fma_f32 v[6:7], v[8:9], v[94:95], v[4:5] op_sel:[0,0,1] op_sel_hi:[1,1,0] neg_lo:[0,0,1] neg_hi:[0,0,1]
	v_pk_fma_f32 v[4:5], v[8:9], v[94:95], v[4:5] op_sel:[0,0,1] op_sel_hi:[1,0,0]
	v_pk_add_f32 v[2:3], v[2:3], v[20:21]
	v_mov_b32_e32 v4, v93
	v_pk_add_f32 v[2:3], v[2:3], v[18:19]
	v_mov_b32_e32 v7, v5
	s_waitcnt lgkmcnt(1)
	v_pk_mul_f32 v[4:5], v[10:11], v[4:5] op_sel_hi:[1,0]
	v_pk_add_f32 v[2:3], v[2:3], v[6:7]
	v_pk_fma_f32 v[6:7], v[10:11], v[92:93], v[4:5] op_sel:[0,0,1] op_sel_hi:[1,1,0] neg_lo:[0,0,1] neg_hi:[0,0,1]
	v_pk_fma_f32 v[4:5], v[10:11], v[92:93], v[4:5] op_sel:[0,0,1] op_sel_hi:[1,0,0]
	v_mov_b32_e32 v4, v91
	v_mov_b32_e32 v7, v5
	v_pk_mul_f32 v[4:5], v[12:13], v[4:5] op_sel_hi:[1,0]
	v_pk_add_f32 v[2:3], v[2:3], v[6:7]
	v_pk_fma_f32 v[6:7], v[12:13], v[90:91], v[4:5] op_sel:[0,0,1] op_sel_hi:[1,1,0] neg_lo:[0,0,1] neg_hi:[0,0,1]
	v_pk_fma_f32 v[4:5], v[12:13], v[90:91], v[4:5] op_sel:[0,0,1] op_sel_hi:[1,0,0]
	v_mov_b32_e32 v4, v89
	v_mov_b32_e32 v7, v5
	s_waitcnt lgkmcnt(0)
	v_pk_mul_f32 v[4:5], v[14:15], v[4:5] op_sel_hi:[1,0]
	v_pk_add_f32 v[2:3], v[2:3], v[6:7]
	v_pk_fma_f32 v[6:7], v[14:15], v[88:89], v[4:5] op_sel:[0,0,1] op_sel_hi:[1,1,0] neg_lo:[0,0,1] neg_hi:[0,0,1]
	v_pk_fma_f32 v[4:5], v[14:15], v[88:89], v[4:5] op_sel:[0,0,1] op_sel_hi:[1,0,0]
	s_waitcnt vmcnt(1)
	v_mov_b32_e32 v4, v97
	v_mov_b32_e32 v7, v5
	v_pk_mul_f32 v[4:5], v[16:17], v[4:5] op_sel_hi:[1,0]
	v_pk_add_f32 v[2:3], v[2:3], v[6:7]
	s_waitcnt vmcnt(0)
	v_pk_fma_f32 v[6:7], v[16:17], v[96:97], v[4:5] op_sel:[0,0,1] op_sel_hi:[1,1,0] neg_lo:[0,0,1] neg_hi:[0,0,1]
	v_pk_fma_f32 v[4:5], v[16:17], v[96:97], v[4:5] op_sel:[0,0,1] op_sel_hi:[1,0,0]
	v_mov_b32_e32 v7, v5
	v_pk_add_f32 v[2:3], v[2:3], v[6:7]
	v_pk_add_f32 v[2:3], v[26:27], v[2:3] neg_lo:[0,1] neg_hi:[0,1]
	buffer_store_dword v3, off, s[0:3], 0 offset:116
	buffer_store_dword v2, off, s[0:3], 0 offset:112
	s_and_saveexec_b64 s[4:5], vcc
	s_cbranch_execz .LBB58_341
; %bb.340:
	buffer_load_dword v2, off, s[0:3], 0 offset:104
	buffer_load_dword v3, off, s[0:3], 0 offset:108
	v_mov_b32_e32 v1, 0
	buffer_store_dword v1, off, s[0:3], 0 offset:104
	buffer_store_dword v1, off, s[0:3], 0 offset:108
	s_waitcnt vmcnt(2)
	ds_write_b64 v187, v[2:3]
.LBB58_341:
	s_or_b64 exec, exec, s[4:5]
	v_mov_b32_e32 v220, 0
	s_waitcnt lgkmcnt(0)
	; wave barrier
	s_waitcnt lgkmcnt(0)
	ds_read_b128 v[14:17], v220 offset:592
	ds_read_b128 v[10:13], v220 offset:608
	;; [unrolled: 1-line block ×4, first 2 shown]
	buffer_load_dword v78, off, s[0:3], 0 offset:104
	buffer_load_dword v79, off, s[0:3], 0 offset:108
	;; [unrolled: 1-line block ×18, first 2 shown]
	v_cmp_lt_u32_e32 vcc, 12, v0
	s_waitcnt vmcnt(14) lgkmcnt(3)
	v_mul_f32_e32 v18, v14, v86
	v_fmac_f32_e32 v18, v15, v1
	s_waitcnt vmcnt(12)
	v_mul_f32_e32 v19, v16, v105
	v_add_f32_e32 v18, 0, v18
	v_fmac_f32_e32 v19, v17, v80
	v_add_f32_e32 v18, v18, v19
	s_waitcnt vmcnt(10) lgkmcnt(2)
	v_mul_f32_e32 v19, v10, v107
	v_fmac_f32_e32 v19, v11, v82
	v_add_f32_e32 v18, v18, v19
	s_waitcnt vmcnt(8)
	v_mul_f32_e32 v19, v12, v109
	v_fmac_f32_e32 v19, v13, v104
	v_add_f32_e32 v18, v18, v19
	s_waitcnt vmcnt(6) lgkmcnt(1)
	v_mul_f32_e32 v19, v6, v111
	v_fmac_f32_e32 v19, v7, v106
	v_add_f32_e32 v18, v18, v19
	s_waitcnt vmcnt(4)
	v_mul_f32_e32 v19, v8, v112
	;; [unrolled: 8-line block ×3, first 2 shown]
	v_fmac_f32_e32 v19, v5, v114
	v_add_f32_e32 v22, v18, v19
	ds_read_b128 v[18:21], v220 offset:656
	buffer_load_dword v116, off, s[0:3], 0 offset:176
	buffer_load_dword v117, off, s[0:3], 0 offset:180
	;; [unrolled: 1-line block ×4, first 2 shown]
	v_mul_f32_e32 v15, v15, v86
	v_fma_f32 v1, v14, v1, -v15
	v_mul_f32_e32 v14, v17, v105
	v_add_f32_e32 v1, 0, v1
	v_fma_f32 v14, v16, v80, -v14
	v_mul_f32_e32 v11, v11, v107
	v_add_f32_e32 v1, v1, v14
	v_fma_f32 v10, v10, v82, -v11
	v_add_f32_e32 v1, v1, v10
	v_mul_f32_e32 v10, v13, v109
	v_fma_f32 v10, v12, v104, -v10
	v_mul_f32_e32 v7, v7, v111
	v_add_f32_e32 v1, v1, v10
	v_fma_f32 v6, v6, v106, -v7
	v_add_f32_e32 v1, v1, v6
	v_mul_f32_e32 v6, v9, v112
	;; [unrolled: 6-line block ×3, first 2 shown]
	v_fma_f32 v2, v4, v114, -v2
	v_add_f32_e32 v1, v1, v2
	s_waitcnt vmcnt(2) lgkmcnt(0)
	v_mul_f32_e32 v23, v18, v117
	v_fmac_f32_e32 v23, v19, v116
	v_add_f32_e32 v22, v22, v23
	s_waitcnt vmcnt(0)
	v_mul_f32_e32 v23, v20, v119
	v_fmac_f32_e32 v23, v21, v118
	v_add_f32_e32 v26, v22, v23
	ds_read_b128 v[22:25], v220 offset:672
	buffer_load_dword v120, off, s[0:3], 0 offset:192
	buffer_load_dword v121, off, s[0:3], 0 offset:196
	buffer_load_dword v122, off, s[0:3], 0 offset:200
	buffer_load_dword v123, off, s[0:3], 0 offset:204
	ds_read_b128 v[30:33], v220 offset:688
	buffer_load_dword v124, off, s[0:3], 0 offset:208
	buffer_load_dword v125, off, s[0:3], 0 offset:212
	buffer_load_dword v126, off, s[0:3], 0 offset:216
	buffer_load_dword v127, off, s[0:3], 0 offset:220
	;; [unrolled: 5-line block ×13, first 2 shown]
	v_mul_f32_e32 v2, v19, v117
	v_fma_f32 v2, v18, v116, -v2
	v_add_f32_e32 v1, v1, v2
	v_mul_f32_e32 v2, v21, v119
	v_fma_f32 v2, v20, v118, -v2
	v_add_f32_e32 v1, v1, v2
	s_waitcnt vmcnt(50) lgkmcnt(12)
	v_mul_f32_e32 v27, v22, v121
	v_fmac_f32_e32 v27, v23, v120
	v_add_f32_e32 v26, v26, v27
	s_waitcnt vmcnt(48)
	v_mul_f32_e32 v27, v24, v123
	v_fmac_f32_e32 v27, v25, v122
	v_add_f32_e32 v26, v26, v27
	s_waitcnt vmcnt(46) lgkmcnt(11)
	v_mul_f32_e32 v27, v30, v125
	v_fmac_f32_e32 v27, v31, v124
	v_add_f32_e32 v26, v26, v27
	s_waitcnt vmcnt(44)
	v_mul_f32_e32 v27, v32, v127
	v_fmac_f32_e32 v27, v33, v126
	;; [unrolled: 8-line block ×12, first 2 shown]
	v_add_f32_e32 v26, v26, v27
	s_waitcnt vmcnt(2) lgkmcnt(0)
	v_mul_f32_e32 v27, v74, v169
	v_fmac_f32_e32 v27, v75, v168
	v_add_f32_e32 v81, v26, v27
	ds_read_b128 v[26:29], v220 offset:880
	buffer_load_dword v172, off, s[0:3], 0 offset:400
	buffer_load_dword v173, off, s[0:3], 0 offset:404
	;; [unrolled: 1-line block ×18, first 2 shown]
	v_mul_f32_e32 v2, v23, v121
	v_fma_f32 v2, v22, v120, -v2
	v_add_f32_e32 v1, v1, v2
	v_mul_f32_e32 v2, v25, v123
	v_fma_f32 v2, v24, v122, -v2
	v_add_f32_e32 v1, v1, v2
	;; [unrolled: 3-line block ×24, first 2 shown]
	v_mul_f32_e32 v2, v75, v169
	v_fma_f32 v2, v74, v168, -v2
	s_waitcnt vmcnt(15)
	v_mov_b32_e32 v18, v85
	v_mul_f32_e32 v83, v76, v171
	v_add_f32_e32 v80, v1, v2
	v_mul_f32_e32 v1, v77, v171
	s_waitcnt lgkmcnt(0)
	v_pk_mul_f32 v[18:19], v[28:29], v[18:19] op_sel_hi:[1,0]
	v_fmac_f32_e32 v83, v77, v170
	v_mul_f32_e32 v87, v26, v173
	v_fma_f32 v82, v76, v170, -v1
	v_mul_f32_e32 v1, v27, v173
	ds_read_b128 v[2:5], v220 offset:896
	ds_read_b128 v[6:9], v220 offset:912
	;; [unrolled: 1-line block ×3, first 2 shown]
	ds_read_b64 v[14:15], v220 offset:944
	s_waitcnt vmcnt(14)
	v_pk_fma_f32 v[20:21], v[28:29], v[84:85], v[18:19] op_sel:[0,0,1] op_sel_hi:[1,1,0] neg_lo:[0,0,1] neg_hi:[0,0,1]
	v_pk_fma_f32 v[18:19], v[28:29], v[84:85], v[18:19] op_sel:[0,0,1] op_sel_hi:[1,0,0]
	v_fmac_f32_e32 v87, v27, v172
	v_fma_f32 v86, v26, v172, -v1
	v_pk_add_f32 v[16:17], v[80:81], v[82:83]
	s_waitcnt vmcnt(13)
	v_mov_b32_e32 v18, v101
	v_pk_add_f32 v[16:17], v[16:17], v[86:87]
	v_mov_b32_e32 v21, v19
	s_waitcnt lgkmcnt(3)
	v_pk_mul_f32 v[18:19], v[2:3], v[18:19] op_sel_hi:[1,0]
	v_pk_add_f32 v[16:17], v[16:17], v[20:21]
	s_waitcnt vmcnt(12)
	v_pk_fma_f32 v[20:21], v[2:3], v[100:101], v[18:19] op_sel:[0,0,1] op_sel_hi:[1,1,0] neg_lo:[0,0,1] neg_hi:[0,0,1]
	v_pk_fma_f32 v[2:3], v[2:3], v[100:101], v[18:19] op_sel:[0,0,1] op_sel_hi:[1,0,0]
	v_mov_b32_e32 v21, v3
	v_pk_add_f32 v[2:3], v[16:17], v[20:21]
	s_waitcnt vmcnt(11)
	v_mov_b32_e32 v16, v99
	v_pk_mul_f32 v[16:17], v[4:5], v[16:17] op_sel_hi:[1,0]
	s_waitcnt vmcnt(10)
	v_pk_fma_f32 v[18:19], v[4:5], v[98:99], v[16:17] op_sel:[0,0,1] op_sel_hi:[1,1,0] neg_lo:[0,0,1] neg_hi:[0,0,1]
	v_pk_fma_f32 v[4:5], v[4:5], v[98:99], v[16:17] op_sel:[0,0,1] op_sel_hi:[1,0,0]
	s_waitcnt vmcnt(9)
	v_mov_b32_e32 v4, v97
	v_mov_b32_e32 v19, v5
	s_waitcnt lgkmcnt(2)
	v_pk_mul_f32 v[4:5], v[6:7], v[4:5] op_sel_hi:[1,0]
	s_waitcnt vmcnt(8)
	v_pk_fma_f32 v[16:17], v[6:7], v[96:97], v[4:5] op_sel:[0,0,1] op_sel_hi:[1,1,0] neg_lo:[0,0,1] neg_hi:[0,0,1]
	v_pk_fma_f32 v[4:5], v[6:7], v[96:97], v[4:5] op_sel:[0,0,1] op_sel_hi:[1,0,0]
	s_waitcnt vmcnt(7)
	v_mov_b32_e32 v4, v95
	v_mov_b32_e32 v17, v5
	v_pk_mul_f32 v[4:5], v[8:9], v[4:5] op_sel_hi:[1,0]
	s_waitcnt vmcnt(6)
	v_pk_fma_f32 v[6:7], v[8:9], v[94:95], v[4:5] op_sel:[0,0,1] op_sel_hi:[1,1,0] neg_lo:[0,0,1] neg_hi:[0,0,1]
	v_pk_fma_f32 v[4:5], v[8:9], v[94:95], v[4:5] op_sel:[0,0,1] op_sel_hi:[1,0,0]
	v_pk_add_f32 v[2:3], v[2:3], v[18:19]
	s_waitcnt vmcnt(5)
	v_mov_b32_e32 v4, v93
	v_pk_add_f32 v[2:3], v[2:3], v[16:17]
	v_mov_b32_e32 v7, v5
	s_waitcnt lgkmcnt(1)
	v_pk_mul_f32 v[4:5], v[10:11], v[4:5] op_sel_hi:[1,0]
	v_pk_add_f32 v[2:3], v[2:3], v[6:7]
	s_waitcnt vmcnt(4)
	v_pk_fma_f32 v[6:7], v[10:11], v[92:93], v[4:5] op_sel:[0,0,1] op_sel_hi:[1,1,0] neg_lo:[0,0,1] neg_hi:[0,0,1]
	v_pk_fma_f32 v[4:5], v[10:11], v[92:93], v[4:5] op_sel:[0,0,1] op_sel_hi:[1,0,0]
	s_waitcnt vmcnt(3)
	v_mov_b32_e32 v4, v91
	v_mov_b32_e32 v7, v5
	v_pk_mul_f32 v[4:5], v[12:13], v[4:5] op_sel_hi:[1,0]
	v_pk_add_f32 v[2:3], v[2:3], v[6:7]
	s_waitcnt vmcnt(2)
	v_pk_fma_f32 v[6:7], v[12:13], v[90:91], v[4:5] op_sel:[0,0,1] op_sel_hi:[1,1,0] neg_lo:[0,0,1] neg_hi:[0,0,1]
	v_pk_fma_f32 v[4:5], v[12:13], v[90:91], v[4:5] op_sel:[0,0,1] op_sel_hi:[1,0,0]
	s_waitcnt vmcnt(1)
	v_mov_b32_e32 v4, v89
	v_mov_b32_e32 v7, v5
	s_waitcnt lgkmcnt(0)
	v_pk_mul_f32 v[4:5], v[14:15], v[4:5] op_sel_hi:[1,0]
	v_pk_add_f32 v[2:3], v[2:3], v[6:7]
	s_waitcnt vmcnt(0)
	v_pk_fma_f32 v[6:7], v[14:15], v[88:89], v[4:5] op_sel:[0,0,1] op_sel_hi:[1,1,0] neg_lo:[0,0,1] neg_hi:[0,0,1]
	v_pk_fma_f32 v[4:5], v[14:15], v[88:89], v[4:5] op_sel:[0,0,1] op_sel_hi:[1,0,0]
	v_mov_b32_e32 v7, v5
	v_pk_add_f32 v[2:3], v[2:3], v[6:7]
	v_pk_add_f32 v[2:3], v[78:79], v[2:3] neg_lo:[0,1] neg_hi:[0,1]
	buffer_store_dword v3, off, s[0:3], 0 offset:108
	buffer_store_dword v2, off, s[0:3], 0 offset:104
	s_and_saveexec_b64 s[4:5], vcc
	s_cbranch_execz .LBB58_343
; %bb.342:
	buffer_load_dword v2, off, s[0:3], 0 offset:96
	buffer_load_dword v3, off, s[0:3], 0 offset:100
	s_waitcnt vmcnt(0)
	ds_write_b64 v187, v[2:3]
	buffer_store_dword v220, off, s[0:3], 0 offset:96
	buffer_store_dword v220, off, s[0:3], 0 offset:100
.LBB58_343:
	s_or_b64 exec, exec, s[4:5]
	s_waitcnt lgkmcnt(0)
	; wave barrier
	s_waitcnt lgkmcnt(0)
	buffer_load_dword v90, off, s[0:3], 0 offset:108
	buffer_load_dword v92, off, s[0:3], 0 offset:116
	;; [unrolled: 1-line block ×32, first 2 shown]
	ds_read2_b64 v[22:25], v220 offset0:73 offset1:74
	ds_read2_b64 v[18:21], v220 offset0:75 offset1:76
	;; [unrolled: 1-line block ×6, first 2 shown]
	buffer_load_dword v134, off, s[0:3], 0 offset:224
	buffer_load_dword v135, off, s[0:3], 0 offset:228
	;; [unrolled: 1-line block ×32, first 2 shown]
	v_cmp_lt_u32_e32 vcc, 11, v0
	s_waitcnt vmcnt(62) lgkmcnt(5)
	v_mul_f32_e32 v31, v22, v90
	v_mul_f32_e32 v32, v24, v92
	s_waitcnt vmcnt(61) lgkmcnt(4)
	v_mul_f32_e32 v34, v20, v30
	s_waitcnt vmcnt(60) lgkmcnt(3)
	v_mul_f32_e32 v35, v14, v29
	s_waitcnt vmcnt(59)
	v_mul_f32_e32 v36, v16, v1
	s_waitcnt vmcnt(58)
	v_mul_f32_e32 v33, v18, v110
	s_waitcnt vmcnt(57) lgkmcnt(2)
	v_mul_f32_e32 v37, v10, v28
	s_waitcnt vmcnt(56)
	v_mul_f32_e32 v38, v12, v111
	s_waitcnt vmcnt(55) lgkmcnt(1)
	v_mul_f32_e32 v39, v6, v112
	s_waitcnt vmcnt(54)
	v_mul_f32_e32 v40, v8, v113
	s_waitcnt vmcnt(53)
	v_fmac_f32_e32 v33, v19, v114
	s_waitcnt vmcnt(52)
	v_fmac_f32_e32 v32, v25, v115
	;; [unrolled: 2-line block ×3, first 2 shown]
	v_add_f32_e32 v31, 0, v31
	v_add_f32_e32 v31, v31, v32
	;; [unrolled: 1-line block ×3, first 2 shown]
	s_waitcnt vmcnt(47)
	v_fmac_f32_e32 v34, v21, v120
	v_fmac_f32_e32 v35, v15, v119
	v_add_f32_e32 v31, v31, v34
	v_fmac_f32_e32 v36, v17, v118
	v_add_f32_e32 v31, v31, v35
	v_fmac_f32_e32 v37, v11, v117
	v_add_f32_e32 v31, v31, v36
	s_waitcnt vmcnt(43)
	v_fmac_f32_e32 v38, v13, v124
	v_add_f32_e32 v31, v31, v37
	v_fmac_f32_e32 v39, v7, v123
	v_add_f32_e32 v31, v31, v38
	;; [unrolled: 2-line block ×3, first 2 shown]
	s_waitcnt vmcnt(42) lgkmcnt(0)
	v_mul_f32_e32 v32, v2, v125
	v_add_f32_e32 v31, v31, v40
	v_fmac_f32_e32 v32, v3, v121
	v_add_f32_e32 v31, v31, v32
	ds_read2_b64 v[32:35], v220 offset0:85 offset1:86
	buffer_load_dword v166, off, s[0:3], 0 offset:352
	buffer_load_dword v167, off, s[0:3], 0 offset:356
	s_waitcnt vmcnt(43)
	v_mul_f32_e32 v36, v4, v126
	s_waitcnt vmcnt(36)
	v_fmac_f32_e32 v36, v5, v133
	v_add_f32_e32 v31, v31, v36
	ds_read2_b64 v[36:39], v220 offset0:87 offset1:88
	buffer_load_dword v168, off, s[0:3], 0 offset:360
	buffer_load_dword v169, off, s[0:3], 0 offset:364
	;; [unrolled: 1-line block ×8, first 2 shown]
	s_waitcnt lgkmcnt(1)
	v_mul_f32_e32 v40, v32, v128
	v_fmac_f32_e32 v40, v33, v127
	v_add_f32_e32 v31, v31, v40
	v_mul_f32_e32 v40, v34, v130
	v_fmac_f32_e32 v40, v35, v129
	v_add_f32_e32 v31, v31, v40
	s_waitcnt lgkmcnt(0)
	v_mul_f32_e32 v40, v36, v132
	v_fmac_f32_e32 v40, v37, v131
	v_add_f32_e32 v31, v31, v40
	buffer_load_dword v221, off, s[0:3], 0 offset:392
	buffer_load_dword v222, off, s[0:3], 0 offset:396
	;; [unrolled: 1-line block ×4, first 2 shown]
	ds_read2_b64 v[40:43], v220 offset0:89 offset1:90
	s_waitcnt vmcnt(44)
	v_mul_f32_e32 v44, v38, v135
	v_fmac_f32_e32 v44, v39, v134
	v_add_f32_e32 v31, v31, v44
	ds_read2_b64 v[44:47], v220 offset0:91 offset1:92
	s_waitcnt vmcnt(42) lgkmcnt(1)
	v_mul_f32_e32 v48, v40, v137
	v_fmac_f32_e32 v48, v41, v136
	v_add_f32_e32 v31, v31, v48
	s_waitcnt vmcnt(40)
	v_mul_f32_e32 v48, v42, v139
	v_fmac_f32_e32 v48, v43, v138
	v_add_f32_e32 v31, v31, v48
	s_waitcnt vmcnt(38) lgkmcnt(0)
	v_mul_f32_e32 v48, v44, v141
	v_fmac_f32_e32 v48, v45, v140
	v_add_f32_e32 v31, v31, v48
	ds_read2_b64 v[48:51], v220 offset0:93 offset1:94
	s_waitcnt vmcnt(36)
	v_mul_f32_e32 v52, v46, v143
	v_fmac_f32_e32 v52, v47, v142
	v_add_f32_e32 v31, v31, v52
	ds_read2_b64 v[52:55], v220 offset0:95 offset1:96
	s_waitcnt vmcnt(34) lgkmcnt(1)
	v_mul_f32_e32 v56, v48, v145
	v_fmac_f32_e32 v56, v49, v144
	v_add_f32_e32 v31, v31, v56
	s_waitcnt vmcnt(32)
	v_mul_f32_e32 v56, v50, v147
	v_fmac_f32_e32 v56, v51, v146
	v_add_f32_e32 v31, v31, v56
	s_waitcnt vmcnt(30) lgkmcnt(0)
	v_mul_f32_e32 v56, v52, v149
	v_fmac_f32_e32 v56, v53, v148
	v_add_f32_e32 v31, v31, v56
	;; [unrolled: 18-line block ×4, first 2 shown]
	ds_read2_b64 v[72:75], v220 offset0:105 offset1:106
	v_mul_f32_e32 v23, v23, v90
	v_fma_f32 v22, v22, v116, -v23
	v_mul_f32_e32 v23, v25, v92
	v_add_f32_e32 v22, 0, v22
	s_waitcnt vmcnt(12)
	v_mul_f32_e32 v76, v70, v167
	v_fmac_f32_e32 v76, v71, v166
	v_add_f32_e32 v31, v31, v76
	ds_read2_b64 v[76:79], v220 offset0:107 offset1:108
	buffer_load_dword v89, off, s[0:3], 0 offset:412
	buffer_load_dword v88, off, s[0:3], 0 offset:408
	s_waitcnt vmcnt(12) lgkmcnt(1)
	v_mul_f32_e32 v80, v72, v169
	v_fmac_f32_e32 v80, v73, v168
	v_add_f32_e32 v31, v31, v80
	s_waitcnt vmcnt(10)
	v_mul_f32_e32 v80, v74, v171
	v_fmac_f32_e32 v80, v75, v170
	v_add_f32_e32 v31, v31, v80
	s_waitcnt vmcnt(8) lgkmcnt(0)
	v_mul_f32_e32 v80, v76, v173
	v_fmac_f32_e32 v80, v77, v172
	s_waitcnt vmcnt(6)
	v_mul_f32_e32 v84, v78, v175
	v_add_f32_e32 v31, v31, v80
	v_fmac_f32_e32 v84, v79, v174
	ds_read2_b64 v[80:83], v220 offset0:109 offset1:110
	v_add_f32_e32 v31, v31, v84
	ds_read2_b64 v[84:87], v220 offset0:111 offset1:112
	buffer_load_dword v95, off, s[0:3], 0 offset:444
	buffer_load_dword v94, off, s[0:3], 0 offset:440
	;; [unrolled: 1-line block ×14, first 2 shown]
	v_fma_f32 v23, v24, v115, -v23
	v_mul_f32_e32 v19, v19, v110
	v_add_f32_e32 v22, v22, v23
	v_fma_f32 v18, v18, v114, -v19
	v_mul_f32_e32 v19, v21, v30
	v_add_f32_e32 v18, v22, v18
	;; [unrolled: 3-line block ×5, first 2 shown]
	v_fma_f32 v10, v10, v117, -v11
	v_add_f32_e32 v1, v1, v10
	v_mul_f32_e32 v10, v13, v111
	v_fma_f32 v10, v12, v124, -v10
	v_mul_f32_e32 v7, v7, v112
	v_add_f32_e32 v1, v1, v10
	v_fma_f32 v6, v6, v123, -v7
	v_add_f32_e32 v1, v1, v6
	v_mul_f32_e32 v6, v9, v113
	v_fma_f32 v6, v8, v122, -v6
	v_mul_f32_e32 v3, v3, v125
	v_add_f32_e32 v1, v1, v6
	v_fma_f32 v2, v2, v121, -v3
	v_add_f32_e32 v1, v1, v2
	v_mul_f32_e32 v2, v5, v126
	v_fma_f32 v2, v4, v133, -v2
	v_add_f32_e32 v1, v1, v2
	v_mul_f32_e32 v2, v33, v128
	;; [unrolled: 3-line block ×25, first 2 shown]
	v_fma_f32 v2, v78, v174, -v2
	s_waitcnt vmcnt(15)
	v_mov_b32_e32 v16, v89
	s_waitcnt lgkmcnt(1)
	v_mul_f32_e32 v91, v80, v222
	v_add_f32_e32 v30, v1, v2
	v_mul_f32_e32 v1, v81, v222
	s_waitcnt lgkmcnt(0)
	v_pk_mul_f32 v[16:17], v[84:85], v[16:17] op_sel_hi:[1,0]
	v_fmac_f32_e32 v91, v81, v221
	v_mul_f32_e32 v93, v82, v224
	v_fma_f32 v90, v80, v221, -v1
	v_mul_f32_e32 v1, v83, v224
	s_waitcnt vmcnt(14)
	v_pk_fma_f32 v[18:19], v[84:85], v[88:89], v[16:17] op_sel:[0,0,1] op_sel_hi:[1,1,0] neg_lo:[0,0,1] neg_hi:[0,0,1]
	v_pk_fma_f32 v[16:17], v[84:85], v[88:89], v[16:17] op_sel:[0,0,1] op_sel_hi:[1,0,0]
	v_fmac_f32_e32 v93, v83, v223
	v_fma_f32 v92, v82, v223, -v1
	v_pk_add_f32 v[14:15], v[30:31], v[90:91]
	s_waitcnt vmcnt(7)
	v_mov_b32_e32 v16, v101
	ds_read2_b64 v[2:5], v220 offset0:113 offset1:114
	ds_read2_b64 v[6:9], v220 offset0:115 offset1:116
	ds_read2_b64 v[10:13], v220 offset0:117 offset1:118
	v_pk_add_f32 v[14:15], v[14:15], v[92:93]
	v_mov_b32_e32 v19, v17
	v_pk_mul_f32 v[16:17], v[86:87], v[16:17] op_sel_hi:[1,0]
	v_pk_add_f32 v[14:15], v[14:15], v[18:19]
	s_waitcnt vmcnt(6)
	v_pk_fma_f32 v[18:19], v[86:87], v[100:101], v[16:17] op_sel:[0,0,1] op_sel_hi:[1,1,0] neg_lo:[0,0,1] neg_hi:[0,0,1]
	v_pk_fma_f32 v[16:17], v[86:87], v[100:101], v[16:17] op_sel:[0,0,1] op_sel_hi:[1,0,0]
	v_mov_b32_e32 v16, v99
	v_mov_b32_e32 v19, v17
	s_waitcnt lgkmcnt(2)
	v_pk_mul_f32 v[16:17], v[2:3], v[16:17] op_sel_hi:[1,0]
	v_pk_add_f32 v[14:15], v[14:15], v[18:19]
	v_pk_fma_f32 v[18:19], v[2:3], v[98:99], v[16:17] op_sel:[0,0,1] op_sel_hi:[1,1,0] neg_lo:[0,0,1] neg_hi:[0,0,1]
	v_pk_fma_f32 v[2:3], v[2:3], v[98:99], v[16:17] op_sel:[0,0,1] op_sel_hi:[1,0,0]
	v_mov_b32_e32 v19, v3
	v_pk_add_f32 v[2:3], v[14:15], v[18:19]
	v_mov_b32_e32 v14, v97
	v_pk_mul_f32 v[14:15], v[4:5], v[14:15] op_sel_hi:[1,0]
	v_pk_fma_f32 v[16:17], v[4:5], v[96:97], v[14:15] op_sel:[0,0,1] op_sel_hi:[1,1,0] neg_lo:[0,0,1] neg_hi:[0,0,1]
	v_pk_fma_f32 v[4:5], v[4:5], v[96:97], v[14:15] op_sel:[0,0,1] op_sel_hi:[1,0,0]
	v_mov_b32_e32 v4, v95
	v_mov_b32_e32 v17, v5
	s_waitcnt lgkmcnt(1)
	v_pk_mul_f32 v[4:5], v[6:7], v[4:5] op_sel_hi:[1,0]
	v_pk_fma_f32 v[14:15], v[6:7], v[94:95], v[4:5] op_sel:[0,0,1] op_sel_hi:[1,1,0] neg_lo:[0,0,1] neg_hi:[0,0,1]
	v_pk_fma_f32 v[4:5], v[6:7], v[94:95], v[4:5] op_sel:[0,0,1] op_sel_hi:[1,0,0]
	s_waitcnt vmcnt(1)
	v_mov_b32_e32 v4, v109
	v_mov_b32_e32 v15, v5
	v_pk_mul_f32 v[4:5], v[8:9], v[4:5] op_sel_hi:[1,0]
	s_waitcnt vmcnt(0)
	v_pk_fma_f32 v[6:7], v[8:9], v[108:109], v[4:5] op_sel:[0,0,1] op_sel_hi:[1,1,0] neg_lo:[0,0,1] neg_hi:[0,0,1]
	v_pk_fma_f32 v[4:5], v[8:9], v[108:109], v[4:5] op_sel:[0,0,1] op_sel_hi:[1,0,0]
	v_pk_add_f32 v[2:3], v[2:3], v[16:17]
	v_mov_b32_e32 v4, v107
	v_pk_add_f32 v[2:3], v[2:3], v[14:15]
	v_mov_b32_e32 v7, v5
	s_waitcnt lgkmcnt(0)
	v_pk_mul_f32 v[4:5], v[10:11], v[4:5] op_sel_hi:[1,0]
	v_pk_add_f32 v[2:3], v[2:3], v[6:7]
	v_pk_fma_f32 v[6:7], v[10:11], v[106:107], v[4:5] op_sel:[0,0,1] op_sel_hi:[1,1,0] neg_lo:[0,0,1] neg_hi:[0,0,1]
	v_pk_fma_f32 v[4:5], v[10:11], v[106:107], v[4:5] op_sel:[0,0,1] op_sel_hi:[1,0,0]
	v_mov_b32_e32 v4, v105
	v_mov_b32_e32 v7, v5
	v_pk_mul_f32 v[4:5], v[12:13], v[4:5] op_sel_hi:[1,0]
	v_pk_add_f32 v[2:3], v[2:3], v[6:7]
	v_pk_fma_f32 v[6:7], v[12:13], v[104:105], v[4:5] op_sel:[0,0,1] op_sel_hi:[1,1,0] neg_lo:[0,0,1] neg_hi:[0,0,1]
	v_pk_fma_f32 v[4:5], v[12:13], v[104:105], v[4:5] op_sel:[0,0,1] op_sel_hi:[1,0,0]
	v_mov_b32_e32 v7, v5
	v_pk_add_f32 v[2:3], v[2:3], v[6:7]
	v_pk_add_f32 v[2:3], v[26:27], v[2:3] neg_lo:[0,1] neg_hi:[0,1]
	buffer_store_dword v3, off, s[0:3], 0 offset:100
	buffer_store_dword v2, off, s[0:3], 0 offset:96
	s_and_saveexec_b64 s[4:5], vcc
	s_cbranch_execz .LBB58_345
; %bb.344:
	buffer_load_dword v2, off, s[0:3], 0 offset:88
	buffer_load_dword v3, off, s[0:3], 0 offset:92
	v_mov_b32_e32 v1, 0
	buffer_store_dword v1, off, s[0:3], 0 offset:88
	buffer_store_dword v1, off, s[0:3], 0 offset:92
	s_waitcnt vmcnt(2)
	ds_write_b64 v187, v[2:3]
.LBB58_345:
	s_or_b64 exec, exec, s[4:5]
	s_waitcnt lgkmcnt(0)
	; wave barrier
	s_waitcnt lgkmcnt(0)
	buffer_load_dword v33, off, s[0:3], 0 offset:100
	buffer_load_dword v32, off, s[0:3], 0 offset:108
	;; [unrolled: 1-line block ×48, first 2 shown]
	v_mov_b32_e32 v1, 0
	ds_read_b128 v[22:25], v1 offset:576
	ds_read_b128 v[18:21], v1 offset:592
	;; [unrolled: 1-line block ×6, first 2 shown]
	buffer_load_dword v151, off, s[0:3], 0 offset:280
	buffer_load_dword v152, off, s[0:3], 0 offset:284
	;; [unrolled: 1-line block ×12, first 2 shown]
	v_cmp_lt_u32_e32 vcc, 10, v0
	s_waitcnt vmcnt(59) lgkmcnt(5)
	v_mul_f32_e32 v35, v22, v33
	s_waitcnt vmcnt(58)
	v_mul_f32_e32 v36, v24, v32
	s_waitcnt vmcnt(57) lgkmcnt(4)
	v_mul_f32_e32 v38, v20, v31
	s_waitcnt vmcnt(56) lgkmcnt(3)
	v_mul_f32_e32 v39, v14, v30
	s_waitcnt vmcnt(55)
	v_mul_f32_e32 v40, v16, v28
	s_waitcnt vmcnt(54)
	v_mul_f32_e32 v37, v18, v34
	s_waitcnt vmcnt(53) lgkmcnt(2)
	v_mul_f32_e32 v41, v10, v29
	s_waitcnt vmcnt(52)
	v_mul_f32_e32 v42, v12, v92
	s_waitcnt vmcnt(51) lgkmcnt(1)
	v_mul_f32_e32 v43, v6, v94
	s_waitcnt vmcnt(50)
	v_mul_f32_e32 v44, v8, v114
	s_waitcnt vmcnt(49)
	v_fmac_f32_e32 v37, v19, v115
	s_waitcnt vmcnt(48)
	v_fmac_f32_e32 v36, v25, v116
	;; [unrolled: 2-line block ×3, first 2 shown]
	v_add_f32_e32 v35, 0, v35
	v_add_f32_e32 v35, v35, v36
	;; [unrolled: 1-line block ×3, first 2 shown]
	s_waitcnt vmcnt(43)
	v_fmac_f32_e32 v38, v21, v121
	v_fmac_f32_e32 v39, v15, v120
	v_add_f32_e32 v35, v35, v38
	v_fmac_f32_e32 v40, v17, v119
	v_add_f32_e32 v35, v35, v39
	;; [unrolled: 2-line block ×3, first 2 shown]
	s_waitcnt vmcnt(39)
	v_fmac_f32_e32 v42, v13, v125
	v_add_f32_e32 v35, v35, v41
	v_fmac_f32_e32 v43, v7, v124
	v_add_f32_e32 v35, v35, v42
	;; [unrolled: 2-line block ×3, first 2 shown]
	s_waitcnt vmcnt(38) lgkmcnt(0)
	v_mul_f32_e32 v36, v2, v126
	v_add_f32_e32 v35, v35, v44
	v_fmac_f32_e32 v36, v3, v122
	v_add_f32_e32 v35, v35, v36
	ds_read_b128 v[36:39], v1 offset:672
	buffer_load_dword v163, off, s[0:3], 0 offset:328
	buffer_load_dword v164, off, s[0:3], 0 offset:332
	;; [unrolled: 1-line block ×4, first 2 shown]
	s_waitcnt vmcnt(35)
	v_mul_f32_e32 v40, v4, v133
	s_waitcnt vmcnt(34)
	v_fmac_f32_e32 v40, v5, v134
	v_add_f32_e32 v35, v35, v40
	ds_read_b128 v[40:43], v1 offset:688
	buffer_load_dword v167, off, s[0:3], 0 offset:344
	buffer_load_dword v168, off, s[0:3], 0 offset:348
	;; [unrolled: 1-line block ×10, first 2 shown]
	s_waitcnt lgkmcnt(1)
	v_mul_f32_e32 v44, v36, v128
	v_fmac_f32_e32 v44, v37, v127
	v_add_f32_e32 v35, v35, v44
	v_mul_f32_e32 v44, v38, v130
	v_fmac_f32_e32 v44, v39, v129
	v_add_f32_e32 v35, v35, v44
	s_waitcnt lgkmcnt(0)
	v_mul_f32_e32 v44, v40, v132
	v_fmac_f32_e32 v44, v41, v131
	v_add_f32_e32 v35, v35, v44
	buffer_load_dword v221, off, s[0:3], 0 offset:384
	buffer_load_dword v222, off, s[0:3], 0 offset:388
	;; [unrolled: 1-line block ×6, first 2 shown]
	ds_read_b128 v[44:47], v1 offset:704
	s_waitcnt vmcnt(46)
	v_mul_f32_e32 v48, v42, v136
	v_fmac_f32_e32 v48, v43, v135
	v_add_f32_e32 v35, v35, v48
	ds_read_b128 v[48:51], v1 offset:720
	s_waitcnt vmcnt(44) lgkmcnt(1)
	v_mul_f32_e32 v52, v44, v138
	v_fmac_f32_e32 v52, v45, v137
	v_add_f32_e32 v35, v35, v52
	s_waitcnt vmcnt(42)
	v_mul_f32_e32 v52, v46, v140
	v_fmac_f32_e32 v52, v47, v139
	v_add_f32_e32 v35, v35, v52
	s_waitcnt vmcnt(40) lgkmcnt(0)
	v_mul_f32_e32 v52, v48, v142
	v_fmac_f32_e32 v52, v49, v141
	v_add_f32_e32 v35, v35, v52
	ds_read_b128 v[52:55], v1 offset:736
	s_waitcnt vmcnt(38)
	v_mul_f32_e32 v56, v50, v144
	v_fmac_f32_e32 v56, v51, v143
	v_add_f32_e32 v35, v35, v56
	ds_read_b128 v[56:59], v1 offset:752
	s_waitcnt vmcnt(36) lgkmcnt(1)
	v_mul_f32_e32 v60, v52, v146
	v_fmac_f32_e32 v60, v53, v145
	v_add_f32_e32 v35, v35, v60
	s_waitcnt vmcnt(34)
	v_mul_f32_e32 v60, v54, v148
	v_fmac_f32_e32 v60, v55, v147
	v_add_f32_e32 v35, v35, v60
	s_waitcnt vmcnt(32) lgkmcnt(0)
	v_mul_f32_e32 v60, v56, v150
	v_fmac_f32_e32 v60, v57, v149
	v_add_f32_e32 v35, v35, v60
	;; [unrolled: 18-line block ×3, first 2 shown]
	ds_read_b128 v[68:71], v1 offset:800
	s_waitcnt vmcnt(22)
	v_mul_f32_e32 v72, v66, v160
	v_fmac_f32_e32 v72, v67, v159
	v_add_f32_e32 v35, v35, v72
	ds_read_b128 v[72:75], v1 offset:816
	s_waitcnt vmcnt(20) lgkmcnt(1)
	v_mul_f32_e32 v76, v68, v162
	v_fmac_f32_e32 v76, v69, v161
	v_add_f32_e32 v35, v35, v76
	v_mul_f32_e32 v23, v23, v33
	v_fma_f32 v22, v22, v117, -v23
	v_mul_f32_e32 v23, v25, v32
	v_add_f32_e32 v22, 0, v22
	v_fma_f32 v23, v24, v116, -v23
	v_mul_f32_e32 v19, v19, v34
	v_add_f32_e32 v22, v22, v23
	v_fma_f32 v18, v18, v115, -v19
	v_mul_f32_e32 v19, v21, v31
	s_waitcnt vmcnt(18)
	v_mul_f32_e32 v76, v70, v164
	v_fmac_f32_e32 v76, v71, v163
	v_add_f32_e32 v35, v35, v76
	s_waitcnt vmcnt(16) lgkmcnt(0)
	v_mul_f32_e32 v76, v72, v166
	v_fmac_f32_e32 v76, v73, v165
	v_add_f32_e32 v35, v35, v76
	ds_read_b128 v[76:79], v1 offset:832
	s_waitcnt vmcnt(14)
	v_mul_f32_e32 v80, v74, v168
	v_fmac_f32_e32 v80, v75, v167
	v_add_f32_e32 v35, v35, v80
	ds_read_b128 v[80:83], v1 offset:848
	s_waitcnt vmcnt(12) lgkmcnt(1)
	v_mul_f32_e32 v84, v76, v170
	v_fmac_f32_e32 v84, v77, v169
	v_add_f32_e32 v35, v35, v84
	s_waitcnt vmcnt(10)
	v_mul_f32_e32 v84, v78, v172
	v_fmac_f32_e32 v84, v79, v171
	v_add_f32_e32 v35, v35, v84
	s_waitcnt vmcnt(8) lgkmcnt(0)
	v_mul_f32_e32 v84, v80, v174
	v_fmac_f32_e32 v84, v81, v173
	s_waitcnt vmcnt(6)
	v_mul_f32_e32 v88, v82, v220
	v_add_f32_e32 v35, v35, v84
	v_fmac_f32_e32 v88, v83, v175
	ds_read_b128 v[84:87], v1 offset:864
	v_add_f32_e32 v35, v35, v88
	ds_read_b128 v[88:91], v1 offset:880
	buffer_load_dword v97, off, s[0:3], 0 offset:436
	buffer_load_dword v96, off, s[0:3], 0 offset:432
	;; [unrolled: 1-line block ×16, first 2 shown]
	v_add_f32_e32 v18, v22, v18
	v_fma_f32 v19, v20, v121, -v19
	v_mul_f32_e32 v15, v15, v30
	v_add_f32_e32 v18, v18, v19
	v_fma_f32 v14, v14, v120, -v15
	v_mul_f32_e32 v15, v17, v28
	;; [unrolled: 3-line block ×8, first 2 shown]
	v_add_f32_e32 v2, v6, v2
	v_fma_f32 v3, v4, v134, -v3
	v_add_f32_e32 v2, v2, v3
	v_mul_f32_e32 v3, v37, v128
	v_fma_f32 v3, v36, v127, -v3
	v_add_f32_e32 v2, v2, v3
	v_mul_f32_e32 v3, v39, v130
	;; [unrolled: 3-line block ×24, first 2 shown]
	v_fma_f32 v3, v82, v175, -v3
	v_add_f32_e32 v2, v2, v3
	s_waitcnt vmcnt(20) lgkmcnt(1)
	v_mul_f32_e32 v3, v85, v222
	v_mul_f32_e32 v93, v84, v222
	v_fma_f32 v3, v84, v221, -v3
	v_fmac_f32_e32 v93, v85, v221
	v_add_f32_e32 v34, v2, v3
	s_waitcnt vmcnt(18)
	v_mul_f32_e32 v2, v87, v224
	s_waitcnt vmcnt(9)
	v_mov_b32_e32 v18, v105
	v_add_f32_e32 v35, v35, v93
	v_mul_f32_e32 v93, v86, v224
	v_fma_f32 v92, v86, v223, -v2
	s_waitcnt lgkmcnt(0)
	v_mul_f32_e32 v2, v89, v226
	v_pk_mul_f32 v[18:19], v[90:91], v[18:19] op_sel_hi:[1,0]
	v_fmac_f32_e32 v93, v87, v223
	v_mul_f32_e32 v95, v88, v226
	v_fma_f32 v94, v88, v225, -v2
	ds_read_b128 v[2:5], v1 offset:896
	ds_read_b128 v[6:9], v1 offset:912
	;; [unrolled: 1-line block ×3, first 2 shown]
	ds_read_b64 v[14:15], v1 offset:944
	s_waitcnt vmcnt(8)
	v_pk_fma_f32 v[20:21], v[90:91], v[104:105], v[18:19] op_sel:[0,0,1] op_sel_hi:[1,1,0] neg_lo:[0,0,1] neg_hi:[0,0,1]
	v_pk_fma_f32 v[18:19], v[90:91], v[104:105], v[18:19] op_sel:[0,0,1] op_sel_hi:[1,0,0]
	v_fmac_f32_e32 v95, v89, v225
	v_pk_add_f32 v[16:17], v[34:35], v[92:93]
	v_mov_b32_e32 v18, v101
	v_pk_add_f32 v[16:17], v[16:17], v[94:95]
	v_mov_b32_e32 v21, v19
	s_waitcnt lgkmcnt(3)
	v_pk_mul_f32 v[18:19], v[2:3], v[18:19] op_sel_hi:[1,0]
	v_pk_add_f32 v[16:17], v[16:17], v[20:21]
	v_pk_fma_f32 v[20:21], v[2:3], v[100:101], v[18:19] op_sel:[0,0,1] op_sel_hi:[1,1,0] neg_lo:[0,0,1] neg_hi:[0,0,1]
	v_pk_fma_f32 v[2:3], v[2:3], v[100:101], v[18:19] op_sel:[0,0,1] op_sel_hi:[1,0,0]
	v_mov_b32_e32 v21, v3
	v_pk_add_f32 v[2:3], v[16:17], v[20:21]
	v_mov_b32_e32 v16, v99
	v_pk_mul_f32 v[16:17], v[4:5], v[16:17] op_sel_hi:[1,0]
	v_pk_fma_f32 v[18:19], v[4:5], v[98:99], v[16:17] op_sel:[0,0,1] op_sel_hi:[1,1,0] neg_lo:[0,0,1] neg_hi:[0,0,1]
	v_pk_fma_f32 v[4:5], v[4:5], v[98:99], v[16:17] op_sel:[0,0,1] op_sel_hi:[1,0,0]
	v_mov_b32_e32 v4, v97
	v_mov_b32_e32 v19, v5
	s_waitcnt lgkmcnt(2)
	v_pk_mul_f32 v[4:5], v[6:7], v[4:5] op_sel_hi:[1,0]
	v_pk_fma_f32 v[16:17], v[6:7], v[96:97], v[4:5] op_sel:[0,0,1] op_sel_hi:[1,1,0] neg_lo:[0,0,1] neg_hi:[0,0,1]
	v_pk_fma_f32 v[4:5], v[6:7], v[96:97], v[4:5] op_sel:[0,0,1] op_sel_hi:[1,0,0]
	s_waitcnt vmcnt(1)
	v_mov_b32_e32 v4, v113
	v_mov_b32_e32 v17, v5
	v_pk_mul_f32 v[4:5], v[8:9], v[4:5] op_sel_hi:[1,0]
	s_waitcnt vmcnt(0)
	v_pk_fma_f32 v[6:7], v[8:9], v[112:113], v[4:5] op_sel:[0,0,1] op_sel_hi:[1,1,0] neg_lo:[0,0,1] neg_hi:[0,0,1]
	v_pk_fma_f32 v[4:5], v[8:9], v[112:113], v[4:5] op_sel:[0,0,1] op_sel_hi:[1,0,0]
	v_pk_add_f32 v[2:3], v[2:3], v[18:19]
	v_mov_b32_e32 v4, v111
	v_pk_add_f32 v[2:3], v[2:3], v[16:17]
	v_mov_b32_e32 v7, v5
	s_waitcnt lgkmcnt(1)
	v_pk_mul_f32 v[4:5], v[10:11], v[4:5] op_sel_hi:[1,0]
	v_pk_add_f32 v[2:3], v[2:3], v[6:7]
	v_pk_fma_f32 v[6:7], v[10:11], v[110:111], v[4:5] op_sel:[0,0,1] op_sel_hi:[1,1,0] neg_lo:[0,0,1] neg_hi:[0,0,1]
	v_pk_fma_f32 v[4:5], v[10:11], v[110:111], v[4:5] op_sel:[0,0,1] op_sel_hi:[1,0,0]
	v_mov_b32_e32 v4, v109
	v_mov_b32_e32 v7, v5
	v_pk_mul_f32 v[4:5], v[12:13], v[4:5] op_sel_hi:[1,0]
	v_pk_add_f32 v[2:3], v[2:3], v[6:7]
	v_pk_fma_f32 v[6:7], v[12:13], v[108:109], v[4:5] op_sel:[0,0,1] op_sel_hi:[1,1,0] neg_lo:[0,0,1] neg_hi:[0,0,1]
	v_pk_fma_f32 v[4:5], v[12:13], v[108:109], v[4:5] op_sel:[0,0,1] op_sel_hi:[1,0,0]
	v_mov_b32_e32 v4, v107
	v_mov_b32_e32 v7, v5
	s_waitcnt lgkmcnt(0)
	v_pk_mul_f32 v[4:5], v[14:15], v[4:5] op_sel_hi:[1,0]
	v_pk_add_f32 v[2:3], v[2:3], v[6:7]
	v_pk_fma_f32 v[6:7], v[14:15], v[106:107], v[4:5] op_sel:[0,0,1] op_sel_hi:[1,1,0] neg_lo:[0,0,1] neg_hi:[0,0,1]
	v_pk_fma_f32 v[4:5], v[14:15], v[106:107], v[4:5] op_sel:[0,0,1] op_sel_hi:[1,0,0]
	v_mov_b32_e32 v7, v5
	v_pk_add_f32 v[2:3], v[2:3], v[6:7]
	v_pk_add_f32 v[2:3], v[26:27], v[2:3] neg_lo:[0,1] neg_hi:[0,1]
	buffer_store_dword v3, off, s[0:3], 0 offset:92
	buffer_store_dword v2, off, s[0:3], 0 offset:88
	s_and_saveexec_b64 s[4:5], vcc
	s_cbranch_execz .LBB58_347
; %bb.346:
	buffer_load_dword v2, off, s[0:3], 0 offset:80
	buffer_load_dword v3, off, s[0:3], 0 offset:84
	s_waitcnt vmcnt(0)
	ds_write_b64 v187, v[2:3]
	buffer_store_dword v1, off, s[0:3], 0 offset:80
	buffer_store_dword v1, off, s[0:3], 0 offset:84
.LBB58_347:
	s_or_b64 exec, exec, s[4:5]
	s_waitcnt lgkmcnt(0)
	; wave barrier
	s_waitcnt lgkmcnt(0)
	buffer_load_dword v41, off, s[0:3], 0 offset:92
	buffer_load_dword v40, off, s[0:3], 0 offset:100
	;; [unrolled: 1-line block ×32, first 2 shown]
	ds_read2_b64 v[22:25], v1 offset0:71 offset1:72
	ds_read2_b64 v[18:21], v1 offset0:73 offset1:74
	;; [unrolled: 1-line block ×6, first 2 shown]
	buffer_load_dword v135, off, s[0:3], 0 offset:208
	buffer_load_dword v136, off, s[0:3], 0 offset:212
	;; [unrolled: 1-line block ×26, first 2 shown]
	v_cmp_lt_u32_e32 vcc, 9, v0
	s_waitcnt vmcnt(57) lgkmcnt(5)
	v_mul_f32_e32 v26, v22, v41
	s_waitcnt vmcnt(56)
	v_mul_f32_e32 v27, v24, v40
	s_waitcnt vmcnt(55) lgkmcnt(4)
	v_mul_f32_e32 v29, v20, v39
	s_waitcnt vmcnt(54) lgkmcnt(3)
	v_mul_f32_e32 v30, v14, v38
	s_waitcnt vmcnt(53)
	v_mul_f32_e32 v31, v16, v36
	s_waitcnt vmcnt(52)
	v_mul_f32_e32 v28, v18, v42
	s_waitcnt vmcnt(51) lgkmcnt(2)
	v_mul_f32_e32 v32, v10, v37
	s_waitcnt vmcnt(50)
	v_mul_f32_e32 v33, v12, v43
	s_waitcnt vmcnt(49) lgkmcnt(1)
	;; [unrolled: 4-line block ×3, first 2 shown]
	v_mul_f32_e32 v46, v2, v104
	s_waitcnt vmcnt(46)
	v_fmac_f32_e32 v28, v19, v116
	s_waitcnt vmcnt(45)
	v_fmac_f32_e32 v27, v25, v117
	s_waitcnt vmcnt(44)
	v_fmac_f32_e32 v26, v23, v118
	v_add_f32_e32 v26, 0, v26
	v_add_f32_e32 v26, v26, v27
	;; [unrolled: 1-line block ×3, first 2 shown]
	s_waitcnt vmcnt(40)
	v_fmac_f32_e32 v29, v21, v122
	v_fmac_f32_e32 v30, v15, v121
	v_add_f32_e32 v26, v26, v29
	v_fmac_f32_e32 v31, v17, v120
	v_add_f32_e32 v26, v26, v30
	;; [unrolled: 2-line block ×3, first 2 shown]
	s_waitcnt vmcnt(36)
	v_fmac_f32_e32 v33, v13, v126
	v_add_f32_e32 v26, v26, v32
	v_fmac_f32_e32 v44, v7, v125
	v_add_f32_e32 v26, v26, v33
	;; [unrolled: 2-line block ×4, first 2 shown]
	s_waitcnt vmcnt(30)
	v_mul_f32_e32 v27, v4, v132
	v_add_f32_e32 v26, v26, v46
	s_waitcnt vmcnt(29)
	v_fmac_f32_e32 v27, v5, v133
	v_add_f32_e32 v44, v26, v27
	ds_read2_b64 v[26:29], v1 offset0:83 offset1:84
	buffer_load_dword v161, off, s[0:3], 0 offset:312
	buffer_load_dword v162, off, s[0:3], 0 offset:316
	ds_read2_b64 v[30:33], v1 offset0:85 offset1:86
	buffer_load_dword v163, off, s[0:3], 0 offset:320
	buffer_load_dword v164, off, s[0:3], 0 offset:324
	;; [unrolled: 1-line block ×14, first 2 shown]
	s_waitcnt vmcnt(44) lgkmcnt(1)
	v_mul_f32_e32 v45, v26, v134
	v_fmac_f32_e32 v45, v27, v131
	v_add_f32_e32 v44, v44, v45
	v_mul_f32_e32 v45, v28, v128
	v_fmac_f32_e32 v45, v29, v127
	v_add_f32_e32 v44, v44, v45
	s_waitcnt lgkmcnt(0)
	v_mul_f32_e32 v45, v30, v130
	v_fmac_f32_e32 v45, v31, v129
	v_add_f32_e32 v48, v44, v45
	buffer_load_dword v221, off, s[0:3], 0 offset:376
	buffer_load_dword v222, off, s[0:3], 0 offset:380
	ds_read2_b64 v[44:47], v1 offset0:87 offset1:88
	s_waitcnt vmcnt(42)
	v_mul_f32_e32 v49, v32, v136
	v_fmac_f32_e32 v49, v33, v135
	buffer_load_dword v223, off, s[0:3], 0 offset:384
	buffer_load_dword v224, off, s[0:3], 0 offset:388
	v_add_f32_e32 v52, v48, v49
	buffer_load_dword v225, off, s[0:3], 0 offset:392
	buffer_load_dword v226, off, s[0:3], 0 offset:396
	ds_read2_b64 v[48:51], v1 offset0:89 offset1:90
	s_waitcnt vmcnt(44) lgkmcnt(1)
	v_mul_f32_e32 v53, v44, v138
	v_fmac_f32_e32 v53, v45, v137
	v_add_f32_e32 v52, v52, v53
	s_waitcnt vmcnt(42)
	v_mul_f32_e32 v53, v46, v140
	v_fmac_f32_e32 v53, v47, v139
	v_add_f32_e32 v52, v52, v53
	s_waitcnt vmcnt(40) lgkmcnt(0)
	v_mul_f32_e32 v53, v48, v142
	v_fmac_f32_e32 v53, v49, v141
	buffer_load_dword v227, off, s[0:3], 0 offset:400
	buffer_load_dword v228, off, s[0:3], 0 offset:404
	v_add_f32_e32 v56, v52, v53
	ds_read2_b64 v[52:55], v1 offset0:91 offset1:92
	s_waitcnt vmcnt(40)
	v_mul_f32_e32 v57, v50, v144
	v_fmac_f32_e32 v57, v51, v143
	v_add_f32_e32 v60, v56, v57
	ds_read2_b64 v[56:59], v1 offset0:93 offset1:94
	s_waitcnt vmcnt(38) lgkmcnt(1)
	v_mul_f32_e32 v61, v52, v146
	v_fmac_f32_e32 v61, v53, v145
	v_add_f32_e32 v60, v60, v61
	s_waitcnt vmcnt(36)
	v_mul_f32_e32 v61, v54, v148
	v_fmac_f32_e32 v61, v55, v147
	v_add_f32_e32 v60, v60, v61
	s_waitcnt vmcnt(34) lgkmcnt(0)
	v_mul_f32_e32 v61, v56, v150
	v_fmac_f32_e32 v61, v57, v149
	v_add_f32_e32 v64, v60, v61
	ds_read2_b64 v[60:63], v1 offset0:95 offset1:96
	s_waitcnt vmcnt(32)
	v_mul_f32_e32 v65, v58, v152
	v_fmac_f32_e32 v65, v59, v151
	v_add_f32_e32 v68, v64, v65
	ds_read2_b64 v[64:67], v1 offset0:97 offset1:98
	s_waitcnt vmcnt(30) lgkmcnt(1)
	v_mul_f32_e32 v69, v60, v154
	v_fmac_f32_e32 v69, v61, v153
	v_add_f32_e32 v68, v68, v69
	s_waitcnt vmcnt(28)
	v_mul_f32_e32 v69, v62, v156
	v_fmac_f32_e32 v69, v63, v155
	v_add_f32_e32 v68, v68, v69
	s_waitcnt vmcnt(26) lgkmcnt(0)
	v_mul_f32_e32 v69, v64, v158
	v_fmac_f32_e32 v69, v65, v157
	v_add_f32_e32 v72, v68, v69
	ds_read2_b64 v[68:71], v1 offset0:99 offset1:100
	s_waitcnt vmcnt(24)
	v_mul_f32_e32 v73, v66, v160
	v_fmac_f32_e32 v73, v67, v159
	v_add_f32_e32 v76, v72, v73
	ds_read2_b64 v[72:75], v1 offset0:101 offset1:102
	v_mul_f32_e32 v23, v23, v41
	v_fma_f32 v22, v22, v118, -v23
	v_mul_f32_e32 v23, v25, v40
	v_add_f32_e32 v22, 0, v22
	v_fma_f32 v23, v24, v117, -v23
	v_mul_f32_e32 v19, v19, v42
	v_add_f32_e32 v22, v22, v23
	v_fma_f32 v18, v18, v116, -v19
	v_mul_f32_e32 v19, v21, v39
	v_add_f32_e32 v18, v22, v18
	v_fma_f32 v19, v20, v122, -v19
	s_waitcnt vmcnt(22) lgkmcnt(1)
	v_mul_f32_e32 v77, v68, v162
	v_fmac_f32_e32 v77, v69, v161
	v_add_f32_e32 v76, v76, v77
	s_waitcnt vmcnt(20)
	v_mul_f32_e32 v77, v70, v164
	v_fmac_f32_e32 v77, v71, v163
	v_add_f32_e32 v76, v76, v77
	s_waitcnt vmcnt(18) lgkmcnt(0)
	v_mul_f32_e32 v77, v72, v166
	v_fmac_f32_e32 v77, v73, v165
	v_add_f32_e32 v80, v76, v77
	ds_read2_b64 v[76:79], v1 offset0:103 offset1:104
	s_waitcnt vmcnt(16)
	v_mul_f32_e32 v81, v74, v168
	v_fmac_f32_e32 v81, v75, v167
	v_add_f32_e32 v84, v80, v81
	ds_read2_b64 v[80:83], v1 offset0:105 offset1:106
	s_waitcnt vmcnt(14) lgkmcnt(1)
	v_mul_f32_e32 v85, v76, v170
	v_fmac_f32_e32 v85, v77, v169
	v_add_f32_e32 v84, v84, v85
	s_waitcnt vmcnt(12)
	v_mul_f32_e32 v85, v78, v172
	v_fmac_f32_e32 v85, v79, v171
	v_add_f32_e32 v84, v84, v85
	s_waitcnt vmcnt(10) lgkmcnt(0)
	v_mul_f32_e32 v85, v80, v174
	v_fmac_f32_e32 v85, v81, v173
	s_waitcnt vmcnt(8)
	v_mul_f32_e32 v89, v82, v220
	v_add_f32_e32 v88, v84, v85
	v_fmac_f32_e32 v89, v83, v175
	ds_read2_b64 v[84:87], v1 offset0:107 offset1:108
	v_add_f32_e32 v93, v88, v89
	ds_read2_b64 v[88:91], v1 offset0:109 offset1:110
	buffer_load_dword v97, off, s[0:3], 0 offset:428
	buffer_load_dword v96, off, s[0:3], 0 offset:424
	;; [unrolled: 1-line block ×16, first 2 shown]
	v_mul_f32_e32 v15, v15, v38
	v_add_f32_e32 v18, v18, v19
	v_fma_f32 v14, v14, v121, -v15
	v_mul_f32_e32 v15, v17, v36
	v_add_f32_e32 v14, v18, v14
	v_fma_f32 v15, v16, v120, -v15
	;; [unrolled: 3-line block ×8, first 2 shown]
	v_add_f32_e32 v2, v2, v3
	v_mul_f32_e32 v3, v27, v134
	v_fma_f32 v3, v26, v131, -v3
	v_add_f32_e32 v2, v2, v3
	v_mul_f32_e32 v3, v29, v128
	v_fma_f32 v3, v28, v127, -v3
	v_add_f32_e32 v2, v2, v3
	v_mul_f32_e32 v3, v31, v130
	v_fma_f32 v3, v30, v129, -v3
	v_add_f32_e32 v2, v2, v3
	v_mul_f32_e32 v3, v33, v136
	v_fma_f32 v3, v32, v135, -v3
	v_add_f32_e32 v2, v2, v3
	v_mul_f32_e32 v3, v45, v138
	v_fma_f32 v3, v44, v137, -v3
	v_add_f32_e32 v2, v2, v3
	v_mul_f32_e32 v3, v47, v140
	v_fma_f32 v3, v46, v139, -v3
	v_add_f32_e32 v2, v2, v3
	v_mul_f32_e32 v3, v49, v142
	v_fma_f32 v3, v48, v141, -v3
	v_add_f32_e32 v2, v2, v3
	v_mul_f32_e32 v3, v51, v144
	v_fma_f32 v3, v50, v143, -v3
	v_add_f32_e32 v2, v2, v3
	v_mul_f32_e32 v3, v53, v146
	v_fma_f32 v3, v52, v145, -v3
	v_add_f32_e32 v2, v2, v3
	v_mul_f32_e32 v3, v55, v148
	v_fma_f32 v3, v54, v147, -v3
	v_add_f32_e32 v2, v2, v3
	v_mul_f32_e32 v3, v57, v150
	v_fma_f32 v3, v56, v149, -v3
	v_add_f32_e32 v2, v2, v3
	v_mul_f32_e32 v3, v59, v152
	v_fma_f32 v3, v58, v151, -v3
	v_add_f32_e32 v2, v2, v3
	v_mul_f32_e32 v3, v61, v154
	v_fma_f32 v3, v60, v153, -v3
	v_add_f32_e32 v2, v2, v3
	v_mul_f32_e32 v3, v63, v156
	v_fma_f32 v3, v62, v155, -v3
	v_add_f32_e32 v2, v2, v3
	v_mul_f32_e32 v3, v65, v158
	v_fma_f32 v3, v64, v157, -v3
	v_add_f32_e32 v2, v2, v3
	v_mul_f32_e32 v3, v67, v160
	v_fma_f32 v3, v66, v159, -v3
	v_add_f32_e32 v2, v2, v3
	v_mul_f32_e32 v3, v69, v162
	v_fma_f32 v3, v68, v161, -v3
	v_add_f32_e32 v2, v2, v3
	v_mul_f32_e32 v3, v71, v164
	v_fma_f32 v3, v70, v163, -v3
	v_add_f32_e32 v2, v2, v3
	v_mul_f32_e32 v3, v73, v166
	v_fma_f32 v3, v72, v165, -v3
	v_add_f32_e32 v2, v2, v3
	v_mul_f32_e32 v3, v75, v168
	v_fma_f32 v3, v74, v167, -v3
	v_add_f32_e32 v2, v2, v3
	v_mul_f32_e32 v3, v77, v170
	v_fma_f32 v3, v76, v169, -v3
	v_add_f32_e32 v2, v2, v3
	v_mul_f32_e32 v3, v79, v172
	v_fma_f32 v3, v78, v171, -v3
	v_add_f32_e32 v2, v2, v3
	v_mul_f32_e32 v3, v81, v174
	v_fma_f32 v3, v80, v173, -v3
	v_add_f32_e32 v2, v2, v3
	v_mul_f32_e32 v3, v83, v220
	v_fma_f32 v3, v82, v175, -v3
	v_add_f32_e32 v2, v2, v3
	s_waitcnt vmcnt(22) lgkmcnt(1)
	v_mul_f32_e32 v3, v85, v222
	v_fma_f32 v3, v84, v221, -v3
	v_add_f32_e32 v2, v2, v3
	s_waitcnt vmcnt(20)
	v_mul_f32_e32 v3, v87, v224
	v_mul_f32_e32 v95, v84, v222
	v_fma_f32 v3, v86, v223, -v3
	v_fmac_f32_e32 v95, v85, v221
	v_add_f32_e32 v92, v2, v3
	s_waitcnt vmcnt(18) lgkmcnt(0)
	v_mul_f32_e32 v2, v89, v226
	v_add_f32_e32 v93, v93, v95
	v_mul_f32_e32 v95, v86, v224
	v_fma_f32 v94, v88, v225, -v2
	s_waitcnt vmcnt(16)
	v_mul_f32_e32 v2, v91, v228
	v_fmac_f32_e32 v95, v87, v223
	v_fma_f32 v104, v90, v227, -v2
	ds_read2_b64 v[2:5], v1 offset0:111 offset1:112
	ds_read2_b64 v[6:9], v1 offset0:113 offset1:114
	;; [unrolled: 1-line block ×4, first 2 shown]
	v_add_f32_e32 v93, v93, v95
	v_mul_f32_e32 v95, v88, v226
	s_waitcnt vmcnt(11)
	v_mov_b32_e32 v20, v101
	v_fmac_f32_e32 v95, v89, v225
	v_mul_f32_e32 v105, v90, v228
	s_waitcnt lgkmcnt(3)
	v_pk_mul_f32 v[20:21], v[2:3], v[20:21] op_sel_hi:[1,0]
	v_fmac_f32_e32 v105, v91, v227
	v_pk_add_f32 v[18:19], v[92:93], v[94:95]
	s_waitcnt vmcnt(10)
	v_pk_fma_f32 v[22:23], v[2:3], v[100:101], v[20:21] op_sel:[0,0,1] op_sel_hi:[1,1,0] neg_lo:[0,0,1] neg_hi:[0,0,1]
	v_pk_fma_f32 v[2:3], v[2:3], v[100:101], v[20:21] op_sel:[0,0,1] op_sel_hi:[1,0,0]
	v_pk_add_f32 v[18:19], v[18:19], v[104:105]
	v_mov_b32_e32 v23, v3
	v_pk_add_f32 v[2:3], v[18:19], v[22:23]
	v_mov_b32_e32 v18, v99
	v_pk_mul_f32 v[18:19], v[4:5], v[18:19] op_sel_hi:[1,0]
	v_pk_fma_f32 v[20:21], v[4:5], v[98:99], v[18:19] op_sel:[0,0,1] op_sel_hi:[1,1,0] neg_lo:[0,0,1] neg_hi:[0,0,1]
	v_pk_fma_f32 v[4:5], v[4:5], v[98:99], v[18:19] op_sel:[0,0,1] op_sel_hi:[1,0,0]
	v_mov_b32_e32 v4, v97
	v_mov_b32_e32 v21, v5
	s_waitcnt lgkmcnt(2)
	v_pk_mul_f32 v[4:5], v[6:7], v[4:5] op_sel_hi:[1,0]
	v_pk_fma_f32 v[18:19], v[6:7], v[96:97], v[4:5] op_sel:[0,0,1] op_sel_hi:[1,1,0] neg_lo:[0,0,1] neg_hi:[0,0,1]
	v_pk_fma_f32 v[4:5], v[6:7], v[96:97], v[4:5] op_sel:[0,0,1] op_sel_hi:[1,0,0]
	s_waitcnt vmcnt(3)
	v_mov_b32_e32 v4, v113
	v_mov_b32_e32 v19, v5
	v_pk_mul_f32 v[4:5], v[8:9], v[4:5] op_sel_hi:[1,0]
	s_waitcnt vmcnt(2)
	v_pk_fma_f32 v[6:7], v[8:9], v[112:113], v[4:5] op_sel:[0,0,1] op_sel_hi:[1,1,0] neg_lo:[0,0,1] neg_hi:[0,0,1]
	v_pk_fma_f32 v[4:5], v[8:9], v[112:113], v[4:5] op_sel:[0,0,1] op_sel_hi:[1,0,0]
	v_pk_add_f32 v[2:3], v[2:3], v[20:21]
	v_mov_b32_e32 v4, v111
	v_pk_add_f32 v[2:3], v[2:3], v[18:19]
	v_mov_b32_e32 v7, v5
	s_waitcnt lgkmcnt(1)
	v_pk_mul_f32 v[4:5], v[10:11], v[4:5] op_sel_hi:[1,0]
	v_pk_add_f32 v[2:3], v[2:3], v[6:7]
	v_pk_fma_f32 v[6:7], v[10:11], v[110:111], v[4:5] op_sel:[0,0,1] op_sel_hi:[1,1,0] neg_lo:[0,0,1] neg_hi:[0,0,1]
	v_pk_fma_f32 v[4:5], v[10:11], v[110:111], v[4:5] op_sel:[0,0,1] op_sel_hi:[1,0,0]
	v_mov_b32_e32 v4, v109
	v_mov_b32_e32 v7, v5
	v_pk_mul_f32 v[4:5], v[12:13], v[4:5] op_sel_hi:[1,0]
	v_pk_add_f32 v[2:3], v[2:3], v[6:7]
	v_pk_fma_f32 v[6:7], v[12:13], v[108:109], v[4:5] op_sel:[0,0,1] op_sel_hi:[1,1,0] neg_lo:[0,0,1] neg_hi:[0,0,1]
	v_pk_fma_f32 v[4:5], v[12:13], v[108:109], v[4:5] op_sel:[0,0,1] op_sel_hi:[1,0,0]
	v_mov_b32_e32 v4, v107
	v_mov_b32_e32 v7, v5
	s_waitcnt lgkmcnt(0)
	v_pk_mul_f32 v[4:5], v[14:15], v[4:5] op_sel_hi:[1,0]
	v_pk_add_f32 v[2:3], v[2:3], v[6:7]
	v_pk_fma_f32 v[6:7], v[14:15], v[106:107], v[4:5] op_sel:[0,0,1] op_sel_hi:[1,1,0] neg_lo:[0,0,1] neg_hi:[0,0,1]
	v_pk_fma_f32 v[4:5], v[14:15], v[106:107], v[4:5] op_sel:[0,0,1] op_sel_hi:[1,0,0]
	s_waitcnt vmcnt(1)
	v_mov_b32_e32 v4, v115
	v_mov_b32_e32 v7, v5
	v_pk_mul_f32 v[4:5], v[16:17], v[4:5] op_sel_hi:[1,0]
	v_pk_add_f32 v[2:3], v[2:3], v[6:7]
	s_waitcnt vmcnt(0)
	v_pk_fma_f32 v[6:7], v[16:17], v[114:115], v[4:5] op_sel:[0,0,1] op_sel_hi:[1,1,0] neg_lo:[0,0,1] neg_hi:[0,0,1]
	v_pk_fma_f32 v[4:5], v[16:17], v[114:115], v[4:5] op_sel:[0,0,1] op_sel_hi:[1,0,0]
	v_mov_b32_e32 v7, v5
	v_pk_add_f32 v[2:3], v[2:3], v[6:7]
	v_pk_add_f32 v[2:3], v[34:35], v[2:3] neg_lo:[0,1] neg_hi:[0,1]
	buffer_store_dword v3, off, s[0:3], 0 offset:84
	buffer_store_dword v2, off, s[0:3], 0 offset:80
	s_and_saveexec_b64 s[4:5], vcc
	s_cbranch_execz .LBB58_349
; %bb.348:
	buffer_load_dword v2, off, s[0:3], 0 offset:72
	buffer_load_dword v3, off, s[0:3], 0 offset:76
	v_mov_b32_e32 v1, 0
	buffer_store_dword v1, off, s[0:3], 0 offset:72
	buffer_store_dword v1, off, s[0:3], 0 offset:76
	s_waitcnt vmcnt(2)
	ds_write_b64 v187, v[2:3]
.LBB58_349:
	s_or_b64 exec, exec, s[4:5]
	v_mov_b32_e32 v228, 0
	s_waitcnt lgkmcnt(0)
	; wave barrier
	s_waitcnt lgkmcnt(0)
	ds_read_b128 v[2:5], v228 offset:560
	buffer_load_dword v86, off, s[0:3], 0 offset:72
	buffer_load_dword v87, off, s[0:3], 0 offset:76
	buffer_load_dword v1, off, s[0:3], 0 offset:80
	buffer_load_dword v94, off, s[0:3], 0 offset:84
	buffer_load_dword v88, off, s[0:3], 0 offset:88
	buffer_load_dword v105, off, s[0:3], 0 offset:92
	buffer_load_dword v90, off, s[0:3], 0 offset:96
	buffer_load_dword v107, off, s[0:3], 0 offset:100
	buffer_load_dword v104, off, s[0:3], 0 offset:104
	buffer_load_dword v109, off, s[0:3], 0 offset:108
	buffer_load_dword v106, off, s[0:3], 0 offset:112
	buffer_load_dword v111, off, s[0:3], 0 offset:116
	buffer_load_dword v108, off, s[0:3], 0 offset:120
	buffer_load_dword v112, off, s[0:3], 0 offset:124
	buffer_load_dword v110, off, s[0:3], 0 offset:128
	buffer_load_dword v113, off, s[0:3], 0 offset:132
	v_cmp_lt_u32_e32 vcc, 8, v0
	s_waitcnt vmcnt(12) lgkmcnt(0)
	v_mul_f32_e32 v6, v2, v94
	v_fmac_f32_e32 v6, v3, v1
	s_waitcnt vmcnt(10)
	v_mul_f32_e32 v7, v4, v105
	v_add_f32_e32 v6, 0, v6
	v_fmac_f32_e32 v7, v5, v88
	v_add_f32_e32 v10, v6, v7
	ds_read_b128 v[6:9], v228 offset:576
	v_mul_f32_e32 v3, v3, v94
	v_fma_f32 v1, v2, v1, -v3
	v_mul_f32_e32 v2, v5, v105
	v_add_f32_e32 v1, 0, v1
	s_waitcnt vmcnt(8) lgkmcnt(0)
	v_mul_f32_e32 v11, v6, v107
	v_fmac_f32_e32 v11, v7, v90
	v_add_f32_e32 v10, v10, v11
	s_waitcnt vmcnt(6)
	v_mul_f32_e32 v11, v8, v109
	v_fmac_f32_e32 v11, v9, v104
	v_add_f32_e32 v14, v10, v11
	ds_read_b128 v[10:13], v228 offset:592
	v_fma_f32 v2, v4, v88, -v2
	v_add_f32_e32 v1, v1, v2
	v_mul_f32_e32 v2, v7, v107
	v_fma_f32 v2, v6, v90, -v2
	s_waitcnt vmcnt(4) lgkmcnt(0)
	v_mul_f32_e32 v15, v10, v111
	v_fmac_f32_e32 v15, v11, v106
	v_add_f32_e32 v14, v14, v15
	s_waitcnt vmcnt(2)
	v_mul_f32_e32 v15, v12, v112
	v_fmac_f32_e32 v15, v13, v108
	v_add_f32_e32 v18, v14, v15
	ds_read_b128 v[14:17], v228 offset:608
	buffer_load_dword v114, off, s[0:3], 0 offset:136
	buffer_load_dword v115, off, s[0:3], 0 offset:140
	v_add_f32_e32 v1, v1, v2
	v_mul_f32_e32 v2, v9, v109
	v_fma_f32 v2, v8, v104, -v2
	s_waitcnt vmcnt(2) lgkmcnt(0)
	v_mul_f32_e32 v19, v14, v113
	v_fmac_f32_e32 v19, v15, v110
	v_add_f32_e32 v18, v18, v19
	v_add_f32_e32 v1, v1, v2
	v_mul_f32_e32 v2, v11, v111
	v_fma_f32 v2, v10, v106, -v2
	v_add_f32_e32 v1, v1, v2
	v_mul_f32_e32 v2, v13, v112
	v_fma_f32 v2, v12, v108, -v2
	;; [unrolled: 3-line block ×3, first 2 shown]
	v_add_f32_e32 v1, v1, v2
	s_waitcnt vmcnt(0)
	v_mul_f32_e32 v19, v16, v115
	v_fmac_f32_e32 v19, v17, v114
	v_add_f32_e32 v22, v18, v19
	ds_read_b128 v[18:21], v228 offset:624
	buffer_load_dword v116, off, s[0:3], 0 offset:144
	buffer_load_dword v117, off, s[0:3], 0 offset:148
	;; [unrolled: 1-line block ×4, first 2 shown]
	v_mul_f32_e32 v2, v17, v115
	v_fma_f32 v2, v16, v114, -v2
	v_add_f32_e32 v1, v1, v2
	s_waitcnt vmcnt(2) lgkmcnt(0)
	v_mul_f32_e32 v23, v18, v117
	v_fmac_f32_e32 v23, v19, v116
	v_add_f32_e32 v22, v22, v23
	s_waitcnt vmcnt(0)
	v_mul_f32_e32 v23, v20, v119
	v_fmac_f32_e32 v23, v21, v118
	v_add_f32_e32 v26, v22, v23
	ds_read_b128 v[22:25], v228 offset:640
	buffer_load_dword v120, off, s[0:3], 0 offset:160
	buffer_load_dword v121, off, s[0:3], 0 offset:164
	;; [unrolled: 1-line block ×4, first 2 shown]
	v_mul_f32_e32 v2, v19, v117
	v_fma_f32 v2, v18, v116, -v2
	v_add_f32_e32 v1, v1, v2
	v_mul_f32_e32 v2, v21, v119
	v_fma_f32 v2, v20, v118, -v2
	v_add_f32_e32 v1, v1, v2
	s_waitcnt vmcnt(2) lgkmcnt(0)
	v_mul_f32_e32 v27, v22, v121
	v_fmac_f32_e32 v27, v23, v120
	v_add_f32_e32 v26, v26, v27
	s_waitcnt vmcnt(0)
	v_mul_f32_e32 v27, v24, v123
	v_fmac_f32_e32 v27, v25, v122
	v_add_f32_e32 v30, v26, v27
	ds_read_b128 v[26:29], v228 offset:656
	buffer_load_dword v124, off, s[0:3], 0 offset:176
	buffer_load_dword v125, off, s[0:3], 0 offset:180
	;; [unrolled: 1-line block ×4, first 2 shown]
	v_mul_f32_e32 v2, v23, v121
	v_fma_f32 v2, v22, v120, -v2
	v_add_f32_e32 v1, v1, v2
	v_mul_f32_e32 v2, v25, v123
	v_fma_f32 v2, v24, v122, -v2
	v_add_f32_e32 v1, v1, v2
	s_waitcnt vmcnt(2) lgkmcnt(0)
	v_mul_f32_e32 v31, v26, v125
	v_fmac_f32_e32 v31, v27, v124
	v_add_f32_e32 v30, v30, v31
	s_waitcnt vmcnt(0)
	v_mul_f32_e32 v31, v28, v127
	v_fmac_f32_e32 v31, v29, v126
	v_add_f32_e32 v34, v30, v31
	ds_read_b128 v[30:33], v228 offset:672
	buffer_load_dword v128, off, s[0:3], 0 offset:192
	buffer_load_dword v129, off, s[0:3], 0 offset:196
	buffer_load_dword v130, off, s[0:3], 0 offset:200
	buffer_load_dword v131, off, s[0:3], 0 offset:204
	ds_read_b128 v[38:41], v228 offset:688
	buffer_load_dword v132, off, s[0:3], 0 offset:208
	buffer_load_dword v133, off, s[0:3], 0 offset:212
	buffer_load_dword v134, off, s[0:3], 0 offset:216
	buffer_load_dword v135, off, s[0:3], 0 offset:220
	;; [unrolled: 5-line block ×13, first 2 shown]
	v_mul_f32_e32 v2, v27, v125
	v_fma_f32 v2, v26, v124, -v2
	v_add_f32_e32 v1, v1, v2
	v_mul_f32_e32 v2, v29, v127
	v_fma_f32 v2, v28, v126, -v2
	v_add_f32_e32 v1, v1, v2
	s_waitcnt vmcnt(50) lgkmcnt(12)
	v_mul_f32_e32 v35, v30, v129
	v_fmac_f32_e32 v35, v31, v128
	v_add_f32_e32 v34, v34, v35
	s_waitcnt vmcnt(48)
	v_mul_f32_e32 v35, v32, v131
	v_fmac_f32_e32 v35, v33, v130
	v_add_f32_e32 v34, v34, v35
	s_waitcnt vmcnt(46) lgkmcnt(11)
	v_mul_f32_e32 v35, v38, v133
	v_fmac_f32_e32 v35, v39, v132
	v_add_f32_e32 v34, v34, v35
	s_waitcnt vmcnt(44)
	v_mul_f32_e32 v35, v40, v135
	v_fmac_f32_e32 v35, v41, v134
	;; [unrolled: 8-line block ×12, first 2 shown]
	v_add_f32_e32 v34, v34, v35
	s_waitcnt vmcnt(2) lgkmcnt(0)
	v_mul_f32_e32 v35, v82, v175
	v_fmac_f32_e32 v35, v83, v174
	v_add_f32_e32 v89, v34, v35
	ds_read_b128 v[34:37], v228 offset:880
	buffer_load_dword v233, off, s[0:3], 0 offset:400
	buffer_load_dword v234, off, s[0:3], 0 offset:404
	;; [unrolled: 1-line block ×18, first 2 shown]
	v_mul_f32_e32 v2, v31, v129
	v_fma_f32 v2, v30, v128, -v2
	v_add_f32_e32 v1, v1, v2
	v_mul_f32_e32 v2, v33, v131
	v_fma_f32 v2, v32, v130, -v2
	v_add_f32_e32 v1, v1, v2
	;; [unrolled: 3-line block ×24, first 2 shown]
	v_mul_f32_e32 v2, v83, v175
	v_fma_f32 v2, v82, v174, -v2
	s_waitcnt vmcnt(15)
	v_mov_b32_e32 v18, v93
	v_mul_f32_e32 v91, v84, v232
	v_add_f32_e32 v88, v1, v2
	v_mul_f32_e32 v1, v85, v232
	s_waitcnt lgkmcnt(0)
	v_pk_mul_f32 v[18:19], v[36:37], v[18:19] op_sel_hi:[1,0]
	v_fmac_f32_e32 v91, v85, v231
	v_mul_f32_e32 v95, v34, v234
	v_fma_f32 v90, v84, v231, -v1
	v_mul_f32_e32 v1, v35, v234
	ds_read_b128 v[2:5], v228 offset:896
	ds_read_b128 v[6:9], v228 offset:912
	;; [unrolled: 1-line block ×3, first 2 shown]
	ds_read_b64 v[14:15], v228 offset:944
	s_waitcnt vmcnt(14)
	v_pk_fma_f32 v[20:21], v[36:37], v[92:93], v[18:19] op_sel:[0,0,1] op_sel_hi:[1,1,0] neg_lo:[0,0,1] neg_hi:[0,0,1]
	v_pk_fma_f32 v[18:19], v[36:37], v[92:93], v[18:19] op_sel:[0,0,1] op_sel_hi:[1,0,0]
	v_fmac_f32_e32 v95, v35, v233
	v_fma_f32 v94, v34, v233, -v1
	v_pk_add_f32 v[16:17], v[88:89], v[90:91]
	s_waitcnt vmcnt(13)
	v_mov_b32_e32 v18, v227
	v_pk_add_f32 v[16:17], v[16:17], v[94:95]
	v_mov_b32_e32 v21, v19
	s_waitcnt lgkmcnt(3)
	v_pk_mul_f32 v[18:19], v[2:3], v[18:19] op_sel_hi:[1,0]
	v_pk_add_f32 v[16:17], v[16:17], v[20:21]
	s_waitcnt vmcnt(12)
	v_pk_fma_f32 v[20:21], v[2:3], v[226:227], v[18:19] op_sel:[0,0,1] op_sel_hi:[1,1,0] neg_lo:[0,0,1] neg_hi:[0,0,1]
	v_pk_fma_f32 v[2:3], v[2:3], v[226:227], v[18:19] op_sel:[0,0,1] op_sel_hi:[1,0,0]
	v_mov_b32_e32 v21, v3
	v_pk_add_f32 v[2:3], v[16:17], v[20:21]
	s_waitcnt vmcnt(11)
	v_mov_b32_e32 v16, v225
	v_pk_mul_f32 v[16:17], v[4:5], v[16:17] op_sel_hi:[1,0]
	s_waitcnt vmcnt(10)
	v_pk_fma_f32 v[18:19], v[4:5], v[224:225], v[16:17] op_sel:[0,0,1] op_sel_hi:[1,1,0] neg_lo:[0,0,1] neg_hi:[0,0,1]
	v_pk_fma_f32 v[4:5], v[4:5], v[224:225], v[16:17] op_sel:[0,0,1] op_sel_hi:[1,0,0]
	s_waitcnt vmcnt(9)
	v_mov_b32_e32 v4, v223
	v_mov_b32_e32 v19, v5
	s_waitcnt lgkmcnt(2)
	v_pk_mul_f32 v[4:5], v[6:7], v[4:5] op_sel_hi:[1,0]
	s_waitcnt vmcnt(8)
	v_pk_fma_f32 v[16:17], v[6:7], v[222:223], v[4:5] op_sel:[0,0,1] op_sel_hi:[1,1,0] neg_lo:[0,0,1] neg_hi:[0,0,1]
	v_pk_fma_f32 v[4:5], v[6:7], v[222:223], v[4:5] op_sel:[0,0,1] op_sel_hi:[1,0,0]
	s_waitcnt vmcnt(7)
	v_mov_b32_e32 v4, v221
	v_mov_b32_e32 v17, v5
	v_pk_mul_f32 v[4:5], v[8:9], v[4:5] op_sel_hi:[1,0]
	s_waitcnt vmcnt(6)
	v_pk_fma_f32 v[6:7], v[8:9], v[220:221], v[4:5] op_sel:[0,0,1] op_sel_hi:[1,1,0] neg_lo:[0,0,1] neg_hi:[0,0,1]
	v_pk_fma_f32 v[4:5], v[8:9], v[220:221], v[4:5] op_sel:[0,0,1] op_sel_hi:[1,0,0]
	v_pk_add_f32 v[2:3], v[2:3], v[18:19]
	s_waitcnt vmcnt(5)
	v_mov_b32_e32 v4, v101
	v_pk_add_f32 v[2:3], v[2:3], v[16:17]
	v_mov_b32_e32 v7, v5
	s_waitcnt lgkmcnt(1)
	v_pk_mul_f32 v[4:5], v[10:11], v[4:5] op_sel_hi:[1,0]
	v_pk_add_f32 v[2:3], v[2:3], v[6:7]
	s_waitcnt vmcnt(4)
	v_pk_fma_f32 v[6:7], v[10:11], v[100:101], v[4:5] op_sel:[0,0,1] op_sel_hi:[1,1,0] neg_lo:[0,0,1] neg_hi:[0,0,1]
	v_pk_fma_f32 v[4:5], v[10:11], v[100:101], v[4:5] op_sel:[0,0,1] op_sel_hi:[1,0,0]
	s_waitcnt vmcnt(3)
	v_mov_b32_e32 v4, v99
	v_mov_b32_e32 v7, v5
	v_pk_mul_f32 v[4:5], v[12:13], v[4:5] op_sel_hi:[1,0]
	v_pk_add_f32 v[2:3], v[2:3], v[6:7]
	s_waitcnt vmcnt(2)
	v_pk_fma_f32 v[6:7], v[12:13], v[98:99], v[4:5] op_sel:[0,0,1] op_sel_hi:[1,1,0] neg_lo:[0,0,1] neg_hi:[0,0,1]
	v_pk_fma_f32 v[4:5], v[12:13], v[98:99], v[4:5] op_sel:[0,0,1] op_sel_hi:[1,0,0]
	s_waitcnt vmcnt(1)
	v_mov_b32_e32 v4, v97
	v_mov_b32_e32 v7, v5
	s_waitcnt lgkmcnt(0)
	v_pk_mul_f32 v[4:5], v[14:15], v[4:5] op_sel_hi:[1,0]
	v_pk_add_f32 v[2:3], v[2:3], v[6:7]
	s_waitcnt vmcnt(0)
	v_pk_fma_f32 v[6:7], v[14:15], v[96:97], v[4:5] op_sel:[0,0,1] op_sel_hi:[1,1,0] neg_lo:[0,0,1] neg_hi:[0,0,1]
	v_pk_fma_f32 v[4:5], v[14:15], v[96:97], v[4:5] op_sel:[0,0,1] op_sel_hi:[1,0,0]
	v_mov_b32_e32 v7, v5
	v_pk_add_f32 v[2:3], v[2:3], v[6:7]
	v_pk_add_f32 v[2:3], v[86:87], v[2:3] neg_lo:[0,1] neg_hi:[0,1]
	buffer_store_dword v3, off, s[0:3], 0 offset:76
	buffer_store_dword v2, off, s[0:3], 0 offset:72
	s_and_saveexec_b64 s[4:5], vcc
	s_cbranch_execz .LBB58_351
; %bb.350:
	buffer_load_dword v2, off, s[0:3], 0 offset:64
	buffer_load_dword v3, off, s[0:3], 0 offset:68
	s_waitcnt vmcnt(0)
	ds_write_b64 v187, v[2:3]
	buffer_store_dword v228, off, s[0:3], 0 offset:64
	buffer_store_dword v228, off, s[0:3], 0 offset:68
.LBB58_351:
	s_or_b64 exec, exec, s[4:5]
	s_waitcnt lgkmcnt(0)
	; wave barrier
	s_waitcnt lgkmcnt(0)
	buffer_load_dword v40, off, s[0:3], 0 offset:76
	buffer_load_dword v39, off, s[0:3], 0 offset:84
	;; [unrolled: 1-line block ×32, first 2 shown]
	ds_read2_b64 v[22:25], v228 offset0:69 offset1:70
	ds_read2_b64 v[18:21], v228 offset0:71 offset1:72
	ds_read2_b64 v[14:17], v228 offset0:73 offset1:74
	ds_read2_b64 v[10:13], v228 offset0:75 offset1:76
	ds_read2_b64 v[6:9], v228 offset0:77 offset1:78
	ds_read2_b64 v[2:5], v228 offset0:79 offset1:80
	buffer_load_dword v142, off, s[0:3], 0 offset:192
	buffer_load_dword v143, off, s[0:3], 0 offset:196
	;; [unrolled: 1-line block ×20, first 2 shown]
	v_cmp_lt_u32_e32 vcc, 7, v0
	s_waitcnt vmcnt(51) lgkmcnt(5)
	v_mul_f32_e32 v26, v22, v40
	s_waitcnt vmcnt(50)
	v_mul_f32_e32 v27, v24, v39
	s_waitcnt vmcnt(49) lgkmcnt(4)
	v_mul_f32_e32 v29, v20, v38
	s_waitcnt vmcnt(48) lgkmcnt(3)
	v_mul_f32_e32 v30, v14, v37
	s_waitcnt vmcnt(47)
	v_mul_f32_e32 v31, v16, v36
	s_waitcnt vmcnt(46) lgkmcnt(2)
	v_mul_f32_e32 v32, v10, v1
	s_waitcnt vmcnt(45)
	v_mul_f32_e32 v28, v18, v41
	s_waitcnt vmcnt(44)
	v_mul_f32_e32 v33, v12, v42
	s_waitcnt vmcnt(43) lgkmcnt(1)
	v_mul_f32_e32 v47, v6, v43
	s_waitcnt vmcnt(42)
	v_mul_f32_e32 v48, v8, v44
	s_waitcnt vmcnt(41) lgkmcnt(0)
	v_mul_f32_e32 v49, v2, v45
	s_waitcnt vmcnt(40)
	v_mul_f32_e32 v50, v4, v46
	s_waitcnt vmcnt(39)
	v_fmac_f32_e32 v28, v19, v108
	s_waitcnt vmcnt(38)
	v_fmac_f32_e32 v27, v25, v110
	;; [unrolled: 2-line block ×3, first 2 shown]
	v_add_f32_e32 v26, 0, v26
	v_add_f32_e32 v26, v26, v27
	;; [unrolled: 1-line block ×3, first 2 shown]
	s_waitcnt vmcnt(33)
	v_fmac_f32_e32 v29, v21, v130
	v_fmac_f32_e32 v30, v15, v129
	v_add_f32_e32 v26, v26, v29
	v_fmac_f32_e32 v31, v17, v128
	v_add_f32_e32 v26, v26, v30
	;; [unrolled: 2-line block ×3, first 2 shown]
	s_waitcnt vmcnt(29)
	v_fmac_f32_e32 v33, v13, v134
	v_add_f32_e32 v26, v26, v32
	v_fmac_f32_e32 v47, v7, v133
	v_add_f32_e32 v26, v26, v33
	;; [unrolled: 2-line block ×4, first 2 shown]
	v_add_f32_e32 v30, v26, v49
	ds_read2_b64 v[26:29], v228 offset0:81 offset1:82
	buffer_load_dword v162, off, s[0:3], 0 offset:272
	buffer_load_dword v163, off, s[0:3], 0 offset:276
	;; [unrolled: 1-line block ×4, first 2 shown]
	s_waitcnt vmcnt(28)
	v_fmac_f32_e32 v50, v5, v139
	v_add_f32_e32 v47, v30, v50
	ds_read2_b64 v[30:33], v228 offset0:83 offset1:84
	buffer_load_dword v166, off, s[0:3], 0 offset:288
	buffer_load_dword v167, off, s[0:3], 0 offset:292
	;; [unrolled: 1-line block ×12, first 2 shown]
	s_waitcnt vmcnt(39) lgkmcnt(1)
	v_mul_f32_e32 v48, v26, v140
	v_fmac_f32_e32 v48, v27, v138
	buffer_load_dword v222, off, s[0:3], 0 offset:336
	buffer_load_dword v223, off, s[0:3], 0 offset:340
	v_add_f32_e32 v47, v47, v48
	s_waitcnt vmcnt(40)
	v_mul_f32_e32 v48, v28, v141
	v_fmac_f32_e32 v48, v29, v137
	buffer_load_dword v224, off, s[0:3], 0 offset:344
	buffer_load_dword v225, off, s[0:3], 0 offset:348
	v_add_f32_e32 v47, v47, v48
	s_waitcnt lgkmcnt(0)
	v_mul_f32_e32 v48, v30, v136
	v_fmac_f32_e32 v48, v31, v135
	v_add_f32_e32 v47, v47, v48
	ds_read2_b64 v[48:51], v228 offset0:85 offset1:86
	buffer_load_dword v226, off, s[0:3], 0 offset:352
	buffer_load_dword v227, off, s[0:3], 0 offset:356
	s_waitcnt vmcnt(40)
	v_mul_f32_e32 v52, v32, v143
	v_fmac_f32_e32 v52, v33, v142
	v_add_f32_e32 v47, v47, v52
	ds_read2_b64 v[52:55], v228 offset0:87 offset1:88
	buffer_load_dword v229, off, s[0:3], 0 offset:360
	buffer_load_dword v230, off, s[0:3], 0 offset:364
	;; [unrolled: 1-line block ×8, first 2 shown]
	s_waitcnt vmcnt(46) lgkmcnt(1)
	v_mul_f32_e32 v56, v48, v145
	v_fmac_f32_e32 v56, v49, v144
	v_add_f32_e32 v47, v47, v56
	s_waitcnt vmcnt(44)
	v_mul_f32_e32 v56, v50, v147
	v_fmac_f32_e32 v56, v51, v146
	v_add_f32_e32 v47, v47, v56
	s_waitcnt vmcnt(42) lgkmcnt(0)
	v_mul_f32_e32 v56, v52, v149
	v_fmac_f32_e32 v56, v53, v148
	v_add_f32_e32 v47, v47, v56
	buffer_load_dword v237, off, s[0:3], 0 offset:392
	buffer_load_dword v238, off, s[0:3], 0 offset:396
	;; [unrolled: 1-line block ×4, first 2 shown]
	ds_read2_b64 v[56:59], v228 offset0:89 offset1:90
	s_waitcnt vmcnt(44)
	v_mul_f32_e32 v60, v54, v151
	v_fmac_f32_e32 v60, v55, v150
	v_add_f32_e32 v47, v47, v60
	ds_read2_b64 v[60:63], v228 offset0:91 offset1:92
	s_waitcnt vmcnt(42) lgkmcnt(1)
	v_mul_f32_e32 v64, v56, v153
	v_fmac_f32_e32 v64, v57, v152
	v_add_f32_e32 v47, v47, v64
	s_waitcnt vmcnt(40)
	v_mul_f32_e32 v64, v58, v155
	v_fmac_f32_e32 v64, v59, v154
	v_add_f32_e32 v47, v47, v64
	s_waitcnt vmcnt(38) lgkmcnt(0)
	v_mul_f32_e32 v64, v60, v157
	v_fmac_f32_e32 v64, v61, v156
	v_add_f32_e32 v47, v47, v64
	ds_read2_b64 v[64:67], v228 offset0:93 offset1:94
	s_waitcnt vmcnt(36)
	v_mul_f32_e32 v68, v62, v159
	v_fmac_f32_e32 v68, v63, v158
	v_add_f32_e32 v47, v47, v68
	ds_read2_b64 v[68:71], v228 offset0:95 offset1:96
	s_waitcnt vmcnt(34) lgkmcnt(1)
	v_mul_f32_e32 v72, v64, v161
	v_fmac_f32_e32 v72, v65, v160
	v_add_f32_e32 v47, v47, v72
	v_mul_f32_e32 v23, v23, v40
	v_fma_f32 v22, v22, v126, -v23
	v_mul_f32_e32 v23, v25, v39
	v_add_f32_e32 v22, 0, v22
	v_fma_f32 v23, v24, v110, -v23
	v_mul_f32_e32 v19, v19, v41
	v_add_f32_e32 v22, v22, v23
	;; [unrolled: 3-line block ×5, first 2 shown]
	s_waitcnt vmcnt(32)
	v_mul_f32_e32 v72, v66, v163
	v_fmac_f32_e32 v72, v67, v162
	v_add_f32_e32 v47, v47, v72
	s_waitcnt vmcnt(30) lgkmcnt(0)
	v_mul_f32_e32 v72, v68, v165
	v_fmac_f32_e32 v72, v69, v164
	v_add_f32_e32 v47, v47, v72
	ds_read2_b64 v[72:75], v228 offset0:97 offset1:98
	s_waitcnt vmcnt(28)
	v_mul_f32_e32 v76, v70, v167
	v_fmac_f32_e32 v76, v71, v166
	v_add_f32_e32 v47, v47, v76
	ds_read2_b64 v[76:79], v228 offset0:99 offset1:100
	s_waitcnt vmcnt(26) lgkmcnt(1)
	v_mul_f32_e32 v80, v72, v169
	v_fmac_f32_e32 v80, v73, v168
	v_add_f32_e32 v47, v47, v80
	s_waitcnt vmcnt(24)
	v_mul_f32_e32 v80, v74, v171
	v_fmac_f32_e32 v80, v75, v170
	v_add_f32_e32 v47, v47, v80
	s_waitcnt vmcnt(22) lgkmcnt(0)
	v_mul_f32_e32 v80, v76, v173
	v_fmac_f32_e32 v80, v77, v172
	v_add_f32_e32 v47, v47, v80
	ds_read2_b64 v[80:83], v228 offset0:101 offset1:102
	s_waitcnt vmcnt(20)
	v_mul_f32_e32 v84, v78, v175
	v_fmac_f32_e32 v84, v79, v174
	v_add_f32_e32 v47, v47, v84
	ds_read2_b64 v[84:87], v228 offset0:103 offset1:104
	s_waitcnt vmcnt(18) lgkmcnt(1)
	v_mul_f32_e32 v88, v80, v221
	v_fmac_f32_e32 v88, v81, v220
	v_add_f32_e32 v47, v47, v88
	s_waitcnt vmcnt(16)
	v_mul_f32_e32 v88, v82, v223
	v_fmac_f32_e32 v88, v83, v222
	v_add_f32_e32 v47, v47, v88
	s_waitcnt vmcnt(14) lgkmcnt(0)
	v_mul_f32_e32 v88, v84, v225
	v_fmac_f32_e32 v88, v85, v224
	v_add_f32_e32 v47, v47, v88
	ds_read2_b64 v[88:91], v228 offset0:105 offset1:106
	s_waitcnt vmcnt(12)
	v_mul_f32_e32 v92, v86, v227
	v_fmac_f32_e32 v92, v87, v226
	v_add_f32_e32 v47, v47, v92
	ds_read2_b64 v[92:95], v228 offset0:107 offset1:108
	buffer_load_dword v101, off, s[0:3], 0 offset:412
	buffer_load_dword v100, off, s[0:3], 0 offset:408
	s_waitcnt vmcnt(12) lgkmcnt(1)
	v_mul_f32_e32 v96, v88, v230
	v_fmac_f32_e32 v96, v89, v229
	v_add_f32_e32 v47, v47, v96
	s_waitcnt vmcnt(10)
	v_mul_f32_e32 v96, v90, v232
	v_fmac_f32_e32 v96, v91, v231
	v_add_f32_e32 v47, v47, v96
	s_waitcnt vmcnt(8) lgkmcnt(0)
	v_mul_f32_e32 v96, v92, v234
	v_fmac_f32_e32 v96, v93, v233
	s_waitcnt vmcnt(6)
	v_mul_f32_e32 v104, v94, v236
	v_add_f32_e32 v47, v47, v96
	v_fmac_f32_e32 v104, v95, v235
	ds_read2_b64 v[96:99], v228 offset0:109 offset1:110
	v_add_f32_e32 v47, v47, v104
	ds_read2_b64 v[104:107], v228 offset0:111 offset1:112
	buffer_load_dword v113, off, s[0:3], 0 offset:444
	buffer_load_dword v112, off, s[0:3], 0 offset:440
	;; [unrolled: 1-line block ×14, first 2 shown]
	v_fma_f32 v15, v16, v128, -v15
	v_mul_f32_e32 v1, v11, v1
	v_add_f32_e32 v14, v14, v15
	v_fma_f32 v1, v10, v127, -v1
	v_mul_f32_e32 v10, v13, v42
	v_add_f32_e32 v1, v14, v1
	;; [unrolled: 3-line block ×3, first 2 shown]
	v_fma_f32 v6, v6, v133, -v7
	v_add_f32_e32 v1, v1, v6
	v_mul_f32_e32 v6, v9, v44
	v_fma_f32 v6, v8, v132, -v6
	v_mul_f32_e32 v3, v3, v45
	v_add_f32_e32 v1, v1, v6
	v_fma_f32 v2, v2, v131, -v3
	v_add_f32_e32 v1, v1, v2
	v_mul_f32_e32 v2, v5, v46
	v_fma_f32 v2, v4, v139, -v2
	v_add_f32_e32 v1, v1, v2
	v_mul_f32_e32 v2, v27, v140
	;; [unrolled: 3-line block ×29, first 2 shown]
	v_fma_f32 v2, v94, v235, -v2
	s_waitcnt vmcnt(15)
	v_mov_b32_e32 v16, v101
	s_waitcnt lgkmcnt(1)
	v_mul_f32_e32 v109, v96, v238
	v_add_f32_e32 v46, v1, v2
	v_mul_f32_e32 v1, v97, v238
	s_waitcnt lgkmcnt(0)
	v_pk_mul_f32 v[16:17], v[104:105], v[16:17] op_sel_hi:[1,0]
	v_fmac_f32_e32 v109, v97, v237
	v_mul_f32_e32 v111, v98, v240
	v_fma_f32 v108, v96, v237, -v1
	v_mul_f32_e32 v1, v99, v240
	s_waitcnt vmcnt(14)
	v_pk_fma_f32 v[18:19], v[104:105], v[100:101], v[16:17] op_sel:[0,0,1] op_sel_hi:[1,1,0] neg_lo:[0,0,1] neg_hi:[0,0,1]
	v_pk_fma_f32 v[16:17], v[104:105], v[100:101], v[16:17] op_sel:[0,0,1] op_sel_hi:[1,0,0]
	v_fmac_f32_e32 v111, v99, v239
	v_fma_f32 v110, v98, v239, -v1
	v_pk_add_f32 v[14:15], v[46:47], v[108:109]
	s_waitcnt vmcnt(7)
	v_mov_b32_e32 v16, v119
	ds_read2_b64 v[2:5], v228 offset0:113 offset1:114
	ds_read2_b64 v[6:9], v228 offset0:115 offset1:116
	;; [unrolled: 1-line block ×3, first 2 shown]
	v_pk_add_f32 v[14:15], v[14:15], v[110:111]
	v_mov_b32_e32 v19, v17
	v_pk_mul_f32 v[16:17], v[106:107], v[16:17] op_sel_hi:[1,0]
	v_pk_add_f32 v[14:15], v[14:15], v[18:19]
	s_waitcnt vmcnt(6)
	v_pk_fma_f32 v[18:19], v[106:107], v[118:119], v[16:17] op_sel:[0,0,1] op_sel_hi:[1,1,0] neg_lo:[0,0,1] neg_hi:[0,0,1]
	v_pk_fma_f32 v[16:17], v[106:107], v[118:119], v[16:17] op_sel:[0,0,1] op_sel_hi:[1,0,0]
	v_mov_b32_e32 v16, v117
	v_mov_b32_e32 v19, v17
	s_waitcnt lgkmcnt(2)
	v_pk_mul_f32 v[16:17], v[2:3], v[16:17] op_sel_hi:[1,0]
	v_pk_add_f32 v[14:15], v[14:15], v[18:19]
	v_pk_fma_f32 v[18:19], v[2:3], v[116:117], v[16:17] op_sel:[0,0,1] op_sel_hi:[1,1,0] neg_lo:[0,0,1] neg_hi:[0,0,1]
	v_pk_fma_f32 v[2:3], v[2:3], v[116:117], v[16:17] op_sel:[0,0,1] op_sel_hi:[1,0,0]
	v_mov_b32_e32 v19, v3
	v_pk_add_f32 v[2:3], v[14:15], v[18:19]
	v_mov_b32_e32 v14, v115
	v_pk_mul_f32 v[14:15], v[4:5], v[14:15] op_sel_hi:[1,0]
	v_pk_fma_f32 v[16:17], v[4:5], v[114:115], v[14:15] op_sel:[0,0,1] op_sel_hi:[1,1,0] neg_lo:[0,0,1] neg_hi:[0,0,1]
	v_pk_fma_f32 v[4:5], v[4:5], v[114:115], v[14:15] op_sel:[0,0,1] op_sel_hi:[1,0,0]
	v_mov_b32_e32 v4, v113
	v_mov_b32_e32 v17, v5
	s_waitcnt lgkmcnt(1)
	v_pk_mul_f32 v[4:5], v[6:7], v[4:5] op_sel_hi:[1,0]
	v_pk_fma_f32 v[14:15], v[6:7], v[112:113], v[4:5] op_sel:[0,0,1] op_sel_hi:[1,1,0] neg_lo:[0,0,1] neg_hi:[0,0,1]
	v_pk_fma_f32 v[4:5], v[6:7], v[112:113], v[4:5] op_sel:[0,0,1] op_sel_hi:[1,0,0]
	s_waitcnt vmcnt(1)
	v_mov_b32_e32 v4, v125
	v_mov_b32_e32 v15, v5
	v_pk_mul_f32 v[4:5], v[8:9], v[4:5] op_sel_hi:[1,0]
	s_waitcnt vmcnt(0)
	v_pk_fma_f32 v[6:7], v[8:9], v[124:125], v[4:5] op_sel:[0,0,1] op_sel_hi:[1,1,0] neg_lo:[0,0,1] neg_hi:[0,0,1]
	v_pk_fma_f32 v[4:5], v[8:9], v[124:125], v[4:5] op_sel:[0,0,1] op_sel_hi:[1,0,0]
	v_pk_add_f32 v[2:3], v[2:3], v[16:17]
	v_mov_b32_e32 v4, v123
	v_pk_add_f32 v[2:3], v[2:3], v[14:15]
	v_mov_b32_e32 v7, v5
	s_waitcnt lgkmcnt(0)
	v_pk_mul_f32 v[4:5], v[10:11], v[4:5] op_sel_hi:[1,0]
	v_pk_add_f32 v[2:3], v[2:3], v[6:7]
	v_pk_fma_f32 v[6:7], v[10:11], v[122:123], v[4:5] op_sel:[0,0,1] op_sel_hi:[1,1,0] neg_lo:[0,0,1] neg_hi:[0,0,1]
	v_pk_fma_f32 v[4:5], v[10:11], v[122:123], v[4:5] op_sel:[0,0,1] op_sel_hi:[1,0,0]
	v_mov_b32_e32 v4, v121
	v_mov_b32_e32 v7, v5
	v_pk_mul_f32 v[4:5], v[12:13], v[4:5] op_sel_hi:[1,0]
	v_pk_add_f32 v[2:3], v[2:3], v[6:7]
	v_pk_fma_f32 v[6:7], v[12:13], v[120:121], v[4:5] op_sel:[0,0,1] op_sel_hi:[1,1,0] neg_lo:[0,0,1] neg_hi:[0,0,1]
	v_pk_fma_f32 v[4:5], v[12:13], v[120:121], v[4:5] op_sel:[0,0,1] op_sel_hi:[1,0,0]
	v_mov_b32_e32 v7, v5
	v_pk_add_f32 v[2:3], v[2:3], v[6:7]
	v_pk_add_f32 v[2:3], v[34:35], v[2:3] neg_lo:[0,1] neg_hi:[0,1]
	buffer_store_dword v3, off, s[0:3], 0 offset:68
	buffer_store_dword v2, off, s[0:3], 0 offset:64
	s_and_saveexec_b64 s[4:5], vcc
	s_cbranch_execz .LBB58_353
; %bb.352:
	buffer_load_dword v2, off, s[0:3], 0 offset:56
	buffer_load_dword v3, off, s[0:3], 0 offset:60
	v_mov_b32_e32 v1, 0
	buffer_store_dword v1, off, s[0:3], 0 offset:56
	buffer_store_dword v1, off, s[0:3], 0 offset:60
	s_waitcnt vmcnt(2)
	ds_write_b64 v187, v[2:3]
.LBB58_353:
	s_or_b64 exec, exec, s[4:5]
	s_waitcnt lgkmcnt(0)
	; wave barrier
	s_waitcnt lgkmcnt(0)
	buffer_load_dword v45, off, s[0:3], 0 offset:68
	buffer_load_dword v44, off, s[0:3], 0 offset:76
	;; [unrolled: 1-line block ×32, first 2 shown]
	v_mov_b32_e32 v1, 0
	buffer_load_dword v143, off, s[0:3], 0 offset:184
	buffer_load_dword v144, off, s[0:3], 0 offset:188
	;; [unrolled: 1-line block ×16, first 2 shown]
	ds_read_b128 v[22:25], v1 offset:544
	ds_read_b128 v[18:21], v1 offset:560
	;; [unrolled: 1-line block ×6, first 2 shown]
	buffer_load_dword v159, off, s[0:3], 0 offset:248
	buffer_load_dword v160, off, s[0:3], 0 offset:252
	v_cmp_lt_u32_e32 vcc, 6, v0
	s_waitcnt vmcnt(49) lgkmcnt(5)
	v_mul_f32_e32 v26, v22, v45
	s_waitcnt vmcnt(48)
	v_mul_f32_e32 v27, v24, v44
	s_waitcnt vmcnt(47) lgkmcnt(4)
	v_mul_f32_e32 v29, v20, v43
	s_waitcnt vmcnt(46) lgkmcnt(3)
	v_mul_f32_e32 v30, v14, v42
	s_waitcnt vmcnt(45)
	v_mul_f32_e32 v31, v16, v41
	s_waitcnt vmcnt(44) lgkmcnt(2)
	v_mul_f32_e32 v32, v10, v40
	s_waitcnt vmcnt(43)
	v_mul_f32_e32 v28, v18, v46
	s_waitcnt vmcnt(42)
	v_mul_f32_e32 v33, v12, v47
	s_waitcnt vmcnt(41) lgkmcnt(1)
	v_mul_f32_e32 v34, v6, v48
	s_waitcnt vmcnt(40)
	v_mul_f32_e32 v35, v8, v49
	s_waitcnt vmcnt(39) lgkmcnt(0)
	v_mul_f32_e32 v36, v2, v50
	s_waitcnt vmcnt(38)
	v_mul_f32_e32 v37, v4, v51
	s_waitcnt vmcnt(37)
	v_fmac_f32_e32 v28, v19, v57
	s_waitcnt vmcnt(36)
	v_fmac_f32_e32 v27, v25, v60
	;; [unrolled: 2-line block ×3, first 2 shown]
	v_add_f32_e32 v26, 0, v26
	v_add_f32_e32 v26, v26, v27
	;; [unrolled: 1-line block ×3, first 2 shown]
	s_waitcnt vmcnt(31)
	v_fmac_f32_e32 v29, v21, v62
	v_fmac_f32_e32 v30, v15, v59
	v_add_f32_e32 v26, v26, v29
	v_fmac_f32_e32 v31, v17, v56
	v_add_f32_e32 v26, v26, v30
	;; [unrolled: 2-line block ×3, first 2 shown]
	s_waitcnt vmcnt(27)
	v_fmac_f32_e32 v33, v13, v58
	v_add_f32_e32 v26, v26, v32
	v_fmac_f32_e32 v34, v7, v55
	v_add_f32_e32 v26, v26, v33
	;; [unrolled: 2-line block ×4, first 2 shown]
	s_waitcnt vmcnt(22)
	v_fmac_f32_e32 v37, v5, v140
	v_add_f32_e32 v26, v26, v36
	v_add_f32_e32 v34, v26, v37
	ds_read_b128 v[26:29], v1 offset:640
	buffer_load_dword v161, off, s[0:3], 0 offset:256
	buffer_load_dword v162, off, s[0:3], 0 offset:260
	ds_read_b128 v[30:33], v1 offset:656
	buffer_load_dword v163, off, s[0:3], 0 offset:264
	buffer_load_dword v164, off, s[0:3], 0 offset:268
	;; [unrolled: 1-line block ×14, first 2 shown]
	s_waitcnt vmcnt(37) lgkmcnt(1)
	v_mul_f32_e32 v35, v26, v141
	v_fmac_f32_e32 v35, v27, v139
	v_add_f32_e32 v34, v34, v35
	s_waitcnt vmcnt(36)
	v_mul_f32_e32 v35, v28, v142
	v_fmac_f32_e32 v35, v29, v138
	v_add_f32_e32 v34, v34, v35
	s_waitcnt lgkmcnt(0)
	v_mul_f32_e32 v35, v30, v120
	v_fmac_f32_e32 v35, v31, v61
	v_add_f32_e32 v63, v34, v35
	buffer_load_dword v221, off, s[0:3], 0 offset:320
	buffer_load_dword v222, off, s[0:3], 0 offset:324
	ds_read_b128 v[34:37], v1 offset:672
	s_waitcnt vmcnt(34)
	v_mul_f32_e32 v64, v32, v144
	v_fmac_f32_e32 v64, v33, v143
	buffer_load_dword v223, off, s[0:3], 0 offset:328
	buffer_load_dword v224, off, s[0:3], 0 offset:332
	v_add_f32_e32 v63, v63, v64
	buffer_load_dword v225, off, s[0:3], 0 offset:336
	buffer_load_dword v226, off, s[0:3], 0 offset:340
	ds_read_b128 v[64:67], v1 offset:688
	s_waitcnt vmcnt(36) lgkmcnt(1)
	v_mul_f32_e32 v68, v34, v146
	v_fmac_f32_e32 v68, v35, v145
	v_add_f32_e32 v63, v63, v68
	s_waitcnt vmcnt(34)
	v_mul_f32_e32 v68, v36, v148
	v_fmac_f32_e32 v68, v37, v147
	v_add_f32_e32 v63, v63, v68
	s_waitcnt vmcnt(32) lgkmcnt(0)
	v_mul_f32_e32 v68, v64, v150
	v_fmac_f32_e32 v68, v65, v149
	buffer_load_dword v227, off, s[0:3], 0 offset:344
	buffer_load_dword v228, off, s[0:3], 0 offset:348
	;; [unrolled: 1-line block ×10, first 2 shown]
	v_add_f32_e32 v63, v63, v68
	buffer_load_dword v237, off, s[0:3], 0 offset:384
	buffer_load_dword v238, off, s[0:3], 0 offset:388
	buffer_load_dword v239, off, s[0:3], 0 offset:392
	buffer_load_dword v240, off, s[0:3], 0 offset:396
	buffer_load_dword v241, off, s[0:3], 0 offset:400
	buffer_load_dword v242, off, s[0:3], 0 offset:404
	ds_read_b128 v[68:71], v1 offset:704
	s_waitcnt vmcnt(46)
	v_mul_f32_e32 v72, v66, v152
	v_fmac_f32_e32 v72, v67, v151
	v_add_f32_e32 v63, v63, v72
	ds_read_b128 v[72:75], v1 offset:720
	s_waitcnt vmcnt(44) lgkmcnt(1)
	v_mul_f32_e32 v76, v68, v154
	v_fmac_f32_e32 v76, v69, v153
	v_add_f32_e32 v63, v63, v76
	s_waitcnt vmcnt(42)
	v_mul_f32_e32 v76, v70, v156
	v_fmac_f32_e32 v76, v71, v155
	v_add_f32_e32 v63, v63, v76
	s_waitcnt vmcnt(40) lgkmcnt(0)
	v_mul_f32_e32 v76, v72, v158
	v_fmac_f32_e32 v76, v73, v157
	v_add_f32_e32 v63, v63, v76
	ds_read_b128 v[76:79], v1 offset:736
	s_waitcnt vmcnt(38)
	v_mul_f32_e32 v80, v74, v160
	v_fmac_f32_e32 v80, v75, v159
	v_add_f32_e32 v63, v63, v80
	ds_read_b128 v[80:83], v1 offset:752
	ds_read_b128 v[104:107], v1 offset:832
	;; [unrolled: 1-line block ×5, first 2 shown]
	v_mul_f32_e32 v23, v23, v45
	v_fma_f32 v22, v22, v100, -v23
	v_mul_f32_e32 v23, v25, v44
	v_add_f32_e32 v22, 0, v22
	v_fma_f32 v23, v24, v60, -v23
	v_mul_f32_e32 v19, v19, v46
	v_add_f32_e32 v22, v22, v23
	;; [unrolled: 3-line block ×5, first 2 shown]
	s_waitcnt vmcnt(36) lgkmcnt(5)
	v_mul_f32_e32 v84, v76, v162
	v_fmac_f32_e32 v84, v77, v161
	v_add_f32_e32 v63, v63, v84
	s_waitcnt vmcnt(34)
	v_mul_f32_e32 v84, v78, v164
	v_fmac_f32_e32 v84, v79, v163
	v_add_f32_e32 v63, v63, v84
	s_waitcnt vmcnt(32) lgkmcnt(4)
	v_mul_f32_e32 v84, v80, v166
	v_fmac_f32_e32 v84, v81, v165
	v_add_f32_e32 v63, v63, v84
	ds_read_b128 v[84:87], v1 offset:768
	s_waitcnt vmcnt(30)
	v_mul_f32_e32 v88, v82, v168
	v_fmac_f32_e32 v88, v83, v167
	v_add_f32_e32 v63, v63, v88
	ds_read_b128 v[88:91], v1 offset:784
	s_waitcnt vmcnt(28) lgkmcnt(1)
	v_mul_f32_e32 v92, v84, v170
	v_fmac_f32_e32 v92, v85, v169
	v_add_f32_e32 v63, v63, v92
	s_waitcnt vmcnt(26)
	v_mul_f32_e32 v92, v86, v172
	v_fmac_f32_e32 v92, v87, v171
	v_add_f32_e32 v63, v63, v92
	s_waitcnt vmcnt(24) lgkmcnt(0)
	v_mul_f32_e32 v92, v88, v174
	v_fmac_f32_e32 v92, v89, v173
	s_waitcnt vmcnt(22)
	v_mul_f32_e32 v96, v90, v220
	v_add_f32_e32 v63, v63, v92
	v_fmac_f32_e32 v96, v91, v175
	ds_read_b128 v[92:95], v1 offset:800
	v_add_f32_e32 v63, v63, v96
	ds_read_b128 v[96:99], v1 offset:816
	buffer_load_dword v123, off, s[0:3], 0 offset:436
	buffer_load_dword v122, off, s[0:3], 0 offset:432
	;; [unrolled: 1-line block ×16, first 2 shown]
	v_fma_f32 v15, v16, v56, -v15
	v_mul_f32_e32 v11, v11, v40
	v_add_f32_e32 v14, v14, v15
	v_fma_f32 v10, v10, v54, -v11
	v_mul_f32_e32 v11, v13, v47
	v_add_f32_e32 v10, v14, v10
	;; [unrolled: 3-line block ×6, first 2 shown]
	v_fma_f32 v3, v4, v140, -v3
	v_add_f32_e32 v2, v2, v3
	v_mul_f32_e32 v3, v27, v141
	v_fma_f32 v3, v26, v139, -v3
	v_add_f32_e32 v2, v2, v3
	v_mul_f32_e32 v3, v29, v142
	v_fma_f32 v3, v28, v138, -v3
	v_add_f32_e32 v2, v2, v3
	v_mul_f32_e32 v3, v31, v120
	v_fma_f32 v3, v30, v61, -v3
	v_add_f32_e32 v2, v2, v3
	v_mul_f32_e32 v3, v33, v144
	v_fma_f32 v3, v32, v143, -v3
	v_add_f32_e32 v2, v2, v3
	v_mul_f32_e32 v3, v35, v146
	v_fma_f32 v3, v34, v145, -v3
	v_add_f32_e32 v2, v2, v3
	v_mul_f32_e32 v3, v37, v148
	v_fma_f32 v3, v36, v147, -v3
	v_add_f32_e32 v2, v2, v3
	v_mul_f32_e32 v3, v65, v150
	v_fma_f32 v3, v64, v149, -v3
	v_add_f32_e32 v2, v2, v3
	v_mul_f32_e32 v3, v67, v152
	v_fma_f32 v3, v66, v151, -v3
	v_add_f32_e32 v2, v2, v3
	v_mul_f32_e32 v3, v69, v154
	v_fma_f32 v3, v68, v153, -v3
	v_add_f32_e32 v2, v2, v3
	v_mul_f32_e32 v3, v71, v156
	v_fma_f32 v3, v70, v155, -v3
	v_add_f32_e32 v2, v2, v3
	v_mul_f32_e32 v3, v73, v158
	v_fma_f32 v3, v72, v157, -v3
	v_add_f32_e32 v2, v2, v3
	v_mul_f32_e32 v3, v75, v160
	v_fma_f32 v3, v74, v159, -v3
	v_add_f32_e32 v2, v2, v3
	v_mul_f32_e32 v3, v77, v162
	v_fma_f32 v3, v76, v161, -v3
	v_add_f32_e32 v2, v2, v3
	v_mul_f32_e32 v3, v79, v164
	v_fma_f32 v3, v78, v163, -v3
	v_add_f32_e32 v2, v2, v3
	v_mul_f32_e32 v3, v81, v166
	v_fma_f32 v3, v80, v165, -v3
	v_add_f32_e32 v2, v2, v3
	v_mul_f32_e32 v3, v83, v168
	v_fma_f32 v3, v82, v167, -v3
	v_add_f32_e32 v2, v2, v3
	v_mul_f32_e32 v3, v85, v170
	v_fma_f32 v3, v84, v169, -v3
	v_add_f32_e32 v2, v2, v3
	v_mul_f32_e32 v3, v87, v172
	v_fma_f32 v3, v86, v171, -v3
	v_add_f32_e32 v2, v2, v3
	v_mul_f32_e32 v3, v89, v174
	v_fma_f32 v3, v88, v173, -v3
	v_add_f32_e32 v2, v2, v3
	v_mul_f32_e32 v3, v91, v220
	v_fma_f32 v3, v90, v175, -v3
	v_add_f32_e32 v2, v2, v3
	s_waitcnt vmcnt(36) lgkmcnt(1)
	v_mul_f32_e32 v3, v93, v222
	v_mul_f32_e32 v101, v92, v222
	v_fma_f32 v3, v92, v221, -v3
	v_fmac_f32_e32 v101, v93, v221
	v_add_f32_e32 v2, v2, v3
	s_waitcnt vmcnt(34)
	v_mul_f32_e32 v3, v95, v224
	v_add_f32_e32 v63, v63, v101
	v_mul_f32_e32 v101, v94, v224
	v_fma_f32 v3, v94, v223, -v3
	v_fmac_f32_e32 v101, v95, v223
	v_add_f32_e32 v2, v2, v3
	s_waitcnt vmcnt(32) lgkmcnt(0)
	v_mul_f32_e32 v3, v97, v226
	v_add_f32_e32 v63, v63, v101
	v_mul_f32_e32 v101, v96, v226
	v_fma_f32 v3, v96, v225, -v3
	v_fmac_f32_e32 v101, v97, v225
	v_add_f32_e32 v2, v2, v3
	s_waitcnt vmcnt(30)
	v_mul_f32_e32 v3, v99, v228
	v_add_f32_e32 v63, v63, v101
	v_mul_f32_e32 v101, v98, v228
	v_fma_f32 v3, v98, v227, -v3
	v_fmac_f32_e32 v101, v99, v227
	v_add_f32_e32 v2, v2, v3
	s_waitcnt vmcnt(28)
	;; [unrolled: 7-line block ×7, first 2 shown]
	v_mul_f32_e32 v2, v115, v240
	s_waitcnt vmcnt(9)
	v_mov_b32_e32 v18, v129
	v_add_f32_e32 v63, v63, v101
	v_mul_f32_e32 v101, v114, v240
	v_fma_f32 v100, v114, v239, -v2
	v_mul_f32_e32 v2, v117, v242
	v_pk_mul_f32 v[18:19], v[118:119], v[18:19] op_sel_hi:[1,0]
	v_fmac_f32_e32 v101, v115, v239
	v_mul_f32_e32 v121, v116, v242
	v_fma_f32 v120, v116, v241, -v2
	ds_read_b128 v[2:5], v1 offset:896
	ds_read_b128 v[6:9], v1 offset:912
	;; [unrolled: 1-line block ×3, first 2 shown]
	ds_read_b64 v[14:15], v1 offset:944
	s_waitcnt vmcnt(8)
	v_pk_fma_f32 v[20:21], v[118:119], v[128:129], v[18:19] op_sel:[0,0,1] op_sel_hi:[1,1,0] neg_lo:[0,0,1] neg_hi:[0,0,1]
	v_pk_fma_f32 v[18:19], v[118:119], v[128:129], v[18:19] op_sel:[0,0,1] op_sel_hi:[1,0,0]
	v_fmac_f32_e32 v121, v117, v241
	v_pk_add_f32 v[16:17], v[62:63], v[100:101]
	v_mov_b32_e32 v18, v127
	v_pk_add_f32 v[16:17], v[16:17], v[120:121]
	v_mov_b32_e32 v21, v19
	s_waitcnt lgkmcnt(3)
	v_pk_mul_f32 v[18:19], v[2:3], v[18:19] op_sel_hi:[1,0]
	v_pk_add_f32 v[16:17], v[16:17], v[20:21]
	v_pk_fma_f32 v[20:21], v[2:3], v[126:127], v[18:19] op_sel:[0,0,1] op_sel_hi:[1,1,0] neg_lo:[0,0,1] neg_hi:[0,0,1]
	v_pk_fma_f32 v[2:3], v[2:3], v[126:127], v[18:19] op_sel:[0,0,1] op_sel_hi:[1,0,0]
	v_mov_b32_e32 v21, v3
	v_pk_add_f32 v[2:3], v[16:17], v[20:21]
	v_mov_b32_e32 v16, v125
	v_pk_mul_f32 v[16:17], v[4:5], v[16:17] op_sel_hi:[1,0]
	v_pk_fma_f32 v[18:19], v[4:5], v[124:125], v[16:17] op_sel:[0,0,1] op_sel_hi:[1,1,0] neg_lo:[0,0,1] neg_hi:[0,0,1]
	v_pk_fma_f32 v[4:5], v[4:5], v[124:125], v[16:17] op_sel:[0,0,1] op_sel_hi:[1,0,0]
	v_mov_b32_e32 v4, v123
	v_mov_b32_e32 v19, v5
	s_waitcnt lgkmcnt(2)
	v_pk_mul_f32 v[4:5], v[6:7], v[4:5] op_sel_hi:[1,0]
	v_pk_fma_f32 v[16:17], v[6:7], v[122:123], v[4:5] op_sel:[0,0,1] op_sel_hi:[1,1,0] neg_lo:[0,0,1] neg_hi:[0,0,1]
	v_pk_fma_f32 v[4:5], v[6:7], v[122:123], v[4:5] op_sel:[0,0,1] op_sel_hi:[1,0,0]
	s_waitcnt vmcnt(1)
	v_mov_b32_e32 v4, v137
	v_mov_b32_e32 v17, v5
	v_pk_mul_f32 v[4:5], v[8:9], v[4:5] op_sel_hi:[1,0]
	s_waitcnt vmcnt(0)
	v_pk_fma_f32 v[6:7], v[8:9], v[136:137], v[4:5] op_sel:[0,0,1] op_sel_hi:[1,1,0] neg_lo:[0,0,1] neg_hi:[0,0,1]
	v_pk_fma_f32 v[4:5], v[8:9], v[136:137], v[4:5] op_sel:[0,0,1] op_sel_hi:[1,0,0]
	v_pk_add_f32 v[2:3], v[2:3], v[18:19]
	v_mov_b32_e32 v4, v135
	v_pk_add_f32 v[2:3], v[2:3], v[16:17]
	v_mov_b32_e32 v7, v5
	s_waitcnt lgkmcnt(1)
	v_pk_mul_f32 v[4:5], v[10:11], v[4:5] op_sel_hi:[1,0]
	v_pk_add_f32 v[2:3], v[2:3], v[6:7]
	v_pk_fma_f32 v[6:7], v[10:11], v[134:135], v[4:5] op_sel:[0,0,1] op_sel_hi:[1,1,0] neg_lo:[0,0,1] neg_hi:[0,0,1]
	v_pk_fma_f32 v[4:5], v[10:11], v[134:135], v[4:5] op_sel:[0,0,1] op_sel_hi:[1,0,0]
	v_mov_b32_e32 v4, v133
	v_mov_b32_e32 v7, v5
	v_pk_mul_f32 v[4:5], v[12:13], v[4:5] op_sel_hi:[1,0]
	v_pk_add_f32 v[2:3], v[2:3], v[6:7]
	v_pk_fma_f32 v[6:7], v[12:13], v[132:133], v[4:5] op_sel:[0,0,1] op_sel_hi:[1,1,0] neg_lo:[0,0,1] neg_hi:[0,0,1]
	v_pk_fma_f32 v[4:5], v[12:13], v[132:133], v[4:5] op_sel:[0,0,1] op_sel_hi:[1,0,0]
	v_mov_b32_e32 v4, v131
	v_mov_b32_e32 v7, v5
	s_waitcnt lgkmcnt(0)
	v_pk_mul_f32 v[4:5], v[14:15], v[4:5] op_sel_hi:[1,0]
	v_pk_add_f32 v[2:3], v[2:3], v[6:7]
	v_pk_fma_f32 v[6:7], v[14:15], v[130:131], v[4:5] op_sel:[0,0,1] op_sel_hi:[1,1,0] neg_lo:[0,0,1] neg_hi:[0,0,1]
	v_pk_fma_f32 v[4:5], v[14:15], v[130:131], v[4:5] op_sel:[0,0,1] op_sel_hi:[1,0,0]
	v_mov_b32_e32 v7, v5
	v_pk_add_f32 v[2:3], v[2:3], v[6:7]
	v_pk_add_f32 v[2:3], v[38:39], v[2:3] neg_lo:[0,1] neg_hi:[0,1]
	buffer_store_dword v3, off, s[0:3], 0 offset:60
	buffer_store_dword v2, off, s[0:3], 0 offset:56
	s_and_saveexec_b64 s[4:5], vcc
	s_cbranch_execz .LBB58_355
; %bb.354:
	buffer_load_dword v2, off, s[0:3], 0 offset:48
	buffer_load_dword v3, off, s[0:3], 0 offset:52
	s_waitcnt vmcnt(0)
	ds_write_b64 v187, v[2:3]
	buffer_store_dword v1, off, s[0:3], 0 offset:48
	buffer_store_dword v1, off, s[0:3], 0 offset:52
.LBB58_355:
	s_or_b64 exec, exec, s[4:5]
	s_waitcnt lgkmcnt(0)
	; wave barrier
	s_waitcnt lgkmcnt(0)
	buffer_load_dword v49, off, s[0:3], 0 offset:60
	buffer_load_dword v48, off, s[0:3], 0 offset:68
	;; [unrolled: 1-line block ×32, first 2 shown]
	ds_read2_b64 v[26:29], v1 offset0:67 offset1:68
	ds_read2_b64 v[22:25], v1 offset0:69 offset1:70
	;; [unrolled: 1-line block ×4, first 2 shown]
	buffer_load_dword v143, off, s[0:3], 0 offset:176
	buffer_load_dword v144, off, s[0:3], 0 offset:180
	ds_read2_b64 v[14:17], v1 offset0:75 offset1:76
	ds_read2_b64 v[6:9], v1 offset0:77 offset1:78
	;; [unrolled: 1-line block ×3, first 2 shown]
	buffer_load_dword v145, off, s[0:3], 0 offset:184
	buffer_load_dword v146, off, s[0:3], 0 offset:188
	;; [unrolled: 1-line block ×16, first 2 shown]
	v_cmp_lt_u32_e32 vcc, 5, v0
	s_waitcnt vmcnt(49) lgkmcnt(6)
	v_mul_f32_e32 v30, v26, v49
	s_waitcnt vmcnt(48)
	v_mul_f32_e32 v31, v28, v48
	s_waitcnt vmcnt(47) lgkmcnt(5)
	v_mul_f32_e32 v33, v24, v47
	s_waitcnt vmcnt(46) lgkmcnt(4)
	v_mul_f32_e32 v34, v18, v46
	s_waitcnt vmcnt(45)
	v_mul_f32_e32 v35, v20, v44
	s_waitcnt vmcnt(44)
	v_mul_f32_e32 v32, v22, v50
	s_waitcnt vmcnt(43) lgkmcnt(3)
	v_mul_f32_e32 v36, v10, v45
	s_waitcnt vmcnt(42)
	v_mul_f32_e32 v37, v12, v51
	s_waitcnt vmcnt(41) lgkmcnt(2)
	;; [unrolled: 4-line block ×3, first 2 shown]
	v_mul_f32_e32 v40, v6, v54
	s_waitcnt vmcnt(38)
	v_mul_f32_e32 v41, v8, v55
	s_waitcnt vmcnt(37)
	v_fmac_f32_e32 v32, v23, v61
	s_waitcnt vmcnt(36)
	v_fmac_f32_e32 v31, v29, v64
	;; [unrolled: 2-line block ×3, first 2 shown]
	v_add_f32_e32 v30, 0, v30
	v_add_f32_e32 v30, v30, v31
	;; [unrolled: 1-line block ×3, first 2 shown]
	s_waitcnt vmcnt(31)
	v_fmac_f32_e32 v33, v25, v65
	v_fmac_f32_e32 v34, v19, v63
	v_add_f32_e32 v30, v30, v33
	v_fmac_f32_e32 v35, v21, v60
	v_add_f32_e32 v30, v30, v34
	;; [unrolled: 2-line block ×3, first 2 shown]
	s_waitcnt vmcnt(27)
	v_fmac_f32_e32 v37, v13, v62
	v_add_f32_e32 v30, v30, v36
	v_fmac_f32_e32 v38, v15, v59
	v_add_f32_e32 v30, v30, v37
	;; [unrolled: 2-line block ×4, first 2 shown]
	s_waitcnt vmcnt(23)
	v_fmac_f32_e32 v41, v9, v139
	v_add_f32_e32 v30, v30, v40
	v_add_f32_e32 v34, v30, v41
	ds_read2_b64 v[30:33], v1 offset0:81 offset1:82
	buffer_load_dword v161, off, s[0:3], 0 offset:248
	buffer_load_dword v162, off, s[0:3], 0 offset:252
	;; [unrolled: 1-line block ×16, first 2 shown]
	s_waitcnt vmcnt(38) lgkmcnt(1)
	v_mul_f32_e32 v35, v2, v140
	v_fmac_f32_e32 v35, v3, v138
	v_add_f32_e32 v34, v34, v35
	s_waitcnt vmcnt(37)
	v_mul_f32_e32 v35, v4, v141
	v_fmac_f32_e32 v35, v5, v126
	v_add_f32_e32 v34, v34, v35
	s_waitcnt vmcnt(36) lgkmcnt(0)
	v_mul_f32_e32 v35, v30, v142
	v_fmac_f32_e32 v35, v31, v66
	v_add_f32_e32 v34, v34, v35
	s_waitcnt vmcnt(32)
	v_mul_f32_e32 v35, v32, v144
	v_fmac_f32_e32 v35, v33, v143
	v_add_f32_e32 v67, v34, v35
	ds_read2_b64 v[34:37], v1 offset0:83 offset1:84
	buffer_load_dword v221, off, s[0:3], 0 offset:312
	buffer_load_dword v222, off, s[0:3], 0 offset:316
	ds_read2_b64 v[38:41], v1 offset0:85 offset1:86
	buffer_load_dword v223, off, s[0:3], 0 offset:320
	buffer_load_dword v224, off, s[0:3], 0 offset:324
	buffer_load_dword v225, off, s[0:3], 0 offset:328
	buffer_load_dword v226, off, s[0:3], 0 offset:332
	s_waitcnt vmcnt(36) lgkmcnt(1)
	v_mul_f32_e32 v68, v34, v146
	v_fmac_f32_e32 v68, v35, v145
	v_add_f32_e32 v67, v67, v68
	s_waitcnt vmcnt(34)
	v_mul_f32_e32 v68, v36, v148
	v_fmac_f32_e32 v68, v37, v147
	v_add_f32_e32 v67, v67, v68
	s_waitcnt vmcnt(32) lgkmcnt(0)
	v_mul_f32_e32 v68, v38, v150
	v_fmac_f32_e32 v68, v39, v149
	buffer_load_dword v227, off, s[0:3], 0 offset:336
	buffer_load_dword v228, off, s[0:3], 0 offset:340
	;; [unrolled: 1-line block ×8, first 2 shown]
	v_add_f32_e32 v67, v67, v68
	buffer_load_dword v235, off, s[0:3], 0 offset:368
	buffer_load_dword v236, off, s[0:3], 0 offset:372
	;; [unrolled: 1-line block ×4, first 2 shown]
	ds_read2_b64 v[68:71], v1 offset0:87 offset1:88
	s_waitcnt vmcnt(42)
	v_mul_f32_e32 v72, v40, v152
	v_fmac_f32_e32 v72, v41, v151
	buffer_load_dword v239, off, s[0:3], 0 offset:384
	buffer_load_dword v240, off, s[0:3], 0 offset:388
	v_add_f32_e32 v67, v67, v72
	buffer_load_dword v241, off, s[0:3], 0 offset:392
	buffer_load_dword v242, off, s[0:3], 0 offset:396
	ds_read2_b64 v[72:75], v1 offset0:89 offset1:90
	s_waitcnt vmcnt(44) lgkmcnt(1)
	v_mul_f32_e32 v76, v68, v154
	v_fmac_f32_e32 v76, v69, v153
	v_add_f32_e32 v67, v67, v76
	s_waitcnt vmcnt(42)
	v_mul_f32_e32 v76, v70, v156
	v_fmac_f32_e32 v76, v71, v155
	v_add_f32_e32 v67, v67, v76
	s_waitcnt vmcnt(40) lgkmcnt(0)
	v_mul_f32_e32 v76, v72, v158
	v_fmac_f32_e32 v76, v73, v157
	buffer_load_dword v243, off, s[0:3], 0 offset:400
	buffer_load_dword v244, off, s[0:3], 0 offset:404
	v_add_f32_e32 v67, v67, v76
	ds_read2_b64 v[76:79], v1 offset0:91 offset1:92
	s_waitcnt vmcnt(40)
	v_mul_f32_e32 v80, v74, v160
	v_fmac_f32_e32 v80, v75, v159
	v_add_f32_e32 v67, v67, v80
	ds_read2_b64 v[80:83], v1 offset0:93 offset1:94
	ds_read2_b64 v[104:107], v1 offset0:103 offset1:104
	;; [unrolled: 1-line block ×5, first 2 shown]
	v_mul_f32_e32 v27, v27, v49
	v_fma_f32 v26, v26, v100, -v27
	v_mul_f32_e32 v27, v29, v48
	v_add_f32_e32 v26, 0, v26
	v_fma_f32 v27, v28, v64, -v27
	v_mul_f32_e32 v23, v23, v50
	v_add_f32_e32 v26, v26, v27
	;; [unrolled: 3-line block ×4, first 2 shown]
	v_fma_f32 v18, v18, v63, -v19
	s_waitcnt vmcnt(38) lgkmcnt(5)
	v_mul_f32_e32 v84, v76, v162
	v_fmac_f32_e32 v84, v77, v161
	v_add_f32_e32 v67, v67, v84
	s_waitcnt vmcnt(36)
	v_mul_f32_e32 v84, v78, v164
	v_fmac_f32_e32 v84, v79, v163
	v_add_f32_e32 v67, v67, v84
	s_waitcnt vmcnt(34) lgkmcnt(4)
	v_mul_f32_e32 v84, v80, v166
	v_fmac_f32_e32 v84, v81, v165
	v_add_f32_e32 v67, v67, v84
	ds_read2_b64 v[84:87], v1 offset0:95 offset1:96
	s_waitcnt vmcnt(32)
	v_mul_f32_e32 v88, v82, v168
	v_fmac_f32_e32 v88, v83, v167
	v_add_f32_e32 v67, v67, v88
	ds_read2_b64 v[88:91], v1 offset0:97 offset1:98
	s_waitcnt vmcnt(30) lgkmcnt(1)
	v_mul_f32_e32 v92, v84, v170
	v_fmac_f32_e32 v92, v85, v169
	v_add_f32_e32 v67, v67, v92
	s_waitcnt vmcnt(28)
	v_mul_f32_e32 v92, v86, v172
	v_fmac_f32_e32 v92, v87, v171
	v_add_f32_e32 v67, v67, v92
	s_waitcnt vmcnt(26) lgkmcnt(0)
	v_mul_f32_e32 v92, v88, v174
	v_fmac_f32_e32 v92, v89, v173
	s_waitcnt vmcnt(24)
	v_mul_f32_e32 v96, v90, v220
	v_add_f32_e32 v67, v67, v92
	v_fmac_f32_e32 v96, v91, v175
	ds_read2_b64 v[92:95], v1 offset0:99 offset1:100
	v_add_f32_e32 v67, v67, v96
	ds_read2_b64 v[96:99], v1 offset0:101 offset1:102
	buffer_load_dword v121, off, s[0:3], 0 offset:428
	buffer_load_dword v120, off, s[0:3], 0 offset:424
	;; [unrolled: 1-line block ×6, first 2 shown]
	v_mul_f32_e32 v19, v21, v44
	v_add_f32_e32 v18, v22, v18
	v_fma_f32 v19, v20, v60, -v19
	v_mul_f32_e32 v11, v11, v45
	v_add_f32_e32 v18, v18, v19
	v_fma_f32 v10, v10, v58, -v11
	v_mul_f32_e32 v11, v13, v51
	v_add_f32_e32 v10, v18, v10
	v_fma_f32 v11, v12, v62, -v11
	buffer_load_dword v129, off, s[0:3], 0 offset:460
	buffer_load_dword v128, off, s[0:3], 0 offset:456
	;; [unrolled: 1-line block ×10, first 2 shown]
	v_add_f32_e32 v10, v10, v11
	v_mul_f32_e32 v11, v15, v52
	v_fma_f32 v11, v14, v59, -v11
	v_add_f32_e32 v10, v10, v11
	v_mul_f32_e32 v11, v17, v53
	v_fma_f32 v11, v16, v57, -v11
	v_mul_f32_e32 v7, v7, v54
	v_add_f32_e32 v10, v10, v11
	v_fma_f32 v6, v6, v56, -v7
	v_mul_f32_e32 v7, v9, v55
	v_add_f32_e32 v6, v10, v6
	;; [unrolled: 3-line block ×4, first 2 shown]
	v_fma_f32 v3, v4, v126, -v3
	v_add_f32_e32 v2, v2, v3
	v_mul_f32_e32 v3, v31, v142
	v_fma_f32 v3, v30, v66, -v3
	v_add_f32_e32 v2, v2, v3
	v_mul_f32_e32 v3, v33, v144
	;; [unrolled: 3-line block ×18, first 2 shown]
	v_fma_f32 v3, v90, v175, -v3
	v_add_f32_e32 v2, v2, v3
	s_waitcnt vmcnt(38) lgkmcnt(1)
	v_mul_f32_e32 v3, v93, v222
	v_fma_f32 v3, v92, v221, -v3
	v_add_f32_e32 v2, v2, v3
	s_waitcnt vmcnt(36)
	v_mul_f32_e32 v3, v95, v224
	v_mul_f32_e32 v101, v92, v222
	v_fma_f32 v3, v94, v223, -v3
	v_fmac_f32_e32 v101, v93, v221
	v_add_f32_e32 v2, v2, v3
	s_waitcnt vmcnt(34) lgkmcnt(0)
	v_mul_f32_e32 v3, v97, v226
	v_add_f32_e32 v67, v67, v101
	v_mul_f32_e32 v101, v94, v224
	v_fma_f32 v3, v96, v225, -v3
	v_fmac_f32_e32 v101, v95, v223
	v_add_f32_e32 v2, v2, v3
	s_waitcnt vmcnt(32)
	v_mul_f32_e32 v3, v99, v228
	v_add_f32_e32 v67, v67, v101
	v_mul_f32_e32 v101, v96, v226
	v_fma_f32 v3, v98, v227, -v3
	v_fmac_f32_e32 v101, v97, v225
	v_add_f32_e32 v2, v2, v3
	s_waitcnt vmcnt(30)
	;; [unrolled: 7-line block ×8, first 2 shown]
	v_mul_f32_e32 v2, v117, v242
	v_add_f32_e32 v67, v67, v101
	v_mul_f32_e32 v101, v114, v240
	v_fma_f32 v100, v116, v241, -v2
	s_waitcnt vmcnt(16)
	v_mul_f32_e32 v2, v119, v244
	v_fmac_f32_e32 v101, v115, v239
	v_fma_f32 v126, v118, v243, -v2
	ds_read2_b64 v[2:5], v1 offset0:111 offset1:112
	ds_read2_b64 v[6:9], v1 offset0:113 offset1:114
	;; [unrolled: 1-line block ×4, first 2 shown]
	v_add_f32_e32 v67, v67, v101
	v_mul_f32_e32 v101, v116, v242
	s_waitcnt vmcnt(11)
	v_mov_b32_e32 v20, v125
	v_fmac_f32_e32 v101, v117, v241
	v_mul_f32_e32 v127, v118, v244
	s_waitcnt lgkmcnt(3)
	v_pk_mul_f32 v[20:21], v[2:3], v[20:21] op_sel_hi:[1,0]
	v_fmac_f32_e32 v127, v119, v243
	v_pk_add_f32 v[18:19], v[66:67], v[100:101]
	s_waitcnt vmcnt(10)
	v_pk_fma_f32 v[22:23], v[2:3], v[124:125], v[20:21] op_sel:[0,0,1] op_sel_hi:[1,1,0] neg_lo:[0,0,1] neg_hi:[0,0,1]
	v_pk_fma_f32 v[2:3], v[2:3], v[124:125], v[20:21] op_sel:[0,0,1] op_sel_hi:[1,0,0]
	v_pk_add_f32 v[18:19], v[18:19], v[126:127]
	v_mov_b32_e32 v23, v3
	v_pk_add_f32 v[2:3], v[18:19], v[22:23]
	v_mov_b32_e32 v18, v123
	v_pk_mul_f32 v[18:19], v[4:5], v[18:19] op_sel_hi:[1,0]
	v_pk_fma_f32 v[20:21], v[4:5], v[122:123], v[18:19] op_sel:[0,0,1] op_sel_hi:[1,1,0] neg_lo:[0,0,1] neg_hi:[0,0,1]
	v_pk_fma_f32 v[4:5], v[4:5], v[122:123], v[18:19] op_sel:[0,0,1] op_sel_hi:[1,0,0]
	v_mov_b32_e32 v4, v121
	v_mov_b32_e32 v21, v5
	s_waitcnt lgkmcnt(2)
	v_pk_mul_f32 v[4:5], v[6:7], v[4:5] op_sel_hi:[1,0]
	v_pk_fma_f32 v[18:19], v[6:7], v[120:121], v[4:5] op_sel:[0,0,1] op_sel_hi:[1,1,0] neg_lo:[0,0,1] neg_hi:[0,0,1]
	v_pk_fma_f32 v[4:5], v[6:7], v[120:121], v[4:5] op_sel:[0,0,1] op_sel_hi:[1,0,0]
	s_waitcnt vmcnt(3)
	v_mov_b32_e32 v4, v135
	v_mov_b32_e32 v19, v5
	v_pk_mul_f32 v[4:5], v[8:9], v[4:5] op_sel_hi:[1,0]
	s_waitcnt vmcnt(2)
	v_pk_fma_f32 v[6:7], v[8:9], v[134:135], v[4:5] op_sel:[0,0,1] op_sel_hi:[1,1,0] neg_lo:[0,0,1] neg_hi:[0,0,1]
	v_pk_fma_f32 v[4:5], v[8:9], v[134:135], v[4:5] op_sel:[0,0,1] op_sel_hi:[1,0,0]
	v_pk_add_f32 v[2:3], v[2:3], v[20:21]
	v_mov_b32_e32 v4, v133
	v_pk_add_f32 v[2:3], v[2:3], v[18:19]
	v_mov_b32_e32 v7, v5
	s_waitcnt lgkmcnt(1)
	v_pk_mul_f32 v[4:5], v[10:11], v[4:5] op_sel_hi:[1,0]
	v_pk_add_f32 v[2:3], v[2:3], v[6:7]
	v_pk_fma_f32 v[6:7], v[10:11], v[132:133], v[4:5] op_sel:[0,0,1] op_sel_hi:[1,1,0] neg_lo:[0,0,1] neg_hi:[0,0,1]
	v_pk_fma_f32 v[4:5], v[10:11], v[132:133], v[4:5] op_sel:[0,0,1] op_sel_hi:[1,0,0]
	v_mov_b32_e32 v4, v131
	v_mov_b32_e32 v7, v5
	v_pk_mul_f32 v[4:5], v[12:13], v[4:5] op_sel_hi:[1,0]
	v_pk_add_f32 v[2:3], v[2:3], v[6:7]
	v_pk_fma_f32 v[6:7], v[12:13], v[130:131], v[4:5] op_sel:[0,0,1] op_sel_hi:[1,1,0] neg_lo:[0,0,1] neg_hi:[0,0,1]
	v_pk_fma_f32 v[4:5], v[12:13], v[130:131], v[4:5] op_sel:[0,0,1] op_sel_hi:[1,0,0]
	v_mov_b32_e32 v4, v129
	v_mov_b32_e32 v7, v5
	s_waitcnt lgkmcnt(0)
	v_pk_mul_f32 v[4:5], v[14:15], v[4:5] op_sel_hi:[1,0]
	v_pk_add_f32 v[2:3], v[2:3], v[6:7]
	v_pk_fma_f32 v[6:7], v[14:15], v[128:129], v[4:5] op_sel:[0,0,1] op_sel_hi:[1,1,0] neg_lo:[0,0,1] neg_hi:[0,0,1]
	v_pk_fma_f32 v[4:5], v[14:15], v[128:129], v[4:5] op_sel:[0,0,1] op_sel_hi:[1,0,0]
	s_waitcnt vmcnt(1)
	v_mov_b32_e32 v4, v137
	v_mov_b32_e32 v7, v5
	v_pk_mul_f32 v[4:5], v[16:17], v[4:5] op_sel_hi:[1,0]
	v_pk_add_f32 v[2:3], v[2:3], v[6:7]
	s_waitcnt vmcnt(0)
	v_pk_fma_f32 v[6:7], v[16:17], v[136:137], v[4:5] op_sel:[0,0,1] op_sel_hi:[1,1,0] neg_lo:[0,0,1] neg_hi:[0,0,1]
	v_pk_fma_f32 v[4:5], v[16:17], v[136:137], v[4:5] op_sel:[0,0,1] op_sel_hi:[1,0,0]
	v_mov_b32_e32 v7, v5
	v_pk_add_f32 v[2:3], v[2:3], v[6:7]
	v_pk_add_f32 v[2:3], v[42:43], v[2:3] neg_lo:[0,1] neg_hi:[0,1]
	buffer_store_dword v3, off, s[0:3], 0 offset:52
	buffer_store_dword v2, off, s[0:3], 0 offset:48
	s_and_saveexec_b64 s[4:5], vcc
	s_cbranch_execz .LBB58_357
; %bb.356:
	buffer_load_dword v2, off, s[0:3], 0 offset:40
	buffer_load_dword v3, off, s[0:3], 0 offset:44
	v_mov_b32_e32 v1, 0
	buffer_store_dword v1, off, s[0:3], 0 offset:40
	buffer_store_dword v1, off, s[0:3], 0 offset:44
	s_waitcnt vmcnt(2)
	ds_write_b64 v187, v[2:3]
.LBB58_357:
	s_or_b64 exec, exec, s[4:5]
	v_mov_b32_e32 v236, 0
	s_waitcnt lgkmcnt(0)
	; wave barrier
	s_waitcnt lgkmcnt(0)
	ds_read_b128 v[2:5], v236 offset:528
	buffer_load_dword v94, off, s[0:3], 0 offset:40
	buffer_load_dword v95, off, s[0:3], 0 offset:44
	;; [unrolled: 1-line block ×16, first 2 shown]
	v_cmp_lt_u32_e32 vcc, 4, v0
	s_waitcnt vmcnt(12) lgkmcnt(0)
	v_mul_f32_e32 v6, v2, v104
	v_fmac_f32_e32 v6, v3, v1
	s_waitcnt vmcnt(10)
	v_mul_f32_e32 v7, v4, v220
	v_add_f32_e32 v6, 0, v6
	v_fmac_f32_e32 v7, v5, v96
	v_add_f32_e32 v10, v6, v7
	ds_read_b128 v[6:9], v236 offset:544
	v_mul_f32_e32 v3, v3, v104
	v_fma_f32 v1, v2, v1, -v3
	v_mul_f32_e32 v2, v5, v220
	v_add_f32_e32 v1, 0, v1
	s_waitcnt vmcnt(8) lgkmcnt(0)
	v_mul_f32_e32 v11, v6, v238
	v_fmac_f32_e32 v11, v7, v98
	v_add_f32_e32 v10, v10, v11
	s_waitcnt vmcnt(6)
	v_mul_f32_e32 v11, v8, v240
	v_fmac_f32_e32 v11, v9, v105
	v_add_f32_e32 v14, v10, v11
	ds_read_b128 v[10:13], v236 offset:560
	v_fma_f32 v2, v4, v96, -v2
	v_add_f32_e32 v1, v1, v2
	v_mul_f32_e32 v2, v7, v238
	v_fma_f32 v2, v6, v98, -v2
	s_waitcnt vmcnt(4) lgkmcnt(0)
	v_mul_f32_e32 v15, v10, v242
	v_fmac_f32_e32 v15, v11, v237
	v_add_f32_e32 v14, v14, v15
	s_waitcnt vmcnt(2)
	v_mul_f32_e32 v15, v12, v243
	v_fmac_f32_e32 v15, v13, v239
	v_add_f32_e32 v18, v14, v15
	ds_read_b128 v[14:17], v236 offset:576
	buffer_load_dword v106, off, s[0:3], 0 offset:104
	buffer_load_dword v107, off, s[0:3], 0 offset:108
	v_add_f32_e32 v1, v1, v2
	v_mul_f32_e32 v2, v9, v240
	v_fma_f32 v2, v8, v105, -v2
	s_waitcnt vmcnt(2) lgkmcnt(0)
	v_mul_f32_e32 v19, v14, v244
	v_fmac_f32_e32 v19, v15, v241
	v_add_f32_e32 v18, v18, v19
	v_add_f32_e32 v1, v1, v2
	v_mul_f32_e32 v2, v11, v242
	v_fma_f32 v2, v10, v237, -v2
	v_add_f32_e32 v1, v1, v2
	v_mul_f32_e32 v2, v13, v243
	v_fma_f32 v2, v12, v239, -v2
	;; [unrolled: 3-line block ×3, first 2 shown]
	v_add_f32_e32 v1, v1, v2
	s_waitcnt vmcnt(0)
	v_mul_f32_e32 v19, v16, v107
	v_fmac_f32_e32 v19, v17, v106
	v_add_f32_e32 v22, v18, v19
	ds_read_b128 v[18:21], v236 offset:592
	buffer_load_dword v108, off, s[0:3], 0 offset:112
	buffer_load_dword v109, off, s[0:3], 0 offset:116
	;; [unrolled: 1-line block ×4, first 2 shown]
	v_mul_f32_e32 v2, v17, v107
	v_fma_f32 v2, v16, v106, -v2
	v_add_f32_e32 v1, v1, v2
	s_waitcnt vmcnt(2) lgkmcnt(0)
	v_mul_f32_e32 v23, v18, v109
	v_fmac_f32_e32 v23, v19, v108
	v_add_f32_e32 v22, v22, v23
	s_waitcnt vmcnt(0)
	v_mul_f32_e32 v23, v20, v111
	v_fmac_f32_e32 v23, v21, v110
	v_add_f32_e32 v26, v22, v23
	ds_read_b128 v[22:25], v236 offset:608
	buffer_load_dword v112, off, s[0:3], 0 offset:128
	buffer_load_dword v113, off, s[0:3], 0 offset:132
	buffer_load_dword v114, off, s[0:3], 0 offset:136
	buffer_load_dword v115, off, s[0:3], 0 offset:140
	v_mul_f32_e32 v2, v19, v109
	v_fma_f32 v2, v18, v108, -v2
	v_add_f32_e32 v1, v1, v2
	v_mul_f32_e32 v2, v21, v111
	v_fma_f32 v2, v20, v110, -v2
	v_add_f32_e32 v1, v1, v2
	s_waitcnt vmcnt(2) lgkmcnt(0)
	v_mul_f32_e32 v27, v22, v113
	v_fmac_f32_e32 v27, v23, v112
	v_add_f32_e32 v26, v26, v27
	s_waitcnt vmcnt(0)
	v_mul_f32_e32 v27, v24, v115
	v_fmac_f32_e32 v27, v25, v114
	v_add_f32_e32 v30, v26, v27
	ds_read_b128 v[26:29], v236 offset:624
	buffer_load_dword v116, off, s[0:3], 0 offset:144
	buffer_load_dword v117, off, s[0:3], 0 offset:148
	buffer_load_dword v118, off, s[0:3], 0 offset:152
	buffer_load_dword v119, off, s[0:3], 0 offset:156
	v_mul_f32_e32 v2, v23, v113
	v_fma_f32 v2, v22, v112, -v2
	v_add_f32_e32 v1, v1, v2
	;; [unrolled: 19-line block ×4, first 2 shown]
	v_mul_f32_e32 v2, v33, v123
	v_fma_f32 v2, v32, v122, -v2
	v_add_f32_e32 v1, v1, v2
	s_waitcnt vmcnt(2) lgkmcnt(0)
	v_mul_f32_e32 v39, v34, v125
	v_fmac_f32_e32 v39, v35, v124
	v_add_f32_e32 v38, v38, v39
	s_waitcnt vmcnt(0)
	v_mul_f32_e32 v39, v36, v127
	v_fmac_f32_e32 v39, v37, v126
	v_add_f32_e32 v42, v38, v39
	ds_read_b128 v[38:41], v236 offset:672
	buffer_load_dword v128, off, s[0:3], 0 offset:192
	buffer_load_dword v129, off, s[0:3], 0 offset:196
	buffer_load_dword v130, off, s[0:3], 0 offset:200
	buffer_load_dword v131, off, s[0:3], 0 offset:204
	ds_read_b128 v[46:49], v236 offset:688
	buffer_load_dword v132, off, s[0:3], 0 offset:208
	buffer_load_dword v133, off, s[0:3], 0 offset:212
	buffer_load_dword v134, off, s[0:3], 0 offset:216
	buffer_load_dword v135, off, s[0:3], 0 offset:220
	;; [unrolled: 5-line block ×13, first 2 shown]
	v_mul_f32_e32 v2, v35, v125
	v_fma_f32 v2, v34, v124, -v2
	v_add_f32_e32 v1, v1, v2
	v_mul_f32_e32 v2, v37, v127
	v_fma_f32 v2, v36, v126, -v2
	v_add_f32_e32 v1, v1, v2
	s_waitcnt vmcnt(50) lgkmcnt(12)
	v_mul_f32_e32 v43, v38, v129
	v_fmac_f32_e32 v43, v39, v128
	v_add_f32_e32 v42, v42, v43
	s_waitcnt vmcnt(48)
	v_mul_f32_e32 v43, v40, v131
	v_fmac_f32_e32 v43, v41, v130
	v_add_f32_e32 v42, v42, v43
	s_waitcnt vmcnt(46) lgkmcnt(11)
	v_mul_f32_e32 v43, v46, v133
	v_fmac_f32_e32 v43, v47, v132
	v_add_f32_e32 v42, v42, v43
	s_waitcnt vmcnt(44)
	v_mul_f32_e32 v43, v48, v135
	v_fmac_f32_e32 v43, v49, v134
	;; [unrolled: 8-line block ×12, first 2 shown]
	v_add_f32_e32 v42, v42, v43
	s_waitcnt vmcnt(2) lgkmcnt(0)
	v_mul_f32_e32 v43, v90, v246
	v_fmac_f32_e32 v43, v91, v175
	v_add_f32_e32 v97, v42, v43
	ds_read_b128 v[42:45], v236 offset:880
	buffer_load_dword v249, off, s[0:3], 0 offset:400
	buffer_load_dword v250, off, s[0:3], 0 offset:404
	;; [unrolled: 1-line block ×18, first 2 shown]
	v_mul_f32_e32 v2, v39, v129
	v_fma_f32 v2, v38, v128, -v2
	v_add_f32_e32 v1, v1, v2
	v_mul_f32_e32 v2, v41, v131
	v_fma_f32 v2, v40, v130, -v2
	v_add_f32_e32 v1, v1, v2
	;; [unrolled: 3-line block ×24, first 2 shown]
	v_mul_f32_e32 v2, v91, v246
	v_fma_f32 v2, v90, v175, -v2
	s_waitcnt vmcnt(15)
	v_mov_b32_e32 v18, v101
	v_mul_f32_e32 v99, v92, v248
	v_add_f32_e32 v96, v1, v2
	v_mul_f32_e32 v1, v93, v248
	s_waitcnt lgkmcnt(0)
	v_pk_mul_f32 v[18:19], v[44:45], v[18:19] op_sel_hi:[1,0]
	v_fmac_f32_e32 v99, v93, v247
	v_mul_f32_e32 v221, v42, v250
	v_fma_f32 v98, v92, v247, -v1
	v_mul_f32_e32 v1, v43, v250
	ds_read_b128 v[2:5], v236 offset:896
	ds_read_b128 v[6:9], v236 offset:912
	;; [unrolled: 1-line block ×3, first 2 shown]
	ds_read_b64 v[14:15], v236 offset:944
	s_waitcnt vmcnt(14)
	v_pk_fma_f32 v[20:21], v[44:45], v[100:101], v[18:19] op_sel:[0,0,1] op_sel_hi:[1,1,0] neg_lo:[0,0,1] neg_hi:[0,0,1]
	v_pk_fma_f32 v[18:19], v[44:45], v[100:101], v[18:19] op_sel:[0,0,1] op_sel_hi:[1,0,0]
	v_fmac_f32_e32 v221, v43, v249
	v_fma_f32 v220, v42, v249, -v1
	v_pk_add_f32 v[16:17], v[96:97], v[98:99]
	s_waitcnt vmcnt(13)
	v_mov_b32_e32 v18, v235
	v_pk_add_f32 v[16:17], v[16:17], v[220:221]
	v_mov_b32_e32 v21, v19
	s_waitcnt lgkmcnt(3)
	v_pk_mul_f32 v[18:19], v[2:3], v[18:19] op_sel_hi:[1,0]
	v_pk_add_f32 v[16:17], v[16:17], v[20:21]
	s_waitcnt vmcnt(12)
	v_pk_fma_f32 v[20:21], v[2:3], v[234:235], v[18:19] op_sel:[0,0,1] op_sel_hi:[1,1,0] neg_lo:[0,0,1] neg_hi:[0,0,1]
	v_pk_fma_f32 v[2:3], v[2:3], v[234:235], v[18:19] op_sel:[0,0,1] op_sel_hi:[1,0,0]
	v_mov_b32_e32 v21, v3
	v_pk_add_f32 v[2:3], v[16:17], v[20:21]
	s_waitcnt vmcnt(11)
	v_mov_b32_e32 v16, v233
	v_pk_mul_f32 v[16:17], v[4:5], v[16:17] op_sel_hi:[1,0]
	s_waitcnt vmcnt(10)
	v_pk_fma_f32 v[18:19], v[4:5], v[232:233], v[16:17] op_sel:[0,0,1] op_sel_hi:[1,1,0] neg_lo:[0,0,1] neg_hi:[0,0,1]
	v_pk_fma_f32 v[4:5], v[4:5], v[232:233], v[16:17] op_sel:[0,0,1] op_sel_hi:[1,0,0]
	s_waitcnt vmcnt(9)
	v_mov_b32_e32 v4, v231
	v_mov_b32_e32 v19, v5
	s_waitcnt lgkmcnt(2)
	v_pk_mul_f32 v[4:5], v[6:7], v[4:5] op_sel_hi:[1,0]
	s_waitcnt vmcnt(8)
	v_pk_fma_f32 v[16:17], v[6:7], v[230:231], v[4:5] op_sel:[0,0,1] op_sel_hi:[1,1,0] neg_lo:[0,0,1] neg_hi:[0,0,1]
	v_pk_fma_f32 v[4:5], v[6:7], v[230:231], v[4:5] op_sel:[0,0,1] op_sel_hi:[1,0,0]
	s_waitcnt vmcnt(7)
	v_mov_b32_e32 v4, v229
	v_mov_b32_e32 v17, v5
	v_pk_mul_f32 v[4:5], v[8:9], v[4:5] op_sel_hi:[1,0]
	s_waitcnt vmcnt(6)
	v_pk_fma_f32 v[6:7], v[8:9], v[228:229], v[4:5] op_sel:[0,0,1] op_sel_hi:[1,1,0] neg_lo:[0,0,1] neg_hi:[0,0,1]
	v_pk_fma_f32 v[4:5], v[8:9], v[228:229], v[4:5] op_sel:[0,0,1] op_sel_hi:[1,0,0]
	v_pk_add_f32 v[2:3], v[2:3], v[18:19]
	s_waitcnt vmcnt(5)
	v_mov_b32_e32 v4, v227
	v_pk_add_f32 v[2:3], v[2:3], v[16:17]
	v_mov_b32_e32 v7, v5
	s_waitcnt lgkmcnt(1)
	v_pk_mul_f32 v[4:5], v[10:11], v[4:5] op_sel_hi:[1,0]
	v_pk_add_f32 v[2:3], v[2:3], v[6:7]
	s_waitcnt vmcnt(4)
	v_pk_fma_f32 v[6:7], v[10:11], v[226:227], v[4:5] op_sel:[0,0,1] op_sel_hi:[1,1,0] neg_lo:[0,0,1] neg_hi:[0,0,1]
	v_pk_fma_f32 v[4:5], v[10:11], v[226:227], v[4:5] op_sel:[0,0,1] op_sel_hi:[1,0,0]
	s_waitcnt vmcnt(3)
	v_mov_b32_e32 v4, v225
	v_mov_b32_e32 v7, v5
	v_pk_mul_f32 v[4:5], v[12:13], v[4:5] op_sel_hi:[1,0]
	v_pk_add_f32 v[2:3], v[2:3], v[6:7]
	s_waitcnt vmcnt(2)
	v_pk_fma_f32 v[6:7], v[12:13], v[224:225], v[4:5] op_sel:[0,0,1] op_sel_hi:[1,1,0] neg_lo:[0,0,1] neg_hi:[0,0,1]
	v_pk_fma_f32 v[4:5], v[12:13], v[224:225], v[4:5] op_sel:[0,0,1] op_sel_hi:[1,0,0]
	s_waitcnt vmcnt(1)
	v_mov_b32_e32 v4, v223
	v_mov_b32_e32 v7, v5
	s_waitcnt lgkmcnt(0)
	v_pk_mul_f32 v[4:5], v[14:15], v[4:5] op_sel_hi:[1,0]
	v_pk_add_f32 v[2:3], v[2:3], v[6:7]
	s_waitcnt vmcnt(0)
	v_pk_fma_f32 v[6:7], v[14:15], v[222:223], v[4:5] op_sel:[0,0,1] op_sel_hi:[1,1,0] neg_lo:[0,0,1] neg_hi:[0,0,1]
	v_pk_fma_f32 v[4:5], v[14:15], v[222:223], v[4:5] op_sel:[0,0,1] op_sel_hi:[1,0,0]
	v_mov_b32_e32 v7, v5
	v_pk_add_f32 v[2:3], v[2:3], v[6:7]
	v_pk_add_f32 v[2:3], v[94:95], v[2:3] neg_lo:[0,1] neg_hi:[0,1]
	buffer_store_dword v3, off, s[0:3], 0 offset:44
	buffer_store_dword v2, off, s[0:3], 0 offset:40
	s_and_saveexec_b64 s[4:5], vcc
	s_cbranch_execz .LBB58_359
; %bb.358:
	buffer_load_dword v2, off, s[0:3], 0 offset:32
	buffer_load_dword v3, off, s[0:3], 0 offset:36
	s_waitcnt vmcnt(0)
	ds_write_b64 v187, v[2:3]
	buffer_store_dword v236, off, s[0:3], 0 offset:32
	buffer_store_dword v236, off, s[0:3], 0 offset:36
.LBB58_359:
	s_or_b64 exec, exec, s[4:5]
	s_waitcnt lgkmcnt(0)
	; wave barrier
	s_waitcnt lgkmcnt(0)
	buffer_load_dword v48, off, s[0:3], 0 offset:44
	buffer_load_dword v47, off, s[0:3], 0 offset:52
	;; [unrolled: 1-line block ×34, first 2 shown]
	ds_read2_b64 v[30:33], v236 offset0:65 offset1:66
	ds_read2_b64 v[26:29], v236 offset0:67 offset1:68
	;; [unrolled: 1-line block ×6, first 2 shown]
	buffer_load_dword v152, off, s[0:3], 0 offset:168
	buffer_load_dword v153, off, s[0:3], 0 offset:172
	ds_read2_b64 v[10:13], v236 offset0:77 offset1:78
	ds_read2_b64 v[2:5], v236 offset0:79 offset1:80
	buffer_load_dword v154, off, s[0:3], 0 offset:176
	buffer_load_dword v155, off, s[0:3], 0 offset:180
	buffer_load_dword v156, off, s[0:3], 0 offset:184
	buffer_load_dword v157, off, s[0:3], 0 offset:188
	buffer_load_dword v158, off, s[0:3], 0 offset:192
	buffer_load_dword v159, off, s[0:3], 0 offset:196
	buffer_load_dword v160, off, s[0:3], 0 offset:200
	buffer_load_dword v161, off, s[0:3], 0 offset:204
	buffer_load_dword v162, off, s[0:3], 0 offset:208
	buffer_load_dword v163, off, s[0:3], 0 offset:212
	buffer_load_dword v164, off, s[0:3], 0 offset:216
	buffer_load_dword v165, off, s[0:3], 0 offset:220
	buffer_load_dword v166, off, s[0:3], 0 offset:224
	buffer_load_dword v167, off, s[0:3], 0 offset:228
	buffer_load_dword v168, off, s[0:3], 0 offset:232
	buffer_load_dword v169, off, s[0:3], 0 offset:236
	buffer_load_dword v170, off, s[0:3], 0 offset:240
	buffer_load_dword v171, off, s[0:3], 0 offset:244
	buffer_load_dword v172, off, s[0:3], 0 offset:248
	buffer_load_dword v173, off, s[0:3], 0 offset:252
	buffer_load_dword v174, off, s[0:3], 0 offset:256
	buffer_load_dword v175, off, s[0:3], 0 offset:260
	buffer_load_dword v220, off, s[0:3], 0 offset:264
	buffer_load_dword v221, off, s[0:3], 0 offset:268
	v_cmp_lt_u32_e32 vcc, 3, v0
	s_waitcnt vmcnt(59) lgkmcnt(7)
	v_mul_f32_e32 v34, v30, v48
	s_waitcnt vmcnt(58)
	v_mul_f32_e32 v35, v32, v47
	s_waitcnt vmcnt(57) lgkmcnt(6)
	v_mul_f32_e32 v37, v28, v46
	s_waitcnt vmcnt(56) lgkmcnt(5)
	v_mul_f32_e32 v38, v22, v45
	s_waitcnt vmcnt(55)
	v_mul_f32_e32 v39, v24, v1
	s_waitcnt vmcnt(54)
	v_mul_f32_e32 v36, v26, v49
	s_waitcnt vmcnt(53) lgkmcnt(4)
	v_mul_f32_e32 v40, v18, v44
	s_waitcnt vmcnt(52)
	v_mul_f32_e32 v41, v20, v110
	s_waitcnt vmcnt(51) lgkmcnt(3)
	;; [unrolled: 4-line block ×3, first 2 shown]
	v_mul_f32_e32 v52, v6, v130
	s_waitcnt vmcnt(48)
	v_mul_f32_e32 v53, v8, v131
	s_waitcnt vmcnt(47)
	v_fmac_f32_e32 v36, v27, v132
	s_waitcnt vmcnt(46)
	v_fmac_f32_e32 v35, v33, v133
	;; [unrolled: 2-line block ×3, first 2 shown]
	v_add_f32_e32 v34, 0, v34
	v_add_f32_e32 v34, v34, v35
	v_add_f32_e32 v34, v34, v36
	s_waitcnt vmcnt(41)
	v_fmac_f32_e32 v37, v29, v138
	v_fmac_f32_e32 v38, v23, v137
	v_add_f32_e32 v34, v34, v37
	v_fmac_f32_e32 v39, v25, v136
	v_add_f32_e32 v34, v34, v38
	;; [unrolled: 2-line block ×3, first 2 shown]
	s_waitcnt vmcnt(37)
	v_fmac_f32_e32 v41, v21, v142
	v_add_f32_e32 v34, v34, v40
	v_fmac_f32_e32 v50, v15, v141
	v_add_f32_e32 v34, v34, v41
	v_fmac_f32_e32 v51, v17, v140
	v_add_f32_e32 v34, v34, v50
	v_fmac_f32_e32 v52, v7, v139
	v_add_f32_e32 v34, v34, v51
	s_waitcnt vmcnt(33)
	v_fmac_f32_e32 v53, v9, v146
	v_add_f32_e32 v34, v34, v52
	s_waitcnt vmcnt(32) lgkmcnt(1)
	v_mul_f32_e32 v35, v10, v147
	v_add_f32_e32 v34, v34, v53
	v_fmac_f32_e32 v35, v11, v145
	v_add_f32_e32 v34, v34, v35
	s_waitcnt vmcnt(31)
	v_mul_f32_e32 v35, v12, v148
	v_fmac_f32_e32 v35, v13, v144
	v_add_f32_e32 v34, v34, v35
	s_waitcnt vmcnt(30) lgkmcnt(0)
	v_mul_f32_e32 v35, v2, v149
	v_fmac_f32_e32 v35, v3, v143
	v_add_f32_e32 v38, v34, v35
	ds_read2_b64 v[34:37], v236 offset0:81 offset1:82
	buffer_load_dword v222, off, s[0:3], 0 offset:272
	buffer_load_dword v223, off, s[0:3], 0 offset:276
	;; [unrolled: 1-line block ×4, first 2 shown]
	s_waitcnt vmcnt(32)
	v_mul_f32_e32 v39, v4, v151
	v_fmac_f32_e32 v39, v5, v150
	v_add_f32_e32 v50, v38, v39
	ds_read2_b64 v[38:41], v236 offset0:83 offset1:84
	buffer_load_dword v226, off, s[0:3], 0 offset:288
	buffer_load_dword v227, off, s[0:3], 0 offset:292
	buffer_load_dword v228, off, s[0:3], 0 offset:296
	buffer_load_dword v229, off, s[0:3], 0 offset:300
	buffer_load_dword v230, off, s[0:3], 0 offset:304
	buffer_load_dword v231, off, s[0:3], 0 offset:308
	buffer_load_dword v232, off, s[0:3], 0 offset:312
	buffer_load_dword v233, off, s[0:3], 0 offset:316
	buffer_load_dword v234, off, s[0:3], 0 offset:320
	buffer_load_dword v235, off, s[0:3], 0 offset:324
	buffer_load_dword v237, off, s[0:3], 0 offset:328
	buffer_load_dword v238, off, s[0:3], 0 offset:332
	s_waitcnt vmcnt(40) lgkmcnt(1)
	v_mul_f32_e32 v51, v34, v153
	v_fmac_f32_e32 v51, v35, v152
	buffer_load_dword v239, off, s[0:3], 0 offset:336
	buffer_load_dword v240, off, s[0:3], 0 offset:340
	v_add_f32_e32 v50, v50, v51
	s_waitcnt vmcnt(40)
	v_mul_f32_e32 v51, v36, v155
	v_fmac_f32_e32 v51, v37, v154
	buffer_load_dword v241, off, s[0:3], 0 offset:344
	buffer_load_dword v242, off, s[0:3], 0 offset:348
	v_add_f32_e32 v50, v50, v51
	s_waitcnt vmcnt(40) lgkmcnt(0)
	v_mul_f32_e32 v51, v38, v157
	v_fmac_f32_e32 v51, v39, v156
	v_add_f32_e32 v54, v50, v51
	ds_read2_b64 v[50:53], v236 offset0:85 offset1:86
	buffer_load_dword v243, off, s[0:3], 0 offset:352
	buffer_load_dword v244, off, s[0:3], 0 offset:356
	s_waitcnt vmcnt(40)
	v_mul_f32_e32 v55, v40, v159
	v_fmac_f32_e32 v55, v41, v158
	v_add_f32_e32 v58, v54, v55
	ds_read2_b64 v[54:57], v236 offset0:87 offset1:88
	buffer_load_dword v245, off, s[0:3], 0 offset:360
	buffer_load_dword v246, off, s[0:3], 0 offset:364
	;; [unrolled: 1-line block ×8, first 2 shown]
	s_waitcnt vmcnt(46) lgkmcnt(1)
	v_mul_f32_e32 v59, v50, v161
	v_fmac_f32_e32 v59, v51, v160
	v_add_f32_e32 v58, v58, v59
	s_waitcnt vmcnt(44)
	v_mul_f32_e32 v59, v52, v163
	v_fmac_f32_e32 v59, v53, v162
	v_add_f32_e32 v58, v58, v59
	s_waitcnt vmcnt(42) lgkmcnt(0)
	v_mul_f32_e32 v59, v54, v165
	v_fmac_f32_e32 v59, v55, v164
	v_add_f32_e32 v62, v58, v59
	buffer_load_dword v253, off, s[0:3], 0 offset:392
	buffer_load_dword v254, off, s[0:3], 0 offset:396
	;; [unrolled: 1-line block ×4, first 2 shown]
	ds_read2_b64 v[58:61], v236 offset0:89 offset1:90
	s_waitcnt vmcnt(44)
	v_mul_f32_e32 v63, v56, v167
	v_fmac_f32_e32 v63, v57, v166
	v_add_f32_e32 v66, v62, v63
	ds_read2_b64 v[62:65], v236 offset0:91 offset1:92
	s_waitcnt vmcnt(42) lgkmcnt(1)
	v_mul_f32_e32 v67, v58, v169
	v_fmac_f32_e32 v67, v59, v168
	v_add_f32_e32 v66, v66, v67
	s_waitcnt vmcnt(40)
	v_mul_f32_e32 v67, v60, v171
	v_fmac_f32_e32 v67, v61, v170
	v_add_f32_e32 v66, v66, v67
	s_waitcnt vmcnt(38) lgkmcnt(0)
	v_mul_f32_e32 v67, v62, v173
	v_fmac_f32_e32 v67, v63, v172
	v_add_f32_e32 v70, v66, v67
	ds_read2_b64 v[66:69], v236 offset0:93 offset1:94
	s_waitcnt vmcnt(36)
	v_mul_f32_e32 v71, v64, v175
	v_fmac_f32_e32 v71, v65, v174
	v_add_f32_e32 v74, v70, v71
	ds_read2_b64 v[70:73], v236 offset0:95 offset1:96
	s_waitcnt vmcnt(34) lgkmcnt(1)
	v_mul_f32_e32 v75, v66, v221
	v_fmac_f32_e32 v75, v67, v220
	v_add_f32_e32 v74, v74, v75
	v_mul_f32_e32 v31, v31, v48
	v_fma_f32 v30, v30, v134, -v31
	v_mul_f32_e32 v31, v33, v47
	v_add_f32_e32 v30, 0, v30
	v_fma_f32 v31, v32, v133, -v31
	v_mul_f32_e32 v27, v27, v49
	v_add_f32_e32 v30, v30, v31
	;; [unrolled: 3-line block ×4, first 2 shown]
	v_fma_f32 v22, v22, v137, -v23
	v_mul_f32_e32 v1, v25, v1
	s_waitcnt vmcnt(32)
	v_mul_f32_e32 v75, v68, v223
	v_fmac_f32_e32 v75, v69, v222
	v_add_f32_e32 v74, v74, v75
	s_waitcnt vmcnt(30) lgkmcnt(0)
	v_mul_f32_e32 v75, v70, v225
	v_fmac_f32_e32 v75, v71, v224
	v_add_f32_e32 v78, v74, v75
	ds_read2_b64 v[74:77], v236 offset0:97 offset1:98
	s_waitcnt vmcnt(28)
	v_mul_f32_e32 v79, v72, v227
	v_fmac_f32_e32 v79, v73, v226
	v_add_f32_e32 v82, v78, v79
	ds_read2_b64 v[78:81], v236 offset0:99 offset1:100
	s_waitcnt vmcnt(26) lgkmcnt(1)
	v_mul_f32_e32 v83, v74, v229
	v_fmac_f32_e32 v83, v75, v228
	v_add_f32_e32 v82, v82, v83
	s_waitcnt vmcnt(24)
	v_mul_f32_e32 v83, v76, v231
	v_fmac_f32_e32 v83, v77, v230
	v_add_f32_e32 v82, v82, v83
	s_waitcnt vmcnt(22) lgkmcnt(0)
	v_mul_f32_e32 v83, v78, v233
	v_fmac_f32_e32 v83, v79, v232
	v_add_f32_e32 v86, v82, v83
	ds_read2_b64 v[82:85], v236 offset0:101 offset1:102
	s_waitcnt vmcnt(20)
	v_mul_f32_e32 v87, v80, v235
	v_fmac_f32_e32 v87, v81, v234
	v_add_f32_e32 v90, v86, v87
	ds_read2_b64 v[86:89], v236 offset0:103 offset1:104
	s_waitcnt vmcnt(18) lgkmcnt(1)
	v_mul_f32_e32 v91, v82, v238
	v_fmac_f32_e32 v91, v83, v237
	v_add_f32_e32 v90, v90, v91
	s_waitcnt vmcnt(16)
	v_mul_f32_e32 v91, v84, v240
	v_fmac_f32_e32 v91, v85, v239
	v_add_f32_e32 v90, v90, v91
	s_waitcnt vmcnt(14) lgkmcnt(0)
	v_mul_f32_e32 v91, v86, v242
	v_fmac_f32_e32 v91, v87, v241
	v_add_f32_e32 v94, v90, v91
	ds_read2_b64 v[90:93], v236 offset0:105 offset1:106
	s_waitcnt vmcnt(12)
	v_mul_f32_e32 v95, v88, v244
	v_fmac_f32_e32 v95, v89, v243
	v_add_f32_e32 v98, v94, v95
	ds_read2_b64 v[94:97], v236 offset0:107 offset1:108
	buffer_load_dword v109, off, s[0:3], 0 offset:412
	buffer_load_dword v108, off, s[0:3], 0 offset:408
	s_waitcnt vmcnt(12) lgkmcnt(1)
	v_mul_f32_e32 v99, v90, v246
	v_fmac_f32_e32 v99, v91, v245
	v_add_f32_e32 v98, v98, v99
	s_waitcnt vmcnt(10)
	v_mul_f32_e32 v99, v92, v248
	v_fmac_f32_e32 v99, v93, v247
	v_add_f32_e32 v98, v98, v99
	s_waitcnt vmcnt(8) lgkmcnt(0)
	v_mul_f32_e32 v99, v94, v250
	v_fmac_f32_e32 v99, v95, v249
	s_waitcnt vmcnt(6)
	v_mul_f32_e32 v105, v96, v252
	v_add_f32_e32 v22, v26, v22
	v_fma_f32 v1, v24, v136, -v1
	v_mul_f32_e32 v19, v19, v44
	v_add_f32_e32 v104, v98, v99
	v_fmac_f32_e32 v105, v97, v251
	v_add_f32_e32 v1, v22, v1
	v_fma_f32 v18, v18, v135, -v19
	ds_read2_b64 v[98:101], v236 offset0:109 offset1:110
	v_add_f32_e32 v111, v104, v105
	ds_read2_b64 v[104:107], v236 offset0:111 offset1:112
	buffer_load_dword v117, off, s[0:3], 0 offset:444
	buffer_load_dword v116, off, s[0:3], 0 offset:440
	;; [unrolled: 1-line block ×14, first 2 shown]
	v_add_f32_e32 v1, v1, v18
	v_mul_f32_e32 v18, v21, v110
	v_fma_f32 v18, v20, v142, -v18
	v_mul_f32_e32 v15, v15, v112
	v_add_f32_e32 v1, v1, v18
	v_fma_f32 v14, v14, v141, -v15
	v_add_f32_e32 v1, v1, v14
	v_mul_f32_e32 v14, v17, v114
	v_fma_f32 v14, v16, v140, -v14
	v_mul_f32_e32 v7, v7, v130
	v_add_f32_e32 v1, v1, v14
	v_fma_f32 v6, v6, v139, -v7
	v_add_f32_e32 v1, v1, v6
	v_mul_f32_e32 v6, v9, v131
	v_fma_f32 v6, v8, v146, -v6
	v_add_f32_e32 v1, v1, v6
	v_mul_f32_e32 v6, v11, v147
	;; [unrolled: 3-line block ×3, first 2 shown]
	v_fma_f32 v6, v12, v144, -v6
	v_mul_f32_e32 v3, v3, v149
	v_add_f32_e32 v1, v1, v6
	v_fma_f32 v2, v2, v143, -v3
	v_add_f32_e32 v1, v1, v2
	v_mul_f32_e32 v2, v5, v151
	v_fma_f32 v2, v4, v150, -v2
	v_add_f32_e32 v1, v1, v2
	v_mul_f32_e32 v2, v35, v153
	;; [unrolled: 3-line block ×29, first 2 shown]
	v_fma_f32 v2, v96, v251, -v2
	s_waitcnt vmcnt(15)
	v_mov_b32_e32 v16, v109
	s_waitcnt lgkmcnt(1)
	v_mul_f32_e32 v113, v98, v254
	v_add_f32_e32 v110, v1, v2
	v_mul_f32_e32 v1, v99, v254
	s_waitcnt lgkmcnt(0)
	v_pk_mul_f32 v[16:17], v[104:105], v[16:17] op_sel_hi:[1,0]
	v_fmac_f32_e32 v113, v99, v253
	v_mul_f32_e32 v115, v100, v176
	v_fma_f32 v112, v98, v253, -v1
	v_mul_f32_e32 v1, v101, v176
	s_waitcnt vmcnt(14)
	v_pk_fma_f32 v[18:19], v[104:105], v[108:109], v[16:17] op_sel:[0,0,1] op_sel_hi:[1,1,0] neg_lo:[0,0,1] neg_hi:[0,0,1]
	v_pk_fma_f32 v[16:17], v[104:105], v[108:109], v[16:17] op_sel:[0,0,1] op_sel_hi:[1,0,0]
	v_fmac_f32_e32 v115, v101, v255
	v_fma_f32 v114, v100, v255, -v1
	v_pk_add_f32 v[14:15], v[110:111], v[112:113]
	s_waitcnt vmcnt(7)
	v_mov_b32_e32 v16, v123
	ds_read2_b64 v[2:5], v236 offset0:113 offset1:114
	ds_read2_b64 v[6:9], v236 offset0:115 offset1:116
	;; [unrolled: 1-line block ×3, first 2 shown]
	v_pk_add_f32 v[14:15], v[14:15], v[114:115]
	v_mov_b32_e32 v19, v17
	v_pk_mul_f32 v[16:17], v[106:107], v[16:17] op_sel_hi:[1,0]
	v_pk_add_f32 v[14:15], v[14:15], v[18:19]
	s_waitcnt vmcnt(6)
	v_pk_fma_f32 v[18:19], v[106:107], v[122:123], v[16:17] op_sel:[0,0,1] op_sel_hi:[1,1,0] neg_lo:[0,0,1] neg_hi:[0,0,1]
	v_pk_fma_f32 v[16:17], v[106:107], v[122:123], v[16:17] op_sel:[0,0,1] op_sel_hi:[1,0,0]
	v_mov_b32_e32 v16, v121
	v_mov_b32_e32 v19, v17
	s_waitcnt lgkmcnt(2)
	v_pk_mul_f32 v[16:17], v[2:3], v[16:17] op_sel_hi:[1,0]
	v_pk_add_f32 v[14:15], v[14:15], v[18:19]
	v_pk_fma_f32 v[18:19], v[2:3], v[120:121], v[16:17] op_sel:[0,0,1] op_sel_hi:[1,1,0] neg_lo:[0,0,1] neg_hi:[0,0,1]
	v_pk_fma_f32 v[2:3], v[2:3], v[120:121], v[16:17] op_sel:[0,0,1] op_sel_hi:[1,0,0]
	v_mov_b32_e32 v19, v3
	v_pk_add_f32 v[2:3], v[14:15], v[18:19]
	v_mov_b32_e32 v14, v119
	v_pk_mul_f32 v[14:15], v[4:5], v[14:15] op_sel_hi:[1,0]
	v_pk_fma_f32 v[16:17], v[4:5], v[118:119], v[14:15] op_sel:[0,0,1] op_sel_hi:[1,1,0] neg_lo:[0,0,1] neg_hi:[0,0,1]
	v_pk_fma_f32 v[4:5], v[4:5], v[118:119], v[14:15] op_sel:[0,0,1] op_sel_hi:[1,0,0]
	v_mov_b32_e32 v4, v117
	v_mov_b32_e32 v17, v5
	s_waitcnt lgkmcnt(1)
	v_pk_mul_f32 v[4:5], v[6:7], v[4:5] op_sel_hi:[1,0]
	v_pk_fma_f32 v[14:15], v[6:7], v[116:117], v[4:5] op_sel:[0,0,1] op_sel_hi:[1,1,0] neg_lo:[0,0,1] neg_hi:[0,0,1]
	v_pk_fma_f32 v[4:5], v[6:7], v[116:117], v[4:5] op_sel:[0,0,1] op_sel_hi:[1,0,0]
	s_waitcnt vmcnt(1)
	v_mov_b32_e32 v4, v129
	v_mov_b32_e32 v15, v5
	v_pk_mul_f32 v[4:5], v[8:9], v[4:5] op_sel_hi:[1,0]
	s_waitcnt vmcnt(0)
	v_pk_fma_f32 v[6:7], v[8:9], v[128:129], v[4:5] op_sel:[0,0,1] op_sel_hi:[1,1,0] neg_lo:[0,0,1] neg_hi:[0,0,1]
	v_pk_fma_f32 v[4:5], v[8:9], v[128:129], v[4:5] op_sel:[0,0,1] op_sel_hi:[1,0,0]
	v_pk_add_f32 v[2:3], v[2:3], v[16:17]
	v_mov_b32_e32 v4, v127
	v_pk_add_f32 v[2:3], v[2:3], v[14:15]
	v_mov_b32_e32 v7, v5
	s_waitcnt lgkmcnt(0)
	v_pk_mul_f32 v[4:5], v[10:11], v[4:5] op_sel_hi:[1,0]
	v_pk_add_f32 v[2:3], v[2:3], v[6:7]
	v_pk_fma_f32 v[6:7], v[10:11], v[126:127], v[4:5] op_sel:[0,0,1] op_sel_hi:[1,1,0] neg_lo:[0,0,1] neg_hi:[0,0,1]
	v_pk_fma_f32 v[4:5], v[10:11], v[126:127], v[4:5] op_sel:[0,0,1] op_sel_hi:[1,0,0]
	v_mov_b32_e32 v4, v125
	v_mov_b32_e32 v7, v5
	v_pk_mul_f32 v[4:5], v[12:13], v[4:5] op_sel_hi:[1,0]
	v_pk_add_f32 v[2:3], v[2:3], v[6:7]
	v_pk_fma_f32 v[6:7], v[12:13], v[124:125], v[4:5] op_sel:[0,0,1] op_sel_hi:[1,1,0] neg_lo:[0,0,1] neg_hi:[0,0,1]
	v_pk_fma_f32 v[4:5], v[12:13], v[124:125], v[4:5] op_sel:[0,0,1] op_sel_hi:[1,0,0]
	v_mov_b32_e32 v7, v5
	v_pk_add_f32 v[2:3], v[2:3], v[6:7]
	v_pk_add_f32 v[2:3], v[42:43], v[2:3] neg_lo:[0,1] neg_hi:[0,1]
	buffer_store_dword v3, off, s[0:3], 0 offset:36
	buffer_store_dword v2, off, s[0:3], 0 offset:32
	s_and_saveexec_b64 s[4:5], vcc
	s_cbranch_execz .LBB58_361
; %bb.360:
	buffer_load_dword v2, off, s[0:3], 0 offset:24
	buffer_load_dword v3, off, s[0:3], 0 offset:28
	v_mov_b32_e32 v1, 0
	buffer_store_dword v1, off, s[0:3], 0 offset:24
	buffer_store_dword v1, off, s[0:3], 0 offset:28
	s_waitcnt vmcnt(2)
	ds_write_b64 v187, v[2:3]
.LBB58_361:
	s_or_b64 exec, exec, s[4:5]
	s_waitcnt lgkmcnt(0)
	; wave barrier
	s_waitcnt lgkmcnt(0)
	buffer_load_dword v57, off, s[0:3], 0 offset:36
	buffer_load_dword v56, off, s[0:3], 0 offset:44
	;; [unrolled: 1-line block ×48, first 2 shown]
	v_mov_b32_e32 v52, 0
	ds_read_b128 v[22:25], v52 offset:512
	ds_read_b128 v[18:21], v52 offset:528
	;; [unrolled: 1-line block ×6, first 2 shown]
	v_cmp_lt_u32_e32 vcc, 2, v0
	s_waitcnt vmcnt(47) lgkmcnt(5)
	v_mul_f32_e32 v26, v22, v57
	s_waitcnt vmcnt(46)
	v_mul_f32_e32 v27, v24, v56
	s_waitcnt vmcnt(45) lgkmcnt(4)
	v_mul_f32_e32 v29, v20, v55
	s_waitcnt vmcnt(44) lgkmcnt(3)
	v_mul_f32_e32 v30, v14, v54
	s_waitcnt vmcnt(43)
	v_mul_f32_e32 v31, v16, v1
	s_waitcnt vmcnt(42)
	v_mul_f32_e32 v28, v18, v58
	s_waitcnt vmcnt(41) lgkmcnt(2)
	v_mul_f32_e32 v32, v10, v53
	s_waitcnt vmcnt(40)
	v_mul_f32_e32 v33, v12, v59
	s_waitcnt vmcnt(39) lgkmcnt(1)
	;; [unrolled: 4-line block ×3, first 2 shown]
	v_mul_f32_e32 v36, v2, v62
	s_waitcnt vmcnt(36)
	v_mul_f32_e32 v37, v4, v63
	s_waitcnt vmcnt(35)
	v_fmac_f32_e32 v28, v19, v69
	s_waitcnt vmcnt(34)
	v_fmac_f32_e32 v27, v25, v72
	;; [unrolled: 2-line block ×3, first 2 shown]
	v_add_f32_e32 v26, 0, v26
	v_add_f32_e32 v26, v26, v27
	;; [unrolled: 1-line block ×3, first 2 shown]
	s_waitcnt vmcnt(29)
	v_fmac_f32_e32 v29, v21, v74
	v_fmac_f32_e32 v30, v15, v71
	v_add_f32_e32 v26, v26, v29
	v_fmac_f32_e32 v31, v17, v68
	v_add_f32_e32 v26, v26, v30
	;; [unrolled: 2-line block ×3, first 2 shown]
	s_waitcnt vmcnt(25)
	v_fmac_f32_e32 v33, v13, v70
	v_add_f32_e32 v26, v26, v32
	v_fmac_f32_e32 v34, v7, v67
	v_add_f32_e32 v26, v26, v33
	;; [unrolled: 2-line block ×4, first 2 shown]
	s_waitcnt vmcnt(21)
	v_fmac_f32_e32 v37, v5, v81
	v_add_f32_e32 v30, v30, v36
	ds_read_b128 v[26:29], v52 offset:608
	v_add_f32_e32 v34, v30, v37
	ds_read_b128 v[30:33], v52 offset:624
	buffer_load_dword v167, off, s[0:3], 0 offset:216
	buffer_load_dword v168, off, s[0:3], 0 offset:220
	;; [unrolled: 1-line block ×6, first 2 shown]
	s_waitcnt vmcnt(26) lgkmcnt(1)
	v_mul_f32_e32 v35, v26, v80
	v_fmac_f32_e32 v35, v27, v78
	buffer_load_dword v173, off, s[0:3], 0 offset:240
	buffer_load_dword v174, off, s[0:3], 0 offset:244
	v_add_f32_e32 v34, v34, v35
	s_waitcnt vmcnt(27)
	v_mul_f32_e32 v35, v28, v79
	v_fmac_f32_e32 v35, v29, v76
	v_add_f32_e32 v34, v34, v35
	s_waitcnt vmcnt(26) lgkmcnt(0)
	v_mul_f32_e32 v35, v30, v77
	v_fmac_f32_e32 v35, v31, v73
	buffer_load_dword v175, off, s[0:3], 0 offset:248
	buffer_load_dword v176, off, s[0:3], 0 offset:252
	v_add_f32_e32 v34, v34, v35
	s_waitcnt vmcnt(21)
	v_mul_f32_e32 v35, v32, v140
	s_waitcnt vmcnt(20)
	v_fmac_f32_e32 v35, v33, v142
	v_add_f32_e32 v42, v34, v35
	ds_read_b128 v[34:37], v52 offset:640
	buffer_load_dword v177, off, s[0:3], 0 offset:256
	buffer_load_dword v220, off, s[0:3], 0 offset:260
	ds_read_b128 v[38:41], v52 offset:656
	buffer_load_dword v221, off, s[0:3], 0 offset:264
	buffer_load_dword v222, off, s[0:3], 0 offset:268
	;; [unrolled: 1-line block ×12, first 2 shown]
	s_waitcnt lgkmcnt(1)
	v_mul_f32_e32 v43, v34, v83
	v_fmac_f32_e32 v43, v35, v82
	buffer_load_dword v233, off, s[0:3], 0 offset:312
	buffer_load_dword v234, off, s[0:3], 0 offset:316
	v_add_f32_e32 v42, v42, v43
	v_mul_f32_e32 v43, v36, v85
	v_fmac_f32_e32 v43, v37, v84
	v_add_f32_e32 v42, v42, v43
	s_waitcnt lgkmcnt(0)
	v_mul_f32_e32 v43, v38, v87
	buffer_load_dword v235, off, s[0:3], 0 offset:320
	buffer_load_dword v236, off, s[0:3], 0 offset:324
	v_fmac_f32_e32 v43, v39, v86
	v_add_f32_e32 v46, v42, v43
	ds_read_b128 v[42:45], v52 offset:672
	buffer_load_dword v237, off, s[0:3], 0 offset:328
	buffer_load_dword v238, off, s[0:3], 0 offset:332
	buffer_load_dword v239, off, s[0:3], 0 offset:336
	buffer_load_dword v240, off, s[0:3], 0 offset:340
	s_waitcnt vmcnt(38)
	v_mul_f32_e32 v47, v40, v160
	v_fmac_f32_e32 v47, v41, v88
	v_add_f32_e32 v89, v46, v47
	ds_read_b128 v[46:49], v52 offset:688
	buffer_load_dword v241, off, s[0:3], 0 offset:344
	buffer_load_dword v242, off, s[0:3], 0 offset:348
	;; [unrolled: 1-line block ×10, first 2 shown]
	s_waitcnt vmcnt(46) lgkmcnt(1)
	v_mul_f32_e32 v90, v42, v162
	v_fmac_f32_e32 v90, v43, v161
	v_add_f32_e32 v89, v89, v90
	s_waitcnt vmcnt(44)
	v_mul_f32_e32 v90, v44, v164
	v_fmac_f32_e32 v90, v45, v163
	v_add_f32_e32 v89, v89, v90
	s_waitcnt vmcnt(42) lgkmcnt(0)
	v_mul_f32_e32 v90, v46, v166
	v_fmac_f32_e32 v90, v47, v165
	v_add_f32_e32 v89, v89, v90
	buffer_load_dword v251, off, s[0:3], 0 offset:384
	buffer_load_dword v252, off, s[0:3], 0 offset:388
	;; [unrolled: 1-line block ×6, first 2 shown]
	ds_read_b128 v[90:93], v52 offset:704
	v_mul_f32_e32 v23, v23, v57
	v_fma_f32 v22, v22, v75, -v23
	v_mul_f32_e32 v23, v25, v56
	v_add_f32_e32 v22, 0, v22
	v_fma_f32 v23, v24, v72, -v23
	v_mul_f32_e32 v19, v19, v58
	v_add_f32_e32 v22, v22, v23
	;; [unrolled: 3-line block ×6, first 2 shown]
	v_fma_f32 v10, v10, v66, -v11
	s_waitcnt vmcnt(46)
	v_mul_f32_e32 v94, v48, v168
	v_fmac_f32_e32 v94, v49, v167
	v_add_f32_e32 v89, v89, v94
	ds_read_b128 v[94:97], v52 offset:720
	s_waitcnt vmcnt(44) lgkmcnt(1)
	v_mul_f32_e32 v98, v90, v170
	v_fmac_f32_e32 v98, v91, v169
	v_add_f32_e32 v89, v89, v98
	s_waitcnt vmcnt(42)
	v_mul_f32_e32 v98, v92, v172
	v_fmac_f32_e32 v98, v93, v171
	v_add_f32_e32 v89, v89, v98
	s_waitcnt vmcnt(40) lgkmcnt(0)
	v_mul_f32_e32 v98, v94, v174
	v_fmac_f32_e32 v98, v95, v173
	v_add_f32_e32 v89, v89, v98
	ds_read_b128 v[98:101], v52 offset:736
	s_waitcnt vmcnt(38)
	v_mul_f32_e32 v104, v96, v176
	v_fmac_f32_e32 v104, v97, v175
	v_add_f32_e32 v89, v89, v104
	ds_read_b128 v[104:107], v52 offset:752
	s_waitcnt vmcnt(36) lgkmcnt(1)
	v_mul_f32_e32 v108, v98, v220
	v_fmac_f32_e32 v108, v99, v177
	v_add_f32_e32 v89, v89, v108
	s_waitcnt vmcnt(34)
	v_mul_f32_e32 v108, v100, v222
	v_fmac_f32_e32 v108, v101, v221
	v_add_f32_e32 v89, v89, v108
	s_waitcnt vmcnt(32) lgkmcnt(0)
	v_mul_f32_e32 v108, v104, v224
	v_fmac_f32_e32 v108, v105, v223
	v_add_f32_e32 v89, v89, v108
	ds_read_b128 v[108:111], v52 offset:768
	;; [unrolled: 18-line block ×4, first 2 shown]
	s_waitcnt vmcnt(14)
	v_mul_f32_e32 v128, v122, v242
	v_fmac_f32_e32 v128, v123, v241
	v_add_f32_e32 v89, v89, v128
	ds_read_b128 v[128:131], v52 offset:848
	s_waitcnt vmcnt(12) lgkmcnt(1)
	v_mul_f32_e32 v132, v124, v244
	v_fmac_f32_e32 v132, v125, v243
	v_add_f32_e32 v89, v89, v132
	s_waitcnt vmcnt(10)
	v_mul_f32_e32 v132, v126, v246
	v_fmac_f32_e32 v132, v127, v245
	v_add_f32_e32 v89, v89, v132
	s_waitcnt vmcnt(8) lgkmcnt(0)
	v_mul_f32_e32 v132, v128, v248
	v_fmac_f32_e32 v132, v129, v247
	s_waitcnt vmcnt(6)
	v_mul_f32_e32 v136, v130, v250
	v_add_f32_e32 v1, v1, v10
	v_mul_f32_e32 v10, v13, v59
	v_add_f32_e32 v89, v89, v132
	v_fmac_f32_e32 v136, v131, v249
	v_fma_f32 v10, v12, v70, -v10
	v_mul_f32_e32 v7, v7, v60
	ds_read_b128 v[132:135], v52 offset:864
	v_add_f32_e32 v89, v89, v136
	ds_read_b128 v[136:139], v52 offset:880
	buffer_load_dword v145, off, s[0:3], 0 offset:436
	buffer_load_dword v144, off, s[0:3], 0 offset:432
	;; [unrolled: 1-line block ×16, first 2 shown]
	v_add_f32_e32 v1, v1, v10
	v_fma_f32 v6, v6, v67, -v7
	v_add_f32_e32 v1, v1, v6
	v_mul_f32_e32 v6, v9, v61
	v_fma_f32 v6, v8, v65, -v6
	v_mul_f32_e32 v3, v3, v62
	v_add_f32_e32 v1, v1, v6
	v_fma_f32 v2, v2, v64, -v3
	v_add_f32_e32 v1, v1, v2
	v_mul_f32_e32 v2, v5, v63
	v_fma_f32 v2, v4, v81, -v2
	v_add_f32_e32 v1, v1, v2
	v_mul_f32_e32 v2, v27, v80
	;; [unrolled: 3-line block ×33, first 2 shown]
	v_fma_f32 v2, v130, v249, -v2
	s_waitcnt vmcnt(20) lgkmcnt(1)
	v_mul_f32_e32 v141, v132, v252
	v_add_f32_e32 v1, v1, v2
	v_mul_f32_e32 v2, v133, v252
	v_fmac_f32_e32 v141, v133, v251
	v_fma_f32 v2, v132, v251, -v2
	s_waitcnt vmcnt(9)
	v_mov_b32_e32 v18, v151
	v_add_f32_e32 v89, v89, v141
	v_mul_f32_e32 v141, v134, v254
	v_add_f32_e32 v88, v1, v2
	v_mul_f32_e32 v1, v135, v254
	s_waitcnt lgkmcnt(0)
	v_pk_mul_f32 v[18:19], v[138:139], v[18:19] op_sel_hi:[1,0]
	v_fmac_f32_e32 v141, v135, v253
	v_mul_f32_e32 v143, v136, v178
	v_fma_f32 v140, v134, v253, -v1
	v_mul_f32_e32 v1, v137, v178
	ds_read_b128 v[2:5], v52 offset:896
	ds_read_b128 v[6:9], v52 offset:912
	;; [unrolled: 1-line block ×3, first 2 shown]
	ds_read_b64 v[14:15], v52 offset:944
	s_waitcnt vmcnt(8)
	v_pk_fma_f32 v[20:21], v[138:139], v[150:151], v[18:19] op_sel:[0,0,1] op_sel_hi:[1,1,0] neg_lo:[0,0,1] neg_hi:[0,0,1]
	v_pk_fma_f32 v[18:19], v[138:139], v[150:151], v[18:19] op_sel:[0,0,1] op_sel_hi:[1,0,0]
	v_fmac_f32_e32 v143, v137, v255
	v_fma_f32 v142, v136, v255, -v1
	v_pk_add_f32 v[16:17], v[88:89], v[140:141]
	v_mov_b32_e32 v18, v149
	v_pk_add_f32 v[16:17], v[16:17], v[142:143]
	v_mov_b32_e32 v21, v19
	s_waitcnt lgkmcnt(3)
	v_pk_mul_f32 v[18:19], v[2:3], v[18:19] op_sel_hi:[1,0]
	v_pk_add_f32 v[16:17], v[16:17], v[20:21]
	v_pk_fma_f32 v[20:21], v[2:3], v[148:149], v[18:19] op_sel:[0,0,1] op_sel_hi:[1,1,0] neg_lo:[0,0,1] neg_hi:[0,0,1]
	v_pk_fma_f32 v[2:3], v[2:3], v[148:149], v[18:19] op_sel:[0,0,1] op_sel_hi:[1,0,0]
	v_mov_b32_e32 v21, v3
	v_pk_add_f32 v[2:3], v[16:17], v[20:21]
	v_mov_b32_e32 v16, v147
	v_pk_mul_f32 v[16:17], v[4:5], v[16:17] op_sel_hi:[1,0]
	v_pk_fma_f32 v[18:19], v[4:5], v[146:147], v[16:17] op_sel:[0,0,1] op_sel_hi:[1,1,0] neg_lo:[0,0,1] neg_hi:[0,0,1]
	v_pk_fma_f32 v[4:5], v[4:5], v[146:147], v[16:17] op_sel:[0,0,1] op_sel_hi:[1,0,0]
	v_mov_b32_e32 v4, v145
	v_mov_b32_e32 v19, v5
	s_waitcnt lgkmcnt(2)
	v_pk_mul_f32 v[4:5], v[6:7], v[4:5] op_sel_hi:[1,0]
	v_pk_fma_f32 v[16:17], v[6:7], v[144:145], v[4:5] op_sel:[0,0,1] op_sel_hi:[1,1,0] neg_lo:[0,0,1] neg_hi:[0,0,1]
	v_pk_fma_f32 v[4:5], v[6:7], v[144:145], v[4:5] op_sel:[0,0,1] op_sel_hi:[1,0,0]
	s_waitcnt vmcnt(1)
	v_mov_b32_e32 v4, v159
	v_mov_b32_e32 v17, v5
	v_pk_mul_f32 v[4:5], v[8:9], v[4:5] op_sel_hi:[1,0]
	s_waitcnt vmcnt(0)
	v_pk_fma_f32 v[6:7], v[8:9], v[158:159], v[4:5] op_sel:[0,0,1] op_sel_hi:[1,1,0] neg_lo:[0,0,1] neg_hi:[0,0,1]
	v_pk_fma_f32 v[4:5], v[8:9], v[158:159], v[4:5] op_sel:[0,0,1] op_sel_hi:[1,0,0]
	v_pk_add_f32 v[2:3], v[2:3], v[18:19]
	v_mov_b32_e32 v4, v157
	v_pk_add_f32 v[2:3], v[2:3], v[16:17]
	v_mov_b32_e32 v7, v5
	s_waitcnt lgkmcnt(1)
	v_pk_mul_f32 v[4:5], v[10:11], v[4:5] op_sel_hi:[1,0]
	v_pk_add_f32 v[2:3], v[2:3], v[6:7]
	v_pk_fma_f32 v[6:7], v[10:11], v[156:157], v[4:5] op_sel:[0,0,1] op_sel_hi:[1,1,0] neg_lo:[0,0,1] neg_hi:[0,0,1]
	v_pk_fma_f32 v[4:5], v[10:11], v[156:157], v[4:5] op_sel:[0,0,1] op_sel_hi:[1,0,0]
	v_mov_b32_e32 v4, v155
	v_mov_b32_e32 v7, v5
	v_pk_mul_f32 v[4:5], v[12:13], v[4:5] op_sel_hi:[1,0]
	v_pk_add_f32 v[2:3], v[2:3], v[6:7]
	v_pk_fma_f32 v[6:7], v[12:13], v[154:155], v[4:5] op_sel:[0,0,1] op_sel_hi:[1,1,0] neg_lo:[0,0,1] neg_hi:[0,0,1]
	v_pk_fma_f32 v[4:5], v[12:13], v[154:155], v[4:5] op_sel:[0,0,1] op_sel_hi:[1,0,0]
	v_mov_b32_e32 v4, v153
	v_mov_b32_e32 v7, v5
	s_waitcnt lgkmcnt(0)
	v_pk_mul_f32 v[4:5], v[14:15], v[4:5] op_sel_hi:[1,0]
	v_pk_add_f32 v[2:3], v[2:3], v[6:7]
	v_pk_fma_f32 v[6:7], v[14:15], v[152:153], v[4:5] op_sel:[0,0,1] op_sel_hi:[1,1,0] neg_lo:[0,0,1] neg_hi:[0,0,1]
	v_pk_fma_f32 v[4:5], v[14:15], v[152:153], v[4:5] op_sel:[0,0,1] op_sel_hi:[1,0,0]
	v_mov_b32_e32 v7, v5
	v_pk_add_f32 v[2:3], v[2:3], v[6:7]
	v_pk_add_f32 v[2:3], v[50:51], v[2:3] neg_lo:[0,1] neg_hi:[0,1]
	buffer_store_dword v3, off, s[0:3], 0 offset:28
	buffer_store_dword v2, off, s[0:3], 0 offset:24
	s_and_saveexec_b64 s[4:5], vcc
	s_cbranch_execz .LBB58_363
; %bb.362:
	buffer_load_dword v2, off, s[0:3], 0 offset:16
	buffer_load_dword v3, off, s[0:3], 0 offset:20
	s_waitcnt vmcnt(0)
	ds_write_b64 v187, v[2:3]
	buffer_store_dword v52, off, s[0:3], 0 offset:16
	buffer_store_dword v52, off, s[0:3], 0 offset:20
.LBB58_363:
	s_or_b64 exec, exec, s[4:5]
	s_waitcnt lgkmcnt(0)
	; wave barrier
	s_waitcnt lgkmcnt(0)
	buffer_load_dword v57, off, s[0:3], 0 offset:28
	buffer_load_dword v56, off, s[0:3], 0 offset:36
	;; [unrolled: 1-line block ×40, first 2 shown]
	ds_read2_b64 v[26:29], v52 offset0:63 offset1:64
	ds_read2_b64 v[22:25], v52 offset0:65 offset1:66
	;; [unrolled: 1-line block ×7, first 2 shown]
	buffer_load_dword v90, off, s[0:3], 0 offset:176
	buffer_load_dword v91, off, s[0:3], 0 offset:180
	;; [unrolled: 1-line block ×10, first 2 shown]
	v_cmp_lt_u32_e32 vcc, 1, v0
	s_waitcnt vmcnt(49) lgkmcnt(6)
	v_mul_f32_e32 v30, v26, v57
	s_waitcnt vmcnt(48)
	v_mul_f32_e32 v31, v28, v56
	s_waitcnt vmcnt(47) lgkmcnt(5)
	v_mul_f32_e32 v33, v24, v55
	s_waitcnt vmcnt(46) lgkmcnt(4)
	v_mul_f32_e32 v34, v18, v54
	s_waitcnt vmcnt(45)
	v_mul_f32_e32 v35, v20, v1
	s_waitcnt vmcnt(44)
	v_mul_f32_e32 v32, v22, v58
	s_waitcnt vmcnt(43) lgkmcnt(3)
	v_mul_f32_e32 v36, v14, v53
	s_waitcnt vmcnt(42)
	v_mul_f32_e32 v37, v16, v59
	s_waitcnt vmcnt(41) lgkmcnt(2)
	;; [unrolled: 4-line block ×3, first 2 shown]
	v_mul_f32_e32 v40, v6, v62
	s_waitcnt vmcnt(38)
	v_mul_f32_e32 v41, v8, v63
	s_waitcnt vmcnt(37)
	v_fmac_f32_e32 v32, v23, v69
	s_waitcnt vmcnt(36)
	v_fmac_f32_e32 v31, v29, v72
	;; [unrolled: 2-line block ×3, first 2 shown]
	v_add_f32_e32 v30, 0, v30
	v_add_f32_e32 v30, v30, v31
	;; [unrolled: 1-line block ×3, first 2 shown]
	s_waitcnt vmcnt(31)
	v_fmac_f32_e32 v33, v25, v74
	v_fmac_f32_e32 v34, v19, v71
	v_add_f32_e32 v30, v30, v33
	v_fmac_f32_e32 v35, v21, v68
	v_add_f32_e32 v30, v30, v34
	;; [unrolled: 2-line block ×3, first 2 shown]
	s_waitcnt vmcnt(27)
	v_fmac_f32_e32 v37, v17, v70
	v_add_f32_e32 v30, v30, v36
	v_fmac_f32_e32 v38, v11, v67
	v_add_f32_e32 v30, v30, v37
	;; [unrolled: 2-line block ×4, first 2 shown]
	s_waitcnt vmcnt(23)
	v_fmac_f32_e32 v41, v9, v81
	v_add_f32_e32 v30, v30, v40
	v_add_f32_e32 v34, v30, v41
	ds_read2_b64 v[30:33], v52 offset0:77 offset1:78
	s_waitcnt vmcnt(22) lgkmcnt(1)
	v_mul_f32_e32 v35, v2, v80
	buffer_load_dword v169, off, s[0:3], 0 offset:216
	buffer_load_dword v170, off, s[0:3], 0 offset:220
	v_fmac_f32_e32 v35, v3, v78
	v_add_f32_e32 v34, v34, v35
	s_waitcnt vmcnt(23)
	v_mul_f32_e32 v35, v4, v79
	buffer_load_dword v171, off, s[0:3], 0 offset:224
	buffer_load_dword v172, off, s[0:3], 0 offset:228
	v_fmac_f32_e32 v35, v5, v76
	v_add_f32_e32 v34, v34, v35
	s_waitcnt vmcnt(24) lgkmcnt(0)
	v_mul_f32_e32 v35, v30, v77
	buffer_load_dword v173, off, s[0:3], 0 offset:232
	buffer_load_dword v174, off, s[0:3], 0 offset:236
	v_fmac_f32_e32 v35, v31, v73
	v_add_f32_e32 v38, v34, v35
	s_waitcnt vmcnt(19)
	v_mul_f32_e32 v39, v32, v89
	ds_read2_b64 v[34:37], v52 offset0:79 offset1:80
	buffer_load_dword v175, off, s[0:3], 0 offset:240
	buffer_load_dword v176, off, s[0:3], 0 offset:244
	s_waitcnt vmcnt(20)
	v_fmac_f32_e32 v39, v33, v88
	v_add_f32_e32 v42, v38, v39
	ds_read2_b64 v[38:41], v52 offset0:81 offset1:82
	buffer_load_dword v177, off, s[0:3], 0 offset:248
	buffer_load_dword v178, off, s[0:3], 0 offset:252
	buffer_load_dword v179, off, s[0:3], 0 offset:256
	buffer_load_dword v220, off, s[0:3], 0 offset:260
	buffer_load_dword v221, off, s[0:3], 0 offset:264
	buffer_load_dword v222, off, s[0:3], 0 offset:268
	buffer_load_dword v223, off, s[0:3], 0 offset:272
	buffer_load_dword v224, off, s[0:3], 0 offset:276
	s_waitcnt lgkmcnt(1)
	v_mul_f32_e32 v43, v34, v83
	buffer_load_dword v225, off, s[0:3], 0 offset:280
	buffer_load_dword v226, off, s[0:3], 0 offset:284
	v_fmac_f32_e32 v43, v35, v82
	v_add_f32_e32 v42, v42, v43
	v_mul_f32_e32 v43, v36, v85
	buffer_load_dword v227, off, s[0:3], 0 offset:288
	buffer_load_dword v228, off, s[0:3], 0 offset:292
	v_fmac_f32_e32 v43, v37, v84
	v_add_f32_e32 v42, v42, v43
	s_waitcnt lgkmcnt(0)
	v_mul_f32_e32 v43, v38, v87
	buffer_load_dword v229, off, s[0:3], 0 offset:296
	buffer_load_dword v230, off, s[0:3], 0 offset:300
	v_fmac_f32_e32 v43, v39, v86
	v_add_f32_e32 v42, v42, v43
	s_waitcnt vmcnt(30)
	v_mul_f32_e32 v43, v40, v91
	buffer_load_dword v231, off, s[0:3], 0 offset:304
	buffer_load_dword v232, off, s[0:3], 0 offset:308
	v_fmac_f32_e32 v43, v41, v90
	v_add_f32_e32 v95, v42, v43
	ds_read2_b64 v[42:45], v52 offset0:83 offset1:84
	buffer_load_dword v233, off, s[0:3], 0 offset:312
	buffer_load_dword v234, off, s[0:3], 0 offset:316
	ds_read2_b64 v[46:49], v52 offset0:85 offset1:86
	buffer_load_dword v235, off, s[0:3], 0 offset:320
	buffer_load_dword v236, off, s[0:3], 0 offset:324
	;; [unrolled: 1-line block ×10, first 2 shown]
	s_waitcnt vmcnt(42) lgkmcnt(1)
	v_mul_f32_e32 v96, v42, v93
	buffer_load_dword v245, off, s[0:3], 0 offset:360
	buffer_load_dword v246, off, s[0:3], 0 offset:364
	v_fmac_f32_e32 v96, v43, v92
	v_add_f32_e32 v95, v95, v96
	s_waitcnt vmcnt(42)
	v_mul_f32_e32 v96, v44, v100
	buffer_load_dword v247, off, s[0:3], 0 offset:368
	buffer_load_dword v248, off, s[0:3], 0 offset:372
	v_fmac_f32_e32 v96, v45, v94
	v_add_f32_e32 v95, v95, v96
	s_waitcnt vmcnt(42) lgkmcnt(0)
	v_mul_f32_e32 v96, v46, v166
	buffer_load_dword v249, off, s[0:3], 0 offset:376
	buffer_load_dword v250, off, s[0:3], 0 offset:380
	v_fmac_f32_e32 v96, v47, v154
	v_mul_f32_e32 v27, v27, v57
	v_add_f32_e32 v95, v95, v96
	ds_read2_b64 v[96:99], v52 offset0:87 offset1:88
	buffer_load_dword v251, off, s[0:3], 0 offset:384
	buffer_load_dword v252, off, s[0:3], 0 offset:388
	v_fma_f32 v26, v26, v75, -v27
	v_mul_f32_e32 v27, v29, v56
	v_add_f32_e32 v26, 0, v26
	v_fma_f32 v27, v28, v72, -v27
	v_mul_f32_e32 v23, v23, v58
	v_add_f32_e32 v26, v26, v27
	v_fma_f32 v22, v22, v69, -v23
	v_mul_f32_e32 v23, v25, v55
	buffer_load_dword v253, off, s[0:3], 0 offset:392
	buffer_load_dword v254, off, s[0:3], 0 offset:396
	v_add_f32_e32 v22, v26, v22
	v_fma_f32 v23, v24, v74, -v23
	v_mul_f32_e32 v19, v19, v54
	ds_read2_b64 v[104:107], v52 offset0:89 offset1:90
	buffer_load_dword v255, off, s[0:3], 0 offset:400
	buffer_load_dword v180, off, s[0:3], 0 offset:404
	ds_read2_b64 v[108:111], v52 offset0:91 offset1:92
	ds_read2_b64 v[112:115], v52 offset0:93 offset1:94
	;; [unrolled: 1-line block ×10, first 2 shown]
	buffer_load_dword v149, off, s[0:3], 0 offset:428
	buffer_load_dword v148, off, s[0:3], 0 offset:424
	;; [unrolled: 1-line block ×6, first 2 shown]
	v_add_f32_e32 v22, v22, v23
	v_fma_f32 v18, v18, v71, -v19
	v_mul_f32_e32 v1, v21, v1
	v_add_f32_e32 v18, v22, v18
	v_fma_f32 v1, v20, v68, -v1
	v_mul_f32_e32 v15, v15, v53
	v_add_f32_e32 v1, v18, v1
	v_fma_f32 v14, v14, v66, -v15
	v_add_f32_e32 v1, v1, v14
	v_mul_f32_e32 v14, v17, v59
	v_fma_f32 v14, v16, v70, -v14
	v_mul_f32_e32 v11, v11, v60
	v_add_f32_e32 v1, v1, v14
	v_fma_f32 v10, v10, v67, -v11
	v_add_f32_e32 v1, v1, v10
	v_mul_f32_e32 v10, v13, v61
	;; [unrolled: 6-line block ×3, first 2 shown]
	v_fma_f32 v6, v8, v81, -v6
	v_mul_f32_e32 v3, v3, v80
	v_add_f32_e32 v1, v1, v6
	v_fma_f32 v2, v2, v78, -v3
	buffer_load_dword v157, off, s[0:3], 0 offset:460
	buffer_load_dword v156, off, s[0:3], 0 offset:456
	;; [unrolled: 1-line block ×10, first 2 shown]
	v_add_f32_e32 v1, v1, v2
	v_mul_f32_e32 v2, v5, v79
	v_fma_f32 v2, v4, v76, -v2
	v_add_f32_e32 v1, v1, v2
	v_mul_f32_e32 v2, v31, v77
	v_fma_f32 v2, v30, v73, -v2
	;; [unrolled: 3-line block ×10, first 2 shown]
	v_add_f32_e32 v1, v1, v2
	s_waitcnt vmcnt(62)
	v_mul_f32_e32 v2, v49, v168
	v_mul_f32_e32 v101, v48, v168
	v_fma_f32 v2, v48, v167, -v2
	v_fmac_f32_e32 v101, v49, v167
	v_add_f32_e32 v1, v1, v2
	s_waitcnt lgkmcnt(11)
	v_mul_f32_e32 v2, v97, v170
	v_add_f32_e32 v95, v95, v101
	v_mul_f32_e32 v101, v96, v170
	v_fma_f32 v2, v96, v169, -v2
	v_fmac_f32_e32 v101, v97, v169
	v_add_f32_e32 v1, v1, v2
	s_waitcnt vmcnt(60)
	v_mul_f32_e32 v2, v99, v172
	v_add_f32_e32 v95, v95, v101
	v_mul_f32_e32 v101, v98, v172
	v_fma_f32 v2, v98, v171, -v2
	v_fmac_f32_e32 v101, v99, v171
	v_add_f32_e32 v1, v1, v2
	s_waitcnt vmcnt(58) lgkmcnt(10)
	v_mul_f32_e32 v2, v105, v174
	v_add_f32_e32 v95, v95, v101
	v_mul_f32_e32 v101, v104, v174
	v_fma_f32 v2, v104, v173, -v2
	v_fmac_f32_e32 v101, v105, v173
	v_add_f32_e32 v1, v1, v2
	s_waitcnt vmcnt(56)
	v_mul_f32_e32 v2, v107, v176
	v_add_f32_e32 v95, v95, v101
	v_mul_f32_e32 v101, v106, v176
	v_fma_f32 v2, v106, v175, -v2
	v_fmac_f32_e32 v101, v107, v175
	v_add_f32_e32 v1, v1, v2
	s_waitcnt vmcnt(54) lgkmcnt(9)
	;; [unrolled: 14-line block ×10, first 2 shown]
	v_mul_f32_e32 v2, v141, v250
	v_add_f32_e32 v95, v95, v101
	v_mul_f32_e32 v101, v140, v250
	v_fma_f32 v2, v140, v249, -v2
	v_fmac_f32_e32 v101, v141, v249
	v_add_f32_e32 v1, v1, v2
	s_waitcnt vmcnt(20)
	v_mul_f32_e32 v2, v143, v252
	v_add_f32_e32 v95, v95, v101
	v_mul_f32_e32 v101, v142, v252
	v_fma_f32 v2, v142, v251, -v2
	v_fmac_f32_e32 v101, v143, v251
	v_add_f32_e32 v94, v1, v2
	ds_read2_b64 v[2:5], v52 offset0:111 offset1:112
	ds_read2_b64 v[6:9], v52 offset0:113 offset1:114
	;; [unrolled: 1-line block ×4, first 2 shown]
	v_add_f32_e32 v95, v95, v101
	s_waitcnt vmcnt(18) lgkmcnt(4)
	v_mul_f32_e32 v101, v144, v254
	v_mul_f32_e32 v1, v145, v254
	s_waitcnt vmcnt(11)
	v_mov_b32_e32 v20, v153
	v_fmac_f32_e32 v101, v145, v253
	v_mul_f32_e32 v155, v146, v180
	v_fma_f32 v100, v144, v253, -v1
	v_mul_f32_e32 v1, v147, v180
	s_waitcnt lgkmcnt(3)
	v_pk_mul_f32 v[20:21], v[2:3], v[20:21] op_sel_hi:[1,0]
	v_fmac_f32_e32 v155, v147, v255
	v_fma_f32 v154, v146, v255, -v1
	v_pk_add_f32 v[18:19], v[94:95], v[100:101]
	s_waitcnt vmcnt(10)
	v_pk_fma_f32 v[22:23], v[2:3], v[152:153], v[20:21] op_sel:[0,0,1] op_sel_hi:[1,1,0] neg_lo:[0,0,1] neg_hi:[0,0,1]
	v_pk_fma_f32 v[2:3], v[2:3], v[152:153], v[20:21] op_sel:[0,0,1] op_sel_hi:[1,0,0]
	v_pk_add_f32 v[18:19], v[18:19], v[154:155]
	v_mov_b32_e32 v23, v3
	v_pk_add_f32 v[2:3], v[18:19], v[22:23]
	v_mov_b32_e32 v18, v151
	v_pk_mul_f32 v[18:19], v[4:5], v[18:19] op_sel_hi:[1,0]
	v_pk_fma_f32 v[20:21], v[4:5], v[150:151], v[18:19] op_sel:[0,0,1] op_sel_hi:[1,1,0] neg_lo:[0,0,1] neg_hi:[0,0,1]
	v_pk_fma_f32 v[4:5], v[4:5], v[150:151], v[18:19] op_sel:[0,0,1] op_sel_hi:[1,0,0]
	v_mov_b32_e32 v4, v149
	v_mov_b32_e32 v21, v5
	s_waitcnt lgkmcnt(2)
	v_pk_mul_f32 v[4:5], v[6:7], v[4:5] op_sel_hi:[1,0]
	v_pk_fma_f32 v[18:19], v[6:7], v[148:149], v[4:5] op_sel:[0,0,1] op_sel_hi:[1,1,0] neg_lo:[0,0,1] neg_hi:[0,0,1]
	v_pk_fma_f32 v[4:5], v[6:7], v[148:149], v[4:5] op_sel:[0,0,1] op_sel_hi:[1,0,0]
	s_waitcnt vmcnt(3)
	v_mov_b32_e32 v4, v163
	v_mov_b32_e32 v19, v5
	v_pk_mul_f32 v[4:5], v[8:9], v[4:5] op_sel_hi:[1,0]
	s_waitcnt vmcnt(2)
	v_pk_fma_f32 v[6:7], v[8:9], v[162:163], v[4:5] op_sel:[0,0,1] op_sel_hi:[1,1,0] neg_lo:[0,0,1] neg_hi:[0,0,1]
	v_pk_fma_f32 v[4:5], v[8:9], v[162:163], v[4:5] op_sel:[0,0,1] op_sel_hi:[1,0,0]
	v_pk_add_f32 v[2:3], v[2:3], v[20:21]
	v_mov_b32_e32 v4, v161
	v_pk_add_f32 v[2:3], v[2:3], v[18:19]
	v_mov_b32_e32 v7, v5
	s_waitcnt lgkmcnt(1)
	v_pk_mul_f32 v[4:5], v[10:11], v[4:5] op_sel_hi:[1,0]
	v_pk_add_f32 v[2:3], v[2:3], v[6:7]
	v_pk_fma_f32 v[6:7], v[10:11], v[160:161], v[4:5] op_sel:[0,0,1] op_sel_hi:[1,1,0] neg_lo:[0,0,1] neg_hi:[0,0,1]
	v_pk_fma_f32 v[4:5], v[10:11], v[160:161], v[4:5] op_sel:[0,0,1] op_sel_hi:[1,0,0]
	v_mov_b32_e32 v4, v159
	v_mov_b32_e32 v7, v5
	v_pk_mul_f32 v[4:5], v[12:13], v[4:5] op_sel_hi:[1,0]
	v_pk_add_f32 v[2:3], v[2:3], v[6:7]
	v_pk_fma_f32 v[6:7], v[12:13], v[158:159], v[4:5] op_sel:[0,0,1] op_sel_hi:[1,1,0] neg_lo:[0,0,1] neg_hi:[0,0,1]
	v_pk_fma_f32 v[4:5], v[12:13], v[158:159], v[4:5] op_sel:[0,0,1] op_sel_hi:[1,0,0]
	v_mov_b32_e32 v4, v157
	v_mov_b32_e32 v7, v5
	s_waitcnt lgkmcnt(0)
	v_pk_mul_f32 v[4:5], v[14:15], v[4:5] op_sel_hi:[1,0]
	v_pk_add_f32 v[2:3], v[2:3], v[6:7]
	v_pk_fma_f32 v[6:7], v[14:15], v[156:157], v[4:5] op_sel:[0,0,1] op_sel_hi:[1,1,0] neg_lo:[0,0,1] neg_hi:[0,0,1]
	v_pk_fma_f32 v[4:5], v[14:15], v[156:157], v[4:5] op_sel:[0,0,1] op_sel_hi:[1,0,0]
	s_waitcnt vmcnt(1)
	v_mov_b32_e32 v4, v165
	v_mov_b32_e32 v7, v5
	v_pk_mul_f32 v[4:5], v[16:17], v[4:5] op_sel_hi:[1,0]
	v_pk_add_f32 v[2:3], v[2:3], v[6:7]
	s_waitcnt vmcnt(0)
	v_pk_fma_f32 v[6:7], v[16:17], v[164:165], v[4:5] op_sel:[0,0,1] op_sel_hi:[1,1,0] neg_lo:[0,0,1] neg_hi:[0,0,1]
	v_pk_fma_f32 v[4:5], v[16:17], v[164:165], v[4:5] op_sel:[0,0,1] op_sel_hi:[1,0,0]
	v_mov_b32_e32 v7, v5
	v_pk_add_f32 v[2:3], v[2:3], v[6:7]
	v_pk_add_f32 v[2:3], v[50:51], v[2:3] neg_lo:[0,1] neg_hi:[0,1]
	buffer_store_dword v3, off, s[0:3], 0 offset:20
	buffer_store_dword v2, off, s[0:3], 0 offset:16
	s_and_saveexec_b64 s[4:5], vcc
	s_cbranch_execz .LBB58_365
; %bb.364:
	buffer_load_dword v2, off, s[0:3], 0 offset:8
	buffer_load_dword v3, off, s[0:3], 0 offset:12
	v_mov_b32_e32 v1, 0
	buffer_store_dword v1, off, s[0:3], 0 offset:8
	buffer_store_dword v1, off, s[0:3], 0 offset:12
	s_waitcnt vmcnt(2)
	ds_write_b64 v187, v[2:3]
.LBB58_365:
	s_or_b64 exec, exec, s[4:5]
	v_mov_b32_e32 v244, 0
	s_waitcnt lgkmcnt(0)
	; wave barrier
	s_waitcnt lgkmcnt(0)
	ds_read_b128 v[2:5], v244 offset:496
	buffer_load_dword v220, off, s[0:3], 0 offset:8
	buffer_load_dword v221, off, s[0:3], 0 offset:12
	;; [unrolled: 1-line block ×16, first 2 shown]
	v_cmp_ne_u32_e32 vcc, 0, v0
	s_waitcnt vmcnt(12) lgkmcnt(0)
	v_mul_f32_e32 v1, v2, v245
	v_fmac_f32_e32 v1, v3, v222
	s_waitcnt vmcnt(10)
	v_mul_f32_e32 v6, v4, v247
	v_add_f32_e32 v1, 0, v1
	v_fmac_f32_e32 v6, v5, v224
	v_add_f32_e32 v1, v1, v6
	ds_read_b128 v[6:9], v244 offset:512
	v_mul_f32_e32 v3, v3, v245
	v_fma_f32 v2, v2, v222, -v3
	v_mul_f32_e32 v3, v5, v247
	v_add_f32_e32 v2, 0, v2
	s_waitcnt vmcnt(8) lgkmcnt(0)
	v_mul_f32_e32 v10, v6, v249
	v_fmac_f32_e32 v10, v7, v228
	v_add_f32_e32 v1, v1, v10
	s_waitcnt vmcnt(6)
	v_mul_f32_e32 v10, v8, v251
	v_fmac_f32_e32 v10, v9, v246
	v_add_f32_e32 v1, v1, v10
	ds_read_b128 v[10:13], v244 offset:528
	v_fma_f32 v3, v4, v224, -v3
	v_add_f32_e32 v2, v2, v3
	v_mul_f32_e32 v3, v7, v249
	v_fma_f32 v3, v6, v228, -v3
	s_waitcnt vmcnt(4) lgkmcnt(0)
	v_mul_f32_e32 v14, v10, v253
	v_fmac_f32_e32 v14, v11, v248
	v_add_f32_e32 v1, v1, v14
	s_waitcnt vmcnt(2)
	v_mul_f32_e32 v14, v12, v254
	v_fmac_f32_e32 v14, v13, v250
	v_add_f32_e32 v1, v1, v14
	ds_read_b128 v[14:17], v244 offset:544
	v_add_f32_e32 v2, v2, v3
	v_mul_f32_e32 v3, v9, v251
	v_fma_f32 v3, v8, v246, -v3
	v_add_f32_e32 v2, v2, v3
	s_waitcnt vmcnt(0) lgkmcnt(0)
	v_mul_f32_e32 v18, v14, v255
	v_fmac_f32_e32 v18, v15, v252
	v_add_f32_e32 v18, v1, v18
	buffer_load_dword v1, off, s[0:3], 0 offset:72
	buffer_load_dword v104, off, s[0:3], 0 offset:76
	v_mul_f32_e32 v3, v11, v253
	v_fma_f32 v3, v10, v248, -v3
	v_add_f32_e32 v2, v2, v3
	v_mul_f32_e32 v3, v13, v254
	v_fma_f32 v3, v12, v250, -v3
	v_add_f32_e32 v2, v2, v3
	;; [unrolled: 3-line block ×3, first 2 shown]
	s_waitcnt vmcnt(0)
	v_mul_f32_e32 v19, v16, v104
	v_fmac_f32_e32 v19, v17, v1
	v_add_f32_e32 v22, v18, v19
	ds_read_b128 v[18:21], v244 offset:560
	buffer_load_dword v105, off, s[0:3], 0 offset:80
	buffer_load_dword v106, off, s[0:3], 0 offset:84
	buffer_load_dword v107, off, s[0:3], 0 offset:88
	buffer_load_dword v108, off, s[0:3], 0 offset:92
	v_mul_f32_e32 v3, v17, v104
	v_fma_f32 v1, v16, v1, -v3
	v_add_f32_e32 v1, v2, v1
	s_waitcnt vmcnt(2) lgkmcnt(0)
	v_mul_f32_e32 v23, v18, v106
	v_fmac_f32_e32 v23, v19, v105
	v_add_f32_e32 v22, v22, v23
	s_waitcnt vmcnt(0)
	v_mul_f32_e32 v23, v20, v108
	v_fmac_f32_e32 v23, v21, v107
	v_add_f32_e32 v26, v22, v23
	ds_read_b128 v[22:25], v244 offset:576
	buffer_load_dword v109, off, s[0:3], 0 offset:96
	buffer_load_dword v110, off, s[0:3], 0 offset:100
	buffer_load_dword v111, off, s[0:3], 0 offset:104
	buffer_load_dword v112, off, s[0:3], 0 offset:108
	v_mul_f32_e32 v2, v19, v106
	v_fma_f32 v2, v18, v105, -v2
	v_add_f32_e32 v1, v1, v2
	v_mul_f32_e32 v2, v21, v108
	v_fma_f32 v2, v20, v107, -v2
	v_add_f32_e32 v1, v1, v2
	s_waitcnt vmcnt(2) lgkmcnt(0)
	v_mul_f32_e32 v27, v22, v110
	v_fmac_f32_e32 v27, v23, v109
	v_add_f32_e32 v26, v26, v27
	s_waitcnt vmcnt(0)
	v_mul_f32_e32 v27, v24, v112
	v_fmac_f32_e32 v27, v25, v111
	v_add_f32_e32 v30, v26, v27
	ds_read_b128 v[26:29], v244 offset:592
	buffer_load_dword v113, off, s[0:3], 0 offset:112
	buffer_load_dword v114, off, s[0:3], 0 offset:116
	buffer_load_dword v115, off, s[0:3], 0 offset:120
	buffer_load_dword v116, off, s[0:3], 0 offset:124
	v_mul_f32_e32 v2, v23, v110
	v_fma_f32 v2, v22, v109, -v2
	v_add_f32_e32 v1, v1, v2
	;; [unrolled: 19-line block ×6, first 2 shown]
	v_mul_f32_e32 v2, v41, v128
	v_fma_f32 v2, v40, v127, -v2
	v_add_f32_e32 v1, v1, v2
	s_waitcnt vmcnt(2) lgkmcnt(0)
	v_mul_f32_e32 v47, v42, v130
	v_fmac_f32_e32 v47, v43, v129
	v_add_f32_e32 v46, v46, v47
	s_waitcnt vmcnt(0)
	v_mul_f32_e32 v47, v44, v132
	v_fmac_f32_e32 v47, v45, v131
	v_add_f32_e32 v50, v46, v47
	ds_read_b128 v[46:49], v244 offset:672
	buffer_load_dword v133, off, s[0:3], 0 offset:192
	buffer_load_dword v134, off, s[0:3], 0 offset:196
	buffer_load_dword v135, off, s[0:3], 0 offset:200
	buffer_load_dword v136, off, s[0:3], 0 offset:204
	ds_read_b128 v[54:57], v244 offset:688
	buffer_load_dword v137, off, s[0:3], 0 offset:208
	buffer_load_dword v138, off, s[0:3], 0 offset:212
	buffer_load_dword v139, off, s[0:3], 0 offset:216
	buffer_load_dword v140, off, s[0:3], 0 offset:220
	;; [unrolled: 5-line block ×13, first 2 shown]
	v_mul_f32_e32 v2, v43, v130
	v_fma_f32 v2, v42, v129, -v2
	v_add_f32_e32 v1, v1, v2
	v_mul_f32_e32 v2, v45, v132
	v_fma_f32 v2, v44, v131, -v2
	v_add_f32_e32 v1, v1, v2
	s_waitcnt vmcnt(50) lgkmcnt(12)
	v_mul_f32_e32 v51, v46, v134
	v_fmac_f32_e32 v51, v47, v133
	v_add_f32_e32 v50, v50, v51
	s_waitcnt vmcnt(48)
	v_mul_f32_e32 v51, v48, v136
	v_fmac_f32_e32 v51, v49, v135
	v_add_f32_e32 v50, v50, v51
	s_waitcnt vmcnt(46) lgkmcnt(11)
	v_mul_f32_e32 v51, v54, v138
	v_fmac_f32_e32 v51, v55, v137
	v_add_f32_e32 v50, v50, v51
	s_waitcnt vmcnt(44)
	v_mul_f32_e32 v51, v56, v140
	v_fmac_f32_e32 v51, v57, v139
	;; [unrolled: 8-line block ×12, first 2 shown]
	v_add_f32_e32 v50, v50, v51
	s_waitcnt vmcnt(2) lgkmcnt(0)
	v_mul_f32_e32 v51, v98, v182
	v_fmac_f32_e32 v51, v99, v181
	v_add_f32_e32 v223, v50, v51
	ds_read_b128 v[50:53], v244 offset:880
	buffer_load_dword v185, off, s[0:3], 0 offset:400
	buffer_load_dword v186, off, s[0:3], 0 offset:404
	;; [unrolled: 1-line block ×18, first 2 shown]
	v_mul_f32_e32 v2, v47, v134
	v_fma_f32 v2, v46, v133, -v2
	v_add_f32_e32 v1, v1, v2
	v_mul_f32_e32 v2, v49, v136
	v_fma_f32 v2, v48, v135, -v2
	v_add_f32_e32 v1, v1, v2
	v_mul_f32_e32 v2, v55, v138
	v_fma_f32 v2, v54, v137, -v2
	v_add_f32_e32 v1, v1, v2
	v_mul_f32_e32 v2, v57, v140
	v_fma_f32 v2, v56, v139, -v2
	v_add_f32_e32 v1, v1, v2
	v_mul_f32_e32 v2, v59, v142
	v_fma_f32 v2, v58, v141, -v2
	v_add_f32_e32 v1, v1, v2
	v_mul_f32_e32 v2, v61, v144
	v_fma_f32 v2, v60, v143, -v2
	v_add_f32_e32 v1, v1, v2
	v_mul_f32_e32 v2, v63, v146
	v_fma_f32 v2, v62, v145, -v2
	v_add_f32_e32 v1, v1, v2
	v_mul_f32_e32 v2, v65, v148
	v_fma_f32 v2, v64, v147, -v2
	v_add_f32_e32 v1, v1, v2
	v_mul_f32_e32 v2, v67, v150
	v_fma_f32 v2, v66, v149, -v2
	v_add_f32_e32 v1, v1, v2
	v_mul_f32_e32 v2, v69, v152
	v_fma_f32 v2, v68, v151, -v2
	v_add_f32_e32 v1, v1, v2
	v_mul_f32_e32 v2, v71, v154
	v_fma_f32 v2, v70, v153, -v2
	v_add_f32_e32 v1, v1, v2
	v_mul_f32_e32 v2, v73, v156
	v_fma_f32 v2, v72, v155, -v2
	v_add_f32_e32 v1, v1, v2
	v_mul_f32_e32 v2, v75, v158
	v_fma_f32 v2, v74, v157, -v2
	v_add_f32_e32 v1, v1, v2
	v_mul_f32_e32 v2, v77, v160
	v_fma_f32 v2, v76, v159, -v2
	v_add_f32_e32 v1, v1, v2
	v_mul_f32_e32 v2, v79, v162
	v_fma_f32 v2, v78, v161, -v2
	v_add_f32_e32 v1, v1, v2
	v_mul_f32_e32 v2, v81, v164
	v_fma_f32 v2, v80, v163, -v2
	v_add_f32_e32 v1, v1, v2
	v_mul_f32_e32 v2, v83, v166
	v_fma_f32 v2, v82, v165, -v2
	v_add_f32_e32 v1, v1, v2
	v_mul_f32_e32 v2, v85, v168
	v_fma_f32 v2, v84, v167, -v2
	v_add_f32_e32 v1, v1, v2
	v_mul_f32_e32 v2, v87, v170
	v_fma_f32 v2, v86, v169, -v2
	v_add_f32_e32 v1, v1, v2
	v_mul_f32_e32 v2, v89, v172
	v_fma_f32 v2, v88, v171, -v2
	v_add_f32_e32 v1, v1, v2
	v_mul_f32_e32 v2, v91, v174
	v_fma_f32 v2, v90, v173, -v2
	v_add_f32_e32 v1, v1, v2
	v_mul_f32_e32 v2, v93, v176
	v_fma_f32 v2, v92, v175, -v2
	v_add_f32_e32 v1, v1, v2
	v_mul_f32_e32 v2, v95, v178
	v_fma_f32 v2, v94, v177, -v2
	v_add_f32_e32 v1, v1, v2
	v_mul_f32_e32 v2, v97, v180
	v_fma_f32 v2, v96, v179, -v2
	v_add_f32_e32 v1, v1, v2
	v_mul_f32_e32 v2, v99, v182
	v_fma_f32 v2, v98, v181, -v2
	s_waitcnt vmcnt(15)
	v_mov_b32_e32 v18, v227
	v_mul_f32_e32 v225, v100, v184
	v_add_f32_e32 v222, v1, v2
	v_mul_f32_e32 v1, v101, v184
	s_waitcnt lgkmcnt(0)
	v_pk_mul_f32 v[18:19], v[52:53], v[18:19] op_sel_hi:[1,0]
	v_fmac_f32_e32 v225, v101, v183
	v_mul_f32_e32 v229, v50, v186
	v_fma_f32 v224, v100, v183, -v1
	v_mul_f32_e32 v1, v51, v186
	ds_read_b128 v[2:5], v244 offset:896
	ds_read_b128 v[6:9], v244 offset:912
	;; [unrolled: 1-line block ×3, first 2 shown]
	ds_read_b64 v[14:15], v244 offset:944
	s_waitcnt vmcnt(14)
	v_pk_fma_f32 v[20:21], v[52:53], v[226:227], v[18:19] op_sel:[0,0,1] op_sel_hi:[1,1,0] neg_lo:[0,0,1] neg_hi:[0,0,1]
	v_pk_fma_f32 v[18:19], v[52:53], v[226:227], v[18:19] op_sel:[0,0,1] op_sel_hi:[1,0,0]
	v_fmac_f32_e32 v229, v51, v185
	v_fma_f32 v228, v50, v185, -v1
	v_pk_add_f32 v[16:17], v[222:223], v[224:225]
	s_waitcnt vmcnt(13)
	v_mov_b32_e32 v18, v243
	v_pk_add_f32 v[16:17], v[16:17], v[228:229]
	v_mov_b32_e32 v21, v19
	s_waitcnt lgkmcnt(3)
	v_pk_mul_f32 v[18:19], v[2:3], v[18:19] op_sel_hi:[1,0]
	v_pk_add_f32 v[16:17], v[16:17], v[20:21]
	s_waitcnt vmcnt(12)
	v_pk_fma_f32 v[20:21], v[2:3], v[242:243], v[18:19] op_sel:[0,0,1] op_sel_hi:[1,1,0] neg_lo:[0,0,1] neg_hi:[0,0,1]
	v_pk_fma_f32 v[2:3], v[2:3], v[242:243], v[18:19] op_sel:[0,0,1] op_sel_hi:[1,0,0]
	v_mov_b32_e32 v21, v3
	v_pk_add_f32 v[2:3], v[16:17], v[20:21]
	s_waitcnt vmcnt(11)
	v_mov_b32_e32 v16, v241
	v_pk_mul_f32 v[16:17], v[4:5], v[16:17] op_sel_hi:[1,0]
	s_waitcnt vmcnt(10)
	v_pk_fma_f32 v[18:19], v[4:5], v[240:241], v[16:17] op_sel:[0,0,1] op_sel_hi:[1,1,0] neg_lo:[0,0,1] neg_hi:[0,0,1]
	v_pk_fma_f32 v[4:5], v[4:5], v[240:241], v[16:17] op_sel:[0,0,1] op_sel_hi:[1,0,0]
	s_waitcnt vmcnt(9)
	v_mov_b32_e32 v4, v239
	v_mov_b32_e32 v19, v5
	s_waitcnt lgkmcnt(2)
	v_pk_mul_f32 v[4:5], v[6:7], v[4:5] op_sel_hi:[1,0]
	s_waitcnt vmcnt(8)
	v_pk_fma_f32 v[16:17], v[6:7], v[238:239], v[4:5] op_sel:[0,0,1] op_sel_hi:[1,1,0] neg_lo:[0,0,1] neg_hi:[0,0,1]
	v_pk_fma_f32 v[4:5], v[6:7], v[238:239], v[4:5] op_sel:[0,0,1] op_sel_hi:[1,0,0]
	s_waitcnt vmcnt(7)
	v_mov_b32_e32 v4, v237
	v_mov_b32_e32 v17, v5
	v_pk_mul_f32 v[4:5], v[8:9], v[4:5] op_sel_hi:[1,0]
	s_waitcnt vmcnt(6)
	v_pk_fma_f32 v[6:7], v[8:9], v[236:237], v[4:5] op_sel:[0,0,1] op_sel_hi:[1,1,0] neg_lo:[0,0,1] neg_hi:[0,0,1]
	v_pk_fma_f32 v[4:5], v[8:9], v[236:237], v[4:5] op_sel:[0,0,1] op_sel_hi:[1,0,0]
	v_pk_add_f32 v[2:3], v[2:3], v[18:19]
	s_waitcnt vmcnt(5)
	v_mov_b32_e32 v4, v235
	v_pk_add_f32 v[2:3], v[2:3], v[16:17]
	v_mov_b32_e32 v7, v5
	s_waitcnt lgkmcnt(1)
	v_pk_mul_f32 v[4:5], v[10:11], v[4:5] op_sel_hi:[1,0]
	v_pk_add_f32 v[2:3], v[2:3], v[6:7]
	s_waitcnt vmcnt(4)
	v_pk_fma_f32 v[6:7], v[10:11], v[234:235], v[4:5] op_sel:[0,0,1] op_sel_hi:[1,1,0] neg_lo:[0,0,1] neg_hi:[0,0,1]
	v_pk_fma_f32 v[4:5], v[10:11], v[234:235], v[4:5] op_sel:[0,0,1] op_sel_hi:[1,0,0]
	s_waitcnt vmcnt(3)
	v_mov_b32_e32 v4, v233
	v_mov_b32_e32 v7, v5
	v_pk_mul_f32 v[4:5], v[12:13], v[4:5] op_sel_hi:[1,0]
	v_pk_add_f32 v[2:3], v[2:3], v[6:7]
	s_waitcnt vmcnt(2)
	v_pk_fma_f32 v[6:7], v[12:13], v[232:233], v[4:5] op_sel:[0,0,1] op_sel_hi:[1,1,0] neg_lo:[0,0,1] neg_hi:[0,0,1]
	v_pk_fma_f32 v[4:5], v[12:13], v[232:233], v[4:5] op_sel:[0,0,1] op_sel_hi:[1,0,0]
	s_waitcnt vmcnt(1)
	v_mov_b32_e32 v4, v231
	v_mov_b32_e32 v7, v5
	s_waitcnt lgkmcnt(0)
	v_pk_mul_f32 v[4:5], v[14:15], v[4:5] op_sel_hi:[1,0]
	v_pk_add_f32 v[2:3], v[2:3], v[6:7]
	s_waitcnt vmcnt(0)
	v_pk_fma_f32 v[6:7], v[14:15], v[230:231], v[4:5] op_sel:[0,0,1] op_sel_hi:[1,1,0] neg_lo:[0,0,1] neg_hi:[0,0,1]
	v_pk_fma_f32 v[4:5], v[14:15], v[230:231], v[4:5] op_sel:[0,0,1] op_sel_hi:[1,0,0]
	v_mov_b32_e32 v7, v5
	v_pk_add_f32 v[2:3], v[2:3], v[6:7]
	v_pk_add_f32 v[2:3], v[220:221], v[2:3] neg_lo:[0,1] neg_hi:[0,1]
	buffer_store_dword v3, off, s[0:3], 0 offset:12
	buffer_store_dword v2, off, s[0:3], 0 offset:8
	s_and_saveexec_b64 s[4:5], vcc
	s_cbranch_execz .LBB58_367
; %bb.366:
	buffer_load_dword v0, off, s[0:3], 0
	buffer_load_dword v1, off, s[0:3], 0 offset:4
	s_waitcnt vmcnt(0)
	ds_write_b64 v187, v[0:1]
	buffer_store_dword v244, off, s[0:3], 0
	buffer_store_dword v244, off, s[0:3], 0 offset:4
.LBB58_367:
	s_or_b64 exec, exec, s[4:5]
	s_waitcnt lgkmcnt(0)
	; wave barrier
	s_waitcnt lgkmcnt(0)
	buffer_load_dword v63, off, s[0:3], 0 offset:12
	buffer_load_dword v62, off, s[0:3], 0 offset:20
	;; [unrolled: 1-line block ×38, first 2 shown]
	buffer_load_dword v56, off, s[0:3], 0
	buffer_load_dword v57, off, s[0:3], 0 offset:4
	ds_read2_b64 v[20:23], v244 offset0:61 offset1:62
	ds_read2_b64 v[16:19], v244 offset0:63 offset1:64
	;; [unrolled: 1-line block ×6, first 2 shown]
	buffer_load_dword v96, off, s[0:3], 0 offset:160
	buffer_load_dword v97, off, s[0:3], 0 offset:164
	;; [unrolled: 1-line block ×10, first 2 shown]
	s_and_b64 vcc, exec, s[20:21]
	s_waitcnt vmcnt(49) lgkmcnt(5)
	v_mul_f32_e32 v24, v20, v63
	s_waitcnt vmcnt(48)
	v_mul_f32_e32 v25, v22, v62
	s_waitcnt vmcnt(47) lgkmcnt(4)
	v_mul_f32_e32 v27, v18, v61
	s_waitcnt vmcnt(46) lgkmcnt(3)
	v_mul_f32_e32 v28, v12, v60
	s_waitcnt vmcnt(45)
	v_mul_f32_e32 v29, v14, v58
	s_waitcnt vmcnt(44)
	v_mul_f32_e32 v26, v16, v64
	s_waitcnt vmcnt(43) lgkmcnt(2)
	v_mul_f32_e32 v30, v8, v59
	s_waitcnt vmcnt(42)
	v_mul_f32_e32 v31, v10, v65
	s_waitcnt vmcnt(41) lgkmcnt(1)
	;; [unrolled: 4-line block ×3, first 2 shown]
	v_mul_f32_e32 v34, v0, v68
	s_waitcnt vmcnt(38)
	v_mul_f32_e32 v35, v2, v69
	s_waitcnt vmcnt(37)
	v_fmac_f32_e32 v26, v17, v75
	s_waitcnt vmcnt(36)
	v_fmac_f32_e32 v25, v23, v78
	;; [unrolled: 2-line block ×3, first 2 shown]
	v_add_f32_e32 v24, 0, v24
	v_add_f32_e32 v24, v24, v25
	;; [unrolled: 1-line block ×3, first 2 shown]
	s_waitcnt vmcnt(31)
	v_fmac_f32_e32 v27, v19, v80
	v_fmac_f32_e32 v28, v13, v77
	v_add_f32_e32 v24, v24, v27
	v_fmac_f32_e32 v29, v15, v74
	v_add_f32_e32 v24, v24, v28
	;; [unrolled: 2-line block ×3, first 2 shown]
	s_waitcnt vmcnt(27)
	v_fmac_f32_e32 v31, v11, v76
	v_add_f32_e32 v24, v24, v30
	v_fmac_f32_e32 v32, v5, v73
	v_add_f32_e32 v24, v24, v31
	;; [unrolled: 2-line block ×3, first 2 shown]
	v_add_f32_e32 v28, v24, v33
	ds_read2_b64 v[24:27], v244 offset0:73 offset1:74
	v_fmac_f32_e32 v34, v1, v70
	v_add_f32_e32 v28, v28, v34
	s_waitcnt vmcnt(23)
	v_fmac_f32_e32 v35, v3, v87
	v_add_f32_e32 v32, v28, v35
	ds_read2_b64 v[28:31], v244 offset0:75 offset1:76
	s_waitcnt vmcnt(22) lgkmcnt(1)
	v_mul_f32_e32 v33, v24, v86
	buffer_load_dword v158, off, s[0:3], 0 offset:200
	buffer_load_dword v160, off, s[0:3], 0 offset:204
	v_fmac_f32_e32 v33, v25, v84
	v_add_f32_e32 v32, v32, v33
	s_waitcnt vmcnt(23)
	v_mul_f32_e32 v33, v26, v85
	buffer_load_dword v162, off, s[0:3], 0 offset:208
	buffer_load_dword v176, off, s[0:3], 0 offset:212
	v_fmac_f32_e32 v33, v27, v82
	v_add_f32_e32 v32, v32, v33
	s_waitcnt vmcnt(24) lgkmcnt(0)
	v_mul_f32_e32 v33, v28, v83
	buffer_load_dword v177, off, s[0:3], 0 offset:216
	buffer_load_dword v178, off, s[0:3], 0 offset:220
	v_fmac_f32_e32 v33, v29, v79
	v_add_f32_e32 v32, v32, v33
	s_waitcnt vmcnt(20)
	v_mul_f32_e32 v33, v30, v95
	s_waitcnt vmcnt(19)
	v_fmac_f32_e32 v33, v31, v94
	ds_read2_b64 v[36:39], v244 offset0:77 offset1:78
	v_add_f32_e32 v40, v32, v33
	ds_read2_b64 v[32:35], v244 offset0:79 offset1:80
	buffer_load_dword v179, off, s[0:3], 0 offset:224
	buffer_load_dword v180, off, s[0:3], 0 offset:228
	;; [unrolled: 1-line block ×8, first 2 shown]
	s_waitcnt vmcnt(26) lgkmcnt(1)
	v_mul_f32_e32 v41, v36, v93
	v_fmac_f32_e32 v41, v37, v92
	buffer_load_dword v187, off, s[0:3], 0 offset:256
	buffer_load_dword v222, off, s[0:3], 0 offset:260
	v_add_f32_e32 v40, v40, v41
	v_mul_f32_e32 v41, v38, v89
	v_fmac_f32_e32 v41, v39, v88
	v_add_f32_e32 v40, v40, v41
	s_waitcnt lgkmcnt(0)
	v_mul_f32_e32 v41, v32, v91
	buffer_load_dword v223, off, s[0:3], 0 offset:264
	buffer_load_dword v224, off, s[0:3], 0 offset:268
	v_fmac_f32_e32 v41, v33, v90
	v_add_f32_e32 v44, v40, v41
	ds_read2_b64 v[40:43], v244 offset0:81 offset1:82
	buffer_load_dword v225, off, s[0:3], 0 offset:272
	buffer_load_dword v226, off, s[0:3], 0 offset:276
	;; [unrolled: 1-line block ×4, first 2 shown]
	s_waitcnt vmcnt(30)
	v_mul_f32_e32 v45, v34, v97
	v_fmac_f32_e32 v45, v35, v96
	v_add_f32_e32 v48, v44, v45
	ds_read2_b64 v[44:47], v244 offset0:83 offset1:84
	buffer_load_dword v229, off, s[0:3], 0 offset:288
	buffer_load_dword v230, off, s[0:3], 0 offset:292
	;; [unrolled: 1-line block ×12, first 2 shown]
	s_waitcnt vmcnt(40) lgkmcnt(1)
	v_mul_f32_e32 v49, v40, v99
	v_fmac_f32_e32 v49, v41, v98
	buffer_load_dword v241, off, s[0:3], 0 offset:336
	buffer_load_dword v242, off, s[0:3], 0 offset:340
	v_add_f32_e32 v48, v48, v49
	s_waitcnt vmcnt(40)
	v_mul_f32_e32 v49, v42, v101
	v_fmac_f32_e32 v49, v43, v100
	buffer_load_dword v243, off, s[0:3], 0 offset:344
	buffer_load_dword v245, off, s[0:3], 0 offset:348
	v_add_f32_e32 v48, v48, v49
	s_waitcnt vmcnt(40) lgkmcnt(0)
	v_mul_f32_e32 v49, v44, v105
	v_fmac_f32_e32 v49, v45, v104
	v_add_f32_e32 v52, v48, v49
	ds_read2_b64 v[48:51], v244 offset0:85 offset1:86
	buffer_load_dword v246, off, s[0:3], 0 offset:352
	buffer_load_dword v247, off, s[0:3], 0 offset:356
	s_waitcnt vmcnt(40)
	v_mul_f32_e32 v53, v46, v107
	v_fmac_f32_e32 v53, v47, v106
	v_add_f32_e32 v108, v52, v53
	ds_read2_b64 v[52:55], v244 offset0:87 offset1:88
	buffer_load_dword v248, off, s[0:3], 0 offset:360
	buffer_load_dword v249, off, s[0:3], 0 offset:364
	;; [unrolled: 1-line block ×12, first 2 shown]
	v_mul_f32_e32 v21, v21, v63
	v_fma_f32 v20, v20, v81, -v21
	v_mul_f32_e32 v21, v23, v62
	v_add_f32_e32 v20, 0, v20
	v_fma_f32 v21, v22, v78, -v21
	v_mul_f32_e32 v17, v17, v64
	v_add_f32_e32 v20, v20, v21
	;; [unrolled: 3-line block ×4, first 2 shown]
	v_fma_f32 v12, v12, v77, -v13
	s_waitcnt vmcnt(50) lgkmcnt(1)
	v_mul_f32_e32 v109, v48, v160
	v_fmac_f32_e32 v109, v49, v158
	v_add_f32_e32 v108, v108, v109
	v_mul_f32_e32 v13, v15, v58
	s_waitcnt vmcnt(48)
	v_mul_f32_e32 v109, v50, v176
	v_fmac_f32_e32 v109, v51, v162
	v_add_f32_e32 v108, v108, v109
	v_add_f32_e32 v12, v16, v12
	s_waitcnt vmcnt(46) lgkmcnt(0)
	v_mul_f32_e32 v109, v52, v178
	v_fmac_f32_e32 v109, v53, v177
	v_add_f32_e32 v112, v108, v109
	ds_read2_b64 v[108:111], v244 offset0:89 offset1:90
	v_fma_f32 v13, v14, v74, -v13
	v_mul_f32_e32 v9, v9, v59
	v_add_f32_e32 v12, v12, v13
	v_fma_f32 v8, v8, v72, -v9
	s_waitcnt vmcnt(44)
	v_mul_f32_e32 v113, v54, v180
	v_fmac_f32_e32 v113, v55, v179
	v_add_f32_e32 v116, v112, v113
	ds_read2_b64 v[112:115], v244 offset0:91 offset1:92
	s_waitcnt vmcnt(42) lgkmcnt(1)
	v_mul_f32_e32 v117, v108, v182
	v_fmac_f32_e32 v117, v109, v181
	v_add_f32_e32 v116, v116, v117
	s_waitcnt vmcnt(40)
	v_mul_f32_e32 v117, v110, v184
	v_fmac_f32_e32 v117, v111, v183
	v_add_f32_e32 v116, v116, v117
	s_waitcnt vmcnt(38) lgkmcnt(0)
	v_mul_f32_e32 v117, v112, v186
	v_fmac_f32_e32 v117, v113, v185
	v_add_f32_e32 v120, v116, v117
	ds_read2_b64 v[116:119], v244 offset0:93 offset1:94
	s_waitcnt vmcnt(36)
	v_mul_f32_e32 v121, v114, v222
	v_fmac_f32_e32 v121, v115, v187
	v_add_f32_e32 v124, v120, v121
	ds_read2_b64 v[120:123], v244 offset0:95 offset1:96
	s_waitcnt vmcnt(34) lgkmcnt(1)
	v_mul_f32_e32 v125, v116, v224
	v_fmac_f32_e32 v125, v117, v223
	v_add_f32_e32 v124, v124, v125
	s_waitcnt vmcnt(32)
	v_mul_f32_e32 v125, v118, v226
	v_fmac_f32_e32 v125, v119, v225
	v_add_f32_e32 v124, v124, v125
	s_waitcnt vmcnt(30) lgkmcnt(0)
	v_mul_f32_e32 v125, v120, v228
	v_fmac_f32_e32 v125, v121, v227
	v_add_f32_e32 v128, v124, v125
	ds_read2_b64 v[124:127], v244 offset0:97 offset1:98
	;; [unrolled: 18-line block ×4, first 2 shown]
	s_waitcnt vmcnt(12)
	v_mul_f32_e32 v145, v138, v247
	v_fmac_f32_e32 v145, v139, v246
	v_add_f32_e32 v148, v144, v145
	ds_read2_b64 v[144:147], v244 offset0:107 offset1:108
	buffer_load_dword v157, off, s[0:3], 0 offset:412
	buffer_load_dword v156, off, s[0:3], 0 offset:408
	s_waitcnt vmcnt(12) lgkmcnt(1)
	v_mul_f32_e32 v149, v140, v249
	v_mul_f32_e32 v9, v11, v65
	v_fmac_f32_e32 v149, v141, v248
	v_add_f32_e32 v8, v12, v8
	v_fma_f32 v9, v10, v76, -v9
	v_mul_f32_e32 v5, v5, v66
	v_add_f32_e32 v148, v148, v149
	s_waitcnt vmcnt(10)
	v_mul_f32_e32 v149, v142, v251
	v_add_f32_e32 v8, v8, v9
	v_fma_f32 v4, v4, v73, -v5
	v_mul_f32_e32 v5, v7, v67
	v_fmac_f32_e32 v149, v143, v250
	v_add_f32_e32 v4, v8, v4
	v_fma_f32 v5, v6, v71, -v5
	v_mul_f32_e32 v1, v1, v68
	v_add_f32_e32 v148, v148, v149
	s_waitcnt vmcnt(8) lgkmcnt(0)
	v_mul_f32_e32 v149, v144, v253
	v_add_f32_e32 v4, v4, v5
	v_fma_f32 v0, v0, v70, -v1
	v_mul_f32_e32 v1, v3, v69
	v_fmac_f32_e32 v149, v145, v252
	s_waitcnt vmcnt(6)
	v_mul_f32_e32 v153, v146, v255
	v_add_f32_e32 v0, v4, v0
	v_fma_f32 v1, v2, v87, -v1
	v_add_f32_e32 v152, v148, v149
	v_fmac_f32_e32 v153, v147, v254
	v_add_f32_e32 v0, v0, v1
	v_mul_f32_e32 v1, v25, v86
	ds_read2_b64 v[148:151], v244 offset0:109 offset1:110
	v_add_f32_e32 v159, v152, v153
	ds_read2_b64 v[152:155], v244 offset0:111 offset1:112
	buffer_load_dword v165, off, s[0:3], 0 offset:444
	buffer_load_dword v164, off, s[0:3], 0 offset:440
	;; [unrolled: 1-line block ×14, first 2 shown]
	v_fma_f32 v1, v24, v84, -v1
	v_add_f32_e32 v0, v0, v1
	v_mul_f32_e32 v1, v27, v85
	v_fma_f32 v1, v26, v82, -v1
	v_add_f32_e32 v0, v0, v1
	v_mul_f32_e32 v1, v29, v83
	;; [unrolled: 3-line block ×35, first 2 shown]
	v_fma_f32 v1, v146, v254, -v1
	s_waitcnt vmcnt(15)
	v_mov_b32_e32 v14, v157
	s_waitcnt lgkmcnt(1)
	v_mul_f32_e32 v161, v148, v189
	v_add_f32_e32 v158, v0, v1
	v_mul_f32_e32 v0, v149, v189
	s_waitcnt lgkmcnt(0)
	v_pk_mul_f32 v[14:15], v[152:153], v[14:15] op_sel_hi:[1,0]
	v_fmac_f32_e32 v161, v149, v188
	v_mul_f32_e32 v163, v150, v191
	v_fma_f32 v160, v148, v188, -v0
	v_mul_f32_e32 v0, v151, v191
	s_waitcnt vmcnt(14)
	v_pk_fma_f32 v[16:17], v[152:153], v[156:157], v[14:15] op_sel:[0,0,1] op_sel_hi:[1,1,0] neg_lo:[0,0,1] neg_hi:[0,0,1]
	v_pk_fma_f32 v[14:15], v[152:153], v[156:157], v[14:15] op_sel:[0,0,1] op_sel_hi:[1,0,0]
	v_fmac_f32_e32 v163, v151, v190
	v_fma_f32 v162, v150, v190, -v0
	v_pk_add_f32 v[12:13], v[158:159], v[160:161]
	s_waitcnt vmcnt(7)
	v_mov_b32_e32 v14, v171
	ds_read2_b64 v[0:3], v244 offset0:113 offset1:114
	ds_read2_b64 v[4:7], v244 offset0:115 offset1:116
	;; [unrolled: 1-line block ×3, first 2 shown]
	v_pk_add_f32 v[12:13], v[12:13], v[162:163]
	v_mov_b32_e32 v17, v15
	v_pk_mul_f32 v[14:15], v[154:155], v[14:15] op_sel_hi:[1,0]
	v_pk_add_f32 v[12:13], v[12:13], v[16:17]
	s_waitcnt vmcnt(6)
	v_pk_fma_f32 v[16:17], v[154:155], v[170:171], v[14:15] op_sel:[0,0,1] op_sel_hi:[1,1,0] neg_lo:[0,0,1] neg_hi:[0,0,1]
	v_pk_fma_f32 v[14:15], v[154:155], v[170:171], v[14:15] op_sel:[0,0,1] op_sel_hi:[1,0,0]
	v_mov_b32_e32 v14, v169
	v_mov_b32_e32 v17, v15
	s_waitcnt lgkmcnt(2)
	v_pk_mul_f32 v[14:15], v[0:1], v[14:15] op_sel_hi:[1,0]
	v_pk_add_f32 v[12:13], v[12:13], v[16:17]
	v_pk_fma_f32 v[16:17], v[0:1], v[168:169], v[14:15] op_sel:[0,0,1] op_sel_hi:[1,1,0] neg_lo:[0,0,1] neg_hi:[0,0,1]
	v_pk_fma_f32 v[0:1], v[0:1], v[168:169], v[14:15] op_sel:[0,0,1] op_sel_hi:[1,0,0]
	v_mov_b32_e32 v17, v1
	v_pk_add_f32 v[0:1], v[12:13], v[16:17]
	v_mov_b32_e32 v12, v167
	v_pk_mul_f32 v[12:13], v[2:3], v[12:13] op_sel_hi:[1,0]
	v_pk_fma_f32 v[14:15], v[2:3], v[166:167], v[12:13] op_sel:[0,0,1] op_sel_hi:[1,1,0] neg_lo:[0,0,1] neg_hi:[0,0,1]
	v_pk_fma_f32 v[2:3], v[2:3], v[166:167], v[12:13] op_sel:[0,0,1] op_sel_hi:[1,0,0]
	v_mov_b32_e32 v2, v165
	v_mov_b32_e32 v15, v3
	s_waitcnt lgkmcnt(1)
	v_pk_mul_f32 v[2:3], v[4:5], v[2:3] op_sel_hi:[1,0]
	v_pk_fma_f32 v[12:13], v[4:5], v[164:165], v[2:3] op_sel:[0,0,1] op_sel_hi:[1,1,0] neg_lo:[0,0,1] neg_hi:[0,0,1]
	v_pk_fma_f32 v[2:3], v[4:5], v[164:165], v[2:3] op_sel:[0,0,1] op_sel_hi:[1,0,0]
	s_waitcnt vmcnt(1)
	v_mov_b32_e32 v2, v221
	v_mov_b32_e32 v13, v3
	v_pk_mul_f32 v[2:3], v[6:7], v[2:3] op_sel_hi:[1,0]
	s_waitcnt vmcnt(0)
	v_pk_fma_f32 v[4:5], v[6:7], v[220:221], v[2:3] op_sel:[0,0,1] op_sel_hi:[1,1,0] neg_lo:[0,0,1] neg_hi:[0,0,1]
	v_pk_fma_f32 v[2:3], v[6:7], v[220:221], v[2:3] op_sel:[0,0,1] op_sel_hi:[1,0,0]
	v_pk_add_f32 v[0:1], v[0:1], v[14:15]
	v_mov_b32_e32 v2, v175
	v_pk_add_f32 v[0:1], v[0:1], v[12:13]
	v_mov_b32_e32 v5, v3
	s_waitcnt lgkmcnt(0)
	v_pk_mul_f32 v[2:3], v[8:9], v[2:3] op_sel_hi:[1,0]
	v_pk_add_f32 v[0:1], v[0:1], v[4:5]
	v_pk_fma_f32 v[4:5], v[8:9], v[174:175], v[2:3] op_sel:[0,0,1] op_sel_hi:[1,1,0] neg_lo:[0,0,1] neg_hi:[0,0,1]
	v_pk_fma_f32 v[2:3], v[8:9], v[174:175], v[2:3] op_sel:[0,0,1] op_sel_hi:[1,0,0]
	v_mov_b32_e32 v2, v173
	v_mov_b32_e32 v5, v3
	v_pk_mul_f32 v[2:3], v[10:11], v[2:3] op_sel_hi:[1,0]
	v_pk_add_f32 v[0:1], v[0:1], v[4:5]
	v_pk_fma_f32 v[4:5], v[10:11], v[172:173], v[2:3] op_sel:[0,0,1] op_sel_hi:[1,1,0] neg_lo:[0,0,1] neg_hi:[0,0,1]
	v_pk_fma_f32 v[2:3], v[10:11], v[172:173], v[2:3] op_sel:[0,0,1] op_sel_hi:[1,0,0]
	v_mov_b32_e32 v5, v3
	v_pk_add_f32 v[0:1], v[0:1], v[4:5]
	v_pk_add_f32 v[0:1], v[56:57], v[0:1] neg_lo:[0,1] neg_hi:[0,1]
	buffer_store_dword v1, off, s[0:3], 0 offset:4
	buffer_store_dword v0, off, s[0:3], 0
	s_cbranch_vccz .LBB58_485
; %bb.368:
	v_pk_mov_b32 v[0:1], s[10:11], s[10:11] op_sel:[0,1]
	flat_load_dword v0, v[0:1] offset:228
	s_waitcnt vmcnt(0) lgkmcnt(0)
	v_add_u32_e32 v0, -1, v0
	v_cmp_ne_u32_e32 vcc, 57, v0
	s_and_saveexec_b64 s[4:5], vcc
	s_cbranch_execz .LBB58_370
; %bb.369:
	v_mov_b32_e32 v1, 0
	v_lshl_add_u32 v0, v0, 3, v1
	buffer_load_dword v1, v0, s[0:3], 0 offen
	buffer_load_dword v2, v0, s[0:3], 0 offen offset:4
	buffer_load_dword v3, off, s[0:3], 0 offset:456
	buffer_load_dword v4, off, s[0:3], 0 offset:460
	s_waitcnt vmcnt(3)
	buffer_store_dword v1, off, s[0:3], 0 offset:456
	s_waitcnt vmcnt(3)
	buffer_store_dword v2, off, s[0:3], 0 offset:460
	s_waitcnt vmcnt(3)
	buffer_store_dword v3, v0, s[0:3], 0 offen
	s_waitcnt vmcnt(3)
	buffer_store_dword v4, v0, s[0:3], 0 offen offset:4
.LBB58_370:
	s_or_b64 exec, exec, s[4:5]
	v_pk_mov_b32 v[0:1], s[10:11], s[10:11] op_sel:[0,1]
	flat_load_dword v0, v[0:1] offset:224
	s_waitcnt vmcnt(0) lgkmcnt(0)
	v_add_u32_e32 v0, -1, v0
	v_cmp_ne_u32_e32 vcc, 56, v0
	s_and_saveexec_b64 s[4:5], vcc
	s_cbranch_execz .LBB58_372
; %bb.371:
	v_mov_b32_e32 v1, 0
	v_lshl_add_u32 v0, v0, 3, v1
	buffer_load_dword v1, v0, s[0:3], 0 offen
	buffer_load_dword v2, v0, s[0:3], 0 offen offset:4
	buffer_load_dword v3, off, s[0:3], 0 offset:452
	buffer_load_dword v4, off, s[0:3], 0 offset:448
	s_waitcnt vmcnt(3)
	buffer_store_dword v1, off, s[0:3], 0 offset:448
	s_waitcnt vmcnt(3)
	buffer_store_dword v2, off, s[0:3], 0 offset:452
	s_waitcnt vmcnt(3)
	buffer_store_dword v3, v0, s[0:3], 0 offen offset:4
	s_waitcnt vmcnt(3)
	buffer_store_dword v4, v0, s[0:3], 0 offen
.LBB58_372:
	s_or_b64 exec, exec, s[4:5]
	v_pk_mov_b32 v[0:1], s[10:11], s[10:11] op_sel:[0,1]
	flat_load_dword v0, v[0:1] offset:220
	s_waitcnt vmcnt(0) lgkmcnt(0)
	v_add_u32_e32 v0, -1, v0
	v_cmp_ne_u32_e32 vcc, 55, v0
	s_and_saveexec_b64 s[4:5], vcc
	s_cbranch_execz .LBB58_374
; %bb.373:
	v_mov_b32_e32 v1, 0
	v_lshl_add_u32 v0, v0, 3, v1
	buffer_load_dword v1, v0, s[0:3], 0 offen
	buffer_load_dword v2, v0, s[0:3], 0 offen offset:4
	buffer_load_dword v3, off, s[0:3], 0 offset:440
	buffer_load_dword v4, off, s[0:3], 0 offset:444
	s_waitcnt vmcnt(3)
	buffer_store_dword v1, off, s[0:3], 0 offset:440
	s_waitcnt vmcnt(3)
	buffer_store_dword v2, off, s[0:3], 0 offset:444
	s_waitcnt vmcnt(3)
	buffer_store_dword v3, v0, s[0:3], 0 offen
	s_waitcnt vmcnt(3)
	buffer_store_dword v4, v0, s[0:3], 0 offen offset:4
.LBB58_374:
	s_or_b64 exec, exec, s[4:5]
	v_pk_mov_b32 v[0:1], s[10:11], s[10:11] op_sel:[0,1]
	flat_load_dword v0, v[0:1] offset:216
	s_waitcnt vmcnt(0) lgkmcnt(0)
	v_add_u32_e32 v0, -1, v0
	v_cmp_ne_u32_e32 vcc, 54, v0
	s_and_saveexec_b64 s[4:5], vcc
	s_cbranch_execz .LBB58_376
; %bb.375:
	v_mov_b32_e32 v1, 0
	v_lshl_add_u32 v0, v0, 3, v1
	buffer_load_dword v1, v0, s[0:3], 0 offen
	buffer_load_dword v2, v0, s[0:3], 0 offen offset:4
	buffer_load_dword v3, off, s[0:3], 0 offset:436
	buffer_load_dword v4, off, s[0:3], 0 offset:432
	s_waitcnt vmcnt(3)
	buffer_store_dword v1, off, s[0:3], 0 offset:432
	s_waitcnt vmcnt(3)
	buffer_store_dword v2, off, s[0:3], 0 offset:436
	s_waitcnt vmcnt(3)
	buffer_store_dword v3, v0, s[0:3], 0 offen offset:4
	s_waitcnt vmcnt(3)
	buffer_store_dword v4, v0, s[0:3], 0 offen
.LBB58_376:
	s_or_b64 exec, exec, s[4:5]
	v_pk_mov_b32 v[0:1], s[10:11], s[10:11] op_sel:[0,1]
	flat_load_dword v0, v[0:1] offset:212
	s_waitcnt vmcnt(0) lgkmcnt(0)
	v_add_u32_e32 v0, -1, v0
	v_cmp_ne_u32_e32 vcc, 53, v0
	s_and_saveexec_b64 s[4:5], vcc
	s_cbranch_execz .LBB58_378
; %bb.377:
	v_mov_b32_e32 v1, 0
	v_lshl_add_u32 v0, v0, 3, v1
	buffer_load_dword v1, v0, s[0:3], 0 offen
	buffer_load_dword v2, v0, s[0:3], 0 offen offset:4
	buffer_load_dword v3, off, s[0:3], 0 offset:424
	buffer_load_dword v4, off, s[0:3], 0 offset:428
	s_waitcnt vmcnt(3)
	buffer_store_dword v1, off, s[0:3], 0 offset:424
	s_waitcnt vmcnt(3)
	buffer_store_dword v2, off, s[0:3], 0 offset:428
	s_waitcnt vmcnt(3)
	buffer_store_dword v3, v0, s[0:3], 0 offen
	s_waitcnt vmcnt(3)
	buffer_store_dword v4, v0, s[0:3], 0 offen offset:4
.LBB58_378:
	s_or_b64 exec, exec, s[4:5]
	v_pk_mov_b32 v[0:1], s[10:11], s[10:11] op_sel:[0,1]
	flat_load_dword v0, v[0:1] offset:208
	s_waitcnt vmcnt(0) lgkmcnt(0)
	v_add_u32_e32 v0, -1, v0
	v_cmp_ne_u32_e32 vcc, 52, v0
	s_and_saveexec_b64 s[4:5], vcc
	s_cbranch_execz .LBB58_380
; %bb.379:
	v_mov_b32_e32 v1, 0
	v_lshl_add_u32 v0, v0, 3, v1
	buffer_load_dword v1, v0, s[0:3], 0 offen
	buffer_load_dword v2, v0, s[0:3], 0 offen offset:4
	buffer_load_dword v3, off, s[0:3], 0 offset:420
	buffer_load_dword v4, off, s[0:3], 0 offset:416
	s_waitcnt vmcnt(3)
	buffer_store_dword v1, off, s[0:3], 0 offset:416
	s_waitcnt vmcnt(3)
	buffer_store_dword v2, off, s[0:3], 0 offset:420
	s_waitcnt vmcnt(3)
	buffer_store_dword v3, v0, s[0:3], 0 offen offset:4
	s_waitcnt vmcnt(3)
	buffer_store_dword v4, v0, s[0:3], 0 offen
.LBB58_380:
	s_or_b64 exec, exec, s[4:5]
	v_pk_mov_b32 v[0:1], s[10:11], s[10:11] op_sel:[0,1]
	flat_load_dword v0, v[0:1] offset:204
	s_waitcnt vmcnt(0) lgkmcnt(0)
	v_add_u32_e32 v0, -1, v0
	v_cmp_ne_u32_e32 vcc, 51, v0
	s_and_saveexec_b64 s[4:5], vcc
	s_cbranch_execz .LBB58_382
; %bb.381:
	v_mov_b32_e32 v1, 0
	v_lshl_add_u32 v0, v0, 3, v1
	buffer_load_dword v1, v0, s[0:3], 0 offen
	buffer_load_dword v2, v0, s[0:3], 0 offen offset:4
	buffer_load_dword v3, off, s[0:3], 0 offset:408
	buffer_load_dword v4, off, s[0:3], 0 offset:412
	s_waitcnt vmcnt(3)
	buffer_store_dword v1, off, s[0:3], 0 offset:408
	s_waitcnt vmcnt(3)
	buffer_store_dword v2, off, s[0:3], 0 offset:412
	s_waitcnt vmcnt(3)
	buffer_store_dword v3, v0, s[0:3], 0 offen
	s_waitcnt vmcnt(3)
	buffer_store_dword v4, v0, s[0:3], 0 offen offset:4
.LBB58_382:
	s_or_b64 exec, exec, s[4:5]
	v_pk_mov_b32 v[0:1], s[10:11], s[10:11] op_sel:[0,1]
	flat_load_dword v0, v[0:1] offset:200
	s_waitcnt vmcnt(0) lgkmcnt(0)
	v_add_u32_e32 v0, -1, v0
	v_cmp_ne_u32_e32 vcc, 50, v0
	s_and_saveexec_b64 s[4:5], vcc
	s_cbranch_execz .LBB58_384
; %bb.383:
	v_mov_b32_e32 v1, 0
	v_lshl_add_u32 v0, v0, 3, v1
	buffer_load_dword v1, v0, s[0:3], 0 offen
	buffer_load_dword v2, v0, s[0:3], 0 offen offset:4
	buffer_load_dword v3, off, s[0:3], 0 offset:404
	buffer_load_dword v4, off, s[0:3], 0 offset:400
	s_waitcnt vmcnt(3)
	buffer_store_dword v1, off, s[0:3], 0 offset:400
	s_waitcnt vmcnt(3)
	buffer_store_dword v2, off, s[0:3], 0 offset:404
	s_waitcnt vmcnt(3)
	buffer_store_dword v3, v0, s[0:3], 0 offen offset:4
	s_waitcnt vmcnt(3)
	buffer_store_dword v4, v0, s[0:3], 0 offen
.LBB58_384:
	s_or_b64 exec, exec, s[4:5]
	v_pk_mov_b32 v[0:1], s[10:11], s[10:11] op_sel:[0,1]
	flat_load_dword v0, v[0:1] offset:196
	s_waitcnt vmcnt(0) lgkmcnt(0)
	v_add_u32_e32 v0, -1, v0
	v_cmp_ne_u32_e32 vcc, 49, v0
	s_and_saveexec_b64 s[4:5], vcc
	s_cbranch_execz .LBB58_386
; %bb.385:
	v_mov_b32_e32 v1, 0
	v_lshl_add_u32 v0, v0, 3, v1
	buffer_load_dword v1, v0, s[0:3], 0 offen
	buffer_load_dword v2, v0, s[0:3], 0 offen offset:4
	buffer_load_dword v3, off, s[0:3], 0 offset:392
	buffer_load_dword v4, off, s[0:3], 0 offset:396
	s_waitcnt vmcnt(3)
	buffer_store_dword v1, off, s[0:3], 0 offset:392
	s_waitcnt vmcnt(3)
	buffer_store_dword v2, off, s[0:3], 0 offset:396
	s_waitcnt vmcnt(3)
	buffer_store_dword v3, v0, s[0:3], 0 offen
	s_waitcnt vmcnt(3)
	buffer_store_dword v4, v0, s[0:3], 0 offen offset:4
.LBB58_386:
	s_or_b64 exec, exec, s[4:5]
	v_pk_mov_b32 v[0:1], s[10:11], s[10:11] op_sel:[0,1]
	flat_load_dword v0, v[0:1] offset:192
	s_waitcnt vmcnt(0) lgkmcnt(0)
	v_add_u32_e32 v0, -1, v0
	v_cmp_ne_u32_e32 vcc, 48, v0
	s_and_saveexec_b64 s[4:5], vcc
	s_cbranch_execz .LBB58_388
; %bb.387:
	v_mov_b32_e32 v1, 0
	v_lshl_add_u32 v0, v0, 3, v1
	buffer_load_dword v1, v0, s[0:3], 0 offen
	buffer_load_dword v2, v0, s[0:3], 0 offen offset:4
	buffer_load_dword v3, off, s[0:3], 0 offset:388
	buffer_load_dword v4, off, s[0:3], 0 offset:384
	s_waitcnt vmcnt(3)
	buffer_store_dword v1, off, s[0:3], 0 offset:384
	s_waitcnt vmcnt(3)
	buffer_store_dword v2, off, s[0:3], 0 offset:388
	s_waitcnt vmcnt(3)
	buffer_store_dword v3, v0, s[0:3], 0 offen offset:4
	s_waitcnt vmcnt(3)
	buffer_store_dword v4, v0, s[0:3], 0 offen
.LBB58_388:
	s_or_b64 exec, exec, s[4:5]
	v_pk_mov_b32 v[0:1], s[10:11], s[10:11] op_sel:[0,1]
	flat_load_dword v0, v[0:1] offset:188
	s_waitcnt vmcnt(0) lgkmcnt(0)
	v_add_u32_e32 v0, -1, v0
	v_cmp_ne_u32_e32 vcc, 47, v0
	s_and_saveexec_b64 s[4:5], vcc
	s_cbranch_execz .LBB58_390
; %bb.389:
	v_mov_b32_e32 v1, 0
	v_lshl_add_u32 v0, v0, 3, v1
	buffer_load_dword v1, v0, s[0:3], 0 offen
	buffer_load_dword v2, v0, s[0:3], 0 offen offset:4
	buffer_load_dword v3, off, s[0:3], 0 offset:376
	buffer_load_dword v4, off, s[0:3], 0 offset:380
	s_waitcnt vmcnt(3)
	buffer_store_dword v1, off, s[0:3], 0 offset:376
	s_waitcnt vmcnt(3)
	buffer_store_dword v2, off, s[0:3], 0 offset:380
	s_waitcnt vmcnt(3)
	buffer_store_dword v3, v0, s[0:3], 0 offen
	s_waitcnt vmcnt(3)
	buffer_store_dword v4, v0, s[0:3], 0 offen offset:4
.LBB58_390:
	s_or_b64 exec, exec, s[4:5]
	v_pk_mov_b32 v[0:1], s[10:11], s[10:11] op_sel:[0,1]
	flat_load_dword v0, v[0:1] offset:184
	s_waitcnt vmcnt(0) lgkmcnt(0)
	v_add_u32_e32 v0, -1, v0
	v_cmp_ne_u32_e32 vcc, 46, v0
	s_and_saveexec_b64 s[4:5], vcc
	s_cbranch_execz .LBB58_392
; %bb.391:
	v_mov_b32_e32 v1, 0
	v_lshl_add_u32 v0, v0, 3, v1
	buffer_load_dword v1, v0, s[0:3], 0 offen
	buffer_load_dword v2, v0, s[0:3], 0 offen offset:4
	buffer_load_dword v3, off, s[0:3], 0 offset:372
	buffer_load_dword v4, off, s[0:3], 0 offset:368
	s_waitcnt vmcnt(3)
	buffer_store_dword v1, off, s[0:3], 0 offset:368
	s_waitcnt vmcnt(3)
	buffer_store_dword v2, off, s[0:3], 0 offset:372
	s_waitcnt vmcnt(3)
	buffer_store_dword v3, v0, s[0:3], 0 offen offset:4
	s_waitcnt vmcnt(3)
	buffer_store_dword v4, v0, s[0:3], 0 offen
.LBB58_392:
	s_or_b64 exec, exec, s[4:5]
	v_pk_mov_b32 v[0:1], s[10:11], s[10:11] op_sel:[0,1]
	flat_load_dword v0, v[0:1] offset:180
	s_waitcnt vmcnt(0) lgkmcnt(0)
	v_add_u32_e32 v0, -1, v0
	v_cmp_ne_u32_e32 vcc, 45, v0
	s_and_saveexec_b64 s[4:5], vcc
	s_cbranch_execz .LBB58_394
; %bb.393:
	v_mov_b32_e32 v1, 0
	v_lshl_add_u32 v0, v0, 3, v1
	buffer_load_dword v1, v0, s[0:3], 0 offen
	buffer_load_dword v2, v0, s[0:3], 0 offen offset:4
	buffer_load_dword v3, off, s[0:3], 0 offset:360
	buffer_load_dword v4, off, s[0:3], 0 offset:364
	s_waitcnt vmcnt(3)
	buffer_store_dword v1, off, s[0:3], 0 offset:360
	s_waitcnt vmcnt(3)
	buffer_store_dword v2, off, s[0:3], 0 offset:364
	s_waitcnt vmcnt(3)
	buffer_store_dword v3, v0, s[0:3], 0 offen
	s_waitcnt vmcnt(3)
	buffer_store_dword v4, v0, s[0:3], 0 offen offset:4
.LBB58_394:
	s_or_b64 exec, exec, s[4:5]
	v_pk_mov_b32 v[0:1], s[10:11], s[10:11] op_sel:[0,1]
	flat_load_dword v0, v[0:1] offset:176
	s_waitcnt vmcnt(0) lgkmcnt(0)
	v_add_u32_e32 v0, -1, v0
	v_cmp_ne_u32_e32 vcc, 44, v0
	s_and_saveexec_b64 s[4:5], vcc
	s_cbranch_execz .LBB58_396
; %bb.395:
	v_mov_b32_e32 v1, 0
	v_lshl_add_u32 v0, v0, 3, v1
	buffer_load_dword v1, v0, s[0:3], 0 offen
	buffer_load_dword v2, v0, s[0:3], 0 offen offset:4
	buffer_load_dword v3, off, s[0:3], 0 offset:356
	buffer_load_dword v4, off, s[0:3], 0 offset:352
	s_waitcnt vmcnt(3)
	buffer_store_dword v1, off, s[0:3], 0 offset:352
	s_waitcnt vmcnt(3)
	buffer_store_dword v2, off, s[0:3], 0 offset:356
	s_waitcnt vmcnt(3)
	buffer_store_dword v3, v0, s[0:3], 0 offen offset:4
	s_waitcnt vmcnt(3)
	buffer_store_dword v4, v0, s[0:3], 0 offen
.LBB58_396:
	s_or_b64 exec, exec, s[4:5]
	v_pk_mov_b32 v[0:1], s[10:11], s[10:11] op_sel:[0,1]
	flat_load_dword v0, v[0:1] offset:172
	s_waitcnt vmcnt(0) lgkmcnt(0)
	v_add_u32_e32 v0, -1, v0
	v_cmp_ne_u32_e32 vcc, 43, v0
	s_and_saveexec_b64 s[4:5], vcc
	s_cbranch_execz .LBB58_398
; %bb.397:
	v_mov_b32_e32 v1, 0
	v_lshl_add_u32 v0, v0, 3, v1
	buffer_load_dword v1, v0, s[0:3], 0 offen
	buffer_load_dword v2, v0, s[0:3], 0 offen offset:4
	buffer_load_dword v3, off, s[0:3], 0 offset:344
	buffer_load_dword v4, off, s[0:3], 0 offset:348
	s_waitcnt vmcnt(3)
	buffer_store_dword v1, off, s[0:3], 0 offset:344
	s_waitcnt vmcnt(3)
	buffer_store_dword v2, off, s[0:3], 0 offset:348
	s_waitcnt vmcnt(3)
	buffer_store_dword v3, v0, s[0:3], 0 offen
	s_waitcnt vmcnt(3)
	buffer_store_dword v4, v0, s[0:3], 0 offen offset:4
.LBB58_398:
	s_or_b64 exec, exec, s[4:5]
	v_pk_mov_b32 v[0:1], s[10:11], s[10:11] op_sel:[0,1]
	flat_load_dword v0, v[0:1] offset:168
	s_waitcnt vmcnt(0) lgkmcnt(0)
	v_add_u32_e32 v0, -1, v0
	v_cmp_ne_u32_e32 vcc, 42, v0
	s_and_saveexec_b64 s[4:5], vcc
	s_cbranch_execz .LBB58_400
; %bb.399:
	v_mov_b32_e32 v1, 0
	v_lshl_add_u32 v0, v0, 3, v1
	buffer_load_dword v1, v0, s[0:3], 0 offen
	buffer_load_dword v2, v0, s[0:3], 0 offen offset:4
	buffer_load_dword v3, off, s[0:3], 0 offset:340
	buffer_load_dword v4, off, s[0:3], 0 offset:336
	s_waitcnt vmcnt(3)
	buffer_store_dword v1, off, s[0:3], 0 offset:336
	s_waitcnt vmcnt(3)
	buffer_store_dword v2, off, s[0:3], 0 offset:340
	s_waitcnt vmcnt(3)
	buffer_store_dword v3, v0, s[0:3], 0 offen offset:4
	s_waitcnt vmcnt(3)
	buffer_store_dword v4, v0, s[0:3], 0 offen
.LBB58_400:
	s_or_b64 exec, exec, s[4:5]
	v_pk_mov_b32 v[0:1], s[10:11], s[10:11] op_sel:[0,1]
	flat_load_dword v0, v[0:1] offset:164
	s_waitcnt vmcnt(0) lgkmcnt(0)
	v_add_u32_e32 v0, -1, v0
	v_cmp_ne_u32_e32 vcc, 41, v0
	s_and_saveexec_b64 s[4:5], vcc
	s_cbranch_execz .LBB58_402
; %bb.401:
	v_mov_b32_e32 v1, 0
	v_lshl_add_u32 v0, v0, 3, v1
	buffer_load_dword v1, v0, s[0:3], 0 offen
	buffer_load_dword v2, v0, s[0:3], 0 offen offset:4
	buffer_load_dword v3, off, s[0:3], 0 offset:328
	buffer_load_dword v4, off, s[0:3], 0 offset:332
	s_waitcnt vmcnt(3)
	buffer_store_dword v1, off, s[0:3], 0 offset:328
	s_waitcnt vmcnt(3)
	buffer_store_dword v2, off, s[0:3], 0 offset:332
	s_waitcnt vmcnt(3)
	buffer_store_dword v3, v0, s[0:3], 0 offen
	s_waitcnt vmcnt(3)
	buffer_store_dword v4, v0, s[0:3], 0 offen offset:4
.LBB58_402:
	s_or_b64 exec, exec, s[4:5]
	v_pk_mov_b32 v[0:1], s[10:11], s[10:11] op_sel:[0,1]
	flat_load_dword v0, v[0:1] offset:160
	s_waitcnt vmcnt(0) lgkmcnt(0)
	v_add_u32_e32 v0, -1, v0
	v_cmp_ne_u32_e32 vcc, 40, v0
	s_and_saveexec_b64 s[4:5], vcc
	s_cbranch_execz .LBB58_404
; %bb.403:
	v_mov_b32_e32 v1, 0
	v_lshl_add_u32 v0, v0, 3, v1
	buffer_load_dword v1, v0, s[0:3], 0 offen
	buffer_load_dword v2, v0, s[0:3], 0 offen offset:4
	buffer_load_dword v3, off, s[0:3], 0 offset:324
	buffer_load_dword v4, off, s[0:3], 0 offset:320
	s_waitcnt vmcnt(3)
	buffer_store_dword v1, off, s[0:3], 0 offset:320
	s_waitcnt vmcnt(3)
	buffer_store_dword v2, off, s[0:3], 0 offset:324
	s_waitcnt vmcnt(3)
	buffer_store_dword v3, v0, s[0:3], 0 offen offset:4
	s_waitcnt vmcnt(3)
	buffer_store_dword v4, v0, s[0:3], 0 offen
.LBB58_404:
	s_or_b64 exec, exec, s[4:5]
	v_pk_mov_b32 v[0:1], s[10:11], s[10:11] op_sel:[0,1]
	flat_load_dword v0, v[0:1] offset:156
	s_waitcnt vmcnt(0) lgkmcnt(0)
	v_add_u32_e32 v0, -1, v0
	v_cmp_ne_u32_e32 vcc, 39, v0
	s_and_saveexec_b64 s[4:5], vcc
	s_cbranch_execz .LBB58_406
; %bb.405:
	v_mov_b32_e32 v1, 0
	v_lshl_add_u32 v0, v0, 3, v1
	buffer_load_dword v1, v0, s[0:3], 0 offen
	buffer_load_dword v2, v0, s[0:3], 0 offen offset:4
	buffer_load_dword v3, off, s[0:3], 0 offset:312
	buffer_load_dword v4, off, s[0:3], 0 offset:316
	s_waitcnt vmcnt(3)
	buffer_store_dword v1, off, s[0:3], 0 offset:312
	s_waitcnt vmcnt(3)
	buffer_store_dword v2, off, s[0:3], 0 offset:316
	s_waitcnt vmcnt(3)
	buffer_store_dword v3, v0, s[0:3], 0 offen
	s_waitcnt vmcnt(3)
	buffer_store_dword v4, v0, s[0:3], 0 offen offset:4
.LBB58_406:
	s_or_b64 exec, exec, s[4:5]
	v_pk_mov_b32 v[0:1], s[10:11], s[10:11] op_sel:[0,1]
	flat_load_dword v0, v[0:1] offset:152
	s_waitcnt vmcnt(0) lgkmcnt(0)
	v_add_u32_e32 v0, -1, v0
	v_cmp_ne_u32_e32 vcc, 38, v0
	s_and_saveexec_b64 s[4:5], vcc
	s_cbranch_execz .LBB58_408
; %bb.407:
	v_mov_b32_e32 v1, 0
	v_lshl_add_u32 v0, v0, 3, v1
	buffer_load_dword v1, v0, s[0:3], 0 offen
	buffer_load_dword v2, v0, s[0:3], 0 offen offset:4
	buffer_load_dword v3, off, s[0:3], 0 offset:308
	buffer_load_dword v4, off, s[0:3], 0 offset:304
	s_waitcnt vmcnt(3)
	buffer_store_dword v1, off, s[0:3], 0 offset:304
	s_waitcnt vmcnt(3)
	buffer_store_dword v2, off, s[0:3], 0 offset:308
	s_waitcnt vmcnt(3)
	buffer_store_dword v3, v0, s[0:3], 0 offen offset:4
	s_waitcnt vmcnt(3)
	buffer_store_dword v4, v0, s[0:3], 0 offen
.LBB58_408:
	s_or_b64 exec, exec, s[4:5]
	v_pk_mov_b32 v[0:1], s[10:11], s[10:11] op_sel:[0,1]
	flat_load_dword v0, v[0:1] offset:148
	s_waitcnt vmcnt(0) lgkmcnt(0)
	v_add_u32_e32 v0, -1, v0
	v_cmp_ne_u32_e32 vcc, 37, v0
	s_and_saveexec_b64 s[4:5], vcc
	s_cbranch_execz .LBB58_410
; %bb.409:
	v_mov_b32_e32 v1, 0
	v_lshl_add_u32 v0, v0, 3, v1
	buffer_load_dword v1, v0, s[0:3], 0 offen
	buffer_load_dword v2, v0, s[0:3], 0 offen offset:4
	buffer_load_dword v3, off, s[0:3], 0 offset:296
	buffer_load_dword v4, off, s[0:3], 0 offset:300
	s_waitcnt vmcnt(3)
	buffer_store_dword v1, off, s[0:3], 0 offset:296
	s_waitcnt vmcnt(3)
	buffer_store_dword v2, off, s[0:3], 0 offset:300
	s_waitcnt vmcnt(3)
	buffer_store_dword v3, v0, s[0:3], 0 offen
	s_waitcnt vmcnt(3)
	buffer_store_dword v4, v0, s[0:3], 0 offen offset:4
.LBB58_410:
	s_or_b64 exec, exec, s[4:5]
	v_pk_mov_b32 v[0:1], s[10:11], s[10:11] op_sel:[0,1]
	flat_load_dword v0, v[0:1] offset:144
	s_waitcnt vmcnt(0) lgkmcnt(0)
	v_add_u32_e32 v0, -1, v0
	v_cmp_ne_u32_e32 vcc, 36, v0
	s_and_saveexec_b64 s[4:5], vcc
	s_cbranch_execz .LBB58_412
; %bb.411:
	v_mov_b32_e32 v1, 0
	v_lshl_add_u32 v0, v0, 3, v1
	buffer_load_dword v1, v0, s[0:3], 0 offen
	buffer_load_dword v2, v0, s[0:3], 0 offen offset:4
	buffer_load_dword v3, off, s[0:3], 0 offset:292
	buffer_load_dword v4, off, s[0:3], 0 offset:288
	s_waitcnt vmcnt(3)
	buffer_store_dword v1, off, s[0:3], 0 offset:288
	s_waitcnt vmcnt(3)
	buffer_store_dword v2, off, s[0:3], 0 offset:292
	s_waitcnt vmcnt(3)
	buffer_store_dword v3, v0, s[0:3], 0 offen offset:4
	s_waitcnt vmcnt(3)
	buffer_store_dword v4, v0, s[0:3], 0 offen
.LBB58_412:
	s_or_b64 exec, exec, s[4:5]
	v_pk_mov_b32 v[0:1], s[10:11], s[10:11] op_sel:[0,1]
	flat_load_dword v0, v[0:1] offset:140
	s_waitcnt vmcnt(0) lgkmcnt(0)
	v_add_u32_e32 v0, -1, v0
	v_cmp_ne_u32_e32 vcc, 35, v0
	s_and_saveexec_b64 s[4:5], vcc
	s_cbranch_execz .LBB58_414
; %bb.413:
	v_mov_b32_e32 v1, 0
	v_lshl_add_u32 v0, v0, 3, v1
	buffer_load_dword v1, v0, s[0:3], 0 offen
	buffer_load_dword v2, v0, s[0:3], 0 offen offset:4
	buffer_load_dword v3, off, s[0:3], 0 offset:280
	buffer_load_dword v4, off, s[0:3], 0 offset:284
	s_waitcnt vmcnt(3)
	buffer_store_dword v1, off, s[0:3], 0 offset:280
	s_waitcnt vmcnt(3)
	buffer_store_dword v2, off, s[0:3], 0 offset:284
	s_waitcnt vmcnt(3)
	buffer_store_dword v3, v0, s[0:3], 0 offen
	s_waitcnt vmcnt(3)
	buffer_store_dword v4, v0, s[0:3], 0 offen offset:4
.LBB58_414:
	s_or_b64 exec, exec, s[4:5]
	v_pk_mov_b32 v[0:1], s[10:11], s[10:11] op_sel:[0,1]
	flat_load_dword v0, v[0:1] offset:136
	s_waitcnt vmcnt(0) lgkmcnt(0)
	v_add_u32_e32 v0, -1, v0
	v_cmp_ne_u32_e32 vcc, 34, v0
	s_and_saveexec_b64 s[4:5], vcc
	s_cbranch_execz .LBB58_416
; %bb.415:
	v_mov_b32_e32 v1, 0
	v_lshl_add_u32 v0, v0, 3, v1
	buffer_load_dword v1, v0, s[0:3], 0 offen
	buffer_load_dword v2, v0, s[0:3], 0 offen offset:4
	buffer_load_dword v3, off, s[0:3], 0 offset:276
	buffer_load_dword v4, off, s[0:3], 0 offset:272
	s_waitcnt vmcnt(3)
	buffer_store_dword v1, off, s[0:3], 0 offset:272
	s_waitcnt vmcnt(3)
	buffer_store_dword v2, off, s[0:3], 0 offset:276
	s_waitcnt vmcnt(3)
	buffer_store_dword v3, v0, s[0:3], 0 offen offset:4
	s_waitcnt vmcnt(3)
	buffer_store_dword v4, v0, s[0:3], 0 offen
.LBB58_416:
	s_or_b64 exec, exec, s[4:5]
	v_pk_mov_b32 v[0:1], s[10:11], s[10:11] op_sel:[0,1]
	flat_load_dword v0, v[0:1] offset:132
	s_waitcnt vmcnt(0) lgkmcnt(0)
	v_add_u32_e32 v0, -1, v0
	v_cmp_ne_u32_e32 vcc, 33, v0
	s_and_saveexec_b64 s[4:5], vcc
	s_cbranch_execz .LBB58_418
; %bb.417:
	v_mov_b32_e32 v1, 0
	v_lshl_add_u32 v0, v0, 3, v1
	buffer_load_dword v1, v0, s[0:3], 0 offen
	buffer_load_dword v2, v0, s[0:3], 0 offen offset:4
	buffer_load_dword v3, off, s[0:3], 0 offset:264
	buffer_load_dword v4, off, s[0:3], 0 offset:268
	s_waitcnt vmcnt(3)
	buffer_store_dword v1, off, s[0:3], 0 offset:264
	s_waitcnt vmcnt(3)
	buffer_store_dword v2, off, s[0:3], 0 offset:268
	s_waitcnt vmcnt(3)
	buffer_store_dword v3, v0, s[0:3], 0 offen
	s_waitcnt vmcnt(3)
	buffer_store_dword v4, v0, s[0:3], 0 offen offset:4
.LBB58_418:
	s_or_b64 exec, exec, s[4:5]
	v_pk_mov_b32 v[0:1], s[10:11], s[10:11] op_sel:[0,1]
	flat_load_dword v0, v[0:1] offset:128
	s_waitcnt vmcnt(0) lgkmcnt(0)
	v_add_u32_e32 v0, -1, v0
	v_cmp_ne_u32_e32 vcc, 32, v0
	s_and_saveexec_b64 s[4:5], vcc
	s_cbranch_execz .LBB58_420
; %bb.419:
	v_mov_b32_e32 v1, 0
	v_lshl_add_u32 v0, v0, 3, v1
	buffer_load_dword v1, v0, s[0:3], 0 offen
	buffer_load_dword v2, v0, s[0:3], 0 offen offset:4
	buffer_load_dword v3, off, s[0:3], 0 offset:260
	buffer_load_dword v4, off, s[0:3], 0 offset:256
	s_waitcnt vmcnt(3)
	buffer_store_dword v1, off, s[0:3], 0 offset:256
	s_waitcnt vmcnt(3)
	buffer_store_dword v2, off, s[0:3], 0 offset:260
	s_waitcnt vmcnt(3)
	buffer_store_dword v3, v0, s[0:3], 0 offen offset:4
	s_waitcnt vmcnt(3)
	buffer_store_dword v4, v0, s[0:3], 0 offen
.LBB58_420:
	s_or_b64 exec, exec, s[4:5]
	v_pk_mov_b32 v[0:1], s[10:11], s[10:11] op_sel:[0,1]
	flat_load_dword v0, v[0:1] offset:124
	s_waitcnt vmcnt(0) lgkmcnt(0)
	v_add_u32_e32 v0, -1, v0
	v_cmp_ne_u32_e32 vcc, 31, v0
	s_and_saveexec_b64 s[4:5], vcc
	s_cbranch_execz .LBB58_422
; %bb.421:
	v_mov_b32_e32 v1, 0
	v_lshl_add_u32 v0, v0, 3, v1
	buffer_load_dword v1, v0, s[0:3], 0 offen
	buffer_load_dword v2, v0, s[0:3], 0 offen offset:4
	buffer_load_dword v3, off, s[0:3], 0 offset:248
	buffer_load_dword v4, off, s[0:3], 0 offset:252
	s_waitcnt vmcnt(3)
	buffer_store_dword v1, off, s[0:3], 0 offset:248
	s_waitcnt vmcnt(3)
	buffer_store_dword v2, off, s[0:3], 0 offset:252
	s_waitcnt vmcnt(3)
	buffer_store_dword v3, v0, s[0:3], 0 offen
	s_waitcnt vmcnt(3)
	buffer_store_dword v4, v0, s[0:3], 0 offen offset:4
.LBB58_422:
	s_or_b64 exec, exec, s[4:5]
	v_pk_mov_b32 v[0:1], s[10:11], s[10:11] op_sel:[0,1]
	flat_load_dword v0, v[0:1] offset:120
	s_waitcnt vmcnt(0) lgkmcnt(0)
	v_add_u32_e32 v0, -1, v0
	v_cmp_ne_u32_e32 vcc, 30, v0
	s_and_saveexec_b64 s[4:5], vcc
	s_cbranch_execz .LBB58_424
; %bb.423:
	v_mov_b32_e32 v1, 0
	v_lshl_add_u32 v0, v0, 3, v1
	buffer_load_dword v1, v0, s[0:3], 0 offen
	buffer_load_dword v2, v0, s[0:3], 0 offen offset:4
	buffer_load_dword v3, off, s[0:3], 0 offset:244
	buffer_load_dword v4, off, s[0:3], 0 offset:240
	s_waitcnt vmcnt(3)
	buffer_store_dword v1, off, s[0:3], 0 offset:240
	s_waitcnt vmcnt(3)
	buffer_store_dword v2, off, s[0:3], 0 offset:244
	s_waitcnt vmcnt(3)
	buffer_store_dword v3, v0, s[0:3], 0 offen offset:4
	s_waitcnt vmcnt(3)
	buffer_store_dword v4, v0, s[0:3], 0 offen
.LBB58_424:
	s_or_b64 exec, exec, s[4:5]
	v_pk_mov_b32 v[0:1], s[10:11], s[10:11] op_sel:[0,1]
	flat_load_dword v0, v[0:1] offset:116
	s_waitcnt vmcnt(0) lgkmcnt(0)
	v_add_u32_e32 v0, -1, v0
	v_cmp_ne_u32_e32 vcc, 29, v0
	s_and_saveexec_b64 s[4:5], vcc
	s_cbranch_execz .LBB58_426
; %bb.425:
	v_mov_b32_e32 v1, 0
	v_lshl_add_u32 v0, v0, 3, v1
	buffer_load_dword v1, v0, s[0:3], 0 offen
	buffer_load_dword v2, v0, s[0:3], 0 offen offset:4
	buffer_load_dword v3, off, s[0:3], 0 offset:232
	buffer_load_dword v4, off, s[0:3], 0 offset:236
	s_waitcnt vmcnt(3)
	buffer_store_dword v1, off, s[0:3], 0 offset:232
	s_waitcnt vmcnt(3)
	buffer_store_dword v2, off, s[0:3], 0 offset:236
	s_waitcnt vmcnt(3)
	buffer_store_dword v3, v0, s[0:3], 0 offen
	s_waitcnt vmcnt(3)
	buffer_store_dword v4, v0, s[0:3], 0 offen offset:4
.LBB58_426:
	s_or_b64 exec, exec, s[4:5]
	v_pk_mov_b32 v[0:1], s[10:11], s[10:11] op_sel:[0,1]
	flat_load_dword v0, v[0:1] offset:112
	s_waitcnt vmcnt(0) lgkmcnt(0)
	v_add_u32_e32 v0, -1, v0
	v_cmp_ne_u32_e32 vcc, 28, v0
	s_and_saveexec_b64 s[4:5], vcc
	s_cbranch_execz .LBB58_428
; %bb.427:
	v_mov_b32_e32 v1, 0
	v_lshl_add_u32 v0, v0, 3, v1
	buffer_load_dword v1, v0, s[0:3], 0 offen
	buffer_load_dword v2, v0, s[0:3], 0 offen offset:4
	buffer_load_dword v3, off, s[0:3], 0 offset:228
	buffer_load_dword v4, off, s[0:3], 0 offset:224
	s_waitcnt vmcnt(3)
	buffer_store_dword v1, off, s[0:3], 0 offset:224
	s_waitcnt vmcnt(3)
	buffer_store_dword v2, off, s[0:3], 0 offset:228
	s_waitcnt vmcnt(3)
	buffer_store_dword v3, v0, s[0:3], 0 offen offset:4
	s_waitcnt vmcnt(3)
	buffer_store_dword v4, v0, s[0:3], 0 offen
.LBB58_428:
	s_or_b64 exec, exec, s[4:5]
	v_pk_mov_b32 v[0:1], s[10:11], s[10:11] op_sel:[0,1]
	flat_load_dword v0, v[0:1] offset:108
	s_waitcnt vmcnt(0) lgkmcnt(0)
	v_add_u32_e32 v0, -1, v0
	v_cmp_ne_u32_e32 vcc, 27, v0
	s_and_saveexec_b64 s[4:5], vcc
	s_cbranch_execz .LBB58_430
; %bb.429:
	v_mov_b32_e32 v1, 0
	v_lshl_add_u32 v0, v0, 3, v1
	buffer_load_dword v1, v0, s[0:3], 0 offen
	buffer_load_dword v2, v0, s[0:3], 0 offen offset:4
	buffer_load_dword v3, off, s[0:3], 0 offset:216
	buffer_load_dword v4, off, s[0:3], 0 offset:220
	s_waitcnt vmcnt(3)
	buffer_store_dword v1, off, s[0:3], 0 offset:216
	s_waitcnt vmcnt(3)
	buffer_store_dword v2, off, s[0:3], 0 offset:220
	s_waitcnt vmcnt(3)
	buffer_store_dword v3, v0, s[0:3], 0 offen
	s_waitcnt vmcnt(3)
	buffer_store_dword v4, v0, s[0:3], 0 offen offset:4
.LBB58_430:
	s_or_b64 exec, exec, s[4:5]
	v_pk_mov_b32 v[0:1], s[10:11], s[10:11] op_sel:[0,1]
	flat_load_dword v0, v[0:1] offset:104
	s_waitcnt vmcnt(0) lgkmcnt(0)
	v_add_u32_e32 v0, -1, v0
	v_cmp_ne_u32_e32 vcc, 26, v0
	s_and_saveexec_b64 s[4:5], vcc
	s_cbranch_execz .LBB58_432
; %bb.431:
	v_mov_b32_e32 v1, 0
	v_lshl_add_u32 v0, v0, 3, v1
	buffer_load_dword v1, v0, s[0:3], 0 offen
	buffer_load_dword v2, v0, s[0:3], 0 offen offset:4
	buffer_load_dword v3, off, s[0:3], 0 offset:212
	buffer_load_dword v4, off, s[0:3], 0 offset:208
	s_waitcnt vmcnt(3)
	buffer_store_dword v1, off, s[0:3], 0 offset:208
	s_waitcnt vmcnt(3)
	buffer_store_dword v2, off, s[0:3], 0 offset:212
	s_waitcnt vmcnt(3)
	buffer_store_dword v3, v0, s[0:3], 0 offen offset:4
	s_waitcnt vmcnt(3)
	buffer_store_dword v4, v0, s[0:3], 0 offen
.LBB58_432:
	s_or_b64 exec, exec, s[4:5]
	v_pk_mov_b32 v[0:1], s[10:11], s[10:11] op_sel:[0,1]
	flat_load_dword v0, v[0:1] offset:100
	s_waitcnt vmcnt(0) lgkmcnt(0)
	v_add_u32_e32 v0, -1, v0
	v_cmp_ne_u32_e32 vcc, 25, v0
	s_and_saveexec_b64 s[4:5], vcc
	s_cbranch_execz .LBB58_434
; %bb.433:
	v_mov_b32_e32 v1, 0
	v_lshl_add_u32 v0, v0, 3, v1
	buffer_load_dword v1, v0, s[0:3], 0 offen
	buffer_load_dword v2, v0, s[0:3], 0 offen offset:4
	buffer_load_dword v3, off, s[0:3], 0 offset:200
	buffer_load_dword v4, off, s[0:3], 0 offset:204
	s_waitcnt vmcnt(3)
	buffer_store_dword v1, off, s[0:3], 0 offset:200
	s_waitcnt vmcnt(3)
	buffer_store_dword v2, off, s[0:3], 0 offset:204
	s_waitcnt vmcnt(3)
	buffer_store_dword v3, v0, s[0:3], 0 offen
	s_waitcnt vmcnt(3)
	buffer_store_dword v4, v0, s[0:3], 0 offen offset:4
.LBB58_434:
	s_or_b64 exec, exec, s[4:5]
	v_pk_mov_b32 v[0:1], s[10:11], s[10:11] op_sel:[0,1]
	flat_load_dword v0, v[0:1] offset:96
	s_waitcnt vmcnt(0) lgkmcnt(0)
	v_add_u32_e32 v0, -1, v0
	v_cmp_ne_u32_e32 vcc, 24, v0
	s_and_saveexec_b64 s[4:5], vcc
	s_cbranch_execz .LBB58_436
; %bb.435:
	v_mov_b32_e32 v1, 0
	v_lshl_add_u32 v0, v0, 3, v1
	buffer_load_dword v1, v0, s[0:3], 0 offen
	buffer_load_dword v2, v0, s[0:3], 0 offen offset:4
	buffer_load_dword v3, off, s[0:3], 0 offset:196
	buffer_load_dword v4, off, s[0:3], 0 offset:192
	s_waitcnt vmcnt(3)
	buffer_store_dword v1, off, s[0:3], 0 offset:192
	s_waitcnt vmcnt(3)
	buffer_store_dword v2, off, s[0:3], 0 offset:196
	s_waitcnt vmcnt(3)
	buffer_store_dword v3, v0, s[0:3], 0 offen offset:4
	s_waitcnt vmcnt(3)
	buffer_store_dword v4, v0, s[0:3], 0 offen
.LBB58_436:
	s_or_b64 exec, exec, s[4:5]
	v_pk_mov_b32 v[0:1], s[10:11], s[10:11] op_sel:[0,1]
	flat_load_dword v0, v[0:1] offset:92
	s_waitcnt vmcnt(0) lgkmcnt(0)
	v_add_u32_e32 v0, -1, v0
	v_cmp_ne_u32_e32 vcc, 23, v0
	s_and_saveexec_b64 s[4:5], vcc
	s_cbranch_execz .LBB58_438
; %bb.437:
	v_mov_b32_e32 v1, 0
	v_lshl_add_u32 v0, v0, 3, v1
	buffer_load_dword v1, v0, s[0:3], 0 offen
	buffer_load_dword v2, v0, s[0:3], 0 offen offset:4
	buffer_load_dword v3, off, s[0:3], 0 offset:184
	buffer_load_dword v4, off, s[0:3], 0 offset:188
	s_waitcnt vmcnt(3)
	buffer_store_dword v1, off, s[0:3], 0 offset:184
	s_waitcnt vmcnt(3)
	buffer_store_dword v2, off, s[0:3], 0 offset:188
	s_waitcnt vmcnt(3)
	buffer_store_dword v3, v0, s[0:3], 0 offen
	s_waitcnt vmcnt(3)
	buffer_store_dword v4, v0, s[0:3], 0 offen offset:4
.LBB58_438:
	s_or_b64 exec, exec, s[4:5]
	v_pk_mov_b32 v[0:1], s[10:11], s[10:11] op_sel:[0,1]
	flat_load_dword v0, v[0:1] offset:88
	s_waitcnt vmcnt(0) lgkmcnt(0)
	v_add_u32_e32 v0, -1, v0
	v_cmp_ne_u32_e32 vcc, 22, v0
	s_and_saveexec_b64 s[4:5], vcc
	s_cbranch_execz .LBB58_440
; %bb.439:
	v_mov_b32_e32 v1, 0
	v_lshl_add_u32 v0, v0, 3, v1
	buffer_load_dword v1, v0, s[0:3], 0 offen
	buffer_load_dword v2, v0, s[0:3], 0 offen offset:4
	buffer_load_dword v3, off, s[0:3], 0 offset:180
	buffer_load_dword v4, off, s[0:3], 0 offset:176
	s_waitcnt vmcnt(3)
	buffer_store_dword v1, off, s[0:3], 0 offset:176
	s_waitcnt vmcnt(3)
	buffer_store_dword v2, off, s[0:3], 0 offset:180
	s_waitcnt vmcnt(3)
	buffer_store_dword v3, v0, s[0:3], 0 offen offset:4
	s_waitcnt vmcnt(3)
	buffer_store_dword v4, v0, s[0:3], 0 offen
.LBB58_440:
	s_or_b64 exec, exec, s[4:5]
	v_pk_mov_b32 v[0:1], s[10:11], s[10:11] op_sel:[0,1]
	flat_load_dword v0, v[0:1] offset:84
	s_waitcnt vmcnt(0) lgkmcnt(0)
	v_add_u32_e32 v0, -1, v0
	v_cmp_ne_u32_e32 vcc, 21, v0
	s_and_saveexec_b64 s[4:5], vcc
	s_cbranch_execz .LBB58_442
; %bb.441:
	v_mov_b32_e32 v1, 0
	v_lshl_add_u32 v0, v0, 3, v1
	buffer_load_dword v1, v0, s[0:3], 0 offen
	buffer_load_dword v2, v0, s[0:3], 0 offen offset:4
	buffer_load_dword v3, off, s[0:3], 0 offset:168
	buffer_load_dword v4, off, s[0:3], 0 offset:172
	s_waitcnt vmcnt(3)
	buffer_store_dword v1, off, s[0:3], 0 offset:168
	s_waitcnt vmcnt(3)
	buffer_store_dword v2, off, s[0:3], 0 offset:172
	s_waitcnt vmcnt(3)
	buffer_store_dword v3, v0, s[0:3], 0 offen
	s_waitcnt vmcnt(3)
	buffer_store_dword v4, v0, s[0:3], 0 offen offset:4
.LBB58_442:
	s_or_b64 exec, exec, s[4:5]
	v_pk_mov_b32 v[0:1], s[10:11], s[10:11] op_sel:[0,1]
	flat_load_dword v0, v[0:1] offset:80
	s_waitcnt vmcnt(0) lgkmcnt(0)
	v_add_u32_e32 v0, -1, v0
	v_cmp_ne_u32_e32 vcc, 20, v0
	s_and_saveexec_b64 s[4:5], vcc
	s_cbranch_execz .LBB58_444
; %bb.443:
	v_mov_b32_e32 v1, 0
	v_lshl_add_u32 v0, v0, 3, v1
	buffer_load_dword v1, v0, s[0:3], 0 offen
	buffer_load_dword v2, v0, s[0:3], 0 offen offset:4
	buffer_load_dword v3, off, s[0:3], 0 offset:164
	buffer_load_dword v4, off, s[0:3], 0 offset:160
	s_waitcnt vmcnt(3)
	buffer_store_dword v1, off, s[0:3], 0 offset:160
	s_waitcnt vmcnt(3)
	buffer_store_dword v2, off, s[0:3], 0 offset:164
	s_waitcnt vmcnt(3)
	buffer_store_dword v3, v0, s[0:3], 0 offen offset:4
	s_waitcnt vmcnt(3)
	buffer_store_dword v4, v0, s[0:3], 0 offen
.LBB58_444:
	s_or_b64 exec, exec, s[4:5]
	v_pk_mov_b32 v[0:1], s[10:11], s[10:11] op_sel:[0,1]
	flat_load_dword v0, v[0:1] offset:76
	s_waitcnt vmcnt(0) lgkmcnt(0)
	v_add_u32_e32 v0, -1, v0
	v_cmp_ne_u32_e32 vcc, 19, v0
	s_and_saveexec_b64 s[4:5], vcc
	s_cbranch_execz .LBB58_446
; %bb.445:
	v_mov_b32_e32 v1, 0
	v_lshl_add_u32 v0, v0, 3, v1
	buffer_load_dword v1, v0, s[0:3], 0 offen
	buffer_load_dword v2, v0, s[0:3], 0 offen offset:4
	buffer_load_dword v3, off, s[0:3], 0 offset:152
	buffer_load_dword v4, off, s[0:3], 0 offset:156
	s_waitcnt vmcnt(3)
	buffer_store_dword v1, off, s[0:3], 0 offset:152
	s_waitcnt vmcnt(3)
	buffer_store_dword v2, off, s[0:3], 0 offset:156
	s_waitcnt vmcnt(3)
	buffer_store_dword v3, v0, s[0:3], 0 offen
	s_waitcnt vmcnt(3)
	buffer_store_dword v4, v0, s[0:3], 0 offen offset:4
.LBB58_446:
	s_or_b64 exec, exec, s[4:5]
	v_pk_mov_b32 v[0:1], s[10:11], s[10:11] op_sel:[0,1]
	flat_load_dword v0, v[0:1] offset:72
	s_waitcnt vmcnt(0) lgkmcnt(0)
	v_add_u32_e32 v0, -1, v0
	v_cmp_ne_u32_e32 vcc, 18, v0
	s_and_saveexec_b64 s[4:5], vcc
	s_cbranch_execz .LBB58_448
; %bb.447:
	v_mov_b32_e32 v1, 0
	v_lshl_add_u32 v0, v0, 3, v1
	buffer_load_dword v1, v0, s[0:3], 0 offen
	buffer_load_dword v2, v0, s[0:3], 0 offen offset:4
	buffer_load_dword v3, off, s[0:3], 0 offset:148
	buffer_load_dword v4, off, s[0:3], 0 offset:144
	s_waitcnt vmcnt(3)
	buffer_store_dword v1, off, s[0:3], 0 offset:144
	s_waitcnt vmcnt(3)
	buffer_store_dword v2, off, s[0:3], 0 offset:148
	s_waitcnt vmcnt(3)
	buffer_store_dword v3, v0, s[0:3], 0 offen offset:4
	s_waitcnt vmcnt(3)
	buffer_store_dword v4, v0, s[0:3], 0 offen
.LBB58_448:
	s_or_b64 exec, exec, s[4:5]
	v_pk_mov_b32 v[0:1], s[10:11], s[10:11] op_sel:[0,1]
	flat_load_dword v0, v[0:1] offset:68
	s_waitcnt vmcnt(0) lgkmcnt(0)
	v_add_u32_e32 v0, -1, v0
	v_cmp_ne_u32_e32 vcc, 17, v0
	s_and_saveexec_b64 s[4:5], vcc
	s_cbranch_execz .LBB58_450
; %bb.449:
	v_mov_b32_e32 v1, 0
	v_lshl_add_u32 v0, v0, 3, v1
	buffer_load_dword v1, v0, s[0:3], 0 offen
	buffer_load_dword v2, v0, s[0:3], 0 offen offset:4
	buffer_load_dword v3, off, s[0:3], 0 offset:136
	buffer_load_dword v4, off, s[0:3], 0 offset:140
	s_waitcnt vmcnt(3)
	buffer_store_dword v1, off, s[0:3], 0 offset:136
	s_waitcnt vmcnt(3)
	buffer_store_dword v2, off, s[0:3], 0 offset:140
	s_waitcnt vmcnt(3)
	buffer_store_dword v3, v0, s[0:3], 0 offen
	s_waitcnt vmcnt(3)
	buffer_store_dword v4, v0, s[0:3], 0 offen offset:4
.LBB58_450:
	s_or_b64 exec, exec, s[4:5]
	v_pk_mov_b32 v[0:1], s[10:11], s[10:11] op_sel:[0,1]
	flat_load_dword v0, v[0:1] offset:64
	s_waitcnt vmcnt(0) lgkmcnt(0)
	v_add_u32_e32 v0, -1, v0
	v_cmp_ne_u32_e32 vcc, 16, v0
	s_and_saveexec_b64 s[4:5], vcc
	s_cbranch_execz .LBB58_452
; %bb.451:
	v_mov_b32_e32 v1, 0
	v_lshl_add_u32 v0, v0, 3, v1
	buffer_load_dword v1, v0, s[0:3], 0 offen
	buffer_load_dword v2, v0, s[0:3], 0 offen offset:4
	buffer_load_dword v3, off, s[0:3], 0 offset:132
	buffer_load_dword v4, off, s[0:3], 0 offset:128
	s_waitcnt vmcnt(3)
	buffer_store_dword v1, off, s[0:3], 0 offset:128
	s_waitcnt vmcnt(3)
	buffer_store_dword v2, off, s[0:3], 0 offset:132
	s_waitcnt vmcnt(3)
	buffer_store_dword v3, v0, s[0:3], 0 offen offset:4
	s_waitcnt vmcnt(3)
	buffer_store_dword v4, v0, s[0:3], 0 offen
.LBB58_452:
	s_or_b64 exec, exec, s[4:5]
	v_pk_mov_b32 v[0:1], s[10:11], s[10:11] op_sel:[0,1]
	flat_load_dword v0, v[0:1] offset:60
	s_waitcnt vmcnt(0) lgkmcnt(0)
	v_add_u32_e32 v0, -1, v0
	v_cmp_ne_u32_e32 vcc, 15, v0
	s_and_saveexec_b64 s[4:5], vcc
	s_cbranch_execz .LBB58_454
; %bb.453:
	v_mov_b32_e32 v1, 0
	v_lshl_add_u32 v0, v0, 3, v1
	buffer_load_dword v1, v0, s[0:3], 0 offen
	buffer_load_dword v2, v0, s[0:3], 0 offen offset:4
	buffer_load_dword v3, off, s[0:3], 0 offset:120
	buffer_load_dword v4, off, s[0:3], 0 offset:124
	s_waitcnt vmcnt(3)
	buffer_store_dword v1, off, s[0:3], 0 offset:120
	s_waitcnt vmcnt(3)
	buffer_store_dword v2, off, s[0:3], 0 offset:124
	s_waitcnt vmcnt(3)
	buffer_store_dword v3, v0, s[0:3], 0 offen
	s_waitcnt vmcnt(3)
	buffer_store_dword v4, v0, s[0:3], 0 offen offset:4
.LBB58_454:
	s_or_b64 exec, exec, s[4:5]
	v_pk_mov_b32 v[0:1], s[10:11], s[10:11] op_sel:[0,1]
	flat_load_dword v0, v[0:1] offset:56
	s_waitcnt vmcnt(0) lgkmcnt(0)
	v_add_u32_e32 v0, -1, v0
	v_cmp_ne_u32_e32 vcc, 14, v0
	s_and_saveexec_b64 s[4:5], vcc
	s_cbranch_execz .LBB58_456
; %bb.455:
	v_mov_b32_e32 v1, 0
	v_lshl_add_u32 v0, v0, 3, v1
	buffer_load_dword v1, v0, s[0:3], 0 offen
	buffer_load_dword v2, v0, s[0:3], 0 offen offset:4
	buffer_load_dword v3, off, s[0:3], 0 offset:116
	buffer_load_dword v4, off, s[0:3], 0 offset:112
	s_waitcnt vmcnt(3)
	buffer_store_dword v1, off, s[0:3], 0 offset:112
	s_waitcnt vmcnt(3)
	buffer_store_dword v2, off, s[0:3], 0 offset:116
	s_waitcnt vmcnt(3)
	buffer_store_dword v3, v0, s[0:3], 0 offen offset:4
	s_waitcnt vmcnt(3)
	buffer_store_dword v4, v0, s[0:3], 0 offen
.LBB58_456:
	s_or_b64 exec, exec, s[4:5]
	v_pk_mov_b32 v[0:1], s[10:11], s[10:11] op_sel:[0,1]
	flat_load_dword v0, v[0:1] offset:52
	s_waitcnt vmcnt(0) lgkmcnt(0)
	v_add_u32_e32 v0, -1, v0
	v_cmp_ne_u32_e32 vcc, 13, v0
	s_and_saveexec_b64 s[4:5], vcc
	s_cbranch_execz .LBB58_458
; %bb.457:
	v_mov_b32_e32 v1, 0
	v_lshl_add_u32 v0, v0, 3, v1
	buffer_load_dword v1, v0, s[0:3], 0 offen
	buffer_load_dword v2, v0, s[0:3], 0 offen offset:4
	buffer_load_dword v3, off, s[0:3], 0 offset:104
	buffer_load_dword v4, off, s[0:3], 0 offset:108
	s_waitcnt vmcnt(3)
	buffer_store_dword v1, off, s[0:3], 0 offset:104
	s_waitcnt vmcnt(3)
	buffer_store_dword v2, off, s[0:3], 0 offset:108
	s_waitcnt vmcnt(3)
	buffer_store_dword v3, v0, s[0:3], 0 offen
	s_waitcnt vmcnt(3)
	buffer_store_dword v4, v0, s[0:3], 0 offen offset:4
.LBB58_458:
	s_or_b64 exec, exec, s[4:5]
	v_pk_mov_b32 v[0:1], s[10:11], s[10:11] op_sel:[0,1]
	flat_load_dword v0, v[0:1] offset:48
	s_waitcnt vmcnt(0) lgkmcnt(0)
	v_add_u32_e32 v0, -1, v0
	v_cmp_ne_u32_e32 vcc, 12, v0
	s_and_saveexec_b64 s[4:5], vcc
	s_cbranch_execz .LBB58_460
; %bb.459:
	v_mov_b32_e32 v1, 0
	v_lshl_add_u32 v0, v0, 3, v1
	buffer_load_dword v1, v0, s[0:3], 0 offen
	buffer_load_dword v2, v0, s[0:3], 0 offen offset:4
	buffer_load_dword v3, off, s[0:3], 0 offset:100
	buffer_load_dword v4, off, s[0:3], 0 offset:96
	s_waitcnt vmcnt(3)
	buffer_store_dword v1, off, s[0:3], 0 offset:96
	s_waitcnt vmcnt(3)
	buffer_store_dword v2, off, s[0:3], 0 offset:100
	s_waitcnt vmcnt(3)
	buffer_store_dword v3, v0, s[0:3], 0 offen offset:4
	s_waitcnt vmcnt(3)
	buffer_store_dword v4, v0, s[0:3], 0 offen
.LBB58_460:
	s_or_b64 exec, exec, s[4:5]
	v_pk_mov_b32 v[0:1], s[10:11], s[10:11] op_sel:[0,1]
	flat_load_dword v0, v[0:1] offset:44
	s_waitcnt vmcnt(0) lgkmcnt(0)
	v_add_u32_e32 v0, -1, v0
	v_cmp_ne_u32_e32 vcc, 11, v0
	s_and_saveexec_b64 s[4:5], vcc
	s_cbranch_execz .LBB58_462
; %bb.461:
	v_mov_b32_e32 v1, 0
	v_lshl_add_u32 v0, v0, 3, v1
	buffer_load_dword v1, v0, s[0:3], 0 offen
	buffer_load_dword v2, v0, s[0:3], 0 offen offset:4
	buffer_load_dword v3, off, s[0:3], 0 offset:88
	buffer_load_dword v4, off, s[0:3], 0 offset:92
	s_waitcnt vmcnt(3)
	buffer_store_dword v1, off, s[0:3], 0 offset:88
	s_waitcnt vmcnt(3)
	buffer_store_dword v2, off, s[0:3], 0 offset:92
	s_waitcnt vmcnt(3)
	buffer_store_dword v3, v0, s[0:3], 0 offen
	s_waitcnt vmcnt(3)
	buffer_store_dword v4, v0, s[0:3], 0 offen offset:4
.LBB58_462:
	s_or_b64 exec, exec, s[4:5]
	v_pk_mov_b32 v[0:1], s[10:11], s[10:11] op_sel:[0,1]
	flat_load_dword v0, v[0:1] offset:40
	s_waitcnt vmcnt(0) lgkmcnt(0)
	v_add_u32_e32 v0, -1, v0
	v_cmp_ne_u32_e32 vcc, 10, v0
	s_and_saveexec_b64 s[4:5], vcc
	s_cbranch_execz .LBB58_464
; %bb.463:
	v_mov_b32_e32 v1, 0
	v_lshl_add_u32 v0, v0, 3, v1
	buffer_load_dword v1, v0, s[0:3], 0 offen
	buffer_load_dword v2, v0, s[0:3], 0 offen offset:4
	buffer_load_dword v3, off, s[0:3], 0 offset:84
	buffer_load_dword v4, off, s[0:3], 0 offset:80
	s_waitcnt vmcnt(3)
	buffer_store_dword v1, off, s[0:3], 0 offset:80
	s_waitcnt vmcnt(3)
	buffer_store_dword v2, off, s[0:3], 0 offset:84
	s_waitcnt vmcnt(3)
	buffer_store_dword v3, v0, s[0:3], 0 offen offset:4
	s_waitcnt vmcnt(3)
	buffer_store_dword v4, v0, s[0:3], 0 offen
.LBB58_464:
	s_or_b64 exec, exec, s[4:5]
	v_pk_mov_b32 v[0:1], s[10:11], s[10:11] op_sel:[0,1]
	flat_load_dword v0, v[0:1] offset:36
	s_waitcnt vmcnt(0) lgkmcnt(0)
	v_add_u32_e32 v0, -1, v0
	v_cmp_ne_u32_e32 vcc, 9, v0
	s_and_saveexec_b64 s[4:5], vcc
	s_cbranch_execz .LBB58_466
; %bb.465:
	v_mov_b32_e32 v1, 0
	v_lshl_add_u32 v0, v0, 3, v1
	buffer_load_dword v1, v0, s[0:3], 0 offen
	buffer_load_dword v2, v0, s[0:3], 0 offen offset:4
	buffer_load_dword v3, off, s[0:3], 0 offset:72
	buffer_load_dword v4, off, s[0:3], 0 offset:76
	s_waitcnt vmcnt(3)
	buffer_store_dword v1, off, s[0:3], 0 offset:72
	s_waitcnt vmcnt(3)
	buffer_store_dword v2, off, s[0:3], 0 offset:76
	s_waitcnt vmcnt(3)
	buffer_store_dword v3, v0, s[0:3], 0 offen
	s_waitcnt vmcnt(3)
	buffer_store_dword v4, v0, s[0:3], 0 offen offset:4
.LBB58_466:
	s_or_b64 exec, exec, s[4:5]
	v_pk_mov_b32 v[0:1], s[10:11], s[10:11] op_sel:[0,1]
	flat_load_dword v0, v[0:1] offset:32
	s_waitcnt vmcnt(0) lgkmcnt(0)
	v_add_u32_e32 v0, -1, v0
	v_cmp_ne_u32_e32 vcc, 8, v0
	s_and_saveexec_b64 s[4:5], vcc
	s_cbranch_execz .LBB58_468
; %bb.467:
	v_mov_b32_e32 v1, 0
	v_lshl_add_u32 v0, v0, 3, v1
	buffer_load_dword v1, v0, s[0:3], 0 offen
	buffer_load_dword v2, v0, s[0:3], 0 offen offset:4
	buffer_load_dword v3, off, s[0:3], 0 offset:68
	buffer_load_dword v4, off, s[0:3], 0 offset:64
	s_waitcnt vmcnt(3)
	buffer_store_dword v1, off, s[0:3], 0 offset:64
	s_waitcnt vmcnt(3)
	buffer_store_dword v2, off, s[0:3], 0 offset:68
	s_waitcnt vmcnt(3)
	buffer_store_dword v3, v0, s[0:3], 0 offen offset:4
	s_waitcnt vmcnt(3)
	buffer_store_dword v4, v0, s[0:3], 0 offen
.LBB58_468:
	s_or_b64 exec, exec, s[4:5]
	v_pk_mov_b32 v[0:1], s[10:11], s[10:11] op_sel:[0,1]
	flat_load_dword v0, v[0:1] offset:28
	s_waitcnt vmcnt(0) lgkmcnt(0)
	v_add_u32_e32 v0, -1, v0
	v_cmp_ne_u32_e32 vcc, 7, v0
	s_and_saveexec_b64 s[4:5], vcc
	s_cbranch_execz .LBB58_470
; %bb.469:
	v_mov_b32_e32 v1, 0
	v_lshl_add_u32 v0, v0, 3, v1
	buffer_load_dword v1, v0, s[0:3], 0 offen
	buffer_load_dword v2, v0, s[0:3], 0 offen offset:4
	buffer_load_dword v3, off, s[0:3], 0 offset:56
	buffer_load_dword v4, off, s[0:3], 0 offset:60
	s_waitcnt vmcnt(3)
	buffer_store_dword v1, off, s[0:3], 0 offset:56
	s_waitcnt vmcnt(3)
	buffer_store_dword v2, off, s[0:3], 0 offset:60
	s_waitcnt vmcnt(3)
	buffer_store_dword v3, v0, s[0:3], 0 offen
	s_waitcnt vmcnt(3)
	buffer_store_dword v4, v0, s[0:3], 0 offen offset:4
.LBB58_470:
	s_or_b64 exec, exec, s[4:5]
	v_pk_mov_b32 v[0:1], s[10:11], s[10:11] op_sel:[0,1]
	flat_load_dword v0, v[0:1] offset:24
	s_waitcnt vmcnt(0) lgkmcnt(0)
	v_add_u32_e32 v0, -1, v0
	v_cmp_ne_u32_e32 vcc, 6, v0
	s_and_saveexec_b64 s[4:5], vcc
	s_cbranch_execz .LBB58_472
; %bb.471:
	v_mov_b32_e32 v1, 0
	v_lshl_add_u32 v0, v0, 3, v1
	buffer_load_dword v1, v0, s[0:3], 0 offen
	buffer_load_dword v2, v0, s[0:3], 0 offen offset:4
	buffer_load_dword v3, off, s[0:3], 0 offset:52
	buffer_load_dword v4, off, s[0:3], 0 offset:48
	s_waitcnt vmcnt(3)
	buffer_store_dword v1, off, s[0:3], 0 offset:48
	s_waitcnt vmcnt(3)
	buffer_store_dword v2, off, s[0:3], 0 offset:52
	s_waitcnt vmcnt(3)
	buffer_store_dword v3, v0, s[0:3], 0 offen offset:4
	s_waitcnt vmcnt(3)
	buffer_store_dword v4, v0, s[0:3], 0 offen
.LBB58_472:
	s_or_b64 exec, exec, s[4:5]
	v_pk_mov_b32 v[0:1], s[10:11], s[10:11] op_sel:[0,1]
	flat_load_dword v0, v[0:1] offset:20
	s_waitcnt vmcnt(0) lgkmcnt(0)
	v_add_u32_e32 v0, -1, v0
	v_cmp_ne_u32_e32 vcc, 5, v0
	s_and_saveexec_b64 s[4:5], vcc
	s_cbranch_execz .LBB58_474
; %bb.473:
	v_mov_b32_e32 v1, 0
	v_lshl_add_u32 v0, v0, 3, v1
	buffer_load_dword v1, v0, s[0:3], 0 offen
	buffer_load_dword v2, v0, s[0:3], 0 offen offset:4
	buffer_load_dword v3, off, s[0:3], 0 offset:40
	buffer_load_dword v4, off, s[0:3], 0 offset:44
	s_waitcnt vmcnt(3)
	buffer_store_dword v1, off, s[0:3], 0 offset:40
	s_waitcnt vmcnt(3)
	buffer_store_dword v2, off, s[0:3], 0 offset:44
	s_waitcnt vmcnt(3)
	buffer_store_dword v3, v0, s[0:3], 0 offen
	s_waitcnt vmcnt(3)
	buffer_store_dword v4, v0, s[0:3], 0 offen offset:4
.LBB58_474:
	s_or_b64 exec, exec, s[4:5]
	v_pk_mov_b32 v[0:1], s[10:11], s[10:11] op_sel:[0,1]
	flat_load_dword v0, v[0:1] offset:16
	s_waitcnt vmcnt(0) lgkmcnt(0)
	v_add_u32_e32 v0, -1, v0
	v_cmp_ne_u32_e32 vcc, 4, v0
	s_and_saveexec_b64 s[4:5], vcc
	s_cbranch_execz .LBB58_476
; %bb.475:
	v_mov_b32_e32 v1, 0
	v_lshl_add_u32 v0, v0, 3, v1
	buffer_load_dword v1, v0, s[0:3], 0 offen
	buffer_load_dword v2, v0, s[0:3], 0 offen offset:4
	buffer_load_dword v3, off, s[0:3], 0 offset:36
	buffer_load_dword v4, off, s[0:3], 0 offset:32
	s_waitcnt vmcnt(3)
	buffer_store_dword v1, off, s[0:3], 0 offset:32
	s_waitcnt vmcnt(3)
	buffer_store_dword v2, off, s[0:3], 0 offset:36
	s_waitcnt vmcnt(3)
	buffer_store_dword v3, v0, s[0:3], 0 offen offset:4
	s_waitcnt vmcnt(3)
	buffer_store_dword v4, v0, s[0:3], 0 offen
.LBB58_476:
	s_or_b64 exec, exec, s[4:5]
	v_pk_mov_b32 v[0:1], s[10:11], s[10:11] op_sel:[0,1]
	flat_load_dword v0, v[0:1] offset:12
	s_waitcnt vmcnt(0) lgkmcnt(0)
	v_add_u32_e32 v0, -1, v0
	v_cmp_ne_u32_e32 vcc, 3, v0
	s_and_saveexec_b64 s[4:5], vcc
	s_cbranch_execz .LBB58_478
; %bb.477:
	v_mov_b32_e32 v1, 0
	v_lshl_add_u32 v0, v0, 3, v1
	buffer_load_dword v1, v0, s[0:3], 0 offen
	buffer_load_dword v2, v0, s[0:3], 0 offen offset:4
	buffer_load_dword v3, off, s[0:3], 0 offset:24
	buffer_load_dword v4, off, s[0:3], 0 offset:28
	s_waitcnt vmcnt(3)
	buffer_store_dword v1, off, s[0:3], 0 offset:24
	s_waitcnt vmcnt(3)
	buffer_store_dword v2, off, s[0:3], 0 offset:28
	s_waitcnt vmcnt(3)
	buffer_store_dword v3, v0, s[0:3], 0 offen
	s_waitcnt vmcnt(3)
	buffer_store_dword v4, v0, s[0:3], 0 offen offset:4
.LBB58_478:
	s_or_b64 exec, exec, s[4:5]
	v_pk_mov_b32 v[0:1], s[10:11], s[10:11] op_sel:[0,1]
	flat_load_dword v0, v[0:1] offset:8
	s_waitcnt vmcnt(0) lgkmcnt(0)
	v_add_u32_e32 v0, -1, v0
	v_cmp_ne_u32_e32 vcc, 2, v0
	s_and_saveexec_b64 s[4:5], vcc
	s_cbranch_execz .LBB58_480
; %bb.479:
	v_mov_b32_e32 v1, 0
	v_lshl_add_u32 v0, v0, 3, v1
	buffer_load_dword v1, v0, s[0:3], 0 offen
	buffer_load_dword v2, v0, s[0:3], 0 offen offset:4
	buffer_load_dword v3, off, s[0:3], 0 offset:20
	buffer_load_dword v4, off, s[0:3], 0 offset:16
	s_waitcnt vmcnt(3)
	buffer_store_dword v1, off, s[0:3], 0 offset:16
	s_waitcnt vmcnt(3)
	buffer_store_dword v2, off, s[0:3], 0 offset:20
	s_waitcnt vmcnt(3)
	buffer_store_dword v3, v0, s[0:3], 0 offen offset:4
	s_waitcnt vmcnt(3)
	buffer_store_dword v4, v0, s[0:3], 0 offen
.LBB58_480:
	s_or_b64 exec, exec, s[4:5]
	v_pk_mov_b32 v[0:1], s[10:11], s[10:11] op_sel:[0,1]
	flat_load_dword v0, v[0:1] offset:4
	s_waitcnt vmcnt(0) lgkmcnt(0)
	v_add_u32_e32 v0, -1, v0
	v_cmp_ne_u32_e32 vcc, 1, v0
	s_and_saveexec_b64 s[4:5], vcc
	s_cbranch_execz .LBB58_482
; %bb.481:
	v_mov_b32_e32 v1, 0
	v_lshl_add_u32 v0, v0, 3, v1
	buffer_load_dword v1, v0, s[0:3], 0 offen
	buffer_load_dword v2, v0, s[0:3], 0 offen offset:4
	buffer_load_dword v3, off, s[0:3], 0 offset:8
	buffer_load_dword v4, off, s[0:3], 0 offset:12
	s_waitcnt vmcnt(3)
	buffer_store_dword v1, off, s[0:3], 0 offset:8
	s_waitcnt vmcnt(3)
	buffer_store_dword v2, off, s[0:3], 0 offset:12
	s_waitcnt vmcnt(3)
	buffer_store_dword v3, v0, s[0:3], 0 offen
	s_waitcnt vmcnt(3)
	buffer_store_dword v4, v0, s[0:3], 0 offen offset:4
.LBB58_482:
	s_or_b64 exec, exec, s[4:5]
	v_pk_mov_b32 v[0:1], s[10:11], s[10:11] op_sel:[0,1]
	flat_load_dword v2, v[0:1]
	s_nop 0
	buffer_load_dword v0, off, s[0:3], 0
	buffer_load_dword v1, off, s[0:3], 0 offset:4
	s_waitcnt vmcnt(0) lgkmcnt(0)
	v_add_u32_e32 v2, -1, v2
	v_cmp_ne_u32_e32 vcc, 0, v2
	s_and_saveexec_b64 s[4:5], vcc
	s_cbranch_execz .LBB58_484
; %bb.483:
	v_mov_b32_e32 v3, 0
	v_lshl_add_u32 v2, v2, 3, v3
	buffer_load_dword v3, v2, s[0:3], 0 offen offset:4
	buffer_load_dword v4, v2, s[0:3], 0 offen
	s_waitcnt vmcnt(1)
	buffer_store_dword v3, off, s[0:3], 0 offset:4
	s_waitcnt vmcnt(1)
	buffer_store_dword v4, off, s[0:3], 0
	buffer_store_dword v1, v2, s[0:3], 0 offen offset:4
	buffer_store_dword v0, v2, s[0:3], 0 offen
	buffer_load_dword v0, off, s[0:3], 0
	s_nop 0
	buffer_load_dword v1, off, s[0:3], 0 offset:4
.LBB58_484:
	s_or_b64 exec, exec, s[4:5]
.LBB58_485:
	buffer_load_dword v2, off, s[0:3], 0 offset:8
	buffer_load_dword v3, off, s[0:3], 0 offset:12
	;; [unrolled: 1-line block ×116, first 2 shown]
	s_waitcnt vmcnt(62)
	global_store_dwordx2 v[102:103], v[0:1], off
	v_accvgpr_read_b32 v0, a0
	v_accvgpr_read_b32 v1, a1
	global_store_dwordx2 v[0:1], v[2:3], off
	v_accvgpr_read_b32 v0, a2
	v_accvgpr_read_b32 v1, a3
	;; [unrolled: 3-line block ×28, first 2 shown]
	s_waitcnt vmcnt(62)
	global_store_dwordx2 v[0:1], v[56:57], off
	v_accvgpr_read_b32 v0, a60
	v_accvgpr_read_b32 v1, a61
	global_store_dwordx2 v[0:1], v[58:59], off
	v_accvgpr_read_b32 v0, a62
	v_accvgpr_read_b32 v1, a63
	;; [unrolled: 3-line block ×14, first 2 shown]
	s_waitcnt vmcnt(62)
	global_store_dwordx2 v[0:1], v[84:85], off
	global_store_dwordx2 v[192:193], v[86:87], off
	global_store_dwordx2 v[194:195], v[88:89], off
	global_store_dwordx2 v[196:197], v[90:91], off
	global_store_dwordx2 v[198:199], v[92:93], off
	global_store_dwordx2 v[200:201], v[94:95], off
	global_store_dwordx2 v[202:203], v[96:97], off
	s_waitcnt vmcnt(62)
	global_store_dwordx2 v[204:205], v[98:99], off
	global_store_dwordx2 v[206:207], v[100:101], off
	;; [unrolled: 1-line block ×3, first 2 shown]
	s_waitcnt vmcnt(62)
	global_store_dwordx2 v[210:211], v[106:107], off
	global_store_dwordx2 v[212:213], v[108:109], off
	s_waitcnt vmcnt(62)
	global_store_dwordx2 v[214:215], v[110:111], off
	s_waitcnt vmcnt(61)
	;; [unrolled: 2-line block ×3, first 2 shown]
	global_store_dwordx2 v[218:219], v[114:115], off
	v_accvgpr_read_b32 v0, a32
	v_accvgpr_read_b32 v1, a33
	s_waitcnt vmcnt(59)
	global_store_dwordx2 v[0:1], v[116:117], off
	v_accvgpr_read_b32 v0, a34
	v_accvgpr_read_b32 v1, a35
	s_waitcnt vmcnt(58)
	global_store_dwordx2 v[0:1], v[118:119], off
	s_endpgm
	.section	.rodata,"a",@progbits
	.p2align	6, 0x0
	.amdhsa_kernel _ZN9rocsolver6v33100L18getri_kernel_smallILi59E19rocblas_complex_numIfEPS3_EEvT1_iilPiilS6_bb
		.amdhsa_group_segment_fixed_size 952
		.amdhsa_private_segment_fixed_size 480
		.amdhsa_kernarg_size 60
		.amdhsa_user_sgpr_count 8
		.amdhsa_user_sgpr_private_segment_buffer 1
		.amdhsa_user_sgpr_dispatch_ptr 0
		.amdhsa_user_sgpr_queue_ptr 0
		.amdhsa_user_sgpr_kernarg_segment_ptr 1
		.amdhsa_user_sgpr_dispatch_id 0
		.amdhsa_user_sgpr_flat_scratch_init 1
		.amdhsa_user_sgpr_kernarg_preload_length 0
		.amdhsa_user_sgpr_kernarg_preload_offset 0
		.amdhsa_user_sgpr_private_segment_size 0
		.amdhsa_uses_dynamic_stack 0
		.amdhsa_system_sgpr_private_segment_wavefront_offset 1
		.amdhsa_system_sgpr_workgroup_id_x 1
		.amdhsa_system_sgpr_workgroup_id_y 0
		.amdhsa_system_sgpr_workgroup_id_z 0
		.amdhsa_system_sgpr_workgroup_info 0
		.amdhsa_system_vgpr_workitem_id 0
		.amdhsa_next_free_vgpr 344
		.amdhsa_next_free_sgpr 23
		.amdhsa_accum_offset 256
		.amdhsa_reserve_vcc 1
		.amdhsa_reserve_flat_scratch 1
		.amdhsa_float_round_mode_32 0
		.amdhsa_float_round_mode_16_64 0
		.amdhsa_float_denorm_mode_32 3
		.amdhsa_float_denorm_mode_16_64 3
		.amdhsa_dx10_clamp 1
		.amdhsa_ieee_mode 1
		.amdhsa_fp16_overflow 0
		.amdhsa_tg_split 0
		.amdhsa_exception_fp_ieee_invalid_op 0
		.amdhsa_exception_fp_denorm_src 0
		.amdhsa_exception_fp_ieee_div_zero 0
		.amdhsa_exception_fp_ieee_overflow 0
		.amdhsa_exception_fp_ieee_underflow 0
		.amdhsa_exception_fp_ieee_inexact 0
		.amdhsa_exception_int_div_zero 0
	.end_amdhsa_kernel
	.section	.text._ZN9rocsolver6v33100L18getri_kernel_smallILi59E19rocblas_complex_numIfEPS3_EEvT1_iilPiilS6_bb,"axG",@progbits,_ZN9rocsolver6v33100L18getri_kernel_smallILi59E19rocblas_complex_numIfEPS3_EEvT1_iilPiilS6_bb,comdat
.Lfunc_end58:
	.size	_ZN9rocsolver6v33100L18getri_kernel_smallILi59E19rocblas_complex_numIfEPS3_EEvT1_iilPiilS6_bb, .Lfunc_end58-_ZN9rocsolver6v33100L18getri_kernel_smallILi59E19rocblas_complex_numIfEPS3_EEvT1_iilPiilS6_bb
                                        ; -- End function
	.section	.AMDGPU.csdata,"",@progbits
; Kernel info:
; codeLenInByte = 130872
; NumSgprs: 29
; NumVgprs: 256
; NumAgprs: 88
; TotalNumVgprs: 344
; ScratchSize: 480
; MemoryBound: 0
; FloatMode: 240
; IeeeMode: 1
; LDSByteSize: 952 bytes/workgroup (compile time only)
; SGPRBlocks: 3
; VGPRBlocks: 42
; NumSGPRsForWavesPerEU: 29
; NumVGPRsForWavesPerEU: 344
; AccumOffset: 256
; Occupancy: 1
; WaveLimiterHint : 1
; COMPUTE_PGM_RSRC2:SCRATCH_EN: 1
; COMPUTE_PGM_RSRC2:USER_SGPR: 8
; COMPUTE_PGM_RSRC2:TRAP_HANDLER: 0
; COMPUTE_PGM_RSRC2:TGID_X_EN: 1
; COMPUTE_PGM_RSRC2:TGID_Y_EN: 0
; COMPUTE_PGM_RSRC2:TGID_Z_EN: 0
; COMPUTE_PGM_RSRC2:TIDIG_COMP_CNT: 0
; COMPUTE_PGM_RSRC3_GFX90A:ACCUM_OFFSET: 63
; COMPUTE_PGM_RSRC3_GFX90A:TG_SPLIT: 0
	.section	.text._ZN9rocsolver6v33100L18getri_kernel_smallILi60E19rocblas_complex_numIfEPS3_EEvT1_iilPiilS6_bb,"axG",@progbits,_ZN9rocsolver6v33100L18getri_kernel_smallILi60E19rocblas_complex_numIfEPS3_EEvT1_iilPiilS6_bb,comdat
	.globl	_ZN9rocsolver6v33100L18getri_kernel_smallILi60E19rocblas_complex_numIfEPS3_EEvT1_iilPiilS6_bb ; -- Begin function _ZN9rocsolver6v33100L18getri_kernel_smallILi60E19rocblas_complex_numIfEPS3_EEvT1_iilPiilS6_bb
	.p2align	8
	.type	_ZN9rocsolver6v33100L18getri_kernel_smallILi60E19rocblas_complex_numIfEPS3_EEvT1_iilPiilS6_bb,@function
_ZN9rocsolver6v33100L18getri_kernel_smallILi60E19rocblas_complex_numIfEPS3_EEvT1_iilPiilS6_bb: ; @_ZN9rocsolver6v33100L18getri_kernel_smallILi60E19rocblas_complex_numIfEPS3_EEvT1_iilPiilS6_bb
; %bb.0:
	s_add_u32 flat_scratch_lo, s6, s9
	s_addc_u32 flat_scratch_hi, s7, 0
	s_add_u32 s0, s0, s9
	s_addc_u32 s1, s1, 0
	v_cmp_gt_u32_e32 vcc, 60, v0
	s_and_saveexec_b64 s[6:7], vcc
	s_cbranch_execz .LBB59_254
; %bb.1:
	s_load_dword s22, s[4:5], 0x38
	s_load_dwordx4 s[16:19], s[4:5], 0x10
	s_load_dwordx4 s[12:15], s[4:5], 0x28
                                        ; implicit-def: $sgpr10_sgpr11
	s_waitcnt lgkmcnt(0)
	s_bitcmp1_b32 s22, 8
	s_cselect_b64 s[20:21], -1, 0
	s_ashr_i32 s9, s8, 31
	s_bfe_u32 s6, s22, 0x10008
	s_cmp_eq_u32 s6, 0
	s_cbranch_scc1 .LBB59_3
; %bb.2:
	s_load_dword s6, s[4:5], 0x20
	s_mul_i32 s7, s8, s13
	s_mul_hi_u32 s10, s8, s12
	s_mul_i32 s11, s9, s12
	s_add_i32 s10, s10, s7
	s_add_i32 s11, s10, s11
	s_mul_i32 s10, s8, s12
	s_waitcnt lgkmcnt(0)
	s_ashr_i32 s7, s6, 31
	s_lshl_b64 s[10:11], s[10:11], 2
	s_add_u32 s10, s18, s10
	s_addc_u32 s11, s19, s11
	s_lshl_b64 s[6:7], s[6:7], 2
	s_add_u32 s10, s10, s6
	s_addc_u32 s11, s11, s7
.LBB59_3:
	s_load_dwordx4 s[4:7], s[4:5], 0x0
	s_mul_i32 s12, s8, s17
	s_mul_hi_u32 s13, s8, s16
	s_add_i32 s17, s13, s12
	v_lshlrev_b32_e32 v226, 3, v0
	s_waitcnt lgkmcnt(0)
	s_ashr_i32 s13, s6, 31
	s_mov_b32 s12, s6
	s_mul_i32 s6, s9, s16
	s_add_i32 s17, s17, s6
	s_mul_i32 s16, s8, s16
	s_lshl_b64 s[16:17], s[16:17], 3
	s_add_u32 s6, s4, s16
	s_addc_u32 s16, s5, s17
	s_lshl_b64 s[4:5], s[12:13], 3
	s_add_u32 s4, s6, s4
	s_addc_u32 s5, s16, s5
	v_mov_b32_e32 v1, s5
	v_add_co_u32_e32 v102, vcc, s4, v226
	s_ashr_i32 s13, s7, 31
	s_mov_b32 s12, s7
	s_add_i32 s6, s7, s7
	v_addc_co_u32_e32 v103, vcc, 0, v1, vcc
	s_lshl_b64 s[12:13], s[12:13], 3
	v_add_u32_e32 v4, s6, v0
	v_mov_b32_e32 v1, s13
	v_add_co_u32_e32 v8, vcc, s12, v102
	v_ashrrev_i32_e32 v5, 31, v4
	v_addc_co_u32_e32 v9, vcc, v103, v1, vcc
	v_lshlrev_b64 v[6:7], 3, v[4:5]
	v_add_u32_e32 v4, s7, v4
	v_mov_b32_e32 v1, s5
	v_add_co_u32_e32 v10, vcc, s4, v6
	v_ashrrev_i32_e32 v5, 31, v4
	v_addc_co_u32_e32 v11, vcc, v1, v7, vcc
	v_lshlrev_b64 v[6:7], 3, v[4:5]
	v_add_u32_e32 v4, s7, v4
	v_add_co_u32_e32 v14, vcc, s4, v6
	v_ashrrev_i32_e32 v5, 31, v4
	global_load_dwordx2 v[2:3], v226, s[4:5]
	v_addc_co_u32_e32 v15, vcc, v1, v7, vcc
	v_lshlrev_b64 v[6:7], 3, v[4:5]
	v_add_co_u32_e32 v6, vcc, s4, v6
	v_add_u32_e32 v4, s7, v4
	v_addc_co_u32_e32 v7, vcc, v1, v7, vcc
	v_accvgpr_write_b32 a0, v8
	global_load_dwordx2 v[12:13], v[8:9], off
	v_accvgpr_write_b32 a2, v10
	v_accvgpr_write_b32 a4, v14
	;; [unrolled: 1-line block ×3, first 2 shown]
	v_ashrrev_i32_e32 v5, 31, v4
	v_accvgpr_write_b32 a1, v9
	v_accvgpr_write_b32 a3, v11
	global_load_dwordx2 v[10:11], v[10:11], off
	v_accvgpr_write_b32 a5, v15
	v_accvgpr_write_b32 a7, v7
	global_load_dwordx2 v[6:7], v[6:7], off
	s_bitcmp0_b32 s22, 0
	global_load_dwordx2 v[8:9], v[14:15], off
	v_lshlrev_b64 v[14:15], 3, v[4:5]
	v_add_u32_e32 v4, s7, v4
	v_add_co_u32_e32 v16, vcc, s4, v14
	v_ashrrev_i32_e32 v5, 31, v4
	v_addc_co_u32_e32 v17, vcc, v1, v15, vcc
	v_lshlrev_b64 v[14:15], 3, v[4:5]
	v_add_u32_e32 v4, s7, v4
	v_add_co_u32_e32 v18, vcc, s4, v14
	v_ashrrev_i32_e32 v5, 31, v4
	v_addc_co_u32_e32 v19, vcc, v1, v15, vcc
	;; [unrolled: 5-line block ×3, first 2 shown]
	v_lshlrev_b64 v[14:15], 3, v[4:5]
	v_add_co_u32_e32 v14, vcc, s4, v14
	global_load_dwordx2 v[20:21], v[16:17], off
	v_add_u32_e32 v4, s7, v4
	v_addc_co_u32_e32 v15, vcc, v1, v15, vcc
	v_accvgpr_write_b32 a8, v16
	v_accvgpr_write_b32 a10, v18
	;; [unrolled: 1-line block ×4, first 2 shown]
	v_ashrrev_i32_e32 v5, 31, v4
	v_accvgpr_write_b32 a9, v17
	v_accvgpr_write_b32 a11, v19
	global_load_dwordx2 v[18:19], v[18:19], off
	v_accvgpr_write_b32 a13, v23
	v_accvgpr_write_b32 a15, v15
	global_load_dwordx2 v[14:15], v[14:15], off
	s_nop 0
	global_load_dwordx2 v[16:17], v[22:23], off
	v_lshlrev_b64 v[22:23], 3, v[4:5]
	v_add_u32_e32 v4, s7, v4
	v_add_co_u32_e32 v24, vcc, s4, v22
	v_ashrrev_i32_e32 v5, 31, v4
	v_addc_co_u32_e32 v25, vcc, v1, v23, vcc
	v_lshlrev_b64 v[22:23], 3, v[4:5]
	v_add_u32_e32 v4, s7, v4
	v_add_co_u32_e32 v26, vcc, s4, v22
	v_ashrrev_i32_e32 v5, 31, v4
	v_addc_co_u32_e32 v27, vcc, v1, v23, vcc
	;; [unrolled: 5-line block ×3, first 2 shown]
	v_lshlrev_b64 v[22:23], 3, v[4:5]
	global_load_dwordx2 v[28:29], v[24:25], off
	v_add_co_u32_e32 v22, vcc, s4, v22
	v_accvgpr_write_b32 a18, v26
	v_add_u32_e32 v4, s7, v4
	v_addc_co_u32_e32 v23, vcc, v1, v23, vcc
	v_accvgpr_write_b32 a16, v24
	v_accvgpr_write_b32 a19, v27
	global_load_dwordx2 v[26:27], v[26:27], off
	v_accvgpr_write_b32 a20, v30
	v_accvgpr_write_b32 a22, v22
	v_ashrrev_i32_e32 v5, 31, v4
	v_accvgpr_write_b32 a17, v25
	v_accvgpr_write_b32 a21, v31
	;; [unrolled: 1-line block ×3, first 2 shown]
	global_load_dwordx2 v[22:23], v[22:23], off
	s_nop 0
	global_load_dwordx2 v[24:25], v[30:31], off
	v_lshlrev_b64 v[30:31], 3, v[4:5]
	v_add_u32_e32 v4, s7, v4
	v_add_co_u32_e32 v32, vcc, s4, v30
	v_ashrrev_i32_e32 v5, 31, v4
	v_addc_co_u32_e32 v33, vcc, v1, v31, vcc
	v_lshlrev_b64 v[30:31], 3, v[4:5]
	v_add_u32_e32 v4, s7, v4
	v_add_co_u32_e32 v38, vcc, s4, v30
	v_ashrrev_i32_e32 v5, 31, v4
	v_addc_co_u32_e32 v39, vcc, v1, v31, vcc
	v_lshlrev_b64 v[30:31], 3, v[4:5]
	v_add_co_u32_e32 v30, vcc, s4, v30
	v_add_u32_e32 v36, s7, v4
	global_load_dwordx2 v[34:35], v[32:33], off
	v_addc_co_u32_e32 v31, vcc, v1, v31, vcc
	v_ashrrev_i32_e32 v37, 31, v36
	v_accvgpr_write_b32 a24, v32
	v_accvgpr_write_b32 a28, v30
	v_lshlrev_b64 v[4:5], 3, v[36:37]
	v_accvgpr_write_b32 a25, v33
	v_accvgpr_write_b32 a29, v31
	global_load_dwordx2 v[30:31], v[30:31], off
	v_add_co_u32_e32 v4, vcc, s4, v4
	global_load_dwordx2 v[32:33], v[38:39], off
	v_addc_co_u32_e32 v5, vcc, v1, v5, vcc
	v_accvgpr_write_b32 a26, v38
	v_accvgpr_write_b32 a31, v5
	v_add_u32_e32 v36, s7, v36
	v_accvgpr_write_b32 a27, v39
	v_accvgpr_write_b32 a30, v4
	global_load_dwordx2 v[4:5], v[4:5], off
	v_add_u32_e32 v38, s7, v36
	v_add_u32_e32 v40, s7, v38
	;; [unrolled: 1-line block ×40, first 2 shown]
	v_ashrrev_i32_e32 v87, 31, v86
	v_lshlrev_b64 v[104:105], 3, v[86:87]
	v_add_u32_e32 v86, s7, v86
	v_add_co_u32_e32 v106, vcc, s4, v104
	v_ashrrev_i32_e32 v87, 31, v86
	v_addc_co_u32_e32 v107, vcc, v1, v105, vcc
	v_lshlrev_b64 v[104:105], 3, v[86:87]
	v_add_u32_e32 v86, s7, v86
	v_add_co_u32_e32 v104, vcc, s4, v104
	v_ashrrev_i32_e32 v87, 31, v86
	v_addc_co_u32_e32 v105, vcc, v1, v105, vcc
	v_lshlrev_b64 v[86:87], 3, v[86:87]
	v_add_co_u32_e32 v86, vcc, s4, v86
	v_addc_co_u32_e32 v87, vcc, v1, v87, vcc
	v_accvgpr_write_b32 a36, v86
	v_ashrrev_i32_e32 v37, 31, v36
	global_load_dwordx2 v[224:225], v[106:107], off
	global_load_dwordx2 v[222:223], v[104:105], off
	v_accvgpr_write_b32 a37, v87
	global_load_dwordx2 v[86:87], v[86:87], off
	s_waitcnt vmcnt(19)
	buffer_store_dword v3, off, s[0:3], 0 offset:4
	buffer_store_dword v2, off, s[0:3], 0
	s_waitcnt vmcnt(20)
	buffer_store_dword v13, off, s[0:3], 0 offset:12
	buffer_store_dword v12, off, s[0:3], 0 offset:8
	s_waitcnt vmcnt(21)
	buffer_store_dword v11, off, s[0:3], 0 offset:20
	buffer_store_dword v10, off, s[0:3], 0 offset:16
	s_waitcnt vmcnt(21)
	buffer_store_dword v9, off, s[0:3], 0 offset:28
	buffer_store_dword v8, off, s[0:3], 0 offset:24
	buffer_store_dword v7, off, s[0:3], 0 offset:36
	buffer_store_dword v6, off, s[0:3], 0 offset:32
	s_waitcnt vmcnt(24)
	buffer_store_dword v21, off, s[0:3], 0 offset:44
	buffer_store_dword v20, off, s[0:3], 0 offset:40
	s_waitcnt vmcnt(25)
	buffer_store_dword v19, off, s[0:3], 0 offset:52
	buffer_store_dword v18, off, s[0:3], 0 offset:48
	s_waitcnt vmcnt(25)
	buffer_store_dword v17, off, s[0:3], 0 offset:60
	buffer_store_dword v16, off, s[0:3], 0 offset:56
	buffer_store_dword v15, off, s[0:3], 0 offset:68
	buffer_store_dword v14, off, s[0:3], 0 offset:64
	;; [unrolled: 11-line block ×3, first 2 shown]
	s_waitcnt vmcnt(32)
	buffer_store_dword v34, off, s[0:3], 0 offset:104
	buffer_store_dword v35, off, s[0:3], 0 offset:108
	s_waitcnt vmcnt(32)
	buffer_store_dword v33, off, s[0:3], 0 offset:116
	buffer_store_dword v32, off, s[0:3], 0 offset:112
	;; [unrolled: 1-line block ×4, first 2 shown]
	s_waitcnt vmcnt(35)
	buffer_store_dword v4, off, s[0:3], 0 offset:128
	v_lshlrev_b64 v[2:3], 3, v[36:37]
	v_add_co_u32_e32 v6, vcc, s4, v2
	v_ashrrev_i32_e32 v39, 31, v38
	v_addc_co_u32_e32 v7, vcc, v1, v3, vcc
	v_lshlrev_b64 v[2:3], 3, v[38:39]
	v_add_co_u32_e32 v8, vcc, s4, v2
	v_ashrrev_i32_e32 v41, 31, v40
	v_addc_co_u32_e32 v9, vcc, v1, v3, vcc
	v_lshlrev_b64 v[2:3], 3, v[40:41]
	v_add_co_u32_e32 v10, vcc, s4, v2
	v_ashrrev_i32_e32 v43, 31, v42
	v_addc_co_u32_e32 v11, vcc, v1, v3, vcc
	v_lshlrev_b64 v[2:3], 3, v[42:43]
	v_add_co_u32_e32 v12, vcc, s4, v2
	v_addc_co_u32_e32 v13, vcc, v1, v3, vcc
	v_accvgpr_write_b32 a39, v7
	v_accvgpr_write_b32 a41, v9
	v_accvgpr_write_b32 a43, v11
	v_accvgpr_write_b32 a45, v13
	v_ashrrev_i32_e32 v45, 31, v44
	v_accvgpr_write_b32 a38, v6
	global_load_dwordx2 v[2:3], v[6:7], off
	v_accvgpr_write_b32 a40, v8
	global_load_dwordx2 v[6:7], v[8:9], off
	v_accvgpr_write_b32 a42, v10
	global_load_dwordx2 v[8:9], v[10:11], off
	v_accvgpr_write_b32 a44, v12
	global_load_dwordx2 v[10:11], v[12:13], off
	v_lshlrev_b64 v[12:13], 3, v[44:45]
	v_add_co_u32_e32 v14, vcc, s4, v12
	v_ashrrev_i32_e32 v47, 31, v46
	v_addc_co_u32_e32 v15, vcc, v1, v13, vcc
	v_lshlrev_b64 v[12:13], 3, v[46:47]
	v_add_co_u32_e32 v16, vcc, s4, v12
	v_ashrrev_i32_e32 v49, 31, v48
	v_addc_co_u32_e32 v17, vcc, v1, v13, vcc
	v_lshlrev_b64 v[12:13], 3, v[48:49]
	v_add_co_u32_e32 v18, vcc, s4, v12
	v_ashrrev_i32_e32 v51, 31, v50
	v_addc_co_u32_e32 v19, vcc, v1, v13, vcc
	v_lshlrev_b64 v[12:13], 3, v[50:51]
	v_add_co_u32_e32 v20, vcc, s4, v12
	v_addc_co_u32_e32 v21, vcc, v1, v13, vcc
	v_accvgpr_write_b32 a47, v15
	v_accvgpr_write_b32 a49, v17
	v_accvgpr_write_b32 a51, v19
	v_accvgpr_write_b32 a53, v21
	v_ashrrev_i32_e32 v53, 31, v52
	v_accvgpr_write_b32 a46, v14
	global_load_dwordx2 v[12:13], v[14:15], off
	v_accvgpr_write_b32 a48, v16
	global_load_dwordx2 v[14:15], v[16:17], off
	v_accvgpr_write_b32 a50, v18
	global_load_dwordx2 v[16:17], v[18:19], off
	v_accvgpr_write_b32 a52, v20
	global_load_dwordx2 v[18:19], v[20:21], off
	;; [unrolled: 28-line block ×6, first 2 shown]
	v_lshlrev_b64 v[52:53], 3, v[84:85]
	v_add_co_u32_e32 v54, vcc, s4, v52
	v_ashrrev_i32_e32 v89, 31, v88
	v_addc_co_u32_e32 v55, vcc, v1, v53, vcc
	v_lshlrev_b64 v[52:53], 3, v[88:89]
	v_add_co_u32_e32 v56, vcc, s4, v52
	v_ashrrev_i32_e32 v91, 31, v90
	v_addc_co_u32_e32 v57, vcc, v1, v53, vcc
	;; [unrolled: 4-line block ×14, first 2 shown]
	v_lshlrev_b64 v[76:77], 3, v[218:219]
	v_accvgpr_write_b32 a87, v55
	v_accvgpr_write_b32 a89, v57
	v_accvgpr_write_b32 a91, v59
	v_add_co_u32_e32 v218, vcc, s4, v76
	v_accvgpr_write_b32 a86, v54
	global_load_dwordx2 v[52:53], v[54:55], off
	v_accvgpr_write_b32 a88, v56
	global_load_dwordx2 v[54:55], v[56:57], off
	;; [unrolled: 2-line block ×3, first 2 shown]
	s_nop 0
	global_load_dwordx2 v[58:59], v[196:197], off
	global_load_dwordx2 v[60:61], v[198:199], off
	;; [unrolled: 1-line block ×9, first 2 shown]
	v_addc_co_u32_e32 v219, vcc, v1, v77, vcc
	global_load_dwordx2 v[76:77], v[214:215], off
	global_load_dwordx2 v[78:79], v[216:217], off
	;; [unrolled: 1-line block ×3, first 2 shown]
	v_ashrrev_i32_e32 v221, 31, v220
	v_lshlrev_b64 v[82:83], 3, v[220:221]
	v_add_co_u32_e32 v220, vcc, s4, v82
	v_accvgpr_write_b32 a32, v106
	v_accvgpr_write_b32 a34, v104
	v_addc_co_u32_e32 v221, vcc, v1, v83, vcc
	v_accvgpr_write_b32 a33, v107
	v_accvgpr_write_b32 a35, v105
	global_load_dwordx2 v[82:83], v[220:221], off
	s_mov_b64 s[6:7], -1
	buffer_store_dword v5, off, s[0:3], 0 offset:132
	s_waitcnt vmcnt(40)
	buffer_store_dword v2, off, s[0:3], 0 offset:136
	buffer_store_dword v3, off, s[0:3], 0 offset:140
	s_waitcnt vmcnt(41)
	buffer_store_dword v6, off, s[0:3], 0 offset:144
	;; [unrolled: 3-line block ×24, first 2 shown]
	buffer_store_dword v51, off, s[0:3], 0 offset:324
	buffer_store_dword v52, off, s[0:3], 0 offset:328
	;; [unrolled: 1-line block ×3, first 2 shown]
	s_waitcnt vmcnt(62)
	buffer_store_dword v54, off, s[0:3], 0 offset:336
	buffer_store_dword v55, off, s[0:3], 0 offset:340
	;; [unrolled: 1-line block ×8, first 2 shown]
	s_waitcnt vmcnt(62)
	buffer_store_dword v62, off, s[0:3], 0 offset:368
	buffer_store_dword v63, off, s[0:3], 0 offset:372
	;; [unrolled: 1-line block ×16, first 2 shown]
	s_waitcnt vmcnt(62)
	buffer_store_dword v78, off, s[0:3], 0 offset:432
	buffer_store_dword v79, off, s[0:3], 0 offset:436
	;; [unrolled: 1-line block ×12, first 2 shown]
	s_cbranch_scc1 .LBB59_252
; %bb.4:
	v_cmp_eq_u32_e64 s[4:5], 0, v0
	s_and_saveexec_b64 s[6:7], s[4:5]
	s_cbranch_execz .LBB59_6
; %bb.5:
	v_mov_b32_e32 v1, 0
	ds_write_b32 v1, v1 offset:960
.LBB59_6:
	s_or_b64 exec, exec, s[6:7]
	v_mov_b32_e32 v1, 0
	v_lshl_add_u32 v6, v0, 3, v1
	s_waitcnt lgkmcnt(0)
	; wave barrier
	s_waitcnt lgkmcnt(0)
	buffer_load_dword v1, v6, s[0:3], 0 offen
	buffer_load_dword v2, v6, s[0:3], 0 offen offset:4
	s_waitcnt vmcnt(1)
	v_cmp_eq_f32_e32 vcc, 0, v1
	s_waitcnt vmcnt(0)
	v_cmp_eq_f32_e64 s[6:7], 0, v2
	s_and_b64 s[6:7], vcc, s[6:7]
	s_and_saveexec_b64 s[12:13], s[6:7]
	s_cbranch_execz .LBB59_10
; %bb.7:
	v_mov_b32_e32 v1, 0
	ds_read_b32 v3, v1 offset:960
	v_add_u32_e32 v2, 1, v0
	s_waitcnt lgkmcnt(0)
	v_readfirstlane_b32 s6, v3
	s_cmp_eq_u32 s6, 0
	s_cselect_b64 s[16:17], -1, 0
	v_cmp_gt_i32_e32 vcc, s6, v2
	s_or_b64 s[16:17], s[16:17], vcc
	s_and_b64 exec, exec, s[16:17]
	s_cbranch_execz .LBB59_10
; %bb.8:
	s_mov_b64 s[16:17], 0
	v_mov_b32_e32 v3, s6
.LBB59_9:                               ; =>This Inner Loop Header: Depth=1
	ds_cmpst_rtn_b32 v3, v1, v3, v2 offset:960
	s_waitcnt lgkmcnt(0)
	v_cmp_ne_u32_e32 vcc, 0, v3
	v_cmp_le_i32_e64 s[6:7], v3, v2
	s_and_b64 s[6:7], vcc, s[6:7]
	s_and_b64 s[6:7], exec, s[6:7]
	s_or_b64 s[16:17], s[6:7], s[16:17]
	s_andn2_b64 exec, exec, s[16:17]
	s_cbranch_execnz .LBB59_9
.LBB59_10:
	s_or_b64 exec, exec, s[12:13]
	v_mov_b32_e32 v2, 0
	s_waitcnt lgkmcnt(0)
	; wave barrier
	ds_read_b32 v1, v2 offset:960
	s_and_saveexec_b64 s[6:7], s[4:5]
	s_cbranch_execz .LBB59_12
; %bb.11:
	s_lshl_b64 s[12:13], s[8:9], 2
	s_add_u32 s12, s14, s12
	s_addc_u32 s13, s15, s13
	s_waitcnt lgkmcnt(0)
	global_store_dword v2, v1, s[12:13]
.LBB59_12:
	s_or_b64 exec, exec, s[6:7]
	s_waitcnt lgkmcnt(0)
	v_cmp_ne_u32_e32 vcc, 0, v1
	s_mov_b64 s[6:7], 0
	s_cbranch_vccnz .LBB59_252
; %bb.13:
	buffer_load_dword v7, v6, s[0:3], 0 offen offset:4
	buffer_load_dword v3, v6, s[0:3], 0 offen
	s_waitcnt vmcnt(1)
	v_cmp_gt_f32_e32 vcc, 0, v7
	v_cndmask_b32_e64 v1, v7, -v7, vcc
	s_waitcnt vmcnt(0)
	v_cmp_gt_f32_e32 vcc, 0, v3
	v_cndmask_b32_e64 v2, v3, -v3, vcc
	v_cmp_ngt_f32_e32 vcc, v2, v1
                                        ; implicit-def: $vgpr1
                                        ; implicit-def: $vgpr2
	s_and_saveexec_b64 s[6:7], vcc
	s_xor_b64 s[6:7], exec, s[6:7]
                                        ; implicit-def: $vgpr4_vgpr5
	s_cbranch_execz .LBB59_15
; %bb.14:
	v_div_scale_f32 v1, s[12:13], v7, v7, v3
	v_rcp_f32_e32 v2, v1
	v_div_scale_f32 v4, vcc, v3, v7, v3
	v_fma_f32 v5, -v1, v2, 1.0
	v_fmac_f32_e32 v2, v5, v2
	v_mul_f32_e32 v5, v4, v2
	v_fma_f32 v8, -v1, v5, v4
	v_fmac_f32_e32 v5, v8, v2
	v_fma_f32 v1, -v1, v5, v4
	v_div_fmas_f32 v1, v1, v2, v5
	v_div_fixup_f32 v2, v1, v7, v3
	v_fmac_f32_e32 v7, v3, v2
	v_div_scale_f32 v1, s[12:13], v7, v7, -1.0
	v_rcp_f32_e32 v3, v1
	v_fma_f32 v4, -v1, v3, 1.0
	v_fmac_f32_e32 v3, v4, v3
	v_div_scale_f32 v4, vcc, -1.0, v7, -1.0
	v_mul_f32_e32 v5, v4, v3
	v_fma_f32 v8, -v1, v5, v4
	v_fmac_f32_e32 v5, v8, v3
	v_fma_f32 v1, -v1, v5, v4
	v_div_fmas_f32 v1, v1, v3, v5
	v_div_fixup_f32 v1, v1, v7, -1.0
	v_mul_f32_e32 v2, v2, v1
	v_xor_b32_e32 v4, 0x80000000, v2
                                        ; implicit-def: $vgpr3
                                        ; implicit-def: $vgpr7
.LBB59_15:
	s_andn2_saveexec_b64 s[6:7], s[6:7]
	s_cbranch_execz .LBB59_17
; %bb.16:
	v_div_scale_f32 v1, s[12:13], v3, v3, v7
	v_rcp_f32_e32 v2, v1
	v_div_scale_f32 v4, vcc, v7, v3, v7
	v_fma_f32 v5, -v1, v2, 1.0
	v_fmac_f32_e32 v2, v5, v2
	v_mul_f32_e32 v5, v4, v2
	v_fma_f32 v8, -v1, v5, v4
	v_fmac_f32_e32 v5, v8, v2
	v_fma_f32 v1, -v1, v5, v4
	v_div_fmas_f32 v1, v1, v2, v5
	v_div_fixup_f32 v1, v1, v3, v7
	v_fmac_f32_e32 v3, v7, v1
	v_div_scale_f32 v2, s[12:13], v3, v3, 1.0
	v_rcp_f32_e32 v4, v2
	v_fma_f32 v5, -v2, v4, 1.0
	v_fmac_f32_e32 v4, v5, v4
	v_div_scale_f32 v5, vcc, 1.0, v3, 1.0
	v_mul_f32_e32 v7, v5, v4
	v_fma_f32 v8, -v2, v7, v5
	v_fmac_f32_e32 v7, v8, v4
	v_fma_f32 v2, -v2, v7, v5
	v_div_fmas_f32 v2, v2, v4, v7
	v_div_fixup_f32 v4, v2, v3, 1.0
	v_xor_b32_e32 v2, 0x80000000, v4
	v_mul_f32_e64 v1, v1, -v4
.LBB59_17:
	s_or_b64 exec, exec, s[6:7]
	buffer_store_dword v1, v6, s[0:3], 0 offen offset:4
	buffer_store_dword v4, v6, s[0:3], 0 offen
	buffer_load_dword v5, off, s[0:3], 0 offset:12
	s_nop 0
	buffer_load_dword v4, off, s[0:3], 0 offset:8
	v_xor_b32_e32 v3, 0x80000000, v1
	v_add_u32_e32 v1, 0x1e0, v226
	s_waitcnt vmcnt(0)
	ds_write2_b64 v226, v[2:3], v[4:5] offset1:60
	s_waitcnt lgkmcnt(0)
	; wave barrier
	s_waitcnt lgkmcnt(0)
	s_and_saveexec_b64 s[6:7], s[4:5]
	s_cbranch_execz .LBB59_19
; %bb.18:
	buffer_load_dword v7, v6, s[0:3], 0 offen offset:4
	buffer_load_dword v8, v6, s[0:3], 0 offen
	ds_read_b64 v[2:3], v1
	v_mov_b32_e32 v4, 0
	ds_read_b64 v[4:5], v4 offset:8
	s_waitcnt vmcnt(1) lgkmcnt(1)
	v_mul_f32_e32 v9, v3, v7
	v_mul_f32_e32 v7, v2, v7
	s_waitcnt vmcnt(0)
	v_fmac_f32_e32 v7, v3, v8
	v_fma_f32 v2, v2, v8, -v9
	v_add_f32_e32 v3, 0, v7
	v_add_f32_e32 v2, 0, v2
	s_waitcnt lgkmcnt(0)
	v_mul_f32_e32 v7, v3, v5
	v_mul_f32_e32 v5, v2, v5
	v_fma_f32 v2, v2, v4, -v7
	v_fmac_f32_e32 v5, v3, v4
	buffer_store_dword v2, off, s[0:3], 0 offset:8
	buffer_store_dword v5, off, s[0:3], 0 offset:12
.LBB59_19:
	s_or_b64 exec, exec, s[6:7]
	s_waitcnt lgkmcnt(0)
	; wave barrier
	buffer_load_dword v2, off, s[0:3], 0 offset:16
	buffer_load_dword v3, off, s[0:3], 0 offset:20
	v_cmp_gt_u32_e32 vcc, 2, v0
	s_waitcnt vmcnt(0)
	ds_write_b64 v1, v[2:3]
	s_waitcnt lgkmcnt(0)
	; wave barrier
	s_waitcnt lgkmcnt(0)
	s_and_saveexec_b64 s[6:7], vcc
	s_cbranch_execz .LBB59_23
; %bb.20:
	buffer_load_dword v4, v6, s[0:3], 0 offen offset:4
	buffer_load_dword v5, v6, s[0:3], 0 offen
	ds_read_b64 v[2:3], v1
	s_waitcnt vmcnt(1) lgkmcnt(0)
	v_mul_f32_e32 v6, v3, v4
	v_mul_f32_e32 v4, v2, v4
	s_waitcnt vmcnt(0)
	v_fma_f32 v2, v2, v5, -v6
	v_fmac_f32_e32 v4, v3, v5
	v_add_f32_e32 v3, 0, v2
	v_add_f32_e32 v2, 0, v4
	s_and_saveexec_b64 s[12:13], s[4:5]
	s_cbranch_execz .LBB59_22
; %bb.21:
	buffer_load_dword v6, off, s[0:3], 0 offset:12
	buffer_load_dword v7, off, s[0:3], 0 offset:8
	v_mov_b32_e32 v4, 0
	ds_read_b64 v[4:5], v4 offset:488
	s_waitcnt vmcnt(1) lgkmcnt(0)
	v_mul_f32_e32 v8, v4, v6
	v_mul_f32_e32 v6, v5, v6
	s_waitcnt vmcnt(0)
	v_fmac_f32_e32 v8, v5, v7
	v_fma_f32 v4, v4, v7, -v6
	v_add_f32_e32 v2, v2, v8
	v_add_f32_e32 v3, v3, v4
.LBB59_22:
	s_or_b64 exec, exec, s[12:13]
	v_mov_b32_e32 v4, 0
	ds_read_b64 v[4:5], v4 offset:16
	s_waitcnt lgkmcnt(0)
	v_mul_f32_e32 v6, v2, v5
	v_mul_f32_e32 v5, v3, v5
	v_fma_f32 v3, v3, v4, -v6
	v_fmac_f32_e32 v5, v2, v4
	buffer_store_dword v3, off, s[0:3], 0 offset:16
	buffer_store_dword v5, off, s[0:3], 0 offset:20
.LBB59_23:
	s_or_b64 exec, exec, s[6:7]
	s_waitcnt lgkmcnt(0)
	; wave barrier
	buffer_load_dword v2, off, s[0:3], 0 offset:24
	buffer_load_dword v3, off, s[0:3], 0 offset:28
	v_cmp_gt_u32_e32 vcc, 3, v0
	s_waitcnt vmcnt(0)
	ds_write_b64 v1, v[2:3]
	v_add_u32_e32 v2, -1, v0
	s_waitcnt lgkmcnt(0)
	; wave barrier
	s_waitcnt lgkmcnt(0)
	s_and_saveexec_b64 s[4:5], vcc
	s_cbranch_execz .LBB59_27
; %bb.24:
	v_add_u32_e32 v4, -1, v0
	v_add_u32_e32 v5, 0x1e0, v226
	v_add_u32_e32 v6, 0, v226
	s_mov_b64 s[6:7], 0
	v_mov_b32_e32 v3, 0
	v_mov_b32_e32 v7, 0
.LBB59_25:                              ; =>This Inner Loop Header: Depth=1
	buffer_load_dword v10, v6, s[0:3], 0 offen offset:4
	buffer_load_dword v11, v6, s[0:3], 0 offen
	ds_read_b64 v[8:9], v5
	v_add_u32_e32 v4, 1, v4
	v_cmp_lt_u32_e32 vcc, 1, v4
	v_add_u32_e32 v5, 8, v5
	v_add_u32_e32 v6, 8, v6
	s_or_b64 s[6:7], vcc, s[6:7]
	s_waitcnt vmcnt(1) lgkmcnt(0)
	v_mul_f32_e32 v12, v9, v10
	v_mul_f32_e32 v10, v8, v10
	s_waitcnt vmcnt(0)
	v_fma_f32 v8, v8, v11, -v12
	v_fmac_f32_e32 v10, v9, v11
	v_add_f32_e32 v7, v7, v8
	v_add_f32_e32 v3, v3, v10
	s_andn2_b64 exec, exec, s[6:7]
	s_cbranch_execnz .LBB59_25
; %bb.26:
	s_or_b64 exec, exec, s[6:7]
	v_mov_b32_e32 v4, 0
	ds_read_b64 v[4:5], v4 offset:24
	s_waitcnt lgkmcnt(0)
	v_mul_f32_e32 v6, v3, v5
	v_mul_f32_e32 v5, v7, v5
	v_fma_f32 v6, v7, v4, -v6
	v_fmac_f32_e32 v5, v3, v4
	buffer_store_dword v6, off, s[0:3], 0 offset:24
	buffer_store_dword v5, off, s[0:3], 0 offset:28
.LBB59_27:
	s_or_b64 exec, exec, s[4:5]
	s_waitcnt lgkmcnt(0)
	; wave barrier
	buffer_load_dword v4, off, s[0:3], 0 offset:32
	buffer_load_dword v5, off, s[0:3], 0 offset:36
	v_cmp_gt_u32_e32 vcc, 4, v0
	s_waitcnt vmcnt(0)
	ds_write_b64 v1, v[4:5]
	s_waitcnt lgkmcnt(0)
	; wave barrier
	s_waitcnt lgkmcnt(0)
	s_and_saveexec_b64 s[4:5], vcc
	s_cbranch_execz .LBB59_31
; %bb.28:
	v_add_u32_e32 v4, -1, v0
	v_add_u32_e32 v5, 0x1e0, v226
	v_add_u32_e32 v6, 0, v226
	s_mov_b64 s[6:7], 0
	v_mov_b32_e32 v3, 0
	v_mov_b32_e32 v7, 0
.LBB59_29:                              ; =>This Inner Loop Header: Depth=1
	buffer_load_dword v10, v6, s[0:3], 0 offen offset:4
	buffer_load_dword v11, v6, s[0:3], 0 offen
	ds_read_b64 v[8:9], v5
	v_add_u32_e32 v4, 1, v4
	v_cmp_lt_u32_e32 vcc, 2, v4
	v_add_u32_e32 v5, 8, v5
	v_add_u32_e32 v6, 8, v6
	s_or_b64 s[6:7], vcc, s[6:7]
	s_waitcnt vmcnt(1) lgkmcnt(0)
	v_mul_f32_e32 v12, v9, v10
	v_mul_f32_e32 v10, v8, v10
	s_waitcnt vmcnt(0)
	v_fma_f32 v8, v8, v11, -v12
	v_fmac_f32_e32 v10, v9, v11
	v_add_f32_e32 v7, v7, v8
	v_add_f32_e32 v3, v3, v10
	s_andn2_b64 exec, exec, s[6:7]
	s_cbranch_execnz .LBB59_29
; %bb.30:
	s_or_b64 exec, exec, s[6:7]
	v_mov_b32_e32 v4, 0
	ds_read_b64 v[4:5], v4 offset:32
	s_waitcnt lgkmcnt(0)
	v_mul_f32_e32 v6, v3, v5
	v_mul_f32_e32 v5, v7, v5
	v_fma_f32 v6, v7, v4, -v6
	v_fmac_f32_e32 v5, v3, v4
	buffer_store_dword v6, off, s[0:3], 0 offset:32
	buffer_store_dword v5, off, s[0:3], 0 offset:36
.LBB59_31:
	s_or_b64 exec, exec, s[4:5]
	s_waitcnt lgkmcnt(0)
	; wave barrier
	buffer_load_dword v4, off, s[0:3], 0 offset:40
	buffer_load_dword v5, off, s[0:3], 0 offset:44
	v_cmp_gt_u32_e32 vcc, 5, v0
	s_waitcnt vmcnt(0)
	ds_write_b64 v1, v[4:5]
	;; [unrolled: 51-line block ×19, first 2 shown]
	s_waitcnt lgkmcnt(0)
	; wave barrier
	s_waitcnt lgkmcnt(0)
	s_and_saveexec_b64 s[4:5], vcc
	s_cbranch_execz .LBB59_103
; %bb.100:
	v_add_u32_e32 v4, -1, v0
	v_add_u32_e32 v5, 0x1e0, v226
	v_add_u32_e32 v6, 0, v226
	s_mov_b64 s[6:7], 0
	v_mov_b32_e32 v3, 0
	v_mov_b32_e32 v7, 0
.LBB59_101:                             ; =>This Inner Loop Header: Depth=1
	buffer_load_dword v10, v6, s[0:3], 0 offen offset:4
	buffer_load_dword v11, v6, s[0:3], 0 offen
	ds_read_b64 v[8:9], v5
	v_add_u32_e32 v4, 1, v4
	v_cmp_lt_u32_e32 vcc, 20, v4
	v_add_u32_e32 v5, 8, v5
	v_add_u32_e32 v6, 8, v6
	s_or_b64 s[6:7], vcc, s[6:7]
	s_waitcnt vmcnt(1) lgkmcnt(0)
	v_mul_f32_e32 v12, v9, v10
	v_mul_f32_e32 v10, v8, v10
	s_waitcnt vmcnt(0)
	v_fma_f32 v8, v8, v11, -v12
	v_fmac_f32_e32 v10, v9, v11
	v_add_f32_e32 v7, v7, v8
	v_add_f32_e32 v3, v3, v10
	s_andn2_b64 exec, exec, s[6:7]
	s_cbranch_execnz .LBB59_101
; %bb.102:
	s_or_b64 exec, exec, s[6:7]
	v_mov_b32_e32 v4, 0
	ds_read_b64 v[4:5], v4 offset:176
	s_waitcnt lgkmcnt(0)
	v_mul_f32_e32 v6, v3, v5
	v_mul_f32_e32 v5, v7, v5
	v_fma_f32 v6, v7, v4, -v6
	v_fmac_f32_e32 v5, v3, v4
	buffer_store_dword v6, off, s[0:3], 0 offset:176
	buffer_store_dword v5, off, s[0:3], 0 offset:180
.LBB59_103:
	s_or_b64 exec, exec, s[4:5]
	s_waitcnt lgkmcnt(0)
	; wave barrier
	buffer_load_dword v4, off, s[0:3], 0 offset:184
	buffer_load_dword v5, off, s[0:3], 0 offset:188
	v_cmp_gt_u32_e32 vcc, 23, v0
	s_waitcnt vmcnt(0)
	ds_write_b64 v1, v[4:5]
	s_waitcnt lgkmcnt(0)
	; wave barrier
	s_waitcnt lgkmcnt(0)
	s_and_saveexec_b64 s[4:5], vcc
	s_cbranch_execz .LBB59_107
; %bb.104:
	v_add_u32_e32 v4, -1, v0
	v_add_u32_e32 v5, 0x1e0, v226
	v_add_u32_e32 v6, 0, v226
	s_mov_b64 s[6:7], 0
	v_mov_b32_e32 v3, 0
	v_mov_b32_e32 v7, 0
.LBB59_105:                             ; =>This Inner Loop Header: Depth=1
	buffer_load_dword v10, v6, s[0:3], 0 offen offset:4
	buffer_load_dword v11, v6, s[0:3], 0 offen
	ds_read_b64 v[8:9], v5
	v_add_u32_e32 v4, 1, v4
	v_cmp_lt_u32_e32 vcc, 21, v4
	v_add_u32_e32 v5, 8, v5
	v_add_u32_e32 v6, 8, v6
	s_or_b64 s[6:7], vcc, s[6:7]
	s_waitcnt vmcnt(1) lgkmcnt(0)
	v_mul_f32_e32 v12, v9, v10
	v_mul_f32_e32 v10, v8, v10
	s_waitcnt vmcnt(0)
	v_fma_f32 v8, v8, v11, -v12
	v_fmac_f32_e32 v10, v9, v11
	v_add_f32_e32 v7, v7, v8
	v_add_f32_e32 v3, v3, v10
	s_andn2_b64 exec, exec, s[6:7]
	s_cbranch_execnz .LBB59_105
; %bb.106:
	s_or_b64 exec, exec, s[6:7]
	v_mov_b32_e32 v4, 0
	ds_read_b64 v[4:5], v4 offset:184
	s_waitcnt lgkmcnt(0)
	v_mul_f32_e32 v6, v3, v5
	v_mul_f32_e32 v5, v7, v5
	v_fma_f32 v6, v7, v4, -v6
	v_fmac_f32_e32 v5, v3, v4
	buffer_store_dword v6, off, s[0:3], 0 offset:184
	buffer_store_dword v5, off, s[0:3], 0 offset:188
.LBB59_107:
	s_or_b64 exec, exec, s[4:5]
	s_waitcnt lgkmcnt(0)
	; wave barrier
	buffer_load_dword v4, off, s[0:3], 0 offset:192
	buffer_load_dword v5, off, s[0:3], 0 offset:196
	v_cmp_gt_u32_e32 vcc, 24, v0
	s_waitcnt vmcnt(0)
	ds_write_b64 v1, v[4:5]
	;; [unrolled: 51-line block ×36, first 2 shown]
	s_waitcnt lgkmcnt(0)
	; wave barrier
	s_waitcnt lgkmcnt(0)
	s_and_saveexec_b64 s[4:5], vcc
	s_cbranch_execz .LBB59_247
; %bb.244:
	v_add_u32_e32 v4, -1, v0
	v_add_u32_e32 v5, 0x1e0, v226
	v_add_u32_e32 v6, 0, v226
	s_mov_b64 s[6:7], 0
	v_mov_b32_e32 v3, 0
	v_mov_b32_e32 v7, 0
.LBB59_245:                             ; =>This Inner Loop Header: Depth=1
	buffer_load_dword v10, v6, s[0:3], 0 offen offset:4
	buffer_load_dword v11, v6, s[0:3], 0 offen
	ds_read_b64 v[8:9], v5
	v_add_u32_e32 v4, 1, v4
	v_cmp_lt_u32_e32 vcc, 56, v4
	v_add_u32_e32 v5, 8, v5
	v_add_u32_e32 v6, 8, v6
	s_or_b64 s[6:7], vcc, s[6:7]
	s_waitcnt vmcnt(1) lgkmcnt(0)
	v_mul_f32_e32 v12, v9, v10
	v_mul_f32_e32 v10, v8, v10
	s_waitcnt vmcnt(0)
	v_fma_f32 v8, v8, v11, -v12
	v_fmac_f32_e32 v10, v9, v11
	v_add_f32_e32 v7, v7, v8
	v_add_f32_e32 v3, v3, v10
	s_andn2_b64 exec, exec, s[6:7]
	s_cbranch_execnz .LBB59_245
; %bb.246:
	s_or_b64 exec, exec, s[6:7]
	v_mov_b32_e32 v4, 0
	ds_read_b64 v[4:5], v4 offset:464
	s_waitcnt lgkmcnt(0)
	v_mul_f32_e32 v6, v3, v5
	v_mul_f32_e32 v5, v7, v5
	v_fma_f32 v6, v7, v4, -v6
	v_fmac_f32_e32 v5, v3, v4
	buffer_store_dword v6, off, s[0:3], 0 offset:464
	buffer_store_dword v5, off, s[0:3], 0 offset:468
.LBB59_247:
	s_or_b64 exec, exec, s[4:5]
	s_waitcnt lgkmcnt(0)
	; wave barrier
	buffer_load_dword v4, off, s[0:3], 0 offset:472
	buffer_load_dword v5, off, s[0:3], 0 offset:476
	v_cmp_ne_u32_e32 vcc, 59, v0
	s_waitcnt vmcnt(0)
	ds_write_b64 v1, v[4:5]
	s_waitcnt lgkmcnt(0)
	; wave barrier
	s_waitcnt lgkmcnt(0)
	s_and_saveexec_b64 s[4:5], vcc
	s_cbranch_execz .LBB59_251
; %bb.248:
	v_add_u32_e32 v3, 0x1e0, v226
	v_add_u32_e32 v4, 0, v226
	s_mov_b64 s[6:7], 0
	v_mov_b32_e32 v1, 0
	v_mov_b32_e32 v5, 0
.LBB59_249:                             ; =>This Inner Loop Header: Depth=1
	buffer_load_dword v8, v4, s[0:3], 0 offen offset:4
	buffer_load_dword v9, v4, s[0:3], 0 offen
	ds_read_b64 v[6:7], v3
	v_add_u32_e32 v2, 1, v2
	v_cmp_lt_u32_e32 vcc, 57, v2
	v_add_u32_e32 v3, 8, v3
	v_add_u32_e32 v4, 8, v4
	s_or_b64 s[6:7], vcc, s[6:7]
	s_waitcnt vmcnt(1) lgkmcnt(0)
	v_mul_f32_e32 v10, v7, v8
	v_mul_f32_e32 v8, v6, v8
	s_waitcnt vmcnt(0)
	v_fma_f32 v6, v6, v9, -v10
	v_fmac_f32_e32 v8, v7, v9
	v_add_f32_e32 v5, v5, v6
	v_add_f32_e32 v1, v1, v8
	s_andn2_b64 exec, exec, s[6:7]
	s_cbranch_execnz .LBB59_249
; %bb.250:
	s_or_b64 exec, exec, s[6:7]
	v_mov_b32_e32 v2, 0
	ds_read_b64 v[2:3], v2 offset:472
	s_waitcnt lgkmcnt(0)
	v_mul_f32_e32 v4, v1, v3
	v_mul_f32_e32 v3, v5, v3
	v_fma_f32 v4, v5, v2, -v4
	v_fmac_f32_e32 v3, v1, v2
	buffer_store_dword v4, off, s[0:3], 0 offset:472
	buffer_store_dword v3, off, s[0:3], 0 offset:476
.LBB59_251:
	s_or_b64 exec, exec, s[4:5]
	s_mov_b64 s[6:7], -1
	s_waitcnt lgkmcnt(0)
	; wave barrier
.LBB59_252:
	s_and_b64 vcc, exec, s[6:7]
	s_cbranch_vccz .LBB59_254
; %bb.253:
	s_lshl_b64 s[4:5], s[8:9], 2
	s_add_u32 s4, s14, s4
	s_addc_u32 s5, s15, s5
	v_mov_b32_e32 v1, 0
	global_load_dword v1, v1, s[4:5]
	s_waitcnt vmcnt(0)
	v_cmp_ne_u32_e32 vcc, 0, v1
	s_cbranch_vccz .LBB59_255
.LBB59_254:
	s_endpgm
.LBB59_255:
	v_mov_b32_e32 v1, 0x1e0
	v_lshl_add_u32 v195, v0, 3, v1
	v_cmp_eq_u32_e32 vcc, 59, v0
	s_and_saveexec_b64 s[4:5], vcc
	s_cbranch_execz .LBB59_257
; %bb.256:
	buffer_load_dword v2, off, s[0:3], 0 offset:464
	buffer_load_dword v3, off, s[0:3], 0 offset:468
	v_mov_b32_e32 v1, 0
	buffer_store_dword v1, off, s[0:3], 0 offset:464
	buffer_store_dword v1, off, s[0:3], 0 offset:468
	s_waitcnt vmcnt(2)
	ds_write_b64 v195, v[2:3]
.LBB59_257:
	s_or_b64 exec, exec, s[4:5]
	s_waitcnt lgkmcnt(0)
	; wave barrier
	s_waitcnt lgkmcnt(0)
	buffer_load_dword v3, off, s[0:3], 0 offset:476
	buffer_load_dword v2, off, s[0:3], 0 offset:472
	;; [unrolled: 1-line block ×4, first 2 shown]
	v_mov_b32_e32 v1, 0
	ds_read_b64 v[6:7], v1 offset:952
	v_cmp_lt_u32_e32 vcc, 57, v0
	s_waitcnt vmcnt(3)
	v_mov_b32_e32 v8, v3
	s_waitcnt lgkmcnt(0)
	v_pk_mul_f32 v[8:9], v[6:7], v[8:9] op_sel_hi:[1,0]
	s_waitcnt vmcnt(2)
	v_pk_fma_f32 v[10:11], v[6:7], v[2:3], v[8:9] op_sel:[0,0,1] op_sel_hi:[1,1,0] neg_lo:[0,0,1] neg_hi:[0,0,1]
	v_pk_fma_f32 v[2:3], v[6:7], v[2:3], v[8:9] op_sel:[0,0,1] op_sel_hi:[1,0,0]
	v_mov_b32_e32 v11, v3
	v_pk_add_f32 v[2:3], v[10:11], 0 op_sel_hi:[1,0]
	s_waitcnt vmcnt(0)
	v_pk_add_f32 v[2:3], v[4:5], v[2:3] neg_lo:[0,1] neg_hi:[0,1]
	buffer_store_dword v2, off, s[0:3], 0 offset:464
	buffer_store_dword v3, off, s[0:3], 0 offset:468
	s_and_saveexec_b64 s[4:5], vcc
	s_cbranch_execz .LBB59_259
; %bb.258:
	buffer_load_dword v2, off, s[0:3], 0 offset:456
	buffer_load_dword v3, off, s[0:3], 0 offset:460
	s_waitcnt vmcnt(0)
	ds_write_b64 v195, v[2:3]
	buffer_store_dword v1, off, s[0:3], 0 offset:456
	buffer_store_dword v1, off, s[0:3], 0 offset:460
.LBB59_259:
	s_or_b64 exec, exec, s[4:5]
	s_waitcnt lgkmcnt(0)
	; wave barrier
	s_waitcnt lgkmcnt(0)
	buffer_load_dword v7, off, s[0:3], 0 offset:468
	buffer_load_dword v9, off, s[0:3], 0 offset:476
	;; [unrolled: 1-line block ×6, first 2 shown]
	ds_read_b128 v[2:5], v1 offset:944
	v_cmp_lt_u32_e32 vcc, 56, v0
	s_waitcnt vmcnt(5)
	v_mov_b32_e32 v12, v7
	s_waitcnt vmcnt(4)
	v_mov_b32_e32 v14, v9
	s_waitcnt lgkmcnt(0)
	v_pk_mul_f32 v[12:13], v[2:3], v[12:13] op_sel_hi:[1,0]
	v_pk_mul_f32 v[14:15], v[4:5], v[14:15] op_sel_hi:[1,0]
	s_waitcnt vmcnt(3)
	v_pk_fma_f32 v[16:17], v[2:3], v[6:7], v[12:13] op_sel:[0,0,1] op_sel_hi:[1,1,0] neg_lo:[0,0,1] neg_hi:[0,0,1]
	v_pk_fma_f32 v[2:3], v[2:3], v[6:7], v[12:13] op_sel:[0,0,1] op_sel_hi:[1,0,0]
	s_waitcnt vmcnt(2)
	v_pk_fma_f32 v[6:7], v[4:5], v[8:9], v[14:15] op_sel:[0,0,1] op_sel_hi:[1,1,0] neg_lo:[0,0,1] neg_hi:[0,0,1]
	v_pk_fma_f32 v[4:5], v[4:5], v[8:9], v[14:15] op_sel:[0,0,1] op_sel_hi:[1,0,0]
	v_mov_b32_e32 v17, v3
	v_mov_b32_e32 v7, v5
	v_pk_add_f32 v[2:3], v[16:17], 0 op_sel_hi:[1,0]
	v_pk_add_f32 v[2:3], v[2:3], v[6:7]
	s_waitcnt vmcnt(0)
	v_pk_add_f32 v[2:3], v[10:11], v[2:3] neg_lo:[0,1] neg_hi:[0,1]
	buffer_store_dword v2, off, s[0:3], 0 offset:456
	buffer_store_dword v3, off, s[0:3], 0 offset:460
	s_and_saveexec_b64 s[4:5], vcc
	s_cbranch_execz .LBB59_261
; %bb.260:
	buffer_load_dword v2, off, s[0:3], 0 offset:448
	buffer_load_dword v3, off, s[0:3], 0 offset:452
	v_mov_b32_e32 v1, 0
	buffer_store_dword v1, off, s[0:3], 0 offset:448
	buffer_store_dword v1, off, s[0:3], 0 offset:452
	s_waitcnt vmcnt(2)
	ds_write_b64 v195, v[2:3]
.LBB59_261:
	s_or_b64 exec, exec, s[4:5]
	s_waitcnt lgkmcnt(0)
	; wave barrier
	s_waitcnt lgkmcnt(0)
	buffer_load_dword v7, off, s[0:3], 0 offset:460
	buffer_load_dword v9, off, s[0:3], 0 offset:468
	;; [unrolled: 1-line block ×8, first 2 shown]
	v_mov_b32_e32 v1, 0
	ds_read2_b64 v[2:5], v1 offset0:117 offset1:118
	ds_read_b64 v[14:15], v1 offset:952
	v_cmp_lt_u32_e32 vcc, 55, v0
	s_waitcnt vmcnt(7)
	v_mov_b32_e32 v16, v7
	s_waitcnt vmcnt(6)
	v_mov_b32_e32 v18, v9
	s_waitcnt lgkmcnt(1)
	v_pk_mul_f32 v[16:17], v[2:3], v[16:17] op_sel_hi:[1,0]
	s_waitcnt vmcnt(5)
	v_mov_b32_e32 v20, v11
	v_pk_mul_f32 v[18:19], v[4:5], v[18:19] op_sel_hi:[1,0]
	s_waitcnt vmcnt(4)
	v_pk_fma_f32 v[22:23], v[2:3], v[6:7], v[16:17] op_sel:[0,0,1] op_sel_hi:[1,1,0] neg_lo:[0,0,1] neg_hi:[0,0,1]
	v_pk_fma_f32 v[2:3], v[2:3], v[6:7], v[16:17] op_sel:[0,0,1] op_sel_hi:[1,0,0]
	s_waitcnt lgkmcnt(0)
	v_pk_mul_f32 v[20:21], v[14:15], v[20:21] op_sel_hi:[1,0]
	s_waitcnt vmcnt(3)
	v_pk_fma_f32 v[6:7], v[4:5], v[8:9], v[18:19] op_sel:[0,0,1] op_sel_hi:[1,1,0] neg_lo:[0,0,1] neg_hi:[0,0,1]
	v_pk_fma_f32 v[4:5], v[4:5], v[8:9], v[18:19] op_sel:[0,0,1] op_sel_hi:[1,0,0]
	v_mov_b32_e32 v23, v3
	s_waitcnt vmcnt(2)
	v_pk_fma_f32 v[8:9], v[14:15], v[10:11], v[20:21] op_sel:[0,0,1] op_sel_hi:[1,1,0] neg_lo:[0,0,1] neg_hi:[0,0,1]
	v_pk_fma_f32 v[10:11], v[14:15], v[10:11], v[20:21] op_sel:[0,0,1] op_sel_hi:[1,0,0]
	v_mov_b32_e32 v7, v5
	v_pk_add_f32 v[2:3], v[22:23], 0 op_sel_hi:[1,0]
	v_mov_b32_e32 v9, v11
	v_pk_add_f32 v[2:3], v[2:3], v[6:7]
	v_pk_add_f32 v[2:3], v[2:3], v[8:9]
	s_waitcnt vmcnt(0)
	v_pk_add_f32 v[2:3], v[12:13], v[2:3] neg_lo:[0,1] neg_hi:[0,1]
	buffer_store_dword v2, off, s[0:3], 0 offset:448
	buffer_store_dword v3, off, s[0:3], 0 offset:452
	s_and_saveexec_b64 s[4:5], vcc
	s_cbranch_execz .LBB59_263
; %bb.262:
	buffer_load_dword v2, off, s[0:3], 0 offset:440
	buffer_load_dword v3, off, s[0:3], 0 offset:444
	s_waitcnt vmcnt(0)
	ds_write_b64 v195, v[2:3]
	buffer_store_dword v1, off, s[0:3], 0 offset:440
	buffer_store_dword v1, off, s[0:3], 0 offset:444
.LBB59_263:
	s_or_b64 exec, exec, s[4:5]
	s_waitcnt lgkmcnt(0)
	; wave barrier
	s_waitcnt lgkmcnt(0)
	buffer_load_dword v11, off, s[0:3], 0 offset:452
	buffer_load_dword v13, off, s[0:3], 0 offset:460
	;; [unrolled: 1-line block ×10, first 2 shown]
	ds_read_b128 v[2:5], v1 offset:928
	ds_read_b128 v[6:9], v1 offset:944
	v_cmp_lt_u32_e32 vcc, 54, v0
	s_waitcnt vmcnt(9)
	v_mov_b32_e32 v20, v11
	s_waitcnt vmcnt(8)
	v_mov_b32_e32 v22, v13
	s_waitcnt lgkmcnt(1)
	v_pk_mul_f32 v[20:21], v[2:3], v[20:21] op_sel_hi:[1,0]
	s_waitcnt vmcnt(7)
	v_mov_b32_e32 v24, v15
	v_pk_mul_f32 v[22:23], v[4:5], v[22:23] op_sel_hi:[1,0]
	s_waitcnt vmcnt(5)
	v_pk_fma_f32 v[28:29], v[2:3], v[10:11], v[20:21] op_sel:[0,0,1] op_sel_hi:[1,1,0] neg_lo:[0,0,1] neg_hi:[0,0,1]
	v_pk_fma_f32 v[2:3], v[2:3], v[10:11], v[20:21] op_sel:[0,0,1] op_sel_hi:[1,0,0]
	v_mov_b32_e32 v26, v17
	s_waitcnt lgkmcnt(0)
	v_pk_mul_f32 v[24:25], v[6:7], v[24:25] op_sel_hi:[1,0]
	s_waitcnt vmcnt(4)
	v_pk_fma_f32 v[10:11], v[4:5], v[12:13], v[22:23] op_sel:[0,0,1] op_sel_hi:[1,1,0] neg_lo:[0,0,1] neg_hi:[0,0,1]
	v_pk_fma_f32 v[4:5], v[4:5], v[12:13], v[22:23] op_sel:[0,0,1] op_sel_hi:[1,0,0]
	v_mov_b32_e32 v29, v3
	v_pk_mul_f32 v[26:27], v[8:9], v[26:27] op_sel_hi:[1,0]
	s_waitcnt vmcnt(3)
	v_pk_fma_f32 v[12:13], v[6:7], v[14:15], v[24:25] op_sel:[0,0,1] op_sel_hi:[1,1,0] neg_lo:[0,0,1] neg_hi:[0,0,1]
	v_pk_fma_f32 v[6:7], v[6:7], v[14:15], v[24:25] op_sel:[0,0,1] op_sel_hi:[1,0,0]
	v_mov_b32_e32 v11, v5
	v_pk_add_f32 v[2:3], v[28:29], 0 op_sel_hi:[1,0]
	s_waitcnt vmcnt(2)
	v_pk_fma_f32 v[14:15], v[8:9], v[16:17], v[26:27] op_sel:[0,0,1] op_sel_hi:[1,1,0] neg_lo:[0,0,1] neg_hi:[0,0,1]
	v_pk_fma_f32 v[8:9], v[8:9], v[16:17], v[26:27] op_sel:[0,0,1] op_sel_hi:[1,0,0]
	v_mov_b32_e32 v13, v7
	v_pk_add_f32 v[2:3], v[2:3], v[10:11]
	v_mov_b32_e32 v15, v9
	v_pk_add_f32 v[2:3], v[2:3], v[12:13]
	v_pk_add_f32 v[2:3], v[2:3], v[14:15]
	s_waitcnt vmcnt(0)
	v_pk_add_f32 v[2:3], v[18:19], v[2:3] neg_lo:[0,1] neg_hi:[0,1]
	buffer_store_dword v2, off, s[0:3], 0 offset:440
	buffer_store_dword v3, off, s[0:3], 0 offset:444
	s_and_saveexec_b64 s[4:5], vcc
	s_cbranch_execz .LBB59_265
; %bb.264:
	buffer_load_dword v2, off, s[0:3], 0 offset:432
	buffer_load_dword v3, off, s[0:3], 0 offset:436
	v_mov_b32_e32 v1, 0
	buffer_store_dword v1, off, s[0:3], 0 offset:432
	buffer_store_dword v1, off, s[0:3], 0 offset:436
	s_waitcnt vmcnt(2)
	ds_write_b64 v195, v[2:3]
.LBB59_265:
	s_or_b64 exec, exec, s[4:5]
	s_waitcnt lgkmcnt(0)
	; wave barrier
	s_waitcnt lgkmcnt(0)
	buffer_load_dword v11, off, s[0:3], 0 offset:444
	buffer_load_dword v13, off, s[0:3], 0 offset:452
	;; [unrolled: 1-line block ×12, first 2 shown]
	v_mov_b32_e32 v1, 0
	ds_read2_b64 v[2:5], v1 offset0:115 offset1:116
	ds_read2_b64 v[6:9], v1 offset0:117 offset1:118
	ds_read_b64 v[22:23], v1 offset:952
	v_cmp_lt_u32_e32 vcc, 53, v0
	s_waitcnt vmcnt(11)
	v_mov_b32_e32 v24, v11
	s_waitcnt vmcnt(10)
	v_mov_b32_e32 v26, v13
	s_waitcnt lgkmcnt(2)
	v_pk_mul_f32 v[24:25], v[2:3], v[24:25] op_sel_hi:[1,0]
	s_waitcnt vmcnt(9)
	v_mov_b32_e32 v28, v15
	v_pk_mul_f32 v[26:27], v[4:5], v[26:27] op_sel_hi:[1,0]
	s_waitcnt vmcnt(6)
	v_pk_fma_f32 v[34:35], v[2:3], v[10:11], v[24:25] op_sel:[0,0,1] op_sel_hi:[1,1,0] neg_lo:[0,0,1] neg_hi:[0,0,1]
	v_pk_fma_f32 v[2:3], v[2:3], v[10:11], v[24:25] op_sel:[0,0,1] op_sel_hi:[1,0,0]
	v_mov_b32_e32 v30, v17
	s_waitcnt lgkmcnt(1)
	v_pk_mul_f32 v[28:29], v[6:7], v[28:29] op_sel_hi:[1,0]
	s_waitcnt vmcnt(5)
	v_pk_fma_f32 v[10:11], v[4:5], v[12:13], v[26:27] op_sel:[0,0,1] op_sel_hi:[1,1,0] neg_lo:[0,0,1] neg_hi:[0,0,1]
	v_pk_fma_f32 v[4:5], v[4:5], v[12:13], v[26:27] op_sel:[0,0,1] op_sel_hi:[1,0,0]
	v_mov_b32_e32 v35, v3
	v_mov_b32_e32 v32, v19
	v_pk_mul_f32 v[30:31], v[8:9], v[30:31] op_sel_hi:[1,0]
	s_waitcnt vmcnt(4)
	v_pk_fma_f32 v[12:13], v[6:7], v[14:15], v[28:29] op_sel:[0,0,1] op_sel_hi:[1,1,0] neg_lo:[0,0,1] neg_hi:[0,0,1]
	v_pk_fma_f32 v[6:7], v[6:7], v[14:15], v[28:29] op_sel:[0,0,1] op_sel_hi:[1,0,0]
	v_mov_b32_e32 v11, v5
	v_pk_add_f32 v[2:3], v[34:35], 0 op_sel_hi:[1,0]
	s_waitcnt lgkmcnt(0)
	v_pk_mul_f32 v[32:33], v[22:23], v[32:33] op_sel_hi:[1,0]
	s_waitcnt vmcnt(3)
	v_pk_fma_f32 v[14:15], v[8:9], v[16:17], v[30:31] op_sel:[0,0,1] op_sel_hi:[1,1,0] neg_lo:[0,0,1] neg_hi:[0,0,1]
	v_pk_fma_f32 v[8:9], v[8:9], v[16:17], v[30:31] op_sel:[0,0,1] op_sel_hi:[1,0,0]
	v_mov_b32_e32 v13, v7
	v_pk_add_f32 v[2:3], v[2:3], v[10:11]
	s_waitcnt vmcnt(2)
	v_pk_fma_f32 v[16:17], v[22:23], v[18:19], v[32:33] op_sel:[0,0,1] op_sel_hi:[1,1,0] neg_lo:[0,0,1] neg_hi:[0,0,1]
	v_pk_fma_f32 v[18:19], v[22:23], v[18:19], v[32:33] op_sel:[0,0,1] op_sel_hi:[1,0,0]
	v_mov_b32_e32 v15, v9
	v_pk_add_f32 v[2:3], v[2:3], v[12:13]
	v_mov_b32_e32 v17, v19
	v_pk_add_f32 v[2:3], v[2:3], v[14:15]
	v_pk_add_f32 v[2:3], v[2:3], v[16:17]
	s_waitcnt vmcnt(0)
	v_pk_add_f32 v[2:3], v[20:21], v[2:3] neg_lo:[0,1] neg_hi:[0,1]
	buffer_store_dword v2, off, s[0:3], 0 offset:432
	buffer_store_dword v3, off, s[0:3], 0 offset:436
	s_and_saveexec_b64 s[4:5], vcc
	s_cbranch_execz .LBB59_267
; %bb.266:
	buffer_load_dword v2, off, s[0:3], 0 offset:424
	buffer_load_dword v3, off, s[0:3], 0 offset:428
	s_waitcnt vmcnt(0)
	ds_write_b64 v195, v[2:3]
	buffer_store_dword v1, off, s[0:3], 0 offset:424
	buffer_store_dword v1, off, s[0:3], 0 offset:428
.LBB59_267:
	s_or_b64 exec, exec, s[4:5]
	s_waitcnt lgkmcnt(0)
	; wave barrier
	s_waitcnt lgkmcnt(0)
	buffer_load_dword v15, off, s[0:3], 0 offset:436
	buffer_load_dword v17, off, s[0:3], 0 offset:444
	;; [unrolled: 1-line block ×14, first 2 shown]
	ds_read_b128 v[2:5], v1 offset:912
	ds_read_b128 v[6:9], v1 offset:928
	;; [unrolled: 1-line block ×3, first 2 shown]
	v_cmp_lt_u32_e32 vcc, 52, v0
	s_waitcnt vmcnt(13)
	v_mov_b32_e32 v28, v15
	s_waitcnt vmcnt(12)
	v_mov_b32_e32 v30, v17
	s_waitcnt lgkmcnt(2)
	v_pk_mul_f32 v[28:29], v[2:3], v[28:29] op_sel_hi:[1,0]
	s_waitcnt vmcnt(11)
	v_mov_b32_e32 v32, v19
	v_pk_mul_f32 v[30:31], v[4:5], v[30:31] op_sel_hi:[1,0]
	s_waitcnt vmcnt(10)
	v_mov_b32_e32 v34, v21
	s_waitcnt vmcnt(7)
	v_pk_fma_f32 v[40:41], v[2:3], v[14:15], v[28:29] op_sel:[0,0,1] op_sel_hi:[1,1,0] neg_lo:[0,0,1] neg_hi:[0,0,1]
	v_pk_fma_f32 v[2:3], v[2:3], v[14:15], v[28:29] op_sel:[0,0,1] op_sel_hi:[1,0,0]
	s_waitcnt lgkmcnt(1)
	v_pk_mul_f32 v[32:33], v[6:7], v[32:33] op_sel_hi:[1,0]
	s_waitcnt vmcnt(6)
	v_pk_fma_f32 v[14:15], v[4:5], v[16:17], v[30:31] op_sel:[0,0,1] op_sel_hi:[1,1,0] neg_lo:[0,0,1] neg_hi:[0,0,1]
	v_pk_fma_f32 v[4:5], v[4:5], v[16:17], v[30:31] op_sel:[0,0,1] op_sel_hi:[1,0,0]
	v_mov_b32_e32 v41, v3
	v_mov_b32_e32 v36, v23
	v_pk_mul_f32 v[34:35], v[8:9], v[34:35] op_sel_hi:[1,0]
	s_waitcnt vmcnt(5)
	v_pk_fma_f32 v[16:17], v[6:7], v[18:19], v[32:33] op_sel:[0,0,1] op_sel_hi:[1,1,0] neg_lo:[0,0,1] neg_hi:[0,0,1]
	v_pk_fma_f32 v[6:7], v[6:7], v[18:19], v[32:33] op_sel:[0,0,1] op_sel_hi:[1,0,0]
	v_mov_b32_e32 v15, v5
	v_pk_add_f32 v[2:3], v[40:41], 0 op_sel_hi:[1,0]
	v_mov_b32_e32 v38, v25
	s_waitcnt lgkmcnt(0)
	v_pk_mul_f32 v[36:37], v[10:11], v[36:37] op_sel_hi:[1,0]
	s_waitcnt vmcnt(4)
	v_pk_fma_f32 v[18:19], v[8:9], v[20:21], v[34:35] op_sel:[0,0,1] op_sel_hi:[1,1,0] neg_lo:[0,0,1] neg_hi:[0,0,1]
	v_pk_fma_f32 v[8:9], v[8:9], v[20:21], v[34:35] op_sel:[0,0,1] op_sel_hi:[1,0,0]
	v_mov_b32_e32 v17, v7
	v_pk_add_f32 v[2:3], v[2:3], v[14:15]
	v_pk_mul_f32 v[38:39], v[12:13], v[38:39] op_sel_hi:[1,0]
	s_waitcnt vmcnt(3)
	v_pk_fma_f32 v[20:21], v[10:11], v[22:23], v[36:37] op_sel:[0,0,1] op_sel_hi:[1,1,0] neg_lo:[0,0,1] neg_hi:[0,0,1]
	v_pk_fma_f32 v[10:11], v[10:11], v[22:23], v[36:37] op_sel:[0,0,1] op_sel_hi:[1,0,0]
	v_mov_b32_e32 v19, v9
	v_pk_add_f32 v[2:3], v[2:3], v[16:17]
	s_waitcnt vmcnt(2)
	v_pk_fma_f32 v[22:23], v[12:13], v[24:25], v[38:39] op_sel:[0,0,1] op_sel_hi:[1,1,0] neg_lo:[0,0,1] neg_hi:[0,0,1]
	v_pk_fma_f32 v[12:13], v[12:13], v[24:25], v[38:39] op_sel:[0,0,1] op_sel_hi:[1,0,0]
	v_mov_b32_e32 v21, v11
	v_pk_add_f32 v[2:3], v[2:3], v[18:19]
	v_mov_b32_e32 v23, v13
	v_pk_add_f32 v[2:3], v[2:3], v[20:21]
	v_pk_add_f32 v[2:3], v[2:3], v[22:23]
	s_waitcnt vmcnt(0)
	v_pk_add_f32 v[2:3], v[26:27], v[2:3] neg_lo:[0,1] neg_hi:[0,1]
	buffer_store_dword v2, off, s[0:3], 0 offset:424
	buffer_store_dword v3, off, s[0:3], 0 offset:428
	s_and_saveexec_b64 s[4:5], vcc
	s_cbranch_execz .LBB59_269
; %bb.268:
	buffer_load_dword v2, off, s[0:3], 0 offset:416
	buffer_load_dword v3, off, s[0:3], 0 offset:420
	v_mov_b32_e32 v1, 0
	buffer_store_dword v1, off, s[0:3], 0 offset:416
	buffer_store_dword v1, off, s[0:3], 0 offset:420
	s_waitcnt vmcnt(2)
	ds_write_b64 v195, v[2:3]
.LBB59_269:
	s_or_b64 exec, exec, s[4:5]
	s_waitcnt lgkmcnt(0)
	; wave barrier
	s_waitcnt lgkmcnt(0)
	buffer_load_dword v14, off, s[0:3], 0 offset:416
	buffer_load_dword v15, off, s[0:3], 0 offset:420
	;; [unrolled: 1-line block ×16, first 2 shown]
	v_mov_b32_e32 v1, 0
	ds_read2_b64 v[2:5], v1 offset0:113 offset1:114
	ds_read2_b64 v[6:9], v1 offset0:115 offset1:116
	;; [unrolled: 1-line block ×3, first 2 shown]
	ds_read_b64 v[30:31], v1 offset:952
	v_cmp_lt_u32_e32 vcc, 51, v0
	s_waitcnt vmcnt(12)
	v_mov_b32_e32 v32, v17
	s_waitcnt lgkmcnt(3)
	v_pk_mul_f32 v[32:33], v[2:3], v[32:33] op_sel_hi:[1,0]
	v_pk_fma_f32 v[34:35], v[2:3], v[16:17], v[32:33] op_sel:[0,0,1] op_sel_hi:[1,1,0] neg_lo:[0,0,1] neg_hi:[0,0,1]
	v_pk_fma_f32 v[2:3], v[2:3], v[16:17], v[32:33] op_sel:[0,0,1] op_sel_hi:[1,0,0]
	s_waitcnt vmcnt(10)
	v_mov_b32_e32 v16, v19
	v_pk_mul_f32 v[16:17], v[4:5], v[16:17] op_sel_hi:[1,0]
	v_pk_fma_f32 v[32:33], v[4:5], v[18:19], v[16:17] op_sel:[0,0,1] op_sel_hi:[1,1,0] neg_lo:[0,0,1] neg_hi:[0,0,1]
	v_pk_fma_f32 v[4:5], v[4:5], v[18:19], v[16:17] op_sel:[0,0,1] op_sel_hi:[1,0,0]
	s_waitcnt vmcnt(8)
	v_mov_b32_e32 v4, v21
	v_mov_b32_e32 v33, v5
	s_waitcnt lgkmcnt(2)
	v_pk_mul_f32 v[4:5], v[6:7], v[4:5] op_sel_hi:[1,0]
	v_pk_fma_f32 v[16:17], v[6:7], v[20:21], v[4:5] op_sel:[0,0,1] op_sel_hi:[1,1,0] neg_lo:[0,0,1] neg_hi:[0,0,1]
	v_pk_fma_f32 v[4:5], v[6:7], v[20:21], v[4:5] op_sel:[0,0,1] op_sel_hi:[1,0,0]
	s_waitcnt vmcnt(6)
	v_mov_b32_e32 v4, v23
	v_mov_b32_e32 v35, v3
	;; [unrolled: 1-line block ×3, first 2 shown]
	v_pk_mul_f32 v[4:5], v[8:9], v[4:5] op_sel_hi:[1,0]
	v_pk_add_f32 v[2:3], v[34:35], 0 op_sel_hi:[1,0]
	v_pk_fma_f32 v[6:7], v[8:9], v[22:23], v[4:5] op_sel:[0,0,1] op_sel_hi:[1,1,0] neg_lo:[0,0,1] neg_hi:[0,0,1]
	v_pk_fma_f32 v[4:5], v[8:9], v[22:23], v[4:5] op_sel:[0,0,1] op_sel_hi:[1,0,0]
	v_pk_add_f32 v[2:3], v[2:3], v[32:33]
	s_waitcnt vmcnt(4)
	v_mov_b32_e32 v4, v25
	v_pk_add_f32 v[2:3], v[2:3], v[16:17]
	v_mov_b32_e32 v7, v5
	s_waitcnt lgkmcnt(1)
	v_pk_mul_f32 v[4:5], v[10:11], v[4:5] op_sel_hi:[1,0]
	v_pk_add_f32 v[2:3], v[2:3], v[6:7]
	v_pk_fma_f32 v[6:7], v[10:11], v[24:25], v[4:5] op_sel:[0,0,1] op_sel_hi:[1,1,0] neg_lo:[0,0,1] neg_hi:[0,0,1]
	v_pk_fma_f32 v[4:5], v[10:11], v[24:25], v[4:5] op_sel:[0,0,1] op_sel_hi:[1,0,0]
	s_waitcnt vmcnt(2)
	v_mov_b32_e32 v4, v27
	v_mov_b32_e32 v7, v5
	v_pk_mul_f32 v[4:5], v[12:13], v[4:5] op_sel_hi:[1,0]
	v_pk_add_f32 v[2:3], v[2:3], v[6:7]
	v_pk_fma_f32 v[6:7], v[12:13], v[26:27], v[4:5] op_sel:[0,0,1] op_sel_hi:[1,1,0] neg_lo:[0,0,1] neg_hi:[0,0,1]
	v_pk_fma_f32 v[4:5], v[12:13], v[26:27], v[4:5] op_sel:[0,0,1] op_sel_hi:[1,0,0]
	s_waitcnt vmcnt(0)
	v_mov_b32_e32 v4, v29
	v_mov_b32_e32 v7, v5
	s_waitcnt lgkmcnt(0)
	v_pk_mul_f32 v[4:5], v[30:31], v[4:5] op_sel_hi:[1,0]
	v_pk_add_f32 v[2:3], v[2:3], v[6:7]
	v_pk_fma_f32 v[6:7], v[30:31], v[28:29], v[4:5] op_sel:[0,0,1] op_sel_hi:[1,1,0] neg_lo:[0,0,1] neg_hi:[0,0,1]
	v_pk_fma_f32 v[4:5], v[30:31], v[28:29], v[4:5] op_sel:[0,0,1] op_sel_hi:[1,0,0]
	v_mov_b32_e32 v7, v5
	v_pk_add_f32 v[2:3], v[2:3], v[6:7]
	v_pk_add_f32 v[2:3], v[14:15], v[2:3] neg_lo:[0,1] neg_hi:[0,1]
	buffer_store_dword v2, off, s[0:3], 0 offset:416
	buffer_store_dword v3, off, s[0:3], 0 offset:420
	s_and_saveexec_b64 s[4:5], vcc
	s_cbranch_execz .LBB59_271
; %bb.270:
	buffer_load_dword v2, off, s[0:3], 0 offset:408
	buffer_load_dword v3, off, s[0:3], 0 offset:412
	s_waitcnt vmcnt(0)
	ds_write_b64 v195, v[2:3]
	buffer_store_dword v1, off, s[0:3], 0 offset:408
	buffer_store_dword v1, off, s[0:3], 0 offset:412
.LBB59_271:
	s_or_b64 exec, exec, s[4:5]
	s_waitcnt lgkmcnt(0)
	; wave barrier
	s_waitcnt lgkmcnt(0)
	buffer_load_dword v18, off, s[0:3], 0 offset:408
	buffer_load_dword v19, off, s[0:3], 0 offset:412
	;; [unrolled: 1-line block ×16, first 2 shown]
	ds_read_b128 v[2:5], v1 offset:896
	ds_read_b128 v[6:9], v1 offset:912
	;; [unrolled: 1-line block ×4, first 2 shown]
	buffer_load_dword v35, off, s[0:3], 0 offset:476
	buffer_load_dword v34, off, s[0:3], 0 offset:472
	v_cmp_lt_u32_e32 vcc, 50, v0
	s_waitcnt vmcnt(14)
	v_mov_b32_e32 v36, v21
	s_waitcnt lgkmcnt(3)
	v_pk_mul_f32 v[36:37], v[2:3], v[36:37] op_sel_hi:[1,0]
	v_pk_fma_f32 v[38:39], v[2:3], v[20:21], v[36:37] op_sel:[0,0,1] op_sel_hi:[1,1,0] neg_lo:[0,0,1] neg_hi:[0,0,1]
	v_pk_fma_f32 v[2:3], v[2:3], v[20:21], v[36:37] op_sel:[0,0,1] op_sel_hi:[1,0,0]
	s_waitcnt vmcnt(12)
	v_mov_b32_e32 v20, v23
	v_pk_mul_f32 v[20:21], v[4:5], v[20:21] op_sel_hi:[1,0]
	v_pk_fma_f32 v[36:37], v[4:5], v[22:23], v[20:21] op_sel:[0,0,1] op_sel_hi:[1,1,0] neg_lo:[0,0,1] neg_hi:[0,0,1]
	v_pk_fma_f32 v[4:5], v[4:5], v[22:23], v[20:21] op_sel:[0,0,1] op_sel_hi:[1,0,0]
	s_waitcnt vmcnt(10)
	v_mov_b32_e32 v4, v25
	v_mov_b32_e32 v37, v5
	s_waitcnt lgkmcnt(2)
	v_pk_mul_f32 v[4:5], v[6:7], v[4:5] op_sel_hi:[1,0]
	v_pk_fma_f32 v[20:21], v[6:7], v[24:25], v[4:5] op_sel:[0,0,1] op_sel_hi:[1,1,0] neg_lo:[0,0,1] neg_hi:[0,0,1]
	v_pk_fma_f32 v[4:5], v[6:7], v[24:25], v[4:5] op_sel:[0,0,1] op_sel_hi:[1,0,0]
	s_waitcnt vmcnt(8)
	v_mov_b32_e32 v4, v27
	v_mov_b32_e32 v39, v3
	;; [unrolled: 1-line block ×3, first 2 shown]
	v_pk_mul_f32 v[4:5], v[8:9], v[4:5] op_sel_hi:[1,0]
	v_pk_add_f32 v[2:3], v[38:39], 0 op_sel_hi:[1,0]
	v_pk_fma_f32 v[6:7], v[8:9], v[26:27], v[4:5] op_sel:[0,0,1] op_sel_hi:[1,1,0] neg_lo:[0,0,1] neg_hi:[0,0,1]
	v_pk_fma_f32 v[4:5], v[8:9], v[26:27], v[4:5] op_sel:[0,0,1] op_sel_hi:[1,0,0]
	v_pk_add_f32 v[2:3], v[2:3], v[36:37]
	s_waitcnt vmcnt(6)
	v_mov_b32_e32 v4, v29
	v_pk_add_f32 v[2:3], v[2:3], v[20:21]
	v_mov_b32_e32 v7, v5
	s_waitcnt lgkmcnt(1)
	v_pk_mul_f32 v[4:5], v[10:11], v[4:5] op_sel_hi:[1,0]
	v_pk_add_f32 v[2:3], v[2:3], v[6:7]
	v_pk_fma_f32 v[6:7], v[10:11], v[28:29], v[4:5] op_sel:[0,0,1] op_sel_hi:[1,1,0] neg_lo:[0,0,1] neg_hi:[0,0,1]
	v_pk_fma_f32 v[4:5], v[10:11], v[28:29], v[4:5] op_sel:[0,0,1] op_sel_hi:[1,0,0]
	s_waitcnt vmcnt(4)
	v_mov_b32_e32 v4, v31
	v_mov_b32_e32 v7, v5
	v_pk_mul_f32 v[4:5], v[12:13], v[4:5] op_sel_hi:[1,0]
	v_pk_add_f32 v[2:3], v[2:3], v[6:7]
	v_pk_fma_f32 v[6:7], v[12:13], v[30:31], v[4:5] op_sel:[0,0,1] op_sel_hi:[1,1,0] neg_lo:[0,0,1] neg_hi:[0,0,1]
	v_pk_fma_f32 v[4:5], v[12:13], v[30:31], v[4:5] op_sel:[0,0,1] op_sel_hi:[1,0,0]
	s_waitcnt vmcnt(2)
	v_mov_b32_e32 v4, v33
	v_mov_b32_e32 v7, v5
	s_waitcnt lgkmcnt(0)
	v_pk_mul_f32 v[4:5], v[14:15], v[4:5] op_sel_hi:[1,0]
	v_pk_add_f32 v[2:3], v[2:3], v[6:7]
	v_pk_fma_f32 v[6:7], v[14:15], v[32:33], v[4:5] op_sel:[0,0,1] op_sel_hi:[1,1,0] neg_lo:[0,0,1] neg_hi:[0,0,1]
	v_pk_fma_f32 v[4:5], v[14:15], v[32:33], v[4:5] op_sel:[0,0,1] op_sel_hi:[1,0,0]
	s_waitcnt vmcnt(1)
	v_mov_b32_e32 v4, v35
	v_mov_b32_e32 v7, v5
	v_pk_mul_f32 v[4:5], v[16:17], v[4:5] op_sel_hi:[1,0]
	v_pk_add_f32 v[2:3], v[2:3], v[6:7]
	s_waitcnt vmcnt(0)
	v_pk_fma_f32 v[6:7], v[16:17], v[34:35], v[4:5] op_sel:[0,0,1] op_sel_hi:[1,1,0] neg_lo:[0,0,1] neg_hi:[0,0,1]
	v_pk_fma_f32 v[4:5], v[16:17], v[34:35], v[4:5] op_sel:[0,0,1] op_sel_hi:[1,0,0]
	v_mov_b32_e32 v7, v5
	v_pk_add_f32 v[2:3], v[2:3], v[6:7]
	v_pk_add_f32 v[2:3], v[18:19], v[2:3] neg_lo:[0,1] neg_hi:[0,1]
	buffer_store_dword v2, off, s[0:3], 0 offset:408
	buffer_store_dword v3, off, s[0:3], 0 offset:412
	s_and_saveexec_b64 s[4:5], vcc
	s_cbranch_execz .LBB59_273
; %bb.272:
	buffer_load_dword v2, off, s[0:3], 0 offset:400
	buffer_load_dword v3, off, s[0:3], 0 offset:404
	v_mov_b32_e32 v1, 0
	buffer_store_dword v1, off, s[0:3], 0 offset:400
	buffer_store_dword v1, off, s[0:3], 0 offset:404
	s_waitcnt vmcnt(2)
	ds_write_b64 v195, v[2:3]
.LBB59_273:
	s_or_b64 exec, exec, s[4:5]
	v_mov_b32_e32 v1, 0
	s_waitcnt lgkmcnt(0)
	; wave barrier
	s_waitcnt lgkmcnt(0)
	ds_read2_b64 v[2:5], v1 offset0:111 offset1:112
	buffer_load_dword v18, off, s[0:3], 0 offset:400
	buffer_load_dword v19, off, s[0:3], 0 offset:404
	;; [unrolled: 1-line block ×20, first 2 shown]
	v_cmp_lt_u32_e32 vcc, 49, v0
	s_waitcnt vmcnt(16) lgkmcnt(0)
	v_mul_f32_e32 v33, v2, v7
	v_fmac_f32_e32 v33, v3, v6
	v_mul_f32_e32 v3, v3, v7
	s_waitcnt vmcnt(14)
	v_mov_b32_e32 v38, v21
	v_fma_f32 v32, v2, v6, -v3
	ds_read2_b64 v[6:9], v1 offset0:113 offset1:114
	ds_read2_b64 v[10:13], v1 offset0:115 offset1:116
	;; [unrolled: 1-line block ×3, first 2 shown]
	ds_read_b64 v[2:3], v1 offset:952
	v_pk_mul_f32 v[38:39], v[4:5], v[38:39] op_sel_hi:[1,0]
	v_pk_fma_f32 v[40:41], v[4:5], v[20:21], v[38:39] op_sel:[0,0,1] op_sel_hi:[1,1,0] neg_lo:[0,0,1] neg_hi:[0,0,1]
	v_pk_fma_f32 v[4:5], v[4:5], v[20:21], v[38:39] op_sel:[0,0,1] op_sel_hi:[1,0,0]
	s_waitcnt vmcnt(12)
	v_mov_b32_e32 v20, v23
	v_pk_add_f32 v[32:33], v[32:33], 0 op_sel_hi:[1,0]
	v_mov_b32_e32 v41, v5
	s_waitcnt lgkmcnt(3)
	v_pk_mul_f32 v[20:21], v[6:7], v[20:21] op_sel_hi:[1,0]
	v_pk_add_f32 v[4:5], v[32:33], v[40:41]
	v_pk_fma_f32 v[32:33], v[6:7], v[22:23], v[20:21] op_sel:[0,0,1] op_sel_hi:[1,1,0] neg_lo:[0,0,1] neg_hi:[0,0,1]
	v_pk_fma_f32 v[6:7], v[6:7], v[22:23], v[20:21] op_sel:[0,0,1] op_sel_hi:[1,0,0]
	s_waitcnt vmcnt(10)
	v_mov_b32_e32 v6, v25
	v_mov_b32_e32 v33, v7
	v_pk_mul_f32 v[6:7], v[8:9], v[6:7] op_sel_hi:[1,0]
	v_pk_fma_f32 v[20:21], v[8:9], v[24:25], v[6:7] op_sel:[0,0,1] op_sel_hi:[1,1,0] neg_lo:[0,0,1] neg_hi:[0,0,1]
	v_pk_fma_f32 v[6:7], v[8:9], v[24:25], v[6:7] op_sel:[0,0,1] op_sel_hi:[1,0,0]
	s_waitcnt vmcnt(8)
	v_mov_b32_e32 v6, v27
	v_mov_b32_e32 v21, v7
	s_waitcnt lgkmcnt(2)
	v_pk_mul_f32 v[6:7], v[10:11], v[6:7] op_sel_hi:[1,0]
	v_pk_fma_f32 v[8:9], v[10:11], v[26:27], v[6:7] op_sel:[0,0,1] op_sel_hi:[1,1,0] neg_lo:[0,0,1] neg_hi:[0,0,1]
	v_pk_fma_f32 v[6:7], v[10:11], v[26:27], v[6:7] op_sel:[0,0,1] op_sel_hi:[1,0,0]
	v_pk_add_f32 v[4:5], v[4:5], v[32:33]
	s_waitcnt vmcnt(6)
	v_mov_b32_e32 v6, v29
	v_pk_add_f32 v[4:5], v[4:5], v[20:21]
	v_mov_b32_e32 v9, v7
	v_pk_mul_f32 v[6:7], v[12:13], v[6:7] op_sel_hi:[1,0]
	v_pk_add_f32 v[4:5], v[4:5], v[8:9]
	v_pk_fma_f32 v[8:9], v[12:13], v[28:29], v[6:7] op_sel:[0,0,1] op_sel_hi:[1,1,0] neg_lo:[0,0,1] neg_hi:[0,0,1]
	v_pk_fma_f32 v[6:7], v[12:13], v[28:29], v[6:7] op_sel:[0,0,1] op_sel_hi:[1,0,0]
	s_waitcnt vmcnt(4)
	v_mov_b32_e32 v6, v31
	v_mov_b32_e32 v9, v7
	s_waitcnt lgkmcnt(1)
	v_pk_mul_f32 v[6:7], v[14:15], v[6:7] op_sel_hi:[1,0]
	v_pk_add_f32 v[4:5], v[4:5], v[8:9]
	v_pk_fma_f32 v[8:9], v[14:15], v[30:31], v[6:7] op_sel:[0,0,1] op_sel_hi:[1,1,0] neg_lo:[0,0,1] neg_hi:[0,0,1]
	v_pk_fma_f32 v[6:7], v[14:15], v[30:31], v[6:7] op_sel:[0,0,1] op_sel_hi:[1,0,0]
	s_waitcnt vmcnt(3)
	v_mov_b32_e32 v6, v35
	v_mov_b32_e32 v9, v7
	v_pk_mul_f32 v[6:7], v[16:17], v[6:7] op_sel_hi:[1,0]
	v_pk_add_f32 v[4:5], v[4:5], v[8:9]
	s_waitcnt vmcnt(2)
	v_pk_fma_f32 v[8:9], v[16:17], v[34:35], v[6:7] op_sel:[0,0,1] op_sel_hi:[1,1,0] neg_lo:[0,0,1] neg_hi:[0,0,1]
	v_pk_fma_f32 v[6:7], v[16:17], v[34:35], v[6:7] op_sel:[0,0,1] op_sel_hi:[1,0,0]
	s_waitcnt vmcnt(1)
	v_mov_b32_e32 v6, v37
	v_mov_b32_e32 v9, v7
	s_waitcnt lgkmcnt(0)
	v_pk_mul_f32 v[6:7], v[2:3], v[6:7] op_sel_hi:[1,0]
	v_pk_add_f32 v[4:5], v[4:5], v[8:9]
	s_waitcnt vmcnt(0)
	v_pk_fma_f32 v[8:9], v[2:3], v[36:37], v[6:7] op_sel:[0,0,1] op_sel_hi:[1,1,0] neg_lo:[0,0,1] neg_hi:[0,0,1]
	v_pk_fma_f32 v[2:3], v[2:3], v[36:37], v[6:7] op_sel:[0,0,1] op_sel_hi:[1,0,0]
	v_mov_b32_e32 v9, v3
	v_pk_add_f32 v[2:3], v[4:5], v[8:9]
	v_pk_add_f32 v[2:3], v[18:19], v[2:3] neg_lo:[0,1] neg_hi:[0,1]
	buffer_store_dword v2, off, s[0:3], 0 offset:400
	buffer_store_dword v3, off, s[0:3], 0 offset:404
	s_and_saveexec_b64 s[4:5], vcc
	s_cbranch_execz .LBB59_275
; %bb.274:
	buffer_load_dword v2, off, s[0:3], 0 offset:392
	buffer_load_dword v3, off, s[0:3], 0 offset:396
	s_waitcnt vmcnt(0)
	ds_write_b64 v195, v[2:3]
	buffer_store_dword v1, off, s[0:3], 0 offset:392
	buffer_store_dword v1, off, s[0:3], 0 offset:396
.LBB59_275:
	s_or_b64 exec, exec, s[4:5]
	s_waitcnt lgkmcnt(0)
	; wave barrier
	s_waitcnt lgkmcnt(0)
	ds_read_b128 v[4:7], v1 offset:880
	ds_read_b128 v[8:11], v1 offset:896
	;; [unrolled: 1-line block ×4, first 2 shown]
	buffer_load_dword v2, off, s[0:3], 0 offset:392
	buffer_load_dword v3, off, s[0:3], 0 offset:396
	;; [unrolled: 1-line block ×22, first 2 shown]
	v_cmp_lt_u32_e32 vcc, 48, v0
	s_waitcnt vmcnt(18) lgkmcnt(3)
	v_mul_f32_e32 v31, v4, v32
	v_fmac_f32_e32 v31, v5, v30
	v_mul_f32_e32 v5, v5, v32
	s_waitcnt vmcnt(16)
	v_mul_f32_e32 v33, v6, v41
	v_fma_f32 v30, v4, v30, -v5
	v_mul_f32_e32 v4, v7, v41
	v_fmac_f32_e32 v33, v7, v40
	v_fma_f32 v32, v6, v40, -v4
	v_pk_add_f32 v[30:31], v[30:31], 0 op_sel_hi:[1,0]
	v_pk_add_f32 v[30:31], v[30:31], v[32:33]
	s_waitcnt vmcnt(14)
	v_mov_b32_e32 v32, v21
	s_waitcnt lgkmcnt(2)
	v_pk_mul_f32 v[32:33], v[8:9], v[32:33] op_sel_hi:[1,0]
	v_pk_fma_f32 v[40:41], v[8:9], v[20:21], v[32:33] op_sel:[0,0,1] op_sel_hi:[1,1,0] neg_lo:[0,0,1] neg_hi:[0,0,1]
	v_pk_fma_f32 v[8:9], v[8:9], v[20:21], v[32:33] op_sel:[0,0,1] op_sel_hi:[1,0,0]
	s_waitcnt vmcnt(12)
	v_mov_b32_e32 v20, v23
	v_mov_b32_e32 v41, v9
	v_pk_mul_f32 v[20:21], v[10:11], v[20:21] op_sel_hi:[1,0]
	v_pk_add_f32 v[8:9], v[30:31], v[40:41]
	v_pk_fma_f32 v[30:31], v[10:11], v[22:23], v[20:21] op_sel:[0,0,1] op_sel_hi:[1,1,0] neg_lo:[0,0,1] neg_hi:[0,0,1]
	v_pk_fma_f32 v[10:11], v[10:11], v[22:23], v[20:21] op_sel:[0,0,1] op_sel_hi:[1,0,0]
	s_waitcnt vmcnt(10)
	v_mov_b32_e32 v10, v25
	v_mov_b32_e32 v31, v11
	s_waitcnt lgkmcnt(1)
	v_pk_mul_f32 v[10:11], v[12:13], v[10:11] op_sel_hi:[1,0]
	v_pk_fma_f32 v[20:21], v[12:13], v[24:25], v[10:11] op_sel:[0,0,1] op_sel_hi:[1,1,0] neg_lo:[0,0,1] neg_hi:[0,0,1]
	v_pk_fma_f32 v[10:11], v[12:13], v[24:25], v[10:11] op_sel:[0,0,1] op_sel_hi:[1,0,0]
	s_waitcnt vmcnt(8)
	v_mov_b32_e32 v10, v27
	v_mov_b32_e32 v21, v11
	v_pk_mul_f32 v[10:11], v[14:15], v[10:11] op_sel_hi:[1,0]
	v_pk_fma_f32 v[12:13], v[14:15], v[26:27], v[10:11] op_sel:[0,0,1] op_sel_hi:[1,1,0] neg_lo:[0,0,1] neg_hi:[0,0,1]
	v_pk_fma_f32 v[10:11], v[14:15], v[26:27], v[10:11] op_sel:[0,0,1] op_sel_hi:[1,0,0]
	v_pk_add_f32 v[8:9], v[8:9], v[30:31]
	s_waitcnt vmcnt(6)
	v_mov_b32_e32 v10, v29
	v_pk_add_f32 v[8:9], v[8:9], v[20:21]
	v_mov_b32_e32 v13, v11
	s_waitcnt lgkmcnt(0)
	v_pk_mul_f32 v[10:11], v[16:17], v[10:11] op_sel_hi:[1,0]
	ds_read_b128 v[4:7], v1 offset:944
	v_pk_add_f32 v[8:9], v[8:9], v[12:13]
	v_pk_fma_f32 v[12:13], v[16:17], v[28:29], v[10:11] op_sel:[0,0,1] op_sel_hi:[1,1,0] neg_lo:[0,0,1] neg_hi:[0,0,1]
	v_pk_fma_f32 v[10:11], v[16:17], v[28:29], v[10:11] op_sel:[0,0,1] op_sel_hi:[1,0,0]
	s_waitcnt vmcnt(5)
	v_mov_b32_e32 v10, v35
	v_mov_b32_e32 v13, v11
	v_pk_mul_f32 v[10:11], v[18:19], v[10:11] op_sel_hi:[1,0]
	v_pk_add_f32 v[8:9], v[8:9], v[12:13]
	s_waitcnt vmcnt(4)
	v_pk_fma_f32 v[12:13], v[18:19], v[34:35], v[10:11] op_sel:[0,0,1] op_sel_hi:[1,1,0] neg_lo:[0,0,1] neg_hi:[0,0,1]
	v_pk_fma_f32 v[10:11], v[18:19], v[34:35], v[10:11] op_sel:[0,0,1] op_sel_hi:[1,0,0]
	s_waitcnt vmcnt(3)
	v_mov_b32_e32 v10, v37
	v_mov_b32_e32 v13, v11
	s_waitcnt lgkmcnt(0)
	v_pk_mul_f32 v[10:11], v[4:5], v[10:11] op_sel_hi:[1,0]
	v_pk_add_f32 v[8:9], v[8:9], v[12:13]
	s_waitcnt vmcnt(2)
	v_pk_fma_f32 v[12:13], v[4:5], v[36:37], v[10:11] op_sel:[0,0,1] op_sel_hi:[1,1,0] neg_lo:[0,0,1] neg_hi:[0,0,1]
	v_pk_fma_f32 v[4:5], v[4:5], v[36:37], v[10:11] op_sel:[0,0,1] op_sel_hi:[1,0,0]
	v_mov_b32_e32 v13, v5
	v_pk_add_f32 v[4:5], v[8:9], v[12:13]
	s_waitcnt vmcnt(1)
	v_mov_b32_e32 v8, v39
	v_pk_mul_f32 v[8:9], v[6:7], v[8:9] op_sel_hi:[1,0]
	s_waitcnt vmcnt(0)
	v_pk_fma_f32 v[10:11], v[6:7], v[38:39], v[8:9] op_sel:[0,0,1] op_sel_hi:[1,1,0] neg_lo:[0,0,1] neg_hi:[0,0,1]
	v_pk_fma_f32 v[6:7], v[6:7], v[38:39], v[8:9] op_sel:[0,0,1] op_sel_hi:[1,0,0]
	v_mov_b32_e32 v11, v7
	v_pk_add_f32 v[4:5], v[4:5], v[10:11]
	v_pk_add_f32 v[2:3], v[2:3], v[4:5] neg_lo:[0,1] neg_hi:[0,1]
	buffer_store_dword v2, off, s[0:3], 0 offset:392
	buffer_store_dword v3, off, s[0:3], 0 offset:396
	s_and_saveexec_b64 s[4:5], vcc
	s_cbranch_execz .LBB59_277
; %bb.276:
	buffer_load_dword v2, off, s[0:3], 0 offset:384
	buffer_load_dword v3, off, s[0:3], 0 offset:388
	v_mov_b32_e32 v1, 0
	buffer_store_dword v1, off, s[0:3], 0 offset:384
	buffer_store_dword v1, off, s[0:3], 0 offset:388
	s_waitcnt vmcnt(2)
	ds_write_b64 v195, v[2:3]
.LBB59_277:
	s_or_b64 exec, exec, s[4:5]
	v_mov_b32_e32 v1, 0
	s_waitcnt lgkmcnt(0)
	; wave barrier
	s_waitcnt lgkmcnt(0)
	ds_read2_b64 v[4:7], v1 offset0:109 offset1:110
	buffer_load_dword v2, off, s[0:3], 0 offset:384
	buffer_load_dword v3, off, s[0:3], 0 offset:388
	;; [unrolled: 1-line block ×16, first 2 shown]
	v_cmp_lt_u32_e32 vcc, 47, v0
	s_waitcnt vmcnt(12) lgkmcnt(0)
	v_mul_f32_e32 v8, v4, v13
	v_fmac_f32_e32 v8, v5, v12
	v_add_f32_e32 v29, 0, v8
	ds_read2_b64 v[8:11], v1 offset0:111 offset1:112
	buffer_load_dword v35, off, s[0:3], 0 offset:452
	buffer_load_dword v34, off, s[0:3], 0 offset:448
	;; [unrolled: 1-line block ×8, first 2 shown]
	v_mul_f32_e32 v5, v5, v13
	v_fma_f32 v4, v4, v12, -v5
	s_waitcnt vmcnt(18)
	v_mul_f32_e32 v31, v6, v15
	v_add_f32_e32 v28, 0, v4
	v_mul_f32_e32 v4, v7, v15
	v_fmac_f32_e32 v31, v7, v14
	v_fma_f32 v30, v6, v14, -v4
	s_waitcnt vmcnt(16) lgkmcnt(0)
	v_mul_f32_e32 v33, v8, v17
	v_mul_f32_e32 v4, v9, v17
	v_pk_add_f32 v[28:29], v[28:29], v[30:31]
	s_waitcnt vmcnt(14)
	v_mov_b32_e32 v30, v21
	v_fmac_f32_e32 v33, v9, v16
	v_fma_f32 v32, v8, v16, -v4
	ds_read2_b64 v[4:7], v1 offset0:113 offset1:114
	ds_read2_b64 v[12:15], v1 offset0:115 offset1:116
	ds_read2_b64 v[16:19], v1 offset0:117 offset1:118
	ds_read_b64 v[8:9], v1 offset:952
	v_pk_mul_f32 v[30:31], v[10:11], v[30:31] op_sel_hi:[1,0]
	v_pk_add_f32 v[28:29], v[28:29], v[32:33]
	v_pk_fma_f32 v[32:33], v[10:11], v[20:21], v[30:31] op_sel:[0,0,1] op_sel_hi:[1,1,0] neg_lo:[0,0,1] neg_hi:[0,0,1]
	v_pk_fma_f32 v[10:11], v[10:11], v[20:21], v[30:31] op_sel:[0,0,1] op_sel_hi:[1,0,0]
	s_waitcnt vmcnt(12)
	v_mov_b32_e32 v20, v23
	v_mov_b32_e32 v33, v11
	s_waitcnt lgkmcnt(3)
	v_pk_mul_f32 v[20:21], v[4:5], v[20:21] op_sel_hi:[1,0]
	v_pk_add_f32 v[10:11], v[28:29], v[32:33]
	v_pk_fma_f32 v[28:29], v[4:5], v[22:23], v[20:21] op_sel:[0,0,1] op_sel_hi:[1,1,0] neg_lo:[0,0,1] neg_hi:[0,0,1]
	v_pk_fma_f32 v[4:5], v[4:5], v[22:23], v[20:21] op_sel:[0,0,1] op_sel_hi:[1,0,0]
	v_mov_b32_e32 v29, v5
	v_pk_add_f32 v[4:5], v[10:11], v[28:29]
	s_waitcnt vmcnt(10)
	v_mov_b32_e32 v10, v25
	v_pk_mul_f32 v[10:11], v[6:7], v[10:11] op_sel_hi:[1,0]
	v_pk_fma_f32 v[20:21], v[6:7], v[24:25], v[10:11] op_sel:[0,0,1] op_sel_hi:[1,1,0] neg_lo:[0,0,1] neg_hi:[0,0,1]
	v_pk_fma_f32 v[6:7], v[6:7], v[24:25], v[10:11] op_sel:[0,0,1] op_sel_hi:[1,0,0]
	s_waitcnt vmcnt(8)
	v_mov_b32_e32 v6, v27
	v_mov_b32_e32 v21, v7
	s_waitcnt lgkmcnt(2)
	v_pk_mul_f32 v[6:7], v[12:13], v[6:7] op_sel_hi:[1,0]
	v_pk_fma_f32 v[10:11], v[12:13], v[26:27], v[6:7] op_sel:[0,0,1] op_sel_hi:[1,1,0] neg_lo:[0,0,1] neg_hi:[0,0,1]
	v_pk_fma_f32 v[6:7], v[12:13], v[26:27], v[6:7] op_sel:[0,0,1] op_sel_hi:[1,0,0]
	v_pk_add_f32 v[4:5], v[4:5], v[20:21]
	v_mov_b32_e32 v11, v7
	v_pk_add_f32 v[4:5], v[4:5], v[10:11]
	s_waitcnt vmcnt(7)
	v_mov_b32_e32 v6, v35
	v_pk_mul_f32 v[6:7], v[14:15], v[6:7] op_sel_hi:[1,0]
	s_waitcnt vmcnt(6)
	v_pk_fma_f32 v[10:11], v[14:15], v[34:35], v[6:7] op_sel:[0,0,1] op_sel_hi:[1,1,0] neg_lo:[0,0,1] neg_hi:[0,0,1]
	v_pk_fma_f32 v[6:7], v[14:15], v[34:35], v[6:7] op_sel:[0,0,1] op_sel_hi:[1,0,0]
	s_waitcnt vmcnt(5)
	v_mov_b32_e32 v6, v37
	v_mov_b32_e32 v11, v7
	s_waitcnt lgkmcnt(1)
	v_pk_mul_f32 v[6:7], v[16:17], v[6:7] op_sel_hi:[1,0]
	v_pk_add_f32 v[4:5], v[4:5], v[10:11]
	s_waitcnt vmcnt(4)
	v_pk_fma_f32 v[10:11], v[16:17], v[36:37], v[6:7] op_sel:[0,0,1] op_sel_hi:[1,1,0] neg_lo:[0,0,1] neg_hi:[0,0,1]
	v_pk_fma_f32 v[6:7], v[16:17], v[36:37], v[6:7] op_sel:[0,0,1] op_sel_hi:[1,0,0]
	s_waitcnt vmcnt(3)
	v_mov_b32_e32 v6, v39
	v_mov_b32_e32 v11, v7
	v_pk_mul_f32 v[6:7], v[18:19], v[6:7] op_sel_hi:[1,0]
	v_pk_add_f32 v[4:5], v[4:5], v[10:11]
	s_waitcnt vmcnt(2)
	v_pk_fma_f32 v[10:11], v[18:19], v[38:39], v[6:7] op_sel:[0,0,1] op_sel_hi:[1,1,0] neg_lo:[0,0,1] neg_hi:[0,0,1]
	v_pk_fma_f32 v[6:7], v[18:19], v[38:39], v[6:7] op_sel:[0,0,1] op_sel_hi:[1,0,0]
	s_waitcnt vmcnt(1)
	v_mov_b32_e32 v6, v41
	v_mov_b32_e32 v11, v7
	s_waitcnt lgkmcnt(0)
	v_pk_mul_f32 v[6:7], v[8:9], v[6:7] op_sel_hi:[1,0]
	v_pk_add_f32 v[4:5], v[4:5], v[10:11]
	s_waitcnt vmcnt(0)
	v_pk_fma_f32 v[10:11], v[8:9], v[40:41], v[6:7] op_sel:[0,0,1] op_sel_hi:[1,1,0] neg_lo:[0,0,1] neg_hi:[0,0,1]
	v_pk_fma_f32 v[6:7], v[8:9], v[40:41], v[6:7] op_sel:[0,0,1] op_sel_hi:[1,0,0]
	v_mov_b32_e32 v11, v7
	v_pk_add_f32 v[4:5], v[4:5], v[10:11]
	v_pk_add_f32 v[2:3], v[2:3], v[4:5] neg_lo:[0,1] neg_hi:[0,1]
	buffer_store_dword v3, off, s[0:3], 0 offset:388
	buffer_store_dword v2, off, s[0:3], 0 offset:384
	s_and_saveexec_b64 s[4:5], vcc
	s_cbranch_execz .LBB59_279
; %bb.278:
	buffer_load_dword v2, off, s[0:3], 0 offset:376
	buffer_load_dword v3, off, s[0:3], 0 offset:380
	s_waitcnt vmcnt(0)
	ds_write_b64 v195, v[2:3]
	buffer_store_dword v1, off, s[0:3], 0 offset:376
	buffer_store_dword v1, off, s[0:3], 0 offset:380
.LBB59_279:
	s_or_b64 exec, exec, s[4:5]
	s_waitcnt lgkmcnt(0)
	; wave barrier
	s_waitcnt lgkmcnt(0)
	buffer_load_dword v44, off, s[0:3], 0 offset:388
	buffer_load_dword v46, off, s[0:3], 0 offset:396
	buffer_load_dword v48, off, s[0:3], 0 offset:404
	buffer_load_dword v49, off, s[0:3], 0 offset:412
	buffer_load_dword v27, off, s[0:3], 0 offset:420
	buffer_load_dword v29, off, s[0:3], 0 offset:428
	buffer_load_dword v31, off, s[0:3], 0 offset:436
	buffer_load_dword v33, off, s[0:3], 0 offset:444
	buffer_load_dword v35, off, s[0:3], 0 offset:452
	buffer_load_dword v37, off, s[0:3], 0 offset:460
	buffer_load_dword v51, off, s[0:3], 0 offset:384
	buffer_load_dword v53, off, s[0:3], 0 offset:392
	buffer_load_dword v55, off, s[0:3], 0 offset:400
	buffer_load_dword v57, off, s[0:3], 0 offset:408
	buffer_load_dword v26, off, s[0:3], 0 offset:416
	buffer_load_dword v28, off, s[0:3], 0 offset:424
	buffer_load_dword v30, off, s[0:3], 0 offset:432
	buffer_load_dword v38, off, s[0:3], 0 offset:464
	buffer_load_dword v36, off, s[0:3], 0 offset:456
	buffer_load_dword v34, off, s[0:3], 0 offset:448
	buffer_load_dword v32, off, s[0:3], 0 offset:440
	buffer_load_dword v39, off, s[0:3], 0 offset:468
	buffer_load_dword v41, off, s[0:3], 0 offset:476
	buffer_load_dword v40, off, s[0:3], 0 offset:472
	buffer_load_dword v42, off, s[0:3], 0 offset:376
	buffer_load_dword v43, off, s[0:3], 0 offset:380
	ds_read_b128 v[2:5], v1 offset:864
	ds_read_b128 v[6:9], v1 offset:880
	;; [unrolled: 1-line block ×6, first 2 shown]
	v_cmp_lt_u32_e32 vcc, 46, v0
	s_waitcnt vmcnt(25) lgkmcnt(5)
	v_mul_f32_e32 v1, v2, v44
	v_mul_f32_e32 v44, v3, v44
	s_waitcnt vmcnt(24)
	v_mul_f32_e32 v59, v4, v46
	s_waitcnt vmcnt(23) lgkmcnt(4)
	v_mul_f32_e32 v45, v6, v48
	s_waitcnt vmcnt(22)
	v_mul_f32_e32 v47, v8, v49
	v_mul_f32_e32 v46, v5, v46
	;; [unrolled: 1-line block ×4, first 2 shown]
	s_waitcnt vmcnt(21)
	v_mov_b32_e32 v48, v27
	s_waitcnt vmcnt(20)
	v_mov_b32_e32 v50, v29
	;; [unrolled: 2-line block ×3, first 2 shown]
	s_waitcnt vmcnt(15)
	v_fmac_f32_e32 v1, v3, v51
	v_fma_f32 v61, v2, v51, -v44
	v_mov_b32_e32 v52, v31
	s_waitcnt vmcnt(14)
	v_fmac_f32_e32 v59, v5, v53
	s_waitcnt vmcnt(12)
	v_fmac_f32_e32 v47, v9, v57
	v_fma_f32 v62, v4, v53, -v46
	v_fma_f32 v46, v8, v57, -v49
	s_waitcnt lgkmcnt(3)
	v_pk_mul_f32 v[2:3], v[10:11], v[48:49] op_sel_hi:[1,0]
	v_pk_mul_f32 v[4:5], v[12:13], v[50:51] op_sel_hi:[1,0]
	s_waitcnt lgkmcnt(2)
	v_pk_mul_f32 v[8:9], v[16:17], v[54:55] op_sel_hi:[1,0]
	v_add_f32_e32 v1, 0, v1
	v_add_f32_e32 v54, 0, v61
	v_fmac_f32_e32 v45, v7, v55
	v_fma_f32 v44, v6, v55, -v60
	v_pk_mul_f32 v[6:7], v[14:15], v[52:53] op_sel_hi:[1,0]
	s_waitcnt vmcnt(11)
	v_pk_fma_f32 v[52:53], v[10:11], v[26:27], v[2:3] op_sel:[0,0,1] op_sel_hi:[1,1,0] neg_lo:[0,0,1] neg_hi:[0,0,1]
	v_pk_fma_f32 v[2:3], v[10:11], v[26:27], v[2:3] op_sel:[0,0,1] op_sel_hi:[1,0,0]
	s_waitcnt vmcnt(10)
	v_pk_fma_f32 v[10:11], v[12:13], v[28:29], v[4:5] op_sel:[0,0,1] op_sel_hi:[1,1,0] neg_lo:[0,0,1] neg_hi:[0,0,1]
	v_pk_fma_f32 v[4:5], v[12:13], v[28:29], v[4:5] op_sel:[0,0,1] op_sel_hi:[1,0,0]
	v_add_f32_e32 v29, v1, v59
	v_add_f32_e32 v28, v54, v62
	v_mov_b32_e32 v53, v3
	v_pk_add_f32 v[2:3], v[28:29], v[44:45]
	v_pk_add_f32 v[2:3], v[2:3], v[46:47]
	v_mov_b32_e32 v56, v35
	s_waitcnt vmcnt(9)
	v_pk_fma_f32 v[12:13], v[14:15], v[30:31], v[6:7] op_sel:[0,0,1] op_sel_hi:[1,1,0] neg_lo:[0,0,1] neg_hi:[0,0,1]
	v_pk_fma_f32 v[6:7], v[14:15], v[30:31], v[6:7] op_sel:[0,0,1] op_sel_hi:[1,0,0]
	v_mov_b32_e32 v11, v5
	v_pk_add_f32 v[2:3], v[2:3], v[52:53]
	v_mov_b32_e32 v58, v37
	s_waitcnt lgkmcnt(1)
	v_pk_mul_f32 v[48:49], v[18:19], v[56:57] op_sel_hi:[1,0]
	s_waitcnt vmcnt(5)
	v_pk_fma_f32 v[14:15], v[16:17], v[32:33], v[8:9] op_sel:[0,0,1] op_sel_hi:[1,1,0] neg_lo:[0,0,1] neg_hi:[0,0,1]
	v_pk_fma_f32 v[8:9], v[16:17], v[32:33], v[8:9] op_sel:[0,0,1] op_sel_hi:[1,0,0]
	v_mov_b32_e32 v13, v7
	v_pk_add_f32 v[2:3], v[2:3], v[10:11]
	s_waitcnt vmcnt(4)
	v_mov_b32_e32 v4, v39
	v_pk_mul_f32 v[50:51], v[20:21], v[58:59] op_sel_hi:[1,0]
	v_pk_fma_f32 v[16:17], v[18:19], v[34:35], v[48:49] op_sel:[0,0,1] op_sel_hi:[1,1,0] neg_lo:[0,0,1] neg_hi:[0,0,1]
	v_pk_fma_f32 v[18:19], v[18:19], v[34:35], v[48:49] op_sel:[0,0,1] op_sel_hi:[1,0,0]
	v_mov_b32_e32 v15, v9
	v_pk_add_f32 v[2:3], v[2:3], v[12:13]
	s_waitcnt lgkmcnt(0)
	v_pk_mul_f32 v[4:5], v[22:23], v[4:5] op_sel_hi:[1,0]
	v_pk_fma_f32 v[26:27], v[20:21], v[36:37], v[50:51] op_sel:[0,0,1] op_sel_hi:[1,1,0] neg_lo:[0,0,1] neg_hi:[0,0,1]
	v_pk_fma_f32 v[20:21], v[20:21], v[36:37], v[50:51] op_sel:[0,0,1] op_sel_hi:[1,0,0]
	v_mov_b32_e32 v17, v19
	v_pk_add_f32 v[2:3], v[2:3], v[14:15]
	v_pk_fma_f32 v[6:7], v[22:23], v[38:39], v[4:5] op_sel:[0,0,1] op_sel_hi:[1,1,0] neg_lo:[0,0,1] neg_hi:[0,0,1]
	v_pk_fma_f32 v[4:5], v[22:23], v[38:39], v[4:5] op_sel:[0,0,1] op_sel_hi:[1,0,0]
	v_mov_b32_e32 v27, v21
	v_pk_add_f32 v[2:3], v[2:3], v[16:17]
	s_waitcnt vmcnt(3)
	v_mov_b32_e32 v4, v41
	v_pk_add_f32 v[2:3], v[2:3], v[26:27]
	v_mov_b32_e32 v7, v5
	v_pk_mul_f32 v[4:5], v[24:25], v[4:5] op_sel_hi:[1,0]
	v_pk_add_f32 v[2:3], v[2:3], v[6:7]
	s_waitcnt vmcnt(2)
	v_pk_fma_f32 v[6:7], v[24:25], v[40:41], v[4:5] op_sel:[0,0,1] op_sel_hi:[1,1,0] neg_lo:[0,0,1] neg_hi:[0,0,1]
	v_pk_fma_f32 v[4:5], v[24:25], v[40:41], v[4:5] op_sel:[0,0,1] op_sel_hi:[1,0,0]
	v_mov_b32_e32 v7, v5
	v_pk_add_f32 v[2:3], v[2:3], v[6:7]
	s_waitcnt vmcnt(0)
	v_pk_add_f32 v[2:3], v[42:43], v[2:3] neg_lo:[0,1] neg_hi:[0,1]
	buffer_store_dword v3, off, s[0:3], 0 offset:380
	buffer_store_dword v2, off, s[0:3], 0 offset:376
	s_and_saveexec_b64 s[4:5], vcc
	s_cbranch_execz .LBB59_281
; %bb.280:
	buffer_load_dword v2, off, s[0:3], 0 offset:368
	buffer_load_dword v3, off, s[0:3], 0 offset:372
	v_mov_b32_e32 v1, 0
	buffer_store_dword v1, off, s[0:3], 0 offset:368
	buffer_store_dword v1, off, s[0:3], 0 offset:372
	s_waitcnt vmcnt(2)
	ds_write_b64 v195, v[2:3]
.LBB59_281:
	s_or_b64 exec, exec, s[4:5]
	s_waitcnt lgkmcnt(0)
	; wave barrier
	s_waitcnt lgkmcnt(0)
	buffer_load_dword v46, off, s[0:3], 0 offset:380
	buffer_load_dword v48, off, s[0:3], 0 offset:388
	;; [unrolled: 1-line block ×28, first 2 shown]
	v_mov_b32_e32 v1, 0
	ds_read2_b64 v[2:5], v1 offset0:107 offset1:108
	ds_read2_b64 v[6:9], v1 offset0:109 offset1:110
	;; [unrolled: 1-line block ×6, first 2 shown]
	ds_read_b64 v[44:45], v1 offset:952
	v_cmp_lt_u32_e32 vcc, 45, v0
	s_waitcnt vmcnt(27) lgkmcnt(6)
	v_mul_f32_e32 v61, v2, v46
	s_waitcnt vmcnt(26)
	v_mul_f32_e32 v62, v4, v48
	v_mul_f32_e32 v46, v3, v46
	;; [unrolled: 1-line block ×3, first 2 shown]
	s_waitcnt vmcnt(23) lgkmcnt(4)
	v_mul_f32_e32 v49, v10, v52
	v_mul_f32_e32 v63, v6, v50
	;; [unrolled: 1-line block ×6, first 2 shown]
	s_waitcnt vmcnt(22)
	v_mov_b32_e32 v50, v27
	s_waitcnt vmcnt(21)
	v_mov_b32_e32 v52, v29
	s_waitcnt vmcnt(17)
	v_fmac_f32_e32 v61, v3, v53
	s_waitcnt vmcnt(16)
	v_fmac_f32_e32 v62, v5, v55
	;; [unrolled: 2-line block ×3, first 2 shown]
	v_fma_f32 v11, v2, v53, -v46
	v_fma_f32 v53, v4, v55, -v48
	v_pk_mul_f32 v[2:3], v[12:13], v[50:51] op_sel_hi:[1,0]
	s_waitcnt lgkmcnt(3)
	v_pk_mul_f32 v[4:5], v[14:15], v[52:53] op_sel_hi:[1,0]
	v_fma_f32 v46, v8, v59, -v51
	v_fma_f32 v48, v10, v60, -v65
	v_add_f32_e32 v50, 0, v61
	v_add_f32_e32 v51, 0, v11
	s_waitcnt vmcnt(12)
	v_pk_fma_f32 v[10:11], v[12:13], v[26:27], v[2:3] op_sel:[0,0,1] op_sel_hi:[1,1,0] neg_lo:[0,0,1] neg_hi:[0,0,1]
	v_pk_fma_f32 v[2:3], v[12:13], v[26:27], v[2:3] op_sel:[0,0,1] op_sel_hi:[1,0,0]
	s_waitcnt vmcnt(11)
	v_pk_fma_f32 v[12:13], v[14:15], v[28:29], v[4:5] op_sel:[0,0,1] op_sel_hi:[1,1,0] neg_lo:[0,0,1] neg_hi:[0,0,1]
	v_pk_fma_f32 v[4:5], v[14:15], v[28:29], v[4:5] op_sel:[0,0,1] op_sel_hi:[1,0,0]
	v_fmac_f32_e32 v63, v7, v57
	v_fma_f32 v55, v6, v57, -v64
	v_add_f32_e32 v2, v50, v62
	v_add_f32_e32 v4, v51, v53
	v_fmac_f32_e32 v47, v9, v59
	v_mov_b32_e32 v11, v3
	v_add_f32_e32 v3, v2, v63
	v_add_f32_e32 v2, v4, v55
	v_mov_b32_e32 v54, v31
	v_pk_add_f32 v[2:3], v[2:3], v[46:47]
	v_mov_b32_e32 v56, v33
	v_mov_b32_e32 v58, v35
	v_pk_mul_f32 v[6:7], v[16:17], v[54:55] op_sel_hi:[1,0]
	v_pk_add_f32 v[2:3], v[2:3], v[48:49]
	s_waitcnt lgkmcnt(2)
	v_pk_mul_f32 v[8:9], v[18:19], v[56:57] op_sel_hi:[1,0]
	s_waitcnt vmcnt(7)
	v_pk_fma_f32 v[14:15], v[16:17], v[30:31], v[6:7] op_sel:[0,0,1] op_sel_hi:[1,1,0] neg_lo:[0,0,1] neg_hi:[0,0,1]
	v_pk_fma_f32 v[6:7], v[16:17], v[30:31], v[6:7] op_sel:[0,0,1] op_sel_hi:[1,0,0]
	v_mov_b32_e32 v13, v5
	v_pk_add_f32 v[2:3], v[2:3], v[10:11]
	v_pk_mul_f32 v[4:5], v[20:21], v[58:59] op_sel_hi:[1,0]
	v_pk_fma_f32 v[16:17], v[18:19], v[32:33], v[8:9] op_sel:[0,0,1] op_sel_hi:[1,1,0] neg_lo:[0,0,1] neg_hi:[0,0,1]
	v_pk_fma_f32 v[8:9], v[18:19], v[32:33], v[8:9] op_sel:[0,0,1] op_sel_hi:[1,0,0]
	v_mov_b32_e32 v15, v7
	v_pk_add_f32 v[2:3], v[2:3], v[12:13]
	v_pk_fma_f32 v[6:7], v[20:21], v[34:35], v[4:5] op_sel:[0,0,1] op_sel_hi:[1,1,0] neg_lo:[0,0,1] neg_hi:[0,0,1]
	v_pk_fma_f32 v[4:5], v[20:21], v[34:35], v[4:5] op_sel:[0,0,1] op_sel_hi:[1,0,0]
	v_mov_b32_e32 v17, v9
	v_pk_add_f32 v[2:3], v[2:3], v[14:15]
	s_waitcnt vmcnt(6)
	v_mov_b32_e32 v4, v37
	v_pk_add_f32 v[2:3], v[2:3], v[16:17]
	v_mov_b32_e32 v7, v5
	s_waitcnt lgkmcnt(1)
	v_pk_mul_f32 v[4:5], v[22:23], v[4:5] op_sel_hi:[1,0]
	v_pk_add_f32 v[2:3], v[2:3], v[6:7]
	v_pk_fma_f32 v[6:7], v[22:23], v[36:37], v[4:5] op_sel:[0,0,1] op_sel_hi:[1,1,0] neg_lo:[0,0,1] neg_hi:[0,0,1]
	v_pk_fma_f32 v[4:5], v[22:23], v[36:37], v[4:5] op_sel:[0,0,1] op_sel_hi:[1,0,0]
	s_waitcnt vmcnt(5)
	v_mov_b32_e32 v4, v39
	v_mov_b32_e32 v7, v5
	v_pk_mul_f32 v[4:5], v[24:25], v[4:5] op_sel_hi:[1,0]
	v_pk_add_f32 v[2:3], v[2:3], v[6:7]
	s_waitcnt vmcnt(3)
	v_pk_fma_f32 v[6:7], v[24:25], v[38:39], v[4:5] op_sel:[0,0,1] op_sel_hi:[1,1,0] neg_lo:[0,0,1] neg_hi:[0,0,1]
	v_pk_fma_f32 v[4:5], v[24:25], v[38:39], v[4:5] op_sel:[0,0,1] op_sel_hi:[1,0,0]
	s_waitcnt vmcnt(2)
	v_mov_b32_e32 v4, v41
	v_mov_b32_e32 v7, v5
	s_waitcnt lgkmcnt(0)
	v_pk_mul_f32 v[4:5], v[44:45], v[4:5] op_sel_hi:[1,0]
	v_pk_add_f32 v[2:3], v[2:3], v[6:7]
	v_pk_fma_f32 v[6:7], v[44:45], v[40:41], v[4:5] op_sel:[0,0,1] op_sel_hi:[1,1,0] neg_lo:[0,0,1] neg_hi:[0,0,1]
	v_pk_fma_f32 v[4:5], v[44:45], v[40:41], v[4:5] op_sel:[0,0,1] op_sel_hi:[1,0,0]
	v_mov_b32_e32 v7, v5
	v_pk_add_f32 v[2:3], v[2:3], v[6:7]
	s_waitcnt vmcnt(0)
	v_pk_add_f32 v[2:3], v[42:43], v[2:3] neg_lo:[0,1] neg_hi:[0,1]
	buffer_store_dword v3, off, s[0:3], 0 offset:372
	buffer_store_dword v2, off, s[0:3], 0 offset:368
	s_and_saveexec_b64 s[4:5], vcc
	s_cbranch_execz .LBB59_283
; %bb.282:
	buffer_load_dword v2, off, s[0:3], 0 offset:360
	buffer_load_dword v3, off, s[0:3], 0 offset:364
	s_waitcnt vmcnt(0)
	ds_write_b64 v195, v[2:3]
	buffer_store_dword v1, off, s[0:3], 0 offset:360
	buffer_store_dword v1, off, s[0:3], 0 offset:364
.LBB59_283:
	s_or_b64 exec, exec, s[4:5]
	s_waitcnt lgkmcnt(0)
	; wave barrier
	s_waitcnt lgkmcnt(0)
	buffer_load_dword v48, off, s[0:3], 0 offset:372
	buffer_load_dword v50, off, s[0:3], 0 offset:380
	;; [unrolled: 1-line block ×30, first 2 shown]
	ds_read_b128 v[2:5], v1 offset:848
	ds_read_b128 v[6:9], v1 offset:864
	;; [unrolled: 1-line block ×7, first 2 shown]
	v_cmp_lt_u32_e32 vcc, 44, v0
	s_waitcnt vmcnt(29) lgkmcnt(6)
	v_mul_f32_e32 v1, v2, v48
	v_mul_f32_e32 v48, v3, v48
	s_waitcnt vmcnt(27) lgkmcnt(5)
	v_mul_f32_e32 v64, v6, v52
	s_waitcnt vmcnt(26)
	v_mul_f32_e32 v65, v8, v53
	v_mul_f32_e32 v53, v9, v53
	v_mul_f32_e32 v66, v7, v52
	s_waitcnt vmcnt(23)
	v_mov_b32_e32 v52, v31
	v_mul_f32_e32 v63, v4, v50
	v_mul_f32_e32 v50, v5, v50
	s_waitcnt vmcnt(20)
	v_fmac_f32_e32 v1, v3, v57
	s_waitcnt vmcnt(19)
	v_fmac_f32_e32 v63, v5, v58
	v_add_f32_e32 v1, 0, v1
	s_waitcnt vmcnt(17)
	v_fma_f32 v53, v8, v60, -v53
	v_fmac_f32_e32 v65, v9, v60
	v_fma_f32 v9, v2, v57, -v48
	s_waitcnt lgkmcnt(3)
	v_pk_mul_f32 v[2:3], v[14:15], v[52:53] op_sel_hi:[1,0]
	v_fma_f32 v57, v4, v58, -v50
	v_add_f32_e32 v52, 0, v9
	s_waitcnt vmcnt(14)
	v_pk_fma_f32 v[8:9], v[14:15], v[30:31], v[2:3] op_sel:[0,0,1] op_sel_hi:[1,1,0] neg_lo:[0,0,1] neg_hi:[0,0,1]
	v_pk_fma_f32 v[2:3], v[14:15], v[30:31], v[2:3] op_sel:[0,0,1] op_sel_hi:[1,0,0]
	v_mul_f32_e32 v49, v10, v54
	v_mul_f32_e32 v51, v12, v55
	v_mul_f32_e32 v67, v11, v54
	v_mul_f32_e32 v55, v13, v55
	v_mov_b32_e32 v54, v33
	v_fmac_f32_e32 v64, v7, v59
	v_fma_f32 v58, v6, v59, -v66
	v_add_f32_e32 v1, v1, v63
	v_add_f32_e32 v2, v52, v57
	v_pk_mul_f32 v[4:5], v[16:17], v[54:55] op_sel_hi:[1,0]
	v_add_f32_e32 v1, v1, v64
	v_add_f32_e32 v2, v2, v58
	v_mov_b32_e32 v56, v35
	v_fmac_f32_e32 v49, v11, v61
	v_fma_f32 v48, v10, v61, -v67
	s_waitcnt vmcnt(10)
	v_pk_fma_f32 v[10:11], v[16:17], v[32:33], v[4:5] op_sel:[0,0,1] op_sel_hi:[1,1,0] neg_lo:[0,0,1] neg_hi:[0,0,1]
	v_pk_fma_f32 v[4:5], v[16:17], v[32:33], v[4:5] op_sel:[0,0,1] op_sel_hi:[1,0,0]
	v_mov_b32_e32 v9, v3
	v_add_f32_e32 v3, v1, v65
	v_add_f32_e32 v2, v2, v53
	v_fmac_f32_e32 v51, v13, v62
	v_fma_f32 v50, v12, v62, -v55
	s_waitcnt lgkmcnt(2)
	v_pk_mul_f32 v[6:7], v[18:19], v[56:57] op_sel_hi:[1,0]
	v_pk_add_f32 v[2:3], v[2:3], v[48:49]
	s_waitcnt vmcnt(9)
	v_mov_b32_e32 v4, v39
	v_pk_fma_f32 v[12:13], v[18:19], v[34:35], v[6:7] op_sel:[0,0,1] op_sel_hi:[1,1,0] neg_lo:[0,0,1] neg_hi:[0,0,1]
	v_pk_fma_f32 v[6:7], v[18:19], v[34:35], v[6:7] op_sel:[0,0,1] op_sel_hi:[1,0,0]
	v_mov_b32_e32 v11, v5
	v_pk_add_f32 v[2:3], v[2:3], v[50:51]
	v_pk_mul_f32 v[4:5], v[20:21], v[4:5] op_sel_hi:[1,0]
	v_mov_b32_e32 v13, v7
	v_pk_add_f32 v[2:3], v[2:3], v[8:9]
	v_pk_fma_f32 v[6:7], v[20:21], v[38:39], v[4:5] op_sel:[0,0,1] op_sel_hi:[1,1,0] neg_lo:[0,0,1] neg_hi:[0,0,1]
	v_pk_fma_f32 v[4:5], v[20:21], v[38:39], v[4:5] op_sel:[0,0,1] op_sel_hi:[1,0,0]
	v_pk_add_f32 v[2:3], v[2:3], v[10:11]
	s_waitcnt vmcnt(8)
	v_mov_b32_e32 v4, v37
	v_pk_add_f32 v[2:3], v[2:3], v[12:13]
	v_mov_b32_e32 v7, v5
	s_waitcnt lgkmcnt(1)
	v_pk_mul_f32 v[4:5], v[22:23], v[4:5] op_sel_hi:[1,0]
	v_pk_add_f32 v[2:3], v[2:3], v[6:7]
	v_pk_fma_f32 v[6:7], v[22:23], v[36:37], v[4:5] op_sel:[0,0,1] op_sel_hi:[1,1,0] neg_lo:[0,0,1] neg_hi:[0,0,1]
	v_pk_fma_f32 v[4:5], v[22:23], v[36:37], v[4:5] op_sel:[0,0,1] op_sel_hi:[1,0,0]
	s_waitcnt vmcnt(7)
	v_mov_b32_e32 v4, v41
	v_mov_b32_e32 v7, v5
	v_pk_mul_f32 v[4:5], v[24:25], v[4:5] op_sel_hi:[1,0]
	v_pk_add_f32 v[2:3], v[2:3], v[6:7]
	s_waitcnt vmcnt(4)
	v_pk_fma_f32 v[6:7], v[24:25], v[40:41], v[4:5] op_sel:[0,0,1] op_sel_hi:[1,1,0] neg_lo:[0,0,1] neg_hi:[0,0,1]
	v_pk_fma_f32 v[4:5], v[24:25], v[40:41], v[4:5] op_sel:[0,0,1] op_sel_hi:[1,0,0]
	s_waitcnt vmcnt(3)
	v_mov_b32_e32 v4, v45
	v_mov_b32_e32 v7, v5
	s_waitcnt lgkmcnt(0)
	v_pk_mul_f32 v[4:5], v[26:27], v[4:5] op_sel_hi:[1,0]
	v_pk_add_f32 v[2:3], v[2:3], v[6:7]
	v_pk_fma_f32 v[6:7], v[26:27], v[44:45], v[4:5] op_sel:[0,0,1] op_sel_hi:[1,1,0] neg_lo:[0,0,1] neg_hi:[0,0,1]
	v_pk_fma_f32 v[4:5], v[26:27], v[44:45], v[4:5] op_sel:[0,0,1] op_sel_hi:[1,0,0]
	s_waitcnt vmcnt(0)
	v_mov_b32_e32 v4, v43
	v_mov_b32_e32 v7, v5
	v_pk_mul_f32 v[4:5], v[28:29], v[4:5] op_sel_hi:[1,0]
	v_pk_add_f32 v[2:3], v[2:3], v[6:7]
	v_pk_fma_f32 v[6:7], v[28:29], v[42:43], v[4:5] op_sel:[0,0,1] op_sel_hi:[1,1,0] neg_lo:[0,0,1] neg_hi:[0,0,1]
	v_pk_fma_f32 v[4:5], v[28:29], v[42:43], v[4:5] op_sel:[0,0,1] op_sel_hi:[1,0,0]
	v_mov_b32_e32 v7, v5
	v_pk_add_f32 v[2:3], v[2:3], v[6:7]
	v_pk_add_f32 v[2:3], v[46:47], v[2:3] neg_lo:[0,1] neg_hi:[0,1]
	buffer_store_dword v3, off, s[0:3], 0 offset:364
	buffer_store_dword v2, off, s[0:3], 0 offset:360
	s_and_saveexec_b64 s[4:5], vcc
	s_cbranch_execz .LBB59_285
; %bb.284:
	buffer_load_dword v2, off, s[0:3], 0 offset:352
	buffer_load_dword v3, off, s[0:3], 0 offset:356
	v_mov_b32_e32 v1, 0
	buffer_store_dword v1, off, s[0:3], 0 offset:352
	buffer_store_dword v1, off, s[0:3], 0 offset:356
	s_waitcnt vmcnt(2)
	ds_write_b64 v195, v[2:3]
.LBB59_285:
	s_or_b64 exec, exec, s[4:5]
	s_waitcnt lgkmcnt(0)
	; wave barrier
	s_waitcnt lgkmcnt(0)
	buffer_load_dword v50, off, s[0:3], 0 offset:364
	buffer_load_dword v52, off, s[0:3], 0 offset:372
	;; [unrolled: 1-line block ×32, first 2 shown]
	v_mov_b32_e32 v1, 0
	ds_read2_b64 v[2:5], v1 offset0:105 offset1:106
	ds_read2_b64 v[6:9], v1 offset0:107 offset1:108
	;; [unrolled: 1-line block ×7, first 2 shown]
	ds_read_b64 v[48:49], v1 offset:952
	v_cmp_lt_u32_e32 vcc, 43, v0
	s_waitcnt vmcnt(31) lgkmcnt(7)
	v_mul_f32_e32 v66, v2, v50
	s_waitcnt vmcnt(30)
	v_mul_f32_e32 v67, v4, v52
	s_waitcnt vmcnt(29) lgkmcnt(6)
	v_mul_f32_e32 v68, v6, v54
	s_waitcnt vmcnt(28)
	v_mul_f32_e32 v69, v8, v55
	v_mul_f32_e32 v50, v3, v50
	;; [unrolled: 1-line block ×4, first 2 shown]
	s_waitcnt vmcnt(24)
	v_mov_b32_e32 v54, v31
	s_waitcnt lgkmcnt(5)
	v_mul_f32_e32 v70, v10, v56
	v_mul_f32_e32 v52, v5, v52
	;; [unrolled: 1-line block ×3, first 2 shown]
	s_waitcnt vmcnt(22)
	v_fmac_f32_e32 v66, v3, v59
	s_waitcnt vmcnt(21)
	v_fmac_f32_e32 v67, v5, v60
	v_fma_f32 v5, v2, v59, -v50
	s_waitcnt lgkmcnt(4)
	v_pk_mul_f32 v[2:3], v[16:17], v[54:55] op_sel_hi:[1,0]
	s_waitcnt vmcnt(20)
	v_fmac_f32_e32 v68, v7, v61
	s_waitcnt vmcnt(19)
	v_fmac_f32_e32 v69, v9, v62
	;; [unrolled: 2-line block ×3, first 2 shown]
	v_fma_f32 v7, v4, v60, -v52
	v_fma_f32 v9, v10, v63, -v72
	v_add_f32_e32 v10, 0, v66
	v_add_f32_e32 v11, 0, v5
	s_waitcnt vmcnt(12)
	v_pk_fma_f32 v[4:5], v[16:17], v[30:31], v[2:3] op_sel:[0,0,1] op_sel_hi:[1,1,0] neg_lo:[0,0,1] neg_hi:[0,0,1]
	v_pk_fma_f32 v[2:3], v[16:17], v[30:31], v[2:3] op_sel:[0,0,1] op_sel_hi:[1,0,0]
	v_fma_f32 v6, v6, v61, -v71
	v_add_f32_e32 v2, v10, v67
	v_add_f32_e32 v7, v11, v7
	v_fma_f32 v8, v8, v62, -v55
	v_mov_b32_e32 v5, v3
	v_add_f32_e32 v2, v2, v68
	v_add_f32_e32 v3, v7, v6
	v_mul_f32_e32 v51, v12, v57
	v_mul_f32_e32 v57, v13, v57
	v_add_f32_e32 v2, v2, v69
	v_add_f32_e32 v6, v3, v8
	v_mul_f32_e32 v53, v14, v58
	v_mul_f32_e32 v58, v15, v58
	v_fmac_f32_e32 v51, v13, v64
	v_fma_f32 v50, v12, v64, -v57
	v_add_f32_e32 v3, v2, v70
	v_add_f32_e32 v2, v6, v9
	v_fmac_f32_e32 v53, v15, v65
	v_fma_f32 v52, v14, v65, -v58
	v_pk_add_f32 v[2:3], v[2:3], v[50:51]
	v_mov_b32_e32 v56, v33
	v_pk_add_f32 v[2:3], v[2:3], v[52:53]
	v_pk_add_f32 v[2:3], v[2:3], v[4:5]
	s_waitcnt lgkmcnt(3)
	v_pk_mul_f32 v[4:5], v[18:19], v[56:57] op_sel_hi:[1,0]
	v_pk_fma_f32 v[6:7], v[18:19], v[32:33], v[4:5] op_sel:[0,0,1] op_sel_hi:[1,1,0] neg_lo:[0,0,1] neg_hi:[0,0,1]
	v_pk_fma_f32 v[4:5], v[18:19], v[32:33], v[4:5] op_sel:[0,0,1] op_sel_hi:[1,0,0]
	s_waitcnt vmcnt(11)
	v_mov_b32_e32 v4, v37
	v_mov_b32_e32 v7, v5
	v_pk_mul_f32 v[4:5], v[20:21], v[4:5] op_sel_hi:[1,0]
	v_pk_add_f32 v[2:3], v[2:3], v[6:7]
	v_pk_fma_f32 v[6:7], v[20:21], v[36:37], v[4:5] op_sel:[0,0,1] op_sel_hi:[1,1,0] neg_lo:[0,0,1] neg_hi:[0,0,1]
	v_pk_fma_f32 v[4:5], v[20:21], v[36:37], v[4:5] op_sel:[0,0,1] op_sel_hi:[1,0,0]
	s_waitcnt vmcnt(10)
	v_mov_b32_e32 v4, v35
	v_mov_b32_e32 v7, v5
	s_waitcnt lgkmcnt(2)
	v_pk_mul_f32 v[4:5], v[22:23], v[4:5] op_sel_hi:[1,0]
	v_pk_add_f32 v[2:3], v[2:3], v[6:7]
	v_pk_fma_f32 v[6:7], v[22:23], v[34:35], v[4:5] op_sel:[0,0,1] op_sel_hi:[1,1,0] neg_lo:[0,0,1] neg_hi:[0,0,1]
	v_pk_fma_f32 v[4:5], v[22:23], v[34:35], v[4:5] op_sel:[0,0,1] op_sel_hi:[1,0,0]
	s_waitcnt vmcnt(9)
	v_mov_b32_e32 v4, v39
	v_mov_b32_e32 v7, v5
	v_pk_mul_f32 v[4:5], v[24:25], v[4:5] op_sel_hi:[1,0]
	v_pk_add_f32 v[2:3], v[2:3], v[6:7]
	s_waitcnt vmcnt(4)
	v_pk_fma_f32 v[6:7], v[24:25], v[38:39], v[4:5] op_sel:[0,0,1] op_sel_hi:[1,1,0] neg_lo:[0,0,1] neg_hi:[0,0,1]
	v_pk_fma_f32 v[4:5], v[24:25], v[38:39], v[4:5] op_sel:[0,0,1] op_sel_hi:[1,0,0]
	v_mov_b32_e32 v4, v45
	v_mov_b32_e32 v7, v5
	s_waitcnt lgkmcnt(1)
	v_pk_mul_f32 v[4:5], v[26:27], v[4:5] op_sel_hi:[1,0]
	v_pk_add_f32 v[2:3], v[2:3], v[6:7]
	v_pk_fma_f32 v[6:7], v[26:27], v[44:45], v[4:5] op_sel:[0,0,1] op_sel_hi:[1,1,0] neg_lo:[0,0,1] neg_hi:[0,0,1]
	v_pk_fma_f32 v[4:5], v[26:27], v[44:45], v[4:5] op_sel:[0,0,1] op_sel_hi:[1,0,0]
	s_waitcnt vmcnt(3)
	v_mov_b32_e32 v4, v43
	v_mov_b32_e32 v7, v5
	v_pk_mul_f32 v[4:5], v[28:29], v[4:5] op_sel_hi:[1,0]
	v_pk_add_f32 v[2:3], v[2:3], v[6:7]
	v_pk_fma_f32 v[6:7], v[28:29], v[42:43], v[4:5] op_sel:[0,0,1] op_sel_hi:[1,1,0] neg_lo:[0,0,1] neg_hi:[0,0,1]
	v_pk_fma_f32 v[4:5], v[28:29], v[42:43], v[4:5] op_sel:[0,0,1] op_sel_hi:[1,0,0]
	s_waitcnt vmcnt(0)
	v_mov_b32_e32 v4, v41
	v_mov_b32_e32 v7, v5
	s_waitcnt lgkmcnt(0)
	v_pk_mul_f32 v[4:5], v[48:49], v[4:5] op_sel_hi:[1,0]
	v_pk_add_f32 v[2:3], v[2:3], v[6:7]
	v_pk_fma_f32 v[6:7], v[48:49], v[40:41], v[4:5] op_sel:[0,0,1] op_sel_hi:[1,1,0] neg_lo:[0,0,1] neg_hi:[0,0,1]
	v_pk_fma_f32 v[4:5], v[48:49], v[40:41], v[4:5] op_sel:[0,0,1] op_sel_hi:[1,0,0]
	v_mov_b32_e32 v7, v5
	v_pk_add_f32 v[2:3], v[2:3], v[6:7]
	v_pk_add_f32 v[2:3], v[46:47], v[2:3] neg_lo:[0,1] neg_hi:[0,1]
	buffer_store_dword v3, off, s[0:3], 0 offset:356
	buffer_store_dword v2, off, s[0:3], 0 offset:352
	s_and_saveexec_b64 s[4:5], vcc
	s_cbranch_execz .LBB59_287
; %bb.286:
	buffer_load_dword v2, off, s[0:3], 0 offset:344
	buffer_load_dword v3, off, s[0:3], 0 offset:348
	s_waitcnt vmcnt(0)
	ds_write_b64 v195, v[2:3]
	buffer_store_dword v1, off, s[0:3], 0 offset:344
	buffer_store_dword v1, off, s[0:3], 0 offset:348
.LBB59_287:
	s_or_b64 exec, exec, s[4:5]
	s_waitcnt lgkmcnt(0)
	; wave barrier
	s_waitcnt lgkmcnt(0)
	buffer_load_dword v52, off, s[0:3], 0 offset:356
	buffer_load_dword v54, off, s[0:3], 0 offset:364
	buffer_load_dword v56, off, s[0:3], 0 offset:372
	buffer_load_dword v57, off, s[0:3], 0 offset:380
	buffer_load_dword v58, off, s[0:3], 0 offset:388
	buffer_load_dword v59, off, s[0:3], 0 offset:396
	buffer_load_dword v60, off, s[0:3], 0 offset:404
	buffer_load_dword v61, off, s[0:3], 0 offset:412
	buffer_load_dword v62, off, s[0:3], 0 offset:352
	buffer_load_dword v63, off, s[0:3], 0 offset:360
	buffer_load_dword v64, off, s[0:3], 0 offset:368
	buffer_load_dword v65, off, s[0:3], 0 offset:376
	buffer_load_dword v66, off, s[0:3], 0 offset:384
	buffer_load_dword v67, off, s[0:3], 0 offset:392
	buffer_load_dword v68, off, s[0:3], 0 offset:400
	buffer_load_dword v69, off, s[0:3], 0 offset:408
	buffer_load_dword v35, off, s[0:3], 0 offset:420
	buffer_load_dword v36, off, s[0:3], 0 offset:432
	buffer_load_dword v38, off, s[0:3], 0 offset:424
	buffer_load_dword v34, off, s[0:3], 0 offset:416
	buffer_load_dword v39, off, s[0:3], 0 offset:428
	buffer_load_dword v37, off, s[0:3], 0 offset:436
	buffer_load_dword v41, off, s[0:3], 0 offset:444
	buffer_load_dword v42, off, s[0:3], 0 offset:464
	buffer_load_dword v45, off, s[0:3], 0 offset:460
	buffer_load_dword v44, off, s[0:3], 0 offset:456
	buffer_load_dword v47, off, s[0:3], 0 offset:452
	buffer_load_dword v46, off, s[0:3], 0 offset:448
	buffer_load_dword v40, off, s[0:3], 0 offset:440
	buffer_load_dword v48, off, s[0:3], 0 offset:344
	buffer_load_dword v49, off, s[0:3], 0 offset:348
	buffer_load_dword v43, off, s[0:3], 0 offset:468
	ds_read_b128 v[2:5], v1 offset:832
	ds_read_b128 v[6:9], v1 offset:848
	;; [unrolled: 1-line block ×4, first 2 shown]
	buffer_load_dword v51, off, s[0:3], 0 offset:476
	buffer_load_dword v50, off, s[0:3], 0 offset:472
	ds_read_b128 v[18:21], v1 offset:896
	ds_read_b128 v[22:25], v1 offset:912
	;; [unrolled: 1-line block ×4, first 2 shown]
	v_cmp_lt_u32_e32 vcc, 42, v0
	s_waitcnt vmcnt(33) lgkmcnt(7)
	v_mul_f32_e32 v1, v2, v52
	v_mul_f32_e32 v52, v3, v52
	s_waitcnt vmcnt(32)
	v_mul_f32_e32 v70, v4, v54
	v_mul_f32_e32 v54, v5, v54
	s_waitcnt vmcnt(31) lgkmcnt(6)
	v_mul_f32_e32 v71, v6, v56
	v_mul_f32_e32 v56, v7, v56
	s_waitcnt vmcnt(30)
	v_mul_f32_e32 v72, v8, v57
	v_mul_f32_e32 v57, v9, v57
	s_waitcnt vmcnt(25)
	v_fmac_f32_e32 v1, v3, v62
	v_fma_f32 v2, v2, v62, -v52
	s_waitcnt vmcnt(24)
	v_fmac_f32_e32 v70, v5, v63
	v_fma_f32 v3, v4, v63, -v54
	v_add_f32_e32 v1, 0, v1
	v_add_f32_e32 v2, 0, v2
	s_waitcnt vmcnt(23)
	v_fmac_f32_e32 v71, v7, v64
	v_fma_f32 v4, v6, v64, -v56
	v_add_f32_e32 v1, v1, v70
	v_add_f32_e32 v2, v2, v3
	s_waitcnt lgkmcnt(5)
	v_mul_f32_e32 v73, v10, v58
	v_mul_f32_e32 v58, v11, v58
	s_waitcnt vmcnt(22)
	v_fmac_f32_e32 v72, v9, v65
	v_fma_f32 v5, v8, v65, -v57
	v_add_f32_e32 v1, v1, v71
	v_add_f32_e32 v2, v2, v4
	v_mul_f32_e32 v74, v12, v59
	v_mul_f32_e32 v59, v13, v59
	s_waitcnt vmcnt(21)
	v_fmac_f32_e32 v73, v11, v66
	v_fma_f32 v6, v10, v66, -v58
	v_add_f32_e32 v1, v1, v72
	v_add_f32_e32 v2, v2, v5
	s_waitcnt vmcnt(17)
	v_mov_b32_e32 v4, v35
	s_waitcnt lgkmcnt(4)
	v_mul_f32_e32 v53, v14, v60
	v_mul_f32_e32 v60, v15, v60
	v_fmac_f32_e32 v74, v13, v67
	v_fma_f32 v7, v12, v67, -v59
	v_add_f32_e32 v1, v1, v73
	v_add_f32_e32 v2, v2, v6
	s_waitcnt lgkmcnt(3)
	v_pk_mul_f32 v[4:5], v[18:19], v[4:5] op_sel_hi:[1,0]
	v_mul_f32_e32 v55, v16, v61
	v_mul_f32_e32 v61, v17, v61
	v_fmac_f32_e32 v53, v15, v68
	v_fma_f32 v52, v14, v68, -v60
	v_add_f32_e32 v3, v1, v74
	v_add_f32_e32 v2, v2, v7
	s_waitcnt vmcnt(14)
	v_pk_fma_f32 v[6:7], v[18:19], v[34:35], v[4:5] op_sel:[0,0,1] op_sel_hi:[1,1,0] neg_lo:[0,0,1] neg_hi:[0,0,1]
	v_pk_fma_f32 v[4:5], v[18:19], v[34:35], v[4:5] op_sel:[0,0,1] op_sel_hi:[1,0,0]
	v_fmac_f32_e32 v55, v17, v69
	v_fma_f32 v54, v16, v69, -v61
	v_pk_add_f32 v[2:3], v[2:3], v[52:53]
	s_waitcnt vmcnt(13)
	v_mov_b32_e32 v4, v39
	v_pk_add_f32 v[2:3], v[2:3], v[54:55]
	v_mov_b32_e32 v7, v5
	v_pk_mul_f32 v[4:5], v[20:21], v[4:5] op_sel_hi:[1,0]
	v_pk_add_f32 v[2:3], v[2:3], v[6:7]
	v_pk_fma_f32 v[6:7], v[20:21], v[38:39], v[4:5] op_sel:[0,0,1] op_sel_hi:[1,1,0] neg_lo:[0,0,1] neg_hi:[0,0,1]
	v_pk_fma_f32 v[4:5], v[20:21], v[38:39], v[4:5] op_sel:[0,0,1] op_sel_hi:[1,0,0]
	s_waitcnt vmcnt(12)
	v_mov_b32_e32 v4, v37
	v_mov_b32_e32 v7, v5
	s_waitcnt lgkmcnt(2)
	v_pk_mul_f32 v[4:5], v[22:23], v[4:5] op_sel_hi:[1,0]
	v_pk_add_f32 v[2:3], v[2:3], v[6:7]
	v_pk_fma_f32 v[6:7], v[22:23], v[36:37], v[4:5] op_sel:[0,0,1] op_sel_hi:[1,1,0] neg_lo:[0,0,1] neg_hi:[0,0,1]
	v_pk_fma_f32 v[4:5], v[22:23], v[36:37], v[4:5] op_sel:[0,0,1] op_sel_hi:[1,0,0]
	s_waitcnt vmcnt(11)
	v_mov_b32_e32 v4, v41
	v_mov_b32_e32 v7, v5
	v_pk_mul_f32 v[4:5], v[24:25], v[4:5] op_sel_hi:[1,0]
	v_pk_add_f32 v[2:3], v[2:3], v[6:7]
	s_waitcnt vmcnt(5)
	v_pk_fma_f32 v[6:7], v[24:25], v[40:41], v[4:5] op_sel:[0,0,1] op_sel_hi:[1,1,0] neg_lo:[0,0,1] neg_hi:[0,0,1]
	v_pk_fma_f32 v[4:5], v[24:25], v[40:41], v[4:5] op_sel:[0,0,1] op_sel_hi:[1,0,0]
	v_mov_b32_e32 v4, v47
	v_mov_b32_e32 v7, v5
	s_waitcnt lgkmcnt(1)
	v_pk_mul_f32 v[4:5], v[26:27], v[4:5] op_sel_hi:[1,0]
	v_pk_add_f32 v[2:3], v[2:3], v[6:7]
	v_pk_fma_f32 v[6:7], v[26:27], v[46:47], v[4:5] op_sel:[0,0,1] op_sel_hi:[1,1,0] neg_lo:[0,0,1] neg_hi:[0,0,1]
	v_pk_fma_f32 v[4:5], v[26:27], v[46:47], v[4:5] op_sel:[0,0,1] op_sel_hi:[1,0,0]
	v_mov_b32_e32 v4, v45
	v_mov_b32_e32 v7, v5
	v_pk_mul_f32 v[4:5], v[28:29], v[4:5] op_sel_hi:[1,0]
	v_pk_add_f32 v[2:3], v[2:3], v[6:7]
	v_pk_fma_f32 v[6:7], v[28:29], v[44:45], v[4:5] op_sel:[0,0,1] op_sel_hi:[1,1,0] neg_lo:[0,0,1] neg_hi:[0,0,1]
	v_pk_fma_f32 v[4:5], v[28:29], v[44:45], v[4:5] op_sel:[0,0,1] op_sel_hi:[1,0,0]
	s_waitcnt vmcnt(2)
	v_mov_b32_e32 v4, v43
	v_mov_b32_e32 v7, v5
	s_waitcnt lgkmcnt(0)
	v_pk_mul_f32 v[4:5], v[30:31], v[4:5] op_sel_hi:[1,0]
	v_pk_add_f32 v[2:3], v[2:3], v[6:7]
	v_pk_fma_f32 v[6:7], v[30:31], v[42:43], v[4:5] op_sel:[0,0,1] op_sel_hi:[1,1,0] neg_lo:[0,0,1] neg_hi:[0,0,1]
	v_pk_fma_f32 v[4:5], v[30:31], v[42:43], v[4:5] op_sel:[0,0,1] op_sel_hi:[1,0,0]
	s_waitcnt vmcnt(1)
	v_mov_b32_e32 v4, v51
	v_mov_b32_e32 v7, v5
	v_pk_mul_f32 v[4:5], v[32:33], v[4:5] op_sel_hi:[1,0]
	v_pk_add_f32 v[2:3], v[2:3], v[6:7]
	s_waitcnt vmcnt(0)
	v_pk_fma_f32 v[6:7], v[32:33], v[50:51], v[4:5] op_sel:[0,0,1] op_sel_hi:[1,1,0] neg_lo:[0,0,1] neg_hi:[0,0,1]
	v_pk_fma_f32 v[4:5], v[32:33], v[50:51], v[4:5] op_sel:[0,0,1] op_sel_hi:[1,0,0]
	v_mov_b32_e32 v7, v5
	v_pk_add_f32 v[2:3], v[2:3], v[6:7]
	v_pk_add_f32 v[2:3], v[48:49], v[2:3] neg_lo:[0,1] neg_hi:[0,1]
	buffer_store_dword v3, off, s[0:3], 0 offset:348
	buffer_store_dword v2, off, s[0:3], 0 offset:344
	s_and_saveexec_b64 s[4:5], vcc
	s_cbranch_execz .LBB59_289
; %bb.288:
	buffer_load_dword v2, off, s[0:3], 0 offset:336
	buffer_load_dword v3, off, s[0:3], 0 offset:340
	v_mov_b32_e32 v1, 0
	buffer_store_dword v1, off, s[0:3], 0 offset:336
	buffer_store_dword v1, off, s[0:3], 0 offset:340
	s_waitcnt vmcnt(2)
	ds_write_b64 v195, v[2:3]
.LBB59_289:
	s_or_b64 exec, exec, s[4:5]
	s_waitcnt lgkmcnt(0)
	; wave barrier
	s_waitcnt lgkmcnt(0)
	buffer_load_dword v44, off, s[0:3], 0 offset:348
	buffer_load_dword v46, off, s[0:3], 0 offset:356
	;; [unrolled: 1-line block ×36, first 2 shown]
	v_mov_b32_e32 v1, 0
	ds_read2_b64 v[2:5], v1 offset0:103 offset1:104
	ds_read2_b64 v[6:9], v1 offset0:105 offset1:106
	ds_read2_b64 v[10:13], v1 offset0:107 offset1:108
	ds_read2_b64 v[14:17], v1 offset0:109 offset1:110
	ds_read2_b64 v[18:21], v1 offset0:111 offset1:112
	ds_read2_b64 v[22:25], v1 offset0:113 offset1:114
	v_cmp_lt_u32_e32 vcc, 41, v0
	s_waitcnt vmcnt(35) lgkmcnt(5)
	v_mul_f32_e32 v64, v2, v44
	s_waitcnt vmcnt(34)
	v_mul_f32_e32 v65, v4, v46
	v_mul_f32_e32 v44, v3, v44
	s_waitcnt vmcnt(32) lgkmcnt(4)
	v_mul_f32_e32 v67, v8, v49
	v_mul_f32_e32 v49, v9, v49
	;; [unrolled: 1-line block ×5, first 2 shown]
	s_waitcnt vmcnt(31) lgkmcnt(3)
	v_mul_f32_e32 v68, v10, v50
	s_waitcnt vmcnt(26)
	v_fmac_f32_e32 v64, v3, v55
	s_waitcnt vmcnt(25)
	v_fmac_f32_e32 v65, v5, v56
	v_fma_f32 v2, v2, v55, -v44
	s_waitcnt vmcnt(23)
	v_fma_f32 v5, v8, v58, -v49
	v_add_f32_e32 v8, 0, v64
	v_fmac_f32_e32 v66, v7, v57
	v_fma_f32 v3, v4, v56, -v46
	v_add_f32_e32 v2, 0, v2
	v_add_f32_e32 v8, v8, v65
	v_fmac_f32_e32 v67, v9, v58
	v_fma_f32 v4, v6, v57, -v48
	v_add_f32_e32 v2, v2, v3
	v_add_f32_e32 v3, v8, v66
	v_mul_f32_e32 v69, v12, v51
	v_mul_f32_e32 v50, v11, v50
	s_waitcnt vmcnt(22)
	v_fmac_f32_e32 v68, v11, v59
	v_add_f32_e32 v2, v2, v4
	v_add_f32_e32 v3, v3, v67
	s_waitcnt lgkmcnt(2)
	v_mul_f32_e32 v70, v14, v52
	v_mul_f32_e32 v51, v13, v51
	s_waitcnt vmcnt(21)
	v_fmac_f32_e32 v69, v13, v60
	v_fma_f32 v6, v10, v59, -v50
	v_add_f32_e32 v2, v2, v5
	v_add_f32_e32 v3, v3, v68
	v_mul_f32_e32 v52, v15, v52
	s_waitcnt vmcnt(20)
	v_fmac_f32_e32 v70, v15, v61
	v_fma_f32 v7, v12, v60, -v51
	v_add_f32_e32 v2, v2, v6
	v_add_f32_e32 v3, v3, v69
	;; [unrolled: 1-line block ×4, first 2 shown]
	v_fma_f32 v3, v14, v61, -v52
	s_waitcnt vmcnt(17)
	v_mov_b32_e32 v14, v27
	v_mul_f32_e32 v45, v16, v53
	v_add_f32_e32 v10, v2, v3
	v_mul_f32_e32 v2, v17, v53
	s_waitcnt lgkmcnt(1)
	v_pk_mul_f32 v[14:15], v[20:21], v[14:15] op_sel_hi:[1,0]
	v_mul_f32_e32 v47, v18, v54
	v_fmac_f32_e32 v45, v17, v62
	v_fma_f32 v44, v16, v62, -v2
	v_mul_f32_e32 v2, v19, v54
	s_waitcnt vmcnt(15)
	v_pk_fma_f32 v[16:17], v[20:21], v[26:27], v[14:15] op_sel:[0,0,1] op_sel_hi:[1,1,0] neg_lo:[0,0,1] neg_hi:[0,0,1]
	v_pk_fma_f32 v[14:15], v[20:21], v[26:27], v[14:15] op_sel:[0,0,1] op_sel_hi:[1,0,0]
	v_fmac_f32_e32 v47, v19, v63
	v_fma_f32 v46, v18, v63, -v2
	v_pk_add_f32 v[10:11], v[10:11], v[44:45]
	s_waitcnt vmcnt(12)
	v_mov_b32_e32 v14, v29
	v_pk_add_f32 v[10:11], v[10:11], v[46:47]
	v_mov_b32_e32 v17, v15
	s_waitcnt lgkmcnt(0)
	v_pk_mul_f32 v[14:15], v[22:23], v[14:15] op_sel_hi:[1,0]
	v_pk_add_f32 v[10:11], v[10:11], v[16:17]
	v_pk_fma_f32 v[16:17], v[22:23], v[28:29], v[14:15] op_sel:[0,0,1] op_sel_hi:[1,1,0] neg_lo:[0,0,1] neg_hi:[0,0,1]
	v_pk_fma_f32 v[14:15], v[22:23], v[28:29], v[14:15] op_sel:[0,0,1] op_sel_hi:[1,0,0]
	s_waitcnt vmcnt(11)
	v_mov_b32_e32 v14, v33
	ds_read2_b64 v[2:5], v1 offset0:115 offset1:116
	ds_read2_b64 v[6:9], v1 offset0:117 offset1:118
	ds_read_b64 v[12:13], v1 offset:952
	v_mov_b32_e32 v17, v15
	v_pk_mul_f32 v[14:15], v[24:25], v[14:15] op_sel_hi:[1,0]
	v_pk_add_f32 v[10:11], v[10:11], v[16:17]
	s_waitcnt vmcnt(4)
	v_pk_fma_f32 v[16:17], v[24:25], v[32:33], v[14:15] op_sel:[0,0,1] op_sel_hi:[1,1,0] neg_lo:[0,0,1] neg_hi:[0,0,1]
	v_pk_fma_f32 v[14:15], v[24:25], v[32:33], v[14:15] op_sel:[0,0,1] op_sel_hi:[1,0,0]
	v_mov_b32_e32 v14, v39
	v_mov_b32_e32 v17, v15
	s_waitcnt lgkmcnt(2)
	v_pk_mul_f32 v[14:15], v[2:3], v[14:15] op_sel_hi:[1,0]
	v_pk_add_f32 v[10:11], v[10:11], v[16:17]
	v_pk_fma_f32 v[16:17], v[2:3], v[38:39], v[14:15] op_sel:[0,0,1] op_sel_hi:[1,1,0] neg_lo:[0,0,1] neg_hi:[0,0,1]
	v_pk_fma_f32 v[2:3], v[2:3], v[38:39], v[14:15] op_sel:[0,0,1] op_sel_hi:[1,0,0]
	v_mov_b32_e32 v17, v3
	v_pk_add_f32 v[2:3], v[10:11], v[16:17]
	v_mov_b32_e32 v10, v37
	v_pk_mul_f32 v[10:11], v[4:5], v[10:11] op_sel_hi:[1,0]
	v_pk_fma_f32 v[14:15], v[4:5], v[36:37], v[10:11] op_sel:[0,0,1] op_sel_hi:[1,1,0] neg_lo:[0,0,1] neg_hi:[0,0,1]
	v_pk_fma_f32 v[4:5], v[4:5], v[36:37], v[10:11] op_sel:[0,0,1] op_sel_hi:[1,0,0]
	v_mov_b32_e32 v4, v35
	v_mov_b32_e32 v15, v5
	s_waitcnt lgkmcnt(1)
	v_pk_mul_f32 v[4:5], v[6:7], v[4:5] op_sel_hi:[1,0]
	v_pk_fma_f32 v[10:11], v[6:7], v[34:35], v[4:5] op_sel:[0,0,1] op_sel_hi:[1,1,0] neg_lo:[0,0,1] neg_hi:[0,0,1]
	v_pk_fma_f32 v[4:5], v[6:7], v[34:35], v[4:5] op_sel:[0,0,1] op_sel_hi:[1,0,0]
	s_waitcnt vmcnt(1)
	v_mov_b32_e32 v4, v43
	v_mov_b32_e32 v11, v5
	v_pk_mul_f32 v[4:5], v[8:9], v[4:5] op_sel_hi:[1,0]
	s_waitcnt vmcnt(0)
	v_pk_fma_f32 v[6:7], v[8:9], v[42:43], v[4:5] op_sel:[0,0,1] op_sel_hi:[1,1,0] neg_lo:[0,0,1] neg_hi:[0,0,1]
	v_pk_fma_f32 v[4:5], v[8:9], v[42:43], v[4:5] op_sel:[0,0,1] op_sel_hi:[1,0,0]
	v_pk_add_f32 v[2:3], v[2:3], v[14:15]
	v_mov_b32_e32 v4, v41
	v_pk_add_f32 v[2:3], v[2:3], v[10:11]
	v_mov_b32_e32 v7, v5
	s_waitcnt lgkmcnt(0)
	v_pk_mul_f32 v[4:5], v[12:13], v[4:5] op_sel_hi:[1,0]
	v_pk_add_f32 v[2:3], v[2:3], v[6:7]
	v_pk_fma_f32 v[6:7], v[12:13], v[40:41], v[4:5] op_sel:[0,0,1] op_sel_hi:[1,1,0] neg_lo:[0,0,1] neg_hi:[0,0,1]
	v_pk_fma_f32 v[4:5], v[12:13], v[40:41], v[4:5] op_sel:[0,0,1] op_sel_hi:[1,0,0]
	v_mov_b32_e32 v7, v5
	v_pk_add_f32 v[2:3], v[2:3], v[6:7]
	v_pk_add_f32 v[2:3], v[30:31], v[2:3] neg_lo:[0,1] neg_hi:[0,1]
	buffer_store_dword v3, off, s[0:3], 0 offset:340
	buffer_store_dword v2, off, s[0:3], 0 offset:336
	s_and_saveexec_b64 s[4:5], vcc
	s_cbranch_execz .LBB59_291
; %bb.290:
	buffer_load_dword v2, off, s[0:3], 0 offset:328
	buffer_load_dword v3, off, s[0:3], 0 offset:332
	s_waitcnt vmcnt(0)
	ds_write_b64 v195, v[2:3]
	buffer_store_dword v1, off, s[0:3], 0 offset:328
	buffer_store_dword v1, off, s[0:3], 0 offset:332
.LBB59_291:
	s_or_b64 exec, exec, s[4:5]
	s_waitcnt lgkmcnt(0)
	; wave barrier
	s_waitcnt lgkmcnt(0)
	buffer_load_dword v44, off, s[0:3], 0 offset:340
	buffer_load_dword v46, off, s[0:3], 0 offset:348
	buffer_load_dword v48, off, s[0:3], 0 offset:356
	buffer_load_dword v49, off, s[0:3], 0 offset:364
	buffer_load_dword v50, off, s[0:3], 0 offset:372
	buffer_load_dword v51, off, s[0:3], 0 offset:380
	buffer_load_dword v52, off, s[0:3], 0 offset:388
	buffer_load_dword v53, off, s[0:3], 0 offset:396
	buffer_load_dword v54, off, s[0:3], 0 offset:404
	buffer_load_dword v55, off, s[0:3], 0 offset:412
	buffer_load_dword v56, off, s[0:3], 0 offset:336
	buffer_load_dword v57, off, s[0:3], 0 offset:344
	buffer_load_dword v58, off, s[0:3], 0 offset:352
	buffer_load_dword v59, off, s[0:3], 0 offset:360
	buffer_load_dword v60, off, s[0:3], 0 offset:368
	buffer_load_dword v61, off, s[0:3], 0 offset:376
	buffer_load_dword v62, off, s[0:3], 0 offset:384
	buffer_load_dword v63, off, s[0:3], 0 offset:392
	buffer_load_dword v64, off, s[0:3], 0 offset:400
	buffer_load_dword v65, off, s[0:3], 0 offset:408
	buffer_load_dword v26, off, s[0:3], 0 offset:328
	buffer_load_dword v27, off, s[0:3], 0 offset:332
	ds_read_b128 v[2:5], v1 offset:816
	ds_read_b128 v[6:9], v1 offset:832
	buffer_load_dword v29, off, s[0:3], 0 offset:420
	buffer_load_dword v28, off, s[0:3], 0 offset:416
	;; [unrolled: 1-line block ×10, first 2 shown]
	ds_read_b128 v[10:13], v1 offset:848
	ds_read_b128 v[14:17], v1 offset:864
	;; [unrolled: 1-line block ×4, first 2 shown]
	buffer_load_dword v39, off, s[0:3], 0 offset:476
	buffer_load_dword v38, off, s[0:3], 0 offset:472
	;; [unrolled: 1-line block ×6, first 2 shown]
	v_cmp_lt_u32_e32 vcc, 40, v0
	s_waitcnt vmcnt(37) lgkmcnt(5)
	v_mul_f32_e32 v66, v2, v44
	s_waitcnt vmcnt(36)
	v_mul_f32_e32 v67, v4, v46
	s_waitcnt vmcnt(35) lgkmcnt(4)
	v_mul_f32_e32 v68, v6, v48
	v_mul_f32_e32 v44, v3, v44
	;; [unrolled: 1-line block ×4, first 2 shown]
	s_waitcnt vmcnt(34)
	v_mul_f32_e32 v69, v8, v49
	s_waitcnt vmcnt(33) lgkmcnt(3)
	v_mul_f32_e32 v70, v10, v50
	s_waitcnt vmcnt(32)
	v_mul_f32_e32 v71, v12, v51
	s_waitcnt vmcnt(31) lgkmcnt(2)
	v_mul_f32_e32 v72, v14, v52
	s_waitcnt vmcnt(27)
	v_fmac_f32_e32 v66, v3, v56
	s_waitcnt vmcnt(26)
	v_fmac_f32_e32 v67, v5, v57
	;; [unrolled: 2-line block ×3, first 2 shown]
	v_fma_f32 v2, v2, v56, -v44
	v_add_f32_e32 v7, 0, v66
	v_fma_f32 v3, v4, v57, -v46
	v_add_f32_e32 v2, 0, v2
	v_add_f32_e32 v7, v7, v67
	s_waitcnt vmcnt(24)
	v_fmac_f32_e32 v69, v9, v59
	v_add_f32_e32 v2, v2, v3
	v_add_f32_e32 v3, v7, v68
	s_waitcnt vmcnt(23)
	v_fmac_f32_e32 v70, v11, v60
	v_add_f32_e32 v3, v3, v69
	v_mul_f32_e32 v49, v9, v49
	s_waitcnt vmcnt(22)
	v_fmac_f32_e32 v71, v13, v61
	v_fma_f32 v4, v6, v58, -v48
	v_add_f32_e32 v3, v3, v70
	v_mul_f32_e32 v73, v16, v53
	v_mul_f32_e32 v50, v11, v50
	s_waitcnt vmcnt(21)
	v_fmac_f32_e32 v72, v15, v62
	v_fma_f32 v5, v8, v59, -v49
	v_add_f32_e32 v2, v2, v4
	v_add_f32_e32 v3, v3, v71
	v_mul_f32_e32 v51, v13, v51
	s_waitcnt vmcnt(20)
	v_fmac_f32_e32 v73, v17, v63
	v_fma_f32 v6, v10, v60, -v50
	v_add_f32_e32 v2, v2, v5
	v_add_f32_e32 v3, v3, v72
	;; [unrolled: 1-line block ×4, first 2 shown]
	v_fma_f32 v3, v12, v61, -v51
	v_add_f32_e32 v2, v2, v3
	v_mul_f32_e32 v3, v15, v52
	v_fma_f32 v3, v14, v62, -v3
	v_add_f32_e32 v2, v2, v3
	v_mul_f32_e32 v3, v17, v53
	v_fma_f32 v3, v16, v63, -v3
	s_waitcnt vmcnt(15)
	v_mov_b32_e32 v16, v29
	s_waitcnt lgkmcnt(1)
	v_mul_f32_e32 v45, v18, v54
	v_add_f32_e32 v48, v2, v3
	v_mul_f32_e32 v2, v19, v54
	s_waitcnt lgkmcnt(0)
	v_pk_mul_f32 v[16:17], v[22:23], v[16:17] op_sel_hi:[1,0]
	v_mul_f32_e32 v47, v20, v55
	v_fmac_f32_e32 v45, v19, v64
	v_fma_f32 v44, v18, v64, -v2
	v_mul_f32_e32 v2, v21, v55
	s_waitcnt vmcnt(14)
	v_pk_fma_f32 v[18:19], v[22:23], v[28:29], v[16:17] op_sel:[0,0,1] op_sel_hi:[1,1,0] neg_lo:[0,0,1] neg_hi:[0,0,1]
	v_pk_fma_f32 v[16:17], v[22:23], v[28:29], v[16:17] op_sel:[0,0,1] op_sel_hi:[1,0,0]
	v_fmac_f32_e32 v47, v21, v65
	v_fma_f32 v46, v20, v65, -v2
	v_pk_add_f32 v[14:15], v[48:49], v[44:45]
	s_waitcnt vmcnt(13)
	v_mov_b32_e32 v16, v31
	ds_read_b128 v[2:5], v1 offset:912
	ds_read_b128 v[6:9], v1 offset:928
	;; [unrolled: 1-line block ×3, first 2 shown]
	v_pk_add_f32 v[14:15], v[14:15], v[46:47]
	v_mov_b32_e32 v19, v17
	v_pk_mul_f32 v[16:17], v[24:25], v[16:17] op_sel_hi:[1,0]
	v_pk_add_f32 v[14:15], v[14:15], v[18:19]
	s_waitcnt vmcnt(6)
	v_pk_fma_f32 v[18:19], v[24:25], v[30:31], v[16:17] op_sel:[0,0,1] op_sel_hi:[1,1,0] neg_lo:[0,0,1] neg_hi:[0,0,1]
	v_pk_fma_f32 v[16:17], v[24:25], v[30:31], v[16:17] op_sel:[0,0,1] op_sel_hi:[1,0,0]
	v_mov_b32_e32 v16, v37
	v_mov_b32_e32 v19, v17
	s_waitcnt lgkmcnt(2)
	v_pk_mul_f32 v[16:17], v[2:3], v[16:17] op_sel_hi:[1,0]
	v_pk_add_f32 v[14:15], v[14:15], v[18:19]
	v_pk_fma_f32 v[18:19], v[2:3], v[36:37], v[16:17] op_sel:[0,0,1] op_sel_hi:[1,1,0] neg_lo:[0,0,1] neg_hi:[0,0,1]
	v_pk_fma_f32 v[2:3], v[2:3], v[36:37], v[16:17] op_sel:[0,0,1] op_sel_hi:[1,0,0]
	v_mov_b32_e32 v19, v3
	v_pk_add_f32 v[2:3], v[14:15], v[18:19]
	v_mov_b32_e32 v14, v35
	v_pk_mul_f32 v[14:15], v[4:5], v[14:15] op_sel_hi:[1,0]
	v_pk_fma_f32 v[16:17], v[4:5], v[34:35], v[14:15] op_sel:[0,0,1] op_sel_hi:[1,1,0] neg_lo:[0,0,1] neg_hi:[0,0,1]
	v_pk_fma_f32 v[4:5], v[4:5], v[34:35], v[14:15] op_sel:[0,0,1] op_sel_hi:[1,0,0]
	v_mov_b32_e32 v4, v33
	v_mov_b32_e32 v17, v5
	s_waitcnt lgkmcnt(1)
	v_pk_mul_f32 v[4:5], v[6:7], v[4:5] op_sel_hi:[1,0]
	v_pk_fma_f32 v[14:15], v[6:7], v[32:33], v[4:5] op_sel:[0,0,1] op_sel_hi:[1,1,0] neg_lo:[0,0,1] neg_hi:[0,0,1]
	v_pk_fma_f32 v[4:5], v[6:7], v[32:33], v[4:5] op_sel:[0,0,1] op_sel_hi:[1,0,0]
	s_waitcnt vmcnt(1)
	v_mov_b32_e32 v4, v43
	v_mov_b32_e32 v15, v5
	v_pk_mul_f32 v[4:5], v[8:9], v[4:5] op_sel_hi:[1,0]
	s_waitcnt vmcnt(0)
	v_pk_fma_f32 v[6:7], v[8:9], v[42:43], v[4:5] op_sel:[0,0,1] op_sel_hi:[1,1,0] neg_lo:[0,0,1] neg_hi:[0,0,1]
	v_pk_fma_f32 v[4:5], v[8:9], v[42:43], v[4:5] op_sel:[0,0,1] op_sel_hi:[1,0,0]
	v_pk_add_f32 v[2:3], v[2:3], v[16:17]
	v_mov_b32_e32 v4, v41
	v_pk_add_f32 v[2:3], v[2:3], v[14:15]
	v_mov_b32_e32 v7, v5
	s_waitcnt lgkmcnt(0)
	v_pk_mul_f32 v[4:5], v[10:11], v[4:5] op_sel_hi:[1,0]
	v_pk_add_f32 v[2:3], v[2:3], v[6:7]
	v_pk_fma_f32 v[6:7], v[10:11], v[40:41], v[4:5] op_sel:[0,0,1] op_sel_hi:[1,1,0] neg_lo:[0,0,1] neg_hi:[0,0,1]
	v_pk_fma_f32 v[4:5], v[10:11], v[40:41], v[4:5] op_sel:[0,0,1] op_sel_hi:[1,0,0]
	v_mov_b32_e32 v4, v39
	v_mov_b32_e32 v7, v5
	v_pk_mul_f32 v[4:5], v[12:13], v[4:5] op_sel_hi:[1,0]
	v_pk_add_f32 v[2:3], v[2:3], v[6:7]
	v_pk_fma_f32 v[6:7], v[12:13], v[38:39], v[4:5] op_sel:[0,0,1] op_sel_hi:[1,1,0] neg_lo:[0,0,1] neg_hi:[0,0,1]
	v_pk_fma_f32 v[4:5], v[12:13], v[38:39], v[4:5] op_sel:[0,0,1] op_sel_hi:[1,0,0]
	v_mov_b32_e32 v7, v5
	v_pk_add_f32 v[2:3], v[2:3], v[6:7]
	v_pk_add_f32 v[2:3], v[26:27], v[2:3] neg_lo:[0,1] neg_hi:[0,1]
	buffer_store_dword v3, off, s[0:3], 0 offset:332
	buffer_store_dword v2, off, s[0:3], 0 offset:328
	s_and_saveexec_b64 s[4:5], vcc
	s_cbranch_execz .LBB59_293
; %bb.292:
	buffer_load_dword v2, off, s[0:3], 0 offset:320
	buffer_load_dword v3, off, s[0:3], 0 offset:324
	v_mov_b32_e32 v1, 0
	buffer_store_dword v1, off, s[0:3], 0 offset:320
	buffer_store_dword v1, off, s[0:3], 0 offset:324
	s_waitcnt vmcnt(2)
	ds_write_b64 v195, v[2:3]
.LBB59_293:
	s_or_b64 exec, exec, s[4:5]
	s_waitcnt lgkmcnt(0)
	; wave barrier
	s_waitcnt lgkmcnt(0)
	buffer_load_dword v44, off, s[0:3], 0 offset:332
	buffer_load_dword v46, off, s[0:3], 0 offset:340
	buffer_load_dword v48, off, s[0:3], 0 offset:348
	buffer_load_dword v49, off, s[0:3], 0 offset:356
	buffer_load_dword v50, off, s[0:3], 0 offset:364
	buffer_load_dword v51, off, s[0:3], 0 offset:372
	buffer_load_dword v52, off, s[0:3], 0 offset:380
	buffer_load_dword v53, off, s[0:3], 0 offset:388
	buffer_load_dword v54, off, s[0:3], 0 offset:396
	buffer_load_dword v55, off, s[0:3], 0 offset:404
	buffer_load_dword v56, off, s[0:3], 0 offset:412
	buffer_load_dword v57, off, s[0:3], 0 offset:328
	buffer_load_dword v58, off, s[0:3], 0 offset:336
	buffer_load_dword v59, off, s[0:3], 0 offset:344
	buffer_load_dword v60, off, s[0:3], 0 offset:352
	buffer_load_dword v61, off, s[0:3], 0 offset:360
	buffer_load_dword v62, off, s[0:3], 0 offset:368
	buffer_load_dword v63, off, s[0:3], 0 offset:376
	buffer_load_dword v64, off, s[0:3], 0 offset:384
	buffer_load_dword v65, off, s[0:3], 0 offset:392
	buffer_load_dword v66, off, s[0:3], 0 offset:400
	buffer_load_dword v67, off, s[0:3], 0 offset:408
	buffer_load_dword v26, off, s[0:3], 0 offset:320
	buffer_load_dword v27, off, s[0:3], 0 offset:324
	buffer_load_dword v29, off, s[0:3], 0 offset:444
	buffer_load_dword v28, off, s[0:3], 0 offset:440
	buffer_load_dword v31, off, s[0:3], 0 offset:436
	buffer_load_dword v30, off, s[0:3], 0 offset:432
	buffer_load_dword v33, off, s[0:3], 0 offset:428
	buffer_load_dword v32, off, s[0:3], 0 offset:424
	buffer_load_dword v35, off, s[0:3], 0 offset:420
	buffer_load_dword v34, off, s[0:3], 0 offset:416
	buffer_load_dword v37, off, s[0:3], 0 offset:476
	buffer_load_dword v36, off, s[0:3], 0 offset:472
	buffer_load_dword v39, off, s[0:3], 0 offset:468
	buffer_load_dword v38, off, s[0:3], 0 offset:464
	buffer_load_dword v41, off, s[0:3], 0 offset:460
	buffer_load_dword v40, off, s[0:3], 0 offset:456
	buffer_load_dword v43, off, s[0:3], 0 offset:452
	buffer_load_dword v42, off, s[0:3], 0 offset:448
	v_mov_b32_e32 v1, 0
	ds_read2_b64 v[2:5], v1 offset0:101 offset1:102
	ds_read2_b64 v[6:9], v1 offset0:103 offset1:104
	;; [unrolled: 1-line block ×6, first 2 shown]
	v_cmp_lt_u32_e32 vcc, 39, v0
	s_waitcnt vmcnt(39) lgkmcnt(5)
	v_mul_f32_e32 v68, v2, v44
	s_waitcnt vmcnt(38)
	v_mul_f32_e32 v69, v4, v46
	s_waitcnt vmcnt(37) lgkmcnt(4)
	v_mul_f32_e32 v70, v6, v48
	v_mul_f32_e32 v44, v3, v44
	v_mul_f32_e32 v46, v5, v46
	v_mul_f32_e32 v48, v7, v48
	s_waitcnt vmcnt(36)
	v_mul_f32_e32 v71, v8, v49
	s_waitcnt vmcnt(35) lgkmcnt(3)
	v_mul_f32_e32 v72, v10, v50
	s_waitcnt vmcnt(34)
	v_mul_f32_e32 v73, v12, v51
	s_waitcnt vmcnt(33) lgkmcnt(2)
	v_mul_f32_e32 v74, v14, v52
	s_waitcnt vmcnt(32)
	v_mul_f32_e32 v75, v16, v53
	s_waitcnt vmcnt(28)
	v_fmac_f32_e32 v68, v3, v57
	s_waitcnt vmcnt(27)
	v_fmac_f32_e32 v69, v5, v58
	v_fma_f32 v2, v2, v57, -v44
	v_fma_f32 v3, v4, v58, -v46
	s_waitcnt vmcnt(26)
	v_fma_f32 v4, v6, v59, -v48
	v_add_f32_e32 v6, 0, v68
	v_fmac_f32_e32 v70, v7, v59
	v_add_f32_e32 v2, 0, v2
	v_add_f32_e32 v6, v6, v69
	s_waitcnt vmcnt(25)
	v_fmac_f32_e32 v71, v9, v60
	v_add_f32_e32 v2, v2, v3
	v_add_f32_e32 v3, v6, v70
	s_waitcnt vmcnt(24)
	v_fmac_f32_e32 v72, v11, v61
	v_add_f32_e32 v3, v3, v71
	s_waitcnt vmcnt(23)
	v_fmac_f32_e32 v73, v13, v62
	;; [unrolled: 3-line block ×3, first 2 shown]
	v_add_f32_e32 v3, v3, v73
	s_waitcnt lgkmcnt(1)
	v_mul_f32_e32 v76, v18, v54
	s_waitcnt vmcnt(21)
	v_fmac_f32_e32 v75, v17, v64
	v_add_f32_e32 v3, v3, v74
	v_mul_f32_e32 v49, v9, v49
	s_waitcnt vmcnt(20)
	v_fmac_f32_e32 v76, v19, v65
	v_add_f32_e32 v3, v3, v75
	v_fma_f32 v5, v8, v60, -v49
	v_add_f32_e32 v2, v2, v4
	v_add_f32_e32 v49, v3, v76
	v_mul_f32_e32 v3, v11, v50
	v_add_f32_e32 v2, v2, v5
	v_fma_f32 v3, v10, v61, -v3
	v_add_f32_e32 v2, v2, v3
	v_mul_f32_e32 v3, v13, v51
	v_fma_f32 v3, v12, v62, -v3
	v_add_f32_e32 v2, v2, v3
	v_mul_f32_e32 v3, v15, v52
	;; [unrolled: 3-line block ×5, first 2 shown]
	s_waitcnt vmcnt(9)
	v_mov_b32_e32 v18, v35
	v_mul_f32_e32 v45, v20, v55
	v_fma_f32 v44, v20, v66, -v2
	s_waitcnt lgkmcnt(0)
	v_mul_f32_e32 v2, v23, v56
	v_pk_mul_f32 v[18:19], v[24:25], v[18:19] op_sel_hi:[1,0]
	v_mul_f32_e32 v47, v22, v56
	v_fmac_f32_e32 v45, v21, v66
	v_fma_f32 v46, v22, v67, -v2
	ds_read2_b64 v[2:5], v1 offset0:113 offset1:114
	ds_read2_b64 v[6:9], v1 offset0:115 offset1:116
	;; [unrolled: 1-line block ×3, first 2 shown]
	ds_read_b64 v[14:15], v1 offset:952
	s_waitcnt vmcnt(8)
	v_pk_fma_f32 v[20:21], v[24:25], v[34:35], v[18:19] op_sel:[0,0,1] op_sel_hi:[1,1,0] neg_lo:[0,0,1] neg_hi:[0,0,1]
	v_pk_fma_f32 v[18:19], v[24:25], v[34:35], v[18:19] op_sel:[0,0,1] op_sel_hi:[1,0,0]
	v_fmac_f32_e32 v47, v23, v67
	v_pk_add_f32 v[16:17], v[48:49], v[44:45]
	v_mov_b32_e32 v18, v33
	v_pk_add_f32 v[16:17], v[16:17], v[46:47]
	v_mov_b32_e32 v21, v19
	s_waitcnt lgkmcnt(3)
	v_pk_mul_f32 v[18:19], v[2:3], v[18:19] op_sel_hi:[1,0]
	v_pk_add_f32 v[16:17], v[16:17], v[20:21]
	v_pk_fma_f32 v[20:21], v[2:3], v[32:33], v[18:19] op_sel:[0,0,1] op_sel_hi:[1,1,0] neg_lo:[0,0,1] neg_hi:[0,0,1]
	v_pk_fma_f32 v[2:3], v[2:3], v[32:33], v[18:19] op_sel:[0,0,1] op_sel_hi:[1,0,0]
	v_mov_b32_e32 v21, v3
	v_pk_add_f32 v[2:3], v[16:17], v[20:21]
	v_mov_b32_e32 v16, v31
	v_pk_mul_f32 v[16:17], v[4:5], v[16:17] op_sel_hi:[1,0]
	v_pk_fma_f32 v[18:19], v[4:5], v[30:31], v[16:17] op_sel:[0,0,1] op_sel_hi:[1,1,0] neg_lo:[0,0,1] neg_hi:[0,0,1]
	v_pk_fma_f32 v[4:5], v[4:5], v[30:31], v[16:17] op_sel:[0,0,1] op_sel_hi:[1,0,0]
	v_mov_b32_e32 v4, v29
	v_mov_b32_e32 v19, v5
	s_waitcnt lgkmcnt(2)
	v_pk_mul_f32 v[4:5], v[6:7], v[4:5] op_sel_hi:[1,0]
	v_pk_fma_f32 v[16:17], v[6:7], v[28:29], v[4:5] op_sel:[0,0,1] op_sel_hi:[1,1,0] neg_lo:[0,0,1] neg_hi:[0,0,1]
	v_pk_fma_f32 v[4:5], v[6:7], v[28:29], v[4:5] op_sel:[0,0,1] op_sel_hi:[1,0,0]
	s_waitcnt vmcnt(1)
	v_mov_b32_e32 v4, v43
	v_mov_b32_e32 v17, v5
	v_pk_mul_f32 v[4:5], v[8:9], v[4:5] op_sel_hi:[1,0]
	s_waitcnt vmcnt(0)
	v_pk_fma_f32 v[6:7], v[8:9], v[42:43], v[4:5] op_sel:[0,0,1] op_sel_hi:[1,1,0] neg_lo:[0,0,1] neg_hi:[0,0,1]
	v_pk_fma_f32 v[4:5], v[8:9], v[42:43], v[4:5] op_sel:[0,0,1] op_sel_hi:[1,0,0]
	v_pk_add_f32 v[2:3], v[2:3], v[18:19]
	v_mov_b32_e32 v4, v41
	v_pk_add_f32 v[2:3], v[2:3], v[16:17]
	v_mov_b32_e32 v7, v5
	s_waitcnt lgkmcnt(1)
	v_pk_mul_f32 v[4:5], v[10:11], v[4:5] op_sel_hi:[1,0]
	v_pk_add_f32 v[2:3], v[2:3], v[6:7]
	v_pk_fma_f32 v[6:7], v[10:11], v[40:41], v[4:5] op_sel:[0,0,1] op_sel_hi:[1,1,0] neg_lo:[0,0,1] neg_hi:[0,0,1]
	v_pk_fma_f32 v[4:5], v[10:11], v[40:41], v[4:5] op_sel:[0,0,1] op_sel_hi:[1,0,0]
	v_mov_b32_e32 v4, v39
	v_mov_b32_e32 v7, v5
	v_pk_mul_f32 v[4:5], v[12:13], v[4:5] op_sel_hi:[1,0]
	v_pk_add_f32 v[2:3], v[2:3], v[6:7]
	v_pk_fma_f32 v[6:7], v[12:13], v[38:39], v[4:5] op_sel:[0,0,1] op_sel_hi:[1,1,0] neg_lo:[0,0,1] neg_hi:[0,0,1]
	v_pk_fma_f32 v[4:5], v[12:13], v[38:39], v[4:5] op_sel:[0,0,1] op_sel_hi:[1,0,0]
	v_mov_b32_e32 v4, v37
	v_mov_b32_e32 v7, v5
	s_waitcnt lgkmcnt(0)
	v_pk_mul_f32 v[4:5], v[14:15], v[4:5] op_sel_hi:[1,0]
	v_pk_add_f32 v[2:3], v[2:3], v[6:7]
	v_pk_fma_f32 v[6:7], v[14:15], v[36:37], v[4:5] op_sel:[0,0,1] op_sel_hi:[1,1,0] neg_lo:[0,0,1] neg_hi:[0,0,1]
	v_pk_fma_f32 v[4:5], v[14:15], v[36:37], v[4:5] op_sel:[0,0,1] op_sel_hi:[1,0,0]
	v_mov_b32_e32 v7, v5
	v_pk_add_f32 v[2:3], v[2:3], v[6:7]
	v_pk_add_f32 v[2:3], v[26:27], v[2:3] neg_lo:[0,1] neg_hi:[0,1]
	buffer_store_dword v3, off, s[0:3], 0 offset:324
	buffer_store_dword v2, off, s[0:3], 0 offset:320
	s_and_saveexec_b64 s[4:5], vcc
	s_cbranch_execz .LBB59_295
; %bb.294:
	buffer_load_dword v2, off, s[0:3], 0 offset:312
	buffer_load_dword v3, off, s[0:3], 0 offset:316
	s_waitcnt vmcnt(0)
	ds_write_b64 v195, v[2:3]
	buffer_store_dword v1, off, s[0:3], 0 offset:312
	buffer_store_dword v1, off, s[0:3], 0 offset:316
.LBB59_295:
	s_or_b64 exec, exec, s[4:5]
	s_waitcnt lgkmcnt(0)
	; wave barrier
	s_waitcnt lgkmcnt(0)
	buffer_load_dword v44, off, s[0:3], 0 offset:324
	buffer_load_dword v46, off, s[0:3], 0 offset:332
	;; [unrolled: 1-line block ×26, first 2 shown]
	ds_read_b128 v[2:5], v1 offset:800
	ds_read_b128 v[6:9], v1 offset:816
	;; [unrolled: 1-line block ×6, first 2 shown]
	buffer_load_dword v29, off, s[0:3], 0 offset:436
	buffer_load_dword v28, off, s[0:3], 0 offset:432
	;; [unrolled: 1-line block ×16, first 2 shown]
	v_cmp_lt_u32_e32 vcc, 38, v0
	s_waitcnt vmcnt(41) lgkmcnt(5)
	v_mul_f32_e32 v70, v2, v44
	s_waitcnt vmcnt(40)
	v_mul_f32_e32 v71, v4, v46
	v_mul_f32_e32 v44, v3, v44
	s_waitcnt vmcnt(39) lgkmcnt(4)
	v_mul_f32_e32 v72, v6, v48
	v_mul_f32_e32 v46, v5, v46
	s_waitcnt vmcnt(38)
	v_mul_f32_e32 v73, v8, v50
	s_waitcnt vmcnt(37) lgkmcnt(3)
	v_mul_f32_e32 v74, v10, v51
	s_waitcnt vmcnt(36)
	v_mul_f32_e32 v75, v12, v52
	s_waitcnt vmcnt(35) lgkmcnt(2)
	;; [unrolled: 4-line block ×3, first 2 shown]
	v_mul_f32_e32 v78, v18, v55
	s_waitcnt vmcnt(32)
	v_mul_f32_e32 v79, v20, v56
	s_waitcnt vmcnt(29)
	v_fmac_f32_e32 v70, v3, v49
	s_waitcnt vmcnt(28)
	v_fmac_f32_e32 v71, v5, v59
	v_fma_f32 v2, v2, v49, -v44
	v_add_f32_e32 v5, 0, v70
	s_waitcnt vmcnt(27)
	v_fmac_f32_e32 v72, v7, v60
	v_fma_f32 v3, v4, v59, -v46
	v_add_f32_e32 v2, 0, v2
	v_add_f32_e32 v5, v5, v71
	s_waitcnt vmcnt(26)
	v_fmac_f32_e32 v73, v9, v61
	v_add_f32_e32 v2, v2, v3
	v_add_f32_e32 v3, v5, v72
	s_waitcnt vmcnt(25)
	v_fmac_f32_e32 v74, v11, v62
	v_add_f32_e32 v3, v3, v73
	s_waitcnt vmcnt(24)
	v_fmac_f32_e32 v75, v13, v63
	;; [unrolled: 3-line block ×5, first 2 shown]
	v_add_f32_e32 v3, v3, v77
	v_mul_f32_e32 v48, v7, v48
	s_waitcnt vmcnt(20)
	v_fmac_f32_e32 v79, v21, v67
	v_add_f32_e32 v3, v3, v78
	v_fma_f32 v4, v6, v60, -v48
	v_add_f32_e32 v49, v3, v79
	v_mul_f32_e32 v3, v9, v50
	v_add_f32_e32 v2, v2, v4
	v_fma_f32 v3, v8, v61, -v3
	v_add_f32_e32 v2, v2, v3
	v_mul_f32_e32 v3, v11, v51
	v_fma_f32 v3, v10, v62, -v3
	v_add_f32_e32 v2, v2, v3
	v_mul_f32_e32 v3, v13, v52
	;; [unrolled: 3-line block ×6, first 2 shown]
	v_fma_f32 v3, v20, v67, -v3
	v_add_f32_e32 v48, v2, v3
	s_waitcnt lgkmcnt(0)
	v_mul_f32_e32 v2, v23, v57
	s_waitcnt vmcnt(19)
	v_fma_f32 v44, v22, v68, -v2
	v_mul_f32_e32 v2, v25, v58
	s_waitcnt vmcnt(18)
	v_fma_f32 v46, v24, v69, -v2
	ds_read_b128 v[2:5], v1 offset:896
	ds_read_b128 v[6:9], v1 offset:912
	;; [unrolled: 1-line block ×4, first 2 shown]
	v_mul_f32_e32 v45, v22, v57
	s_waitcnt vmcnt(11)
	v_mov_b32_e32 v20, v33
	v_mul_f32_e32 v47, v24, v58
	v_fmac_f32_e32 v45, v23, v68
	s_waitcnt lgkmcnt(3)
	v_pk_mul_f32 v[20:21], v[2:3], v[20:21] op_sel_hi:[1,0]
	v_fmac_f32_e32 v47, v25, v69
	v_pk_add_f32 v[18:19], v[48:49], v[44:45]
	s_waitcnt vmcnt(10)
	v_pk_fma_f32 v[22:23], v[2:3], v[32:33], v[20:21] op_sel:[0,0,1] op_sel_hi:[1,1,0] neg_lo:[0,0,1] neg_hi:[0,0,1]
	v_pk_fma_f32 v[2:3], v[2:3], v[32:33], v[20:21] op_sel:[0,0,1] op_sel_hi:[1,0,0]
	v_pk_add_f32 v[18:19], v[18:19], v[46:47]
	v_mov_b32_e32 v23, v3
	v_pk_add_f32 v[2:3], v[18:19], v[22:23]
	v_mov_b32_e32 v18, v31
	v_pk_mul_f32 v[18:19], v[4:5], v[18:19] op_sel_hi:[1,0]
	v_pk_fma_f32 v[20:21], v[4:5], v[30:31], v[18:19] op_sel:[0,0,1] op_sel_hi:[1,1,0] neg_lo:[0,0,1] neg_hi:[0,0,1]
	v_pk_fma_f32 v[4:5], v[4:5], v[30:31], v[18:19] op_sel:[0,0,1] op_sel_hi:[1,0,0]
	v_mov_b32_e32 v4, v29
	v_mov_b32_e32 v21, v5
	s_waitcnt lgkmcnt(2)
	v_pk_mul_f32 v[4:5], v[6:7], v[4:5] op_sel_hi:[1,0]
	v_pk_fma_f32 v[18:19], v[6:7], v[28:29], v[4:5] op_sel:[0,0,1] op_sel_hi:[1,1,0] neg_lo:[0,0,1] neg_hi:[0,0,1]
	v_pk_fma_f32 v[4:5], v[6:7], v[28:29], v[4:5] op_sel:[0,0,1] op_sel_hi:[1,0,0]
	s_waitcnt vmcnt(3)
	v_mov_b32_e32 v4, v41
	v_mov_b32_e32 v19, v5
	v_pk_mul_f32 v[4:5], v[8:9], v[4:5] op_sel_hi:[1,0]
	s_waitcnt vmcnt(2)
	v_pk_fma_f32 v[6:7], v[8:9], v[40:41], v[4:5] op_sel:[0,0,1] op_sel_hi:[1,1,0] neg_lo:[0,0,1] neg_hi:[0,0,1]
	v_pk_fma_f32 v[4:5], v[8:9], v[40:41], v[4:5] op_sel:[0,0,1] op_sel_hi:[1,0,0]
	v_pk_add_f32 v[2:3], v[2:3], v[20:21]
	v_mov_b32_e32 v4, v39
	v_pk_add_f32 v[2:3], v[2:3], v[18:19]
	v_mov_b32_e32 v7, v5
	s_waitcnt lgkmcnt(1)
	v_pk_mul_f32 v[4:5], v[10:11], v[4:5] op_sel_hi:[1,0]
	v_pk_add_f32 v[2:3], v[2:3], v[6:7]
	v_pk_fma_f32 v[6:7], v[10:11], v[38:39], v[4:5] op_sel:[0,0,1] op_sel_hi:[1,1,0] neg_lo:[0,0,1] neg_hi:[0,0,1]
	v_pk_fma_f32 v[4:5], v[10:11], v[38:39], v[4:5] op_sel:[0,0,1] op_sel_hi:[1,0,0]
	v_mov_b32_e32 v4, v37
	v_mov_b32_e32 v7, v5
	v_pk_mul_f32 v[4:5], v[12:13], v[4:5] op_sel_hi:[1,0]
	v_pk_add_f32 v[2:3], v[2:3], v[6:7]
	v_pk_fma_f32 v[6:7], v[12:13], v[36:37], v[4:5] op_sel:[0,0,1] op_sel_hi:[1,1,0] neg_lo:[0,0,1] neg_hi:[0,0,1]
	v_pk_fma_f32 v[4:5], v[12:13], v[36:37], v[4:5] op_sel:[0,0,1] op_sel_hi:[1,0,0]
	v_mov_b32_e32 v4, v35
	v_mov_b32_e32 v7, v5
	s_waitcnt lgkmcnt(0)
	v_pk_mul_f32 v[4:5], v[14:15], v[4:5] op_sel_hi:[1,0]
	v_pk_add_f32 v[2:3], v[2:3], v[6:7]
	v_pk_fma_f32 v[6:7], v[14:15], v[34:35], v[4:5] op_sel:[0,0,1] op_sel_hi:[1,1,0] neg_lo:[0,0,1] neg_hi:[0,0,1]
	v_pk_fma_f32 v[4:5], v[14:15], v[34:35], v[4:5] op_sel:[0,0,1] op_sel_hi:[1,0,0]
	s_waitcnt vmcnt(1)
	v_mov_b32_e32 v4, v43
	v_mov_b32_e32 v7, v5
	v_pk_mul_f32 v[4:5], v[16:17], v[4:5] op_sel_hi:[1,0]
	v_pk_add_f32 v[2:3], v[2:3], v[6:7]
	s_waitcnt vmcnt(0)
	v_pk_fma_f32 v[6:7], v[16:17], v[42:43], v[4:5] op_sel:[0,0,1] op_sel_hi:[1,1,0] neg_lo:[0,0,1] neg_hi:[0,0,1]
	v_pk_fma_f32 v[4:5], v[16:17], v[42:43], v[4:5] op_sel:[0,0,1] op_sel_hi:[1,0,0]
	v_mov_b32_e32 v7, v5
	v_pk_add_f32 v[2:3], v[2:3], v[6:7]
	v_pk_add_f32 v[2:3], v[26:27], v[2:3] neg_lo:[0,1] neg_hi:[0,1]
	buffer_store_dword v3, off, s[0:3], 0 offset:316
	buffer_store_dword v2, off, s[0:3], 0 offset:312
	s_and_saveexec_b64 s[4:5], vcc
	s_cbranch_execz .LBB59_297
; %bb.296:
	buffer_load_dword v2, off, s[0:3], 0 offset:304
	buffer_load_dword v3, off, s[0:3], 0 offset:308
	v_mov_b32_e32 v1, 0
	buffer_store_dword v1, off, s[0:3], 0 offset:304
	buffer_store_dword v1, off, s[0:3], 0 offset:308
	s_waitcnt vmcnt(2)
	ds_write_b64 v195, v[2:3]
.LBB59_297:
	s_or_b64 exec, exec, s[4:5]
	s_waitcnt lgkmcnt(0)
	; wave barrier
	s_waitcnt lgkmcnt(0)
	buffer_load_dword v52, off, s[0:3], 0 offset:316
	buffer_load_dword v54, off, s[0:3], 0 offset:324
	;; [unrolled: 1-line block ×44, first 2 shown]
	v_mov_b32_e32 v1, 0
	ds_read2_b64 v[2:5], v1 offset0:99 offset1:100
	ds_read2_b64 v[6:9], v1 offset0:101 offset1:102
	;; [unrolled: 1-line block ×8, first 2 shown]
	v_cmp_lt_u32_e32 vcc, 37, v0
	s_waitcnt vmcnt(43) lgkmcnt(7)
	v_mul_f32_e32 v57, v2, v52
	s_waitcnt vmcnt(42)
	v_mul_f32_e32 v81, v4, v54
	s_waitcnt vmcnt(41) lgkmcnt(6)
	v_mul_f32_e32 v82, v6, v56
	v_mul_f32_e32 v52, v3, v52
	s_waitcnt vmcnt(40)
	v_mul_f32_e32 v83, v8, v58
	s_waitcnt vmcnt(39) lgkmcnt(5)
	v_mul_f32_e32 v84, v10, v59
	s_waitcnt vmcnt(38)
	v_mul_f32_e32 v85, v12, v60
	s_waitcnt vmcnt(37) lgkmcnt(4)
	v_mul_f32_e32 v86, v14, v61
	s_waitcnt vmcnt(36)
	v_mul_f32_e32 v87, v16, v62
	s_waitcnt vmcnt(35) lgkmcnt(3)
	v_mul_f32_e32 v88, v18, v63
	s_waitcnt vmcnt(34)
	v_mul_f32_e32 v89, v20, v64
	s_waitcnt vmcnt(33) lgkmcnt(2)
	v_mul_f32_e32 v90, v22, v65
	s_waitcnt vmcnt(32)
	v_mul_f32_e32 v53, v24, v66
	s_waitcnt vmcnt(30)
	v_fmac_f32_e32 v57, v3, v68
	s_waitcnt vmcnt(29)
	v_fmac_f32_e32 v81, v5, v69
	v_add_f32_e32 v3, 0, v57
	s_waitcnt vmcnt(28)
	v_fmac_f32_e32 v82, v7, v70
	v_add_f32_e32 v3, v3, v81
	;; [unrolled: 3-line block ×10, first 2 shown]
	v_add_f32_e32 v57, v3, v90
	v_fma_f32 v2, v2, v68, -v52
	v_mul_f32_e32 v3, v5, v54
	v_add_f32_e32 v2, 0, v2
	v_fma_f32 v3, v4, v69, -v3
	v_add_f32_e32 v2, v2, v3
	v_mul_f32_e32 v3, v7, v56
	v_fma_f32 v3, v6, v70, -v3
	v_add_f32_e32 v2, v2, v3
	v_mul_f32_e32 v3, v9, v58
	;; [unrolled: 3-line block ×9, first 2 shown]
	v_fma_f32 v3, v22, v78, -v3
	s_waitcnt vmcnt(13)
	v_mov_b32_e32 v14, v39
	v_add_f32_e32 v56, v2, v3
	v_mul_f32_e32 v2, v25, v66
	s_waitcnt lgkmcnt(1)
	v_pk_mul_f32 v[14:15], v[28:29], v[14:15] op_sel_hi:[1,0]
	v_mul_f32_e32 v55, v26, v67
	v_fmac_f32_e32 v53, v25, v79
	v_fma_f32 v52, v24, v79, -v2
	v_mul_f32_e32 v2, v27, v67
	s_waitcnt vmcnt(12)
	v_pk_fma_f32 v[16:17], v[28:29], v[38:39], v[14:15] op_sel:[0,0,1] op_sel_hi:[1,1,0] neg_lo:[0,0,1] neg_hi:[0,0,1]
	v_pk_fma_f32 v[14:15], v[28:29], v[38:39], v[14:15] op_sel:[0,0,1] op_sel_hi:[1,0,0]
	v_fmac_f32_e32 v55, v27, v80
	v_fma_f32 v54, v26, v80, -v2
	v_pk_add_f32 v[12:13], v[56:57], v[52:53]
	v_mov_b32_e32 v14, v37
	v_pk_add_f32 v[12:13], v[12:13], v[54:55]
	v_mov_b32_e32 v17, v15
	s_waitcnt lgkmcnt(0)
	v_pk_mul_f32 v[14:15], v[30:31], v[14:15] op_sel_hi:[1,0]
	v_pk_add_f32 v[12:13], v[12:13], v[16:17]
	v_pk_fma_f32 v[16:17], v[30:31], v[36:37], v[14:15] op_sel:[0,0,1] op_sel_hi:[1,1,0] neg_lo:[0,0,1] neg_hi:[0,0,1]
	v_pk_fma_f32 v[14:15], v[30:31], v[36:37], v[14:15] op_sel:[0,0,1] op_sel_hi:[1,0,0]
	s_waitcnt vmcnt(5)
	v_mov_b32_e32 v14, v47
	ds_read2_b64 v[2:5], v1 offset0:115 offset1:116
	ds_read2_b64 v[6:9], v1 offset0:117 offset1:118
	ds_read_b64 v[10:11], v1 offset:952
	v_mov_b32_e32 v17, v15
	v_pk_mul_f32 v[14:15], v[32:33], v[14:15] op_sel_hi:[1,0]
	v_pk_add_f32 v[12:13], v[12:13], v[16:17]
	s_waitcnt vmcnt(4)
	v_pk_fma_f32 v[16:17], v[32:33], v[46:47], v[14:15] op_sel:[0,0,1] op_sel_hi:[1,1,0] neg_lo:[0,0,1] neg_hi:[0,0,1]
	v_pk_fma_f32 v[14:15], v[32:33], v[46:47], v[14:15] op_sel:[0,0,1] op_sel_hi:[1,0,0]
	v_mov_b32_e32 v14, v45
	v_mov_b32_e32 v17, v15
	s_waitcnt lgkmcnt(2)
	v_pk_mul_f32 v[14:15], v[2:3], v[14:15] op_sel_hi:[1,0]
	v_pk_add_f32 v[12:13], v[12:13], v[16:17]
	v_pk_fma_f32 v[16:17], v[2:3], v[44:45], v[14:15] op_sel:[0,0,1] op_sel_hi:[1,1,0] neg_lo:[0,0,1] neg_hi:[0,0,1]
	v_pk_fma_f32 v[2:3], v[2:3], v[44:45], v[14:15] op_sel:[0,0,1] op_sel_hi:[1,0,0]
	v_mov_b32_e32 v17, v3
	v_pk_add_f32 v[2:3], v[12:13], v[16:17]
	v_mov_b32_e32 v12, v43
	v_pk_mul_f32 v[12:13], v[4:5], v[12:13] op_sel_hi:[1,0]
	v_pk_fma_f32 v[14:15], v[4:5], v[42:43], v[12:13] op_sel:[0,0,1] op_sel_hi:[1,1,0] neg_lo:[0,0,1] neg_hi:[0,0,1]
	v_pk_fma_f32 v[4:5], v[4:5], v[42:43], v[12:13] op_sel:[0,0,1] op_sel_hi:[1,0,0]
	v_mov_b32_e32 v4, v41
	v_mov_b32_e32 v15, v5
	s_waitcnt lgkmcnt(1)
	v_pk_mul_f32 v[4:5], v[6:7], v[4:5] op_sel_hi:[1,0]
	v_pk_fma_f32 v[12:13], v[6:7], v[40:41], v[4:5] op_sel:[0,0,1] op_sel_hi:[1,1,0] neg_lo:[0,0,1] neg_hi:[0,0,1]
	v_pk_fma_f32 v[4:5], v[6:7], v[40:41], v[4:5] op_sel:[0,0,1] op_sel_hi:[1,0,0]
	s_waitcnt vmcnt(1)
	v_mov_b32_e32 v4, v51
	v_mov_b32_e32 v13, v5
	v_pk_mul_f32 v[4:5], v[8:9], v[4:5] op_sel_hi:[1,0]
	s_waitcnt vmcnt(0)
	v_pk_fma_f32 v[6:7], v[8:9], v[50:51], v[4:5] op_sel:[0,0,1] op_sel_hi:[1,1,0] neg_lo:[0,0,1] neg_hi:[0,0,1]
	v_pk_fma_f32 v[4:5], v[8:9], v[50:51], v[4:5] op_sel:[0,0,1] op_sel_hi:[1,0,0]
	v_pk_add_f32 v[2:3], v[2:3], v[14:15]
	v_mov_b32_e32 v4, v49
	v_pk_add_f32 v[2:3], v[2:3], v[12:13]
	v_mov_b32_e32 v7, v5
	s_waitcnt lgkmcnt(0)
	v_pk_mul_f32 v[4:5], v[10:11], v[4:5] op_sel_hi:[1,0]
	v_pk_add_f32 v[2:3], v[2:3], v[6:7]
	v_pk_fma_f32 v[6:7], v[10:11], v[48:49], v[4:5] op_sel:[0,0,1] op_sel_hi:[1,1,0] neg_lo:[0,0,1] neg_hi:[0,0,1]
	v_pk_fma_f32 v[4:5], v[10:11], v[48:49], v[4:5] op_sel:[0,0,1] op_sel_hi:[1,0,0]
	v_mov_b32_e32 v7, v5
	v_pk_add_f32 v[2:3], v[2:3], v[6:7]
	v_pk_add_f32 v[2:3], v[34:35], v[2:3] neg_lo:[0,1] neg_hi:[0,1]
	buffer_store_dword v3, off, s[0:3], 0 offset:308
	buffer_store_dword v2, off, s[0:3], 0 offset:304
	s_and_saveexec_b64 s[4:5], vcc
	s_cbranch_execz .LBB59_299
; %bb.298:
	buffer_load_dword v2, off, s[0:3], 0 offset:296
	buffer_load_dword v3, off, s[0:3], 0 offset:300
	s_waitcnt vmcnt(0)
	ds_write_b64 v195, v[2:3]
	buffer_store_dword v1, off, s[0:3], 0 offset:296
	buffer_store_dword v1, off, s[0:3], 0 offset:300
.LBB59_299:
	s_or_b64 exec, exec, s[4:5]
	s_waitcnt lgkmcnt(0)
	; wave barrier
	s_waitcnt lgkmcnt(0)
	buffer_load_dword v52, off, s[0:3], 0 offset:308
	buffer_load_dword v54, off, s[0:3], 0 offset:316
	buffer_load_dword v56, off, s[0:3], 0 offset:324
	buffer_load_dword v58, off, s[0:3], 0 offset:332
	buffer_load_dword v59, off, s[0:3], 0 offset:340
	buffer_load_dword v60, off, s[0:3], 0 offset:348
	buffer_load_dword v61, off, s[0:3], 0 offset:356
	buffer_load_dword v62, off, s[0:3], 0 offset:364
	buffer_load_dword v63, off, s[0:3], 0 offset:372
	buffer_load_dword v64, off, s[0:3], 0 offset:380
	buffer_load_dword v65, off, s[0:3], 0 offset:388
	buffer_load_dword v66, off, s[0:3], 0 offset:396
	buffer_load_dword v67, off, s[0:3], 0 offset:404
	buffer_load_dword v68, off, s[0:3], 0 offset:304
	buffer_load_dword v69, off, s[0:3], 0 offset:312
	buffer_load_dword v70, off, s[0:3], 0 offset:320
	buffer_load_dword v71, off, s[0:3], 0 offset:328
	buffer_load_dword v72, off, s[0:3], 0 offset:336
	buffer_load_dword v73, off, s[0:3], 0 offset:344
	buffer_load_dword v74, off, s[0:3], 0 offset:352
	buffer_load_dword v75, off, s[0:3], 0 offset:360
	buffer_load_dword v76, off, s[0:3], 0 offset:368
	buffer_load_dword v77, off, s[0:3], 0 offset:376
	buffer_load_dword v78, off, s[0:3], 0 offset:384
	buffer_load_dword v79, off, s[0:3], 0 offset:392
	buffer_load_dword v80, off, s[0:3], 0 offset:400
	buffer_load_dword v81, off, s[0:3], 0 offset:412
	buffer_load_dword v82, off, s[0:3], 0 offset:408
	buffer_load_dword v34, off, s[0:3], 0 offset:296
	buffer_load_dword v35, off, s[0:3], 0 offset:300
	ds_read_b128 v[2:5], v1 offset:784
	ds_read_b128 v[6:9], v1 offset:800
	;; [unrolled: 1-line block ×6, first 2 shown]
	buffer_load_dword v37, off, s[0:3], 0 offset:420
	buffer_load_dword v36, off, s[0:3], 0 offset:416
	ds_read_b128 v[26:29], v1 offset:880
	ds_read_b128 v[30:33], v1 offset:896
	buffer_load_dword v39, off, s[0:3], 0 offset:452
	buffer_load_dword v38, off, s[0:3], 0 offset:448
	;; [unrolled: 1-line block ×14, first 2 shown]
	v_cmp_lt_u32_e32 vcc, 36, v0
	s_waitcnt vmcnt(45) lgkmcnt(7)
	v_mul_f32_e32 v55, v2, v52
	s_waitcnt vmcnt(44)
	v_mul_f32_e32 v57, v4, v54
	s_waitcnt vmcnt(43) lgkmcnt(6)
	v_mul_f32_e32 v83, v6, v56
	s_waitcnt vmcnt(42)
	v_mul_f32_e32 v84, v8, v58
	;; [unrolled: 4-line block ×6, first 2 shown]
	s_waitcnt vmcnt(33) lgkmcnt(1)
	v_mul_f32_e32 v53, v26, v67
	s_waitcnt vmcnt(32)
	v_fmac_f32_e32 v55, v3, v68
	v_mul_f32_e32 v3, v3, v52
	v_fma_f32 v2, v2, v68, -v3
	v_mul_f32_e32 v3, v5, v54
	v_add_f32_e32 v2, 0, v2
	s_waitcnt vmcnt(31)
	v_fma_f32 v3, v4, v69, -v3
	v_add_f32_e32 v2, v2, v3
	v_mul_f32_e32 v3, v7, v56
	s_waitcnt vmcnt(30)
	v_fma_f32 v3, v6, v70, -v3
	v_add_f32_e32 v2, v2, v3
	v_mul_f32_e32 v3, v9, v58
	;; [unrolled: 4-line block ×5, first 2 shown]
	s_waitcnt vmcnt(26)
	v_fma_f32 v3, v14, v74, -v3
	v_fmac_f32_e32 v57, v5, v69
	v_add_f32_e32 v55, 0, v55
	v_add_f32_e32 v2, v2, v3
	v_mul_f32_e32 v3, v17, v62
	v_fmac_f32_e32 v83, v7, v70
	v_add_f32_e32 v55, v55, v57
	s_waitcnt vmcnt(25)
	v_fma_f32 v3, v16, v75, -v3
	v_fmac_f32_e32 v84, v9, v71
	v_add_f32_e32 v55, v55, v83
	v_add_f32_e32 v2, v2, v3
	v_mul_f32_e32 v3, v19, v63
	v_fmac_f32_e32 v85, v11, v72
	v_add_f32_e32 v55, v55, v84
	;; [unrolled: 8-line block ×5, first 2 shown]
	s_waitcnt vmcnt(21)
	v_fma_f32 v3, v24, v79, -v3
	s_waitcnt vmcnt(15)
	v_mov_b32_e32 v16, v37
	v_fmac_f32_e32 v92, v25, v79
	v_add_f32_e32 v55, v55, v91
	v_add_f32_e32 v54, v2, v3
	v_mul_f32_e32 v2, v27, v67
	s_waitcnt lgkmcnt(0)
	v_pk_mul_f32 v[16:17], v[30:31], v[16:17] op_sel_hi:[1,0]
	v_fmac_f32_e32 v53, v27, v80
	v_add_f32_e32 v55, v55, v92
	v_mul_f32_e32 v57, v28, v81
	v_fma_f32 v52, v26, v80, -v2
	v_mul_f32_e32 v2, v29, v81
	s_waitcnt vmcnt(14)
	v_pk_fma_f32 v[18:19], v[30:31], v[36:37], v[16:17] op_sel:[0,0,1] op_sel_hi:[1,1,0] neg_lo:[0,0,1] neg_hi:[0,0,1]
	v_pk_fma_f32 v[16:17], v[30:31], v[36:37], v[16:17] op_sel:[0,0,1] op_sel_hi:[1,0,0]
	v_fmac_f32_e32 v57, v29, v82
	v_fma_f32 v56, v28, v82, -v2
	v_pk_add_f32 v[14:15], v[54:55], v[52:53]
	s_waitcnt vmcnt(7)
	v_mov_b32_e32 v16, v45
	ds_read_b128 v[2:5], v1 offset:912
	ds_read_b128 v[6:9], v1 offset:928
	;; [unrolled: 1-line block ×3, first 2 shown]
	v_pk_add_f32 v[14:15], v[14:15], v[56:57]
	v_mov_b32_e32 v19, v17
	v_pk_mul_f32 v[16:17], v[32:33], v[16:17] op_sel_hi:[1,0]
	v_pk_add_f32 v[14:15], v[14:15], v[18:19]
	s_waitcnt vmcnt(6)
	v_pk_fma_f32 v[18:19], v[32:33], v[44:45], v[16:17] op_sel:[0,0,1] op_sel_hi:[1,1,0] neg_lo:[0,0,1] neg_hi:[0,0,1]
	v_pk_fma_f32 v[16:17], v[32:33], v[44:45], v[16:17] op_sel:[0,0,1] op_sel_hi:[1,0,0]
	v_mov_b32_e32 v16, v43
	v_mov_b32_e32 v19, v17
	s_waitcnt lgkmcnt(2)
	v_pk_mul_f32 v[16:17], v[2:3], v[16:17] op_sel_hi:[1,0]
	v_pk_add_f32 v[14:15], v[14:15], v[18:19]
	v_pk_fma_f32 v[18:19], v[2:3], v[42:43], v[16:17] op_sel:[0,0,1] op_sel_hi:[1,1,0] neg_lo:[0,0,1] neg_hi:[0,0,1]
	v_pk_fma_f32 v[2:3], v[2:3], v[42:43], v[16:17] op_sel:[0,0,1] op_sel_hi:[1,0,0]
	v_mov_b32_e32 v19, v3
	v_pk_add_f32 v[2:3], v[14:15], v[18:19]
	v_mov_b32_e32 v14, v41
	v_pk_mul_f32 v[14:15], v[4:5], v[14:15] op_sel_hi:[1,0]
	v_pk_fma_f32 v[16:17], v[4:5], v[40:41], v[14:15] op_sel:[0,0,1] op_sel_hi:[1,1,0] neg_lo:[0,0,1] neg_hi:[0,0,1]
	v_pk_fma_f32 v[4:5], v[4:5], v[40:41], v[14:15] op_sel:[0,0,1] op_sel_hi:[1,0,0]
	v_mov_b32_e32 v4, v39
	v_mov_b32_e32 v17, v5
	s_waitcnt lgkmcnt(1)
	v_pk_mul_f32 v[4:5], v[6:7], v[4:5] op_sel_hi:[1,0]
	v_pk_fma_f32 v[14:15], v[6:7], v[38:39], v[4:5] op_sel:[0,0,1] op_sel_hi:[1,1,0] neg_lo:[0,0,1] neg_hi:[0,0,1]
	v_pk_fma_f32 v[4:5], v[6:7], v[38:39], v[4:5] op_sel:[0,0,1] op_sel_hi:[1,0,0]
	s_waitcnt vmcnt(1)
	v_mov_b32_e32 v4, v51
	v_mov_b32_e32 v15, v5
	v_pk_mul_f32 v[4:5], v[8:9], v[4:5] op_sel_hi:[1,0]
	s_waitcnt vmcnt(0)
	v_pk_fma_f32 v[6:7], v[8:9], v[50:51], v[4:5] op_sel:[0,0,1] op_sel_hi:[1,1,0] neg_lo:[0,0,1] neg_hi:[0,0,1]
	v_pk_fma_f32 v[4:5], v[8:9], v[50:51], v[4:5] op_sel:[0,0,1] op_sel_hi:[1,0,0]
	v_pk_add_f32 v[2:3], v[2:3], v[16:17]
	v_mov_b32_e32 v4, v49
	v_pk_add_f32 v[2:3], v[2:3], v[14:15]
	v_mov_b32_e32 v7, v5
	s_waitcnt lgkmcnt(0)
	v_pk_mul_f32 v[4:5], v[10:11], v[4:5] op_sel_hi:[1,0]
	v_pk_add_f32 v[2:3], v[2:3], v[6:7]
	v_pk_fma_f32 v[6:7], v[10:11], v[48:49], v[4:5] op_sel:[0,0,1] op_sel_hi:[1,1,0] neg_lo:[0,0,1] neg_hi:[0,0,1]
	v_pk_fma_f32 v[4:5], v[10:11], v[48:49], v[4:5] op_sel:[0,0,1] op_sel_hi:[1,0,0]
	v_mov_b32_e32 v4, v47
	v_mov_b32_e32 v7, v5
	v_pk_mul_f32 v[4:5], v[12:13], v[4:5] op_sel_hi:[1,0]
	v_pk_add_f32 v[2:3], v[2:3], v[6:7]
	v_pk_fma_f32 v[6:7], v[12:13], v[46:47], v[4:5] op_sel:[0,0,1] op_sel_hi:[1,1,0] neg_lo:[0,0,1] neg_hi:[0,0,1]
	v_pk_fma_f32 v[4:5], v[12:13], v[46:47], v[4:5] op_sel:[0,0,1] op_sel_hi:[1,0,0]
	v_mov_b32_e32 v7, v5
	v_pk_add_f32 v[2:3], v[2:3], v[6:7]
	v_pk_add_f32 v[2:3], v[34:35], v[2:3] neg_lo:[0,1] neg_hi:[0,1]
	buffer_store_dword v3, off, s[0:3], 0 offset:300
	buffer_store_dword v2, off, s[0:3], 0 offset:296
	s_and_saveexec_b64 s[4:5], vcc
	s_cbranch_execz .LBB59_301
; %bb.300:
	buffer_load_dword v2, off, s[0:3], 0 offset:288
	buffer_load_dword v3, off, s[0:3], 0 offset:292
	v_mov_b32_e32 v1, 0
	buffer_store_dword v1, off, s[0:3], 0 offset:288
	buffer_store_dword v1, off, s[0:3], 0 offset:292
	s_waitcnt vmcnt(2)
	ds_write_b64 v195, v[2:3]
.LBB59_301:
	s_or_b64 exec, exec, s[4:5]
	s_waitcnt lgkmcnt(0)
	; wave barrier
	s_waitcnt lgkmcnt(0)
	buffer_load_dword v50, off, s[0:3], 0 offset:300
	buffer_load_dword v54, off, s[0:3], 0 offset:308
	;; [unrolled: 1-line block ×32, first 2 shown]
	v_mov_b32_e32 v1, 0
	buffer_load_dword v37, off, s[0:3], 0 offset:444
	buffer_load_dword v36, off, s[0:3], 0 offset:440
	;; [unrolled: 1-line block ×13, first 2 shown]
	ds_read2_b64 v[2:5], v1 offset0:97 offset1:98
	ds_read2_b64 v[6:9], v1 offset0:99 offset1:100
	;; [unrolled: 1-line block ×8, first 2 shown]
	v_cmp_lt_u32_e32 vcc, 35, v0
	s_waitcnt vmcnt(44) lgkmcnt(7)
	v_mul_f32_e32 v44, v2, v50
	s_waitcnt vmcnt(43)
	v_mul_f32_e32 v51, v4, v54
	s_waitcnt vmcnt(42) lgkmcnt(6)
	v_mul_f32_e32 v52, v6, v56
	s_waitcnt vmcnt(41)
	v_mul_f32_e32 v53, v8, v58
	;; [unrolled: 4-line block ×6, first 2 shown]
	s_waitcnt vmcnt(32) lgkmcnt(1)
	v_mul_f32_e32 v91, v26, v67
	s_waitcnt vmcnt(31)
	v_fmac_f32_e32 v44, v3, v68
	s_waitcnt vmcnt(30)
	v_fmac_f32_e32 v51, v5, v69
	v_add_f32_e32 v44, 0, v44
	s_waitcnt vmcnt(29)
	v_fmac_f32_e32 v52, v7, v70
	v_add_f32_e32 v44, v44, v51
	;; [unrolled: 3-line block ×12, first 2 shown]
	v_add_f32_e32 v51, v44, v91
	buffer_load_dword v53, off, s[0:3], 0 offset:460
	buffer_load_dword v52, off, s[0:3], 0 offset:456
	;; [unrolled: 1-line block ×3, first 2 shown]
	v_mul_f32_e32 v3, v3, v50
	v_fma_f32 v2, v2, v68, -v3
	v_mul_f32_e32 v3, v5, v54
	v_add_f32_e32 v2, 0, v2
	v_fma_f32 v3, v4, v69, -v3
	v_add_f32_e32 v2, v2, v3
	v_mul_f32_e32 v3, v7, v56
	v_fma_f32 v3, v6, v70, -v3
	v_add_f32_e32 v2, v2, v3
	v_mul_f32_e32 v3, v9, v58
	;; [unrolled: 3-line block ×11, first 2 shown]
	v_fma_f32 v3, v26, v80, -v3
	v_add_f32_e32 v50, v2, v3
	s_waitcnt vmcnt(21)
	v_mul_f32_e32 v2, v29, v81
	s_waitcnt vmcnt(9)
	v_mov_b32_e32 v18, v43
	v_mul_f32_e32 v55, v28, v81
	v_fma_f32 v54, v28, v82, -v2
	s_waitcnt lgkmcnt(0)
	v_mul_f32_e32 v2, v31, v83
	v_pk_mul_f32 v[18:19], v[32:33], v[18:19] op_sel_hi:[1,0]
	v_fmac_f32_e32 v55, v29, v82
	v_mul_f32_e32 v57, v30, v83
	v_fma_f32 v56, v30, v84, -v2
	ds_read2_b64 v[2:5], v1 offset0:113 offset1:114
	ds_read2_b64 v[6:9], v1 offset0:115 offset1:116
	;; [unrolled: 1-line block ×3, first 2 shown]
	ds_read_b64 v[14:15], v1 offset:952
	s_waitcnt vmcnt(8)
	v_pk_fma_f32 v[20:21], v[32:33], v[42:43], v[18:19] op_sel:[0,0,1] op_sel_hi:[1,1,0] neg_lo:[0,0,1] neg_hi:[0,0,1]
	v_pk_fma_f32 v[18:19], v[32:33], v[42:43], v[18:19] op_sel:[0,0,1] op_sel_hi:[1,0,0]
	v_fmac_f32_e32 v57, v31, v84
	v_pk_add_f32 v[16:17], v[50:51], v[54:55]
	v_mov_b32_e32 v18, v41
	v_pk_add_f32 v[16:17], v[16:17], v[56:57]
	v_mov_b32_e32 v21, v19
	s_waitcnt lgkmcnt(3)
	v_pk_mul_f32 v[18:19], v[2:3], v[18:19] op_sel_hi:[1,0]
	v_pk_add_f32 v[16:17], v[16:17], v[20:21]
	v_pk_fma_f32 v[20:21], v[2:3], v[40:41], v[18:19] op_sel:[0,0,1] op_sel_hi:[1,1,0] neg_lo:[0,0,1] neg_hi:[0,0,1]
	v_pk_fma_f32 v[2:3], v[2:3], v[40:41], v[18:19] op_sel:[0,0,1] op_sel_hi:[1,0,0]
	v_mov_b32_e32 v21, v3
	v_pk_add_f32 v[2:3], v[16:17], v[20:21]
	v_mov_b32_e32 v16, v39
	v_pk_mul_f32 v[16:17], v[4:5], v[16:17] op_sel_hi:[1,0]
	v_pk_fma_f32 v[18:19], v[4:5], v[38:39], v[16:17] op_sel:[0,0,1] op_sel_hi:[1,1,0] neg_lo:[0,0,1] neg_hi:[0,0,1]
	v_pk_fma_f32 v[4:5], v[4:5], v[38:39], v[16:17] op_sel:[0,0,1] op_sel_hi:[1,0,0]
	v_mov_b32_e32 v4, v37
	v_mov_b32_e32 v19, v5
	s_waitcnt lgkmcnt(2)
	v_pk_mul_f32 v[4:5], v[6:7], v[4:5] op_sel_hi:[1,0]
	v_pk_fma_f32 v[16:17], v[6:7], v[36:37], v[4:5] op_sel:[0,0,1] op_sel_hi:[1,1,0] neg_lo:[0,0,1] neg_hi:[0,0,1]
	v_pk_fma_f32 v[4:5], v[6:7], v[36:37], v[4:5] op_sel:[0,0,1] op_sel_hi:[1,0,0]
	s_waitcnt vmcnt(7)
	v_mov_b32_e32 v4, v45
	v_mov_b32_e32 v17, v5
	v_pk_mul_f32 v[4:5], v[8:9], v[4:5] op_sel_hi:[1,0]
	v_pk_add_f32 v[2:3], v[2:3], v[18:19]
	v_pk_add_f32 v[2:3], v[2:3], v[16:17]
	s_waitcnt vmcnt(0)
	v_pk_fma_f32 v[6:7], v[8:9], v[44:45], v[4:5] op_sel:[0,0,1] op_sel_hi:[1,1,0] neg_lo:[0,0,1] neg_hi:[0,0,1]
	v_pk_fma_f32 v[4:5], v[8:9], v[44:45], v[4:5] op_sel:[0,0,1] op_sel_hi:[1,0,0]
	v_mov_b32_e32 v4, v53
	v_mov_b32_e32 v7, v5
	s_waitcnt lgkmcnt(1)
	v_pk_mul_f32 v[4:5], v[10:11], v[4:5] op_sel_hi:[1,0]
	v_pk_add_f32 v[2:3], v[2:3], v[6:7]
	v_pk_fma_f32 v[6:7], v[10:11], v[52:53], v[4:5] op_sel:[0,0,1] op_sel_hi:[1,1,0] neg_lo:[0,0,1] neg_hi:[0,0,1]
	v_pk_fma_f32 v[4:5], v[10:11], v[52:53], v[4:5] op_sel:[0,0,1] op_sel_hi:[1,0,0]
	v_mov_b32_e32 v4, v49
	v_mov_b32_e32 v7, v5
	v_pk_mul_f32 v[4:5], v[12:13], v[4:5] op_sel_hi:[1,0]
	v_pk_add_f32 v[2:3], v[2:3], v[6:7]
	v_pk_fma_f32 v[6:7], v[12:13], v[48:49], v[4:5] op_sel:[0,0,1] op_sel_hi:[1,1,0] neg_lo:[0,0,1] neg_hi:[0,0,1]
	v_pk_fma_f32 v[4:5], v[12:13], v[48:49], v[4:5] op_sel:[0,0,1] op_sel_hi:[1,0,0]
	v_mov_b32_e32 v4, v47
	v_mov_b32_e32 v7, v5
	s_waitcnt lgkmcnt(0)
	v_pk_mul_f32 v[4:5], v[14:15], v[4:5] op_sel_hi:[1,0]
	v_pk_add_f32 v[2:3], v[2:3], v[6:7]
	v_pk_fma_f32 v[6:7], v[14:15], v[46:47], v[4:5] op_sel:[0,0,1] op_sel_hi:[1,1,0] neg_lo:[0,0,1] neg_hi:[0,0,1]
	v_pk_fma_f32 v[4:5], v[14:15], v[46:47], v[4:5] op_sel:[0,0,1] op_sel_hi:[1,0,0]
	v_mov_b32_e32 v7, v5
	v_pk_add_f32 v[2:3], v[2:3], v[6:7]
	v_pk_add_f32 v[2:3], v[34:35], v[2:3] neg_lo:[0,1] neg_hi:[0,1]
	buffer_store_dword v3, off, s[0:3], 0 offset:292
	buffer_store_dword v2, off, s[0:3], 0 offset:288
	s_and_saveexec_b64 s[4:5], vcc
	s_cbranch_execz .LBB59_303
; %bb.302:
	buffer_load_dword v2, off, s[0:3], 0 offset:280
	buffer_load_dword v3, off, s[0:3], 0 offset:284
	s_waitcnt vmcnt(0)
	ds_write_b64 v195, v[2:3]
	buffer_store_dword v1, off, s[0:3], 0 offset:280
	buffer_store_dword v1, off, s[0:3], 0 offset:284
.LBB59_303:
	s_or_b64 exec, exec, s[4:5]
	s_waitcnt lgkmcnt(0)
	; wave barrier
	s_waitcnt lgkmcnt(0)
	buffer_load_dword v50, off, s[0:3], 0 offset:292
	buffer_load_dword v52, off, s[0:3], 0 offset:300
	;; [unrolled: 1-line block ×34, first 2 shown]
	ds_read_b128 v[2:5], v1 offset:768
	ds_read_b128 v[6:9], v1 offset:784
	;; [unrolled: 1-line block ×8, first 2 shown]
	buffer_load_dword v37, off, s[0:3], 0 offset:436
	buffer_load_dword v36, off, s[0:3], 0 offset:432
	;; [unrolled: 1-line block ×9, first 2 shown]
	v_cmp_lt_u32_e32 vcc, 34, v0
	s_waitcnt vmcnt(42) lgkmcnt(7)
	v_mul_f32_e32 v42, v2, v50
	s_waitcnt vmcnt(41)
	v_mul_f32_e32 v46, v4, v52
	s_waitcnt vmcnt(40) lgkmcnt(6)
	v_mul_f32_e32 v47, v6, v54
	s_waitcnt vmcnt(39)
	v_mul_f32_e32 v48, v8, v58
	;; [unrolled: 4-line block ×7, first 2 shown]
	s_waitcnt vmcnt(28)
	v_fmac_f32_e32 v42, v3, v69
	s_waitcnt vmcnt(27)
	v_fmac_f32_e32 v46, v5, v70
	v_add_f32_e32 v42, 0, v42
	s_waitcnt vmcnt(26)
	v_fmac_f32_e32 v47, v7, v71
	v_add_f32_e32 v42, v42, v46
	;; [unrolled: 3-line block ×12, first 2 shown]
	v_add_f32_e32 v51, v42, v89
	buffer_load_dword v47, off, s[0:3], 0 offset:460
	buffer_load_dword v46, off, s[0:3], 0 offset:456
	;; [unrolled: 1-line block ×7, first 2 shown]
	v_mul_f32_e32 v3, v3, v50
	v_fma_f32 v2, v2, v69, -v3
	v_mul_f32_e32 v3, v5, v52
	v_add_f32_e32 v2, 0, v2
	v_fma_f32 v3, v4, v70, -v3
	v_add_f32_e32 v2, v2, v3
	v_mul_f32_e32 v3, v7, v54
	v_fma_f32 v3, v6, v71, -v3
	v_add_f32_e32 v2, v2, v3
	v_mul_f32_e32 v3, v9, v58
	;; [unrolled: 3-line block ×12, first 2 shown]
	s_waitcnt vmcnt(22)
	v_fma_f32 v3, v28, v82, -v3
	v_add_f32_e32 v50, v2, v3
	s_waitcnt vmcnt(21) lgkmcnt(0)
	v_mul_f32_e32 v2, v31, v83
	s_waitcnt vmcnt(20)
	v_fma_f32 v52, v30, v84, -v2
	s_waitcnt vmcnt(19)
	v_mul_f32_e32 v2, v33, v85
	s_waitcnt vmcnt(18)
	v_fma_f32 v54, v32, v86, -v2
	ds_read_b128 v[2:5], v1 offset:896
	ds_read_b128 v[6:9], v1 offset:912
	ds_read_b128 v[10:13], v1 offset:928
	ds_read_b128 v[14:17], v1 offset:944
	v_fmac_f32_e32 v90, v29, v82
	v_mul_f32_e32 v53, v30, v83
	s_waitcnt vmcnt(11)
	v_mov_b32_e32 v20, v41
	v_add_f32_e32 v51, v51, v90
	v_fmac_f32_e32 v53, v31, v84
	v_mul_f32_e32 v55, v32, v85
	s_waitcnt lgkmcnt(3)
	v_pk_mul_f32 v[20:21], v[2:3], v[20:21] op_sel_hi:[1,0]
	v_fmac_f32_e32 v55, v33, v86
	v_pk_add_f32 v[18:19], v[50:51], v[52:53]
	s_waitcnt vmcnt(10)
	v_pk_fma_f32 v[22:23], v[2:3], v[40:41], v[20:21] op_sel:[0,0,1] op_sel_hi:[1,1,0] neg_lo:[0,0,1] neg_hi:[0,0,1]
	v_pk_fma_f32 v[2:3], v[2:3], v[40:41], v[20:21] op_sel:[0,0,1] op_sel_hi:[1,0,0]
	v_pk_add_f32 v[18:19], v[18:19], v[54:55]
	v_mov_b32_e32 v23, v3
	v_pk_add_f32 v[2:3], v[18:19], v[22:23]
	v_mov_b32_e32 v18, v39
	v_pk_mul_f32 v[18:19], v[4:5], v[18:19] op_sel_hi:[1,0]
	v_pk_fma_f32 v[20:21], v[4:5], v[38:39], v[18:19] op_sel:[0,0,1] op_sel_hi:[1,1,0] neg_lo:[0,0,1] neg_hi:[0,0,1]
	v_pk_fma_f32 v[4:5], v[4:5], v[38:39], v[18:19] op_sel:[0,0,1] op_sel_hi:[1,0,0]
	v_mov_b32_e32 v4, v37
	v_mov_b32_e32 v21, v5
	s_waitcnt lgkmcnt(2)
	v_pk_mul_f32 v[4:5], v[6:7], v[4:5] op_sel_hi:[1,0]
	v_pk_fma_f32 v[18:19], v[6:7], v[36:37], v[4:5] op_sel:[0,0,1] op_sel_hi:[1,1,0] neg_lo:[0,0,1] neg_hi:[0,0,1]
	v_pk_fma_f32 v[4:5], v[6:7], v[36:37], v[4:5] op_sel:[0,0,1] op_sel_hi:[1,0,0]
	s_waitcnt vmcnt(9)
	v_mov_b32_e32 v4, v43
	v_mov_b32_e32 v19, v5
	v_pk_mul_f32 v[4:5], v[8:9], v[4:5] op_sel_hi:[1,0]
	v_pk_add_f32 v[2:3], v[2:3], v[20:21]
	v_pk_add_f32 v[2:3], v[2:3], v[18:19]
	s_waitcnt vmcnt(2)
	v_pk_fma_f32 v[6:7], v[8:9], v[42:43], v[4:5] op_sel:[0,0,1] op_sel_hi:[1,1,0] neg_lo:[0,0,1] neg_hi:[0,0,1]
	v_pk_fma_f32 v[4:5], v[8:9], v[42:43], v[4:5] op_sel:[0,0,1] op_sel_hi:[1,0,0]
	v_mov_b32_e32 v4, v49
	v_mov_b32_e32 v7, v5
	s_waitcnt lgkmcnt(1)
	v_pk_mul_f32 v[4:5], v[10:11], v[4:5] op_sel_hi:[1,0]
	v_pk_add_f32 v[2:3], v[2:3], v[6:7]
	v_pk_fma_f32 v[6:7], v[10:11], v[48:49], v[4:5] op_sel:[0,0,1] op_sel_hi:[1,1,0] neg_lo:[0,0,1] neg_hi:[0,0,1]
	v_pk_fma_f32 v[4:5], v[10:11], v[48:49], v[4:5] op_sel:[0,0,1] op_sel_hi:[1,0,0]
	v_mov_b32_e32 v4, v47
	v_mov_b32_e32 v7, v5
	v_pk_mul_f32 v[4:5], v[12:13], v[4:5] op_sel_hi:[1,0]
	v_pk_add_f32 v[2:3], v[2:3], v[6:7]
	v_pk_fma_f32 v[6:7], v[12:13], v[46:47], v[4:5] op_sel:[0,0,1] op_sel_hi:[1,1,0] neg_lo:[0,0,1] neg_hi:[0,0,1]
	v_pk_fma_f32 v[4:5], v[12:13], v[46:47], v[4:5] op_sel:[0,0,1] op_sel_hi:[1,0,0]
	v_mov_b32_e32 v4, v45
	v_mov_b32_e32 v7, v5
	s_waitcnt lgkmcnt(0)
	v_pk_mul_f32 v[4:5], v[14:15], v[4:5] op_sel_hi:[1,0]
	v_pk_add_f32 v[2:3], v[2:3], v[6:7]
	v_pk_fma_f32 v[6:7], v[14:15], v[44:45], v[4:5] op_sel:[0,0,1] op_sel_hi:[1,1,0] neg_lo:[0,0,1] neg_hi:[0,0,1]
	v_pk_fma_f32 v[4:5], v[14:15], v[44:45], v[4:5] op_sel:[0,0,1] op_sel_hi:[1,0,0]
	s_waitcnt vmcnt(1)
	v_mov_b32_e32 v4, v57
	v_mov_b32_e32 v7, v5
	v_pk_mul_f32 v[4:5], v[16:17], v[4:5] op_sel_hi:[1,0]
	v_pk_add_f32 v[2:3], v[2:3], v[6:7]
	s_waitcnt vmcnt(0)
	v_pk_fma_f32 v[6:7], v[16:17], v[56:57], v[4:5] op_sel:[0,0,1] op_sel_hi:[1,1,0] neg_lo:[0,0,1] neg_hi:[0,0,1]
	v_pk_fma_f32 v[4:5], v[16:17], v[56:57], v[4:5] op_sel:[0,0,1] op_sel_hi:[1,0,0]
	v_mov_b32_e32 v7, v5
	v_pk_add_f32 v[2:3], v[2:3], v[6:7]
	v_pk_add_f32 v[2:3], v[34:35], v[2:3] neg_lo:[0,1] neg_hi:[0,1]
	buffer_store_dword v3, off, s[0:3], 0 offset:284
	buffer_store_dword v2, off, s[0:3], 0 offset:280
	s_and_saveexec_b64 s[4:5], vcc
	s_cbranch_execz .LBB59_305
; %bb.304:
	buffer_load_dword v2, off, s[0:3], 0 offset:272
	buffer_load_dword v3, off, s[0:3], 0 offset:276
	v_mov_b32_e32 v1, 0
	buffer_store_dword v1, off, s[0:3], 0 offset:272
	buffer_store_dword v1, off, s[0:3], 0 offset:276
	s_waitcnt vmcnt(2)
	ds_write_b64 v195, v[2:3]
.LBB59_305:
	s_or_b64 exec, exec, s[4:5]
	s_waitcnt lgkmcnt(0)
	; wave barrier
	s_waitcnt lgkmcnt(0)
	buffer_load_dword v56, off, s[0:3], 0 offset:284
	buffer_load_dword v58, off, s[0:3], 0 offset:292
	buffer_load_dword v60, off, s[0:3], 0 offset:300
	buffer_load_dword v66, off, s[0:3], 0 offset:308
	buffer_load_dword v67, off, s[0:3], 0 offset:316
	buffer_load_dword v68, off, s[0:3], 0 offset:324
	buffer_load_dword v69, off, s[0:3], 0 offset:332
	buffer_load_dword v70, off, s[0:3], 0 offset:340
	buffer_load_dword v71, off, s[0:3], 0 offset:348
	buffer_load_dword v72, off, s[0:3], 0 offset:356
	buffer_load_dword v73, off, s[0:3], 0 offset:364
	buffer_load_dword v74, off, s[0:3], 0 offset:372
	buffer_load_dword v75, off, s[0:3], 0 offset:380
	buffer_load_dword v76, off, s[0:3], 0 offset:388
	buffer_load_dword v77, off, s[0:3], 0 offset:396
	buffer_load_dword v78, off, s[0:3], 0 offset:280
	buffer_load_dword v79, off, s[0:3], 0 offset:288
	buffer_load_dword v80, off, s[0:3], 0 offset:296
	buffer_load_dword v81, off, s[0:3], 0 offset:304
	buffer_load_dword v82, off, s[0:3], 0 offset:312
	buffer_load_dword v83, off, s[0:3], 0 offset:320
	buffer_load_dword v84, off, s[0:3], 0 offset:328
	buffer_load_dword v85, off, s[0:3], 0 offset:336
	buffer_load_dword v86, off, s[0:3], 0 offset:344
	buffer_load_dword v87, off, s[0:3], 0 offset:352
	buffer_load_dword v88, off, s[0:3], 0 offset:360
	buffer_load_dword v89, off, s[0:3], 0 offset:368
	buffer_load_dword v90, off, s[0:3], 0 offset:376
	buffer_load_dword v91, off, s[0:3], 0 offset:384
	buffer_load_dword v92, off, s[0:3], 0 offset:392
	buffer_load_dword v93, off, s[0:3], 0 offset:404
	buffer_load_dword v94, off, s[0:3], 0 offset:400
	buffer_load_dword v95, off, s[0:3], 0 offset:412
	buffer_load_dword v96, off, s[0:3], 0 offset:408
	buffer_load_dword v2, off, s[0:3], 0 offset:272
	buffer_load_dword v3, off, s[0:3], 0 offset:276
	v_mov_b32_e32 v1, 0
	buffer_load_dword v45, off, s[0:3], 0 offset:428
	buffer_load_dword v44, off, s[0:3], 0 offset:424
	;; [unrolled: 1-line block ×5, first 2 shown]
	ds_read2_b64 v[4:7], v1 offset0:95 offset1:96
	ds_read2_b64 v[8:11], v1 offset0:97 offset1:98
	;; [unrolled: 1-line block ×8, first 2 shown]
	v_cmp_lt_u32_e32 vcc, 33, v0
	s_waitcnt vmcnt(40) lgkmcnt(7)
	v_mul_f32_e32 v36, v4, v56
	s_waitcnt vmcnt(39)
	v_mul_f32_e32 v37, v6, v58
	s_waitcnt vmcnt(38) lgkmcnt(6)
	v_mul_f32_e32 v38, v8, v60
	s_waitcnt vmcnt(37)
	v_mul_f32_e32 v39, v10, v66
	;; [unrolled: 4-line block ×7, first 2 shown]
	s_waitcnt vmcnt(26) lgkmcnt(0)
	v_mul_f32_e32 v57, v32, v77
	s_waitcnt vmcnt(25)
	v_fmac_f32_e32 v36, v5, v78
	s_waitcnt vmcnt(24)
	v_fmac_f32_e32 v37, v7, v79
	v_add_f32_e32 v36, 0, v36
	s_waitcnt vmcnt(23)
	v_fmac_f32_e32 v38, v9, v80
	v_add_f32_e32 v36, v36, v37
	s_waitcnt vmcnt(22)
	v_fmac_f32_e32 v39, v11, v81
	v_add_f32_e32 v36, v36, v38
	s_waitcnt vmcnt(21)
	v_fmac_f32_e32 v40, v13, v82
	v_add_f32_e32 v36, v36, v39
	s_waitcnt vmcnt(20)
	v_fmac_f32_e32 v41, v15, v83
	v_add_f32_e32 v36, v36, v40
	s_waitcnt vmcnt(19)
	v_fmac_f32_e32 v42, v17, v84
	v_add_f32_e32 v36, v36, v41
	s_waitcnt vmcnt(18)
	v_fmac_f32_e32 v43, v19, v85
	v_add_f32_e32 v36, v36, v42
	s_waitcnt vmcnt(17)
	v_fmac_f32_e32 v48, v21, v86
	v_add_f32_e32 v36, v36, v43
	s_waitcnt vmcnt(16)
	v_fmac_f32_e32 v50, v23, v87
	v_add_f32_e32 v36, v36, v48
	s_waitcnt vmcnt(15)
	v_fmac_f32_e32 v51, v25, v88
	v_add_f32_e32 v36, v36, v50
	s_waitcnt vmcnt(14)
	v_fmac_f32_e32 v52, v27, v89
	v_add_f32_e32 v36, v36, v51
	s_waitcnt vmcnt(13)
	v_fmac_f32_e32 v53, v29, v90
	v_add_f32_e32 v36, v36, v52
	s_waitcnt vmcnt(12)
	v_fmac_f32_e32 v54, v31, v91
	v_add_f32_e32 v36, v36, v53
	v_add_f32_e32 v40, v36, v54
	buffer_load_dword v51, off, s[0:3], 0 offset:460
	buffer_load_dword v50, off, s[0:3], 0 offset:456
	;; [unrolled: 1-line block ×7, first 2 shown]
	s_waitcnt vmcnt(18)
	v_fmac_f32_e32 v57, v33, v92
	ds_read2_b64 v[36:39], v1 offset0:111 offset1:112
	v_add_f32_e32 v57, v40, v57
	ds_read2_b64 v[40:43], v1 offset0:113 offset1:114
	buffer_load_dword v63, off, s[0:3], 0 offset:476
	buffer_load_dword v62, off, s[0:3], 0 offset:472
	;; [unrolled: 1-line block ×4, first 2 shown]
	v_mul_f32_e32 v5, v5, v56
	v_fma_f32 v4, v4, v78, -v5
	v_mul_f32_e32 v5, v7, v58
	v_add_f32_e32 v4, 0, v4
	v_fma_f32 v5, v6, v79, -v5
	v_add_f32_e32 v4, v4, v5
	v_mul_f32_e32 v5, v9, v60
	v_fma_f32 v5, v8, v80, -v5
	v_add_f32_e32 v4, v4, v5
	v_mul_f32_e32 v5, v11, v66
	;; [unrolled: 3-line block ×13, first 2 shown]
	v_fma_f32 v5, v32, v92, -v5
	s_waitcnt vmcnt(13)
	v_mov_b32_e32 v16, v47
	v_mul_f32_e32 v59, v34, v93
	v_add_f32_e32 v56, v4, v5
	v_mul_f32_e32 v4, v35, v93
	s_waitcnt lgkmcnt(1)
	v_pk_mul_f32 v[16:17], v[38:39], v[16:17] op_sel_hi:[1,0]
	v_fmac_f32_e32 v59, v35, v94
	v_mul_f32_e32 v61, v36, v95
	v_fma_f32 v58, v34, v94, -v4
	v_mul_f32_e32 v4, v37, v95
	s_waitcnt vmcnt(12)
	v_pk_fma_f32 v[18:19], v[38:39], v[46:47], v[16:17] op_sel:[0,0,1] op_sel_hi:[1,1,0] neg_lo:[0,0,1] neg_hi:[0,0,1]
	v_pk_fma_f32 v[16:17], v[38:39], v[46:47], v[16:17] op_sel:[0,0,1] op_sel_hi:[1,0,0]
	v_fmac_f32_e32 v61, v37, v96
	v_fma_f32 v60, v36, v96, -v4
	v_pk_add_f32 v[14:15], v[56:57], v[58:59]
	v_mov_b32_e32 v16, v45
	v_pk_add_f32 v[14:15], v[14:15], v[60:61]
	v_mov_b32_e32 v19, v17
	s_waitcnt lgkmcnt(0)
	v_pk_mul_f32 v[16:17], v[40:41], v[16:17] op_sel_hi:[1,0]
	v_pk_add_f32 v[14:15], v[14:15], v[18:19]
	v_pk_fma_f32 v[18:19], v[40:41], v[44:45], v[16:17] op_sel:[0,0,1] op_sel_hi:[1,1,0] neg_lo:[0,0,1] neg_hi:[0,0,1]
	v_pk_fma_f32 v[16:17], v[40:41], v[44:45], v[16:17] op_sel:[0,0,1] op_sel_hi:[1,0,0]
	s_waitcnt vmcnt(11)
	v_mov_b32_e32 v16, v49
	ds_read2_b64 v[4:7], v1 offset0:115 offset1:116
	ds_read2_b64 v[8:11], v1 offset0:117 offset1:118
	ds_read_b64 v[12:13], v1 offset:952
	v_mov_b32_e32 v19, v17
	v_pk_mul_f32 v[16:17], v[42:43], v[16:17] op_sel_hi:[1,0]
	v_pk_add_f32 v[14:15], v[14:15], v[18:19]
	s_waitcnt vmcnt(4)
	v_pk_fma_f32 v[18:19], v[42:43], v[48:49], v[16:17] op_sel:[0,0,1] op_sel_hi:[1,1,0] neg_lo:[0,0,1] neg_hi:[0,0,1]
	v_pk_fma_f32 v[16:17], v[42:43], v[48:49], v[16:17] op_sel:[0,0,1] op_sel_hi:[1,0,0]
	v_mov_b32_e32 v16, v55
	v_mov_b32_e32 v19, v17
	s_waitcnt lgkmcnt(2)
	v_pk_mul_f32 v[16:17], v[4:5], v[16:17] op_sel_hi:[1,0]
	v_pk_add_f32 v[14:15], v[14:15], v[18:19]
	v_pk_fma_f32 v[18:19], v[4:5], v[54:55], v[16:17] op_sel:[0,0,1] op_sel_hi:[1,1,0] neg_lo:[0,0,1] neg_hi:[0,0,1]
	v_pk_fma_f32 v[4:5], v[4:5], v[54:55], v[16:17] op_sel:[0,0,1] op_sel_hi:[1,0,0]
	v_mov_b32_e32 v19, v5
	v_pk_add_f32 v[4:5], v[14:15], v[18:19]
	v_mov_b32_e32 v14, v53
	v_pk_mul_f32 v[14:15], v[6:7], v[14:15] op_sel_hi:[1,0]
	v_pk_fma_f32 v[16:17], v[6:7], v[52:53], v[14:15] op_sel:[0,0,1] op_sel_hi:[1,1,0] neg_lo:[0,0,1] neg_hi:[0,0,1]
	v_pk_fma_f32 v[6:7], v[6:7], v[52:53], v[14:15] op_sel:[0,0,1] op_sel_hi:[1,0,0]
	v_mov_b32_e32 v6, v51
	v_mov_b32_e32 v17, v7
	s_waitcnt lgkmcnt(1)
	v_pk_mul_f32 v[6:7], v[8:9], v[6:7] op_sel_hi:[1,0]
	v_pk_fma_f32 v[14:15], v[8:9], v[50:51], v[6:7] op_sel:[0,0,1] op_sel_hi:[1,1,0] neg_lo:[0,0,1] neg_hi:[0,0,1]
	v_pk_fma_f32 v[6:7], v[8:9], v[50:51], v[6:7] op_sel:[0,0,1] op_sel_hi:[1,0,0]
	s_waitcnt vmcnt(1)
	v_mov_b32_e32 v6, v65
	v_mov_b32_e32 v15, v7
	v_pk_mul_f32 v[6:7], v[10:11], v[6:7] op_sel_hi:[1,0]
	s_waitcnt vmcnt(0)
	v_pk_fma_f32 v[8:9], v[10:11], v[64:65], v[6:7] op_sel:[0,0,1] op_sel_hi:[1,1,0] neg_lo:[0,0,1] neg_hi:[0,0,1]
	v_pk_fma_f32 v[6:7], v[10:11], v[64:65], v[6:7] op_sel:[0,0,1] op_sel_hi:[1,0,0]
	v_pk_add_f32 v[4:5], v[4:5], v[16:17]
	v_mov_b32_e32 v6, v63
	v_pk_add_f32 v[4:5], v[4:5], v[14:15]
	v_mov_b32_e32 v9, v7
	s_waitcnt lgkmcnt(0)
	v_pk_mul_f32 v[6:7], v[12:13], v[6:7] op_sel_hi:[1,0]
	v_pk_add_f32 v[4:5], v[4:5], v[8:9]
	v_pk_fma_f32 v[8:9], v[12:13], v[62:63], v[6:7] op_sel:[0,0,1] op_sel_hi:[1,1,0] neg_lo:[0,0,1] neg_hi:[0,0,1]
	v_pk_fma_f32 v[6:7], v[12:13], v[62:63], v[6:7] op_sel:[0,0,1] op_sel_hi:[1,0,0]
	v_mov_b32_e32 v9, v7
	v_pk_add_f32 v[4:5], v[4:5], v[8:9]
	v_pk_add_f32 v[2:3], v[2:3], v[4:5] neg_lo:[0,1] neg_hi:[0,1]
	buffer_store_dword v3, off, s[0:3], 0 offset:276
	buffer_store_dword v2, off, s[0:3], 0 offset:272
	s_and_saveexec_b64 s[4:5], vcc
	s_cbranch_execz .LBB59_307
; %bb.306:
	buffer_load_dword v2, off, s[0:3], 0 offset:264
	buffer_load_dword v3, off, s[0:3], 0 offset:268
	s_waitcnt vmcnt(0)
	ds_write_b64 v195, v[2:3]
	buffer_store_dword v1, off, s[0:3], 0 offset:264
	buffer_store_dword v1, off, s[0:3], 0 offset:268
.LBB59_307:
	s_or_b64 exec, exec, s[4:5]
	s_waitcnt lgkmcnt(0)
	; wave barrier
	s_waitcnt lgkmcnt(0)
	buffer_load_dword v54, off, s[0:3], 0 offset:276
	buffer_load_dword v56, off, s[0:3], 0 offset:284
	;; [unrolled: 1-line block ×38, first 2 shown]
	ds_read_b128 v[2:5], v1 offset:752
	ds_read_b128 v[6:9], v1 offset:768
	;; [unrolled: 1-line block ×8, first 2 shown]
	buffer_load_dword v45, off, s[0:3], 0 offset:420
	buffer_load_dword v44, off, s[0:3], 0 offset:416
	;; [unrolled: 1-line block ×4, first 2 shown]
	v_cmp_lt_u32_e32 vcc, 32, v0
	s_waitcnt vmcnt(41) lgkmcnt(7)
	v_mul_f32_e32 v34, v2, v54
	s_waitcnt vmcnt(40)
	v_mul_f32_e32 v35, v4, v56
	s_waitcnt vmcnt(39) lgkmcnt(6)
	v_mul_f32_e32 v36, v6, v58
	s_waitcnt vmcnt(38)
	v_mul_f32_e32 v37, v8, v66
	;; [unrolled: 4-line block ×7, first 2 shown]
	s_waitcnt vmcnt(27) lgkmcnt(0)
	v_mul_f32_e32 v55, v30, v77
	s_waitcnt vmcnt(26)
	v_fmac_f32_e32 v34, v3, v78
	s_waitcnt vmcnt(25)
	v_fmac_f32_e32 v35, v5, v79
	v_add_f32_e32 v34, 0, v34
	s_waitcnt vmcnt(24)
	v_fmac_f32_e32 v36, v7, v80
	v_add_f32_e32 v34, v34, v35
	;; [unrolled: 3-line block ×13, first 2 shown]
	v_add_f32_e32 v34, v34, v53
	buffer_load_dword v49, off, s[0:3], 0 offset:444
	buffer_load_dword v48, off, s[0:3], 0 offset:440
	;; [unrolled: 1-line block ×6, first 2 shown]
	s_waitcnt vmcnt(18)
	v_fmac_f32_e32 v55, v31, v92
	s_waitcnt vmcnt(17)
	v_mul_f32_e32 v39, v32, v93
	v_add_f32_e32 v38, v34, v55
	s_waitcnt vmcnt(16)
	v_fmac_f32_e32 v39, v33, v94
	ds_read_b128 v[34:37], v1 offset:880
	v_add_f32_e32 v55, v38, v39
	ds_read_b128 v[38:41], v1 offset:896
	buffer_load_dword v61, off, s[0:3], 0 offset:476
	buffer_load_dword v60, off, s[0:3], 0 offset:472
	;; [unrolled: 1-line block ×6, first 2 shown]
	v_mul_f32_e32 v3, v3, v54
	v_fma_f32 v2, v2, v78, -v3
	v_mul_f32_e32 v3, v5, v56
	v_add_f32_e32 v2, 0, v2
	v_fma_f32 v3, v4, v79, -v3
	v_add_f32_e32 v2, v2, v3
	v_mul_f32_e32 v3, v7, v58
	v_fma_f32 v3, v6, v80, -v3
	v_add_f32_e32 v2, v2, v3
	v_mul_f32_e32 v3, v9, v66
	;; [unrolled: 3-line block ×14, first 2 shown]
	v_fma_f32 v3, v32, v94, -v3
	s_waitcnt vmcnt(15)
	v_mov_b32_e32 v16, v45
	s_waitcnt lgkmcnt(1)
	v_mul_f32_e32 v57, v34, v95
	v_add_f32_e32 v54, v2, v3
	v_mul_f32_e32 v2, v35, v95
	s_waitcnt lgkmcnt(0)
	v_pk_mul_f32 v[16:17], v[38:39], v[16:17] op_sel_hi:[1,0]
	v_fmac_f32_e32 v57, v35, v96
	v_mul_f32_e32 v59, v36, v97
	v_fma_f32 v56, v34, v96, -v2
	v_mul_f32_e32 v2, v37, v97
	s_waitcnt vmcnt(14)
	v_pk_fma_f32 v[18:19], v[38:39], v[44:45], v[16:17] op_sel:[0,0,1] op_sel_hi:[1,1,0] neg_lo:[0,0,1] neg_hi:[0,0,1]
	v_pk_fma_f32 v[16:17], v[38:39], v[44:45], v[16:17] op_sel:[0,0,1] op_sel_hi:[1,0,0]
	v_fmac_f32_e32 v59, v37, v98
	v_fma_f32 v58, v36, v98, -v2
	v_pk_add_f32 v[14:15], v[54:55], v[56:57]
	ds_read_b128 v[2:5], v1 offset:912
	ds_read_b128 v[6:9], v1 offset:928
	;; [unrolled: 1-line block ×3, first 2 shown]
	v_pk_add_f32 v[14:15], v[14:15], v[58:59]
	v_mov_b32_e32 v19, v17
	v_pk_add_f32 v[14:15], v[14:15], v[18:19]
	s_waitcnt vmcnt(7)
	v_mov_b32_e32 v16, v53
	v_pk_mul_f32 v[16:17], v[40:41], v[16:17] op_sel_hi:[1,0]
	s_waitcnt vmcnt(6)
	v_pk_fma_f32 v[18:19], v[40:41], v[52:53], v[16:17] op_sel:[0,0,1] op_sel_hi:[1,1,0] neg_lo:[0,0,1] neg_hi:[0,0,1]
	v_pk_fma_f32 v[16:17], v[40:41], v[52:53], v[16:17] op_sel:[0,0,1] op_sel_hi:[1,0,0]
	v_mov_b32_e32 v16, v51
	v_mov_b32_e32 v19, v17
	s_waitcnt lgkmcnt(2)
	v_pk_mul_f32 v[16:17], v[2:3], v[16:17] op_sel_hi:[1,0]
	v_pk_add_f32 v[14:15], v[14:15], v[18:19]
	v_pk_fma_f32 v[18:19], v[2:3], v[50:51], v[16:17] op_sel:[0,0,1] op_sel_hi:[1,1,0] neg_lo:[0,0,1] neg_hi:[0,0,1]
	v_pk_fma_f32 v[2:3], v[2:3], v[50:51], v[16:17] op_sel:[0,0,1] op_sel_hi:[1,0,0]
	v_mov_b32_e32 v19, v3
	v_pk_add_f32 v[2:3], v[14:15], v[18:19]
	v_mov_b32_e32 v14, v49
	v_pk_mul_f32 v[14:15], v[4:5], v[14:15] op_sel_hi:[1,0]
	v_pk_fma_f32 v[16:17], v[4:5], v[48:49], v[14:15] op_sel:[0,0,1] op_sel_hi:[1,1,0] neg_lo:[0,0,1] neg_hi:[0,0,1]
	v_pk_fma_f32 v[4:5], v[4:5], v[48:49], v[14:15] op_sel:[0,0,1] op_sel_hi:[1,0,0]
	v_mov_b32_e32 v4, v47
	v_mov_b32_e32 v17, v5
	s_waitcnt lgkmcnt(1)
	v_pk_mul_f32 v[4:5], v[6:7], v[4:5] op_sel_hi:[1,0]
	v_pk_fma_f32 v[14:15], v[6:7], v[46:47], v[4:5] op_sel:[0,0,1] op_sel_hi:[1,1,0] neg_lo:[0,0,1] neg_hi:[0,0,1]
	v_pk_fma_f32 v[4:5], v[6:7], v[46:47], v[4:5] op_sel:[0,0,1] op_sel_hi:[1,0,0]
	s_waitcnt vmcnt(1)
	v_mov_b32_e32 v4, v65
	v_mov_b32_e32 v15, v5
	v_pk_mul_f32 v[4:5], v[8:9], v[4:5] op_sel_hi:[1,0]
	s_waitcnt vmcnt(0)
	v_pk_fma_f32 v[6:7], v[8:9], v[64:65], v[4:5] op_sel:[0,0,1] op_sel_hi:[1,1,0] neg_lo:[0,0,1] neg_hi:[0,0,1]
	v_pk_fma_f32 v[4:5], v[8:9], v[64:65], v[4:5] op_sel:[0,0,1] op_sel_hi:[1,0,0]
	v_pk_add_f32 v[2:3], v[2:3], v[16:17]
	v_mov_b32_e32 v4, v63
	v_pk_add_f32 v[2:3], v[2:3], v[14:15]
	v_mov_b32_e32 v7, v5
	s_waitcnt lgkmcnt(0)
	v_pk_mul_f32 v[4:5], v[10:11], v[4:5] op_sel_hi:[1,0]
	v_pk_add_f32 v[2:3], v[2:3], v[6:7]
	v_pk_fma_f32 v[6:7], v[10:11], v[62:63], v[4:5] op_sel:[0,0,1] op_sel_hi:[1,1,0] neg_lo:[0,0,1] neg_hi:[0,0,1]
	v_pk_fma_f32 v[4:5], v[10:11], v[62:63], v[4:5] op_sel:[0,0,1] op_sel_hi:[1,0,0]
	v_mov_b32_e32 v4, v61
	v_mov_b32_e32 v7, v5
	v_pk_mul_f32 v[4:5], v[12:13], v[4:5] op_sel_hi:[1,0]
	v_pk_add_f32 v[2:3], v[2:3], v[6:7]
	v_pk_fma_f32 v[6:7], v[12:13], v[60:61], v[4:5] op_sel:[0,0,1] op_sel_hi:[1,1,0] neg_lo:[0,0,1] neg_hi:[0,0,1]
	v_pk_fma_f32 v[4:5], v[12:13], v[60:61], v[4:5] op_sel:[0,0,1] op_sel_hi:[1,0,0]
	v_mov_b32_e32 v7, v5
	v_pk_add_f32 v[2:3], v[2:3], v[6:7]
	v_pk_add_f32 v[2:3], v[42:43], v[2:3] neg_lo:[0,1] neg_hi:[0,1]
	buffer_store_dword v3, off, s[0:3], 0 offset:268
	buffer_store_dword v2, off, s[0:3], 0 offset:264
	s_and_saveexec_b64 s[4:5], vcc
	s_cbranch_execz .LBB59_309
; %bb.308:
	buffer_load_dword v2, off, s[0:3], 0 offset:256
	buffer_load_dword v3, off, s[0:3], 0 offset:260
	v_mov_b32_e32 v1, 0
	buffer_store_dword v1, off, s[0:3], 0 offset:256
	buffer_store_dword v1, off, s[0:3], 0 offset:260
	s_waitcnt vmcnt(2)
	ds_write_b64 v195, v[2:3]
.LBB59_309:
	s_or_b64 exec, exec, s[4:5]
	s_waitcnt lgkmcnt(0)
	; wave barrier
	s_waitcnt lgkmcnt(0)
	buffer_load_dword v52, off, s[0:3], 0 offset:268
	buffer_load_dword v54, off, s[0:3], 0 offset:276
	buffer_load_dword v56, off, s[0:3], 0 offset:284
	buffer_load_dword v66, off, s[0:3], 0 offset:292
	buffer_load_dword v67, off, s[0:3], 0 offset:300
	buffer_load_dword v68, off, s[0:3], 0 offset:308
	buffer_load_dword v69, off, s[0:3], 0 offset:316
	buffer_load_dword v70, off, s[0:3], 0 offset:324
	buffer_load_dword v71, off, s[0:3], 0 offset:332
	buffer_load_dword v72, off, s[0:3], 0 offset:340
	buffer_load_dword v73, off, s[0:3], 0 offset:348
	buffer_load_dword v74, off, s[0:3], 0 offset:356
	buffer_load_dword v75, off, s[0:3], 0 offset:364
	buffer_load_dword v76, off, s[0:3], 0 offset:372
	buffer_load_dword v77, off, s[0:3], 0 offset:380
	buffer_load_dword v78, off, s[0:3], 0 offset:388
	buffer_load_dword v79, off, s[0:3], 0 offset:264
	buffer_load_dword v80, off, s[0:3], 0 offset:272
	buffer_load_dword v81, off, s[0:3], 0 offset:280
	buffer_load_dword v82, off, s[0:3], 0 offset:288
	buffer_load_dword v83, off, s[0:3], 0 offset:296
	buffer_load_dword v84, off, s[0:3], 0 offset:304
	buffer_load_dword v85, off, s[0:3], 0 offset:312
	buffer_load_dword v86, off, s[0:3], 0 offset:320
	buffer_load_dword v87, off, s[0:3], 0 offset:328
	buffer_load_dword v88, off, s[0:3], 0 offset:336
	buffer_load_dword v89, off, s[0:3], 0 offset:344
	buffer_load_dword v90, off, s[0:3], 0 offset:352
	buffer_load_dword v91, off, s[0:3], 0 offset:360
	buffer_load_dword v92, off, s[0:3], 0 offset:368
	buffer_load_dword v93, off, s[0:3], 0 offset:376
	buffer_load_dword v94, off, s[0:3], 0 offset:384
	buffer_load_dword v95, off, s[0:3], 0 offset:396
	buffer_load_dword v96, off, s[0:3], 0 offset:392
	buffer_load_dword v97, off, s[0:3], 0 offset:404
	buffer_load_dword v98, off, s[0:3], 0 offset:400
	buffer_load_dword v99, off, s[0:3], 0 offset:412
	buffer_load_dword v100, off, s[0:3], 0 offset:408
	buffer_load_dword v2, off, s[0:3], 0 offset:256
	buffer_load_dword v3, off, s[0:3], 0 offset:260
	v_mov_b32_e32 v1, 0
	ds_read2_b64 v[4:7], v1 offset0:93 offset1:94
	ds_read2_b64 v[8:11], v1 offset0:95 offset1:96
	;; [unrolled: 1-line block ×8, first 2 shown]
	v_cmp_lt_u32_e32 vcc, 31, v0
	s_waitcnt vmcnt(39) lgkmcnt(7)
	v_mul_f32_e32 v36, v4, v52
	s_waitcnt vmcnt(38)
	v_mul_f32_e32 v37, v6, v54
	s_waitcnt vmcnt(37) lgkmcnt(6)
	v_mul_f32_e32 v38, v8, v56
	s_waitcnt vmcnt(36)
	v_mul_f32_e32 v39, v10, v66
	;; [unrolled: 4-line block ×8, first 2 shown]
	s_waitcnt vmcnt(23)
	v_fmac_f32_e32 v36, v5, v79
	s_waitcnt vmcnt(22)
	v_fmac_f32_e32 v37, v7, v80
	v_add_f32_e32 v36, 0, v36
	s_waitcnt vmcnt(21)
	v_fmac_f32_e32 v38, v9, v81
	v_add_f32_e32 v36, v36, v37
	;; [unrolled: 3-line block ×14, first 2 shown]
	v_add_f32_e32 v36, v36, v50
	s_waitcnt vmcnt(8)
	v_fmac_f32_e32 v51, v35, v94
	v_add_f32_e32 v53, v36, v51
	ds_read2_b64 v[36:39], v1 offset0:109 offset1:110
	buffer_load_dword v45, off, s[0:3], 0 offset:420
	buffer_load_dword v47, off, s[0:3], 0 offset:444
	;; [unrolled: 1-line block ×8, first 2 shown]
	ds_read2_b64 v[40:43], v1 offset0:111 offset1:112
	buffer_load_dword v59, off, s[0:3], 0 offset:476
	buffer_load_dword v58, off, s[0:3], 0 offset:472
	;; [unrolled: 1-line block ×8, first 2 shown]
	v_mul_f32_e32 v5, v5, v52
	v_fma_f32 v4, v4, v79, -v5
	v_mul_f32_e32 v5, v7, v54
	v_add_f32_e32 v4, 0, v4
	v_fma_f32 v5, v6, v80, -v5
	v_add_f32_e32 v4, v4, v5
	v_mul_f32_e32 v5, v9, v56
	v_fma_f32 v5, v8, v81, -v5
	v_add_f32_e32 v4, v4, v5
	v_mul_f32_e32 v5, v11, v66
	;; [unrolled: 3-line block ×14, first 2 shown]
	v_fma_f32 v5, v34, v94, -v5
	v_add_f32_e32 v4, v4, v5
	s_waitcnt vmcnt(23) lgkmcnt(1)
	v_mul_f32_e32 v5, v37, v95
	v_mul_f32_e32 v55, v36, v95
	s_waitcnt vmcnt(22)
	v_fma_f32 v5, v36, v96, -v5
	v_fmac_f32_e32 v55, v37, v96
	v_add_f32_e32 v52, v4, v5
	s_waitcnt vmcnt(21)
	v_mul_f32_e32 v4, v39, v97
	v_add_f32_e32 v53, v53, v55
	v_mul_f32_e32 v55, v38, v97
	s_waitcnt vmcnt(20)
	v_fma_f32 v54, v38, v98, -v4
	s_waitcnt vmcnt(19) lgkmcnt(0)
	v_mul_f32_e32 v4, v41, v99
	v_fmac_f32_e32 v55, v39, v98
	v_mul_f32_e32 v57, v40, v99
	s_waitcnt vmcnt(18)
	v_fma_f32 v56, v40, v100, -v4
	ds_read2_b64 v[4:7], v1 offset0:113 offset1:114
	ds_read2_b64 v[8:11], v1 offset0:115 offset1:116
	;; [unrolled: 1-line block ×3, first 2 shown]
	ds_read_b64 v[16:17], v1 offset:952
	v_fmac_f32_e32 v57, v41, v100
	v_pk_add_f32 v[18:19], v[52:53], v[54:55]
	v_pk_add_f32 v[18:19], v[18:19], v[56:57]
	s_waitcnt vmcnt(15)
	v_mov_b32_e32 v20, v45
	v_pk_mul_f32 v[20:21], v[42:43], v[20:21] op_sel_hi:[1,0]
	s_waitcnt vmcnt(8)
	v_pk_fma_f32 v[22:23], v[42:43], v[44:45], v[20:21] op_sel:[0,0,1] op_sel_hi:[1,1,0] neg_lo:[0,0,1] neg_hi:[0,0,1]
	v_pk_fma_f32 v[20:21], v[42:43], v[44:45], v[20:21] op_sel:[0,0,1] op_sel_hi:[1,0,0]
	v_mov_b32_e32 v20, v51
	v_mov_b32_e32 v23, v21
	s_waitcnt lgkmcnt(3)
	v_pk_mul_f32 v[20:21], v[4:5], v[20:21] op_sel_hi:[1,0]
	v_pk_add_f32 v[18:19], v[18:19], v[22:23]
	v_pk_fma_f32 v[22:23], v[4:5], v[50:51], v[20:21] op_sel:[0,0,1] op_sel_hi:[1,1,0] neg_lo:[0,0,1] neg_hi:[0,0,1]
	v_pk_fma_f32 v[4:5], v[4:5], v[50:51], v[20:21] op_sel:[0,0,1] op_sel_hi:[1,0,0]
	v_mov_b32_e32 v23, v5
	v_pk_add_f32 v[4:5], v[18:19], v[22:23]
	v_mov_b32_e32 v18, v49
	v_pk_mul_f32 v[18:19], v[6:7], v[18:19] op_sel_hi:[1,0]
	v_pk_fma_f32 v[20:21], v[6:7], v[48:49], v[18:19] op_sel:[0,0,1] op_sel_hi:[1,1,0] neg_lo:[0,0,1] neg_hi:[0,0,1]
	v_pk_fma_f32 v[6:7], v[6:7], v[48:49], v[18:19] op_sel:[0,0,1] op_sel_hi:[1,0,0]
	v_mov_b32_e32 v6, v47
	v_mov_b32_e32 v21, v7
	s_waitcnt lgkmcnt(2)
	v_pk_mul_f32 v[6:7], v[8:9], v[6:7] op_sel_hi:[1,0]
	v_pk_fma_f32 v[18:19], v[8:9], v[46:47], v[6:7] op_sel:[0,0,1] op_sel_hi:[1,1,0] neg_lo:[0,0,1] neg_hi:[0,0,1]
	v_pk_fma_f32 v[6:7], v[8:9], v[46:47], v[6:7] op_sel:[0,0,1] op_sel_hi:[1,0,0]
	s_waitcnt vmcnt(1)
	v_mov_b32_e32 v6, v65
	v_mov_b32_e32 v19, v7
	v_pk_mul_f32 v[6:7], v[10:11], v[6:7] op_sel_hi:[1,0]
	s_waitcnt vmcnt(0)
	v_pk_fma_f32 v[8:9], v[10:11], v[64:65], v[6:7] op_sel:[0,0,1] op_sel_hi:[1,1,0] neg_lo:[0,0,1] neg_hi:[0,0,1]
	v_pk_fma_f32 v[6:7], v[10:11], v[64:65], v[6:7] op_sel:[0,0,1] op_sel_hi:[1,0,0]
	v_pk_add_f32 v[4:5], v[4:5], v[20:21]
	v_mov_b32_e32 v6, v63
	v_pk_add_f32 v[4:5], v[4:5], v[18:19]
	v_mov_b32_e32 v9, v7
	s_waitcnt lgkmcnt(1)
	v_pk_mul_f32 v[6:7], v[12:13], v[6:7] op_sel_hi:[1,0]
	v_pk_add_f32 v[4:5], v[4:5], v[8:9]
	v_pk_fma_f32 v[8:9], v[12:13], v[62:63], v[6:7] op_sel:[0,0,1] op_sel_hi:[1,1,0] neg_lo:[0,0,1] neg_hi:[0,0,1]
	v_pk_fma_f32 v[6:7], v[12:13], v[62:63], v[6:7] op_sel:[0,0,1] op_sel_hi:[1,0,0]
	v_mov_b32_e32 v6, v61
	v_mov_b32_e32 v9, v7
	v_pk_mul_f32 v[6:7], v[14:15], v[6:7] op_sel_hi:[1,0]
	v_pk_add_f32 v[4:5], v[4:5], v[8:9]
	v_pk_fma_f32 v[8:9], v[14:15], v[60:61], v[6:7] op_sel:[0,0,1] op_sel_hi:[1,1,0] neg_lo:[0,0,1] neg_hi:[0,0,1]
	v_pk_fma_f32 v[6:7], v[14:15], v[60:61], v[6:7] op_sel:[0,0,1] op_sel_hi:[1,0,0]
	v_mov_b32_e32 v6, v59
	v_mov_b32_e32 v9, v7
	s_waitcnt lgkmcnt(0)
	v_pk_mul_f32 v[6:7], v[16:17], v[6:7] op_sel_hi:[1,0]
	v_pk_add_f32 v[4:5], v[4:5], v[8:9]
	v_pk_fma_f32 v[8:9], v[16:17], v[58:59], v[6:7] op_sel:[0,0,1] op_sel_hi:[1,1,0] neg_lo:[0,0,1] neg_hi:[0,0,1]
	v_pk_fma_f32 v[6:7], v[16:17], v[58:59], v[6:7] op_sel:[0,0,1] op_sel_hi:[1,0,0]
	v_mov_b32_e32 v9, v7
	v_pk_add_f32 v[4:5], v[4:5], v[8:9]
	v_pk_add_f32 v[2:3], v[2:3], v[4:5] neg_lo:[0,1] neg_hi:[0,1]
	buffer_store_dword v3, off, s[0:3], 0 offset:260
	buffer_store_dword v2, off, s[0:3], 0 offset:256
	s_and_saveexec_b64 s[4:5], vcc
	s_cbranch_execz .LBB59_311
; %bb.310:
	buffer_load_dword v2, off, s[0:3], 0 offset:248
	buffer_load_dword v3, off, s[0:3], 0 offset:252
	s_waitcnt vmcnt(0)
	ds_write_b64 v195, v[2:3]
	buffer_store_dword v1, off, s[0:3], 0 offset:248
	buffer_store_dword v1, off, s[0:3], 0 offset:252
.LBB59_311:
	s_or_b64 exec, exec, s[4:5]
	s_waitcnt lgkmcnt(0)
	; wave barrier
	s_waitcnt lgkmcnt(0)
	buffer_load_dword v44, off, s[0:3], 0 offset:260
	buffer_load_dword v46, off, s[0:3], 0 offset:268
	;; [unrolled: 1-line block ×42, first 2 shown]
	ds_read_b128 v[4:7], v1 offset:736
	ds_read_b128 v[8:11], v1 offset:752
	;; [unrolled: 1-line block ×8, first 2 shown]
	v_cmp_lt_u32_e32 vcc, 30, v0
	s_waitcnt vmcnt(41) lgkmcnt(7)
	v_mul_f32_e32 v36, v4, v44
	s_waitcnt vmcnt(40)
	v_mul_f32_e32 v37, v6, v46
	s_waitcnt vmcnt(39) lgkmcnt(6)
	v_mul_f32_e32 v38, v8, v54
	s_waitcnt vmcnt(38)
	v_mul_f32_e32 v39, v10, v66
	;; [unrolled: 4-line block ×7, first 2 shown]
	s_waitcnt vmcnt(27) lgkmcnt(0)
	v_mul_f32_e32 v52, v32, v77
	s_waitcnt vmcnt(26)
	v_fmac_f32_e32 v36, v5, v78
	s_waitcnt vmcnt(25)
	v_fmac_f32_e32 v37, v7, v79
	v_add_f32_e32 v36, 0, v36
	s_waitcnt vmcnt(24)
	v_fmac_f32_e32 v38, v9, v80
	v_add_f32_e32 v36, v36, v37
	s_waitcnt vmcnt(23)
	v_fmac_f32_e32 v39, v11, v81
	v_add_f32_e32 v36, v36, v38
	s_waitcnt vmcnt(22)
	v_fmac_f32_e32 v40, v13, v82
	v_add_f32_e32 v36, v36, v39
	s_waitcnt vmcnt(21)
	v_fmac_f32_e32 v41, v15, v83
	v_add_f32_e32 v36, v36, v40
	s_waitcnt vmcnt(20)
	v_fmac_f32_e32 v42, v17, v84
	v_add_f32_e32 v36, v36, v41
	s_waitcnt vmcnt(19)
	v_fmac_f32_e32 v43, v19, v85
	v_add_f32_e32 v36, v36, v42
	s_waitcnt vmcnt(18)
	v_fmac_f32_e32 v45, v21, v86
	v_add_f32_e32 v36, v36, v43
	s_waitcnt vmcnt(17)
	v_fmac_f32_e32 v47, v23, v87
	v_add_f32_e32 v36, v36, v45
	s_waitcnt vmcnt(16)
	v_fmac_f32_e32 v48, v25, v88
	v_add_f32_e32 v36, v36, v47
	s_waitcnt vmcnt(15)
	v_fmac_f32_e32 v49, v27, v89
	v_add_f32_e32 v36, v36, v48
	s_waitcnt vmcnt(14)
	v_fmac_f32_e32 v50, v29, v90
	v_add_f32_e32 v36, v36, v49
	s_waitcnt vmcnt(13)
	v_fmac_f32_e32 v51, v31, v91
	v_add_f32_e32 v36, v36, v50
	s_waitcnt vmcnt(12)
	v_fmac_f32_e32 v52, v33, v92
	v_add_f32_e32 v36, v36, v51
	s_waitcnt vmcnt(11)
	v_mul_f32_e32 v41, v34, v93
	v_add_f32_e32 v40, v36, v52
	s_waitcnt vmcnt(10)
	v_fmac_f32_e32 v41, v35, v94
	ds_read_b128 v[36:39], v1 offset:864
	v_add_f32_e32 v45, v40, v41
	ds_read_b128 v[40:43], v1 offset:880
	buffer_load_dword v49, off, s[0:3], 0 offset:420
	buffer_load_dword v51, off, s[0:3], 0 offset:436
	;; [unrolled: 1-line block ×16, first 2 shown]
	v_mul_f32_e32 v5, v5, v44
	v_fma_f32 v4, v4, v78, -v5
	v_mul_f32_e32 v5, v7, v46
	v_add_f32_e32 v4, 0, v4
	v_fma_f32 v5, v6, v79, -v5
	v_add_f32_e32 v4, v4, v5
	v_mul_f32_e32 v5, v9, v54
	v_fma_f32 v5, v8, v80, -v5
	v_add_f32_e32 v4, v4, v5
	v_mul_f32_e32 v5, v11, v66
	;; [unrolled: 3-line block ×14, first 2 shown]
	v_fma_f32 v5, v34, v94, -v5
	v_add_f32_e32 v4, v4, v5
	s_waitcnt vmcnt(25) lgkmcnt(1)
	v_mul_f32_e32 v5, v37, v95
	s_waitcnt vmcnt(24)
	v_fma_f32 v5, v36, v96, -v5
	v_add_f32_e32 v4, v4, v5
	s_waitcnt vmcnt(23)
	v_mul_f32_e32 v5, v39, v97
	v_mul_f32_e32 v47, v36, v95
	s_waitcnt vmcnt(22)
	v_fma_f32 v5, v38, v98, -v5
	v_fmac_f32_e32 v47, v37, v96
	v_add_f32_e32 v44, v4, v5
	s_waitcnt vmcnt(21) lgkmcnt(0)
	v_mul_f32_e32 v4, v41, v99
	v_add_f32_e32 v45, v45, v47
	v_mul_f32_e32 v47, v38, v97
	s_waitcnt vmcnt(20)
	v_fma_f32 v46, v40, v100, -v4
	s_waitcnt vmcnt(19)
	v_mul_f32_e32 v4, v43, v101
	v_fmac_f32_e32 v47, v39, v98
	s_waitcnt vmcnt(18)
	v_fma_f32 v54, v42, v104, -v4
	ds_read_b128 v[4:7], v1 offset:896
	ds_read_b128 v[8:11], v1 offset:912
	;; [unrolled: 1-line block ×4, first 2 shown]
	v_add_f32_e32 v45, v45, v47
	v_mul_f32_e32 v47, v40, v99
	v_fmac_f32_e32 v47, v41, v100
	v_mul_f32_e32 v55, v42, v101
	v_fmac_f32_e32 v55, v43, v104
	v_pk_add_f32 v[20:21], v[44:45], v[46:47]
	v_pk_add_f32 v[20:21], v[20:21], v[54:55]
	s_waitcnt vmcnt(15)
	v_mov_b32_e32 v22, v49
	s_waitcnt lgkmcnt(3)
	v_pk_mul_f32 v[22:23], v[4:5], v[22:23] op_sel_hi:[1,0]
	s_waitcnt vmcnt(10)
	v_pk_fma_f32 v[24:25], v[4:5], v[48:49], v[22:23] op_sel:[0,0,1] op_sel_hi:[1,1,0] neg_lo:[0,0,1] neg_hi:[0,0,1]
	v_pk_fma_f32 v[4:5], v[4:5], v[48:49], v[22:23] op_sel:[0,0,1] op_sel_hi:[1,0,0]
	v_mov_b32_e32 v25, v5
	v_pk_add_f32 v[4:5], v[20:21], v[24:25]
	v_mov_b32_e32 v20, v53
	v_pk_mul_f32 v[20:21], v[6:7], v[20:21] op_sel_hi:[1,0]
	v_pk_fma_f32 v[22:23], v[6:7], v[52:53], v[20:21] op_sel:[0,0,1] op_sel_hi:[1,1,0] neg_lo:[0,0,1] neg_hi:[0,0,1]
	v_pk_fma_f32 v[6:7], v[6:7], v[52:53], v[20:21] op_sel:[0,0,1] op_sel_hi:[1,0,0]
	v_mov_b32_e32 v6, v51
	v_mov_b32_e32 v23, v7
	s_waitcnt lgkmcnt(2)
	v_pk_mul_f32 v[6:7], v[8:9], v[6:7] op_sel_hi:[1,0]
	v_pk_fma_f32 v[20:21], v[8:9], v[50:51], v[6:7] op_sel:[0,0,1] op_sel_hi:[1,1,0] neg_lo:[0,0,1] neg_hi:[0,0,1]
	v_pk_fma_f32 v[6:7], v[8:9], v[50:51], v[6:7] op_sel:[0,0,1] op_sel_hi:[1,0,0]
	s_waitcnt vmcnt(3)
	v_mov_b32_e32 v6, v63
	v_mov_b32_e32 v21, v7
	v_pk_mul_f32 v[6:7], v[10:11], v[6:7] op_sel_hi:[1,0]
	s_waitcnt vmcnt(2)
	v_pk_fma_f32 v[8:9], v[10:11], v[62:63], v[6:7] op_sel:[0,0,1] op_sel_hi:[1,1,0] neg_lo:[0,0,1] neg_hi:[0,0,1]
	v_pk_fma_f32 v[6:7], v[10:11], v[62:63], v[6:7] op_sel:[0,0,1] op_sel_hi:[1,0,0]
	v_pk_add_f32 v[4:5], v[4:5], v[22:23]
	v_mov_b32_e32 v6, v61
	v_pk_add_f32 v[4:5], v[4:5], v[20:21]
	v_mov_b32_e32 v9, v7
	s_waitcnt lgkmcnt(1)
	v_pk_mul_f32 v[6:7], v[12:13], v[6:7] op_sel_hi:[1,0]
	v_pk_add_f32 v[4:5], v[4:5], v[8:9]
	v_pk_fma_f32 v[8:9], v[12:13], v[60:61], v[6:7] op_sel:[0,0,1] op_sel_hi:[1,1,0] neg_lo:[0,0,1] neg_hi:[0,0,1]
	v_pk_fma_f32 v[6:7], v[12:13], v[60:61], v[6:7] op_sel:[0,0,1] op_sel_hi:[1,0,0]
	v_mov_b32_e32 v6, v59
	v_mov_b32_e32 v9, v7
	v_pk_mul_f32 v[6:7], v[14:15], v[6:7] op_sel_hi:[1,0]
	v_pk_add_f32 v[4:5], v[4:5], v[8:9]
	v_pk_fma_f32 v[8:9], v[14:15], v[58:59], v[6:7] op_sel:[0,0,1] op_sel_hi:[1,1,0] neg_lo:[0,0,1] neg_hi:[0,0,1]
	v_pk_fma_f32 v[6:7], v[14:15], v[58:59], v[6:7] op_sel:[0,0,1] op_sel_hi:[1,0,0]
	v_mov_b32_e32 v6, v57
	v_mov_b32_e32 v9, v7
	s_waitcnt lgkmcnt(0)
	v_pk_mul_f32 v[6:7], v[16:17], v[6:7] op_sel_hi:[1,0]
	v_pk_add_f32 v[4:5], v[4:5], v[8:9]
	v_pk_fma_f32 v[8:9], v[16:17], v[56:57], v[6:7] op_sel:[0,0,1] op_sel_hi:[1,1,0] neg_lo:[0,0,1] neg_hi:[0,0,1]
	v_pk_fma_f32 v[6:7], v[16:17], v[56:57], v[6:7] op_sel:[0,0,1] op_sel_hi:[1,0,0]
	s_waitcnt vmcnt(1)
	v_mov_b32_e32 v6, v65
	v_mov_b32_e32 v9, v7
	v_pk_mul_f32 v[6:7], v[18:19], v[6:7] op_sel_hi:[1,0]
	v_pk_add_f32 v[4:5], v[4:5], v[8:9]
	s_waitcnt vmcnt(0)
	v_pk_fma_f32 v[8:9], v[18:19], v[64:65], v[6:7] op_sel:[0,0,1] op_sel_hi:[1,1,0] neg_lo:[0,0,1] neg_hi:[0,0,1]
	v_pk_fma_f32 v[6:7], v[18:19], v[64:65], v[6:7] op_sel:[0,0,1] op_sel_hi:[1,0,0]
	v_mov_b32_e32 v9, v7
	v_pk_add_f32 v[4:5], v[4:5], v[8:9]
	v_pk_add_f32 v[2:3], v[2:3], v[4:5] neg_lo:[0,1] neg_hi:[0,1]
	buffer_store_dword v3, off, s[0:3], 0 offset:252
	buffer_store_dword v2, off, s[0:3], 0 offset:248
	s_and_saveexec_b64 s[4:5], vcc
	s_cbranch_execz .LBB59_313
; %bb.312:
	buffer_load_dword v2, off, s[0:3], 0 offset:240
	buffer_load_dword v3, off, s[0:3], 0 offset:244
	v_mov_b32_e32 v1, 0
	buffer_store_dword v1, off, s[0:3], 0 offset:240
	buffer_store_dword v1, off, s[0:3], 0 offset:244
	s_waitcnt vmcnt(2)
	ds_write_b64 v195, v[2:3]
.LBB59_313:
	s_or_b64 exec, exec, s[4:5]
	s_waitcnt lgkmcnt(0)
	; wave barrier
	s_waitcnt lgkmcnt(0)
	buffer_load_dword v52, off, s[0:3], 0 offset:252
	buffer_load_dword v58, off, s[0:3], 0 offset:260
	buffer_load_dword v60, off, s[0:3], 0 offset:268
	buffer_load_dword v74, off, s[0:3], 0 offset:276
	buffer_load_dword v75, off, s[0:3], 0 offset:284
	buffer_load_dword v76, off, s[0:3], 0 offset:292
	buffer_load_dword v77, off, s[0:3], 0 offset:300
	buffer_load_dword v78, off, s[0:3], 0 offset:308
	buffer_load_dword v79, off, s[0:3], 0 offset:316
	buffer_load_dword v80, off, s[0:3], 0 offset:324
	buffer_load_dword v81, off, s[0:3], 0 offset:332
	buffer_load_dword v82, off, s[0:3], 0 offset:340
	buffer_load_dword v83, off, s[0:3], 0 offset:348
	buffer_load_dword v84, off, s[0:3], 0 offset:356
	buffer_load_dword v85, off, s[0:3], 0 offset:248
	buffer_load_dword v86, off, s[0:3], 0 offset:256
	buffer_load_dword v87, off, s[0:3], 0 offset:264
	buffer_load_dword v88, off, s[0:3], 0 offset:272
	buffer_load_dword v89, off, s[0:3], 0 offset:280
	buffer_load_dword v90, off, s[0:3], 0 offset:288
	buffer_load_dword v91, off, s[0:3], 0 offset:296
	buffer_load_dword v92, off, s[0:3], 0 offset:304
	buffer_load_dword v93, off, s[0:3], 0 offset:312
	buffer_load_dword v94, off, s[0:3], 0 offset:320
	buffer_load_dword v95, off, s[0:3], 0 offset:328
	buffer_load_dword v96, off, s[0:3], 0 offset:336
	buffer_load_dword v97, off, s[0:3], 0 offset:344
	buffer_load_dword v98, off, s[0:3], 0 offset:352
	buffer_load_dword v99, off, s[0:3], 0 offset:364
	buffer_load_dword v100, off, s[0:3], 0 offset:360
	buffer_load_dword v101, off, s[0:3], 0 offset:372
	buffer_load_dword v104, off, s[0:3], 0 offset:368
	buffer_load_dword v105, off, s[0:3], 0 offset:380
	buffer_load_dword v106, off, s[0:3], 0 offset:376
	buffer_load_dword v107, off, s[0:3], 0 offset:388
	buffer_load_dword v108, off, s[0:3], 0 offset:384
	buffer_load_dword v109, off, s[0:3], 0 offset:396
	buffer_load_dword v110, off, s[0:3], 0 offset:392
	buffer_load_dword v111, off, s[0:3], 0 offset:404
	buffer_load_dword v112, off, s[0:3], 0 offset:400
	buffer_load_dword v113, off, s[0:3], 0 offset:412
	buffer_load_dword v114, off, s[0:3], 0 offset:408
	buffer_load_dword v2, off, s[0:3], 0 offset:240
	buffer_load_dword v3, off, s[0:3], 0 offset:244
	v_mov_b32_e32 v1, 0
	ds_read2_b64 v[4:7], v1 offset0:91 offset1:92
	ds_read2_b64 v[8:11], v1 offset0:93 offset1:94
	;; [unrolled: 1-line block ×8, first 2 shown]
	v_cmp_lt_u32_e32 vcc, 29, v0
	s_waitcnt vmcnt(43) lgkmcnt(7)
	v_mul_f32_e32 v36, v4, v52
	s_waitcnt vmcnt(42)
	v_mul_f32_e32 v37, v6, v58
	s_waitcnt vmcnt(41) lgkmcnt(6)
	v_mul_f32_e32 v38, v8, v60
	s_waitcnt vmcnt(40)
	v_mul_f32_e32 v39, v10, v74
	;; [unrolled: 4-line block ×7, first 2 shown]
	s_waitcnt vmcnt(29)
	v_fmac_f32_e32 v36, v5, v85
	s_waitcnt vmcnt(28)
	v_fmac_f32_e32 v37, v7, v86
	v_add_f32_e32 v36, 0, v36
	s_waitcnt vmcnt(27)
	v_fmac_f32_e32 v38, v9, v87
	v_add_f32_e32 v36, v36, v37
	s_waitcnt vmcnt(26)
	v_fmac_f32_e32 v39, v11, v88
	v_add_f32_e32 v36, v36, v38
	s_waitcnt vmcnt(25)
	v_fmac_f32_e32 v40, v13, v89
	v_add_f32_e32 v36, v36, v39
	s_waitcnt vmcnt(24)
	v_fmac_f32_e32 v41, v15, v90
	v_add_f32_e32 v36, v36, v40
	s_waitcnt vmcnt(23)
	v_fmac_f32_e32 v42, v17, v91
	v_add_f32_e32 v36, v36, v41
	s_waitcnt vmcnt(22)
	v_fmac_f32_e32 v43, v19, v92
	v_add_f32_e32 v36, v36, v42
	s_waitcnt vmcnt(21)
	v_fmac_f32_e32 v44, v21, v93
	v_add_f32_e32 v36, v36, v43
	s_waitcnt vmcnt(20)
	v_fmac_f32_e32 v45, v23, v94
	v_add_f32_e32 v36, v36, v44
	s_waitcnt vmcnt(19)
	v_fmac_f32_e32 v46, v25, v95
	v_add_f32_e32 v36, v36, v45
	s_waitcnt vmcnt(18)
	v_fmac_f32_e32 v47, v27, v96
	v_add_f32_e32 v36, v36, v46
	s_waitcnt vmcnt(17)
	v_fmac_f32_e32 v48, v29, v97
	v_add_f32_e32 v36, v36, v47
	v_add_f32_e32 v36, v36, v48
	s_waitcnt vmcnt(16)
	v_fmac_f32_e32 v49, v31, v98
	s_waitcnt vmcnt(15) lgkmcnt(0)
	v_mul_f32_e32 v37, v32, v99
	v_add_f32_e32 v36, v36, v49
	s_waitcnt vmcnt(14)
	v_fmac_f32_e32 v37, v33, v100
	v_add_f32_e32 v40, v36, v37
	ds_read2_b64 v[36:39], v1 offset0:107 offset1:108
	s_waitcnt vmcnt(13)
	v_mul_f32_e32 v41, v34, v101
	s_waitcnt vmcnt(12)
	v_fmac_f32_e32 v41, v35, v104
	v_add_f32_e32 v44, v40, v41
	ds_read2_b64 v[40:43], v1 offset0:109 offset1:110
	s_waitcnt vmcnt(11) lgkmcnt(1)
	v_mul_f32_e32 v45, v36, v105
	s_waitcnt vmcnt(10)
	v_fmac_f32_e32 v45, v37, v106
	v_add_f32_e32 v44, v44, v45
	s_waitcnt vmcnt(9)
	v_mul_f32_e32 v45, v38, v107
	s_waitcnt vmcnt(8)
	v_fmac_f32_e32 v45, v39, v108
	v_add_f32_e32 v44, v44, v45
	s_waitcnt vmcnt(7) lgkmcnt(0)
	v_mul_f32_e32 v45, v40, v109
	s_waitcnt vmcnt(6)
	v_fmac_f32_e32 v45, v41, v110
	v_add_f32_e32 v53, v44, v45
	ds_read2_b64 v[44:47], v1 offset0:111 offset1:112
	buffer_load_dword v55, off, s[0:3], 0 offset:428
	buffer_load_dword v54, off, s[0:3], 0 offset:424
	;; [unrolled: 1-line block ×4, first 2 shown]
	ds_read2_b64 v[48:51], v1 offset0:113 offset1:114
	buffer_load_dword v63, off, s[0:3], 0 offset:460
	buffer_load_dword v62, off, s[0:3], 0 offset:456
	;; [unrolled: 1-line block ×12, first 2 shown]
	v_mul_f32_e32 v5, v5, v52
	v_fma_f32 v4, v4, v85, -v5
	v_mul_f32_e32 v5, v7, v58
	v_add_f32_e32 v4, 0, v4
	v_fma_f32 v5, v6, v86, -v5
	v_add_f32_e32 v4, v4, v5
	v_mul_f32_e32 v5, v9, v60
	v_fma_f32 v5, v8, v87, -v5
	v_add_f32_e32 v4, v4, v5
	v_mul_f32_e32 v5, v11, v74
	v_fma_f32 v5, v10, v88, -v5
	v_add_f32_e32 v4, v4, v5
	v_mul_f32_e32 v5, v13, v75
	v_fma_f32 v5, v12, v89, -v5
	v_add_f32_e32 v4, v4, v5
	v_mul_f32_e32 v5, v15, v76
	v_fma_f32 v5, v14, v90, -v5
	v_add_f32_e32 v4, v4, v5
	v_mul_f32_e32 v5, v17, v77
	v_fma_f32 v5, v16, v91, -v5
	v_add_f32_e32 v4, v4, v5
	v_mul_f32_e32 v5, v19, v78
	v_fma_f32 v5, v18, v92, -v5
	v_add_f32_e32 v4, v4, v5
	v_mul_f32_e32 v5, v21, v79
	v_fma_f32 v5, v20, v93, -v5
	v_add_f32_e32 v4, v4, v5
	v_mul_f32_e32 v5, v23, v80
	v_fma_f32 v5, v22, v94, -v5
	v_add_f32_e32 v4, v4, v5
	v_mul_f32_e32 v5, v25, v81
	v_fma_f32 v5, v24, v95, -v5
	v_add_f32_e32 v4, v4, v5
	v_mul_f32_e32 v5, v27, v82
	v_fma_f32 v5, v26, v96, -v5
	v_add_f32_e32 v4, v4, v5
	v_mul_f32_e32 v5, v29, v83
	v_fma_f32 v5, v28, v97, -v5
	v_add_f32_e32 v4, v4, v5
	v_mul_f32_e32 v5, v31, v84
	v_fma_f32 v5, v30, v98, -v5
	v_add_f32_e32 v4, v4, v5
	v_mul_f32_e32 v5, v33, v99
	v_fma_f32 v5, v32, v100, -v5
	v_add_f32_e32 v4, v4, v5
	v_mul_f32_e32 v5, v35, v101
	v_fma_f32 v5, v34, v104, -v5
	v_add_f32_e32 v4, v4, v5
	v_mul_f32_e32 v5, v37, v105
	v_fma_f32 v5, v36, v106, -v5
	v_add_f32_e32 v4, v4, v5
	v_mul_f32_e32 v5, v39, v107
	v_fma_f32 v5, v38, v108, -v5
	v_add_f32_e32 v4, v4, v5
	v_mul_f32_e32 v5, v41, v109
	v_fma_f32 v5, v40, v110, -v5
	s_waitcnt vmcnt(21)
	v_mul_f32_e32 v59, v42, v111
	v_add_f32_e32 v52, v4, v5
	v_mul_f32_e32 v4, v43, v111
	s_waitcnt vmcnt(20)
	v_fmac_f32_e32 v59, v43, v112
	s_waitcnt vmcnt(19) lgkmcnt(1)
	v_mul_f32_e32 v61, v44, v113
	v_fma_f32 v58, v42, v112, -v4
	v_mul_f32_e32 v4, v45, v113
	s_waitcnt vmcnt(18)
	v_fmac_f32_e32 v61, v45, v114
	v_fma_f32 v60, v44, v114, -v4
	v_pk_add_f32 v[14:15], v[52:53], v[58:59]
	v_pk_add_f32 v[14:15], v[14:15], v[60:61]
	ds_read2_b64 v[4:7], v1 offset0:115 offset1:116
	ds_read2_b64 v[8:11], v1 offset0:117 offset1:118
	ds_read_b64 v[12:13], v1 offset:952
	s_waitcnt vmcnt(13)
	v_mov_b32_e32 v16, v57
	v_pk_mul_f32 v[16:17], v[46:47], v[16:17] op_sel_hi:[1,0]
	s_waitcnt vmcnt(12)
	v_pk_fma_f32 v[18:19], v[46:47], v[56:57], v[16:17] op_sel:[0,0,1] op_sel_hi:[1,1,0] neg_lo:[0,0,1] neg_hi:[0,0,1]
	v_pk_fma_f32 v[16:17], v[46:47], v[56:57], v[16:17] op_sel:[0,0,1] op_sel_hi:[1,0,0]
	v_mov_b32_e32 v16, v55
	v_mov_b32_e32 v19, v17
	s_waitcnt lgkmcnt(3)
	v_pk_mul_f32 v[16:17], v[48:49], v[16:17] op_sel_hi:[1,0]
	v_pk_add_f32 v[14:15], v[14:15], v[18:19]
	v_pk_fma_f32 v[18:19], v[48:49], v[54:55], v[16:17] op_sel:[0,0,1] op_sel_hi:[1,1,0] neg_lo:[0,0,1] neg_hi:[0,0,1]
	v_pk_fma_f32 v[16:17], v[48:49], v[54:55], v[16:17] op_sel:[0,0,1] op_sel_hi:[1,0,0]
	s_waitcnt vmcnt(5)
	v_mov_b32_e32 v16, v69
	v_mov_b32_e32 v19, v17
	v_pk_mul_f32 v[16:17], v[50:51], v[16:17] op_sel_hi:[1,0]
	v_pk_add_f32 v[14:15], v[14:15], v[18:19]
	s_waitcnt vmcnt(4)
	v_pk_fma_f32 v[18:19], v[50:51], v[68:69], v[16:17] op_sel:[0,0,1] op_sel_hi:[1,1,0] neg_lo:[0,0,1] neg_hi:[0,0,1]
	v_pk_fma_f32 v[16:17], v[50:51], v[68:69], v[16:17] op_sel:[0,0,1] op_sel_hi:[1,0,0]
	v_mov_b32_e32 v16, v67
	v_mov_b32_e32 v19, v17
	s_waitcnt lgkmcnt(2)
	v_pk_mul_f32 v[16:17], v[4:5], v[16:17] op_sel_hi:[1,0]
	v_pk_add_f32 v[14:15], v[14:15], v[18:19]
	v_pk_fma_f32 v[18:19], v[4:5], v[66:67], v[16:17] op_sel:[0,0,1] op_sel_hi:[1,1,0] neg_lo:[0,0,1] neg_hi:[0,0,1]
	v_pk_fma_f32 v[4:5], v[4:5], v[66:67], v[16:17] op_sel:[0,0,1] op_sel_hi:[1,0,0]
	v_mov_b32_e32 v19, v5
	v_pk_add_f32 v[4:5], v[14:15], v[18:19]
	v_mov_b32_e32 v14, v65
	v_pk_mul_f32 v[14:15], v[6:7], v[14:15] op_sel_hi:[1,0]
	v_pk_fma_f32 v[16:17], v[6:7], v[64:65], v[14:15] op_sel:[0,0,1] op_sel_hi:[1,1,0] neg_lo:[0,0,1] neg_hi:[0,0,1]
	v_pk_fma_f32 v[6:7], v[6:7], v[64:65], v[14:15] op_sel:[0,0,1] op_sel_hi:[1,0,0]
	v_mov_b32_e32 v6, v63
	v_mov_b32_e32 v17, v7
	s_waitcnt lgkmcnt(1)
	v_pk_mul_f32 v[6:7], v[8:9], v[6:7] op_sel_hi:[1,0]
	v_pk_fma_f32 v[14:15], v[8:9], v[62:63], v[6:7] op_sel:[0,0,1] op_sel_hi:[1,1,0] neg_lo:[0,0,1] neg_hi:[0,0,1]
	v_pk_fma_f32 v[6:7], v[8:9], v[62:63], v[6:7] op_sel:[0,0,1] op_sel_hi:[1,0,0]
	s_waitcnt vmcnt(1)
	v_mov_b32_e32 v6, v73
	v_mov_b32_e32 v15, v7
	v_pk_mul_f32 v[6:7], v[10:11], v[6:7] op_sel_hi:[1,0]
	s_waitcnt vmcnt(0)
	v_pk_fma_f32 v[8:9], v[10:11], v[72:73], v[6:7] op_sel:[0,0,1] op_sel_hi:[1,1,0] neg_lo:[0,0,1] neg_hi:[0,0,1]
	v_pk_fma_f32 v[6:7], v[10:11], v[72:73], v[6:7] op_sel:[0,0,1] op_sel_hi:[1,0,0]
	v_pk_add_f32 v[4:5], v[4:5], v[16:17]
	v_mov_b32_e32 v6, v71
	v_pk_add_f32 v[4:5], v[4:5], v[14:15]
	v_mov_b32_e32 v9, v7
	s_waitcnt lgkmcnt(0)
	v_pk_mul_f32 v[6:7], v[12:13], v[6:7] op_sel_hi:[1,0]
	v_pk_add_f32 v[4:5], v[4:5], v[8:9]
	v_pk_fma_f32 v[8:9], v[12:13], v[70:71], v[6:7] op_sel:[0,0,1] op_sel_hi:[1,1,0] neg_lo:[0,0,1] neg_hi:[0,0,1]
	v_pk_fma_f32 v[6:7], v[12:13], v[70:71], v[6:7] op_sel:[0,0,1] op_sel_hi:[1,0,0]
	v_mov_b32_e32 v9, v7
	v_pk_add_f32 v[4:5], v[4:5], v[8:9]
	v_pk_add_f32 v[2:3], v[2:3], v[4:5] neg_lo:[0,1] neg_hi:[0,1]
	buffer_store_dword v3, off, s[0:3], 0 offset:244
	buffer_store_dword v2, off, s[0:3], 0 offset:240
	s_and_saveexec_b64 s[4:5], vcc
	s_cbranch_execz .LBB59_315
; %bb.314:
	buffer_load_dword v2, off, s[0:3], 0 offset:232
	buffer_load_dword v3, off, s[0:3], 0 offset:236
	s_waitcnt vmcnt(0)
	ds_write_b64 v195, v[2:3]
	buffer_store_dword v1, off, s[0:3], 0 offset:232
	buffer_store_dword v1, off, s[0:3], 0 offset:236
.LBB59_315:
	s_or_b64 exec, exec, s[4:5]
	s_waitcnt lgkmcnt(0)
	; wave barrier
	s_waitcnt lgkmcnt(0)
	buffer_load_dword v54, off, s[0:3], 0 offset:244
	buffer_load_dword v56, off, s[0:3], 0 offset:252
	;; [unrolled: 1-line block ×46, first 2 shown]
	ds_read_b128 v[4:7], v1 offset:720
	ds_read_b128 v[8:11], v1 offset:736
	;; [unrolled: 1-line block ×8, first 2 shown]
	v_cmp_lt_u32_e32 vcc, 28, v0
	s_waitcnt vmcnt(45) lgkmcnt(7)
	v_mul_f32_e32 v36, v4, v54
	s_waitcnt vmcnt(44)
	v_mul_f32_e32 v37, v6, v56
	s_waitcnt vmcnt(43) lgkmcnt(6)
	v_mul_f32_e32 v38, v8, v58
	s_waitcnt vmcnt(42)
	v_mul_f32_e32 v39, v10, v74
	;; [unrolled: 4-line block ×6, first 2 shown]
	s_waitcnt vmcnt(33) lgkmcnt(1)
	v_mul_f32_e32 v48, v28, v83
	s_waitcnt vmcnt(32)
	v_fmac_f32_e32 v36, v5, v84
	s_waitcnt vmcnt(31)
	v_fmac_f32_e32 v37, v7, v85
	v_add_f32_e32 v36, 0, v36
	s_waitcnt vmcnt(30)
	v_fmac_f32_e32 v38, v9, v86
	v_add_f32_e32 v36, v36, v37
	;; [unrolled: 3-line block ×12, first 2 shown]
	s_waitcnt vmcnt(19)
	v_mul_f32_e32 v37, v30, v97
	v_add_f32_e32 v36, v36, v48
	s_waitcnt vmcnt(18)
	v_fmac_f32_e32 v37, v31, v98
	v_add_f32_e32 v36, v36, v37
	s_waitcnt vmcnt(17) lgkmcnt(0)
	v_mul_f32_e32 v37, v32, v99
	s_waitcnt vmcnt(16)
	v_fmac_f32_e32 v37, v33, v100
	v_add_f32_e32 v40, v36, v37
	ds_read_b128 v[36:39], v1 offset:848
	s_waitcnt vmcnt(15)
	v_mul_f32_e32 v41, v34, v101
	s_waitcnt vmcnt(14)
	v_fmac_f32_e32 v41, v35, v104
	v_add_f32_e32 v44, v40, v41
	ds_read_b128 v[40:43], v1 offset:864
	buffer_load_dword v53, off, s[0:3], 0 offset:420
	buffer_load_dword v52, off, s[0:3], 0 offset:416
	s_waitcnt vmcnt(15) lgkmcnt(1)
	v_mul_f32_e32 v45, v36, v105
	s_waitcnt vmcnt(14)
	v_fmac_f32_e32 v45, v37, v106
	v_add_f32_e32 v44, v44, v45
	s_waitcnt vmcnt(13)
	v_mul_f32_e32 v45, v38, v107
	s_waitcnt vmcnt(12)
	v_fmac_f32_e32 v45, v39, v108
	v_add_f32_e32 v44, v44, v45
	s_waitcnt vmcnt(11) lgkmcnt(0)
	v_mul_f32_e32 v45, v40, v109
	s_waitcnt vmcnt(10)
	v_fmac_f32_e32 v45, v41, v110
	s_waitcnt vmcnt(9)
	v_mul_f32_e32 v49, v42, v111
	v_add_f32_e32 v48, v44, v45
	s_waitcnt vmcnt(8)
	v_fmac_f32_e32 v49, v43, v112
	ds_read_b128 v[44:47], v1 offset:880
	v_add_f32_e32 v55, v48, v49
	ds_read_b128 v[48:51], v1 offset:896
	buffer_load_dword v61, off, s[0:3], 0 offset:452
	buffer_load_dword v60, off, s[0:3], 0 offset:448
	;; [unrolled: 1-line block ×14, first 2 shown]
	v_mul_f32_e32 v5, v5, v54
	v_fma_f32 v4, v4, v84, -v5
	v_mul_f32_e32 v5, v7, v56
	v_add_f32_e32 v4, 0, v4
	v_fma_f32 v5, v6, v85, -v5
	v_add_f32_e32 v4, v4, v5
	v_mul_f32_e32 v5, v9, v58
	v_fma_f32 v5, v8, v86, -v5
	v_add_f32_e32 v4, v4, v5
	v_mul_f32_e32 v5, v11, v74
	;; [unrolled: 3-line block ×18, first 2 shown]
	v_fma_f32 v5, v42, v112, -v5
	s_waitcnt vmcnt(21) lgkmcnt(1)
	v_mul_f32_e32 v57, v44, v113
	v_add_f32_e32 v54, v4, v5
	v_mul_f32_e32 v4, v45, v113
	s_waitcnt vmcnt(20)
	v_fmac_f32_e32 v57, v45, v114
	s_waitcnt vmcnt(15)
	v_mov_b32_e32 v18, v53
	s_waitcnt lgkmcnt(0)
	v_pk_mul_f32 v[18:19], v[48:49], v[18:19] op_sel_hi:[1,0]
	v_mul_f32_e32 v59, v46, v115
	v_fma_f32 v56, v44, v114, -v4
	v_mul_f32_e32 v4, v47, v115
	s_waitcnt vmcnt(14)
	v_pk_fma_f32 v[20:21], v[48:49], v[52:53], v[18:19] op_sel:[0,0,1] op_sel_hi:[1,1,0] neg_lo:[0,0,1] neg_hi:[0,0,1]
	v_pk_fma_f32 v[18:19], v[48:49], v[52:53], v[18:19] op_sel:[0,0,1] op_sel_hi:[1,0,0]
	v_fmac_f32_e32 v59, v47, v116
	v_fma_f32 v58, v46, v116, -v4
	v_pk_add_f32 v[16:17], v[54:55], v[56:57]
	s_waitcnt vmcnt(7)
	v_mov_b32_e32 v18, v67
	ds_read_b128 v[4:7], v1 offset:912
	ds_read_b128 v[8:11], v1 offset:928
	;; [unrolled: 1-line block ×3, first 2 shown]
	v_pk_add_f32 v[16:17], v[16:17], v[58:59]
	v_mov_b32_e32 v21, v19
	v_pk_mul_f32 v[18:19], v[50:51], v[18:19] op_sel_hi:[1,0]
	v_pk_add_f32 v[16:17], v[16:17], v[20:21]
	s_waitcnt vmcnt(6)
	v_pk_fma_f32 v[20:21], v[50:51], v[66:67], v[18:19] op_sel:[0,0,1] op_sel_hi:[1,1,0] neg_lo:[0,0,1] neg_hi:[0,0,1]
	v_pk_fma_f32 v[18:19], v[50:51], v[66:67], v[18:19] op_sel:[0,0,1] op_sel_hi:[1,0,0]
	v_mov_b32_e32 v18, v65
	v_mov_b32_e32 v21, v19
	s_waitcnt lgkmcnt(2)
	v_pk_mul_f32 v[18:19], v[4:5], v[18:19] op_sel_hi:[1,0]
	v_pk_add_f32 v[16:17], v[16:17], v[20:21]
	v_pk_fma_f32 v[20:21], v[4:5], v[64:65], v[18:19] op_sel:[0,0,1] op_sel_hi:[1,1,0] neg_lo:[0,0,1] neg_hi:[0,0,1]
	v_pk_fma_f32 v[4:5], v[4:5], v[64:65], v[18:19] op_sel:[0,0,1] op_sel_hi:[1,0,0]
	v_mov_b32_e32 v21, v5
	v_pk_add_f32 v[4:5], v[16:17], v[20:21]
	v_mov_b32_e32 v16, v63
	v_pk_mul_f32 v[16:17], v[6:7], v[16:17] op_sel_hi:[1,0]
	v_pk_fma_f32 v[18:19], v[6:7], v[62:63], v[16:17] op_sel:[0,0,1] op_sel_hi:[1,1,0] neg_lo:[0,0,1] neg_hi:[0,0,1]
	v_pk_fma_f32 v[6:7], v[6:7], v[62:63], v[16:17] op_sel:[0,0,1] op_sel_hi:[1,0,0]
	v_mov_b32_e32 v6, v61
	v_mov_b32_e32 v19, v7
	s_waitcnt lgkmcnt(1)
	v_pk_mul_f32 v[6:7], v[8:9], v[6:7] op_sel_hi:[1,0]
	v_pk_fma_f32 v[16:17], v[8:9], v[60:61], v[6:7] op_sel:[0,0,1] op_sel_hi:[1,1,0] neg_lo:[0,0,1] neg_hi:[0,0,1]
	v_pk_fma_f32 v[6:7], v[8:9], v[60:61], v[6:7] op_sel:[0,0,1] op_sel_hi:[1,0,0]
	s_waitcnt vmcnt(1)
	v_mov_b32_e32 v6, v73
	v_mov_b32_e32 v17, v7
	v_pk_mul_f32 v[6:7], v[10:11], v[6:7] op_sel_hi:[1,0]
	s_waitcnt vmcnt(0)
	v_pk_fma_f32 v[8:9], v[10:11], v[72:73], v[6:7] op_sel:[0,0,1] op_sel_hi:[1,1,0] neg_lo:[0,0,1] neg_hi:[0,0,1]
	v_pk_fma_f32 v[6:7], v[10:11], v[72:73], v[6:7] op_sel:[0,0,1] op_sel_hi:[1,0,0]
	v_pk_add_f32 v[4:5], v[4:5], v[18:19]
	v_mov_b32_e32 v6, v71
	v_pk_add_f32 v[4:5], v[4:5], v[16:17]
	v_mov_b32_e32 v9, v7
	s_waitcnt lgkmcnt(0)
	v_pk_mul_f32 v[6:7], v[12:13], v[6:7] op_sel_hi:[1,0]
	v_pk_add_f32 v[4:5], v[4:5], v[8:9]
	v_pk_fma_f32 v[8:9], v[12:13], v[70:71], v[6:7] op_sel:[0,0,1] op_sel_hi:[1,1,0] neg_lo:[0,0,1] neg_hi:[0,0,1]
	v_pk_fma_f32 v[6:7], v[12:13], v[70:71], v[6:7] op_sel:[0,0,1] op_sel_hi:[1,0,0]
	v_mov_b32_e32 v6, v69
	v_mov_b32_e32 v9, v7
	v_pk_mul_f32 v[6:7], v[14:15], v[6:7] op_sel_hi:[1,0]
	v_pk_add_f32 v[4:5], v[4:5], v[8:9]
	v_pk_fma_f32 v[8:9], v[14:15], v[68:69], v[6:7] op_sel:[0,0,1] op_sel_hi:[1,1,0] neg_lo:[0,0,1] neg_hi:[0,0,1]
	v_pk_fma_f32 v[6:7], v[14:15], v[68:69], v[6:7] op_sel:[0,0,1] op_sel_hi:[1,0,0]
	v_mov_b32_e32 v9, v7
	v_pk_add_f32 v[4:5], v[4:5], v[8:9]
	v_pk_add_f32 v[2:3], v[2:3], v[4:5] neg_lo:[0,1] neg_hi:[0,1]
	buffer_store_dword v3, off, s[0:3], 0 offset:236
	buffer_store_dword v2, off, s[0:3], 0 offset:232
	s_and_saveexec_b64 s[4:5], vcc
	s_cbranch_execz .LBB59_317
; %bb.316:
	buffer_load_dword v2, off, s[0:3], 0 offset:224
	buffer_load_dword v3, off, s[0:3], 0 offset:228
	v_mov_b32_e32 v1, 0
	buffer_store_dword v1, off, s[0:3], 0 offset:224
	buffer_store_dword v1, off, s[0:3], 0 offset:228
	s_waitcnt vmcnt(2)
	ds_write_b64 v195, v[2:3]
.LBB59_317:
	s_or_b64 exec, exec, s[4:5]
	s_waitcnt lgkmcnt(0)
	; wave barrier
	s_waitcnt lgkmcnt(0)
	buffer_load_dword v52, off, s[0:3], 0 offset:236
	buffer_load_dword v54, off, s[0:3], 0 offset:244
	;; [unrolled: 1-line block ×48, first 2 shown]
	v_mov_b32_e32 v1, 0
	ds_read2_b64 v[4:7], v1 offset0:89 offset1:90
	ds_read2_b64 v[8:11], v1 offset0:91 offset1:92
	;; [unrolled: 1-line block ×6, first 2 shown]
	v_cmp_lt_u32_e32 vcc, 27, v0
	s_waitcnt vmcnt(47) lgkmcnt(5)
	v_mul_f32_e32 v28, v4, v52
	s_waitcnt vmcnt(46)
	v_mul_f32_e32 v29, v6, v54
	s_waitcnt vmcnt(45) lgkmcnt(4)
	v_mul_f32_e32 v30, v8, v56
	s_waitcnt vmcnt(44)
	v_mul_f32_e32 v31, v10, v74
	;; [unrolled: 4-line block ×6, first 2 shown]
	s_waitcnt vmcnt(35)
	v_fmac_f32_e32 v28, v5, v83
	s_waitcnt vmcnt(34)
	v_fmac_f32_e32 v29, v7, v84
	v_add_f32_e32 v28, 0, v28
	s_waitcnt vmcnt(33)
	v_fmac_f32_e32 v30, v9, v85
	v_add_f32_e32 v28, v28, v29
	;; [unrolled: 3-line block ×8, first 2 shown]
	v_add_f32_e32 v32, v28, v36
	ds_read2_b64 v[28:31], v1 offset0:101 offset1:102
	s_waitcnt vmcnt(26)
	v_fmac_f32_e32 v37, v23, v92
	s_waitcnt vmcnt(25)
	v_fmac_f32_e32 v38, v25, v93
	v_add_f32_e32 v32, v32, v37
	s_waitcnt vmcnt(24)
	v_fmac_f32_e32 v39, v27, v94
	v_add_f32_e32 v32, v32, v38
	v_add_f32_e32 v36, v32, v39
	ds_read2_b64 v[32:35], v1 offset0:103 offset1:104
	s_waitcnt vmcnt(23) lgkmcnt(1)
	v_mul_f32_e32 v37, v28, v95
	s_waitcnt vmcnt(22)
	v_fmac_f32_e32 v37, v29, v96
	v_add_f32_e32 v36, v36, v37
	s_waitcnt vmcnt(21)
	v_mul_f32_e32 v37, v30, v97
	s_waitcnt vmcnt(20)
	v_fmac_f32_e32 v37, v31, v98
	v_add_f32_e32 v36, v36, v37
	s_waitcnt vmcnt(19) lgkmcnt(0)
	v_mul_f32_e32 v37, v32, v99
	s_waitcnt vmcnt(18)
	v_fmac_f32_e32 v37, v33, v100
	v_add_f32_e32 v40, v36, v37
	ds_read2_b64 v[36:39], v1 offset0:105 offset1:106
	s_waitcnt vmcnt(17)
	v_mul_f32_e32 v41, v34, v101
	s_waitcnt vmcnt(16)
	v_fmac_f32_e32 v41, v35, v104
	v_add_f32_e32 v44, v40, v41
	ds_read2_b64 v[40:43], v1 offset0:107 offset1:108
	s_waitcnt vmcnt(15) lgkmcnt(1)
	v_mul_f32_e32 v45, v36, v105
	s_waitcnt vmcnt(14)
	v_fmac_f32_e32 v45, v37, v106
	v_add_f32_e32 v44, v44, v45
	s_waitcnt vmcnt(13)
	v_mul_f32_e32 v45, v38, v107
	s_waitcnt vmcnt(12)
	v_fmac_f32_e32 v45, v39, v108
	v_add_f32_e32 v44, v44, v45
	s_waitcnt vmcnt(11) lgkmcnt(0)
	v_mul_f32_e32 v45, v40, v109
	s_waitcnt vmcnt(10)
	v_fmac_f32_e32 v45, v41, v110
	s_waitcnt vmcnt(9)
	v_mul_f32_e32 v49, v42, v111
	v_add_f32_e32 v48, v44, v45
	s_waitcnt vmcnt(8)
	v_fmac_f32_e32 v49, v43, v112
	ds_read2_b64 v[44:47], v1 offset0:109 offset1:110
	v_add_f32_e32 v53, v48, v49
	ds_read2_b64 v[48:51], v1 offset0:111 offset1:112
	buffer_load_dword v59, off, s[0:3], 0 offset:444
	buffer_load_dword v58, off, s[0:3], 0 offset:440
	buffer_load_dword v61, off, s[0:3], 0 offset:436
	buffer_load_dword v60, off, s[0:3], 0 offset:432
	buffer_load_dword v63, off, s[0:3], 0 offset:428
	buffer_load_dword v62, off, s[0:3], 0 offset:424
	buffer_load_dword v65, off, s[0:3], 0 offset:420
	buffer_load_dword v64, off, s[0:3], 0 offset:416
	buffer_load_dword v67, off, s[0:3], 0 offset:476
	buffer_load_dword v66, off, s[0:3], 0 offset:472
	buffer_load_dword v69, off, s[0:3], 0 offset:468
	buffer_load_dword v68, off, s[0:3], 0 offset:464
	buffer_load_dword v71, off, s[0:3], 0 offset:460
	buffer_load_dword v70, off, s[0:3], 0 offset:456
	buffer_load_dword v73, off, s[0:3], 0 offset:452
	buffer_load_dword v72, off, s[0:3], 0 offset:448
	v_mul_f32_e32 v5, v5, v52
	v_fma_f32 v4, v4, v83, -v5
	v_mul_f32_e32 v5, v7, v54
	v_add_f32_e32 v4, 0, v4
	v_fma_f32 v5, v6, v84, -v5
	v_add_f32_e32 v4, v4, v5
	v_mul_f32_e32 v5, v9, v56
	v_fma_f32 v5, v8, v85, -v5
	v_add_f32_e32 v4, v4, v5
	v_mul_f32_e32 v5, v11, v74
	;; [unrolled: 3-line block ×18, first 2 shown]
	v_fma_f32 v5, v42, v112, -v5
	v_add_f32_e32 v4, v4, v5
	s_waitcnt vmcnt(22) lgkmcnt(1)
	v_mul_f32_e32 v5, v45, v114
	v_mul_f32_e32 v55, v44, v114
	v_fma_f32 v5, v44, v113, -v5
	v_fmac_f32_e32 v55, v45, v113
	v_add_f32_e32 v52, v4, v5
	s_waitcnt vmcnt(19)
	v_mul_f32_e32 v4, v47, v115
	v_add_f32_e32 v53, v53, v55
	v_mul_f32_e32 v55, v46, v115
	s_waitcnt vmcnt(18)
	v_fma_f32 v54, v46, v116, -v4
	s_waitcnt vmcnt(17) lgkmcnt(0)
	v_mul_f32_e32 v4, v49, v117
	s_waitcnt vmcnt(9)
	v_mov_b32_e32 v20, v65
	v_pk_mul_f32 v[20:21], v[50:51], v[20:21] op_sel_hi:[1,0]
	v_fmac_f32_e32 v55, v47, v116
	v_mul_f32_e32 v57, v48, v117
	v_fma_f32 v56, v48, v118, -v4
	ds_read2_b64 v[4:7], v1 offset0:113 offset1:114
	ds_read2_b64 v[8:11], v1 offset0:115 offset1:116
	;; [unrolled: 1-line block ×3, first 2 shown]
	ds_read_b64 v[16:17], v1 offset:952
	s_waitcnt vmcnt(8)
	v_pk_fma_f32 v[22:23], v[50:51], v[64:65], v[20:21] op_sel:[0,0,1] op_sel_hi:[1,1,0] neg_lo:[0,0,1] neg_hi:[0,0,1]
	v_pk_fma_f32 v[20:21], v[50:51], v[64:65], v[20:21] op_sel:[0,0,1] op_sel_hi:[1,0,0]
	v_fmac_f32_e32 v57, v49, v118
	v_pk_add_f32 v[18:19], v[52:53], v[54:55]
	v_mov_b32_e32 v20, v63
	v_pk_add_f32 v[18:19], v[18:19], v[56:57]
	v_mov_b32_e32 v23, v21
	s_waitcnt lgkmcnt(3)
	v_pk_mul_f32 v[20:21], v[4:5], v[20:21] op_sel_hi:[1,0]
	v_pk_add_f32 v[18:19], v[18:19], v[22:23]
	v_pk_fma_f32 v[22:23], v[4:5], v[62:63], v[20:21] op_sel:[0,0,1] op_sel_hi:[1,1,0] neg_lo:[0,0,1] neg_hi:[0,0,1]
	v_pk_fma_f32 v[4:5], v[4:5], v[62:63], v[20:21] op_sel:[0,0,1] op_sel_hi:[1,0,0]
	v_mov_b32_e32 v23, v5
	v_pk_add_f32 v[4:5], v[18:19], v[22:23]
	v_mov_b32_e32 v18, v61
	v_pk_mul_f32 v[18:19], v[6:7], v[18:19] op_sel_hi:[1,0]
	v_pk_fma_f32 v[20:21], v[6:7], v[60:61], v[18:19] op_sel:[0,0,1] op_sel_hi:[1,1,0] neg_lo:[0,0,1] neg_hi:[0,0,1]
	v_pk_fma_f32 v[6:7], v[6:7], v[60:61], v[18:19] op_sel:[0,0,1] op_sel_hi:[1,0,0]
	v_mov_b32_e32 v6, v59
	v_mov_b32_e32 v21, v7
	s_waitcnt lgkmcnt(2)
	v_pk_mul_f32 v[6:7], v[8:9], v[6:7] op_sel_hi:[1,0]
	v_pk_fma_f32 v[18:19], v[8:9], v[58:59], v[6:7] op_sel:[0,0,1] op_sel_hi:[1,1,0] neg_lo:[0,0,1] neg_hi:[0,0,1]
	v_pk_fma_f32 v[6:7], v[8:9], v[58:59], v[6:7] op_sel:[0,0,1] op_sel_hi:[1,0,0]
	s_waitcnt vmcnt(1)
	v_mov_b32_e32 v6, v73
	v_mov_b32_e32 v19, v7
	v_pk_mul_f32 v[6:7], v[10:11], v[6:7] op_sel_hi:[1,0]
	s_waitcnt vmcnt(0)
	v_pk_fma_f32 v[8:9], v[10:11], v[72:73], v[6:7] op_sel:[0,0,1] op_sel_hi:[1,1,0] neg_lo:[0,0,1] neg_hi:[0,0,1]
	v_pk_fma_f32 v[6:7], v[10:11], v[72:73], v[6:7] op_sel:[0,0,1] op_sel_hi:[1,0,0]
	v_pk_add_f32 v[4:5], v[4:5], v[20:21]
	v_mov_b32_e32 v6, v71
	v_pk_add_f32 v[4:5], v[4:5], v[18:19]
	v_mov_b32_e32 v9, v7
	s_waitcnt lgkmcnt(1)
	v_pk_mul_f32 v[6:7], v[12:13], v[6:7] op_sel_hi:[1,0]
	v_pk_add_f32 v[4:5], v[4:5], v[8:9]
	v_pk_fma_f32 v[8:9], v[12:13], v[70:71], v[6:7] op_sel:[0,0,1] op_sel_hi:[1,1,0] neg_lo:[0,0,1] neg_hi:[0,0,1]
	v_pk_fma_f32 v[6:7], v[12:13], v[70:71], v[6:7] op_sel:[0,0,1] op_sel_hi:[1,0,0]
	v_mov_b32_e32 v6, v69
	v_mov_b32_e32 v9, v7
	v_pk_mul_f32 v[6:7], v[14:15], v[6:7] op_sel_hi:[1,0]
	v_pk_add_f32 v[4:5], v[4:5], v[8:9]
	v_pk_fma_f32 v[8:9], v[14:15], v[68:69], v[6:7] op_sel:[0,0,1] op_sel_hi:[1,1,0] neg_lo:[0,0,1] neg_hi:[0,0,1]
	v_pk_fma_f32 v[6:7], v[14:15], v[68:69], v[6:7] op_sel:[0,0,1] op_sel_hi:[1,0,0]
	v_mov_b32_e32 v6, v67
	v_mov_b32_e32 v9, v7
	s_waitcnt lgkmcnt(0)
	v_pk_mul_f32 v[6:7], v[16:17], v[6:7] op_sel_hi:[1,0]
	v_pk_add_f32 v[4:5], v[4:5], v[8:9]
	v_pk_fma_f32 v[8:9], v[16:17], v[66:67], v[6:7] op_sel:[0,0,1] op_sel_hi:[1,1,0] neg_lo:[0,0,1] neg_hi:[0,0,1]
	v_pk_fma_f32 v[6:7], v[16:17], v[66:67], v[6:7] op_sel:[0,0,1] op_sel_hi:[1,0,0]
	v_mov_b32_e32 v9, v7
	v_pk_add_f32 v[4:5], v[4:5], v[8:9]
	v_pk_add_f32 v[2:3], v[2:3], v[4:5] neg_lo:[0,1] neg_hi:[0,1]
	buffer_store_dword v3, off, s[0:3], 0 offset:228
	buffer_store_dword v2, off, s[0:3], 0 offset:224
	s_and_saveexec_b64 s[4:5], vcc
	s_cbranch_execz .LBB59_319
; %bb.318:
	buffer_load_dword v2, off, s[0:3], 0 offset:216
	buffer_load_dword v3, off, s[0:3], 0 offset:220
	s_waitcnt vmcnt(0)
	ds_write_b64 v195, v[2:3]
	buffer_store_dword v1, off, s[0:3], 0 offset:216
	buffer_store_dword v1, off, s[0:3], 0 offset:220
.LBB59_319:
	s_or_b64 exec, exec, s[4:5]
	s_waitcnt lgkmcnt(0)
	; wave barrier
	s_waitcnt lgkmcnt(0)
	buffer_load_dword v52, off, s[0:3], 0 offset:228
	buffer_load_dword v54, off, s[0:3], 0 offset:236
	;; [unrolled: 1-line block ×48, first 2 shown]
	ds_read_b128 v[4:7], v1 offset:704
	ds_read_b128 v[8:11], v1 offset:720
	;; [unrolled: 1-line block ×6, first 2 shown]
	buffer_load_dword v119, off, s[0:3], 0 offset:408
	buffer_load_dword v120, off, s[0:3], 0 offset:412
	v_cmp_lt_u32_e32 vcc, 26, v0
	s_waitcnt vmcnt(49) lgkmcnt(5)
	v_mul_f32_e32 v28, v4, v52
	s_waitcnt vmcnt(48)
	v_mul_f32_e32 v29, v6, v54
	s_waitcnt vmcnt(47) lgkmcnt(4)
	v_mul_f32_e32 v30, v8, v62
	s_waitcnt vmcnt(46)
	v_mul_f32_e32 v31, v10, v74
	;; [unrolled: 4-line block ×6, first 2 shown]
	s_waitcnt vmcnt(37)
	v_fmac_f32_e32 v28, v5, v83
	s_waitcnt vmcnt(36)
	v_fmac_f32_e32 v29, v7, v84
	v_add_f32_e32 v28, 0, v28
	s_waitcnt vmcnt(35)
	v_fmac_f32_e32 v30, v9, v85
	v_add_f32_e32 v28, v28, v29
	;; [unrolled: 3-line block ×9, first 2 shown]
	v_add_f32_e32 v32, v28, v37
	ds_read_b128 v[28:31], v1 offset:800
	s_waitcnt vmcnt(27)
	v_fmac_f32_e32 v38, v25, v93
	v_add_f32_e32 v32, v32, v38
	s_waitcnt vmcnt(26)
	v_fmac_f32_e32 v39, v27, v94
	v_add_f32_e32 v36, v32, v39
	ds_read_b128 v[32:35], v1 offset:816
	s_waitcnt vmcnt(25) lgkmcnt(1)
	v_mul_f32_e32 v37, v28, v95
	s_waitcnt vmcnt(24)
	v_fmac_f32_e32 v37, v29, v96
	v_add_f32_e32 v36, v36, v37
	s_waitcnt vmcnt(23)
	v_mul_f32_e32 v37, v30, v97
	s_waitcnt vmcnt(22)
	v_fmac_f32_e32 v37, v31, v98
	v_add_f32_e32 v36, v36, v37
	s_waitcnt vmcnt(21) lgkmcnt(0)
	v_mul_f32_e32 v37, v32, v99
	s_waitcnt vmcnt(20)
	v_fmac_f32_e32 v37, v33, v100
	v_add_f32_e32 v40, v36, v37
	ds_read_b128 v[36:39], v1 offset:832
	s_waitcnt vmcnt(19)
	v_mul_f32_e32 v41, v34, v101
	s_waitcnt vmcnt(18)
	v_fmac_f32_e32 v41, v35, v104
	v_add_f32_e32 v44, v40, v41
	ds_read_b128 v[40:43], v1 offset:848
	s_waitcnt vmcnt(17) lgkmcnt(1)
	v_mul_f32_e32 v45, v36, v105
	s_waitcnt vmcnt(16)
	v_fmac_f32_e32 v45, v37, v106
	v_add_f32_e32 v44, v44, v45
	s_waitcnt vmcnt(15)
	v_mul_f32_e32 v45, v38, v107
	s_waitcnt vmcnt(14)
	v_fmac_f32_e32 v45, v39, v108
	v_add_f32_e32 v44, v44, v45
	s_waitcnt vmcnt(13) lgkmcnt(0)
	v_mul_f32_e32 v45, v40, v109
	s_waitcnt vmcnt(12)
	v_fmac_f32_e32 v45, v41, v110
	s_waitcnt vmcnt(11)
	v_mul_f32_e32 v49, v42, v111
	v_add_f32_e32 v48, v44, v45
	s_waitcnt vmcnt(10)
	v_fmac_f32_e32 v49, v43, v112
	ds_read_b128 v[44:47], v1 offset:864
	v_add_f32_e32 v53, v48, v49
	ds_read_b128 v[48:51], v1 offset:880
	buffer_load_dword v57, off, s[0:3], 0 offset:436
	buffer_load_dword v56, off, s[0:3], 0 offset:432
	;; [unrolled: 1-line block ×16, first 2 shown]
	v_mul_f32_e32 v5, v5, v52
	v_fma_f32 v4, v4, v83, -v5
	v_mul_f32_e32 v5, v7, v54
	v_add_f32_e32 v4, 0, v4
	v_fma_f32 v5, v6, v84, -v5
	v_add_f32_e32 v4, v4, v5
	v_mul_f32_e32 v5, v9, v62
	v_fma_f32 v5, v8, v85, -v5
	v_add_f32_e32 v4, v4, v5
	v_mul_f32_e32 v5, v11, v74
	;; [unrolled: 3-line block ×18, first 2 shown]
	v_fma_f32 v5, v42, v112, -v5
	v_add_f32_e32 v4, v4, v5
	s_waitcnt vmcnt(23) lgkmcnt(1)
	v_mul_f32_e32 v5, v45, v113
	s_waitcnt vmcnt(22)
	v_fma_f32 v5, v44, v114, -v5
	v_add_f32_e32 v4, v4, v5
	s_waitcnt vmcnt(20)
	v_mul_f32_e32 v5, v47, v116
	v_mul_f32_e32 v55, v44, v113
	v_fma_f32 v5, v46, v115, -v5
	v_fmac_f32_e32 v55, v45, v114
	v_add_f32_e32 v52, v4, v5
	s_waitcnt vmcnt(18) lgkmcnt(0)
	v_mul_f32_e32 v4, v49, v118
	v_add_f32_e32 v53, v53, v55
	v_mul_f32_e32 v55, v46, v116
	v_fma_f32 v54, v48, v117, -v4
	s_waitcnt vmcnt(16)
	v_mul_f32_e32 v4, v51, v120
	v_fmac_f32_e32 v55, v47, v115
	v_fma_f32 v62, v50, v119, -v4
	ds_read_b128 v[4:7], v1 offset:896
	ds_read_b128 v[8:11], v1 offset:912
	;; [unrolled: 1-line block ×4, first 2 shown]
	v_add_f32_e32 v53, v53, v55
	v_mul_f32_e32 v55, v48, v118
	s_waitcnt vmcnt(11)
	v_mov_b32_e32 v22, v61
	v_fmac_f32_e32 v55, v49, v117
	v_mul_f32_e32 v63, v50, v120
	s_waitcnt lgkmcnt(3)
	v_pk_mul_f32 v[22:23], v[4:5], v[22:23] op_sel_hi:[1,0]
	v_fmac_f32_e32 v63, v51, v119
	v_pk_add_f32 v[20:21], v[52:53], v[54:55]
	s_waitcnt vmcnt(10)
	v_pk_fma_f32 v[24:25], v[4:5], v[60:61], v[22:23] op_sel:[0,0,1] op_sel_hi:[1,1,0] neg_lo:[0,0,1] neg_hi:[0,0,1]
	v_pk_fma_f32 v[4:5], v[4:5], v[60:61], v[22:23] op_sel:[0,0,1] op_sel_hi:[1,0,0]
	v_pk_add_f32 v[20:21], v[20:21], v[62:63]
	v_mov_b32_e32 v25, v5
	v_pk_add_f32 v[4:5], v[20:21], v[24:25]
	v_mov_b32_e32 v20, v59
	v_pk_mul_f32 v[20:21], v[6:7], v[20:21] op_sel_hi:[1,0]
	v_pk_fma_f32 v[22:23], v[6:7], v[58:59], v[20:21] op_sel:[0,0,1] op_sel_hi:[1,1,0] neg_lo:[0,0,1] neg_hi:[0,0,1]
	v_pk_fma_f32 v[6:7], v[6:7], v[58:59], v[20:21] op_sel:[0,0,1] op_sel_hi:[1,0,0]
	v_mov_b32_e32 v6, v57
	v_mov_b32_e32 v23, v7
	s_waitcnt lgkmcnt(2)
	v_pk_mul_f32 v[6:7], v[8:9], v[6:7] op_sel_hi:[1,0]
	v_pk_fma_f32 v[20:21], v[8:9], v[56:57], v[6:7] op_sel:[0,0,1] op_sel_hi:[1,1,0] neg_lo:[0,0,1] neg_hi:[0,0,1]
	v_pk_fma_f32 v[6:7], v[8:9], v[56:57], v[6:7] op_sel:[0,0,1] op_sel_hi:[1,0,0]
	s_waitcnt vmcnt(3)
	v_mov_b32_e32 v6, v71
	v_mov_b32_e32 v21, v7
	v_pk_mul_f32 v[6:7], v[10:11], v[6:7] op_sel_hi:[1,0]
	s_waitcnt vmcnt(2)
	v_pk_fma_f32 v[8:9], v[10:11], v[70:71], v[6:7] op_sel:[0,0,1] op_sel_hi:[1,1,0] neg_lo:[0,0,1] neg_hi:[0,0,1]
	v_pk_fma_f32 v[6:7], v[10:11], v[70:71], v[6:7] op_sel:[0,0,1] op_sel_hi:[1,0,0]
	v_pk_add_f32 v[4:5], v[4:5], v[22:23]
	v_mov_b32_e32 v6, v69
	v_pk_add_f32 v[4:5], v[4:5], v[20:21]
	v_mov_b32_e32 v9, v7
	s_waitcnt lgkmcnt(1)
	v_pk_mul_f32 v[6:7], v[12:13], v[6:7] op_sel_hi:[1,0]
	v_pk_add_f32 v[4:5], v[4:5], v[8:9]
	v_pk_fma_f32 v[8:9], v[12:13], v[68:69], v[6:7] op_sel:[0,0,1] op_sel_hi:[1,1,0] neg_lo:[0,0,1] neg_hi:[0,0,1]
	v_pk_fma_f32 v[6:7], v[12:13], v[68:69], v[6:7] op_sel:[0,0,1] op_sel_hi:[1,0,0]
	v_mov_b32_e32 v6, v67
	v_mov_b32_e32 v9, v7
	v_pk_mul_f32 v[6:7], v[14:15], v[6:7] op_sel_hi:[1,0]
	v_pk_add_f32 v[4:5], v[4:5], v[8:9]
	v_pk_fma_f32 v[8:9], v[14:15], v[66:67], v[6:7] op_sel:[0,0,1] op_sel_hi:[1,1,0] neg_lo:[0,0,1] neg_hi:[0,0,1]
	v_pk_fma_f32 v[6:7], v[14:15], v[66:67], v[6:7] op_sel:[0,0,1] op_sel_hi:[1,0,0]
	v_mov_b32_e32 v6, v65
	v_mov_b32_e32 v9, v7
	s_waitcnt lgkmcnt(0)
	v_pk_mul_f32 v[6:7], v[16:17], v[6:7] op_sel_hi:[1,0]
	v_pk_add_f32 v[4:5], v[4:5], v[8:9]
	v_pk_fma_f32 v[8:9], v[16:17], v[64:65], v[6:7] op_sel:[0,0,1] op_sel_hi:[1,1,0] neg_lo:[0,0,1] neg_hi:[0,0,1]
	v_pk_fma_f32 v[6:7], v[16:17], v[64:65], v[6:7] op_sel:[0,0,1] op_sel_hi:[1,0,0]
	s_waitcnt vmcnt(1)
	v_mov_b32_e32 v6, v73
	v_mov_b32_e32 v9, v7
	v_pk_mul_f32 v[6:7], v[18:19], v[6:7] op_sel_hi:[1,0]
	v_pk_add_f32 v[4:5], v[4:5], v[8:9]
	s_waitcnt vmcnt(0)
	v_pk_fma_f32 v[8:9], v[18:19], v[72:73], v[6:7] op_sel:[0,0,1] op_sel_hi:[1,1,0] neg_lo:[0,0,1] neg_hi:[0,0,1]
	v_pk_fma_f32 v[6:7], v[18:19], v[72:73], v[6:7] op_sel:[0,0,1] op_sel_hi:[1,0,0]
	v_mov_b32_e32 v9, v7
	v_pk_add_f32 v[4:5], v[4:5], v[8:9]
	v_pk_add_f32 v[2:3], v[2:3], v[4:5] neg_lo:[0,1] neg_hi:[0,1]
	buffer_store_dword v3, off, s[0:3], 0 offset:220
	buffer_store_dword v2, off, s[0:3], 0 offset:216
	s_and_saveexec_b64 s[4:5], vcc
	s_cbranch_execz .LBB59_321
; %bb.320:
	buffer_load_dword v2, off, s[0:3], 0 offset:208
	buffer_load_dword v3, off, s[0:3], 0 offset:212
	v_mov_b32_e32 v1, 0
	buffer_store_dword v1, off, s[0:3], 0 offset:208
	buffer_store_dword v1, off, s[0:3], 0 offset:212
	s_waitcnt vmcnt(2)
	ds_write_b64 v195, v[2:3]
.LBB59_321:
	s_or_b64 exec, exec, s[4:5]
	s_waitcnt lgkmcnt(0)
	; wave barrier
	s_waitcnt lgkmcnt(0)
	buffer_load_dword v60, off, s[0:3], 0 offset:220
	buffer_load_dword v66, off, s[0:3], 0 offset:228
	;; [unrolled: 1-line block ×52, first 2 shown]
	v_mov_b32_e32 v1, 0
	ds_read2_b64 v[4:7], v1 offset0:87 offset1:88
	ds_read2_b64 v[8:11], v1 offset0:89 offset1:90
	;; [unrolled: 1-line block ×6, first 2 shown]
	v_cmp_lt_u32_e32 vcc, 25, v0
	s_waitcnt vmcnt(51) lgkmcnt(5)
	v_mul_f32_e32 v28, v4, v60
	s_waitcnt vmcnt(50)
	v_mul_f32_e32 v29, v6, v66
	s_waitcnt vmcnt(49) lgkmcnt(4)
	v_mul_f32_e32 v30, v8, v68
	s_waitcnt vmcnt(48)
	v_mul_f32_e32 v31, v10, v82
	;; [unrolled: 4-line block ×5, first 2 shown]
	s_waitcnt vmcnt(41) lgkmcnt(0)
	v_mul_f32_e32 v38, v24, v89
	s_waitcnt vmcnt(40)
	v_fmac_f32_e32 v28, v5, v90
	s_waitcnt vmcnt(39)
	v_fmac_f32_e32 v29, v7, v91
	v_add_f32_e32 v28, 0, v28
	s_waitcnt vmcnt(38)
	v_fmac_f32_e32 v30, v9, v92
	v_add_f32_e32 v28, v28, v29
	;; [unrolled: 3-line block ×9, first 2 shown]
	v_add_f32_e32 v28, v28, v37
	s_waitcnt vmcnt(30)
	v_fmac_f32_e32 v38, v25, v100
	v_add_f32_e32 v32, v28, v38
	ds_read2_b64 v[28:31], v1 offset0:99 offset1:100
	s_waitcnt vmcnt(29)
	v_mul_f32_e32 v33, v26, v101
	s_waitcnt vmcnt(28)
	v_fmac_f32_e32 v33, v27, v104
	v_add_f32_e32 v36, v32, v33
	ds_read2_b64 v[32:35], v1 offset0:101 offset1:102
	s_waitcnt vmcnt(27) lgkmcnt(1)
	v_mul_f32_e32 v37, v28, v105
	s_waitcnt vmcnt(26)
	v_fmac_f32_e32 v37, v29, v106
	v_add_f32_e32 v36, v36, v37
	s_waitcnt vmcnt(25)
	v_mul_f32_e32 v37, v30, v107
	s_waitcnt vmcnt(24)
	v_fmac_f32_e32 v37, v31, v108
	v_add_f32_e32 v36, v36, v37
	s_waitcnt vmcnt(23) lgkmcnt(0)
	v_mul_f32_e32 v37, v32, v109
	s_waitcnt vmcnt(22)
	v_fmac_f32_e32 v37, v33, v110
	v_add_f32_e32 v40, v36, v37
	ds_read2_b64 v[36:39], v1 offset0:103 offset1:104
	s_waitcnt vmcnt(21)
	v_mul_f32_e32 v41, v34, v111
	s_waitcnt vmcnt(20)
	v_fmac_f32_e32 v41, v35, v112
	v_add_f32_e32 v44, v40, v41
	ds_read2_b64 v[40:43], v1 offset0:105 offset1:106
	s_waitcnt vmcnt(19) lgkmcnt(1)
	v_mul_f32_e32 v45, v36, v113
	s_waitcnt vmcnt(18)
	v_fmac_f32_e32 v45, v37, v114
	v_add_f32_e32 v44, v44, v45
	s_waitcnt vmcnt(17)
	v_mul_f32_e32 v45, v38, v115
	s_waitcnt vmcnt(16)
	v_fmac_f32_e32 v45, v39, v116
	v_add_f32_e32 v44, v44, v45
	s_waitcnt vmcnt(14) lgkmcnt(0)
	v_mul_f32_e32 v45, v40, v118
	v_fmac_f32_e32 v45, v41, v117
	v_add_f32_e32 v48, v44, v45
	ds_read2_b64 v[44:47], v1 offset0:107 offset1:108
	s_waitcnt vmcnt(10)
	v_mul_f32_e32 v49, v42, v120
	v_fmac_f32_e32 v49, v43, v119
	v_add_f32_e32 v52, v48, v49
	ds_read2_b64 v[48:51], v1 offset0:109 offset1:110
	s_waitcnt vmcnt(8) lgkmcnt(1)
	v_mul_f32_e32 v53, v44, v122
	v_fmac_f32_e32 v53, v45, v121
	v_add_f32_e32 v52, v52, v53
	s_waitcnt vmcnt(6)
	v_mul_f32_e32 v53, v46, v124
	v_fmac_f32_e32 v53, v47, v123
	v_add_f32_e32 v52, v52, v53
	s_waitcnt vmcnt(4) lgkmcnt(0)
	v_mul_f32_e32 v53, v48, v126
	v_fmac_f32_e32 v53, v49, v125
	v_add_f32_e32 v61, v52, v53
	ds_read2_b64 v[52:55], v1 offset0:111 offset1:112
	buffer_load_dword v63, off, s[0:3], 0 offset:428
	buffer_load_dword v62, off, s[0:3], 0 offset:424
	;; [unrolled: 1-line block ×4, first 2 shown]
	ds_read2_b64 v[56:59], v1 offset0:113 offset1:114
	buffer_load_dword v71, off, s[0:3], 0 offset:460
	buffer_load_dword v70, off, s[0:3], 0 offset:456
	;; [unrolled: 1-line block ×12, first 2 shown]
	v_mul_f32_e32 v5, v5, v60
	v_fma_f32 v4, v4, v90, -v5
	v_mul_f32_e32 v5, v7, v66
	v_add_f32_e32 v4, 0, v4
	v_fma_f32 v5, v6, v91, -v5
	v_add_f32_e32 v4, v4, v5
	v_mul_f32_e32 v5, v9, v68
	v_fma_f32 v5, v8, v92, -v5
	v_add_f32_e32 v4, v4, v5
	v_mul_f32_e32 v5, v11, v82
	;; [unrolled: 3-line block ×21, first 2 shown]
	v_fma_f32 v5, v48, v125, -v5
	s_waitcnt vmcnt(18)
	v_mul_f32_e32 v67, v50, v128
	v_add_f32_e32 v60, v4, v5
	v_mul_f32_e32 v4, v51, v128
	v_fmac_f32_e32 v67, v51, v127
	s_waitcnt vmcnt(16) lgkmcnt(1)
	v_mul_f32_e32 v69, v52, v130
	v_fma_f32 v66, v50, v127, -v4
	v_mul_f32_e32 v4, v53, v130
	v_fmac_f32_e32 v69, v53, v129
	s_waitcnt vmcnt(13)
	v_mov_b32_e32 v16, v65
	v_pk_mul_f32 v[16:17], v[54:55], v[16:17] op_sel_hi:[1,0]
	s_waitcnt vmcnt(12)
	v_pk_fma_f32 v[18:19], v[54:55], v[64:65], v[16:17] op_sel:[0,0,1] op_sel_hi:[1,1,0] neg_lo:[0,0,1] neg_hi:[0,0,1]
	v_pk_fma_f32 v[16:17], v[54:55], v[64:65], v[16:17] op_sel:[0,0,1] op_sel_hi:[1,0,0]
	v_fma_f32 v68, v52, v129, -v4
	v_pk_add_f32 v[14:15], v[60:61], v[66:67]
	v_mov_b32_e32 v16, v63
	v_pk_add_f32 v[14:15], v[14:15], v[68:69]
	v_mov_b32_e32 v19, v17
	s_waitcnt lgkmcnt(0)
	v_pk_mul_f32 v[16:17], v[56:57], v[16:17] op_sel_hi:[1,0]
	v_pk_add_f32 v[14:15], v[14:15], v[18:19]
	v_pk_fma_f32 v[18:19], v[56:57], v[62:63], v[16:17] op_sel:[0,0,1] op_sel_hi:[1,1,0] neg_lo:[0,0,1] neg_hi:[0,0,1]
	v_pk_fma_f32 v[16:17], v[56:57], v[62:63], v[16:17] op_sel:[0,0,1] op_sel_hi:[1,0,0]
	s_waitcnt vmcnt(5)
	v_mov_b32_e32 v16, v77
	ds_read2_b64 v[4:7], v1 offset0:115 offset1:116
	ds_read2_b64 v[8:11], v1 offset0:117 offset1:118
	ds_read_b64 v[12:13], v1 offset:952
	v_mov_b32_e32 v19, v17
	v_pk_mul_f32 v[16:17], v[58:59], v[16:17] op_sel_hi:[1,0]
	v_pk_add_f32 v[14:15], v[14:15], v[18:19]
	s_waitcnt vmcnt(4)
	v_pk_fma_f32 v[18:19], v[58:59], v[76:77], v[16:17] op_sel:[0,0,1] op_sel_hi:[1,1,0] neg_lo:[0,0,1] neg_hi:[0,0,1]
	v_pk_fma_f32 v[16:17], v[58:59], v[76:77], v[16:17] op_sel:[0,0,1] op_sel_hi:[1,0,0]
	v_mov_b32_e32 v16, v75
	v_mov_b32_e32 v19, v17
	s_waitcnt lgkmcnt(2)
	v_pk_mul_f32 v[16:17], v[4:5], v[16:17] op_sel_hi:[1,0]
	v_pk_add_f32 v[14:15], v[14:15], v[18:19]
	v_pk_fma_f32 v[18:19], v[4:5], v[74:75], v[16:17] op_sel:[0,0,1] op_sel_hi:[1,1,0] neg_lo:[0,0,1] neg_hi:[0,0,1]
	v_pk_fma_f32 v[4:5], v[4:5], v[74:75], v[16:17] op_sel:[0,0,1] op_sel_hi:[1,0,0]
	v_mov_b32_e32 v19, v5
	v_pk_add_f32 v[4:5], v[14:15], v[18:19]
	v_mov_b32_e32 v14, v73
	v_pk_mul_f32 v[14:15], v[6:7], v[14:15] op_sel_hi:[1,0]
	v_pk_fma_f32 v[16:17], v[6:7], v[72:73], v[14:15] op_sel:[0,0,1] op_sel_hi:[1,1,0] neg_lo:[0,0,1] neg_hi:[0,0,1]
	v_pk_fma_f32 v[6:7], v[6:7], v[72:73], v[14:15] op_sel:[0,0,1] op_sel_hi:[1,0,0]
	v_mov_b32_e32 v6, v71
	v_mov_b32_e32 v17, v7
	s_waitcnt lgkmcnt(1)
	v_pk_mul_f32 v[6:7], v[8:9], v[6:7] op_sel_hi:[1,0]
	v_pk_fma_f32 v[14:15], v[8:9], v[70:71], v[6:7] op_sel:[0,0,1] op_sel_hi:[1,1,0] neg_lo:[0,0,1] neg_hi:[0,0,1]
	v_pk_fma_f32 v[6:7], v[8:9], v[70:71], v[6:7] op_sel:[0,0,1] op_sel_hi:[1,0,0]
	s_waitcnt vmcnt(1)
	v_mov_b32_e32 v6, v81
	v_mov_b32_e32 v15, v7
	v_pk_mul_f32 v[6:7], v[10:11], v[6:7] op_sel_hi:[1,0]
	s_waitcnt vmcnt(0)
	v_pk_fma_f32 v[8:9], v[10:11], v[80:81], v[6:7] op_sel:[0,0,1] op_sel_hi:[1,1,0] neg_lo:[0,0,1] neg_hi:[0,0,1]
	v_pk_fma_f32 v[6:7], v[10:11], v[80:81], v[6:7] op_sel:[0,0,1] op_sel_hi:[1,0,0]
	v_pk_add_f32 v[4:5], v[4:5], v[16:17]
	v_mov_b32_e32 v6, v79
	v_pk_add_f32 v[4:5], v[4:5], v[14:15]
	v_mov_b32_e32 v9, v7
	s_waitcnt lgkmcnt(0)
	v_pk_mul_f32 v[6:7], v[12:13], v[6:7] op_sel_hi:[1,0]
	v_pk_add_f32 v[4:5], v[4:5], v[8:9]
	v_pk_fma_f32 v[8:9], v[12:13], v[78:79], v[6:7] op_sel:[0,0,1] op_sel_hi:[1,1,0] neg_lo:[0,0,1] neg_hi:[0,0,1]
	v_pk_fma_f32 v[6:7], v[12:13], v[78:79], v[6:7] op_sel:[0,0,1] op_sel_hi:[1,0,0]
	v_mov_b32_e32 v9, v7
	v_pk_add_f32 v[4:5], v[4:5], v[8:9]
	v_pk_add_f32 v[2:3], v[2:3], v[4:5] neg_lo:[0,1] neg_hi:[0,1]
	buffer_store_dword v3, off, s[0:3], 0 offset:212
	buffer_store_dword v2, off, s[0:3], 0 offset:208
	s_and_saveexec_b64 s[4:5], vcc
	s_cbranch_execz .LBB59_323
; %bb.322:
	buffer_load_dword v2, off, s[0:3], 0 offset:200
	buffer_load_dword v3, off, s[0:3], 0 offset:204
	s_waitcnt vmcnt(0)
	ds_write_b64 v195, v[2:3]
	buffer_store_dword v1, off, s[0:3], 0 offset:200
	buffer_store_dword v1, off, s[0:3], 0 offset:204
.LBB59_323:
	s_or_b64 exec, exec, s[4:5]
	s_waitcnt lgkmcnt(0)
	; wave barrier
	s_waitcnt lgkmcnt(0)
	buffer_load_dword v62, off, s[0:3], 0 offset:212
	buffer_load_dword v64, off, s[0:3], 0 offset:220
	;; [unrolled: 1-line block ×42, first 2 shown]
	ds_read_b128 v[4:7], v1 offset:688
	ds_read_b128 v[8:11], v1 offset:704
	buffer_load_dword v121, off, s[0:3], 0 offset:368
	buffer_load_dword v122, off, s[0:3], 0 offset:372
	ds_read_b128 v[12:15], v1 offset:720
	ds_read_b128 v[16:19], v1 offset:736
	buffer_load_dword v123, off, s[0:3], 0 offset:376
	buffer_load_dword v124, off, s[0:3], 0 offset:380
	;; [unrolled: 1-line block ×4, first 2 shown]
	ds_read_b128 v[20:23], v1 offset:752
	ds_read_b128 v[24:27], v1 offset:768
	buffer_load_dword v127, off, s[0:3], 0 offset:392
	buffer_load_dword v128, off, s[0:3], 0 offset:396
	buffer_load_dword v129, off, s[0:3], 0 offset:400
	buffer_load_dword v130, off, s[0:3], 0 offset:404
	buffer_load_dword v131, off, s[0:3], 0 offset:408
	buffer_load_dword v132, off, s[0:3], 0 offset:412
	v_cmp_lt_u32_e32 vcc, 24, v0
	s_waitcnt vmcnt(53) lgkmcnt(5)
	v_mul_f32_e32 v28, v4, v62
	s_waitcnt vmcnt(52)
	v_mul_f32_e32 v29, v6, v64
	s_waitcnt vmcnt(51) lgkmcnt(4)
	v_mul_f32_e32 v30, v8, v66
	s_waitcnt vmcnt(50)
	v_mul_f32_e32 v31, v10, v82
	;; [unrolled: 4-line block ×5, first 2 shown]
	s_waitcnt vmcnt(43)
	v_fmac_f32_e32 v28, v5, v89
	s_waitcnt vmcnt(42)
	v_fmac_f32_e32 v29, v7, v90
	v_add_f32_e32 v28, 0, v28
	s_waitcnt vmcnt(41)
	v_fmac_f32_e32 v30, v9, v91
	v_add_f32_e32 v28, v28, v29
	;; [unrolled: 3-line block ×9, first 2 shown]
	s_waitcnt vmcnt(33) lgkmcnt(0)
	v_mul_f32_e32 v29, v24, v99
	v_add_f32_e32 v28, v28, v37
	s_waitcnt vmcnt(32)
	v_fmac_f32_e32 v29, v25, v100
	v_add_f32_e32 v32, v28, v29
	ds_read_b128 v[28:31], v1 offset:784
	s_waitcnt vmcnt(31)
	v_mul_f32_e32 v33, v26, v101
	s_waitcnt vmcnt(30)
	v_fmac_f32_e32 v33, v27, v104
	v_add_f32_e32 v36, v32, v33
	ds_read_b128 v[32:35], v1 offset:800
	s_waitcnt vmcnt(29) lgkmcnt(1)
	v_mul_f32_e32 v37, v28, v105
	s_waitcnt vmcnt(28)
	v_fmac_f32_e32 v37, v29, v106
	v_add_f32_e32 v36, v36, v37
	s_waitcnt vmcnt(27)
	v_mul_f32_e32 v37, v30, v107
	s_waitcnt vmcnt(26)
	v_fmac_f32_e32 v37, v31, v108
	v_add_f32_e32 v36, v36, v37
	s_waitcnt vmcnt(25) lgkmcnt(0)
	v_mul_f32_e32 v37, v32, v109
	s_waitcnt vmcnt(24)
	v_fmac_f32_e32 v37, v33, v110
	v_add_f32_e32 v40, v36, v37
	ds_read_b128 v[36:39], v1 offset:816
	s_waitcnt vmcnt(23)
	v_mul_f32_e32 v41, v34, v111
	s_waitcnt vmcnt(22)
	v_fmac_f32_e32 v41, v35, v112
	v_add_f32_e32 v44, v40, v41
	ds_read_b128 v[40:43], v1 offset:832
	s_waitcnt vmcnt(21) lgkmcnt(1)
	v_mul_f32_e32 v45, v36, v113
	s_waitcnt vmcnt(20)
	v_fmac_f32_e32 v45, v37, v114
	v_add_f32_e32 v44, v44, v45
	s_waitcnt vmcnt(18)
	v_mul_f32_e32 v45, v38, v116
	v_fmac_f32_e32 v45, v39, v115
	v_add_f32_e32 v44, v44, v45
	s_waitcnt vmcnt(15) lgkmcnt(0)
	v_mul_f32_e32 v45, v40, v117
	s_waitcnt vmcnt(14)
	v_fmac_f32_e32 v45, v41, v118
	v_add_f32_e32 v48, v44, v45
	ds_read_b128 v[44:47], v1 offset:848
	s_waitcnt vmcnt(12)
	v_mul_f32_e32 v49, v42, v120
	v_fmac_f32_e32 v49, v43, v119
	v_add_f32_e32 v52, v48, v49
	ds_read_b128 v[48:51], v1 offset:864
	buffer_load_dword v61, off, s[0:3], 0 offset:420
	buffer_load_dword v60, off, s[0:3], 0 offset:416
	s_waitcnt vmcnt(12) lgkmcnt(1)
	v_mul_f32_e32 v53, v44, v122
	v_fmac_f32_e32 v53, v45, v121
	v_add_f32_e32 v52, v52, v53
	s_waitcnt vmcnt(10)
	v_mul_f32_e32 v53, v46, v124
	v_fmac_f32_e32 v53, v47, v123
	v_add_f32_e32 v52, v52, v53
	s_waitcnt vmcnt(8) lgkmcnt(0)
	v_mul_f32_e32 v53, v48, v126
	v_fmac_f32_e32 v53, v49, v125
	s_waitcnt vmcnt(6)
	v_mul_f32_e32 v57, v50, v128
	v_add_f32_e32 v56, v52, v53
	v_fmac_f32_e32 v57, v51, v127
	ds_read_b128 v[52:55], v1 offset:880
	v_add_f32_e32 v63, v56, v57
	ds_read_b128 v[56:59], v1 offset:896
	buffer_load_dword v69, off, s[0:3], 0 offset:452
	buffer_load_dword v68, off, s[0:3], 0 offset:448
	;; [unrolled: 1-line block ×14, first 2 shown]
	v_mul_f32_e32 v5, v5, v62
	v_fma_f32 v4, v4, v89, -v5
	v_mul_f32_e32 v5, v7, v64
	v_add_f32_e32 v4, 0, v4
	v_fma_f32 v5, v6, v90, -v5
	v_add_f32_e32 v4, v4, v5
	v_mul_f32_e32 v5, v9, v66
	v_fma_f32 v5, v8, v91, -v5
	v_add_f32_e32 v4, v4, v5
	v_mul_f32_e32 v5, v11, v82
	;; [unrolled: 3-line block ×22, first 2 shown]
	v_fma_f32 v5, v50, v127, -v5
	s_waitcnt vmcnt(15)
	v_mov_b32_e32 v18, v61
	s_waitcnt lgkmcnt(1)
	v_mul_f32_e32 v65, v52, v130
	v_add_f32_e32 v62, v4, v5
	v_mul_f32_e32 v4, v53, v130
	s_waitcnt lgkmcnt(0)
	v_pk_mul_f32 v[18:19], v[56:57], v[18:19] op_sel_hi:[1,0]
	v_fmac_f32_e32 v65, v53, v129
	v_mul_f32_e32 v67, v54, v132
	v_fma_f32 v64, v52, v129, -v4
	v_mul_f32_e32 v4, v55, v132
	s_waitcnt vmcnt(14)
	v_pk_fma_f32 v[20:21], v[56:57], v[60:61], v[18:19] op_sel:[0,0,1] op_sel_hi:[1,1,0] neg_lo:[0,0,1] neg_hi:[0,0,1]
	v_pk_fma_f32 v[18:19], v[56:57], v[60:61], v[18:19] op_sel:[0,0,1] op_sel_hi:[1,0,0]
	v_fmac_f32_e32 v67, v55, v131
	v_fma_f32 v66, v54, v131, -v4
	v_pk_add_f32 v[16:17], v[62:63], v[64:65]
	s_waitcnt vmcnt(7)
	v_mov_b32_e32 v18, v75
	ds_read_b128 v[4:7], v1 offset:912
	ds_read_b128 v[8:11], v1 offset:928
	;; [unrolled: 1-line block ×3, first 2 shown]
	v_pk_add_f32 v[16:17], v[16:17], v[66:67]
	v_mov_b32_e32 v21, v19
	v_pk_mul_f32 v[18:19], v[58:59], v[18:19] op_sel_hi:[1,0]
	v_pk_add_f32 v[16:17], v[16:17], v[20:21]
	s_waitcnt vmcnt(6)
	v_pk_fma_f32 v[20:21], v[58:59], v[74:75], v[18:19] op_sel:[0,0,1] op_sel_hi:[1,1,0] neg_lo:[0,0,1] neg_hi:[0,0,1]
	v_pk_fma_f32 v[18:19], v[58:59], v[74:75], v[18:19] op_sel:[0,0,1] op_sel_hi:[1,0,0]
	v_mov_b32_e32 v18, v73
	v_mov_b32_e32 v21, v19
	s_waitcnt lgkmcnt(2)
	v_pk_mul_f32 v[18:19], v[4:5], v[18:19] op_sel_hi:[1,0]
	v_pk_add_f32 v[16:17], v[16:17], v[20:21]
	v_pk_fma_f32 v[20:21], v[4:5], v[72:73], v[18:19] op_sel:[0,0,1] op_sel_hi:[1,1,0] neg_lo:[0,0,1] neg_hi:[0,0,1]
	v_pk_fma_f32 v[4:5], v[4:5], v[72:73], v[18:19] op_sel:[0,0,1] op_sel_hi:[1,0,0]
	v_mov_b32_e32 v21, v5
	v_pk_add_f32 v[4:5], v[16:17], v[20:21]
	v_mov_b32_e32 v16, v71
	v_pk_mul_f32 v[16:17], v[6:7], v[16:17] op_sel_hi:[1,0]
	v_pk_fma_f32 v[18:19], v[6:7], v[70:71], v[16:17] op_sel:[0,0,1] op_sel_hi:[1,1,0] neg_lo:[0,0,1] neg_hi:[0,0,1]
	v_pk_fma_f32 v[6:7], v[6:7], v[70:71], v[16:17] op_sel:[0,0,1] op_sel_hi:[1,0,0]
	v_mov_b32_e32 v6, v69
	v_mov_b32_e32 v19, v7
	s_waitcnt lgkmcnt(1)
	v_pk_mul_f32 v[6:7], v[8:9], v[6:7] op_sel_hi:[1,0]
	v_pk_fma_f32 v[16:17], v[8:9], v[68:69], v[6:7] op_sel:[0,0,1] op_sel_hi:[1,1,0] neg_lo:[0,0,1] neg_hi:[0,0,1]
	v_pk_fma_f32 v[6:7], v[8:9], v[68:69], v[6:7] op_sel:[0,0,1] op_sel_hi:[1,0,0]
	s_waitcnt vmcnt(1)
	v_mov_b32_e32 v6, v81
	v_mov_b32_e32 v17, v7
	v_pk_mul_f32 v[6:7], v[10:11], v[6:7] op_sel_hi:[1,0]
	s_waitcnt vmcnt(0)
	v_pk_fma_f32 v[8:9], v[10:11], v[80:81], v[6:7] op_sel:[0,0,1] op_sel_hi:[1,1,0] neg_lo:[0,0,1] neg_hi:[0,0,1]
	v_pk_fma_f32 v[6:7], v[10:11], v[80:81], v[6:7] op_sel:[0,0,1] op_sel_hi:[1,0,0]
	v_pk_add_f32 v[4:5], v[4:5], v[18:19]
	v_mov_b32_e32 v6, v79
	v_pk_add_f32 v[4:5], v[4:5], v[16:17]
	v_mov_b32_e32 v9, v7
	s_waitcnt lgkmcnt(0)
	v_pk_mul_f32 v[6:7], v[12:13], v[6:7] op_sel_hi:[1,0]
	v_pk_add_f32 v[4:5], v[4:5], v[8:9]
	v_pk_fma_f32 v[8:9], v[12:13], v[78:79], v[6:7] op_sel:[0,0,1] op_sel_hi:[1,1,0] neg_lo:[0,0,1] neg_hi:[0,0,1]
	v_pk_fma_f32 v[6:7], v[12:13], v[78:79], v[6:7] op_sel:[0,0,1] op_sel_hi:[1,0,0]
	v_mov_b32_e32 v6, v77
	v_mov_b32_e32 v9, v7
	v_pk_mul_f32 v[6:7], v[14:15], v[6:7] op_sel_hi:[1,0]
	v_pk_add_f32 v[4:5], v[4:5], v[8:9]
	v_pk_fma_f32 v[8:9], v[14:15], v[76:77], v[6:7] op_sel:[0,0,1] op_sel_hi:[1,1,0] neg_lo:[0,0,1] neg_hi:[0,0,1]
	v_pk_fma_f32 v[6:7], v[14:15], v[76:77], v[6:7] op_sel:[0,0,1] op_sel_hi:[1,0,0]
	v_mov_b32_e32 v9, v7
	v_pk_add_f32 v[4:5], v[4:5], v[8:9]
	v_pk_add_f32 v[2:3], v[2:3], v[4:5] neg_lo:[0,1] neg_hi:[0,1]
	buffer_store_dword v3, off, s[0:3], 0 offset:204
	buffer_store_dword v2, off, s[0:3], 0 offset:200
	s_and_saveexec_b64 s[4:5], vcc
	s_cbranch_execz .LBB59_325
; %bb.324:
	buffer_load_dword v2, off, s[0:3], 0 offset:192
	buffer_load_dword v3, off, s[0:3], 0 offset:196
	v_mov_b32_e32 v1, 0
	buffer_store_dword v1, off, s[0:3], 0 offset:192
	buffer_store_dword v1, off, s[0:3], 0 offset:196
	s_waitcnt vmcnt(2)
	ds_write_b64 v195, v[2:3]
.LBB59_325:
	s_or_b64 exec, exec, s[4:5]
	s_waitcnt lgkmcnt(0)
	; wave barrier
	s_waitcnt lgkmcnt(0)
	buffer_load_dword v60, off, s[0:3], 0 offset:204
	buffer_load_dword v62, off, s[0:3], 0 offset:212
	;; [unrolled: 1-line block ×56, first 2 shown]
	v_mov_b32_e32 v1, 0
	ds_read2_b64 v[4:7], v1 offset0:85 offset1:86
	ds_read2_b64 v[8:11], v1 offset0:87 offset1:88
	;; [unrolled: 1-line block ×6, first 2 shown]
	v_cmp_lt_u32_e32 vcc, 23, v0
	s_waitcnt vmcnt(55) lgkmcnt(5)
	v_mul_f32_e32 v28, v4, v60
	s_waitcnt vmcnt(54)
	v_mul_f32_e32 v29, v6, v62
	s_waitcnt vmcnt(53) lgkmcnt(4)
	v_mul_f32_e32 v30, v8, v64
	s_waitcnt vmcnt(52)
	v_mul_f32_e32 v31, v10, v82
	;; [unrolled: 4-line block ×4, first 2 shown]
	s_waitcnt vmcnt(47) lgkmcnt(1)
	v_mul_f32_e32 v36, v20, v87
	s_waitcnt vmcnt(46)
	v_fmac_f32_e32 v28, v5, v88
	s_waitcnt vmcnt(45)
	v_fmac_f32_e32 v29, v7, v89
	v_add_f32_e32 v28, 0, v28
	s_waitcnt vmcnt(44)
	v_fmac_f32_e32 v30, v9, v90
	v_add_f32_e32 v28, v28, v29
	;; [unrolled: 3-line block ×7, first 2 shown]
	v_add_f32_e32 v28, v28, v35
	s_waitcnt vmcnt(38)
	v_fmac_f32_e32 v36, v21, v96
	s_waitcnt vmcnt(37)
	v_mul_f32_e32 v29, v22, v97
	v_add_f32_e32 v28, v28, v36
	s_waitcnt vmcnt(36)
	v_fmac_f32_e32 v29, v23, v98
	v_add_f32_e32 v28, v28, v29
	s_waitcnt vmcnt(35) lgkmcnt(0)
	v_mul_f32_e32 v29, v24, v99
	s_waitcnt vmcnt(34)
	v_fmac_f32_e32 v29, v25, v100
	v_add_f32_e32 v32, v28, v29
	ds_read2_b64 v[28:31], v1 offset0:97 offset1:98
	s_waitcnt vmcnt(33)
	v_mul_f32_e32 v33, v26, v101
	s_waitcnt vmcnt(32)
	v_fmac_f32_e32 v33, v27, v104
	v_add_f32_e32 v36, v32, v33
	ds_read2_b64 v[32:35], v1 offset0:99 offset1:100
	s_waitcnt vmcnt(31) lgkmcnt(1)
	v_mul_f32_e32 v37, v28, v105
	s_waitcnt vmcnt(30)
	v_fmac_f32_e32 v37, v29, v106
	v_add_f32_e32 v36, v36, v37
	s_waitcnt vmcnt(29)
	v_mul_f32_e32 v37, v30, v107
	s_waitcnt vmcnt(28)
	v_fmac_f32_e32 v37, v31, v108
	v_add_f32_e32 v36, v36, v37
	s_waitcnt vmcnt(27) lgkmcnt(0)
	v_mul_f32_e32 v37, v32, v109
	s_waitcnt vmcnt(26)
	v_fmac_f32_e32 v37, v33, v110
	v_add_f32_e32 v40, v36, v37
	ds_read2_b64 v[36:39], v1 offset0:101 offset1:102
	s_waitcnt vmcnt(24)
	v_mul_f32_e32 v41, v34, v112
	v_fmac_f32_e32 v41, v35, v111
	v_add_f32_e32 v44, v40, v41
	ds_read2_b64 v[40:43], v1 offset0:103 offset1:104
	s_waitcnt vmcnt(20) lgkmcnt(1)
	v_mul_f32_e32 v45, v36, v114
	v_fmac_f32_e32 v45, v37, v113
	v_add_f32_e32 v44, v44, v45
	s_waitcnt vmcnt(18)
	v_mul_f32_e32 v45, v38, v116
	v_fmac_f32_e32 v45, v39, v115
	v_add_f32_e32 v44, v44, v45
	s_waitcnt vmcnt(16) lgkmcnt(0)
	v_mul_f32_e32 v45, v40, v118
	v_fmac_f32_e32 v45, v41, v117
	v_add_f32_e32 v48, v44, v45
	ds_read2_b64 v[44:47], v1 offset0:105 offset1:106
	s_waitcnt vmcnt(14)
	v_mul_f32_e32 v49, v42, v120
	v_fmac_f32_e32 v49, v43, v119
	v_add_f32_e32 v52, v48, v49
	ds_read2_b64 v[48:51], v1 offset0:107 offset1:108
	s_waitcnt vmcnt(12) lgkmcnt(1)
	v_mul_f32_e32 v53, v44, v122
	v_fmac_f32_e32 v53, v45, v121
	v_add_f32_e32 v52, v52, v53
	s_waitcnt vmcnt(10)
	v_mul_f32_e32 v53, v46, v124
	v_fmac_f32_e32 v53, v47, v123
	v_add_f32_e32 v52, v52, v53
	s_waitcnt vmcnt(8) lgkmcnt(0)
	v_mul_f32_e32 v53, v48, v126
	v_fmac_f32_e32 v53, v49, v125
	s_waitcnt vmcnt(6)
	v_mul_f32_e32 v57, v50, v128
	v_add_f32_e32 v56, v52, v53
	v_fmac_f32_e32 v57, v51, v127
	ds_read2_b64 v[52:55], v1 offset0:109 offset1:110
	v_add_f32_e32 v61, v56, v57
	ds_read2_b64 v[56:59], v1 offset0:111 offset1:112
	buffer_load_dword v67, off, s[0:3], 0 offset:444
	buffer_load_dword v66, off, s[0:3], 0 offset:440
	;; [unrolled: 1-line block ×16, first 2 shown]
	v_mul_f32_e32 v5, v5, v60
	v_fma_f32 v4, v4, v88, -v5
	v_mul_f32_e32 v5, v7, v62
	v_add_f32_e32 v4, 0, v4
	v_fma_f32 v5, v6, v89, -v5
	v_add_f32_e32 v4, v4, v5
	v_mul_f32_e32 v5, v9, v64
	v_fma_f32 v5, v8, v90, -v5
	v_add_f32_e32 v4, v4, v5
	v_mul_f32_e32 v5, v11, v82
	;; [unrolled: 3-line block ×22, first 2 shown]
	v_fma_f32 v5, v50, v127, -v5
	v_add_f32_e32 v4, v4, v5
	s_waitcnt vmcnt(20) lgkmcnt(1)
	v_mul_f32_e32 v5, v53, v130
	v_mul_f32_e32 v63, v52, v130
	v_fma_f32 v5, v52, v129, -v5
	v_fmac_f32_e32 v63, v53, v129
	v_add_f32_e32 v60, v4, v5
	s_waitcnt vmcnt(18)
	v_mul_f32_e32 v4, v55, v132
	s_waitcnt vmcnt(9)
	v_mov_b32_e32 v20, v73
	v_add_f32_e32 v61, v61, v63
	v_mul_f32_e32 v63, v54, v132
	v_fma_f32 v62, v54, v131, -v4
	s_waitcnt lgkmcnt(0)
	v_mul_f32_e32 v4, v57, v134
	v_pk_mul_f32 v[20:21], v[58:59], v[20:21] op_sel_hi:[1,0]
	v_fmac_f32_e32 v63, v55, v131
	v_mul_f32_e32 v65, v56, v134
	v_fma_f32 v64, v56, v133, -v4
	ds_read2_b64 v[4:7], v1 offset0:113 offset1:114
	ds_read2_b64 v[8:11], v1 offset0:115 offset1:116
	ds_read2_b64 v[12:15], v1 offset0:117 offset1:118
	ds_read_b64 v[16:17], v1 offset:952
	s_waitcnt vmcnt(8)
	v_pk_fma_f32 v[22:23], v[58:59], v[72:73], v[20:21] op_sel:[0,0,1] op_sel_hi:[1,1,0] neg_lo:[0,0,1] neg_hi:[0,0,1]
	v_pk_fma_f32 v[20:21], v[58:59], v[72:73], v[20:21] op_sel:[0,0,1] op_sel_hi:[1,0,0]
	v_fmac_f32_e32 v65, v57, v133
	v_pk_add_f32 v[18:19], v[60:61], v[62:63]
	v_mov_b32_e32 v20, v71
	v_pk_add_f32 v[18:19], v[18:19], v[64:65]
	v_mov_b32_e32 v23, v21
	s_waitcnt lgkmcnt(3)
	v_pk_mul_f32 v[20:21], v[4:5], v[20:21] op_sel_hi:[1,0]
	v_pk_add_f32 v[18:19], v[18:19], v[22:23]
	v_pk_fma_f32 v[22:23], v[4:5], v[70:71], v[20:21] op_sel:[0,0,1] op_sel_hi:[1,1,0] neg_lo:[0,0,1] neg_hi:[0,0,1]
	v_pk_fma_f32 v[4:5], v[4:5], v[70:71], v[20:21] op_sel:[0,0,1] op_sel_hi:[1,0,0]
	v_mov_b32_e32 v23, v5
	v_pk_add_f32 v[4:5], v[18:19], v[22:23]
	v_mov_b32_e32 v18, v69
	v_pk_mul_f32 v[18:19], v[6:7], v[18:19] op_sel_hi:[1,0]
	v_pk_fma_f32 v[20:21], v[6:7], v[68:69], v[18:19] op_sel:[0,0,1] op_sel_hi:[1,1,0] neg_lo:[0,0,1] neg_hi:[0,0,1]
	v_pk_fma_f32 v[6:7], v[6:7], v[68:69], v[18:19] op_sel:[0,0,1] op_sel_hi:[1,0,0]
	v_mov_b32_e32 v6, v67
	v_mov_b32_e32 v21, v7
	s_waitcnt lgkmcnt(2)
	v_pk_mul_f32 v[6:7], v[8:9], v[6:7] op_sel_hi:[1,0]
	v_pk_fma_f32 v[18:19], v[8:9], v[66:67], v[6:7] op_sel:[0,0,1] op_sel_hi:[1,1,0] neg_lo:[0,0,1] neg_hi:[0,0,1]
	v_pk_fma_f32 v[6:7], v[8:9], v[66:67], v[6:7] op_sel:[0,0,1] op_sel_hi:[1,0,0]
	s_waitcnt vmcnt(1)
	v_mov_b32_e32 v6, v81
	v_mov_b32_e32 v19, v7
	v_pk_mul_f32 v[6:7], v[10:11], v[6:7] op_sel_hi:[1,0]
	s_waitcnt vmcnt(0)
	v_pk_fma_f32 v[8:9], v[10:11], v[80:81], v[6:7] op_sel:[0,0,1] op_sel_hi:[1,1,0] neg_lo:[0,0,1] neg_hi:[0,0,1]
	v_pk_fma_f32 v[6:7], v[10:11], v[80:81], v[6:7] op_sel:[0,0,1] op_sel_hi:[1,0,0]
	v_pk_add_f32 v[4:5], v[4:5], v[20:21]
	v_mov_b32_e32 v6, v79
	v_pk_add_f32 v[4:5], v[4:5], v[18:19]
	v_mov_b32_e32 v9, v7
	s_waitcnt lgkmcnt(1)
	v_pk_mul_f32 v[6:7], v[12:13], v[6:7] op_sel_hi:[1,0]
	v_pk_add_f32 v[4:5], v[4:5], v[8:9]
	v_pk_fma_f32 v[8:9], v[12:13], v[78:79], v[6:7] op_sel:[0,0,1] op_sel_hi:[1,1,0] neg_lo:[0,0,1] neg_hi:[0,0,1]
	v_pk_fma_f32 v[6:7], v[12:13], v[78:79], v[6:7] op_sel:[0,0,1] op_sel_hi:[1,0,0]
	v_mov_b32_e32 v6, v77
	v_mov_b32_e32 v9, v7
	v_pk_mul_f32 v[6:7], v[14:15], v[6:7] op_sel_hi:[1,0]
	v_pk_add_f32 v[4:5], v[4:5], v[8:9]
	v_pk_fma_f32 v[8:9], v[14:15], v[76:77], v[6:7] op_sel:[0,0,1] op_sel_hi:[1,1,0] neg_lo:[0,0,1] neg_hi:[0,0,1]
	v_pk_fma_f32 v[6:7], v[14:15], v[76:77], v[6:7] op_sel:[0,0,1] op_sel_hi:[1,0,0]
	v_mov_b32_e32 v6, v75
	v_mov_b32_e32 v9, v7
	s_waitcnt lgkmcnt(0)
	v_pk_mul_f32 v[6:7], v[16:17], v[6:7] op_sel_hi:[1,0]
	v_pk_add_f32 v[4:5], v[4:5], v[8:9]
	v_pk_fma_f32 v[8:9], v[16:17], v[74:75], v[6:7] op_sel:[0,0,1] op_sel_hi:[1,1,0] neg_lo:[0,0,1] neg_hi:[0,0,1]
	v_pk_fma_f32 v[6:7], v[16:17], v[74:75], v[6:7] op_sel:[0,0,1] op_sel_hi:[1,0,0]
	v_mov_b32_e32 v9, v7
	v_pk_add_f32 v[4:5], v[4:5], v[8:9]
	v_pk_add_f32 v[2:3], v[2:3], v[4:5] neg_lo:[0,1] neg_hi:[0,1]
	buffer_store_dword v3, off, s[0:3], 0 offset:196
	buffer_store_dword v2, off, s[0:3], 0 offset:192
	s_and_saveexec_b64 s[4:5], vcc
	s_cbranch_execz .LBB59_327
; %bb.326:
	buffer_load_dword v2, off, s[0:3], 0 offset:184
	buffer_load_dword v3, off, s[0:3], 0 offset:188
	s_waitcnt vmcnt(0)
	ds_write_b64 v195, v[2:3]
	buffer_store_dword v1, off, s[0:3], 0 offset:184
	buffer_store_dword v1, off, s[0:3], 0 offset:188
.LBB59_327:
	s_or_b64 exec, exec, s[4:5]
	s_waitcnt lgkmcnt(0)
	; wave barrier
	s_waitcnt lgkmcnt(0)
	buffer_load_dword v60, off, s[0:3], 0 offset:196
	buffer_load_dword v62, off, s[0:3], 0 offset:204
	buffer_load_dword v70, off, s[0:3], 0 offset:220
	buffer_load_dword v82, off, s[0:3], 0 offset:228
	buffer_load_dword v83, off, s[0:3], 0 offset:236
	buffer_load_dword v84, off, s[0:3], 0 offset:212
	buffer_load_dword v85, off, s[0:3], 0 offset:244
	buffer_load_dword v86, off, s[0:3], 0 offset:252
	buffer_load_dword v87, off, s[0:3], 0 offset:208
	buffer_load_dword v88, off, s[0:3], 0 offset:200
	buffer_load_dword v89, off, s[0:3], 0 offset:192
	buffer_load_dword v90, off, s[0:3], 0 offset:240
	buffer_load_dword v91, off, s[0:3], 0 offset:232
	buffer_load_dword v92, off, s[0:3], 0 offset:224
	buffer_load_dword v93, off, s[0:3], 0 offset:216
	buffer_load_dword v94, off, s[0:3], 0 offset:272
	buffer_load_dword v95, off, s[0:3], 0 offset:264
	buffer_load_dword v96, off, s[0:3], 0 offset:256
	buffer_load_dword v97, off, s[0:3], 0 offset:248
	buffer_load_dword v98, off, s[0:3], 0 offset:260
	buffer_load_dword v99, off, s[0:3], 0 offset:268
	buffer_load_dword v100, off, s[0:3], 0 offset:276
	buffer_load_dword v101, off, s[0:3], 0 offset:304
	buffer_load_dword v104, off, s[0:3], 0 offset:296
	buffer_load_dword v105, off, s[0:3], 0 offset:288
	buffer_load_dword v106, off, s[0:3], 0 offset:284
	buffer_load_dword v107, off, s[0:3], 0 offset:280
	buffer_load_dword v108, off, s[0:3], 0 offset:292
	buffer_load_dword v109, off, s[0:3], 0 offset:300
	buffer_load_dword v110, off, s[0:3], 0 offset:308
	buffer_load_dword v111, off, s[0:3], 0 offset:320
	buffer_load_dword v112, off, s[0:3], 0 offset:324
	buffer_load_dword v113, off, s[0:3], 0 offset:328
	buffer_load_dword v114, off, s[0:3], 0 offset:332
	buffer_load_dword v115, off, s[0:3], 0 offset:336
	buffer_load_dword v116, off, s[0:3], 0 offset:340
	buffer_load_dword v117, off, s[0:3], 0 offset:316
	buffer_load_dword v118, off, s[0:3], 0 offset:312
	buffer_load_dword v2, off, s[0:3], 0 offset:184
	buffer_load_dword v3, off, s[0:3], 0 offset:188
	ds_read_b128 v[4:7], v1 offset:672
	ds_read_b128 v[8:11], v1 offset:688
	;; [unrolled: 1-line block ×4, first 2 shown]
	buffer_load_dword v119, off, s[0:3], 0 offset:344
	buffer_load_dword v120, off, s[0:3], 0 offset:348
	ds_read_b128 v[20:23], v1 offset:736
	ds_read_b128 v[24:27], v1 offset:752
	buffer_load_dword v121, off, s[0:3], 0 offset:352
	buffer_load_dword v122, off, s[0:3], 0 offset:356
	;; [unrolled: 1-line block ×16, first 2 shown]
	v_cmp_lt_u32_e32 vcc, 22, v0
	s_waitcnt vmcnt(57) lgkmcnt(5)
	v_mul_f32_e32 v28, v4, v60
	s_waitcnt vmcnt(56)
	v_mul_f32_e32 v29, v6, v62
	s_waitcnt vmcnt(55) lgkmcnt(4)
	v_mul_f32_e32 v31, v10, v70
	s_waitcnt vmcnt(54) lgkmcnt(3)
	v_mul_f32_e32 v32, v12, v82
	s_waitcnt vmcnt(53)
	v_mul_f32_e32 v33, v14, v83
	s_waitcnt vmcnt(52)
	v_mul_f32_e32 v30, v8, v84
	s_waitcnt vmcnt(51) lgkmcnt(2)
	v_mul_f32_e32 v34, v16, v85
	s_waitcnt vmcnt(50)
	v_mul_f32_e32 v35, v18, v86
	s_waitcnt vmcnt(49)
	v_fmac_f32_e32 v30, v9, v87
	s_waitcnt vmcnt(48)
	v_fmac_f32_e32 v29, v7, v88
	;; [unrolled: 2-line block ×3, first 2 shown]
	v_add_f32_e32 v28, 0, v28
	v_add_f32_e32 v28, v28, v29
	;; [unrolled: 1-line block ×3, first 2 shown]
	s_waitcnt vmcnt(43)
	v_fmac_f32_e32 v31, v11, v93
	v_fmac_f32_e32 v32, v13, v92
	v_add_f32_e32 v28, v28, v31
	v_fmac_f32_e32 v33, v15, v91
	v_add_f32_e32 v28, v28, v32
	;; [unrolled: 2-line block ×3, first 2 shown]
	s_waitcnt vmcnt(39)
	v_fmac_f32_e32 v35, v19, v97
	v_add_f32_e32 v28, v28, v34
	s_waitcnt vmcnt(38) lgkmcnt(1)
	v_mul_f32_e32 v29, v20, v98
	v_add_f32_e32 v28, v28, v35
	v_fmac_f32_e32 v29, v21, v96
	v_add_f32_e32 v28, v28, v29
	s_waitcnt vmcnt(37)
	v_mul_f32_e32 v29, v22, v99
	v_fmac_f32_e32 v29, v23, v95
	v_add_f32_e32 v28, v28, v29
	s_waitcnt vmcnt(36) lgkmcnt(0)
	v_mul_f32_e32 v29, v24, v100
	v_fmac_f32_e32 v29, v25, v94
	v_add_f32_e32 v32, v28, v29
	ds_read_b128 v[28:31], v1 offset:768
	s_waitcnt vmcnt(32)
	v_mul_f32_e32 v33, v26, v106
	s_waitcnt vmcnt(31)
	v_fmac_f32_e32 v33, v27, v107
	v_add_f32_e32 v36, v32, v33
	ds_read_b128 v[32:35], v1 offset:784
	s_waitcnt vmcnt(30) lgkmcnt(1)
	v_mul_f32_e32 v37, v28, v108
	v_fmac_f32_e32 v37, v29, v105
	v_add_f32_e32 v36, v36, v37
	s_waitcnt vmcnt(29)
	v_mul_f32_e32 v37, v30, v109
	v_fmac_f32_e32 v37, v31, v104
	v_add_f32_e32 v36, v36, v37
	s_waitcnt vmcnt(28) lgkmcnt(0)
	v_mul_f32_e32 v37, v32, v110
	v_fmac_f32_e32 v37, v33, v101
	v_add_f32_e32 v40, v36, v37
	ds_read_b128 v[36:39], v1 offset:800
	s_waitcnt vmcnt(21)
	v_mul_f32_e32 v41, v34, v117
	s_waitcnt vmcnt(20)
	v_fmac_f32_e32 v41, v35, v118
	v_add_f32_e32 v44, v40, v41
	ds_read_b128 v[40:43], v1 offset:816
	s_waitcnt lgkmcnt(1)
	v_mul_f32_e32 v45, v36, v112
	v_fmac_f32_e32 v45, v37, v111
	v_add_f32_e32 v44, v44, v45
	v_mul_f32_e32 v45, v38, v114
	v_fmac_f32_e32 v45, v39, v113
	v_add_f32_e32 v44, v44, v45
	s_waitcnt lgkmcnt(0)
	v_mul_f32_e32 v45, v40, v116
	v_fmac_f32_e32 v45, v41, v115
	v_add_f32_e32 v48, v44, v45
	ds_read_b128 v[44:47], v1 offset:832
	s_waitcnt vmcnt(16)
	v_mul_f32_e32 v49, v42, v120
	v_fmac_f32_e32 v49, v43, v119
	v_add_f32_e32 v52, v48, v49
	ds_read_b128 v[48:51], v1 offset:848
	s_waitcnt vmcnt(14) lgkmcnt(1)
	v_mul_f32_e32 v53, v44, v122
	v_fmac_f32_e32 v53, v45, v121
	v_add_f32_e32 v52, v52, v53
	s_waitcnt vmcnt(12)
	v_mul_f32_e32 v53, v46, v124
	v_fmac_f32_e32 v53, v47, v123
	v_add_f32_e32 v52, v52, v53
	s_waitcnt vmcnt(10) lgkmcnt(0)
	v_mul_f32_e32 v53, v48, v126
	v_fmac_f32_e32 v53, v49, v125
	s_waitcnt vmcnt(8)
	v_mul_f32_e32 v57, v50, v128
	v_add_f32_e32 v56, v52, v53
	v_fmac_f32_e32 v57, v51, v127
	ds_read_b128 v[52:55], v1 offset:864
	v_add_f32_e32 v61, v56, v57
	ds_read_b128 v[56:59], v1 offset:880
	buffer_load_dword v65, off, s[0:3], 0 offset:436
	buffer_load_dword v64, off, s[0:3], 0 offset:432
	;; [unrolled: 1-line block ×16, first 2 shown]
	v_mul_f32_e32 v5, v5, v60
	v_fma_f32 v4, v4, v89, -v5
	v_mul_f32_e32 v5, v7, v62
	v_add_f32_e32 v4, 0, v4
	v_fma_f32 v5, v6, v88, -v5
	v_add_f32_e32 v4, v4, v5
	v_mul_f32_e32 v5, v9, v84
	v_fma_f32 v5, v8, v87, -v5
	v_add_f32_e32 v4, v4, v5
	v_mul_f32_e32 v5, v11, v70
	;; [unrolled: 3-line block ×22, first 2 shown]
	v_fma_f32 v5, v50, v127, -v5
	v_add_f32_e32 v4, v4, v5
	s_waitcnt vmcnt(22) lgkmcnt(1)
	v_mul_f32_e32 v5, v53, v130
	v_fma_f32 v5, v52, v129, -v5
	v_add_f32_e32 v4, v4, v5
	s_waitcnt vmcnt(20)
	v_mul_f32_e32 v5, v55, v132
	v_mul_f32_e32 v63, v52, v130
	v_fma_f32 v5, v54, v131, -v5
	v_fmac_f32_e32 v63, v53, v129
	v_add_f32_e32 v60, v4, v5
	s_waitcnt vmcnt(18) lgkmcnt(0)
	v_mul_f32_e32 v4, v57, v134
	v_add_f32_e32 v61, v61, v63
	v_mul_f32_e32 v63, v54, v132
	v_fma_f32 v62, v56, v133, -v4
	s_waitcnt vmcnt(16)
	v_mul_f32_e32 v4, v59, v136
	v_fmac_f32_e32 v63, v55, v131
	v_fma_f32 v70, v58, v135, -v4
	ds_read_b128 v[4:7], v1 offset:896
	ds_read_b128 v[8:11], v1 offset:912
	;; [unrolled: 1-line block ×4, first 2 shown]
	v_add_f32_e32 v61, v61, v63
	v_mul_f32_e32 v63, v56, v134
	s_waitcnt vmcnt(11)
	v_mov_b32_e32 v22, v69
	v_fmac_f32_e32 v63, v57, v133
	v_mul_f32_e32 v71, v58, v136
	s_waitcnt lgkmcnt(3)
	v_pk_mul_f32 v[22:23], v[4:5], v[22:23] op_sel_hi:[1,0]
	v_fmac_f32_e32 v71, v59, v135
	v_pk_add_f32 v[20:21], v[60:61], v[62:63]
	s_waitcnt vmcnt(10)
	v_pk_fma_f32 v[24:25], v[4:5], v[68:69], v[22:23] op_sel:[0,0,1] op_sel_hi:[1,1,0] neg_lo:[0,0,1] neg_hi:[0,0,1]
	v_pk_fma_f32 v[4:5], v[4:5], v[68:69], v[22:23] op_sel:[0,0,1] op_sel_hi:[1,0,0]
	v_pk_add_f32 v[20:21], v[20:21], v[70:71]
	v_mov_b32_e32 v25, v5
	v_pk_add_f32 v[4:5], v[20:21], v[24:25]
	v_mov_b32_e32 v20, v67
	v_pk_mul_f32 v[20:21], v[6:7], v[20:21] op_sel_hi:[1,0]
	v_pk_fma_f32 v[22:23], v[6:7], v[66:67], v[20:21] op_sel:[0,0,1] op_sel_hi:[1,1,0] neg_lo:[0,0,1] neg_hi:[0,0,1]
	v_pk_fma_f32 v[6:7], v[6:7], v[66:67], v[20:21] op_sel:[0,0,1] op_sel_hi:[1,0,0]
	v_mov_b32_e32 v6, v65
	v_mov_b32_e32 v23, v7
	s_waitcnt lgkmcnt(2)
	v_pk_mul_f32 v[6:7], v[8:9], v[6:7] op_sel_hi:[1,0]
	v_pk_fma_f32 v[20:21], v[8:9], v[64:65], v[6:7] op_sel:[0,0,1] op_sel_hi:[1,1,0] neg_lo:[0,0,1] neg_hi:[0,0,1]
	v_pk_fma_f32 v[6:7], v[8:9], v[64:65], v[6:7] op_sel:[0,0,1] op_sel_hi:[1,0,0]
	s_waitcnt vmcnt(3)
	v_mov_b32_e32 v6, v79
	v_mov_b32_e32 v21, v7
	v_pk_mul_f32 v[6:7], v[10:11], v[6:7] op_sel_hi:[1,0]
	s_waitcnt vmcnt(2)
	v_pk_fma_f32 v[8:9], v[10:11], v[78:79], v[6:7] op_sel:[0,0,1] op_sel_hi:[1,1,0] neg_lo:[0,0,1] neg_hi:[0,0,1]
	v_pk_fma_f32 v[6:7], v[10:11], v[78:79], v[6:7] op_sel:[0,0,1] op_sel_hi:[1,0,0]
	v_pk_add_f32 v[4:5], v[4:5], v[22:23]
	v_mov_b32_e32 v6, v77
	v_pk_add_f32 v[4:5], v[4:5], v[20:21]
	v_mov_b32_e32 v9, v7
	s_waitcnt lgkmcnt(1)
	v_pk_mul_f32 v[6:7], v[12:13], v[6:7] op_sel_hi:[1,0]
	v_pk_add_f32 v[4:5], v[4:5], v[8:9]
	v_pk_fma_f32 v[8:9], v[12:13], v[76:77], v[6:7] op_sel:[0,0,1] op_sel_hi:[1,1,0] neg_lo:[0,0,1] neg_hi:[0,0,1]
	v_pk_fma_f32 v[6:7], v[12:13], v[76:77], v[6:7] op_sel:[0,0,1] op_sel_hi:[1,0,0]
	v_mov_b32_e32 v6, v75
	v_mov_b32_e32 v9, v7
	v_pk_mul_f32 v[6:7], v[14:15], v[6:7] op_sel_hi:[1,0]
	v_pk_add_f32 v[4:5], v[4:5], v[8:9]
	v_pk_fma_f32 v[8:9], v[14:15], v[74:75], v[6:7] op_sel:[0,0,1] op_sel_hi:[1,1,0] neg_lo:[0,0,1] neg_hi:[0,0,1]
	v_pk_fma_f32 v[6:7], v[14:15], v[74:75], v[6:7] op_sel:[0,0,1] op_sel_hi:[1,0,0]
	v_mov_b32_e32 v6, v73
	v_mov_b32_e32 v9, v7
	s_waitcnt lgkmcnt(0)
	v_pk_mul_f32 v[6:7], v[16:17], v[6:7] op_sel_hi:[1,0]
	v_pk_add_f32 v[4:5], v[4:5], v[8:9]
	v_pk_fma_f32 v[8:9], v[16:17], v[72:73], v[6:7] op_sel:[0,0,1] op_sel_hi:[1,1,0] neg_lo:[0,0,1] neg_hi:[0,0,1]
	v_pk_fma_f32 v[6:7], v[16:17], v[72:73], v[6:7] op_sel:[0,0,1] op_sel_hi:[1,0,0]
	s_waitcnt vmcnt(1)
	v_mov_b32_e32 v6, v81
	v_mov_b32_e32 v9, v7
	v_pk_mul_f32 v[6:7], v[18:19], v[6:7] op_sel_hi:[1,0]
	v_pk_add_f32 v[4:5], v[4:5], v[8:9]
	s_waitcnt vmcnt(0)
	v_pk_fma_f32 v[8:9], v[18:19], v[80:81], v[6:7] op_sel:[0,0,1] op_sel_hi:[1,1,0] neg_lo:[0,0,1] neg_hi:[0,0,1]
	v_pk_fma_f32 v[6:7], v[18:19], v[80:81], v[6:7] op_sel:[0,0,1] op_sel_hi:[1,0,0]
	v_mov_b32_e32 v9, v7
	v_pk_add_f32 v[4:5], v[4:5], v[8:9]
	v_pk_add_f32 v[2:3], v[2:3], v[4:5] neg_lo:[0,1] neg_hi:[0,1]
	buffer_store_dword v3, off, s[0:3], 0 offset:188
	buffer_store_dword v2, off, s[0:3], 0 offset:184
	s_and_saveexec_b64 s[4:5], vcc
	s_cbranch_execz .LBB59_329
; %bb.328:
	buffer_load_dword v2, off, s[0:3], 0 offset:176
	buffer_load_dword v3, off, s[0:3], 0 offset:180
	v_mov_b32_e32 v1, 0
	buffer_store_dword v1, off, s[0:3], 0 offset:176
	buffer_store_dword v1, off, s[0:3], 0 offset:180
	s_waitcnt vmcnt(2)
	ds_write_b64 v195, v[2:3]
.LBB59_329:
	s_or_b64 exec, exec, s[4:5]
	v_mov_b32_e32 v86, 0
	s_waitcnt lgkmcnt(0)
	; wave barrier
	s_waitcnt lgkmcnt(0)
	ds_read2_b64 v[2:5], v86 offset0:83 offset1:84
	buffer_load_dword v62, off, s[0:3], 0 offset:176
	buffer_load_dword v63, off, s[0:3], 0 offset:180
	;; [unrolled: 1-line block ×16, first 2 shown]
	ds_read2_b64 v[10:13], v86 offset0:85 offset1:86
	ds_read2_b64 v[14:17], v86 offset0:87 offset1:88
	;; [unrolled: 1-line block ×3, first 2 shown]
	buffer_load_dword v97, off, s[0:3], 0 offset:240
	buffer_load_dword v98, off, s[0:3], 0 offset:244
	ds_read2_b64 v[22:25], v86 offset0:91 offset1:92
	buffer_load_dword v99, off, s[0:3], 0 offset:248
	buffer_load_dword v100, off, s[0:3], 0 offset:252
	buffer_load_dword v101, off, s[0:3], 0 offset:256
	buffer_load_dword v104, off, s[0:3], 0 offset:260
	ds_read2_b64 v[26:29], v86 offset0:93 offset1:94
	buffer_load_dword v105, off, s[0:3], 0 offset:264
	buffer_load_dword v106, off, s[0:3], 0 offset:268
	;; [unrolled: 5-line block ×10, first 2 shown]
	buffer_load_dword v139, off, s[0:3], 0 offset:400
	buffer_load_dword v140, off, s[0:3], 0 offset:404
	v_cmp_lt_u32_e32 vcc, 21, v0
	s_waitcnt vmcnt(54) lgkmcnt(13)
	v_mul_f32_e32 v6, v2, v70
	v_fmac_f32_e32 v6, v3, v1
	s_waitcnt vmcnt(52)
	v_mul_f32_e32 v7, v4, v88
	v_add_f32_e32 v6, 0, v6
	v_fmac_f32_e32 v7, v5, v64
	v_add_f32_e32 v6, v6, v7
	s_waitcnt vmcnt(50) lgkmcnt(12)
	v_mul_f32_e32 v7, v10, v90
	v_fmac_f32_e32 v7, v11, v66
	v_add_f32_e32 v6, v6, v7
	s_waitcnt vmcnt(48)
	v_mul_f32_e32 v7, v12, v92
	v_fmac_f32_e32 v7, v13, v87
	v_add_f32_e32 v6, v6, v7
	s_waitcnt vmcnt(46) lgkmcnt(11)
	v_mul_f32_e32 v7, v14, v94
	v_fmac_f32_e32 v7, v15, v89
	v_add_f32_e32 v6, v6, v7
	s_waitcnt vmcnt(44)
	v_mul_f32_e32 v7, v16, v95
	;; [unrolled: 8-line block ×12, first 2 shown]
	v_fmac_f32_e32 v7, v57, v135
	v_add_f32_e32 v6, v6, v7
	s_waitcnt vmcnt(2) lgkmcnt(0)
	v_mul_f32_e32 v7, v58, v138
	v_fmac_f32_e32 v7, v59, v137
	v_add_f32_e32 v65, v6, v7
	ds_read2_b64 v[6:9], v86 offset0:111 offset1:112
	buffer_load_dword v141, off, s[0:3], 0 offset:408
	buffer_load_dword v142, off, s[0:3], 0 offset:412
	;; [unrolled: 1-line block ×18, first 2 shown]
	v_mul_f32_e32 v3, v3, v70
	v_fma_f32 v1, v2, v1, -v3
	v_mul_f32_e32 v2, v5, v88
	v_add_f32_e32 v1, 0, v1
	v_fma_f32 v2, v4, v64, -v2
	v_add_f32_e32 v1, v1, v2
	v_mul_f32_e32 v2, v11, v90
	v_fma_f32 v2, v10, v66, -v2
	v_add_f32_e32 v1, v1, v2
	v_mul_f32_e32 v2, v13, v92
	;; [unrolled: 3-line block ×25, first 2 shown]
	v_fma_f32 v2, v58, v137, -v2
	s_waitcnt vmcnt(18)
	v_mul_f32_e32 v67, v60, v140
	v_add_f32_e32 v64, v1, v2
	v_mul_f32_e32 v1, v61, v140
	s_waitcnt vmcnt(15)
	v_mov_b32_e32 v20, v69
	v_fmac_f32_e32 v67, v61, v139
	s_waitcnt lgkmcnt(0)
	v_mul_f32_e32 v71, v6, v142
	v_fma_f32 v66, v60, v139, -v1
	v_mul_f32_e32 v1, v7, v142
	v_pk_mul_f32 v[20:21], v[8:9], v[20:21] op_sel_hi:[1,0]
	v_fmac_f32_e32 v71, v7, v141
	v_fma_f32 v70, v6, v141, -v1
	v_pk_add_f32 v[18:19], v[64:65], v[66:67]
	s_waitcnt vmcnt(14)
	v_pk_fma_f32 v[22:23], v[8:9], v[68:69], v[20:21] op_sel:[0,0,1] op_sel_hi:[1,1,0] neg_lo:[0,0,1] neg_hi:[0,0,1]
	v_pk_fma_f32 v[8:9], v[8:9], v[68:69], v[20:21] op_sel:[0,0,1] op_sel_hi:[1,0,0]
	ds_read2_b64 v[2:5], v86 offset0:113 offset1:114
	ds_read2_b64 v[10:13], v86 offset0:115 offset1:116
	;; [unrolled: 1-line block ×3, first 2 shown]
	ds_read_b64 v[6:7], v86 offset:952
	v_pk_add_f32 v[18:19], v[18:19], v[70:71]
	v_mov_b32_e32 v23, v9
	v_pk_add_f32 v[8:9], v[18:19], v[22:23]
	s_waitcnt vmcnt(13)
	v_mov_b32_e32 v18, v85
	s_waitcnt lgkmcnt(3)
	v_pk_mul_f32 v[18:19], v[2:3], v[18:19] op_sel_hi:[1,0]
	s_waitcnt vmcnt(12)
	v_pk_fma_f32 v[20:21], v[2:3], v[84:85], v[18:19] op_sel:[0,0,1] op_sel_hi:[1,1,0] neg_lo:[0,0,1] neg_hi:[0,0,1]
	v_pk_fma_f32 v[2:3], v[2:3], v[84:85], v[18:19] op_sel:[0,0,1] op_sel_hi:[1,0,0]
	v_mov_b32_e32 v21, v3
	v_pk_add_f32 v[2:3], v[8:9], v[20:21]
	s_waitcnt vmcnt(11)
	v_mov_b32_e32 v8, v83
	v_pk_mul_f32 v[8:9], v[4:5], v[8:9] op_sel_hi:[1,0]
	s_waitcnt vmcnt(10)
	v_pk_fma_f32 v[18:19], v[4:5], v[82:83], v[8:9] op_sel:[0,0,1] op_sel_hi:[1,1,0] neg_lo:[0,0,1] neg_hi:[0,0,1]
	v_pk_fma_f32 v[4:5], v[4:5], v[82:83], v[8:9] op_sel:[0,0,1] op_sel_hi:[1,0,0]
	s_waitcnt vmcnt(9)
	v_mov_b32_e32 v4, v81
	v_mov_b32_e32 v19, v5
	s_waitcnt lgkmcnt(2)
	v_pk_mul_f32 v[4:5], v[10:11], v[4:5] op_sel_hi:[1,0]
	s_waitcnt vmcnt(8)
	v_pk_fma_f32 v[8:9], v[10:11], v[80:81], v[4:5] op_sel:[0,0,1] op_sel_hi:[1,1,0] neg_lo:[0,0,1] neg_hi:[0,0,1]
	v_pk_fma_f32 v[4:5], v[10:11], v[80:81], v[4:5] op_sel:[0,0,1] op_sel_hi:[1,0,0]
	s_waitcnt vmcnt(7)
	v_mov_b32_e32 v4, v79
	v_pk_add_f32 v[2:3], v[2:3], v[18:19]
	v_mov_b32_e32 v9, v5
	v_pk_mul_f32 v[4:5], v[12:13], v[4:5] op_sel_hi:[1,0]
	v_pk_add_f32 v[2:3], v[2:3], v[8:9]
	s_waitcnt vmcnt(6)
	v_pk_fma_f32 v[8:9], v[12:13], v[78:79], v[4:5] op_sel:[0,0,1] op_sel_hi:[1,1,0] neg_lo:[0,0,1] neg_hi:[0,0,1]
	v_pk_fma_f32 v[4:5], v[12:13], v[78:79], v[4:5] op_sel:[0,0,1] op_sel_hi:[1,0,0]
	s_waitcnt vmcnt(5)
	v_mov_b32_e32 v4, v77
	v_mov_b32_e32 v9, v5
	s_waitcnt lgkmcnt(1)
	v_pk_mul_f32 v[4:5], v[14:15], v[4:5] op_sel_hi:[1,0]
	v_pk_add_f32 v[2:3], v[2:3], v[8:9]
	s_waitcnt vmcnt(4)
	v_pk_fma_f32 v[8:9], v[14:15], v[76:77], v[4:5] op_sel:[0,0,1] op_sel_hi:[1,1,0] neg_lo:[0,0,1] neg_hi:[0,0,1]
	v_pk_fma_f32 v[4:5], v[14:15], v[76:77], v[4:5] op_sel:[0,0,1] op_sel_hi:[1,0,0]
	s_waitcnt vmcnt(3)
	v_mov_b32_e32 v4, v75
	v_mov_b32_e32 v9, v5
	v_pk_mul_f32 v[4:5], v[16:17], v[4:5] op_sel_hi:[1,0]
	v_pk_add_f32 v[2:3], v[2:3], v[8:9]
	s_waitcnt vmcnt(2)
	v_pk_fma_f32 v[8:9], v[16:17], v[74:75], v[4:5] op_sel:[0,0,1] op_sel_hi:[1,1,0] neg_lo:[0,0,1] neg_hi:[0,0,1]
	v_pk_fma_f32 v[4:5], v[16:17], v[74:75], v[4:5] op_sel:[0,0,1] op_sel_hi:[1,0,0]
	s_waitcnt vmcnt(1)
	v_mov_b32_e32 v4, v73
	v_mov_b32_e32 v9, v5
	s_waitcnt lgkmcnt(0)
	v_pk_mul_f32 v[4:5], v[6:7], v[4:5] op_sel_hi:[1,0]
	v_pk_add_f32 v[2:3], v[2:3], v[8:9]
	s_waitcnt vmcnt(0)
	v_pk_fma_f32 v[8:9], v[6:7], v[72:73], v[4:5] op_sel:[0,0,1] op_sel_hi:[1,1,0] neg_lo:[0,0,1] neg_hi:[0,0,1]
	v_pk_fma_f32 v[4:5], v[6:7], v[72:73], v[4:5] op_sel:[0,0,1] op_sel_hi:[1,0,0]
	v_mov_b32_e32 v9, v5
	v_pk_add_f32 v[2:3], v[2:3], v[8:9]
	v_pk_add_f32 v[2:3], v[62:63], v[2:3] neg_lo:[0,1] neg_hi:[0,1]
	buffer_store_dword v3, off, s[0:3], 0 offset:180
	buffer_store_dword v2, off, s[0:3], 0 offset:176
	s_and_saveexec_b64 s[4:5], vcc
	s_cbranch_execz .LBB59_331
; %bb.330:
	buffer_load_dword v2, off, s[0:3], 0 offset:168
	buffer_load_dword v3, off, s[0:3], 0 offset:172
	s_waitcnt vmcnt(0)
	ds_write_b64 v195, v[2:3]
	buffer_store_dword v86, off, s[0:3], 0 offset:168
	buffer_store_dword v86, off, s[0:3], 0 offset:172
.LBB59_331:
	s_or_b64 exec, exec, s[4:5]
	s_waitcnt lgkmcnt(0)
	; wave barrier
	s_waitcnt lgkmcnt(0)
	buffer_load_dword v1, off, s[0:3], 0 offset:180
	buffer_load_dword v70, off, s[0:3], 0 offset:188
	;; [unrolled: 1-line block ×32, first 2 shown]
	ds_read_b128 v[16:19], v86 offset:656
	ds_read_b128 v[6:9], v86 offset:672
	buffer_load_dword v119, off, s[0:3], 0 offset:296
	buffer_load_dword v120, off, s[0:3], 0 offset:300
	ds_read_b128 v[10:13], v86 offset:688
	ds_read_b128 v[2:5], v86 offset:704
	buffer_load_dword v121, off, s[0:3], 0 offset:304
	buffer_load_dword v122, off, s[0:3], 0 offset:308
	;; [unrolled: 1-line block ×28, first 2 shown]
	v_cmp_lt_u32_e32 vcc, 20, v0
	s_waitcnt vmcnt(61) lgkmcnt(3)
	v_mul_f32_e32 v20, v16, v1
	s_waitcnt vmcnt(60)
	v_mul_f32_e32 v21, v18, v70
	s_waitcnt vmcnt(59) lgkmcnt(2)
	v_mul_f32_e32 v23, v8, v72
	s_waitcnt vmcnt(58) lgkmcnt(1)
	v_mul_f32_e32 v24, v10, v74
	s_waitcnt vmcnt(57)
	v_mul_f32_e32 v25, v12, v87
	s_waitcnt vmcnt(56)
	;; [unrolled: 2-line block ×3, first 2 shown]
	v_fmac_f32_e32 v22, v7, v93
	s_waitcnt vmcnt(54)
	v_fmac_f32_e32 v21, v19, v94
	s_waitcnt vmcnt(53)
	v_fmac_f32_e32 v20, v17, v95
	v_add_f32_e32 v20, 0, v20
	v_add_f32_e32 v20, v20, v21
	;; [unrolled: 1-line block ×3, first 2 shown]
	s_waitcnt vmcnt(49)
	v_fmac_f32_e32 v24, v11, v99
	s_waitcnt vmcnt(48)
	v_fmac_f32_e32 v23, v9, v100
	v_add_f32_e32 v20, v20, v23
	s_waitcnt lgkmcnt(0)
	v_mul_f32_e32 v26, v2, v96
	v_fmac_f32_e32 v25, v13, v98
	v_add_f32_e32 v20, v20, v24
	v_fmac_f32_e32 v26, v3, v97
	v_add_f32_e32 v20, v20, v25
	v_add_f32_e32 v24, v20, v26
	ds_read_b128 v[20:23], v86 offset:720
	s_waitcnt vmcnt(44)
	v_mul_f32_e32 v25, v4, v106
	s_waitcnt vmcnt(43)
	v_fmac_f32_e32 v25, v5, v107
	v_add_f32_e32 v28, v24, v25
	ds_read_b128 v[24:27], v86 offset:736
	s_waitcnt vmcnt(42) lgkmcnt(1)
	v_mul_f32_e32 v29, v20, v108
	v_fmac_f32_e32 v29, v21, v105
	v_add_f32_e32 v28, v28, v29
	s_waitcnt vmcnt(41)
	v_mul_f32_e32 v29, v22, v109
	v_fmac_f32_e32 v29, v23, v104
	v_add_f32_e32 v28, v28, v29
	s_waitcnt vmcnt(40) lgkmcnt(0)
	v_mul_f32_e32 v29, v24, v110
	v_fmac_f32_e32 v29, v25, v101
	v_add_f32_e32 v32, v28, v29
	ds_read_b128 v[28:31], v86 offset:752
	s_waitcnt vmcnt(34)
	v_mul_f32_e32 v33, v26, v116
	s_waitcnt vmcnt(33)
	v_fmac_f32_e32 v33, v27, v117
	v_add_f32_e32 v36, v32, v33
	ds_read_b128 v[32:35], v86 offset:768
	s_waitcnt vmcnt(32) lgkmcnt(1)
	v_mul_f32_e32 v37, v28, v118
	v_fmac_f32_e32 v37, v29, v115
	v_add_f32_e32 v36, v36, v37
	v_mul_f32_e32 v37, v30, v112
	v_fmac_f32_e32 v37, v31, v111
	v_add_f32_e32 v36, v36, v37
	s_waitcnt lgkmcnt(0)
	v_mul_f32_e32 v37, v32, v114
	v_fmac_f32_e32 v37, v33, v113
	v_add_f32_e32 v40, v36, v37
	ds_read_b128 v[36:39], v86 offset:784
	s_waitcnt vmcnt(28)
	v_mul_f32_e32 v41, v34, v120
	v_fmac_f32_e32 v41, v35, v119
	v_add_f32_e32 v44, v40, v41
	ds_read_b128 v[40:43], v86 offset:800
	s_waitcnt vmcnt(26) lgkmcnt(1)
	v_mul_f32_e32 v45, v36, v122
	v_fmac_f32_e32 v45, v37, v121
	v_add_f32_e32 v44, v44, v45
	s_waitcnt vmcnt(24)
	v_mul_f32_e32 v45, v38, v124
	v_fmac_f32_e32 v45, v39, v123
	v_add_f32_e32 v44, v44, v45
	s_waitcnt vmcnt(22) lgkmcnt(0)
	v_mul_f32_e32 v45, v40, v126
	v_fmac_f32_e32 v45, v41, v125
	v_add_f32_e32 v48, v44, v45
	ds_read_b128 v[44:47], v86 offset:816
	s_waitcnt vmcnt(20)
	v_mul_f32_e32 v49, v42, v128
	v_fmac_f32_e32 v49, v43, v127
	v_add_f32_e32 v52, v48, v49
	ds_read_b128 v[48:51], v86 offset:832
	s_waitcnt vmcnt(18) lgkmcnt(1)
	v_mul_f32_e32 v53, v44, v130
	v_fmac_f32_e32 v53, v45, v129
	v_add_f32_e32 v52, v52, v53
	s_waitcnt vmcnt(16)
	v_mul_f32_e32 v53, v46, v132
	v_fmac_f32_e32 v53, v47, v131
	v_add_f32_e32 v52, v52, v53
	s_waitcnt vmcnt(14) lgkmcnt(0)
	v_mul_f32_e32 v53, v48, v134
	v_fmac_f32_e32 v53, v49, v133
	v_add_f32_e32 v56, v52, v53
	ds_read_b128 v[52:55], v86 offset:848
	s_waitcnt vmcnt(12)
	v_mul_f32_e32 v57, v50, v136
	v_fmac_f32_e32 v57, v51, v135
	v_add_f32_e32 v60, v56, v57
	ds_read_b128 v[56:59], v86 offset:864
	buffer_load_dword v69, off, s[0:3], 0 offset:420
	buffer_load_dword v68, off, s[0:3], 0 offset:416
	s_waitcnt vmcnt(12) lgkmcnt(1)
	v_mul_f32_e32 v61, v52, v138
	v_fmac_f32_e32 v61, v53, v137
	v_add_f32_e32 v60, v60, v61
	s_waitcnt vmcnt(10)
	v_mul_f32_e32 v61, v54, v140
	v_fmac_f32_e32 v61, v55, v139
	v_add_f32_e32 v60, v60, v61
	s_waitcnt vmcnt(8) lgkmcnt(0)
	v_mul_f32_e32 v61, v56, v142
	v_fmac_f32_e32 v61, v57, v141
	s_waitcnt vmcnt(6)
	v_mul_f32_e32 v65, v58, v144
	v_add_f32_e32 v64, v60, v61
	v_fmac_f32_e32 v65, v59, v143
	ds_read_b128 v[60:63], v86 offset:880
	v_add_f32_e32 v71, v64, v65
	ds_read_b128 v[64:67], v86 offset:896
	buffer_load_dword v77, off, s[0:3], 0 offset:452
	buffer_load_dword v76, off, s[0:3], 0 offset:448
	;; [unrolled: 1-line block ×14, first 2 shown]
	v_mul_f32_e32 v1, v17, v1
	v_fma_f32 v1, v16, v95, -v1
	v_mul_f32_e32 v16, v19, v70
	v_add_f32_e32 v1, 0, v1
	v_fma_f32 v16, v18, v94, -v16
	v_mul_f32_e32 v7, v7, v92
	v_add_f32_e32 v1, v1, v16
	v_fma_f32 v6, v6, v93, -v7
	v_add_f32_e32 v1, v1, v6
	v_mul_f32_e32 v6, v9, v72
	v_fma_f32 v6, v8, v100, -v6
	v_add_f32_e32 v1, v1, v6
	v_mul_f32_e32 v6, v11, v74
	;; [unrolled: 3-line block ×3, first 2 shown]
	v_fma_f32 v6, v12, v98, -v6
	v_mul_f32_e32 v3, v3, v96
	v_add_f32_e32 v1, v1, v6
	v_fma_f32 v2, v2, v97, -v3
	v_add_f32_e32 v1, v1, v2
	v_mul_f32_e32 v2, v5, v106
	v_fma_f32 v2, v4, v107, -v2
	v_add_f32_e32 v1, v1, v2
	v_mul_f32_e32 v2, v21, v108
	;; [unrolled: 3-line block ×21, first 2 shown]
	v_fma_f32 v2, v58, v143, -v2
	s_waitcnt vmcnt(15)
	v_mov_b32_e32 v18, v69
	s_waitcnt lgkmcnt(1)
	v_mul_f32_e32 v73, v60, v146
	v_add_f32_e32 v70, v1, v2
	v_mul_f32_e32 v1, v61, v146
	s_waitcnt lgkmcnt(0)
	v_pk_mul_f32 v[18:19], v[64:65], v[18:19] op_sel_hi:[1,0]
	v_fmac_f32_e32 v73, v61, v145
	v_mul_f32_e32 v75, v62, v148
	v_fma_f32 v72, v60, v145, -v1
	v_mul_f32_e32 v1, v63, v148
	s_waitcnt vmcnt(14)
	v_pk_fma_f32 v[20:21], v[64:65], v[68:69], v[18:19] op_sel:[0,0,1] op_sel_hi:[1,1,0] neg_lo:[0,0,1] neg_hi:[0,0,1]
	v_pk_fma_f32 v[18:19], v[64:65], v[68:69], v[18:19] op_sel:[0,0,1] op_sel_hi:[1,0,0]
	v_fmac_f32_e32 v75, v63, v147
	v_fma_f32 v74, v62, v147, -v1
	v_pk_add_f32 v[16:17], v[70:71], v[72:73]
	s_waitcnt vmcnt(7)
	v_mov_b32_e32 v18, v83
	ds_read_b128 v[2:5], v86 offset:912
	ds_read_b128 v[6:9], v86 offset:928
	;; [unrolled: 1-line block ×3, first 2 shown]
	v_pk_add_f32 v[16:17], v[16:17], v[74:75]
	v_mov_b32_e32 v21, v19
	v_pk_mul_f32 v[18:19], v[66:67], v[18:19] op_sel_hi:[1,0]
	v_pk_add_f32 v[16:17], v[16:17], v[20:21]
	s_waitcnt vmcnt(6)
	v_pk_fma_f32 v[20:21], v[66:67], v[82:83], v[18:19] op_sel:[0,0,1] op_sel_hi:[1,1,0] neg_lo:[0,0,1] neg_hi:[0,0,1]
	v_pk_fma_f32 v[18:19], v[66:67], v[82:83], v[18:19] op_sel:[0,0,1] op_sel_hi:[1,0,0]
	v_mov_b32_e32 v18, v81
	v_mov_b32_e32 v21, v19
	s_waitcnt lgkmcnt(2)
	v_pk_mul_f32 v[18:19], v[2:3], v[18:19] op_sel_hi:[1,0]
	v_pk_add_f32 v[16:17], v[16:17], v[20:21]
	v_pk_fma_f32 v[20:21], v[2:3], v[80:81], v[18:19] op_sel:[0,0,1] op_sel_hi:[1,1,0] neg_lo:[0,0,1] neg_hi:[0,0,1]
	v_pk_fma_f32 v[2:3], v[2:3], v[80:81], v[18:19] op_sel:[0,0,1] op_sel_hi:[1,0,0]
	v_mov_b32_e32 v21, v3
	v_pk_add_f32 v[2:3], v[16:17], v[20:21]
	v_mov_b32_e32 v16, v79
	v_pk_mul_f32 v[16:17], v[4:5], v[16:17] op_sel_hi:[1,0]
	v_pk_fma_f32 v[18:19], v[4:5], v[78:79], v[16:17] op_sel:[0,0,1] op_sel_hi:[1,1,0] neg_lo:[0,0,1] neg_hi:[0,0,1]
	v_pk_fma_f32 v[4:5], v[4:5], v[78:79], v[16:17] op_sel:[0,0,1] op_sel_hi:[1,0,0]
	v_mov_b32_e32 v4, v77
	v_mov_b32_e32 v19, v5
	s_waitcnt lgkmcnt(1)
	v_pk_mul_f32 v[4:5], v[6:7], v[4:5] op_sel_hi:[1,0]
	v_pk_fma_f32 v[16:17], v[6:7], v[76:77], v[4:5] op_sel:[0,0,1] op_sel_hi:[1,1,0] neg_lo:[0,0,1] neg_hi:[0,0,1]
	v_pk_fma_f32 v[4:5], v[6:7], v[76:77], v[4:5] op_sel:[0,0,1] op_sel_hi:[1,0,0]
	s_waitcnt vmcnt(1)
	v_mov_b32_e32 v4, v91
	v_mov_b32_e32 v17, v5
	v_pk_mul_f32 v[4:5], v[8:9], v[4:5] op_sel_hi:[1,0]
	s_waitcnt vmcnt(0)
	v_pk_fma_f32 v[6:7], v[8:9], v[90:91], v[4:5] op_sel:[0,0,1] op_sel_hi:[1,1,0] neg_lo:[0,0,1] neg_hi:[0,0,1]
	v_pk_fma_f32 v[4:5], v[8:9], v[90:91], v[4:5] op_sel:[0,0,1] op_sel_hi:[1,0,0]
	v_pk_add_f32 v[2:3], v[2:3], v[18:19]
	v_mov_b32_e32 v4, v89
	v_pk_add_f32 v[2:3], v[2:3], v[16:17]
	v_mov_b32_e32 v7, v5
	s_waitcnt lgkmcnt(0)
	v_pk_mul_f32 v[4:5], v[10:11], v[4:5] op_sel_hi:[1,0]
	v_pk_add_f32 v[2:3], v[2:3], v[6:7]
	v_pk_fma_f32 v[6:7], v[10:11], v[88:89], v[4:5] op_sel:[0,0,1] op_sel_hi:[1,1,0] neg_lo:[0,0,1] neg_hi:[0,0,1]
	v_pk_fma_f32 v[4:5], v[10:11], v[88:89], v[4:5] op_sel:[0,0,1] op_sel_hi:[1,0,0]
	v_mov_b32_e32 v4, v85
	v_mov_b32_e32 v7, v5
	v_pk_mul_f32 v[4:5], v[12:13], v[4:5] op_sel_hi:[1,0]
	v_pk_add_f32 v[2:3], v[2:3], v[6:7]
	v_pk_fma_f32 v[6:7], v[12:13], v[84:85], v[4:5] op_sel:[0,0,1] op_sel_hi:[1,1,0] neg_lo:[0,0,1] neg_hi:[0,0,1]
	v_pk_fma_f32 v[4:5], v[12:13], v[84:85], v[4:5] op_sel:[0,0,1] op_sel_hi:[1,0,0]
	v_mov_b32_e32 v7, v5
	v_pk_add_f32 v[2:3], v[2:3], v[6:7]
	v_pk_add_f32 v[2:3], v[14:15], v[2:3] neg_lo:[0,1] neg_hi:[0,1]
	buffer_store_dword v3, off, s[0:3], 0 offset:172
	buffer_store_dword v2, off, s[0:3], 0 offset:168
	s_and_saveexec_b64 s[4:5], vcc
	s_cbranch_execz .LBB59_333
; %bb.332:
	buffer_load_dword v2, off, s[0:3], 0 offset:160
	buffer_load_dword v3, off, s[0:3], 0 offset:164
	v_mov_b32_e32 v1, 0
	buffer_store_dword v1, off, s[0:3], 0 offset:160
	buffer_store_dword v1, off, s[0:3], 0 offset:164
	s_waitcnt vmcnt(2)
	ds_write_b64 v195, v[2:3]
.LBB59_333:
	s_or_b64 exec, exec, s[4:5]
	s_waitcnt lgkmcnt(0)
	; wave barrier
	s_waitcnt lgkmcnt(0)
	buffer_load_dword v68, off, s[0:3], 0 offset:172
	buffer_load_dword v70, off, s[0:3], 0 offset:180
	buffer_load_dword v72, off, s[0:3], 0 offset:196
	buffer_load_dword v90, off, s[0:3], 0 offset:204
	buffer_load_dword v91, off, s[0:3], 0 offset:212
	buffer_load_dword v92, off, s[0:3], 0 offset:188
	buffer_load_dword v93, off, s[0:3], 0 offset:184
	buffer_load_dword v94, off, s[0:3], 0 offset:176
	buffer_load_dword v95, off, s[0:3], 0 offset:168
	buffer_load_dword v96, off, s[0:3], 0 offset:220
	buffer_load_dword v97, off, s[0:3], 0 offset:216
	buffer_load_dword v98, off, s[0:3], 0 offset:208
	buffer_load_dword v99, off, s[0:3], 0 offset:200
	buffer_load_dword v100, off, s[0:3], 0 offset:192
	buffer_load_dword v101, off, s[0:3], 0 offset:248
	buffer_load_dword v104, off, s[0:3], 0 offset:252
	buffer_load_dword v105, off, s[0:3], 0 offset:240
	buffer_load_dword v106, off, s[0:3], 0 offset:232
	buffer_load_dword v107, off, s[0:3], 0 offset:228
	buffer_load_dword v108, off, s[0:3], 0 offset:224
	buffer_load_dword v109, off, s[0:3], 0 offset:236
	buffer_load_dword v110, off, s[0:3], 0 offset:244
	buffer_load_dword v6, off, s[0:3], 0 offset:160
	buffer_load_dword v7, off, s[0:3], 0 offset:164
	buffer_load_dword v111, off, s[0:3], 0 offset:256
	buffer_load_dword v112, off, s[0:3], 0 offset:260
	buffer_load_dword v113, off, s[0:3], 0 offset:264
	buffer_load_dword v114, off, s[0:3], 0 offset:268
	buffer_load_dword v115, off, s[0:3], 0 offset:272
	buffer_load_dword v116, off, s[0:3], 0 offset:276
	buffer_load_dword v117, off, s[0:3], 0 offset:280
	buffer_load_dword v118, off, s[0:3], 0 offset:284
	buffer_load_dword v119, off, s[0:3], 0 offset:288
	buffer_load_dword v120, off, s[0:3], 0 offset:292
	buffer_load_dword v121, off, s[0:3], 0 offset:296
	buffer_load_dword v122, off, s[0:3], 0 offset:300
	buffer_load_dword v123, off, s[0:3], 0 offset:304
	buffer_load_dword v124, off, s[0:3], 0 offset:308
	buffer_load_dword v125, off, s[0:3], 0 offset:312
	buffer_load_dword v126, off, s[0:3], 0 offset:316
	buffer_load_dword v127, off, s[0:3], 0 offset:320
	buffer_load_dword v128, off, s[0:3], 0 offset:324
	buffer_load_dword v129, off, s[0:3], 0 offset:328
	buffer_load_dword v130, off, s[0:3], 0 offset:332
	buffer_load_dword v131, off, s[0:3], 0 offset:336
	buffer_load_dword v132, off, s[0:3], 0 offset:340
	buffer_load_dword v133, off, s[0:3], 0 offset:344
	buffer_load_dword v134, off, s[0:3], 0 offset:348
	v_mov_b32_e32 v1, 0
	ds_read2_b64 v[2:5], v1 offset0:81 offset1:82
	buffer_load_dword v135, off, s[0:3], 0 offset:352
	buffer_load_dword v136, off, s[0:3], 0 offset:356
	;; [unrolled: 1-line block ×8, first 2 shown]
	ds_read2_b64 v[8:11], v1 offset0:83 offset1:84
	ds_read2_b64 v[12:15], v1 offset0:85 offset1:86
	;; [unrolled: 1-line block ×3, first 2 shown]
	buffer_load_dword v143, off, s[0:3], 0 offset:384
	buffer_load_dword v144, off, s[0:3], 0 offset:388
	;; [unrolled: 1-line block ×8, first 2 shown]
	v_cmp_lt_u32_e32 vcc, 19, v0
	s_waitcnt vmcnt(62) lgkmcnt(3)
	v_mul_f32_e32 v20, v2, v68
	v_mul_f32_e32 v21, v4, v70
	s_waitcnt vmcnt(61) lgkmcnt(2)
	v_mul_f32_e32 v23, v10, v72
	s_waitcnt vmcnt(60) lgkmcnt(1)
	v_mul_f32_e32 v24, v12, v90
	s_waitcnt vmcnt(59)
	v_mul_f32_e32 v25, v14, v91
	s_waitcnt vmcnt(58)
	;; [unrolled: 2-line block ×3, first 2 shown]
	v_fmac_f32_e32 v22, v9, v93
	s_waitcnt vmcnt(56)
	v_fmac_f32_e32 v21, v5, v94
	s_waitcnt vmcnt(55)
	v_fmac_f32_e32 v20, v3, v95
	v_add_f32_e32 v20, 0, v20
	v_add_f32_e32 v20, v20, v21
	;; [unrolled: 1-line block ×3, first 2 shown]
	s_waitcnt vmcnt(51)
	v_fmac_f32_e32 v24, v13, v99
	s_waitcnt vmcnt(50)
	v_fmac_f32_e32 v23, v11, v100
	v_add_f32_e32 v20, v20, v23
	s_waitcnt lgkmcnt(0)
	v_mul_f32_e32 v26, v16, v96
	v_fmac_f32_e32 v25, v15, v98
	v_add_f32_e32 v20, v20, v24
	v_fmac_f32_e32 v26, v17, v97
	v_add_f32_e32 v20, v20, v25
	v_add_f32_e32 v24, v20, v26
	ds_read2_b64 v[20:23], v1 offset0:89 offset1:90
	s_waitcnt vmcnt(45)
	v_mul_f32_e32 v25, v18, v107
	s_waitcnt vmcnt(44)
	v_fmac_f32_e32 v25, v19, v108
	v_add_f32_e32 v28, v24, v25
	ds_read2_b64 v[24:27], v1 offset0:91 offset1:92
	s_waitcnt vmcnt(43) lgkmcnt(1)
	v_mul_f32_e32 v29, v20, v109
	v_fmac_f32_e32 v29, v21, v106
	v_add_f32_e32 v28, v28, v29
	s_waitcnt vmcnt(42)
	v_mul_f32_e32 v29, v22, v110
	v_fmac_f32_e32 v29, v23, v105
	v_add_f32_e32 v28, v28, v29
	s_waitcnt lgkmcnt(0)
	v_mul_f32_e32 v29, v24, v104
	v_fmac_f32_e32 v29, v25, v101
	v_add_f32_e32 v32, v28, v29
	ds_read2_b64 v[28:31], v1 offset0:93 offset1:94
	s_waitcnt vmcnt(38)
	v_mul_f32_e32 v33, v26, v112
	v_fmac_f32_e32 v33, v27, v111
	v_add_f32_e32 v36, v32, v33
	ds_read2_b64 v[32:35], v1 offset0:95 offset1:96
	s_waitcnt vmcnt(36) lgkmcnt(1)
	v_mul_f32_e32 v37, v28, v114
	v_fmac_f32_e32 v37, v29, v113
	v_add_f32_e32 v36, v36, v37
	s_waitcnt vmcnt(34)
	v_mul_f32_e32 v37, v30, v116
	v_fmac_f32_e32 v37, v31, v115
	v_add_f32_e32 v36, v36, v37
	s_waitcnt vmcnt(32) lgkmcnt(0)
	v_mul_f32_e32 v37, v32, v118
	v_fmac_f32_e32 v37, v33, v117
	v_add_f32_e32 v40, v36, v37
	ds_read2_b64 v[36:39], v1 offset0:97 offset1:98
	s_waitcnt vmcnt(30)
	v_mul_f32_e32 v41, v34, v120
	v_fmac_f32_e32 v41, v35, v119
	v_add_f32_e32 v44, v40, v41
	ds_read2_b64 v[40:43], v1 offset0:99 offset1:100
	s_waitcnt vmcnt(28) lgkmcnt(1)
	v_mul_f32_e32 v45, v36, v122
	v_fmac_f32_e32 v45, v37, v121
	v_add_f32_e32 v44, v44, v45
	s_waitcnt vmcnt(26)
	v_mul_f32_e32 v45, v38, v124
	v_fmac_f32_e32 v45, v39, v123
	v_add_f32_e32 v44, v44, v45
	s_waitcnt vmcnt(24) lgkmcnt(0)
	;; [unrolled: 18-line block ×4, first 2 shown]
	v_mul_f32_e32 v61, v56, v142
	v_fmac_f32_e32 v61, v57, v141
	s_waitcnt vmcnt(6)
	v_mul_f32_e32 v65, v58, v144
	v_add_f32_e32 v64, v60, v61
	v_fmac_f32_e32 v65, v59, v143
	ds_read2_b64 v[60:63], v1 offset0:109 offset1:110
	v_add_f32_e32 v69, v64, v65
	ds_read2_b64 v[64:67], v1 offset0:111 offset1:112
	buffer_load_dword v75, off, s[0:3], 0 offset:444
	buffer_load_dword v74, off, s[0:3], 0 offset:440
	;; [unrolled: 1-line block ×16, first 2 shown]
	v_mul_f32_e32 v3, v3, v68
	v_fma_f32 v2, v2, v95, -v3
	v_mul_f32_e32 v3, v5, v70
	v_add_f32_e32 v2, 0, v2
	v_fma_f32 v3, v4, v94, -v3
	v_add_f32_e32 v2, v2, v3
	v_mul_f32_e32 v3, v9, v92
	v_fma_f32 v3, v8, v93, -v3
	v_add_f32_e32 v2, v2, v3
	v_mul_f32_e32 v3, v11, v72
	;; [unrolled: 3-line block ×26, first 2 shown]
	v_fma_f32 v3, v58, v143, -v3
	v_add_f32_e32 v2, v2, v3
	s_waitcnt vmcnt(20) lgkmcnt(1)
	v_mul_f32_e32 v3, v61, v146
	v_mul_f32_e32 v71, v60, v146
	v_fma_f32 v3, v60, v145, -v3
	v_fmac_f32_e32 v71, v61, v145
	v_add_f32_e32 v68, v2, v3
	s_waitcnt vmcnt(18)
	v_mul_f32_e32 v2, v63, v148
	s_waitcnt vmcnt(9)
	v_mov_b32_e32 v20, v81
	v_add_f32_e32 v69, v69, v71
	v_mul_f32_e32 v71, v62, v148
	v_fma_f32 v70, v62, v147, -v2
	s_waitcnt lgkmcnt(0)
	v_mul_f32_e32 v2, v65, v150
	v_pk_mul_f32 v[20:21], v[66:67], v[20:21] op_sel_hi:[1,0]
	v_fmac_f32_e32 v71, v63, v147
	v_mul_f32_e32 v73, v64, v150
	v_fma_f32 v72, v64, v149, -v2
	ds_read2_b64 v[2:5], v1 offset0:113 offset1:114
	ds_read2_b64 v[8:11], v1 offset0:115 offset1:116
	;; [unrolled: 1-line block ×3, first 2 shown]
	ds_read_b64 v[16:17], v1 offset:952
	s_waitcnt vmcnt(8)
	v_pk_fma_f32 v[22:23], v[66:67], v[80:81], v[20:21] op_sel:[0,0,1] op_sel_hi:[1,1,0] neg_lo:[0,0,1] neg_hi:[0,0,1]
	v_pk_fma_f32 v[20:21], v[66:67], v[80:81], v[20:21] op_sel:[0,0,1] op_sel_hi:[1,0,0]
	v_fmac_f32_e32 v73, v65, v149
	v_pk_add_f32 v[18:19], v[68:69], v[70:71]
	v_mov_b32_e32 v20, v79
	v_pk_add_f32 v[18:19], v[18:19], v[72:73]
	v_mov_b32_e32 v23, v21
	s_waitcnt lgkmcnt(3)
	v_pk_mul_f32 v[20:21], v[2:3], v[20:21] op_sel_hi:[1,0]
	v_pk_add_f32 v[18:19], v[18:19], v[22:23]
	v_pk_fma_f32 v[22:23], v[2:3], v[78:79], v[20:21] op_sel:[0,0,1] op_sel_hi:[1,1,0] neg_lo:[0,0,1] neg_hi:[0,0,1]
	v_pk_fma_f32 v[2:3], v[2:3], v[78:79], v[20:21] op_sel:[0,0,1] op_sel_hi:[1,0,0]
	v_mov_b32_e32 v23, v3
	v_pk_add_f32 v[2:3], v[18:19], v[22:23]
	v_mov_b32_e32 v18, v77
	v_pk_mul_f32 v[18:19], v[4:5], v[18:19] op_sel_hi:[1,0]
	v_pk_fma_f32 v[20:21], v[4:5], v[76:77], v[18:19] op_sel:[0,0,1] op_sel_hi:[1,1,0] neg_lo:[0,0,1] neg_hi:[0,0,1]
	v_pk_fma_f32 v[4:5], v[4:5], v[76:77], v[18:19] op_sel:[0,0,1] op_sel_hi:[1,0,0]
	v_mov_b32_e32 v4, v75
	v_mov_b32_e32 v21, v5
	s_waitcnt lgkmcnt(2)
	v_pk_mul_f32 v[4:5], v[8:9], v[4:5] op_sel_hi:[1,0]
	v_pk_fma_f32 v[18:19], v[8:9], v[74:75], v[4:5] op_sel:[0,0,1] op_sel_hi:[1,1,0] neg_lo:[0,0,1] neg_hi:[0,0,1]
	v_pk_fma_f32 v[4:5], v[8:9], v[74:75], v[4:5] op_sel:[0,0,1] op_sel_hi:[1,0,0]
	s_waitcnt vmcnt(1)
	v_mov_b32_e32 v4, v89
	v_mov_b32_e32 v19, v5
	v_pk_mul_f32 v[4:5], v[10:11], v[4:5] op_sel_hi:[1,0]
	s_waitcnt vmcnt(0)
	v_pk_fma_f32 v[8:9], v[10:11], v[88:89], v[4:5] op_sel:[0,0,1] op_sel_hi:[1,1,0] neg_lo:[0,0,1] neg_hi:[0,0,1]
	v_pk_fma_f32 v[4:5], v[10:11], v[88:89], v[4:5] op_sel:[0,0,1] op_sel_hi:[1,0,0]
	v_pk_add_f32 v[2:3], v[2:3], v[20:21]
	v_mov_b32_e32 v4, v87
	v_pk_add_f32 v[2:3], v[2:3], v[18:19]
	v_mov_b32_e32 v9, v5
	s_waitcnt lgkmcnt(1)
	v_pk_mul_f32 v[4:5], v[12:13], v[4:5] op_sel_hi:[1,0]
	v_pk_add_f32 v[2:3], v[2:3], v[8:9]
	v_pk_fma_f32 v[8:9], v[12:13], v[86:87], v[4:5] op_sel:[0,0,1] op_sel_hi:[1,1,0] neg_lo:[0,0,1] neg_hi:[0,0,1]
	v_pk_fma_f32 v[4:5], v[12:13], v[86:87], v[4:5] op_sel:[0,0,1] op_sel_hi:[1,0,0]
	v_mov_b32_e32 v4, v85
	v_mov_b32_e32 v9, v5
	v_pk_mul_f32 v[4:5], v[14:15], v[4:5] op_sel_hi:[1,0]
	v_pk_add_f32 v[2:3], v[2:3], v[8:9]
	v_pk_fma_f32 v[8:9], v[14:15], v[84:85], v[4:5] op_sel:[0,0,1] op_sel_hi:[1,1,0] neg_lo:[0,0,1] neg_hi:[0,0,1]
	v_pk_fma_f32 v[4:5], v[14:15], v[84:85], v[4:5] op_sel:[0,0,1] op_sel_hi:[1,0,0]
	v_mov_b32_e32 v4, v83
	v_mov_b32_e32 v9, v5
	s_waitcnt lgkmcnt(0)
	v_pk_mul_f32 v[4:5], v[16:17], v[4:5] op_sel_hi:[1,0]
	v_pk_add_f32 v[2:3], v[2:3], v[8:9]
	v_pk_fma_f32 v[8:9], v[16:17], v[82:83], v[4:5] op_sel:[0,0,1] op_sel_hi:[1,1,0] neg_lo:[0,0,1] neg_hi:[0,0,1]
	v_pk_fma_f32 v[4:5], v[16:17], v[82:83], v[4:5] op_sel:[0,0,1] op_sel_hi:[1,0,0]
	v_mov_b32_e32 v9, v5
	v_pk_add_f32 v[2:3], v[2:3], v[8:9]
	v_pk_add_f32 v[2:3], v[6:7], v[2:3] neg_lo:[0,1] neg_hi:[0,1]
	buffer_store_dword v3, off, s[0:3], 0 offset:164
	buffer_store_dword v2, off, s[0:3], 0 offset:160
	s_and_saveexec_b64 s[4:5], vcc
	s_cbranch_execz .LBB59_335
; %bb.334:
	buffer_load_dword v2, off, s[0:3], 0 offset:152
	buffer_load_dword v3, off, s[0:3], 0 offset:156
	s_waitcnt vmcnt(0)
	ds_write_b64 v195, v[2:3]
	buffer_store_dword v1, off, s[0:3], 0 offset:152
	buffer_store_dword v1, off, s[0:3], 0 offset:156
.LBB59_335:
	s_or_b64 exec, exec, s[4:5]
	s_waitcnt lgkmcnt(0)
	; wave barrier
	s_waitcnt lgkmcnt(0)
	buffer_load_dword v68, off, s[0:3], 0 offset:164
	buffer_load_dword v70, off, s[0:3], 0 offset:172
	;; [unrolled: 1-line block ×26, first 2 shown]
	ds_read_b128 v[14:17], v1 offset:640
	ds_read_b128 v[6:9], v1 offset:656
	buffer_load_dword v113, off, s[0:3], 0 offset:256
	buffer_load_dword v114, off, s[0:3], 0 offset:260
	ds_read_b128 v[10:13], v1 offset:672
	ds_read_b128 v[2:5], v1 offset:688
	buffer_load_dword v115, off, s[0:3], 0 offset:264
	buffer_load_dword v116, off, s[0:3], 0 offset:268
	;; [unrolled: 1-line block ×32, first 2 shown]
	v_cmp_lt_u32_e32 vcc, 18, v0
	s_waitcnt vmcnt(59) lgkmcnt(3)
	v_mul_f32_e32 v20, v14, v68
	s_waitcnt vmcnt(58)
	v_mul_f32_e32 v21, v16, v70
	s_waitcnt vmcnt(57) lgkmcnt(2)
	v_mul_f32_e32 v23, v8, v78
	s_waitcnt vmcnt(56) lgkmcnt(1)
	v_mul_f32_e32 v24, v10, v90
	s_waitcnt vmcnt(55)
	v_mul_f32_e32 v25, v12, v91
	s_waitcnt vmcnt(54)
	v_mul_f32_e32 v22, v6, v92
	s_waitcnt vmcnt(53) lgkmcnt(0)
	v_mul_f32_e32 v26, v2, v93
	s_waitcnt vmcnt(52)
	v_mul_f32_e32 v27, v4, v94
	s_waitcnt vmcnt(51)
	v_fmac_f32_e32 v22, v7, v95
	s_waitcnt vmcnt(50)
	v_fmac_f32_e32 v21, v17, v96
	;; [unrolled: 2-line block ×3, first 2 shown]
	v_add_f32_e32 v20, 0, v20
	v_add_f32_e32 v20, v20, v21
	v_add_f32_e32 v20, v20, v22
	s_waitcnt vmcnt(45)
	v_fmac_f32_e32 v23, v9, v101
	v_fmac_f32_e32 v24, v11, v100
	v_add_f32_e32 v20, v20, v23
	v_fmac_f32_e32 v25, v13, v99
	v_add_f32_e32 v20, v20, v24
	;; [unrolled: 2-line block ×3, first 2 shown]
	v_add_f32_e32 v24, v20, v26
	ds_read_b128 v[20:23], v1 offset:704
	s_waitcnt vmcnt(41)
	v_fmac_f32_e32 v27, v5, v107
	buffer_load_dword v147, off, s[0:3], 0 offset:392
	buffer_load_dword v148, off, s[0:3], 0 offset:396
	v_add_f32_e32 v28, v24, v27
	buffer_load_dword v149, off, s[0:3], 0 offset:400
	buffer_load_dword v150, off, s[0:3], 0 offset:404
	ds_read_b128 v[24:27], v1 offset:720
	s_waitcnt vmcnt(44) lgkmcnt(1)
	v_mul_f32_e32 v29, v20, v108
	v_fmac_f32_e32 v29, v21, v106
	v_add_f32_e32 v28, v28, v29
	s_waitcnt vmcnt(43)
	v_mul_f32_e32 v29, v22, v109
	v_fmac_f32_e32 v29, v23, v105
	v_add_f32_e32 v28, v28, v29
	s_waitcnt vmcnt(42) lgkmcnt(0)
	v_mul_f32_e32 v29, v24, v110
	v_fmac_f32_e32 v29, v25, v104
	buffer_load_dword v151, off, s[0:3], 0 offset:408
	buffer_load_dword v152, off, s[0:3], 0 offset:412
	v_add_f32_e32 v32, v28, v29
	ds_read_b128 v[28:31], v1 offset:736
	s_waitcnt vmcnt(40)
	v_mul_f32_e32 v33, v26, v112
	v_fmac_f32_e32 v33, v27, v111
	v_add_f32_e32 v36, v32, v33
	ds_read_b128 v[32:35], v1 offset:752
	s_waitcnt vmcnt(38) lgkmcnt(1)
	v_mul_f32_e32 v37, v28, v114
	v_fmac_f32_e32 v37, v29, v113
	v_add_f32_e32 v36, v36, v37
	s_waitcnt vmcnt(36)
	v_mul_f32_e32 v37, v30, v116
	v_fmac_f32_e32 v37, v31, v115
	v_add_f32_e32 v36, v36, v37
	s_waitcnt vmcnt(34) lgkmcnt(0)
	v_mul_f32_e32 v37, v32, v118
	v_fmac_f32_e32 v37, v33, v117
	v_add_f32_e32 v40, v36, v37
	ds_read_b128 v[36:39], v1 offset:768
	s_waitcnt vmcnt(32)
	v_mul_f32_e32 v41, v34, v120
	v_fmac_f32_e32 v41, v35, v119
	v_add_f32_e32 v44, v40, v41
	ds_read_b128 v[40:43], v1 offset:784
	s_waitcnt vmcnt(30) lgkmcnt(1)
	v_mul_f32_e32 v45, v36, v122
	v_fmac_f32_e32 v45, v37, v121
	v_add_f32_e32 v44, v44, v45
	s_waitcnt vmcnt(28)
	v_mul_f32_e32 v45, v38, v124
	v_fmac_f32_e32 v45, v39, v123
	v_add_f32_e32 v44, v44, v45
	s_waitcnt vmcnt(26) lgkmcnt(0)
	v_mul_f32_e32 v45, v40, v126
	v_fmac_f32_e32 v45, v41, v125
	;; [unrolled: 18-line block ×4, first 2 shown]
	s_waitcnt vmcnt(8)
	v_mul_f32_e32 v65, v58, v144
	v_add_f32_e32 v64, v60, v61
	v_fmac_f32_e32 v65, v59, v143
	ds_read_b128 v[60:63], v1 offset:864
	v_add_f32_e32 v69, v64, v65
	ds_read_b128 v[64:67], v1 offset:880
	buffer_load_dword v73, off, s[0:3], 0 offset:436
	buffer_load_dword v72, off, s[0:3], 0 offset:432
	;; [unrolled: 1-line block ×16, first 2 shown]
	v_mul_f32_e32 v15, v15, v68
	v_fma_f32 v14, v14, v97, -v15
	v_mul_f32_e32 v15, v17, v70
	v_add_f32_e32 v14, 0, v14
	v_fma_f32 v15, v16, v96, -v15
	v_mul_f32_e32 v7, v7, v92
	v_add_f32_e32 v14, v14, v15
	v_fma_f32 v6, v6, v95, -v7
	v_mul_f32_e32 v7, v9, v78
	v_add_f32_e32 v6, v14, v6
	v_fma_f32 v7, v8, v101, -v7
	v_add_f32_e32 v6, v6, v7
	v_mul_f32_e32 v7, v11, v90
	v_fma_f32 v7, v10, v100, -v7
	v_add_f32_e32 v6, v6, v7
	v_mul_f32_e32 v7, v13, v91
	v_fma_f32 v7, v12, v99, -v7
	v_mul_f32_e32 v3, v3, v93
	v_add_f32_e32 v6, v6, v7
	v_fma_f32 v2, v2, v98, -v3
	v_mul_f32_e32 v3, v5, v94
	v_add_f32_e32 v2, v6, v2
	v_fma_f32 v3, v4, v107, -v3
	v_add_f32_e32 v2, v2, v3
	v_mul_f32_e32 v3, v21, v108
	v_fma_f32 v3, v20, v106, -v3
	v_add_f32_e32 v2, v2, v3
	v_mul_f32_e32 v3, v23, v109
	;; [unrolled: 3-line block ×20, first 2 shown]
	v_fma_f32 v3, v58, v143, -v3
	v_add_f32_e32 v2, v2, v3
	s_waitcnt vmcnt(22) lgkmcnt(1)
	v_mul_f32_e32 v3, v61, v146
	v_fma_f32 v3, v60, v145, -v3
	v_add_f32_e32 v2, v2, v3
	s_waitcnt vmcnt(20)
	v_mul_f32_e32 v3, v63, v148
	v_mul_f32_e32 v71, v60, v146
	v_fma_f32 v3, v62, v147, -v3
	v_fmac_f32_e32 v71, v61, v145
	v_add_f32_e32 v68, v2, v3
	s_waitcnt vmcnt(18) lgkmcnt(0)
	v_mul_f32_e32 v2, v65, v150
	v_add_f32_e32 v69, v69, v71
	v_mul_f32_e32 v71, v62, v148
	v_fma_f32 v70, v64, v149, -v2
	s_waitcnt vmcnt(16)
	v_mul_f32_e32 v2, v67, v152
	v_fmac_f32_e32 v71, v63, v147
	v_fma_f32 v78, v66, v151, -v2
	ds_read_b128 v[2:5], v1 offset:896
	ds_read_b128 v[6:9], v1 offset:912
	;; [unrolled: 1-line block ×4, first 2 shown]
	v_add_f32_e32 v69, v69, v71
	v_mul_f32_e32 v71, v64, v150
	s_waitcnt vmcnt(11)
	v_mov_b32_e32 v22, v77
	v_fmac_f32_e32 v71, v65, v149
	v_mul_f32_e32 v79, v66, v152
	s_waitcnt lgkmcnt(3)
	v_pk_mul_f32 v[22:23], v[2:3], v[22:23] op_sel_hi:[1,0]
	v_fmac_f32_e32 v79, v67, v151
	v_pk_add_f32 v[20:21], v[68:69], v[70:71]
	s_waitcnt vmcnt(10)
	v_pk_fma_f32 v[24:25], v[2:3], v[76:77], v[22:23] op_sel:[0,0,1] op_sel_hi:[1,1,0] neg_lo:[0,0,1] neg_hi:[0,0,1]
	v_pk_fma_f32 v[2:3], v[2:3], v[76:77], v[22:23] op_sel:[0,0,1] op_sel_hi:[1,0,0]
	v_pk_add_f32 v[20:21], v[20:21], v[78:79]
	v_mov_b32_e32 v25, v3
	v_pk_add_f32 v[2:3], v[20:21], v[24:25]
	v_mov_b32_e32 v20, v75
	v_pk_mul_f32 v[20:21], v[4:5], v[20:21] op_sel_hi:[1,0]
	v_pk_fma_f32 v[22:23], v[4:5], v[74:75], v[20:21] op_sel:[0,0,1] op_sel_hi:[1,1,0] neg_lo:[0,0,1] neg_hi:[0,0,1]
	v_pk_fma_f32 v[4:5], v[4:5], v[74:75], v[20:21] op_sel:[0,0,1] op_sel_hi:[1,0,0]
	v_mov_b32_e32 v4, v73
	v_mov_b32_e32 v23, v5
	s_waitcnt lgkmcnt(2)
	v_pk_mul_f32 v[4:5], v[6:7], v[4:5] op_sel_hi:[1,0]
	v_pk_fma_f32 v[20:21], v[6:7], v[72:73], v[4:5] op_sel:[0,0,1] op_sel_hi:[1,1,0] neg_lo:[0,0,1] neg_hi:[0,0,1]
	v_pk_fma_f32 v[4:5], v[6:7], v[72:73], v[4:5] op_sel:[0,0,1] op_sel_hi:[1,0,0]
	s_waitcnt vmcnt(3)
	v_mov_b32_e32 v4, v87
	v_mov_b32_e32 v21, v5
	v_pk_mul_f32 v[4:5], v[8:9], v[4:5] op_sel_hi:[1,0]
	s_waitcnt vmcnt(2)
	v_pk_fma_f32 v[6:7], v[8:9], v[86:87], v[4:5] op_sel:[0,0,1] op_sel_hi:[1,1,0] neg_lo:[0,0,1] neg_hi:[0,0,1]
	v_pk_fma_f32 v[4:5], v[8:9], v[86:87], v[4:5] op_sel:[0,0,1] op_sel_hi:[1,0,0]
	v_pk_add_f32 v[2:3], v[2:3], v[22:23]
	v_mov_b32_e32 v4, v85
	v_pk_add_f32 v[2:3], v[2:3], v[20:21]
	v_mov_b32_e32 v7, v5
	s_waitcnt lgkmcnt(1)
	v_pk_mul_f32 v[4:5], v[10:11], v[4:5] op_sel_hi:[1,0]
	v_pk_add_f32 v[2:3], v[2:3], v[6:7]
	v_pk_fma_f32 v[6:7], v[10:11], v[84:85], v[4:5] op_sel:[0,0,1] op_sel_hi:[1,1,0] neg_lo:[0,0,1] neg_hi:[0,0,1]
	v_pk_fma_f32 v[4:5], v[10:11], v[84:85], v[4:5] op_sel:[0,0,1] op_sel_hi:[1,0,0]
	v_mov_b32_e32 v4, v83
	v_mov_b32_e32 v7, v5
	v_pk_mul_f32 v[4:5], v[12:13], v[4:5] op_sel_hi:[1,0]
	v_pk_add_f32 v[2:3], v[2:3], v[6:7]
	v_pk_fma_f32 v[6:7], v[12:13], v[82:83], v[4:5] op_sel:[0,0,1] op_sel_hi:[1,1,0] neg_lo:[0,0,1] neg_hi:[0,0,1]
	v_pk_fma_f32 v[4:5], v[12:13], v[82:83], v[4:5] op_sel:[0,0,1] op_sel_hi:[1,0,0]
	v_mov_b32_e32 v4, v81
	v_mov_b32_e32 v7, v5
	s_waitcnt lgkmcnt(0)
	v_pk_mul_f32 v[4:5], v[14:15], v[4:5] op_sel_hi:[1,0]
	v_pk_add_f32 v[2:3], v[2:3], v[6:7]
	v_pk_fma_f32 v[6:7], v[14:15], v[80:81], v[4:5] op_sel:[0,0,1] op_sel_hi:[1,1,0] neg_lo:[0,0,1] neg_hi:[0,0,1]
	v_pk_fma_f32 v[4:5], v[14:15], v[80:81], v[4:5] op_sel:[0,0,1] op_sel_hi:[1,0,0]
	s_waitcnt vmcnt(1)
	v_mov_b32_e32 v4, v89
	v_mov_b32_e32 v7, v5
	v_pk_mul_f32 v[4:5], v[16:17], v[4:5] op_sel_hi:[1,0]
	v_pk_add_f32 v[2:3], v[2:3], v[6:7]
	s_waitcnt vmcnt(0)
	v_pk_fma_f32 v[6:7], v[16:17], v[88:89], v[4:5] op_sel:[0,0,1] op_sel_hi:[1,1,0] neg_lo:[0,0,1] neg_hi:[0,0,1]
	v_pk_fma_f32 v[4:5], v[16:17], v[88:89], v[4:5] op_sel:[0,0,1] op_sel_hi:[1,0,0]
	v_mov_b32_e32 v7, v5
	v_pk_add_f32 v[2:3], v[2:3], v[6:7]
	v_pk_add_f32 v[2:3], v[18:19], v[2:3] neg_lo:[0,1] neg_hi:[0,1]
	buffer_store_dword v3, off, s[0:3], 0 offset:156
	buffer_store_dword v2, off, s[0:3], 0 offset:152
	s_and_saveexec_b64 s[4:5], vcc
	s_cbranch_execz .LBB59_337
; %bb.336:
	buffer_load_dword v2, off, s[0:3], 0 offset:144
	buffer_load_dword v3, off, s[0:3], 0 offset:148
	v_mov_b32_e32 v1, 0
	buffer_store_dword v1, off, s[0:3], 0 offset:144
	buffer_store_dword v1, off, s[0:3], 0 offset:148
	s_waitcnt vmcnt(2)
	ds_write_b64 v195, v[2:3]
.LBB59_337:
	s_or_b64 exec, exec, s[4:5]
	v_mov_b32_e32 v94, 0
	s_waitcnt lgkmcnt(0)
	; wave barrier
	s_waitcnt lgkmcnt(0)
	ds_read2_b64 v[2:5], v94 offset0:79 offset1:80
	buffer_load_dword v70, off, s[0:3], 0 offset:144
	buffer_load_dword v71, off, s[0:3], 0 offset:148
	;; [unrolled: 1-line block ×16, first 2 shown]
	v_cmp_lt_u32_e32 vcc, 17, v0
	s_waitcnt vmcnt(12) lgkmcnt(0)
	v_mul_f32_e32 v6, v2, v78
	v_fmac_f32_e32 v6, v3, v1
	s_waitcnt vmcnt(10)
	v_mul_f32_e32 v7, v4, v96
	v_add_f32_e32 v6, 0, v6
	v_fmac_f32_e32 v7, v5, v72
	v_add_f32_e32 v10, v6, v7
	ds_read2_b64 v[6:9], v94 offset0:81 offset1:82
	v_mul_f32_e32 v3, v3, v78
	v_fma_f32 v1, v2, v1, -v3
	v_mul_f32_e32 v2, v5, v96
	v_add_f32_e32 v1, 0, v1
	s_waitcnt vmcnt(8) lgkmcnt(0)
	v_mul_f32_e32 v11, v6, v98
	v_fmac_f32_e32 v11, v7, v74
	v_add_f32_e32 v10, v10, v11
	s_waitcnt vmcnt(6)
	v_mul_f32_e32 v11, v8, v100
	v_fmac_f32_e32 v11, v9, v95
	v_add_f32_e32 v14, v10, v11
	ds_read2_b64 v[10:13], v94 offset0:83 offset1:84
	v_fma_f32 v2, v4, v72, -v2
	v_add_f32_e32 v1, v1, v2
	v_mul_f32_e32 v2, v7, v98
	v_fma_f32 v2, v6, v74, -v2
	s_waitcnt vmcnt(4) lgkmcnt(0)
	v_mul_f32_e32 v15, v10, v104
	v_fmac_f32_e32 v15, v11, v97
	v_add_f32_e32 v14, v14, v15
	s_waitcnt vmcnt(2)
	v_mul_f32_e32 v15, v12, v105
	v_fmac_f32_e32 v15, v13, v99
	v_add_f32_e32 v18, v14, v15
	ds_read2_b64 v[14:17], v94 offset0:85 offset1:86
	buffer_load_dword v107, off, s[0:3], 0 offset:208
	buffer_load_dword v108, off, s[0:3], 0 offset:212
	v_add_f32_e32 v1, v1, v2
	v_mul_f32_e32 v2, v9, v100
	v_fma_f32 v2, v8, v95, -v2
	s_waitcnt vmcnt(2) lgkmcnt(0)
	v_mul_f32_e32 v19, v14, v106
	v_fmac_f32_e32 v19, v15, v101
	v_add_f32_e32 v18, v18, v19
	v_add_f32_e32 v1, v1, v2
	v_mul_f32_e32 v2, v11, v104
	v_fma_f32 v2, v10, v97, -v2
	v_add_f32_e32 v1, v1, v2
	v_mul_f32_e32 v2, v13, v105
	v_fma_f32 v2, v12, v99, -v2
	v_add_f32_e32 v1, v1, v2
	v_mul_f32_e32 v2, v15, v106
	v_fma_f32 v2, v14, v101, -v2
	v_add_f32_e32 v1, v1, v2
	s_waitcnt vmcnt(0)
	v_mul_f32_e32 v19, v16, v108
	v_fmac_f32_e32 v19, v17, v107
	v_add_f32_e32 v22, v18, v19
	ds_read2_b64 v[18:21], v94 offset0:87 offset1:88
	buffer_load_dword v109, off, s[0:3], 0 offset:216
	buffer_load_dword v110, off, s[0:3], 0 offset:220
	buffer_load_dword v111, off, s[0:3], 0 offset:224
	buffer_load_dword v112, off, s[0:3], 0 offset:228
	ds_read2_b64 v[26:29], v94 offset0:89 offset1:90
	buffer_load_dword v113, off, s[0:3], 0 offset:232
	buffer_load_dword v114, off, s[0:3], 0 offset:236
	buffer_load_dword v115, off, s[0:3], 0 offset:240
	buffer_load_dword v116, off, s[0:3], 0 offset:244
	;; [unrolled: 5-line block ×12, first 2 shown]
	v_mul_f32_e32 v2, v17, v108
	v_fma_f32 v2, v16, v107, -v2
	v_add_f32_e32 v1, v1, v2
	s_waitcnt vmcnt(46) lgkmcnt(11)
	v_mul_f32_e32 v23, v18, v110
	v_fmac_f32_e32 v23, v19, v109
	v_add_f32_e32 v22, v22, v23
	s_waitcnt vmcnt(44)
	v_mul_f32_e32 v23, v20, v112
	v_fmac_f32_e32 v23, v21, v111
	v_add_f32_e32 v22, v22, v23
	s_waitcnt vmcnt(42) lgkmcnt(10)
	v_mul_f32_e32 v23, v26, v114
	v_fmac_f32_e32 v23, v27, v113
	v_add_f32_e32 v22, v22, v23
	s_waitcnt vmcnt(40)
	v_mul_f32_e32 v23, v28, v116
	v_fmac_f32_e32 v23, v29, v115
	;; [unrolled: 8-line block ×11, first 2 shown]
	v_add_f32_e32 v22, v22, v23
	s_waitcnt vmcnt(2) lgkmcnt(0)
	v_mul_f32_e32 v23, v66, v154
	v_fmac_f32_e32 v23, v67, v153
	v_add_f32_e32 v73, v22, v23
	ds_read2_b64 v[22:25], v94 offset0:111 offset1:112
	buffer_load_dword v157, off, s[0:3], 0 offset:408
	buffer_load_dword v158, off, s[0:3], 0 offset:412
	;; [unrolled: 1-line block ×18, first 2 shown]
	v_mul_f32_e32 v2, v19, v110
	v_fma_f32 v2, v18, v109, -v2
	v_add_f32_e32 v1, v1, v2
	v_mul_f32_e32 v2, v21, v112
	v_fma_f32 v2, v20, v111, -v2
	v_add_f32_e32 v1, v1, v2
	;; [unrolled: 3-line block ×22, first 2 shown]
	v_mul_f32_e32 v2, v67, v154
	v_fma_f32 v2, v66, v153, -v2
	s_waitcnt vmcnt(15)
	v_mov_b32_e32 v18, v77
	v_mul_f32_e32 v75, v68, v156
	v_add_f32_e32 v72, v1, v2
	v_mul_f32_e32 v1, v69, v156
	s_waitcnt lgkmcnt(0)
	v_pk_mul_f32 v[18:19], v[24:25], v[18:19] op_sel_hi:[1,0]
	v_fmac_f32_e32 v75, v69, v155
	v_fma_f32 v74, v68, v155, -v1
	ds_read2_b64 v[2:5], v94 offset0:113 offset1:114
	ds_read2_b64 v[6:9], v94 offset0:115 offset1:116
	;; [unrolled: 1-line block ×3, first 2 shown]
	ds_read_b64 v[14:15], v94 offset:952
	s_waitcnt vmcnt(14)
	v_pk_fma_f32 v[20:21], v[24:25], v[76:77], v[18:19] op_sel:[0,0,1] op_sel_hi:[1,1,0] neg_lo:[0,0,1] neg_hi:[0,0,1]
	v_pk_fma_f32 v[18:19], v[24:25], v[76:77], v[18:19] op_sel:[0,0,1] op_sel_hi:[1,0,0]
	v_mul_f32_e32 v79, v22, v158
	v_mul_f32_e32 v1, v23, v158
	v_fmac_f32_e32 v79, v23, v157
	v_fma_f32 v78, v22, v157, -v1
	v_pk_add_f32 v[16:17], v[72:73], v[74:75]
	s_waitcnt vmcnt(13)
	v_mov_b32_e32 v18, v93
	v_pk_add_f32 v[16:17], v[16:17], v[78:79]
	v_mov_b32_e32 v21, v19
	s_waitcnt lgkmcnt(3)
	v_pk_mul_f32 v[18:19], v[2:3], v[18:19] op_sel_hi:[1,0]
	v_pk_add_f32 v[16:17], v[16:17], v[20:21]
	s_waitcnt vmcnt(12)
	v_pk_fma_f32 v[20:21], v[2:3], v[92:93], v[18:19] op_sel:[0,0,1] op_sel_hi:[1,1,0] neg_lo:[0,0,1] neg_hi:[0,0,1]
	v_pk_fma_f32 v[2:3], v[2:3], v[92:93], v[18:19] op_sel:[0,0,1] op_sel_hi:[1,0,0]
	v_mov_b32_e32 v21, v3
	v_pk_add_f32 v[2:3], v[16:17], v[20:21]
	s_waitcnt vmcnt(11)
	v_mov_b32_e32 v16, v91
	v_pk_mul_f32 v[16:17], v[4:5], v[16:17] op_sel_hi:[1,0]
	s_waitcnt vmcnt(10)
	v_pk_fma_f32 v[18:19], v[4:5], v[90:91], v[16:17] op_sel:[0,0,1] op_sel_hi:[1,1,0] neg_lo:[0,0,1] neg_hi:[0,0,1]
	v_pk_fma_f32 v[4:5], v[4:5], v[90:91], v[16:17] op_sel:[0,0,1] op_sel_hi:[1,0,0]
	s_waitcnt vmcnt(9)
	v_mov_b32_e32 v4, v89
	v_mov_b32_e32 v19, v5
	s_waitcnt lgkmcnt(2)
	v_pk_mul_f32 v[4:5], v[6:7], v[4:5] op_sel_hi:[1,0]
	s_waitcnt vmcnt(8)
	v_pk_fma_f32 v[16:17], v[6:7], v[88:89], v[4:5] op_sel:[0,0,1] op_sel_hi:[1,1,0] neg_lo:[0,0,1] neg_hi:[0,0,1]
	v_pk_fma_f32 v[4:5], v[6:7], v[88:89], v[4:5] op_sel:[0,0,1] op_sel_hi:[1,0,0]
	s_waitcnt vmcnt(7)
	v_mov_b32_e32 v4, v87
	v_mov_b32_e32 v17, v5
	v_pk_mul_f32 v[4:5], v[8:9], v[4:5] op_sel_hi:[1,0]
	s_waitcnt vmcnt(6)
	v_pk_fma_f32 v[6:7], v[8:9], v[86:87], v[4:5] op_sel:[0,0,1] op_sel_hi:[1,1,0] neg_lo:[0,0,1] neg_hi:[0,0,1]
	v_pk_fma_f32 v[4:5], v[8:9], v[86:87], v[4:5] op_sel:[0,0,1] op_sel_hi:[1,0,0]
	v_pk_add_f32 v[2:3], v[2:3], v[18:19]
	s_waitcnt vmcnt(5)
	v_mov_b32_e32 v4, v85
	v_pk_add_f32 v[2:3], v[2:3], v[16:17]
	v_mov_b32_e32 v7, v5
	s_waitcnt lgkmcnt(1)
	v_pk_mul_f32 v[4:5], v[10:11], v[4:5] op_sel_hi:[1,0]
	v_pk_add_f32 v[2:3], v[2:3], v[6:7]
	s_waitcnt vmcnt(4)
	v_pk_fma_f32 v[6:7], v[10:11], v[84:85], v[4:5] op_sel:[0,0,1] op_sel_hi:[1,1,0] neg_lo:[0,0,1] neg_hi:[0,0,1]
	v_pk_fma_f32 v[4:5], v[10:11], v[84:85], v[4:5] op_sel:[0,0,1] op_sel_hi:[1,0,0]
	s_waitcnt vmcnt(3)
	v_mov_b32_e32 v4, v83
	v_mov_b32_e32 v7, v5
	v_pk_mul_f32 v[4:5], v[12:13], v[4:5] op_sel_hi:[1,0]
	v_pk_add_f32 v[2:3], v[2:3], v[6:7]
	s_waitcnt vmcnt(2)
	v_pk_fma_f32 v[6:7], v[12:13], v[82:83], v[4:5] op_sel:[0,0,1] op_sel_hi:[1,1,0] neg_lo:[0,0,1] neg_hi:[0,0,1]
	v_pk_fma_f32 v[4:5], v[12:13], v[82:83], v[4:5] op_sel:[0,0,1] op_sel_hi:[1,0,0]
	s_waitcnt vmcnt(1)
	v_mov_b32_e32 v4, v81
	v_mov_b32_e32 v7, v5
	s_waitcnt lgkmcnt(0)
	v_pk_mul_f32 v[4:5], v[14:15], v[4:5] op_sel_hi:[1,0]
	v_pk_add_f32 v[2:3], v[2:3], v[6:7]
	s_waitcnt vmcnt(0)
	v_pk_fma_f32 v[6:7], v[14:15], v[80:81], v[4:5] op_sel:[0,0,1] op_sel_hi:[1,1,0] neg_lo:[0,0,1] neg_hi:[0,0,1]
	v_pk_fma_f32 v[4:5], v[14:15], v[80:81], v[4:5] op_sel:[0,0,1] op_sel_hi:[1,0,0]
	v_mov_b32_e32 v7, v5
	v_pk_add_f32 v[2:3], v[2:3], v[6:7]
	v_pk_add_f32 v[2:3], v[70:71], v[2:3] neg_lo:[0,1] neg_hi:[0,1]
	buffer_store_dword v3, off, s[0:3], 0 offset:148
	buffer_store_dword v2, off, s[0:3], 0 offset:144
	s_and_saveexec_b64 s[4:5], vcc
	s_cbranch_execz .LBB59_339
; %bb.338:
	buffer_load_dword v2, off, s[0:3], 0 offset:136
	buffer_load_dword v3, off, s[0:3], 0 offset:140
	s_waitcnt vmcnt(0)
	ds_write_b64 v195, v[2:3]
	buffer_store_dword v94, off, s[0:3], 0 offset:136
	buffer_store_dword v94, off, s[0:3], 0 offset:140
.LBB59_339:
	s_or_b64 exec, exec, s[4:5]
	s_waitcnt lgkmcnt(0)
	; wave barrier
	s_waitcnt lgkmcnt(0)
	buffer_load_dword v1, off, s[0:3], 0 offset:148
	buffer_load_dword v78, off, s[0:3], 0 offset:156
	;; [unrolled: 1-line block ×24, first 2 shown]
	ds_read_b128 v[22:25], v94 offset:624
	ds_read_b128 v[18:21], v94 offset:640
	ds_read_b128 v[14:17], v94 offset:656
	ds_read_b128 v[6:9], v94 offset:672
	buffer_load_dword v119, off, s[0:3], 0 offset:232
	buffer_load_dword v120, off, s[0:3], 0 offset:236
	ds_read_b128 v[10:13], v94 offset:688
	ds_read_b128 v[2:5], v94 offset:704
	buffer_load_dword v121, off, s[0:3], 0 offset:240
	buffer_load_dword v122, off, s[0:3], 0 offset:244
	;; [unrolled: 1-line block ×44, first 2 shown]
	v_cmp_lt_u32_e32 vcc, 16, v0
	s_waitcnt vmcnt(62) lgkmcnt(5)
	v_mul_f32_e32 v28, v22, v1
	v_mul_f32_e32 v29, v24, v78
	s_waitcnt lgkmcnt(4)
	v_mul_f32_e32 v31, v20, v80
	s_waitcnt lgkmcnt(3)
	v_mul_f32_e32 v32, v14, v82
	v_mul_f32_e32 v33, v16, v95
	;; [unrolled: 1-line block ×3, first 2 shown]
	s_waitcnt lgkmcnt(2)
	v_mul_f32_e32 v34, v6, v101
	v_mul_f32_e32 v35, v8, v104
	s_waitcnt vmcnt(61)
	v_fmac_f32_e32 v30, v19, v105
	s_waitcnt vmcnt(60)
	v_fmac_f32_e32 v29, v25, v106
	;; [unrolled: 2-line block ×3, first 2 shown]
	v_add_f32_e32 v28, 0, v28
	v_add_f32_e32 v28, v28, v29
	;; [unrolled: 1-line block ×3, first 2 shown]
	s_waitcnt vmcnt(55)
	v_fmac_f32_e32 v31, v21, v111
	v_fmac_f32_e32 v32, v15, v110
	v_add_f32_e32 v28, v28, v31
	v_fmac_f32_e32 v33, v17, v109
	v_add_f32_e32 v28, v28, v32
	;; [unrolled: 2-line block ×3, first 2 shown]
	s_waitcnt vmcnt(51)
	v_fmac_f32_e32 v35, v9, v115
	v_add_f32_e32 v28, v28, v34
	s_waitcnt vmcnt(50) lgkmcnt(1)
	v_mul_f32_e32 v29, v10, v116
	v_add_f32_e32 v28, v28, v35
	v_fmac_f32_e32 v29, v11, v114
	v_add_f32_e32 v28, v28, v29
	s_waitcnt vmcnt(49)
	v_mul_f32_e32 v29, v12, v117
	v_fmac_f32_e32 v29, v13, v113
	v_add_f32_e32 v28, v28, v29
	s_waitcnt vmcnt(48) lgkmcnt(0)
	v_mul_f32_e32 v29, v2, v118
	v_fmac_f32_e32 v29, v3, v112
	v_add_f32_e32 v32, v28, v29
	ds_read_b128 v[28:31], v94 offset:720
	s_waitcnt vmcnt(44)
	v_mul_f32_e32 v33, v4, v120
	v_fmac_f32_e32 v33, v5, v119
	v_add_f32_e32 v36, v32, v33
	ds_read_b128 v[32:35], v94 offset:736
	s_waitcnt vmcnt(42) lgkmcnt(1)
	v_mul_f32_e32 v37, v28, v122
	v_fmac_f32_e32 v37, v29, v121
	v_add_f32_e32 v36, v36, v37
	s_waitcnt vmcnt(40)
	v_mul_f32_e32 v37, v30, v124
	v_fmac_f32_e32 v37, v31, v123
	v_add_f32_e32 v36, v36, v37
	s_waitcnt vmcnt(38) lgkmcnt(0)
	v_mul_f32_e32 v37, v32, v126
	v_fmac_f32_e32 v37, v33, v125
	v_add_f32_e32 v40, v36, v37
	ds_read_b128 v[36:39], v94 offset:752
	s_waitcnt vmcnt(36)
	v_mul_f32_e32 v41, v34, v128
	v_fmac_f32_e32 v41, v35, v127
	v_add_f32_e32 v44, v40, v41
	ds_read_b128 v[40:43], v94 offset:768
	s_waitcnt vmcnt(34) lgkmcnt(1)
	v_mul_f32_e32 v45, v36, v130
	;; [unrolled: 18-line block ×4, first 2 shown]
	v_fmac_f32_e32 v61, v53, v145
	v_add_f32_e32 v60, v60, v61
	s_waitcnt vmcnt(16)
	v_mul_f32_e32 v61, v54, v148
	v_fmac_f32_e32 v61, v55, v147
	v_add_f32_e32 v60, v60, v61
	s_waitcnt vmcnt(14) lgkmcnt(0)
	v_mul_f32_e32 v61, v56, v150
	v_fmac_f32_e32 v61, v57, v149
	v_add_f32_e32 v64, v60, v61
	ds_read_b128 v[60:63], v94 offset:848
	s_waitcnt vmcnt(12)
	v_mul_f32_e32 v65, v58, v152
	v_fmac_f32_e32 v65, v59, v151
	v_add_f32_e32 v68, v64, v65
	ds_read_b128 v[64:67], v94 offset:864
	buffer_load_dword v77, off, s[0:3], 0 offset:420
	buffer_load_dword v76, off, s[0:3], 0 offset:416
	s_waitcnt vmcnt(12) lgkmcnt(1)
	v_mul_f32_e32 v69, v60, v154
	v_fmac_f32_e32 v69, v61, v153
	v_add_f32_e32 v68, v68, v69
	s_waitcnt vmcnt(10)
	v_mul_f32_e32 v69, v62, v156
	v_fmac_f32_e32 v69, v63, v155
	v_add_f32_e32 v68, v68, v69
	s_waitcnt vmcnt(8) lgkmcnt(0)
	v_mul_f32_e32 v69, v64, v158
	v_fmac_f32_e32 v69, v65, v157
	s_waitcnt vmcnt(6)
	v_mul_f32_e32 v73, v66, v160
	v_add_f32_e32 v72, v68, v69
	v_fmac_f32_e32 v73, v67, v159
	ds_read_b128 v[68:71], v94 offset:880
	v_add_f32_e32 v79, v72, v73
	ds_read_b128 v[72:75], v94 offset:896
	buffer_load_dword v85, off, s[0:3], 0 offset:452
	buffer_load_dword v84, off, s[0:3], 0 offset:448
	;; [unrolled: 1-line block ×14, first 2 shown]
	v_mul_f32_e32 v1, v23, v1
	v_fma_f32 v1, v22, v107, -v1
	v_mul_f32_e32 v22, v25, v78
	v_add_f32_e32 v1, 0, v1
	v_fma_f32 v22, v24, v106, -v22
	v_mul_f32_e32 v19, v19, v100
	v_add_f32_e32 v1, v1, v22
	v_fma_f32 v18, v18, v105, -v19
	v_add_f32_e32 v1, v1, v18
	v_mul_f32_e32 v18, v21, v80
	v_fma_f32 v18, v20, v111, -v18
	v_mul_f32_e32 v15, v15, v82
	v_add_f32_e32 v1, v1, v18
	v_fma_f32 v14, v14, v110, -v15
	v_add_f32_e32 v1, v1, v14
	v_mul_f32_e32 v14, v17, v95
	;; [unrolled: 6-line block ×3, first 2 shown]
	v_fma_f32 v6, v8, v115, -v6
	v_add_f32_e32 v1, v1, v6
	v_mul_f32_e32 v6, v11, v116
	v_fma_f32 v6, v10, v114, -v6
	v_add_f32_e32 v1, v1, v6
	v_mul_f32_e32 v6, v13, v117
	v_fma_f32 v6, v12, v113, -v6
	v_mul_f32_e32 v3, v3, v118
	v_add_f32_e32 v1, v1, v6
	v_fma_f32 v2, v2, v112, -v3
	v_add_f32_e32 v1, v1, v2
	v_mul_f32_e32 v2, v5, v120
	v_fma_f32 v2, v4, v119, -v2
	v_add_f32_e32 v1, v1, v2
	v_mul_f32_e32 v2, v29, v122
	;; [unrolled: 3-line block ×21, first 2 shown]
	v_fma_f32 v2, v66, v159, -v2
	s_waitcnt vmcnt(15)
	v_mov_b32_e32 v16, v77
	s_waitcnt lgkmcnt(1)
	v_mul_f32_e32 v81, v68, v162
	v_add_f32_e32 v78, v1, v2
	v_mul_f32_e32 v1, v69, v162
	s_waitcnt lgkmcnt(0)
	v_pk_mul_f32 v[16:17], v[72:73], v[16:17] op_sel_hi:[1,0]
	v_fmac_f32_e32 v81, v69, v161
	v_mul_f32_e32 v83, v70, v164
	v_fma_f32 v80, v68, v161, -v1
	v_mul_f32_e32 v1, v71, v164
	s_waitcnt vmcnt(14)
	v_pk_fma_f32 v[18:19], v[72:73], v[76:77], v[16:17] op_sel:[0,0,1] op_sel_hi:[1,1,0] neg_lo:[0,0,1] neg_hi:[0,0,1]
	v_pk_fma_f32 v[16:17], v[72:73], v[76:77], v[16:17] op_sel:[0,0,1] op_sel_hi:[1,0,0]
	v_fmac_f32_e32 v83, v71, v163
	v_fma_f32 v82, v70, v163, -v1
	v_pk_add_f32 v[14:15], v[78:79], v[80:81]
	s_waitcnt vmcnt(7)
	v_mov_b32_e32 v16, v91
	ds_read_b128 v[2:5], v94 offset:912
	ds_read_b128 v[6:9], v94 offset:928
	ds_read_b128 v[10:13], v94 offset:944
	v_pk_add_f32 v[14:15], v[14:15], v[82:83]
	v_mov_b32_e32 v19, v17
	v_pk_mul_f32 v[16:17], v[74:75], v[16:17] op_sel_hi:[1,0]
	v_pk_add_f32 v[14:15], v[14:15], v[18:19]
	s_waitcnt vmcnt(6)
	v_pk_fma_f32 v[18:19], v[74:75], v[90:91], v[16:17] op_sel:[0,0,1] op_sel_hi:[1,1,0] neg_lo:[0,0,1] neg_hi:[0,0,1]
	v_pk_fma_f32 v[16:17], v[74:75], v[90:91], v[16:17] op_sel:[0,0,1] op_sel_hi:[1,0,0]
	v_mov_b32_e32 v16, v89
	v_mov_b32_e32 v19, v17
	s_waitcnt lgkmcnt(2)
	v_pk_mul_f32 v[16:17], v[2:3], v[16:17] op_sel_hi:[1,0]
	v_pk_add_f32 v[14:15], v[14:15], v[18:19]
	v_pk_fma_f32 v[18:19], v[2:3], v[88:89], v[16:17] op_sel:[0,0,1] op_sel_hi:[1,1,0] neg_lo:[0,0,1] neg_hi:[0,0,1]
	v_pk_fma_f32 v[2:3], v[2:3], v[88:89], v[16:17] op_sel:[0,0,1] op_sel_hi:[1,0,0]
	v_mov_b32_e32 v19, v3
	v_pk_add_f32 v[2:3], v[14:15], v[18:19]
	v_mov_b32_e32 v14, v87
	v_pk_mul_f32 v[14:15], v[4:5], v[14:15] op_sel_hi:[1,0]
	v_pk_fma_f32 v[16:17], v[4:5], v[86:87], v[14:15] op_sel:[0,0,1] op_sel_hi:[1,1,0] neg_lo:[0,0,1] neg_hi:[0,0,1]
	v_pk_fma_f32 v[4:5], v[4:5], v[86:87], v[14:15] op_sel:[0,0,1] op_sel_hi:[1,0,0]
	v_mov_b32_e32 v4, v85
	v_mov_b32_e32 v17, v5
	s_waitcnt lgkmcnt(1)
	v_pk_mul_f32 v[4:5], v[6:7], v[4:5] op_sel_hi:[1,0]
	v_pk_fma_f32 v[14:15], v[6:7], v[84:85], v[4:5] op_sel:[0,0,1] op_sel_hi:[1,1,0] neg_lo:[0,0,1] neg_hi:[0,0,1]
	v_pk_fma_f32 v[4:5], v[6:7], v[84:85], v[4:5] op_sel:[0,0,1] op_sel_hi:[1,0,0]
	s_waitcnt vmcnt(1)
	v_mov_b32_e32 v4, v99
	v_mov_b32_e32 v15, v5
	v_pk_mul_f32 v[4:5], v[8:9], v[4:5] op_sel_hi:[1,0]
	s_waitcnt vmcnt(0)
	v_pk_fma_f32 v[6:7], v[8:9], v[98:99], v[4:5] op_sel:[0,0,1] op_sel_hi:[1,1,0] neg_lo:[0,0,1] neg_hi:[0,0,1]
	v_pk_fma_f32 v[4:5], v[8:9], v[98:99], v[4:5] op_sel:[0,0,1] op_sel_hi:[1,0,0]
	v_pk_add_f32 v[2:3], v[2:3], v[16:17]
	v_mov_b32_e32 v4, v97
	v_pk_add_f32 v[2:3], v[2:3], v[14:15]
	v_mov_b32_e32 v7, v5
	s_waitcnt lgkmcnt(0)
	v_pk_mul_f32 v[4:5], v[10:11], v[4:5] op_sel_hi:[1,0]
	v_pk_add_f32 v[2:3], v[2:3], v[6:7]
	v_pk_fma_f32 v[6:7], v[10:11], v[96:97], v[4:5] op_sel:[0,0,1] op_sel_hi:[1,1,0] neg_lo:[0,0,1] neg_hi:[0,0,1]
	v_pk_fma_f32 v[4:5], v[10:11], v[96:97], v[4:5] op_sel:[0,0,1] op_sel_hi:[1,0,0]
	v_mov_b32_e32 v4, v93
	v_mov_b32_e32 v7, v5
	v_pk_mul_f32 v[4:5], v[12:13], v[4:5] op_sel_hi:[1,0]
	v_pk_add_f32 v[2:3], v[2:3], v[6:7]
	v_pk_fma_f32 v[6:7], v[12:13], v[92:93], v[4:5] op_sel:[0,0,1] op_sel_hi:[1,1,0] neg_lo:[0,0,1] neg_hi:[0,0,1]
	v_pk_fma_f32 v[4:5], v[12:13], v[92:93], v[4:5] op_sel:[0,0,1] op_sel_hi:[1,0,0]
	v_mov_b32_e32 v7, v5
	v_pk_add_f32 v[2:3], v[2:3], v[6:7]
	v_pk_add_f32 v[2:3], v[26:27], v[2:3] neg_lo:[0,1] neg_hi:[0,1]
	buffer_store_dword v3, off, s[0:3], 0 offset:140
	buffer_store_dword v2, off, s[0:3], 0 offset:136
	s_and_saveexec_b64 s[4:5], vcc
	s_cbranch_execz .LBB59_341
; %bb.340:
	buffer_load_dword v2, off, s[0:3], 0 offset:128
	buffer_load_dword v3, off, s[0:3], 0 offset:132
	v_mov_b32_e32 v1, 0
	buffer_store_dword v1, off, s[0:3], 0 offset:128
	buffer_store_dword v1, off, s[0:3], 0 offset:132
	s_waitcnt vmcnt(2)
	ds_write_b64 v195, v[2:3]
.LBB59_341:
	s_or_b64 exec, exec, s[4:5]
	s_waitcnt lgkmcnt(0)
	; wave barrier
	s_waitcnt lgkmcnt(0)
	buffer_load_dword v76, off, s[0:3], 0 offset:140
	buffer_load_dword v78, off, s[0:3], 0 offset:148
	;; [unrolled: 1-line block ×56, first 2 shown]
	v_mov_b32_e32 v1, 0
	ds_read2_b64 v[4:7], v1 offset0:77 offset1:78
	ds_read2_b64 v[8:11], v1 offset0:79 offset1:80
	;; [unrolled: 1-line block ×6, first 2 shown]
	buffer_load_dword v151, off, s[0:3], 0 offset:352
	buffer_load_dword v152, off, s[0:3], 0 offset:356
	;; [unrolled: 1-line block ×16, first 2 shown]
	v_cmp_lt_u32_e32 vcc, 15, v0
	s_waitcnt vmcnt(62) lgkmcnt(5)
	v_mul_f32_e32 v28, v4, v76
	v_mul_f32_e32 v29, v6, v78
	s_waitcnt lgkmcnt(4)
	v_mul_f32_e32 v31, v10, v80
	s_waitcnt lgkmcnt(3)
	v_mul_f32_e32 v32, v12, v98
	v_mul_f32_e32 v33, v14, v99
	;; [unrolled: 1-line block ×3, first 2 shown]
	s_waitcnt lgkmcnt(2)
	v_mul_f32_e32 v34, v16, v101
	v_mul_f32_e32 v35, v18, v104
	s_waitcnt lgkmcnt(1)
	v_mul_f32_e32 v36, v20, v105
	v_fmac_f32_e32 v30, v9, v106
	s_waitcnt vmcnt(61)
	v_fmac_f32_e32 v29, v7, v107
	s_waitcnt vmcnt(60)
	v_fmac_f32_e32 v28, v5, v108
	v_add_f32_e32 v28, 0, v28
	v_add_f32_e32 v28, v28, v29
	;; [unrolled: 1-line block ×3, first 2 shown]
	s_waitcnt vmcnt(56)
	v_fmac_f32_e32 v31, v11, v112
	v_fmac_f32_e32 v32, v13, v111
	v_add_f32_e32 v28, v28, v31
	v_fmac_f32_e32 v33, v15, v110
	v_add_f32_e32 v28, v28, v32
	;; [unrolled: 2-line block ×3, first 2 shown]
	s_waitcnt vmcnt(52)
	v_fmac_f32_e32 v35, v19, v116
	v_add_f32_e32 v28, v28, v34
	v_add_f32_e32 v28, v28, v35
	v_fmac_f32_e32 v36, v21, v115
	s_waitcnt vmcnt(51)
	v_mul_f32_e32 v29, v22, v117
	v_add_f32_e32 v28, v28, v36
	v_fmac_f32_e32 v29, v23, v114
	v_add_f32_e32 v28, v28, v29
	s_waitcnt vmcnt(50) lgkmcnt(0)
	v_mul_f32_e32 v29, v24, v118
	v_fmac_f32_e32 v29, v25, v113
	v_add_f32_e32 v32, v28, v29
	ds_read2_b64 v[28:31], v1 offset0:89 offset1:90
	s_waitcnt vmcnt(46)
	v_mul_f32_e32 v33, v26, v120
	v_fmac_f32_e32 v33, v27, v119
	v_add_f32_e32 v36, v32, v33
	ds_read2_b64 v[32:35], v1 offset0:91 offset1:92
	s_waitcnt vmcnt(44) lgkmcnt(1)
	v_mul_f32_e32 v37, v28, v122
	v_fmac_f32_e32 v37, v29, v121
	v_add_f32_e32 v36, v36, v37
	s_waitcnt vmcnt(42)
	v_mul_f32_e32 v37, v30, v124
	v_fmac_f32_e32 v37, v31, v123
	v_add_f32_e32 v36, v36, v37
	s_waitcnt vmcnt(40) lgkmcnt(0)
	v_mul_f32_e32 v37, v32, v126
	v_fmac_f32_e32 v37, v33, v125
	v_add_f32_e32 v40, v36, v37
	ds_read2_b64 v[36:39], v1 offset0:93 offset1:94
	s_waitcnt vmcnt(38)
	v_mul_f32_e32 v41, v34, v128
	v_fmac_f32_e32 v41, v35, v127
	v_add_f32_e32 v44, v40, v41
	ds_read2_b64 v[40:43], v1 offset0:95 offset1:96
	s_waitcnt vmcnt(36) lgkmcnt(1)
	v_mul_f32_e32 v45, v36, v130
	v_fmac_f32_e32 v45, v37, v129
	v_add_f32_e32 v44, v44, v45
	s_waitcnt vmcnt(34)
	v_mul_f32_e32 v45, v38, v132
	v_fmac_f32_e32 v45, v39, v131
	v_add_f32_e32 v44, v44, v45
	s_waitcnt vmcnt(32) lgkmcnt(0)
	v_mul_f32_e32 v45, v40, v134
	v_fmac_f32_e32 v45, v41, v133
	v_add_f32_e32 v48, v44, v45
	ds_read2_b64 v[44:47], v1 offset0:97 offset1:98
	s_waitcnt vmcnt(30)
	v_mul_f32_e32 v49, v42, v136
	v_fmac_f32_e32 v49, v43, v135
	v_add_f32_e32 v52, v48, v49
	ds_read2_b64 v[48:51], v1 offset0:99 offset1:100
	s_waitcnt vmcnt(28) lgkmcnt(1)
	v_mul_f32_e32 v53, v44, v138
	v_fmac_f32_e32 v53, v45, v137
	v_add_f32_e32 v52, v52, v53
	s_waitcnt vmcnt(26)
	v_mul_f32_e32 v53, v46, v140
	v_fmac_f32_e32 v53, v47, v139
	v_add_f32_e32 v52, v52, v53
	s_waitcnt vmcnt(24) lgkmcnt(0)
	v_mul_f32_e32 v53, v48, v142
	v_fmac_f32_e32 v53, v49, v141
	v_add_f32_e32 v56, v52, v53
	ds_read2_b64 v[52:55], v1 offset0:101 offset1:102
	s_waitcnt vmcnt(22)
	v_mul_f32_e32 v57, v50, v144
	v_fmac_f32_e32 v57, v51, v143
	v_add_f32_e32 v60, v56, v57
	ds_read2_b64 v[56:59], v1 offset0:103 offset1:104
	s_waitcnt vmcnt(20) lgkmcnt(1)
	v_mul_f32_e32 v61, v52, v146
	v_fmac_f32_e32 v61, v53, v145
	v_add_f32_e32 v60, v60, v61
	s_waitcnt vmcnt(18)
	v_mul_f32_e32 v61, v54, v148
	v_fmac_f32_e32 v61, v55, v147
	v_add_f32_e32 v60, v60, v61
	s_waitcnt vmcnt(16) lgkmcnt(0)
	v_mul_f32_e32 v61, v56, v150
	v_fmac_f32_e32 v61, v57, v149
	v_add_f32_e32 v64, v60, v61
	ds_read2_b64 v[60:63], v1 offset0:105 offset1:106
	s_waitcnt vmcnt(14)
	v_mul_f32_e32 v65, v58, v152
	v_fmac_f32_e32 v65, v59, v151
	v_add_f32_e32 v68, v64, v65
	ds_read2_b64 v[64:67], v1 offset0:107 offset1:108
	s_waitcnt vmcnt(12) lgkmcnt(1)
	v_mul_f32_e32 v69, v60, v154
	v_fmac_f32_e32 v69, v61, v153
	v_add_f32_e32 v68, v68, v69
	s_waitcnt vmcnt(10)
	v_mul_f32_e32 v69, v62, v156
	v_fmac_f32_e32 v69, v63, v155
	v_add_f32_e32 v68, v68, v69
	s_waitcnt vmcnt(8) lgkmcnt(0)
	v_mul_f32_e32 v69, v64, v158
	v_fmac_f32_e32 v69, v65, v157
	s_waitcnt vmcnt(6)
	v_mul_f32_e32 v73, v66, v160
	v_add_f32_e32 v72, v68, v69
	v_fmac_f32_e32 v73, v67, v159
	ds_read2_b64 v[68:71], v1 offset0:109 offset1:110
	v_add_f32_e32 v77, v72, v73
	ds_read2_b64 v[72:75], v1 offset0:111 offset1:112
	buffer_load_dword v83, off, s[0:3], 0 offset:444
	buffer_load_dword v82, off, s[0:3], 0 offset:440
	buffer_load_dword v85, off, s[0:3], 0 offset:436
	buffer_load_dword v84, off, s[0:3], 0 offset:432
	buffer_load_dword v87, off, s[0:3], 0 offset:428
	buffer_load_dword v86, off, s[0:3], 0 offset:424
	buffer_load_dword v89, off, s[0:3], 0 offset:420
	buffer_load_dword v88, off, s[0:3], 0 offset:416
	buffer_load_dword v91, off, s[0:3], 0 offset:476
	buffer_load_dword v90, off, s[0:3], 0 offset:472
	buffer_load_dword v93, off, s[0:3], 0 offset:468
	buffer_load_dword v92, off, s[0:3], 0 offset:464
	buffer_load_dword v95, off, s[0:3], 0 offset:460
	buffer_load_dword v94, off, s[0:3], 0 offset:456
	buffer_load_dword v97, off, s[0:3], 0 offset:452
	buffer_load_dword v96, off, s[0:3], 0 offset:448
	v_mul_f32_e32 v5, v5, v76
	v_fma_f32 v4, v4, v108, -v5
	v_mul_f32_e32 v5, v7, v78
	v_add_f32_e32 v4, 0, v4
	v_fma_f32 v5, v6, v107, -v5
	v_add_f32_e32 v4, v4, v5
	v_mul_f32_e32 v5, v9, v100
	v_fma_f32 v5, v8, v106, -v5
	v_add_f32_e32 v4, v4, v5
	v_mul_f32_e32 v5, v11, v80
	;; [unrolled: 3-line block ×30, first 2 shown]
	v_fma_f32 v5, v66, v159, -v5
	v_add_f32_e32 v4, v4, v5
	s_waitcnt vmcnt(20) lgkmcnt(1)
	v_mul_f32_e32 v5, v69, v162
	v_mul_f32_e32 v79, v68, v162
	v_fma_f32 v5, v68, v161, -v5
	v_fmac_f32_e32 v79, v69, v161
	v_add_f32_e32 v76, v4, v5
	s_waitcnt vmcnt(18)
	v_mul_f32_e32 v4, v71, v164
	s_waitcnt vmcnt(9)
	v_mov_b32_e32 v20, v89
	v_add_f32_e32 v77, v77, v79
	v_mul_f32_e32 v79, v70, v164
	v_fma_f32 v78, v70, v163, -v4
	s_waitcnt lgkmcnt(0)
	v_mul_f32_e32 v4, v73, v166
	v_pk_mul_f32 v[20:21], v[74:75], v[20:21] op_sel_hi:[1,0]
	v_fmac_f32_e32 v79, v71, v163
	v_mul_f32_e32 v81, v72, v166
	v_fma_f32 v80, v72, v165, -v4
	ds_read2_b64 v[4:7], v1 offset0:113 offset1:114
	ds_read2_b64 v[8:11], v1 offset0:115 offset1:116
	;; [unrolled: 1-line block ×3, first 2 shown]
	ds_read_b64 v[16:17], v1 offset:952
	s_waitcnt vmcnt(8)
	v_pk_fma_f32 v[22:23], v[74:75], v[88:89], v[20:21] op_sel:[0,0,1] op_sel_hi:[1,1,0] neg_lo:[0,0,1] neg_hi:[0,0,1]
	v_pk_fma_f32 v[20:21], v[74:75], v[88:89], v[20:21] op_sel:[0,0,1] op_sel_hi:[1,0,0]
	v_fmac_f32_e32 v81, v73, v165
	v_pk_add_f32 v[18:19], v[76:77], v[78:79]
	v_mov_b32_e32 v20, v87
	v_pk_add_f32 v[18:19], v[18:19], v[80:81]
	v_mov_b32_e32 v23, v21
	s_waitcnt lgkmcnt(3)
	v_pk_mul_f32 v[20:21], v[4:5], v[20:21] op_sel_hi:[1,0]
	v_pk_add_f32 v[18:19], v[18:19], v[22:23]
	v_pk_fma_f32 v[22:23], v[4:5], v[86:87], v[20:21] op_sel:[0,0,1] op_sel_hi:[1,1,0] neg_lo:[0,0,1] neg_hi:[0,0,1]
	v_pk_fma_f32 v[4:5], v[4:5], v[86:87], v[20:21] op_sel:[0,0,1] op_sel_hi:[1,0,0]
	v_mov_b32_e32 v23, v5
	v_pk_add_f32 v[4:5], v[18:19], v[22:23]
	v_mov_b32_e32 v18, v85
	v_pk_mul_f32 v[18:19], v[6:7], v[18:19] op_sel_hi:[1,0]
	v_pk_fma_f32 v[20:21], v[6:7], v[84:85], v[18:19] op_sel:[0,0,1] op_sel_hi:[1,1,0] neg_lo:[0,0,1] neg_hi:[0,0,1]
	v_pk_fma_f32 v[6:7], v[6:7], v[84:85], v[18:19] op_sel:[0,0,1] op_sel_hi:[1,0,0]
	v_mov_b32_e32 v6, v83
	v_mov_b32_e32 v21, v7
	s_waitcnt lgkmcnt(2)
	v_pk_mul_f32 v[6:7], v[8:9], v[6:7] op_sel_hi:[1,0]
	v_pk_fma_f32 v[18:19], v[8:9], v[82:83], v[6:7] op_sel:[0,0,1] op_sel_hi:[1,1,0] neg_lo:[0,0,1] neg_hi:[0,0,1]
	v_pk_fma_f32 v[6:7], v[8:9], v[82:83], v[6:7] op_sel:[0,0,1] op_sel_hi:[1,0,0]
	s_waitcnt vmcnt(1)
	v_mov_b32_e32 v6, v97
	v_mov_b32_e32 v19, v7
	v_pk_mul_f32 v[6:7], v[10:11], v[6:7] op_sel_hi:[1,0]
	s_waitcnt vmcnt(0)
	v_pk_fma_f32 v[8:9], v[10:11], v[96:97], v[6:7] op_sel:[0,0,1] op_sel_hi:[1,1,0] neg_lo:[0,0,1] neg_hi:[0,0,1]
	v_pk_fma_f32 v[6:7], v[10:11], v[96:97], v[6:7] op_sel:[0,0,1] op_sel_hi:[1,0,0]
	v_pk_add_f32 v[4:5], v[4:5], v[20:21]
	v_mov_b32_e32 v6, v95
	v_pk_add_f32 v[4:5], v[4:5], v[18:19]
	v_mov_b32_e32 v9, v7
	s_waitcnt lgkmcnt(1)
	v_pk_mul_f32 v[6:7], v[12:13], v[6:7] op_sel_hi:[1,0]
	v_pk_add_f32 v[4:5], v[4:5], v[8:9]
	v_pk_fma_f32 v[8:9], v[12:13], v[94:95], v[6:7] op_sel:[0,0,1] op_sel_hi:[1,1,0] neg_lo:[0,0,1] neg_hi:[0,0,1]
	v_pk_fma_f32 v[6:7], v[12:13], v[94:95], v[6:7] op_sel:[0,0,1] op_sel_hi:[1,0,0]
	v_mov_b32_e32 v6, v93
	v_mov_b32_e32 v9, v7
	v_pk_mul_f32 v[6:7], v[14:15], v[6:7] op_sel_hi:[1,0]
	v_pk_add_f32 v[4:5], v[4:5], v[8:9]
	v_pk_fma_f32 v[8:9], v[14:15], v[92:93], v[6:7] op_sel:[0,0,1] op_sel_hi:[1,1,0] neg_lo:[0,0,1] neg_hi:[0,0,1]
	v_pk_fma_f32 v[6:7], v[14:15], v[92:93], v[6:7] op_sel:[0,0,1] op_sel_hi:[1,0,0]
	v_mov_b32_e32 v6, v91
	v_mov_b32_e32 v9, v7
	s_waitcnt lgkmcnt(0)
	v_pk_mul_f32 v[6:7], v[16:17], v[6:7] op_sel_hi:[1,0]
	v_pk_add_f32 v[4:5], v[4:5], v[8:9]
	v_pk_fma_f32 v[8:9], v[16:17], v[90:91], v[6:7] op_sel:[0,0,1] op_sel_hi:[1,1,0] neg_lo:[0,0,1] neg_hi:[0,0,1]
	v_pk_fma_f32 v[6:7], v[16:17], v[90:91], v[6:7] op_sel:[0,0,1] op_sel_hi:[1,0,0]
	v_mov_b32_e32 v9, v7
	v_pk_add_f32 v[4:5], v[4:5], v[8:9]
	v_pk_add_f32 v[2:3], v[2:3], v[4:5] neg_lo:[0,1] neg_hi:[0,1]
	buffer_store_dword v3, off, s[0:3], 0 offset:132
	buffer_store_dword v2, off, s[0:3], 0 offset:128
	s_and_saveexec_b64 s[4:5], vcc
	s_cbranch_execz .LBB59_343
; %bb.342:
	buffer_load_dword v2, off, s[0:3], 0 offset:120
	buffer_load_dword v3, off, s[0:3], 0 offset:124
	s_waitcnt vmcnt(0)
	ds_write_b64 v195, v[2:3]
	buffer_store_dword v1, off, s[0:3], 0 offset:120
	buffer_store_dword v1, off, s[0:3], 0 offset:124
.LBB59_343:
	s_or_b64 exec, exec, s[4:5]
	s_waitcnt lgkmcnt(0)
	; wave barrier
	s_waitcnt lgkmcnt(0)
	buffer_load_dword v76, off, s[0:3], 0 offset:132
	buffer_load_dword v78, off, s[0:3], 0 offset:140
	;; [unrolled: 1-line block ×26, first 2 shown]
	ds_read_b128 v[22:25], v1 offset:608
	ds_read_b128 v[18:21], v1 offset:624
	;; [unrolled: 1-line block ×6, first 2 shown]
	buffer_load_dword v121, off, s[0:3], 0 offset:224
	buffer_load_dword v122, off, s[0:3], 0 offset:228
	;; [unrolled: 1-line block ×42, first 2 shown]
	v_cmp_lt_u32_e32 vcc, 14, v0
	s_waitcnt vmcnt(62) lgkmcnt(5)
	v_mul_f32_e32 v28, v22, v76
	v_mul_f32_e32 v29, v24, v78
	s_waitcnt lgkmcnt(4)
	v_mul_f32_e32 v31, v20, v86
	s_waitcnt lgkmcnt(3)
	v_mul_f32_e32 v32, v14, v98
	v_mul_f32_e32 v33, v16, v99
	;; [unrolled: 1-line block ×3, first 2 shown]
	s_waitcnt vmcnt(61) lgkmcnt(2)
	v_mul_f32_e32 v34, v10, v101
	s_waitcnt vmcnt(60)
	v_mul_f32_e32 v35, v12, v104
	s_waitcnt vmcnt(59) lgkmcnt(1)
	v_mul_f32_e32 v36, v6, v105
	s_waitcnt vmcnt(58)
	v_fmac_f32_e32 v30, v19, v106
	s_waitcnt vmcnt(57)
	v_fmac_f32_e32 v29, v25, v107
	;; [unrolled: 2-line block ×3, first 2 shown]
	v_add_f32_e32 v28, 0, v28
	v_add_f32_e32 v28, v28, v29
	;; [unrolled: 1-line block ×3, first 2 shown]
	s_waitcnt vmcnt(52)
	v_fmac_f32_e32 v31, v21, v112
	v_fmac_f32_e32 v32, v15, v111
	v_add_f32_e32 v28, v28, v31
	v_fmac_f32_e32 v33, v17, v110
	v_add_f32_e32 v28, v28, v32
	;; [unrolled: 2-line block ×3, first 2 shown]
	s_waitcnt vmcnt(48)
	v_fmac_f32_e32 v35, v13, v116
	v_add_f32_e32 v28, v28, v34
	v_fmac_f32_e32 v36, v7, v115
	v_add_f32_e32 v28, v28, v35
	s_waitcnt vmcnt(47)
	v_mul_f32_e32 v29, v8, v117
	v_add_f32_e32 v28, v28, v36
	v_fmac_f32_e32 v29, v9, v114
	v_add_f32_e32 v28, v28, v29
	s_waitcnt vmcnt(46) lgkmcnt(0)
	v_mul_f32_e32 v29, v2, v118
	v_fmac_f32_e32 v29, v3, v113
	v_add_f32_e32 v32, v28, v29
	ds_read_b128 v[28:31], v1 offset:704
	s_waitcnt vmcnt(42)
	v_mul_f32_e32 v33, v4, v120
	v_fmac_f32_e32 v33, v5, v119
	buffer_load_dword v163, off, s[0:3], 0 offset:392
	buffer_load_dword v164, off, s[0:3], 0 offset:396
	v_add_f32_e32 v36, v32, v33
	buffer_load_dword v165, off, s[0:3], 0 offset:400
	buffer_load_dword v166, off, s[0:3], 0 offset:404
	ds_read_b128 v[32:35], v1 offset:720
	s_waitcnt vmcnt(44) lgkmcnt(1)
	v_mul_f32_e32 v37, v28, v122
	v_fmac_f32_e32 v37, v29, v121
	v_add_f32_e32 v36, v36, v37
	s_waitcnt vmcnt(42)
	v_mul_f32_e32 v37, v30, v124
	v_fmac_f32_e32 v37, v31, v123
	v_add_f32_e32 v36, v36, v37
	s_waitcnt vmcnt(40) lgkmcnt(0)
	v_mul_f32_e32 v37, v32, v126
	v_fmac_f32_e32 v37, v33, v125
	buffer_load_dword v167, off, s[0:3], 0 offset:408
	buffer_load_dword v168, off, s[0:3], 0 offset:412
	v_add_f32_e32 v40, v36, v37
	ds_read_b128 v[36:39], v1 offset:736
	s_waitcnt vmcnt(40)
	v_mul_f32_e32 v41, v34, v128
	v_fmac_f32_e32 v41, v35, v127
	v_add_f32_e32 v44, v40, v41
	ds_read_b128 v[40:43], v1 offset:752
	s_waitcnt vmcnt(38) lgkmcnt(1)
	v_mul_f32_e32 v45, v36, v130
	v_fmac_f32_e32 v45, v37, v129
	v_add_f32_e32 v44, v44, v45
	s_waitcnt vmcnt(36)
	v_mul_f32_e32 v45, v38, v132
	v_fmac_f32_e32 v45, v39, v131
	v_add_f32_e32 v44, v44, v45
	s_waitcnt vmcnt(34) lgkmcnt(0)
	v_mul_f32_e32 v45, v40, v134
	v_fmac_f32_e32 v45, v41, v133
	v_add_f32_e32 v48, v44, v45
	ds_read_b128 v[44:47], v1 offset:768
	s_waitcnt vmcnt(32)
	v_mul_f32_e32 v49, v42, v136
	v_fmac_f32_e32 v49, v43, v135
	v_add_f32_e32 v52, v48, v49
	ds_read_b128 v[48:51], v1 offset:784
	s_waitcnt vmcnt(30) lgkmcnt(1)
	v_mul_f32_e32 v53, v44, v138
	v_fmac_f32_e32 v53, v45, v137
	v_add_f32_e32 v52, v52, v53
	s_waitcnt vmcnt(28)
	v_mul_f32_e32 v53, v46, v140
	v_fmac_f32_e32 v53, v47, v139
	v_add_f32_e32 v52, v52, v53
	s_waitcnt vmcnt(26) lgkmcnt(0)
	v_mul_f32_e32 v53, v48, v142
	v_fmac_f32_e32 v53, v49, v141
	;; [unrolled: 18-line block ×4, first 2 shown]
	s_waitcnt vmcnt(8)
	v_mul_f32_e32 v73, v66, v160
	v_add_f32_e32 v72, v68, v69
	v_fmac_f32_e32 v73, v67, v159
	ds_read_b128 v[68:71], v1 offset:864
	v_add_f32_e32 v77, v72, v73
	ds_read_b128 v[72:75], v1 offset:880
	buffer_load_dword v81, off, s[0:3], 0 offset:436
	buffer_load_dword v80, off, s[0:3], 0 offset:432
	;; [unrolled: 1-line block ×16, first 2 shown]
	v_mul_f32_e32 v23, v23, v76
	v_fma_f32 v22, v22, v108, -v23
	v_mul_f32_e32 v23, v25, v78
	v_add_f32_e32 v22, 0, v22
	v_fma_f32 v23, v24, v107, -v23
	v_mul_f32_e32 v19, v19, v100
	v_add_f32_e32 v22, v22, v23
	;; [unrolled: 3-line block ×11, first 2 shown]
	v_fma_f32 v3, v4, v119, -v3
	v_add_f32_e32 v2, v2, v3
	v_mul_f32_e32 v3, v29, v122
	v_fma_f32 v3, v28, v121, -v3
	v_add_f32_e32 v2, v2, v3
	v_mul_f32_e32 v3, v31, v124
	;; [unrolled: 3-line block ×20, first 2 shown]
	v_fma_f32 v3, v66, v159, -v3
	v_add_f32_e32 v2, v2, v3
	s_waitcnt vmcnt(22) lgkmcnt(1)
	v_mul_f32_e32 v3, v69, v162
	v_fma_f32 v3, v68, v161, -v3
	v_add_f32_e32 v2, v2, v3
	s_waitcnt vmcnt(20)
	v_mul_f32_e32 v3, v71, v164
	v_mul_f32_e32 v79, v68, v162
	v_fma_f32 v3, v70, v163, -v3
	v_fmac_f32_e32 v79, v69, v161
	v_add_f32_e32 v76, v2, v3
	s_waitcnt vmcnt(18) lgkmcnt(0)
	v_mul_f32_e32 v2, v73, v166
	v_add_f32_e32 v77, v77, v79
	v_mul_f32_e32 v79, v70, v164
	v_fma_f32 v78, v72, v165, -v2
	s_waitcnt vmcnt(16)
	v_mul_f32_e32 v2, v75, v168
	v_fmac_f32_e32 v79, v71, v163
	v_fma_f32 v86, v74, v167, -v2
	ds_read_b128 v[2:5], v1 offset:896
	ds_read_b128 v[6:9], v1 offset:912
	;; [unrolled: 1-line block ×4, first 2 shown]
	v_add_f32_e32 v77, v77, v79
	v_mul_f32_e32 v79, v72, v166
	s_waitcnt vmcnt(11)
	v_mov_b32_e32 v20, v85
	v_fmac_f32_e32 v79, v73, v165
	v_mul_f32_e32 v87, v74, v168
	s_waitcnt lgkmcnt(3)
	v_pk_mul_f32 v[20:21], v[2:3], v[20:21] op_sel_hi:[1,0]
	v_fmac_f32_e32 v87, v75, v167
	v_pk_add_f32 v[18:19], v[76:77], v[78:79]
	s_waitcnt vmcnt(10)
	v_pk_fma_f32 v[22:23], v[2:3], v[84:85], v[20:21] op_sel:[0,0,1] op_sel_hi:[1,1,0] neg_lo:[0,0,1] neg_hi:[0,0,1]
	v_pk_fma_f32 v[2:3], v[2:3], v[84:85], v[20:21] op_sel:[0,0,1] op_sel_hi:[1,0,0]
	v_pk_add_f32 v[18:19], v[18:19], v[86:87]
	v_mov_b32_e32 v23, v3
	v_pk_add_f32 v[2:3], v[18:19], v[22:23]
	v_mov_b32_e32 v18, v83
	v_pk_mul_f32 v[18:19], v[4:5], v[18:19] op_sel_hi:[1,0]
	v_pk_fma_f32 v[20:21], v[4:5], v[82:83], v[18:19] op_sel:[0,0,1] op_sel_hi:[1,1,0] neg_lo:[0,0,1] neg_hi:[0,0,1]
	v_pk_fma_f32 v[4:5], v[4:5], v[82:83], v[18:19] op_sel:[0,0,1] op_sel_hi:[1,0,0]
	v_mov_b32_e32 v4, v81
	v_mov_b32_e32 v21, v5
	s_waitcnt lgkmcnt(2)
	v_pk_mul_f32 v[4:5], v[6:7], v[4:5] op_sel_hi:[1,0]
	v_pk_fma_f32 v[18:19], v[6:7], v[80:81], v[4:5] op_sel:[0,0,1] op_sel_hi:[1,1,0] neg_lo:[0,0,1] neg_hi:[0,0,1]
	v_pk_fma_f32 v[4:5], v[6:7], v[80:81], v[4:5] op_sel:[0,0,1] op_sel_hi:[1,0,0]
	s_waitcnt vmcnt(3)
	v_mov_b32_e32 v4, v95
	v_mov_b32_e32 v19, v5
	v_pk_mul_f32 v[4:5], v[8:9], v[4:5] op_sel_hi:[1,0]
	s_waitcnt vmcnt(2)
	v_pk_fma_f32 v[6:7], v[8:9], v[94:95], v[4:5] op_sel:[0,0,1] op_sel_hi:[1,1,0] neg_lo:[0,0,1] neg_hi:[0,0,1]
	v_pk_fma_f32 v[4:5], v[8:9], v[94:95], v[4:5] op_sel:[0,0,1] op_sel_hi:[1,0,0]
	v_pk_add_f32 v[2:3], v[2:3], v[20:21]
	v_mov_b32_e32 v4, v93
	v_pk_add_f32 v[2:3], v[2:3], v[18:19]
	v_mov_b32_e32 v7, v5
	s_waitcnt lgkmcnt(1)
	v_pk_mul_f32 v[4:5], v[10:11], v[4:5] op_sel_hi:[1,0]
	v_pk_add_f32 v[2:3], v[2:3], v[6:7]
	v_pk_fma_f32 v[6:7], v[10:11], v[92:93], v[4:5] op_sel:[0,0,1] op_sel_hi:[1,1,0] neg_lo:[0,0,1] neg_hi:[0,0,1]
	v_pk_fma_f32 v[4:5], v[10:11], v[92:93], v[4:5] op_sel:[0,0,1] op_sel_hi:[1,0,0]
	v_mov_b32_e32 v4, v91
	v_mov_b32_e32 v7, v5
	v_pk_mul_f32 v[4:5], v[12:13], v[4:5] op_sel_hi:[1,0]
	v_pk_add_f32 v[2:3], v[2:3], v[6:7]
	v_pk_fma_f32 v[6:7], v[12:13], v[90:91], v[4:5] op_sel:[0,0,1] op_sel_hi:[1,1,0] neg_lo:[0,0,1] neg_hi:[0,0,1]
	v_pk_fma_f32 v[4:5], v[12:13], v[90:91], v[4:5] op_sel:[0,0,1] op_sel_hi:[1,0,0]
	v_mov_b32_e32 v4, v89
	v_mov_b32_e32 v7, v5
	s_waitcnt lgkmcnt(0)
	v_pk_mul_f32 v[4:5], v[14:15], v[4:5] op_sel_hi:[1,0]
	v_pk_add_f32 v[2:3], v[2:3], v[6:7]
	v_pk_fma_f32 v[6:7], v[14:15], v[88:89], v[4:5] op_sel:[0,0,1] op_sel_hi:[1,1,0] neg_lo:[0,0,1] neg_hi:[0,0,1]
	v_pk_fma_f32 v[4:5], v[14:15], v[88:89], v[4:5] op_sel:[0,0,1] op_sel_hi:[1,0,0]
	s_waitcnt vmcnt(1)
	v_mov_b32_e32 v4, v97
	v_mov_b32_e32 v7, v5
	v_pk_mul_f32 v[4:5], v[16:17], v[4:5] op_sel_hi:[1,0]
	v_pk_add_f32 v[2:3], v[2:3], v[6:7]
	s_waitcnt vmcnt(0)
	v_pk_fma_f32 v[6:7], v[16:17], v[96:97], v[4:5] op_sel:[0,0,1] op_sel_hi:[1,1,0] neg_lo:[0,0,1] neg_hi:[0,0,1]
	v_pk_fma_f32 v[4:5], v[16:17], v[96:97], v[4:5] op_sel:[0,0,1] op_sel_hi:[1,0,0]
	v_mov_b32_e32 v7, v5
	v_pk_add_f32 v[2:3], v[2:3], v[6:7]
	v_pk_add_f32 v[2:3], v[26:27], v[2:3] neg_lo:[0,1] neg_hi:[0,1]
	buffer_store_dword v3, off, s[0:3], 0 offset:124
	buffer_store_dword v2, off, s[0:3], 0 offset:120
	s_and_saveexec_b64 s[4:5], vcc
	s_cbranch_execz .LBB59_345
; %bb.344:
	buffer_load_dword v2, off, s[0:3], 0 offset:112
	buffer_load_dword v3, off, s[0:3], 0 offset:116
	v_mov_b32_e32 v1, 0
	buffer_store_dword v1, off, s[0:3], 0 offset:112
	buffer_store_dword v1, off, s[0:3], 0 offset:116
	s_waitcnt vmcnt(2)
	ds_write_b64 v195, v[2:3]
.LBB59_345:
	s_or_b64 exec, exec, s[4:5]
	v_mov_b32_e32 v222, 0
	s_waitcnt lgkmcnt(0)
	; wave barrier
	s_waitcnt lgkmcnt(0)
	ds_read2_b64 v[2:5], v222 offset0:75 offset1:76
	buffer_load_dword v78, off, s[0:3], 0 offset:112
	buffer_load_dword v79, off, s[0:3], 0 offset:116
	;; [unrolled: 1-line block ×16, first 2 shown]
	v_cmp_lt_u32_e32 vcc, 13, v0
	s_waitcnt vmcnt(12) lgkmcnt(0)
	v_mul_f32_e32 v6, v2, v86
	v_fmac_f32_e32 v6, v3, v1
	s_waitcnt vmcnt(10)
	v_mul_f32_e32 v7, v4, v105
	v_add_f32_e32 v6, 0, v6
	v_fmac_f32_e32 v7, v5, v80
	v_add_f32_e32 v10, v6, v7
	ds_read2_b64 v[6:9], v222 offset0:77 offset1:78
	v_mul_f32_e32 v3, v3, v86
	v_fma_f32 v1, v2, v1, -v3
	v_mul_f32_e32 v2, v5, v105
	v_add_f32_e32 v1, 0, v1
	s_waitcnt vmcnt(8) lgkmcnt(0)
	v_mul_f32_e32 v11, v6, v107
	v_fmac_f32_e32 v11, v7, v82
	v_add_f32_e32 v10, v10, v11
	s_waitcnt vmcnt(6)
	v_mul_f32_e32 v11, v8, v109
	v_fmac_f32_e32 v11, v9, v104
	v_add_f32_e32 v14, v10, v11
	ds_read2_b64 v[10:13], v222 offset0:79 offset1:80
	v_fma_f32 v2, v4, v80, -v2
	v_add_f32_e32 v1, v1, v2
	v_mul_f32_e32 v2, v7, v107
	v_fma_f32 v2, v6, v82, -v2
	s_waitcnt vmcnt(4) lgkmcnt(0)
	v_mul_f32_e32 v15, v10, v111
	v_fmac_f32_e32 v15, v11, v106
	v_add_f32_e32 v14, v14, v15
	s_waitcnt vmcnt(2)
	v_mul_f32_e32 v15, v12, v112
	v_fmac_f32_e32 v15, v13, v108
	v_add_f32_e32 v18, v14, v15
	ds_read2_b64 v[14:17], v222 offset0:81 offset1:82
	buffer_load_dword v114, off, s[0:3], 0 offset:176
	buffer_load_dword v115, off, s[0:3], 0 offset:180
	v_add_f32_e32 v1, v1, v2
	v_mul_f32_e32 v2, v9, v109
	v_fma_f32 v2, v8, v104, -v2
	s_waitcnt vmcnt(2) lgkmcnt(0)
	v_mul_f32_e32 v19, v14, v113
	v_fmac_f32_e32 v19, v15, v110
	v_add_f32_e32 v18, v18, v19
	v_add_f32_e32 v1, v1, v2
	v_mul_f32_e32 v2, v11, v111
	v_fma_f32 v2, v10, v106, -v2
	v_add_f32_e32 v1, v1, v2
	v_mul_f32_e32 v2, v13, v112
	v_fma_f32 v2, v12, v108, -v2
	;; [unrolled: 3-line block ×3, first 2 shown]
	v_add_f32_e32 v1, v1, v2
	s_waitcnt vmcnt(0)
	v_mul_f32_e32 v19, v16, v115
	v_fmac_f32_e32 v19, v17, v114
	v_add_f32_e32 v22, v18, v19
	ds_read2_b64 v[18:21], v222 offset0:83 offset1:84
	buffer_load_dword v116, off, s[0:3], 0 offset:184
	buffer_load_dword v117, off, s[0:3], 0 offset:188
	;; [unrolled: 1-line block ×4, first 2 shown]
	v_mul_f32_e32 v2, v17, v115
	v_fma_f32 v2, v16, v114, -v2
	v_add_f32_e32 v1, v1, v2
	s_waitcnt vmcnt(2) lgkmcnt(0)
	v_mul_f32_e32 v23, v18, v117
	v_fmac_f32_e32 v23, v19, v116
	v_add_f32_e32 v22, v22, v23
	s_waitcnt vmcnt(0)
	v_mul_f32_e32 v23, v20, v119
	v_fmac_f32_e32 v23, v21, v118
	v_add_f32_e32 v26, v22, v23
	ds_read2_b64 v[22:25], v222 offset0:85 offset1:86
	buffer_load_dword v120, off, s[0:3], 0 offset:200
	buffer_load_dword v121, off, s[0:3], 0 offset:204
	buffer_load_dword v122, off, s[0:3], 0 offset:208
	buffer_load_dword v123, off, s[0:3], 0 offset:212
	ds_read2_b64 v[30:33], v222 offset0:87 offset1:88
	buffer_load_dword v124, off, s[0:3], 0 offset:216
	buffer_load_dword v125, off, s[0:3], 0 offset:220
	buffer_load_dword v126, off, s[0:3], 0 offset:224
	buffer_load_dword v127, off, s[0:3], 0 offset:228
	;; [unrolled: 5-line block ×13, first 2 shown]
	v_mul_f32_e32 v2, v19, v117
	v_fma_f32 v2, v18, v116, -v2
	v_add_f32_e32 v1, v1, v2
	v_mul_f32_e32 v2, v21, v119
	v_fma_f32 v2, v20, v118, -v2
	v_add_f32_e32 v1, v1, v2
	s_waitcnt vmcnt(50) lgkmcnt(12)
	v_mul_f32_e32 v27, v22, v121
	v_fmac_f32_e32 v27, v23, v120
	v_add_f32_e32 v26, v26, v27
	s_waitcnt vmcnt(48)
	v_mul_f32_e32 v27, v24, v123
	v_fmac_f32_e32 v27, v25, v122
	v_add_f32_e32 v26, v26, v27
	s_waitcnt vmcnt(46) lgkmcnt(11)
	v_mul_f32_e32 v27, v30, v125
	v_fmac_f32_e32 v27, v31, v124
	v_add_f32_e32 v26, v26, v27
	s_waitcnt vmcnt(44)
	v_mul_f32_e32 v27, v32, v127
	v_fmac_f32_e32 v27, v33, v126
	;; [unrolled: 8-line block ×12, first 2 shown]
	v_add_f32_e32 v26, v26, v27
	s_waitcnt vmcnt(2) lgkmcnt(0)
	v_mul_f32_e32 v27, v74, v169
	v_fmac_f32_e32 v27, v75, v168
	v_add_f32_e32 v81, v26, v27
	ds_read2_b64 v[26:29], v222 offset0:111 offset1:112
	buffer_load_dword v172, off, s[0:3], 0 offset:408
	buffer_load_dword v173, off, s[0:3], 0 offset:412
	buffer_load_dword v85, off, s[0:3], 0 offset:420
	buffer_load_dword v84, off, s[0:3], 0 offset:416
	buffer_load_dword v101, off, s[0:3], 0 offset:428
	buffer_load_dword v100, off, s[0:3], 0 offset:424
	buffer_load_dword v99, off, s[0:3], 0 offset:436
	buffer_load_dword v98, off, s[0:3], 0 offset:432
	buffer_load_dword v97, off, s[0:3], 0 offset:444
	buffer_load_dword v96, off, s[0:3], 0 offset:440
	buffer_load_dword v95, off, s[0:3], 0 offset:452
	buffer_load_dword v94, off, s[0:3], 0 offset:448
	buffer_load_dword v93, off, s[0:3], 0 offset:460
	buffer_load_dword v92, off, s[0:3], 0 offset:456
	buffer_load_dword v91, off, s[0:3], 0 offset:468
	buffer_load_dword v90, off, s[0:3], 0 offset:464
	buffer_load_dword v89, off, s[0:3], 0 offset:476
	buffer_load_dword v88, off, s[0:3], 0 offset:472
	v_mul_f32_e32 v2, v23, v121
	v_fma_f32 v2, v22, v120, -v2
	v_add_f32_e32 v1, v1, v2
	v_mul_f32_e32 v2, v25, v123
	v_fma_f32 v2, v24, v122, -v2
	v_add_f32_e32 v1, v1, v2
	;; [unrolled: 3-line block ×24, first 2 shown]
	v_mul_f32_e32 v2, v75, v169
	v_fma_f32 v2, v74, v168, -v2
	s_waitcnt vmcnt(15)
	v_mov_b32_e32 v18, v85
	v_mul_f32_e32 v83, v76, v171
	v_add_f32_e32 v80, v1, v2
	v_mul_f32_e32 v1, v77, v171
	s_waitcnt lgkmcnt(0)
	v_pk_mul_f32 v[18:19], v[28:29], v[18:19] op_sel_hi:[1,0]
	v_fmac_f32_e32 v83, v77, v170
	v_mul_f32_e32 v87, v26, v173
	v_fma_f32 v82, v76, v170, -v1
	v_mul_f32_e32 v1, v27, v173
	ds_read2_b64 v[2:5], v222 offset0:113 offset1:114
	ds_read2_b64 v[6:9], v222 offset0:115 offset1:116
	;; [unrolled: 1-line block ×3, first 2 shown]
	ds_read_b64 v[14:15], v222 offset:952
	s_waitcnt vmcnt(14)
	v_pk_fma_f32 v[20:21], v[28:29], v[84:85], v[18:19] op_sel:[0,0,1] op_sel_hi:[1,1,0] neg_lo:[0,0,1] neg_hi:[0,0,1]
	v_pk_fma_f32 v[18:19], v[28:29], v[84:85], v[18:19] op_sel:[0,0,1] op_sel_hi:[1,0,0]
	v_fmac_f32_e32 v87, v27, v172
	v_fma_f32 v86, v26, v172, -v1
	v_pk_add_f32 v[16:17], v[80:81], v[82:83]
	s_waitcnt vmcnt(13)
	v_mov_b32_e32 v18, v101
	v_pk_add_f32 v[16:17], v[16:17], v[86:87]
	v_mov_b32_e32 v21, v19
	s_waitcnt lgkmcnt(3)
	v_pk_mul_f32 v[18:19], v[2:3], v[18:19] op_sel_hi:[1,0]
	v_pk_add_f32 v[16:17], v[16:17], v[20:21]
	s_waitcnt vmcnt(12)
	v_pk_fma_f32 v[20:21], v[2:3], v[100:101], v[18:19] op_sel:[0,0,1] op_sel_hi:[1,1,0] neg_lo:[0,0,1] neg_hi:[0,0,1]
	v_pk_fma_f32 v[2:3], v[2:3], v[100:101], v[18:19] op_sel:[0,0,1] op_sel_hi:[1,0,0]
	v_mov_b32_e32 v21, v3
	v_pk_add_f32 v[2:3], v[16:17], v[20:21]
	s_waitcnt vmcnt(11)
	v_mov_b32_e32 v16, v99
	v_pk_mul_f32 v[16:17], v[4:5], v[16:17] op_sel_hi:[1,0]
	s_waitcnt vmcnt(10)
	v_pk_fma_f32 v[18:19], v[4:5], v[98:99], v[16:17] op_sel:[0,0,1] op_sel_hi:[1,1,0] neg_lo:[0,0,1] neg_hi:[0,0,1]
	v_pk_fma_f32 v[4:5], v[4:5], v[98:99], v[16:17] op_sel:[0,0,1] op_sel_hi:[1,0,0]
	s_waitcnt vmcnt(9)
	v_mov_b32_e32 v4, v97
	v_mov_b32_e32 v19, v5
	s_waitcnt lgkmcnt(2)
	v_pk_mul_f32 v[4:5], v[6:7], v[4:5] op_sel_hi:[1,0]
	s_waitcnt vmcnt(8)
	v_pk_fma_f32 v[16:17], v[6:7], v[96:97], v[4:5] op_sel:[0,0,1] op_sel_hi:[1,1,0] neg_lo:[0,0,1] neg_hi:[0,0,1]
	v_pk_fma_f32 v[4:5], v[6:7], v[96:97], v[4:5] op_sel:[0,0,1] op_sel_hi:[1,0,0]
	s_waitcnt vmcnt(7)
	v_mov_b32_e32 v4, v95
	v_mov_b32_e32 v17, v5
	v_pk_mul_f32 v[4:5], v[8:9], v[4:5] op_sel_hi:[1,0]
	s_waitcnt vmcnt(6)
	v_pk_fma_f32 v[6:7], v[8:9], v[94:95], v[4:5] op_sel:[0,0,1] op_sel_hi:[1,1,0] neg_lo:[0,0,1] neg_hi:[0,0,1]
	v_pk_fma_f32 v[4:5], v[8:9], v[94:95], v[4:5] op_sel:[0,0,1] op_sel_hi:[1,0,0]
	v_pk_add_f32 v[2:3], v[2:3], v[18:19]
	s_waitcnt vmcnt(5)
	v_mov_b32_e32 v4, v93
	v_pk_add_f32 v[2:3], v[2:3], v[16:17]
	v_mov_b32_e32 v7, v5
	s_waitcnt lgkmcnt(1)
	v_pk_mul_f32 v[4:5], v[10:11], v[4:5] op_sel_hi:[1,0]
	v_pk_add_f32 v[2:3], v[2:3], v[6:7]
	s_waitcnt vmcnt(4)
	v_pk_fma_f32 v[6:7], v[10:11], v[92:93], v[4:5] op_sel:[0,0,1] op_sel_hi:[1,1,0] neg_lo:[0,0,1] neg_hi:[0,0,1]
	v_pk_fma_f32 v[4:5], v[10:11], v[92:93], v[4:5] op_sel:[0,0,1] op_sel_hi:[1,0,0]
	s_waitcnt vmcnt(3)
	v_mov_b32_e32 v4, v91
	v_mov_b32_e32 v7, v5
	v_pk_mul_f32 v[4:5], v[12:13], v[4:5] op_sel_hi:[1,0]
	v_pk_add_f32 v[2:3], v[2:3], v[6:7]
	s_waitcnt vmcnt(2)
	v_pk_fma_f32 v[6:7], v[12:13], v[90:91], v[4:5] op_sel:[0,0,1] op_sel_hi:[1,1,0] neg_lo:[0,0,1] neg_hi:[0,0,1]
	v_pk_fma_f32 v[4:5], v[12:13], v[90:91], v[4:5] op_sel:[0,0,1] op_sel_hi:[1,0,0]
	s_waitcnt vmcnt(1)
	v_mov_b32_e32 v4, v89
	v_mov_b32_e32 v7, v5
	s_waitcnt lgkmcnt(0)
	v_pk_mul_f32 v[4:5], v[14:15], v[4:5] op_sel_hi:[1,0]
	v_pk_add_f32 v[2:3], v[2:3], v[6:7]
	s_waitcnt vmcnt(0)
	v_pk_fma_f32 v[6:7], v[14:15], v[88:89], v[4:5] op_sel:[0,0,1] op_sel_hi:[1,1,0] neg_lo:[0,0,1] neg_hi:[0,0,1]
	v_pk_fma_f32 v[4:5], v[14:15], v[88:89], v[4:5] op_sel:[0,0,1] op_sel_hi:[1,0,0]
	v_mov_b32_e32 v7, v5
	v_pk_add_f32 v[2:3], v[2:3], v[6:7]
	v_pk_add_f32 v[2:3], v[78:79], v[2:3] neg_lo:[0,1] neg_hi:[0,1]
	buffer_store_dword v3, off, s[0:3], 0 offset:116
	buffer_store_dword v2, off, s[0:3], 0 offset:112
	s_and_saveexec_b64 s[4:5], vcc
	s_cbranch_execz .LBB59_347
; %bb.346:
	buffer_load_dword v2, off, s[0:3], 0 offset:104
	buffer_load_dword v3, off, s[0:3], 0 offset:108
	s_waitcnt vmcnt(0)
	ds_write_b64 v195, v[2:3]
	buffer_store_dword v222, off, s[0:3], 0 offset:104
	buffer_store_dword v222, off, s[0:3], 0 offset:108
.LBB59_347:
	s_or_b64 exec, exec, s[4:5]
	s_waitcnt lgkmcnt(0)
	; wave barrier
	s_waitcnt lgkmcnt(0)
	buffer_load_dword v1, off, s[0:3], 0 offset:116
	buffer_load_dword v86, off, s[0:3], 0 offset:124
	;; [unrolled: 1-line block ×32, first 2 shown]
	ds_read_b128 v[22:25], v222 offset:592
	ds_read_b128 v[18:21], v222 offset:608
	;; [unrolled: 1-line block ×6, first 2 shown]
	buffer_load_dword v134, off, s[0:3], 0 offset:232
	buffer_load_dword v135, off, s[0:3], 0 offset:236
	;; [unrolled: 1-line block ×32, first 2 shown]
	v_cmp_lt_u32_e32 vcc, 12, v0
	s_waitcnt vmcnt(62) lgkmcnt(5)
	v_mul_f32_e32 v28, v22, v1
	v_mul_f32_e32 v29, v24, v86
	s_waitcnt vmcnt(61) lgkmcnt(4)
	v_mul_f32_e32 v31, v20, v88
	s_waitcnt vmcnt(60) lgkmcnt(3)
	v_mul_f32_e32 v32, v14, v90
	s_waitcnt vmcnt(59)
	v_mul_f32_e32 v33, v16, v108
	s_waitcnt vmcnt(58)
	v_mul_f32_e32 v30, v18, v109
	s_waitcnt vmcnt(57) lgkmcnt(2)
	v_mul_f32_e32 v34, v10, v110
	s_waitcnt vmcnt(56)
	v_mul_f32_e32 v35, v12, v111
	s_waitcnt vmcnt(55) lgkmcnt(1)
	v_mul_f32_e32 v36, v6, v112
	s_waitcnt vmcnt(54)
	v_mul_f32_e32 v37, v8, v113
	s_waitcnt vmcnt(53)
	v_fmac_f32_e32 v30, v19, v114
	s_waitcnt vmcnt(52)
	v_fmac_f32_e32 v29, v25, v115
	s_waitcnt vmcnt(51)
	v_fmac_f32_e32 v28, v23, v116
	v_add_f32_e32 v28, 0, v28
	v_add_f32_e32 v28, v28, v29
	;; [unrolled: 1-line block ×3, first 2 shown]
	s_waitcnt vmcnt(47)
	v_fmac_f32_e32 v31, v21, v120
	v_fmac_f32_e32 v32, v15, v119
	v_add_f32_e32 v28, v28, v31
	v_fmac_f32_e32 v33, v17, v118
	v_add_f32_e32 v28, v28, v32
	;; [unrolled: 2-line block ×3, first 2 shown]
	s_waitcnt vmcnt(43)
	v_fmac_f32_e32 v35, v13, v124
	v_add_f32_e32 v28, v28, v34
	v_fmac_f32_e32 v36, v7, v123
	v_add_f32_e32 v28, v28, v35
	;; [unrolled: 2-line block ×3, first 2 shown]
	s_waitcnt vmcnt(42) lgkmcnt(0)
	v_mul_f32_e32 v29, v2, v125
	v_add_f32_e32 v28, v28, v37
	v_fmac_f32_e32 v29, v3, v121
	v_add_f32_e32 v32, v28, v29
	ds_read_b128 v[28:31], v222 offset:688
	buffer_load_dword v166, off, s[0:3], 0 offset:360
	buffer_load_dword v167, off, s[0:3], 0 offset:364
	s_waitcnt vmcnt(43)
	v_mul_f32_e32 v33, v4, v126
	s_waitcnt vmcnt(36)
	v_fmac_f32_e32 v33, v5, v133
	v_add_f32_e32 v36, v32, v33
	ds_read_b128 v[32:35], v222 offset:704
	buffer_load_dword v168, off, s[0:3], 0 offset:368
	buffer_load_dword v169, off, s[0:3], 0 offset:372
	;; [unrolled: 1-line block ×8, first 2 shown]
	s_waitcnt lgkmcnt(1)
	v_mul_f32_e32 v37, v28, v128
	v_fmac_f32_e32 v37, v29, v127
	v_add_f32_e32 v36, v36, v37
	v_mul_f32_e32 v37, v30, v130
	v_fmac_f32_e32 v37, v31, v129
	v_add_f32_e32 v36, v36, v37
	s_waitcnt lgkmcnt(0)
	v_mul_f32_e32 v37, v32, v132
	v_fmac_f32_e32 v37, v33, v131
	v_add_f32_e32 v40, v36, v37
	buffer_load_dword v176, off, s[0:3], 0 offset:400
	buffer_load_dword v177, off, s[0:3], 0 offset:404
	;; [unrolled: 1-line block ×4, first 2 shown]
	ds_read_b128 v[36:39], v222 offset:720
	s_waitcnt vmcnt(44)
	v_mul_f32_e32 v41, v34, v135
	v_fmac_f32_e32 v41, v35, v134
	v_add_f32_e32 v44, v40, v41
	ds_read_b128 v[40:43], v222 offset:736
	s_waitcnt vmcnt(42) lgkmcnt(1)
	v_mul_f32_e32 v45, v36, v137
	v_fmac_f32_e32 v45, v37, v136
	v_add_f32_e32 v44, v44, v45
	s_waitcnt vmcnt(40)
	v_mul_f32_e32 v45, v38, v139
	v_fmac_f32_e32 v45, v39, v138
	v_add_f32_e32 v44, v44, v45
	s_waitcnt vmcnt(38) lgkmcnt(0)
	v_mul_f32_e32 v45, v40, v141
	v_fmac_f32_e32 v45, v41, v140
	v_add_f32_e32 v48, v44, v45
	ds_read_b128 v[44:47], v222 offset:752
	s_waitcnt vmcnt(36)
	v_mul_f32_e32 v49, v42, v143
	v_fmac_f32_e32 v49, v43, v142
	v_add_f32_e32 v52, v48, v49
	ds_read_b128 v[48:51], v222 offset:768
	s_waitcnt vmcnt(34) lgkmcnt(1)
	v_mul_f32_e32 v53, v44, v145
	v_fmac_f32_e32 v53, v45, v144
	v_add_f32_e32 v52, v52, v53
	s_waitcnt vmcnt(32)
	v_mul_f32_e32 v53, v46, v147
	v_fmac_f32_e32 v53, v47, v146
	v_add_f32_e32 v52, v52, v53
	s_waitcnt vmcnt(30) lgkmcnt(0)
	v_mul_f32_e32 v53, v48, v149
	v_fmac_f32_e32 v53, v49, v148
	v_add_f32_e32 v56, v52, v53
	;; [unrolled: 18-line block ×4, first 2 shown]
	ds_read_b128 v[68:71], v222 offset:848
	v_mul_f32_e32 v1, v23, v1
	v_fma_f32 v1, v22, v116, -v1
	v_mul_f32_e32 v22, v25, v86
	v_add_f32_e32 v1, 0, v1
	s_waitcnt vmcnt(12)
	v_mul_f32_e32 v73, v66, v167
	v_fmac_f32_e32 v73, v67, v166
	v_add_f32_e32 v76, v72, v73
	ds_read_b128 v[72:75], v222 offset:864
	buffer_load_dword v85, off, s[0:3], 0 offset:420
	buffer_load_dword v84, off, s[0:3], 0 offset:416
	s_waitcnt vmcnt(12) lgkmcnt(1)
	v_mul_f32_e32 v77, v68, v169
	v_fmac_f32_e32 v77, v69, v168
	v_add_f32_e32 v76, v76, v77
	s_waitcnt vmcnt(10)
	v_mul_f32_e32 v77, v70, v171
	v_fmac_f32_e32 v77, v71, v170
	v_add_f32_e32 v76, v76, v77
	s_waitcnt vmcnt(8) lgkmcnt(0)
	v_mul_f32_e32 v77, v72, v173
	v_fmac_f32_e32 v77, v73, v172
	s_waitcnt vmcnt(6)
	v_mul_f32_e32 v81, v74, v175
	v_add_f32_e32 v80, v76, v77
	v_fmac_f32_e32 v81, v75, v174
	ds_read_b128 v[76:79], v222 offset:880
	v_add_f32_e32 v87, v80, v81
	ds_read_b128 v[80:83], v222 offset:896
	buffer_load_dword v93, off, s[0:3], 0 offset:452
	buffer_load_dword v92, off, s[0:3], 0 offset:448
	;; [unrolled: 1-line block ×14, first 2 shown]
	v_fma_f32 v22, v24, v115, -v22
	v_mul_f32_e32 v19, v19, v109
	v_add_f32_e32 v1, v1, v22
	v_fma_f32 v18, v18, v114, -v19
	v_add_f32_e32 v1, v1, v18
	v_mul_f32_e32 v18, v21, v88
	v_fma_f32 v18, v20, v120, -v18
	v_mul_f32_e32 v15, v15, v90
	v_add_f32_e32 v1, v1, v18
	v_fma_f32 v14, v14, v119, -v15
	v_add_f32_e32 v1, v1, v14
	v_mul_f32_e32 v14, v17, v108
	;; [unrolled: 6-line block ×5, first 2 shown]
	v_fma_f32 v2, v4, v133, -v2
	v_add_f32_e32 v1, v1, v2
	v_mul_f32_e32 v2, v29, v128
	v_fma_f32 v2, v28, v127, -v2
	v_add_f32_e32 v1, v1, v2
	v_mul_f32_e32 v2, v31, v130
	;; [unrolled: 3-line block ×24, first 2 shown]
	v_fma_f32 v2, v74, v174, -v2
	s_waitcnt vmcnt(15)
	v_mov_b32_e32 v16, v85
	s_waitcnt lgkmcnt(1)
	v_mul_f32_e32 v89, v76, v177
	v_add_f32_e32 v86, v1, v2
	v_mul_f32_e32 v1, v77, v177
	s_waitcnt lgkmcnt(0)
	v_pk_mul_f32 v[16:17], v[80:81], v[16:17] op_sel_hi:[1,0]
	v_fmac_f32_e32 v89, v77, v176
	v_mul_f32_e32 v91, v78, v224
	v_fma_f32 v88, v76, v176, -v1
	v_mul_f32_e32 v1, v79, v224
	s_waitcnt vmcnt(14)
	v_pk_fma_f32 v[18:19], v[80:81], v[84:85], v[16:17] op_sel:[0,0,1] op_sel_hi:[1,1,0] neg_lo:[0,0,1] neg_hi:[0,0,1]
	v_pk_fma_f32 v[16:17], v[80:81], v[84:85], v[16:17] op_sel:[0,0,1] op_sel_hi:[1,0,0]
	v_fmac_f32_e32 v91, v79, v223
	v_fma_f32 v90, v78, v223, -v1
	v_pk_add_f32 v[14:15], v[86:87], v[88:89]
	s_waitcnt vmcnt(7)
	v_mov_b32_e32 v16, v99
	ds_read_b128 v[2:5], v222 offset:912
	ds_read_b128 v[6:9], v222 offset:928
	;; [unrolled: 1-line block ×3, first 2 shown]
	v_pk_add_f32 v[14:15], v[14:15], v[90:91]
	v_mov_b32_e32 v19, v17
	v_pk_mul_f32 v[16:17], v[82:83], v[16:17] op_sel_hi:[1,0]
	v_pk_add_f32 v[14:15], v[14:15], v[18:19]
	s_waitcnt vmcnt(6)
	v_pk_fma_f32 v[18:19], v[82:83], v[98:99], v[16:17] op_sel:[0,0,1] op_sel_hi:[1,1,0] neg_lo:[0,0,1] neg_hi:[0,0,1]
	v_pk_fma_f32 v[16:17], v[82:83], v[98:99], v[16:17] op_sel:[0,0,1] op_sel_hi:[1,0,0]
	v_mov_b32_e32 v16, v97
	v_mov_b32_e32 v19, v17
	s_waitcnt lgkmcnt(2)
	v_pk_mul_f32 v[16:17], v[2:3], v[16:17] op_sel_hi:[1,0]
	v_pk_add_f32 v[14:15], v[14:15], v[18:19]
	v_pk_fma_f32 v[18:19], v[2:3], v[96:97], v[16:17] op_sel:[0,0,1] op_sel_hi:[1,1,0] neg_lo:[0,0,1] neg_hi:[0,0,1]
	v_pk_fma_f32 v[2:3], v[2:3], v[96:97], v[16:17] op_sel:[0,0,1] op_sel_hi:[1,0,0]
	v_mov_b32_e32 v19, v3
	v_pk_add_f32 v[2:3], v[14:15], v[18:19]
	v_mov_b32_e32 v14, v95
	v_pk_mul_f32 v[14:15], v[4:5], v[14:15] op_sel_hi:[1,0]
	v_pk_fma_f32 v[16:17], v[4:5], v[94:95], v[14:15] op_sel:[0,0,1] op_sel_hi:[1,1,0] neg_lo:[0,0,1] neg_hi:[0,0,1]
	v_pk_fma_f32 v[4:5], v[4:5], v[94:95], v[14:15] op_sel:[0,0,1] op_sel_hi:[1,0,0]
	v_mov_b32_e32 v4, v93
	v_mov_b32_e32 v17, v5
	s_waitcnt lgkmcnt(1)
	v_pk_mul_f32 v[4:5], v[6:7], v[4:5] op_sel_hi:[1,0]
	v_pk_fma_f32 v[14:15], v[6:7], v[92:93], v[4:5] op_sel:[0,0,1] op_sel_hi:[1,1,0] neg_lo:[0,0,1] neg_hi:[0,0,1]
	v_pk_fma_f32 v[4:5], v[6:7], v[92:93], v[4:5] op_sel:[0,0,1] op_sel_hi:[1,0,0]
	s_waitcnt vmcnt(1)
	v_mov_b32_e32 v4, v107
	v_mov_b32_e32 v15, v5
	v_pk_mul_f32 v[4:5], v[8:9], v[4:5] op_sel_hi:[1,0]
	s_waitcnt vmcnt(0)
	v_pk_fma_f32 v[6:7], v[8:9], v[106:107], v[4:5] op_sel:[0,0,1] op_sel_hi:[1,1,0] neg_lo:[0,0,1] neg_hi:[0,0,1]
	v_pk_fma_f32 v[4:5], v[8:9], v[106:107], v[4:5] op_sel:[0,0,1] op_sel_hi:[1,0,0]
	v_pk_add_f32 v[2:3], v[2:3], v[16:17]
	v_mov_b32_e32 v4, v105
	v_pk_add_f32 v[2:3], v[2:3], v[14:15]
	v_mov_b32_e32 v7, v5
	s_waitcnt lgkmcnt(0)
	v_pk_mul_f32 v[4:5], v[10:11], v[4:5] op_sel_hi:[1,0]
	v_pk_add_f32 v[2:3], v[2:3], v[6:7]
	v_pk_fma_f32 v[6:7], v[10:11], v[104:105], v[4:5] op_sel:[0,0,1] op_sel_hi:[1,1,0] neg_lo:[0,0,1] neg_hi:[0,0,1]
	v_pk_fma_f32 v[4:5], v[10:11], v[104:105], v[4:5] op_sel:[0,0,1] op_sel_hi:[1,0,0]
	v_mov_b32_e32 v4, v101
	v_mov_b32_e32 v7, v5
	v_pk_mul_f32 v[4:5], v[12:13], v[4:5] op_sel_hi:[1,0]
	v_pk_add_f32 v[2:3], v[2:3], v[6:7]
	v_pk_fma_f32 v[6:7], v[12:13], v[100:101], v[4:5] op_sel:[0,0,1] op_sel_hi:[1,1,0] neg_lo:[0,0,1] neg_hi:[0,0,1]
	v_pk_fma_f32 v[4:5], v[12:13], v[100:101], v[4:5] op_sel:[0,0,1] op_sel_hi:[1,0,0]
	v_mov_b32_e32 v7, v5
	v_pk_add_f32 v[2:3], v[2:3], v[6:7]
	v_pk_add_f32 v[2:3], v[26:27], v[2:3] neg_lo:[0,1] neg_hi:[0,1]
	buffer_store_dword v3, off, s[0:3], 0 offset:108
	buffer_store_dword v2, off, s[0:3], 0 offset:104
	s_and_saveexec_b64 s[4:5], vcc
	s_cbranch_execz .LBB59_349
; %bb.348:
	buffer_load_dword v2, off, s[0:3], 0 offset:96
	buffer_load_dword v3, off, s[0:3], 0 offset:100
	v_mov_b32_e32 v1, 0
	buffer_store_dword v1, off, s[0:3], 0 offset:96
	buffer_store_dword v1, off, s[0:3], 0 offset:100
	s_waitcnt vmcnt(2)
	ds_write_b64 v195, v[2:3]
.LBB59_349:
	s_or_b64 exec, exec, s[4:5]
	s_waitcnt lgkmcnt(0)
	; wave barrier
	s_waitcnt lgkmcnt(0)
	buffer_load_dword v33, off, s[0:3], 0 offset:108
	buffer_load_dword v32, off, s[0:3], 0 offset:116
	;; [unrolled: 1-line block ×48, first 2 shown]
	v_mov_b32_e32 v1, 0
	ds_read2_b64 v[22:25], v1 offset0:73 offset1:74
	ds_read2_b64 v[18:21], v1 offset0:75 offset1:76
	;; [unrolled: 1-line block ×6, first 2 shown]
	buffer_load_dword v151, off, s[0:3], 0 offset:288
	buffer_load_dword v152, off, s[0:3], 0 offset:292
	;; [unrolled: 1-line block ×12, first 2 shown]
	v_cmp_lt_u32_e32 vcc, 11, v0
	s_waitcnt vmcnt(59) lgkmcnt(5)
	v_mul_f32_e32 v35, v22, v33
	s_waitcnt vmcnt(58)
	v_mul_f32_e32 v36, v24, v32
	s_waitcnt vmcnt(57) lgkmcnt(4)
	v_mul_f32_e32 v38, v20, v31
	s_waitcnt vmcnt(56) lgkmcnt(3)
	v_mul_f32_e32 v39, v14, v30
	s_waitcnt vmcnt(55)
	v_mul_f32_e32 v40, v16, v28
	s_waitcnt vmcnt(54)
	v_mul_f32_e32 v37, v18, v34
	s_waitcnt vmcnt(53) lgkmcnt(2)
	v_mul_f32_e32 v41, v10, v29
	s_waitcnt vmcnt(52)
	v_mul_f32_e32 v42, v12, v92
	s_waitcnt vmcnt(51) lgkmcnt(1)
	v_mul_f32_e32 v43, v6, v94
	s_waitcnt vmcnt(50)
	v_mul_f32_e32 v44, v8, v114
	s_waitcnt vmcnt(49)
	v_fmac_f32_e32 v37, v19, v115
	s_waitcnt vmcnt(48)
	v_fmac_f32_e32 v36, v25, v116
	;; [unrolled: 2-line block ×3, first 2 shown]
	v_add_f32_e32 v35, 0, v35
	v_add_f32_e32 v35, v35, v36
	;; [unrolled: 1-line block ×3, first 2 shown]
	s_waitcnt vmcnt(43)
	v_fmac_f32_e32 v38, v21, v121
	v_fmac_f32_e32 v39, v15, v120
	v_add_f32_e32 v35, v35, v38
	v_fmac_f32_e32 v40, v17, v119
	v_add_f32_e32 v35, v35, v39
	;; [unrolled: 2-line block ×3, first 2 shown]
	s_waitcnt vmcnt(39)
	v_fmac_f32_e32 v42, v13, v125
	v_add_f32_e32 v35, v35, v41
	v_fmac_f32_e32 v43, v7, v124
	v_add_f32_e32 v35, v35, v42
	;; [unrolled: 2-line block ×3, first 2 shown]
	s_waitcnt vmcnt(38) lgkmcnt(0)
	v_mul_f32_e32 v36, v2, v126
	v_add_f32_e32 v35, v35, v44
	v_fmac_f32_e32 v36, v3, v122
	v_add_f32_e32 v35, v35, v36
	ds_read2_b64 v[36:39], v1 offset0:85 offset1:86
	buffer_load_dword v163, off, s[0:3], 0 offset:336
	buffer_load_dword v164, off, s[0:3], 0 offset:340
	;; [unrolled: 1-line block ×4, first 2 shown]
	s_waitcnt vmcnt(35)
	v_mul_f32_e32 v40, v4, v133
	s_waitcnt vmcnt(34)
	v_fmac_f32_e32 v40, v5, v134
	v_add_f32_e32 v35, v35, v40
	ds_read2_b64 v[40:43], v1 offset0:87 offset1:88
	buffer_load_dword v167, off, s[0:3], 0 offset:352
	buffer_load_dword v168, off, s[0:3], 0 offset:356
	;; [unrolled: 1-line block ×10, first 2 shown]
	s_waitcnt lgkmcnt(1)
	v_mul_f32_e32 v44, v36, v128
	v_fmac_f32_e32 v44, v37, v127
	v_add_f32_e32 v35, v35, v44
	v_mul_f32_e32 v44, v38, v130
	v_fmac_f32_e32 v44, v39, v129
	v_add_f32_e32 v35, v35, v44
	s_waitcnt lgkmcnt(0)
	v_mul_f32_e32 v44, v40, v132
	v_fmac_f32_e32 v44, v41, v131
	v_add_f32_e32 v35, v35, v44
	buffer_load_dword v177, off, s[0:3], 0 offset:392
	buffer_load_dword v222, off, s[0:3], 0 offset:396
	;; [unrolled: 1-line block ×6, first 2 shown]
	ds_read2_b64 v[44:47], v1 offset0:89 offset1:90
	s_waitcnt vmcnt(46)
	v_mul_f32_e32 v48, v42, v136
	v_fmac_f32_e32 v48, v43, v135
	v_add_f32_e32 v35, v35, v48
	ds_read2_b64 v[48:51], v1 offset0:91 offset1:92
	s_waitcnt vmcnt(44) lgkmcnt(1)
	v_mul_f32_e32 v52, v44, v138
	v_fmac_f32_e32 v52, v45, v137
	v_add_f32_e32 v35, v35, v52
	s_waitcnt vmcnt(42)
	v_mul_f32_e32 v52, v46, v140
	v_fmac_f32_e32 v52, v47, v139
	v_add_f32_e32 v35, v35, v52
	s_waitcnt vmcnt(40) lgkmcnt(0)
	v_mul_f32_e32 v52, v48, v142
	v_fmac_f32_e32 v52, v49, v141
	v_add_f32_e32 v35, v35, v52
	ds_read2_b64 v[52:55], v1 offset0:93 offset1:94
	s_waitcnt vmcnt(38)
	v_mul_f32_e32 v56, v50, v144
	v_fmac_f32_e32 v56, v51, v143
	v_add_f32_e32 v35, v35, v56
	ds_read2_b64 v[56:59], v1 offset0:95 offset1:96
	s_waitcnt vmcnt(36) lgkmcnt(1)
	v_mul_f32_e32 v60, v52, v146
	v_fmac_f32_e32 v60, v53, v145
	v_add_f32_e32 v35, v35, v60
	s_waitcnt vmcnt(34)
	v_mul_f32_e32 v60, v54, v148
	v_fmac_f32_e32 v60, v55, v147
	v_add_f32_e32 v35, v35, v60
	s_waitcnt vmcnt(32) lgkmcnt(0)
	v_mul_f32_e32 v60, v56, v150
	v_fmac_f32_e32 v60, v57, v149
	v_add_f32_e32 v35, v35, v60
	;; [unrolled: 18-line block ×3, first 2 shown]
	ds_read2_b64 v[68:71], v1 offset0:101 offset1:102
	s_waitcnt vmcnt(22)
	v_mul_f32_e32 v72, v66, v160
	v_fmac_f32_e32 v72, v67, v159
	v_add_f32_e32 v35, v35, v72
	ds_read2_b64 v[72:75], v1 offset0:103 offset1:104
	s_waitcnt vmcnt(20) lgkmcnt(1)
	v_mul_f32_e32 v76, v68, v162
	v_fmac_f32_e32 v76, v69, v161
	v_add_f32_e32 v35, v35, v76
	v_mul_f32_e32 v23, v23, v33
	v_fma_f32 v22, v22, v117, -v23
	v_mul_f32_e32 v23, v25, v32
	v_add_f32_e32 v22, 0, v22
	v_fma_f32 v23, v24, v116, -v23
	v_mul_f32_e32 v19, v19, v34
	v_add_f32_e32 v22, v22, v23
	v_fma_f32 v18, v18, v115, -v19
	v_mul_f32_e32 v19, v21, v31
	s_waitcnt vmcnt(18)
	v_mul_f32_e32 v76, v70, v164
	v_fmac_f32_e32 v76, v71, v163
	v_add_f32_e32 v35, v35, v76
	s_waitcnt vmcnt(16) lgkmcnt(0)
	v_mul_f32_e32 v76, v72, v166
	v_fmac_f32_e32 v76, v73, v165
	v_add_f32_e32 v35, v35, v76
	ds_read2_b64 v[76:79], v1 offset0:105 offset1:106
	s_waitcnt vmcnt(14)
	v_mul_f32_e32 v80, v74, v168
	v_fmac_f32_e32 v80, v75, v167
	v_add_f32_e32 v35, v35, v80
	ds_read2_b64 v[80:83], v1 offset0:107 offset1:108
	s_waitcnt vmcnt(12) lgkmcnt(1)
	v_mul_f32_e32 v84, v76, v170
	v_fmac_f32_e32 v84, v77, v169
	v_add_f32_e32 v35, v35, v84
	s_waitcnt vmcnt(10)
	v_mul_f32_e32 v84, v78, v172
	v_fmac_f32_e32 v84, v79, v171
	v_add_f32_e32 v35, v35, v84
	s_waitcnt vmcnt(8) lgkmcnt(0)
	v_mul_f32_e32 v84, v80, v174
	v_fmac_f32_e32 v84, v81, v173
	s_waitcnt vmcnt(6)
	v_mul_f32_e32 v88, v82, v176
	v_add_f32_e32 v35, v35, v84
	v_fmac_f32_e32 v88, v83, v175
	ds_read2_b64 v[84:87], v1 offset0:109 offset1:110
	v_add_f32_e32 v35, v35, v88
	ds_read2_b64 v[88:91], v1 offset0:111 offset1:112
	buffer_load_dword v97, off, s[0:3], 0 offset:444
	buffer_load_dword v96, off, s[0:3], 0 offset:440
	buffer_load_dword v99, off, s[0:3], 0 offset:436
	buffer_load_dword v98, off, s[0:3], 0 offset:432
	buffer_load_dword v101, off, s[0:3], 0 offset:428
	buffer_load_dword v100, off, s[0:3], 0 offset:424
	buffer_load_dword v105, off, s[0:3], 0 offset:420
	buffer_load_dword v104, off, s[0:3], 0 offset:416
	buffer_load_dword v107, off, s[0:3], 0 offset:476
	buffer_load_dword v106, off, s[0:3], 0 offset:472
	buffer_load_dword v109, off, s[0:3], 0 offset:468
	buffer_load_dword v108, off, s[0:3], 0 offset:464
	buffer_load_dword v111, off, s[0:3], 0 offset:460
	buffer_load_dword v110, off, s[0:3], 0 offset:456
	buffer_load_dword v113, off, s[0:3], 0 offset:452
	buffer_load_dword v112, off, s[0:3], 0 offset:448
	v_add_f32_e32 v18, v22, v18
	v_fma_f32 v19, v20, v121, -v19
	v_mul_f32_e32 v15, v15, v30
	v_add_f32_e32 v18, v18, v19
	v_fma_f32 v14, v14, v120, -v15
	v_mul_f32_e32 v15, v17, v28
	v_add_f32_e32 v14, v18, v14
	v_fma_f32 v15, v16, v119, -v15
	v_mul_f32_e32 v11, v11, v29
	v_add_f32_e32 v14, v14, v15
	v_fma_f32 v10, v10, v118, -v11
	v_mul_f32_e32 v11, v13, v92
	v_add_f32_e32 v10, v14, v10
	v_fma_f32 v11, v12, v125, -v11
	v_mul_f32_e32 v7, v7, v94
	v_add_f32_e32 v10, v10, v11
	v_fma_f32 v6, v6, v124, -v7
	v_mul_f32_e32 v7, v9, v114
	v_add_f32_e32 v6, v10, v6
	v_fma_f32 v7, v8, v123, -v7
	v_mul_f32_e32 v3, v3, v126
	v_add_f32_e32 v6, v6, v7
	v_fma_f32 v2, v2, v122, -v3
	v_mul_f32_e32 v3, v5, v133
	v_add_f32_e32 v2, v6, v2
	v_fma_f32 v3, v4, v134, -v3
	v_add_f32_e32 v2, v2, v3
	v_mul_f32_e32 v3, v37, v128
	v_fma_f32 v3, v36, v127, -v3
	v_add_f32_e32 v2, v2, v3
	v_mul_f32_e32 v3, v39, v130
	v_fma_f32 v3, v38, v129, -v3
	v_add_f32_e32 v2, v2, v3
	v_mul_f32_e32 v3, v41, v132
	v_fma_f32 v3, v40, v131, -v3
	v_add_f32_e32 v2, v2, v3
	v_mul_f32_e32 v3, v43, v136
	v_fma_f32 v3, v42, v135, -v3
	v_add_f32_e32 v2, v2, v3
	v_mul_f32_e32 v3, v45, v138
	v_fma_f32 v3, v44, v137, -v3
	v_add_f32_e32 v2, v2, v3
	v_mul_f32_e32 v3, v47, v140
	v_fma_f32 v3, v46, v139, -v3
	v_add_f32_e32 v2, v2, v3
	v_mul_f32_e32 v3, v49, v142
	v_fma_f32 v3, v48, v141, -v3
	v_add_f32_e32 v2, v2, v3
	v_mul_f32_e32 v3, v51, v144
	v_fma_f32 v3, v50, v143, -v3
	v_add_f32_e32 v2, v2, v3
	v_mul_f32_e32 v3, v53, v146
	v_fma_f32 v3, v52, v145, -v3
	v_add_f32_e32 v2, v2, v3
	v_mul_f32_e32 v3, v55, v148
	v_fma_f32 v3, v54, v147, -v3
	v_add_f32_e32 v2, v2, v3
	v_mul_f32_e32 v3, v57, v150
	v_fma_f32 v3, v56, v149, -v3
	v_add_f32_e32 v2, v2, v3
	v_mul_f32_e32 v3, v59, v152
	v_fma_f32 v3, v58, v151, -v3
	v_add_f32_e32 v2, v2, v3
	v_mul_f32_e32 v3, v61, v154
	v_fma_f32 v3, v60, v153, -v3
	v_add_f32_e32 v2, v2, v3
	v_mul_f32_e32 v3, v63, v156
	v_fma_f32 v3, v62, v155, -v3
	v_add_f32_e32 v2, v2, v3
	v_mul_f32_e32 v3, v65, v158
	v_fma_f32 v3, v64, v157, -v3
	v_add_f32_e32 v2, v2, v3
	v_mul_f32_e32 v3, v67, v160
	v_fma_f32 v3, v66, v159, -v3
	v_add_f32_e32 v2, v2, v3
	v_mul_f32_e32 v3, v69, v162
	v_fma_f32 v3, v68, v161, -v3
	v_add_f32_e32 v2, v2, v3
	v_mul_f32_e32 v3, v71, v164
	v_fma_f32 v3, v70, v163, -v3
	v_add_f32_e32 v2, v2, v3
	v_mul_f32_e32 v3, v73, v166
	v_fma_f32 v3, v72, v165, -v3
	v_add_f32_e32 v2, v2, v3
	v_mul_f32_e32 v3, v75, v168
	v_fma_f32 v3, v74, v167, -v3
	v_add_f32_e32 v2, v2, v3
	v_mul_f32_e32 v3, v77, v170
	v_fma_f32 v3, v76, v169, -v3
	v_add_f32_e32 v2, v2, v3
	v_mul_f32_e32 v3, v79, v172
	v_fma_f32 v3, v78, v171, -v3
	v_add_f32_e32 v2, v2, v3
	v_mul_f32_e32 v3, v81, v174
	v_fma_f32 v3, v80, v173, -v3
	v_add_f32_e32 v2, v2, v3
	v_mul_f32_e32 v3, v83, v176
	v_fma_f32 v3, v82, v175, -v3
	v_add_f32_e32 v2, v2, v3
	s_waitcnt vmcnt(20) lgkmcnt(1)
	v_mul_f32_e32 v3, v85, v222
	v_mul_f32_e32 v93, v84, v222
	v_fma_f32 v3, v84, v177, -v3
	v_fmac_f32_e32 v93, v85, v177
	v_add_f32_e32 v34, v2, v3
	s_waitcnt vmcnt(18)
	v_mul_f32_e32 v2, v87, v224
	s_waitcnt vmcnt(9)
	v_mov_b32_e32 v18, v105
	v_add_f32_e32 v35, v35, v93
	v_mul_f32_e32 v93, v86, v224
	v_fma_f32 v92, v86, v223, -v2
	s_waitcnt lgkmcnt(0)
	v_mul_f32_e32 v2, v89, v226
	v_pk_mul_f32 v[18:19], v[90:91], v[18:19] op_sel_hi:[1,0]
	v_fmac_f32_e32 v93, v87, v223
	v_mul_f32_e32 v95, v88, v226
	v_fma_f32 v94, v88, v225, -v2
	ds_read2_b64 v[2:5], v1 offset0:113 offset1:114
	ds_read2_b64 v[6:9], v1 offset0:115 offset1:116
	;; [unrolled: 1-line block ×3, first 2 shown]
	ds_read_b64 v[14:15], v1 offset:952
	s_waitcnt vmcnt(8)
	v_pk_fma_f32 v[20:21], v[90:91], v[104:105], v[18:19] op_sel:[0,0,1] op_sel_hi:[1,1,0] neg_lo:[0,0,1] neg_hi:[0,0,1]
	v_pk_fma_f32 v[18:19], v[90:91], v[104:105], v[18:19] op_sel:[0,0,1] op_sel_hi:[1,0,0]
	v_fmac_f32_e32 v95, v89, v225
	v_pk_add_f32 v[16:17], v[34:35], v[92:93]
	v_mov_b32_e32 v18, v101
	v_pk_add_f32 v[16:17], v[16:17], v[94:95]
	v_mov_b32_e32 v21, v19
	s_waitcnt lgkmcnt(3)
	v_pk_mul_f32 v[18:19], v[2:3], v[18:19] op_sel_hi:[1,0]
	v_pk_add_f32 v[16:17], v[16:17], v[20:21]
	v_pk_fma_f32 v[20:21], v[2:3], v[100:101], v[18:19] op_sel:[0,0,1] op_sel_hi:[1,1,0] neg_lo:[0,0,1] neg_hi:[0,0,1]
	v_pk_fma_f32 v[2:3], v[2:3], v[100:101], v[18:19] op_sel:[0,0,1] op_sel_hi:[1,0,0]
	v_mov_b32_e32 v21, v3
	v_pk_add_f32 v[2:3], v[16:17], v[20:21]
	v_mov_b32_e32 v16, v99
	v_pk_mul_f32 v[16:17], v[4:5], v[16:17] op_sel_hi:[1,0]
	v_pk_fma_f32 v[18:19], v[4:5], v[98:99], v[16:17] op_sel:[0,0,1] op_sel_hi:[1,1,0] neg_lo:[0,0,1] neg_hi:[0,0,1]
	v_pk_fma_f32 v[4:5], v[4:5], v[98:99], v[16:17] op_sel:[0,0,1] op_sel_hi:[1,0,0]
	v_mov_b32_e32 v4, v97
	v_mov_b32_e32 v19, v5
	s_waitcnt lgkmcnt(2)
	v_pk_mul_f32 v[4:5], v[6:7], v[4:5] op_sel_hi:[1,0]
	v_pk_fma_f32 v[16:17], v[6:7], v[96:97], v[4:5] op_sel:[0,0,1] op_sel_hi:[1,1,0] neg_lo:[0,0,1] neg_hi:[0,0,1]
	v_pk_fma_f32 v[4:5], v[6:7], v[96:97], v[4:5] op_sel:[0,0,1] op_sel_hi:[1,0,0]
	s_waitcnt vmcnt(1)
	v_mov_b32_e32 v4, v113
	v_mov_b32_e32 v17, v5
	v_pk_mul_f32 v[4:5], v[8:9], v[4:5] op_sel_hi:[1,0]
	s_waitcnt vmcnt(0)
	v_pk_fma_f32 v[6:7], v[8:9], v[112:113], v[4:5] op_sel:[0,0,1] op_sel_hi:[1,1,0] neg_lo:[0,0,1] neg_hi:[0,0,1]
	v_pk_fma_f32 v[4:5], v[8:9], v[112:113], v[4:5] op_sel:[0,0,1] op_sel_hi:[1,0,0]
	v_pk_add_f32 v[2:3], v[2:3], v[18:19]
	v_mov_b32_e32 v4, v111
	v_pk_add_f32 v[2:3], v[2:3], v[16:17]
	v_mov_b32_e32 v7, v5
	s_waitcnt lgkmcnt(1)
	v_pk_mul_f32 v[4:5], v[10:11], v[4:5] op_sel_hi:[1,0]
	v_pk_add_f32 v[2:3], v[2:3], v[6:7]
	v_pk_fma_f32 v[6:7], v[10:11], v[110:111], v[4:5] op_sel:[0,0,1] op_sel_hi:[1,1,0] neg_lo:[0,0,1] neg_hi:[0,0,1]
	v_pk_fma_f32 v[4:5], v[10:11], v[110:111], v[4:5] op_sel:[0,0,1] op_sel_hi:[1,0,0]
	v_mov_b32_e32 v4, v109
	v_mov_b32_e32 v7, v5
	v_pk_mul_f32 v[4:5], v[12:13], v[4:5] op_sel_hi:[1,0]
	v_pk_add_f32 v[2:3], v[2:3], v[6:7]
	v_pk_fma_f32 v[6:7], v[12:13], v[108:109], v[4:5] op_sel:[0,0,1] op_sel_hi:[1,1,0] neg_lo:[0,0,1] neg_hi:[0,0,1]
	v_pk_fma_f32 v[4:5], v[12:13], v[108:109], v[4:5] op_sel:[0,0,1] op_sel_hi:[1,0,0]
	v_mov_b32_e32 v4, v107
	v_mov_b32_e32 v7, v5
	s_waitcnt lgkmcnt(0)
	v_pk_mul_f32 v[4:5], v[14:15], v[4:5] op_sel_hi:[1,0]
	v_pk_add_f32 v[2:3], v[2:3], v[6:7]
	v_pk_fma_f32 v[6:7], v[14:15], v[106:107], v[4:5] op_sel:[0,0,1] op_sel_hi:[1,1,0] neg_lo:[0,0,1] neg_hi:[0,0,1]
	v_pk_fma_f32 v[4:5], v[14:15], v[106:107], v[4:5] op_sel:[0,0,1] op_sel_hi:[1,0,0]
	v_mov_b32_e32 v7, v5
	v_pk_add_f32 v[2:3], v[2:3], v[6:7]
	v_pk_add_f32 v[2:3], v[26:27], v[2:3] neg_lo:[0,1] neg_hi:[0,1]
	buffer_store_dword v3, off, s[0:3], 0 offset:100
	buffer_store_dword v2, off, s[0:3], 0 offset:96
	s_and_saveexec_b64 s[4:5], vcc
	s_cbranch_execz .LBB59_351
; %bb.350:
	buffer_load_dword v2, off, s[0:3], 0 offset:88
	buffer_load_dword v3, off, s[0:3], 0 offset:92
	s_waitcnt vmcnt(0)
	ds_write_b64 v195, v[2:3]
	buffer_store_dword v1, off, s[0:3], 0 offset:88
	buffer_store_dword v1, off, s[0:3], 0 offset:92
.LBB59_351:
	s_or_b64 exec, exec, s[4:5]
	s_waitcnt lgkmcnt(0)
	; wave barrier
	s_waitcnt lgkmcnt(0)
	buffer_load_dword v41, off, s[0:3], 0 offset:100
	buffer_load_dword v40, off, s[0:3], 0 offset:108
	;; [unrolled: 1-line block ×32, first 2 shown]
	ds_read_b128 v[22:25], v1 offset:576
	ds_read_b128 v[18:21], v1 offset:592
	;; [unrolled: 1-line block ×6, first 2 shown]
	buffer_load_dword v135, off, s[0:3], 0 offset:216
	buffer_load_dword v136, off, s[0:3], 0 offset:220
	;; [unrolled: 1-line block ×26, first 2 shown]
	v_cmp_lt_u32_e32 vcc, 10, v0
	s_waitcnt vmcnt(57) lgkmcnt(5)
	v_mul_f32_e32 v26, v22, v41
	s_waitcnt vmcnt(56)
	v_mul_f32_e32 v27, v24, v40
	s_waitcnt vmcnt(55) lgkmcnt(4)
	v_mul_f32_e32 v29, v20, v39
	s_waitcnt vmcnt(54) lgkmcnt(3)
	v_mul_f32_e32 v30, v14, v38
	s_waitcnt vmcnt(53)
	v_mul_f32_e32 v31, v16, v36
	s_waitcnt vmcnt(52)
	v_mul_f32_e32 v28, v18, v42
	s_waitcnt vmcnt(51) lgkmcnt(2)
	v_mul_f32_e32 v32, v10, v37
	s_waitcnt vmcnt(50)
	v_mul_f32_e32 v33, v12, v43
	s_waitcnt vmcnt(49) lgkmcnt(1)
	v_mul_f32_e32 v44, v6, v92
	s_waitcnt vmcnt(48)
	v_mul_f32_e32 v45, v8, v94
	s_waitcnt vmcnt(47) lgkmcnt(0)
	v_mul_f32_e32 v46, v2, v104
	s_waitcnt vmcnt(46)
	v_fmac_f32_e32 v28, v19, v116
	s_waitcnt vmcnt(45)
	v_fmac_f32_e32 v27, v25, v117
	;; [unrolled: 2-line block ×3, first 2 shown]
	v_add_f32_e32 v26, 0, v26
	v_add_f32_e32 v26, v26, v27
	;; [unrolled: 1-line block ×3, first 2 shown]
	s_waitcnt vmcnt(40)
	v_fmac_f32_e32 v29, v21, v122
	v_fmac_f32_e32 v30, v15, v121
	v_add_f32_e32 v26, v26, v29
	v_fmac_f32_e32 v31, v17, v120
	v_add_f32_e32 v26, v26, v30
	;; [unrolled: 2-line block ×3, first 2 shown]
	s_waitcnt vmcnt(36)
	v_fmac_f32_e32 v33, v13, v126
	v_add_f32_e32 v26, v26, v32
	v_fmac_f32_e32 v44, v7, v125
	v_add_f32_e32 v26, v26, v33
	;; [unrolled: 2-line block ×4, first 2 shown]
	s_waitcnt vmcnt(30)
	v_mul_f32_e32 v27, v4, v132
	v_add_f32_e32 v26, v26, v46
	s_waitcnt vmcnt(29)
	v_fmac_f32_e32 v27, v5, v133
	v_add_f32_e32 v44, v26, v27
	ds_read_b128 v[26:29], v1 offset:672
	buffer_load_dword v161, off, s[0:3], 0 offset:320
	buffer_load_dword v162, off, s[0:3], 0 offset:324
	ds_read_b128 v[30:33], v1 offset:688
	buffer_load_dword v163, off, s[0:3], 0 offset:328
	buffer_load_dword v164, off, s[0:3], 0 offset:332
	;; [unrolled: 1-line block ×14, first 2 shown]
	s_waitcnt vmcnt(44) lgkmcnt(1)
	v_mul_f32_e32 v45, v26, v134
	v_fmac_f32_e32 v45, v27, v131
	v_add_f32_e32 v44, v44, v45
	v_mul_f32_e32 v45, v28, v128
	v_fmac_f32_e32 v45, v29, v127
	v_add_f32_e32 v44, v44, v45
	s_waitcnt lgkmcnt(0)
	v_mul_f32_e32 v45, v30, v130
	v_fmac_f32_e32 v45, v31, v129
	v_add_f32_e32 v48, v44, v45
	buffer_load_dword v177, off, s[0:3], 0 offset:384
	buffer_load_dword v222, off, s[0:3], 0 offset:388
	ds_read_b128 v[44:47], v1 offset:704
	s_waitcnt vmcnt(42)
	v_mul_f32_e32 v49, v32, v136
	v_fmac_f32_e32 v49, v33, v135
	buffer_load_dword v223, off, s[0:3], 0 offset:392
	buffer_load_dword v224, off, s[0:3], 0 offset:396
	v_add_f32_e32 v52, v48, v49
	buffer_load_dword v225, off, s[0:3], 0 offset:400
	buffer_load_dword v226, off, s[0:3], 0 offset:404
	ds_read_b128 v[48:51], v1 offset:720
	s_waitcnt vmcnt(44) lgkmcnt(1)
	v_mul_f32_e32 v53, v44, v138
	v_fmac_f32_e32 v53, v45, v137
	v_add_f32_e32 v52, v52, v53
	s_waitcnt vmcnt(42)
	v_mul_f32_e32 v53, v46, v140
	v_fmac_f32_e32 v53, v47, v139
	v_add_f32_e32 v52, v52, v53
	s_waitcnt vmcnt(40) lgkmcnt(0)
	v_mul_f32_e32 v53, v48, v142
	v_fmac_f32_e32 v53, v49, v141
	buffer_load_dword v227, off, s[0:3], 0 offset:408
	buffer_load_dword v228, off, s[0:3], 0 offset:412
	v_add_f32_e32 v56, v52, v53
	ds_read_b128 v[52:55], v1 offset:736
	s_waitcnt vmcnt(40)
	v_mul_f32_e32 v57, v50, v144
	v_fmac_f32_e32 v57, v51, v143
	v_add_f32_e32 v60, v56, v57
	ds_read_b128 v[56:59], v1 offset:752
	s_waitcnt vmcnt(38) lgkmcnt(1)
	v_mul_f32_e32 v61, v52, v146
	v_fmac_f32_e32 v61, v53, v145
	v_add_f32_e32 v60, v60, v61
	s_waitcnt vmcnt(36)
	v_mul_f32_e32 v61, v54, v148
	v_fmac_f32_e32 v61, v55, v147
	v_add_f32_e32 v60, v60, v61
	s_waitcnt vmcnt(34) lgkmcnt(0)
	v_mul_f32_e32 v61, v56, v150
	v_fmac_f32_e32 v61, v57, v149
	v_add_f32_e32 v64, v60, v61
	ds_read_b128 v[60:63], v1 offset:768
	s_waitcnt vmcnt(32)
	v_mul_f32_e32 v65, v58, v152
	v_fmac_f32_e32 v65, v59, v151
	v_add_f32_e32 v68, v64, v65
	ds_read_b128 v[64:67], v1 offset:784
	s_waitcnt vmcnt(30) lgkmcnt(1)
	v_mul_f32_e32 v69, v60, v154
	v_fmac_f32_e32 v69, v61, v153
	v_add_f32_e32 v68, v68, v69
	s_waitcnt vmcnt(28)
	v_mul_f32_e32 v69, v62, v156
	v_fmac_f32_e32 v69, v63, v155
	v_add_f32_e32 v68, v68, v69
	s_waitcnt vmcnt(26) lgkmcnt(0)
	v_mul_f32_e32 v69, v64, v158
	v_fmac_f32_e32 v69, v65, v157
	v_add_f32_e32 v72, v68, v69
	ds_read_b128 v[68:71], v1 offset:800
	s_waitcnt vmcnt(24)
	v_mul_f32_e32 v73, v66, v160
	v_fmac_f32_e32 v73, v67, v159
	v_add_f32_e32 v76, v72, v73
	ds_read_b128 v[72:75], v1 offset:816
	v_mul_f32_e32 v23, v23, v41
	v_fma_f32 v22, v22, v118, -v23
	v_mul_f32_e32 v23, v25, v40
	v_add_f32_e32 v22, 0, v22
	v_fma_f32 v23, v24, v117, -v23
	v_mul_f32_e32 v19, v19, v42
	v_add_f32_e32 v22, v22, v23
	;; [unrolled: 3-line block ×3, first 2 shown]
	v_fma_f32 v19, v20, v122, -v19
	s_waitcnt vmcnt(22) lgkmcnt(1)
	v_mul_f32_e32 v77, v68, v162
	v_fmac_f32_e32 v77, v69, v161
	v_add_f32_e32 v76, v76, v77
	s_waitcnt vmcnt(20)
	v_mul_f32_e32 v77, v70, v164
	v_fmac_f32_e32 v77, v71, v163
	v_add_f32_e32 v76, v76, v77
	s_waitcnt vmcnt(18) lgkmcnt(0)
	v_mul_f32_e32 v77, v72, v166
	v_fmac_f32_e32 v77, v73, v165
	v_add_f32_e32 v80, v76, v77
	ds_read_b128 v[76:79], v1 offset:832
	s_waitcnt vmcnt(16)
	v_mul_f32_e32 v81, v74, v168
	v_fmac_f32_e32 v81, v75, v167
	v_add_f32_e32 v84, v80, v81
	ds_read_b128 v[80:83], v1 offset:848
	s_waitcnt vmcnt(14) lgkmcnt(1)
	v_mul_f32_e32 v85, v76, v170
	v_fmac_f32_e32 v85, v77, v169
	v_add_f32_e32 v84, v84, v85
	s_waitcnt vmcnt(12)
	v_mul_f32_e32 v85, v78, v172
	v_fmac_f32_e32 v85, v79, v171
	v_add_f32_e32 v84, v84, v85
	s_waitcnt vmcnt(10) lgkmcnt(0)
	v_mul_f32_e32 v85, v80, v174
	v_fmac_f32_e32 v85, v81, v173
	s_waitcnt vmcnt(8)
	v_mul_f32_e32 v89, v82, v176
	v_add_f32_e32 v88, v84, v85
	v_fmac_f32_e32 v89, v83, v175
	ds_read_b128 v[84:87], v1 offset:864
	v_add_f32_e32 v93, v88, v89
	ds_read_b128 v[88:91], v1 offset:880
	buffer_load_dword v97, off, s[0:3], 0 offset:436
	buffer_load_dword v96, off, s[0:3], 0 offset:432
	;; [unrolled: 1-line block ×16, first 2 shown]
	v_mul_f32_e32 v15, v15, v38
	v_add_f32_e32 v18, v18, v19
	v_fma_f32 v14, v14, v121, -v15
	v_mul_f32_e32 v15, v17, v36
	v_add_f32_e32 v14, v18, v14
	v_fma_f32 v15, v16, v120, -v15
	;; [unrolled: 3-line block ×8, first 2 shown]
	v_add_f32_e32 v2, v2, v3
	v_mul_f32_e32 v3, v27, v134
	v_fma_f32 v3, v26, v131, -v3
	v_add_f32_e32 v2, v2, v3
	v_mul_f32_e32 v3, v29, v128
	v_fma_f32 v3, v28, v127, -v3
	;; [unrolled: 3-line block ×24, first 2 shown]
	v_add_f32_e32 v2, v2, v3
	s_waitcnt vmcnt(22) lgkmcnt(1)
	v_mul_f32_e32 v3, v85, v222
	v_fma_f32 v3, v84, v177, -v3
	v_add_f32_e32 v2, v2, v3
	s_waitcnt vmcnt(20)
	v_mul_f32_e32 v3, v87, v224
	v_mul_f32_e32 v95, v84, v222
	v_fma_f32 v3, v86, v223, -v3
	v_fmac_f32_e32 v95, v85, v177
	v_add_f32_e32 v92, v2, v3
	s_waitcnt vmcnt(18) lgkmcnt(0)
	v_mul_f32_e32 v2, v89, v226
	v_add_f32_e32 v93, v93, v95
	v_mul_f32_e32 v95, v86, v224
	v_fma_f32 v94, v88, v225, -v2
	s_waitcnt vmcnt(16)
	v_mul_f32_e32 v2, v91, v228
	v_fmac_f32_e32 v95, v87, v223
	v_fma_f32 v104, v90, v227, -v2
	ds_read_b128 v[2:5], v1 offset:896
	ds_read_b128 v[6:9], v1 offset:912
	;; [unrolled: 1-line block ×4, first 2 shown]
	v_add_f32_e32 v93, v93, v95
	v_mul_f32_e32 v95, v88, v226
	s_waitcnt vmcnt(11)
	v_mov_b32_e32 v20, v101
	v_fmac_f32_e32 v95, v89, v225
	v_mul_f32_e32 v105, v90, v228
	s_waitcnt lgkmcnt(3)
	v_pk_mul_f32 v[20:21], v[2:3], v[20:21] op_sel_hi:[1,0]
	v_fmac_f32_e32 v105, v91, v227
	v_pk_add_f32 v[18:19], v[92:93], v[94:95]
	s_waitcnt vmcnt(10)
	v_pk_fma_f32 v[22:23], v[2:3], v[100:101], v[20:21] op_sel:[0,0,1] op_sel_hi:[1,1,0] neg_lo:[0,0,1] neg_hi:[0,0,1]
	v_pk_fma_f32 v[2:3], v[2:3], v[100:101], v[20:21] op_sel:[0,0,1] op_sel_hi:[1,0,0]
	v_pk_add_f32 v[18:19], v[18:19], v[104:105]
	v_mov_b32_e32 v23, v3
	v_pk_add_f32 v[2:3], v[18:19], v[22:23]
	v_mov_b32_e32 v18, v99
	v_pk_mul_f32 v[18:19], v[4:5], v[18:19] op_sel_hi:[1,0]
	v_pk_fma_f32 v[20:21], v[4:5], v[98:99], v[18:19] op_sel:[0,0,1] op_sel_hi:[1,1,0] neg_lo:[0,0,1] neg_hi:[0,0,1]
	v_pk_fma_f32 v[4:5], v[4:5], v[98:99], v[18:19] op_sel:[0,0,1] op_sel_hi:[1,0,0]
	v_mov_b32_e32 v4, v97
	v_mov_b32_e32 v21, v5
	s_waitcnt lgkmcnt(2)
	v_pk_mul_f32 v[4:5], v[6:7], v[4:5] op_sel_hi:[1,0]
	v_pk_fma_f32 v[18:19], v[6:7], v[96:97], v[4:5] op_sel:[0,0,1] op_sel_hi:[1,1,0] neg_lo:[0,0,1] neg_hi:[0,0,1]
	v_pk_fma_f32 v[4:5], v[6:7], v[96:97], v[4:5] op_sel:[0,0,1] op_sel_hi:[1,0,0]
	s_waitcnt vmcnt(3)
	v_mov_b32_e32 v4, v113
	v_mov_b32_e32 v19, v5
	v_pk_mul_f32 v[4:5], v[8:9], v[4:5] op_sel_hi:[1,0]
	s_waitcnt vmcnt(2)
	v_pk_fma_f32 v[6:7], v[8:9], v[112:113], v[4:5] op_sel:[0,0,1] op_sel_hi:[1,1,0] neg_lo:[0,0,1] neg_hi:[0,0,1]
	v_pk_fma_f32 v[4:5], v[8:9], v[112:113], v[4:5] op_sel:[0,0,1] op_sel_hi:[1,0,0]
	v_pk_add_f32 v[2:3], v[2:3], v[20:21]
	v_mov_b32_e32 v4, v111
	v_pk_add_f32 v[2:3], v[2:3], v[18:19]
	v_mov_b32_e32 v7, v5
	s_waitcnt lgkmcnt(1)
	v_pk_mul_f32 v[4:5], v[10:11], v[4:5] op_sel_hi:[1,0]
	v_pk_add_f32 v[2:3], v[2:3], v[6:7]
	v_pk_fma_f32 v[6:7], v[10:11], v[110:111], v[4:5] op_sel:[0,0,1] op_sel_hi:[1,1,0] neg_lo:[0,0,1] neg_hi:[0,0,1]
	v_pk_fma_f32 v[4:5], v[10:11], v[110:111], v[4:5] op_sel:[0,0,1] op_sel_hi:[1,0,0]
	v_mov_b32_e32 v4, v109
	v_mov_b32_e32 v7, v5
	v_pk_mul_f32 v[4:5], v[12:13], v[4:5] op_sel_hi:[1,0]
	v_pk_add_f32 v[2:3], v[2:3], v[6:7]
	v_pk_fma_f32 v[6:7], v[12:13], v[108:109], v[4:5] op_sel:[0,0,1] op_sel_hi:[1,1,0] neg_lo:[0,0,1] neg_hi:[0,0,1]
	v_pk_fma_f32 v[4:5], v[12:13], v[108:109], v[4:5] op_sel:[0,0,1] op_sel_hi:[1,0,0]
	v_mov_b32_e32 v4, v107
	v_mov_b32_e32 v7, v5
	s_waitcnt lgkmcnt(0)
	v_pk_mul_f32 v[4:5], v[14:15], v[4:5] op_sel_hi:[1,0]
	v_pk_add_f32 v[2:3], v[2:3], v[6:7]
	v_pk_fma_f32 v[6:7], v[14:15], v[106:107], v[4:5] op_sel:[0,0,1] op_sel_hi:[1,1,0] neg_lo:[0,0,1] neg_hi:[0,0,1]
	v_pk_fma_f32 v[4:5], v[14:15], v[106:107], v[4:5] op_sel:[0,0,1] op_sel_hi:[1,0,0]
	s_waitcnt vmcnt(1)
	v_mov_b32_e32 v4, v115
	v_mov_b32_e32 v7, v5
	v_pk_mul_f32 v[4:5], v[16:17], v[4:5] op_sel_hi:[1,0]
	v_pk_add_f32 v[2:3], v[2:3], v[6:7]
	s_waitcnt vmcnt(0)
	v_pk_fma_f32 v[6:7], v[16:17], v[114:115], v[4:5] op_sel:[0,0,1] op_sel_hi:[1,1,0] neg_lo:[0,0,1] neg_hi:[0,0,1]
	v_pk_fma_f32 v[4:5], v[16:17], v[114:115], v[4:5] op_sel:[0,0,1] op_sel_hi:[1,0,0]
	v_mov_b32_e32 v7, v5
	v_pk_add_f32 v[2:3], v[2:3], v[6:7]
	v_pk_add_f32 v[2:3], v[34:35], v[2:3] neg_lo:[0,1] neg_hi:[0,1]
	buffer_store_dword v3, off, s[0:3], 0 offset:92
	buffer_store_dword v2, off, s[0:3], 0 offset:88
	s_and_saveexec_b64 s[4:5], vcc
	s_cbranch_execz .LBB59_353
; %bb.352:
	buffer_load_dword v2, off, s[0:3], 0 offset:80
	buffer_load_dword v3, off, s[0:3], 0 offset:84
	v_mov_b32_e32 v1, 0
	buffer_store_dword v1, off, s[0:3], 0 offset:80
	buffer_store_dword v1, off, s[0:3], 0 offset:84
	s_waitcnt vmcnt(2)
	ds_write_b64 v195, v[2:3]
.LBB59_353:
	s_or_b64 exec, exec, s[4:5]
	v_mov_b32_e32 v230, 0
	s_waitcnt lgkmcnt(0)
	; wave barrier
	s_waitcnt lgkmcnt(0)
	ds_read2_b64 v[2:5], v230 offset0:71 offset1:72
	buffer_load_dword v86, off, s[0:3], 0 offset:80
	buffer_load_dword v87, off, s[0:3], 0 offset:84
	;; [unrolled: 1-line block ×16, first 2 shown]
	v_cmp_lt_u32_e32 vcc, 9, v0
	s_waitcnt vmcnt(12) lgkmcnt(0)
	v_mul_f32_e32 v6, v2, v94
	v_fmac_f32_e32 v6, v3, v1
	s_waitcnt vmcnt(10)
	v_mul_f32_e32 v7, v4, v105
	v_add_f32_e32 v6, 0, v6
	v_fmac_f32_e32 v7, v5, v88
	v_add_f32_e32 v10, v6, v7
	ds_read2_b64 v[6:9], v230 offset0:73 offset1:74
	v_mul_f32_e32 v3, v3, v94
	v_fma_f32 v1, v2, v1, -v3
	v_mul_f32_e32 v2, v5, v105
	v_add_f32_e32 v1, 0, v1
	s_waitcnt vmcnt(8) lgkmcnt(0)
	v_mul_f32_e32 v11, v6, v107
	v_fmac_f32_e32 v11, v7, v90
	v_add_f32_e32 v10, v10, v11
	s_waitcnt vmcnt(6)
	v_mul_f32_e32 v11, v8, v109
	v_fmac_f32_e32 v11, v9, v104
	v_add_f32_e32 v14, v10, v11
	ds_read2_b64 v[10:13], v230 offset0:75 offset1:76
	v_fma_f32 v2, v4, v88, -v2
	v_add_f32_e32 v1, v1, v2
	v_mul_f32_e32 v2, v7, v107
	v_fma_f32 v2, v6, v90, -v2
	s_waitcnt vmcnt(4) lgkmcnt(0)
	v_mul_f32_e32 v15, v10, v111
	v_fmac_f32_e32 v15, v11, v106
	v_add_f32_e32 v14, v14, v15
	s_waitcnt vmcnt(2)
	v_mul_f32_e32 v15, v12, v112
	v_fmac_f32_e32 v15, v13, v108
	v_add_f32_e32 v18, v14, v15
	ds_read2_b64 v[14:17], v230 offset0:77 offset1:78
	buffer_load_dword v114, off, s[0:3], 0 offset:144
	buffer_load_dword v115, off, s[0:3], 0 offset:148
	v_add_f32_e32 v1, v1, v2
	v_mul_f32_e32 v2, v9, v109
	v_fma_f32 v2, v8, v104, -v2
	s_waitcnt vmcnt(2) lgkmcnt(0)
	v_mul_f32_e32 v19, v14, v113
	v_fmac_f32_e32 v19, v15, v110
	v_add_f32_e32 v18, v18, v19
	v_add_f32_e32 v1, v1, v2
	v_mul_f32_e32 v2, v11, v111
	v_fma_f32 v2, v10, v106, -v2
	v_add_f32_e32 v1, v1, v2
	v_mul_f32_e32 v2, v13, v112
	v_fma_f32 v2, v12, v108, -v2
	;; [unrolled: 3-line block ×3, first 2 shown]
	v_add_f32_e32 v1, v1, v2
	s_waitcnt vmcnt(0)
	v_mul_f32_e32 v19, v16, v115
	v_fmac_f32_e32 v19, v17, v114
	v_add_f32_e32 v22, v18, v19
	ds_read2_b64 v[18:21], v230 offset0:79 offset1:80
	buffer_load_dword v116, off, s[0:3], 0 offset:152
	buffer_load_dword v117, off, s[0:3], 0 offset:156
	;; [unrolled: 1-line block ×4, first 2 shown]
	v_mul_f32_e32 v2, v17, v115
	v_fma_f32 v2, v16, v114, -v2
	v_add_f32_e32 v1, v1, v2
	s_waitcnt vmcnt(2) lgkmcnt(0)
	v_mul_f32_e32 v23, v18, v117
	v_fmac_f32_e32 v23, v19, v116
	v_add_f32_e32 v22, v22, v23
	s_waitcnt vmcnt(0)
	v_mul_f32_e32 v23, v20, v119
	v_fmac_f32_e32 v23, v21, v118
	v_add_f32_e32 v26, v22, v23
	ds_read2_b64 v[22:25], v230 offset0:81 offset1:82
	buffer_load_dword v120, off, s[0:3], 0 offset:168
	buffer_load_dword v121, off, s[0:3], 0 offset:172
	;; [unrolled: 1-line block ×4, first 2 shown]
	v_mul_f32_e32 v2, v19, v117
	v_fma_f32 v2, v18, v116, -v2
	v_add_f32_e32 v1, v1, v2
	v_mul_f32_e32 v2, v21, v119
	v_fma_f32 v2, v20, v118, -v2
	v_add_f32_e32 v1, v1, v2
	s_waitcnt vmcnt(2) lgkmcnt(0)
	v_mul_f32_e32 v27, v22, v121
	v_fmac_f32_e32 v27, v23, v120
	v_add_f32_e32 v26, v26, v27
	s_waitcnt vmcnt(0)
	v_mul_f32_e32 v27, v24, v123
	v_fmac_f32_e32 v27, v25, v122
	v_add_f32_e32 v30, v26, v27
	ds_read2_b64 v[26:29], v230 offset0:83 offset1:84
	buffer_load_dword v124, off, s[0:3], 0 offset:184
	buffer_load_dword v125, off, s[0:3], 0 offset:188
	;; [unrolled: 1-line block ×4, first 2 shown]
	v_mul_f32_e32 v2, v23, v121
	v_fma_f32 v2, v22, v120, -v2
	v_add_f32_e32 v1, v1, v2
	v_mul_f32_e32 v2, v25, v123
	v_fma_f32 v2, v24, v122, -v2
	v_add_f32_e32 v1, v1, v2
	s_waitcnt vmcnt(2) lgkmcnt(0)
	v_mul_f32_e32 v31, v26, v125
	v_fmac_f32_e32 v31, v27, v124
	v_add_f32_e32 v30, v30, v31
	s_waitcnt vmcnt(0)
	v_mul_f32_e32 v31, v28, v127
	v_fmac_f32_e32 v31, v29, v126
	v_add_f32_e32 v34, v30, v31
	ds_read2_b64 v[30:33], v230 offset0:85 offset1:86
	buffer_load_dword v128, off, s[0:3], 0 offset:200
	buffer_load_dword v129, off, s[0:3], 0 offset:204
	buffer_load_dword v130, off, s[0:3], 0 offset:208
	buffer_load_dword v131, off, s[0:3], 0 offset:212
	ds_read2_b64 v[38:41], v230 offset0:87 offset1:88
	buffer_load_dword v132, off, s[0:3], 0 offset:216
	buffer_load_dword v133, off, s[0:3], 0 offset:220
	buffer_load_dword v134, off, s[0:3], 0 offset:224
	buffer_load_dword v135, off, s[0:3], 0 offset:228
	;; [unrolled: 5-line block ×13, first 2 shown]
	v_mul_f32_e32 v2, v27, v125
	v_fma_f32 v2, v26, v124, -v2
	v_add_f32_e32 v1, v1, v2
	v_mul_f32_e32 v2, v29, v127
	v_fma_f32 v2, v28, v126, -v2
	v_add_f32_e32 v1, v1, v2
	s_waitcnt vmcnt(50) lgkmcnt(12)
	v_mul_f32_e32 v35, v30, v129
	v_fmac_f32_e32 v35, v31, v128
	v_add_f32_e32 v34, v34, v35
	s_waitcnt vmcnt(48)
	v_mul_f32_e32 v35, v32, v131
	v_fmac_f32_e32 v35, v33, v130
	v_add_f32_e32 v34, v34, v35
	s_waitcnt vmcnt(46) lgkmcnt(11)
	v_mul_f32_e32 v35, v38, v133
	v_fmac_f32_e32 v35, v39, v132
	v_add_f32_e32 v34, v34, v35
	s_waitcnt vmcnt(44)
	v_mul_f32_e32 v35, v40, v135
	v_fmac_f32_e32 v35, v41, v134
	;; [unrolled: 8-line block ×12, first 2 shown]
	v_add_f32_e32 v34, v34, v35
	s_waitcnt vmcnt(2) lgkmcnt(0)
	v_mul_f32_e32 v35, v82, v177
	v_fmac_f32_e32 v35, v83, v176
	v_add_f32_e32 v89, v34, v35
	ds_read2_b64 v[34:37], v230 offset0:111 offset1:112
	buffer_load_dword v233, off, s[0:3], 0 offset:408
	buffer_load_dword v234, off, s[0:3], 0 offset:412
	;; [unrolled: 1-line block ×18, first 2 shown]
	v_mul_f32_e32 v2, v31, v129
	v_fma_f32 v2, v30, v128, -v2
	v_add_f32_e32 v1, v1, v2
	v_mul_f32_e32 v2, v33, v131
	v_fma_f32 v2, v32, v130, -v2
	v_add_f32_e32 v1, v1, v2
	;; [unrolled: 3-line block ×24, first 2 shown]
	v_mul_f32_e32 v2, v83, v177
	v_fma_f32 v2, v82, v176, -v2
	s_waitcnt vmcnt(15)
	v_mov_b32_e32 v18, v93
	v_mul_f32_e32 v91, v84, v232
	v_add_f32_e32 v88, v1, v2
	v_mul_f32_e32 v1, v85, v232
	s_waitcnt lgkmcnt(0)
	v_pk_mul_f32 v[18:19], v[36:37], v[18:19] op_sel_hi:[1,0]
	v_fmac_f32_e32 v91, v85, v231
	v_mul_f32_e32 v95, v34, v234
	v_fma_f32 v90, v84, v231, -v1
	v_mul_f32_e32 v1, v35, v234
	ds_read2_b64 v[2:5], v230 offset0:113 offset1:114
	ds_read2_b64 v[6:9], v230 offset0:115 offset1:116
	;; [unrolled: 1-line block ×3, first 2 shown]
	ds_read_b64 v[14:15], v230 offset:952
	s_waitcnt vmcnt(14)
	v_pk_fma_f32 v[20:21], v[36:37], v[92:93], v[18:19] op_sel:[0,0,1] op_sel_hi:[1,1,0] neg_lo:[0,0,1] neg_hi:[0,0,1]
	v_pk_fma_f32 v[18:19], v[36:37], v[92:93], v[18:19] op_sel:[0,0,1] op_sel_hi:[1,0,0]
	v_fmac_f32_e32 v95, v35, v233
	v_fma_f32 v94, v34, v233, -v1
	v_pk_add_f32 v[16:17], v[88:89], v[90:91]
	s_waitcnt vmcnt(13)
	v_mov_b32_e32 v18, v229
	v_pk_add_f32 v[16:17], v[16:17], v[94:95]
	v_mov_b32_e32 v21, v19
	s_waitcnt lgkmcnt(3)
	v_pk_mul_f32 v[18:19], v[2:3], v[18:19] op_sel_hi:[1,0]
	v_pk_add_f32 v[16:17], v[16:17], v[20:21]
	s_waitcnt vmcnt(12)
	v_pk_fma_f32 v[20:21], v[2:3], v[228:229], v[18:19] op_sel:[0,0,1] op_sel_hi:[1,1,0] neg_lo:[0,0,1] neg_hi:[0,0,1]
	v_pk_fma_f32 v[2:3], v[2:3], v[228:229], v[18:19] op_sel:[0,0,1] op_sel_hi:[1,0,0]
	v_mov_b32_e32 v21, v3
	v_pk_add_f32 v[2:3], v[16:17], v[20:21]
	s_waitcnt vmcnt(11)
	v_mov_b32_e32 v16, v227
	v_pk_mul_f32 v[16:17], v[4:5], v[16:17] op_sel_hi:[1,0]
	s_waitcnt vmcnt(10)
	v_pk_fma_f32 v[18:19], v[4:5], v[226:227], v[16:17] op_sel:[0,0,1] op_sel_hi:[1,1,0] neg_lo:[0,0,1] neg_hi:[0,0,1]
	v_pk_fma_f32 v[4:5], v[4:5], v[226:227], v[16:17] op_sel:[0,0,1] op_sel_hi:[1,0,0]
	s_waitcnt vmcnt(9)
	v_mov_b32_e32 v4, v225
	v_mov_b32_e32 v19, v5
	s_waitcnt lgkmcnt(2)
	v_pk_mul_f32 v[4:5], v[6:7], v[4:5] op_sel_hi:[1,0]
	s_waitcnt vmcnt(8)
	v_pk_fma_f32 v[16:17], v[6:7], v[224:225], v[4:5] op_sel:[0,0,1] op_sel_hi:[1,1,0] neg_lo:[0,0,1] neg_hi:[0,0,1]
	v_pk_fma_f32 v[4:5], v[6:7], v[224:225], v[4:5] op_sel:[0,0,1] op_sel_hi:[1,0,0]
	s_waitcnt vmcnt(7)
	v_mov_b32_e32 v4, v223
	v_mov_b32_e32 v17, v5
	v_pk_mul_f32 v[4:5], v[8:9], v[4:5] op_sel_hi:[1,0]
	s_waitcnt vmcnt(6)
	v_pk_fma_f32 v[6:7], v[8:9], v[222:223], v[4:5] op_sel:[0,0,1] op_sel_hi:[1,1,0] neg_lo:[0,0,1] neg_hi:[0,0,1]
	v_pk_fma_f32 v[4:5], v[8:9], v[222:223], v[4:5] op_sel:[0,0,1] op_sel_hi:[1,0,0]
	v_pk_add_f32 v[2:3], v[2:3], v[18:19]
	s_waitcnt vmcnt(5)
	v_mov_b32_e32 v4, v101
	v_pk_add_f32 v[2:3], v[2:3], v[16:17]
	v_mov_b32_e32 v7, v5
	s_waitcnt lgkmcnt(1)
	v_pk_mul_f32 v[4:5], v[10:11], v[4:5] op_sel_hi:[1,0]
	v_pk_add_f32 v[2:3], v[2:3], v[6:7]
	s_waitcnt vmcnt(4)
	v_pk_fma_f32 v[6:7], v[10:11], v[100:101], v[4:5] op_sel:[0,0,1] op_sel_hi:[1,1,0] neg_lo:[0,0,1] neg_hi:[0,0,1]
	v_pk_fma_f32 v[4:5], v[10:11], v[100:101], v[4:5] op_sel:[0,0,1] op_sel_hi:[1,0,0]
	s_waitcnt vmcnt(3)
	v_mov_b32_e32 v4, v99
	v_mov_b32_e32 v7, v5
	v_pk_mul_f32 v[4:5], v[12:13], v[4:5] op_sel_hi:[1,0]
	v_pk_add_f32 v[2:3], v[2:3], v[6:7]
	s_waitcnt vmcnt(2)
	v_pk_fma_f32 v[6:7], v[12:13], v[98:99], v[4:5] op_sel:[0,0,1] op_sel_hi:[1,1,0] neg_lo:[0,0,1] neg_hi:[0,0,1]
	v_pk_fma_f32 v[4:5], v[12:13], v[98:99], v[4:5] op_sel:[0,0,1] op_sel_hi:[1,0,0]
	s_waitcnt vmcnt(1)
	v_mov_b32_e32 v4, v97
	v_mov_b32_e32 v7, v5
	s_waitcnt lgkmcnt(0)
	v_pk_mul_f32 v[4:5], v[14:15], v[4:5] op_sel_hi:[1,0]
	v_pk_add_f32 v[2:3], v[2:3], v[6:7]
	s_waitcnt vmcnt(0)
	v_pk_fma_f32 v[6:7], v[14:15], v[96:97], v[4:5] op_sel:[0,0,1] op_sel_hi:[1,1,0] neg_lo:[0,0,1] neg_hi:[0,0,1]
	v_pk_fma_f32 v[4:5], v[14:15], v[96:97], v[4:5] op_sel:[0,0,1] op_sel_hi:[1,0,0]
	v_mov_b32_e32 v7, v5
	v_pk_add_f32 v[2:3], v[2:3], v[6:7]
	v_pk_add_f32 v[2:3], v[86:87], v[2:3] neg_lo:[0,1] neg_hi:[0,1]
	buffer_store_dword v3, off, s[0:3], 0 offset:84
	buffer_store_dword v2, off, s[0:3], 0 offset:80
	s_and_saveexec_b64 s[4:5], vcc
	s_cbranch_execz .LBB59_355
; %bb.354:
	buffer_load_dword v2, off, s[0:3], 0 offset:72
	buffer_load_dword v3, off, s[0:3], 0 offset:76
	s_waitcnt vmcnt(0)
	ds_write_b64 v195, v[2:3]
	buffer_store_dword v230, off, s[0:3], 0 offset:72
	buffer_store_dword v230, off, s[0:3], 0 offset:76
.LBB59_355:
	s_or_b64 exec, exec, s[4:5]
	s_waitcnt lgkmcnt(0)
	; wave barrier
	s_waitcnt lgkmcnt(0)
	buffer_load_dword v40, off, s[0:3], 0 offset:84
	buffer_load_dword v39, off, s[0:3], 0 offset:92
	;; [unrolled: 1-line block ×32, first 2 shown]
	ds_read_b128 v[22:25], v230 offset:560
	ds_read_b128 v[18:21], v230 offset:576
	;; [unrolled: 1-line block ×6, first 2 shown]
	buffer_load_dword v142, off, s[0:3], 0 offset:200
	buffer_load_dword v143, off, s[0:3], 0 offset:204
	buffer_load_dword v144, off, s[0:3], 0 offset:208
	buffer_load_dword v145, off, s[0:3], 0 offset:212
	buffer_load_dword v146, off, s[0:3], 0 offset:216
	buffer_load_dword v147, off, s[0:3], 0 offset:220
	buffer_load_dword v148, off, s[0:3], 0 offset:224
	buffer_load_dword v149, off, s[0:3], 0 offset:228
	buffer_load_dword v150, off, s[0:3], 0 offset:232
	buffer_load_dword v151, off, s[0:3], 0 offset:236
	buffer_load_dword v152, off, s[0:3], 0 offset:240
	buffer_load_dword v153, off, s[0:3], 0 offset:244
	buffer_load_dword v154, off, s[0:3], 0 offset:248
	buffer_load_dword v155, off, s[0:3], 0 offset:252
	buffer_load_dword v156, off, s[0:3], 0 offset:256
	buffer_load_dword v157, off, s[0:3], 0 offset:260
	buffer_load_dword v158, off, s[0:3], 0 offset:264
	buffer_load_dword v159, off, s[0:3], 0 offset:268
	buffer_load_dword v160, off, s[0:3], 0 offset:272
	buffer_load_dword v161, off, s[0:3], 0 offset:276
	v_cmp_lt_u32_e32 vcc, 8, v0
	s_waitcnt vmcnt(51) lgkmcnt(5)
	v_mul_f32_e32 v26, v22, v40
	s_waitcnt vmcnt(50)
	v_mul_f32_e32 v27, v24, v39
	s_waitcnt vmcnt(49) lgkmcnt(4)
	v_mul_f32_e32 v29, v20, v38
	s_waitcnt vmcnt(48) lgkmcnt(3)
	v_mul_f32_e32 v30, v14, v37
	s_waitcnt vmcnt(47)
	v_mul_f32_e32 v31, v16, v36
	s_waitcnt vmcnt(46) lgkmcnt(2)
	v_mul_f32_e32 v32, v10, v1
	s_waitcnt vmcnt(45)
	v_mul_f32_e32 v28, v18, v41
	s_waitcnt vmcnt(44)
	v_mul_f32_e32 v33, v12, v42
	s_waitcnt vmcnt(43) lgkmcnt(1)
	v_mul_f32_e32 v47, v6, v43
	s_waitcnt vmcnt(42)
	v_mul_f32_e32 v48, v8, v44
	s_waitcnt vmcnt(41) lgkmcnt(0)
	v_mul_f32_e32 v49, v2, v45
	s_waitcnt vmcnt(40)
	v_mul_f32_e32 v50, v4, v46
	s_waitcnt vmcnt(39)
	v_fmac_f32_e32 v28, v19, v108
	s_waitcnt vmcnt(38)
	v_fmac_f32_e32 v27, v25, v110
	;; [unrolled: 2-line block ×3, first 2 shown]
	v_add_f32_e32 v26, 0, v26
	v_add_f32_e32 v26, v26, v27
	;; [unrolled: 1-line block ×3, first 2 shown]
	s_waitcnt vmcnt(33)
	v_fmac_f32_e32 v29, v21, v130
	v_fmac_f32_e32 v30, v15, v129
	v_add_f32_e32 v26, v26, v29
	v_fmac_f32_e32 v31, v17, v128
	v_add_f32_e32 v26, v26, v30
	;; [unrolled: 2-line block ×3, first 2 shown]
	s_waitcnt vmcnt(29)
	v_fmac_f32_e32 v33, v13, v134
	v_add_f32_e32 v26, v26, v32
	v_fmac_f32_e32 v47, v7, v133
	v_add_f32_e32 v26, v26, v33
	;; [unrolled: 2-line block ×4, first 2 shown]
	v_add_f32_e32 v30, v26, v49
	ds_read_b128 v[26:29], v230 offset:656
	buffer_load_dword v162, off, s[0:3], 0 offset:280
	buffer_load_dword v163, off, s[0:3], 0 offset:284
	;; [unrolled: 1-line block ×4, first 2 shown]
	s_waitcnt vmcnt(28)
	v_fmac_f32_e32 v50, v5, v139
	v_add_f32_e32 v47, v30, v50
	ds_read_b128 v[30:33], v230 offset:672
	buffer_load_dword v166, off, s[0:3], 0 offset:296
	buffer_load_dword v167, off, s[0:3], 0 offset:300
	;; [unrolled: 1-line block ×12, first 2 shown]
	s_waitcnt vmcnt(39) lgkmcnt(1)
	v_mul_f32_e32 v48, v26, v140
	v_fmac_f32_e32 v48, v27, v138
	buffer_load_dword v222, off, s[0:3], 0 offset:344
	buffer_load_dword v223, off, s[0:3], 0 offset:348
	v_add_f32_e32 v47, v47, v48
	s_waitcnt vmcnt(40)
	v_mul_f32_e32 v48, v28, v141
	v_fmac_f32_e32 v48, v29, v137
	buffer_load_dword v224, off, s[0:3], 0 offset:352
	buffer_load_dword v225, off, s[0:3], 0 offset:356
	v_add_f32_e32 v47, v47, v48
	s_waitcnt lgkmcnt(0)
	v_mul_f32_e32 v48, v30, v136
	v_fmac_f32_e32 v48, v31, v135
	v_add_f32_e32 v47, v47, v48
	ds_read_b128 v[48:51], v230 offset:688
	buffer_load_dword v226, off, s[0:3], 0 offset:360
	buffer_load_dword v227, off, s[0:3], 0 offset:364
	s_waitcnt vmcnt(40)
	v_mul_f32_e32 v52, v32, v143
	v_fmac_f32_e32 v52, v33, v142
	v_add_f32_e32 v47, v47, v52
	ds_read_b128 v[52:55], v230 offset:704
	buffer_load_dword v228, off, s[0:3], 0 offset:368
	buffer_load_dword v229, off, s[0:3], 0 offset:372
	;; [unrolled: 1-line block ×8, first 2 shown]
	s_waitcnt vmcnt(46) lgkmcnt(1)
	v_mul_f32_e32 v56, v48, v145
	v_fmac_f32_e32 v56, v49, v144
	v_add_f32_e32 v47, v47, v56
	s_waitcnt vmcnt(44)
	v_mul_f32_e32 v56, v50, v147
	v_fmac_f32_e32 v56, v51, v146
	v_add_f32_e32 v47, v47, v56
	s_waitcnt vmcnt(42) lgkmcnt(0)
	v_mul_f32_e32 v56, v52, v149
	v_fmac_f32_e32 v56, v53, v148
	v_add_f32_e32 v47, v47, v56
	buffer_load_dword v237, off, s[0:3], 0 offset:400
	buffer_load_dword v238, off, s[0:3], 0 offset:404
	;; [unrolled: 1-line block ×4, first 2 shown]
	ds_read_b128 v[56:59], v230 offset:720
	s_waitcnt vmcnt(44)
	v_mul_f32_e32 v60, v54, v151
	v_fmac_f32_e32 v60, v55, v150
	v_add_f32_e32 v47, v47, v60
	ds_read_b128 v[60:63], v230 offset:736
	s_waitcnt vmcnt(42) lgkmcnt(1)
	v_mul_f32_e32 v64, v56, v153
	v_fmac_f32_e32 v64, v57, v152
	v_add_f32_e32 v47, v47, v64
	s_waitcnt vmcnt(40)
	v_mul_f32_e32 v64, v58, v155
	v_fmac_f32_e32 v64, v59, v154
	v_add_f32_e32 v47, v47, v64
	s_waitcnt vmcnt(38) lgkmcnt(0)
	v_mul_f32_e32 v64, v60, v157
	v_fmac_f32_e32 v64, v61, v156
	v_add_f32_e32 v47, v47, v64
	ds_read_b128 v[64:67], v230 offset:752
	s_waitcnt vmcnt(36)
	v_mul_f32_e32 v68, v62, v159
	v_fmac_f32_e32 v68, v63, v158
	v_add_f32_e32 v47, v47, v68
	ds_read_b128 v[68:71], v230 offset:768
	s_waitcnt vmcnt(34) lgkmcnt(1)
	v_mul_f32_e32 v72, v64, v161
	v_fmac_f32_e32 v72, v65, v160
	v_add_f32_e32 v47, v47, v72
	v_mul_f32_e32 v23, v23, v40
	v_fma_f32 v22, v22, v126, -v23
	v_mul_f32_e32 v23, v25, v39
	v_add_f32_e32 v22, 0, v22
	v_fma_f32 v23, v24, v110, -v23
	v_mul_f32_e32 v19, v19, v41
	v_add_f32_e32 v22, v22, v23
	;; [unrolled: 3-line block ×5, first 2 shown]
	s_waitcnt vmcnt(32)
	v_mul_f32_e32 v72, v66, v163
	v_fmac_f32_e32 v72, v67, v162
	v_add_f32_e32 v47, v47, v72
	s_waitcnt vmcnt(30) lgkmcnt(0)
	v_mul_f32_e32 v72, v68, v165
	v_fmac_f32_e32 v72, v69, v164
	v_add_f32_e32 v47, v47, v72
	ds_read_b128 v[72:75], v230 offset:784
	s_waitcnt vmcnt(28)
	v_mul_f32_e32 v76, v70, v167
	v_fmac_f32_e32 v76, v71, v166
	v_add_f32_e32 v47, v47, v76
	ds_read_b128 v[76:79], v230 offset:800
	s_waitcnt vmcnt(26) lgkmcnt(1)
	v_mul_f32_e32 v80, v72, v169
	v_fmac_f32_e32 v80, v73, v168
	v_add_f32_e32 v47, v47, v80
	s_waitcnt vmcnt(24)
	v_mul_f32_e32 v80, v74, v171
	v_fmac_f32_e32 v80, v75, v170
	v_add_f32_e32 v47, v47, v80
	s_waitcnt vmcnt(22) lgkmcnt(0)
	v_mul_f32_e32 v80, v76, v173
	v_fmac_f32_e32 v80, v77, v172
	v_add_f32_e32 v47, v47, v80
	ds_read_b128 v[80:83], v230 offset:816
	s_waitcnt vmcnt(20)
	v_mul_f32_e32 v84, v78, v175
	v_fmac_f32_e32 v84, v79, v174
	v_add_f32_e32 v47, v47, v84
	ds_read_b128 v[84:87], v230 offset:832
	s_waitcnt vmcnt(18) lgkmcnt(1)
	v_mul_f32_e32 v88, v80, v177
	v_fmac_f32_e32 v88, v81, v176
	v_add_f32_e32 v47, v47, v88
	s_waitcnt vmcnt(16)
	v_mul_f32_e32 v88, v82, v223
	v_fmac_f32_e32 v88, v83, v222
	v_add_f32_e32 v47, v47, v88
	s_waitcnt vmcnt(14) lgkmcnt(0)
	v_mul_f32_e32 v88, v84, v225
	v_fmac_f32_e32 v88, v85, v224
	v_add_f32_e32 v47, v47, v88
	ds_read_b128 v[88:91], v230 offset:848
	s_waitcnt vmcnt(12)
	v_mul_f32_e32 v92, v86, v227
	v_fmac_f32_e32 v92, v87, v226
	v_add_f32_e32 v47, v47, v92
	ds_read_b128 v[92:95], v230 offset:864
	buffer_load_dword v101, off, s[0:3], 0 offset:420
	buffer_load_dword v100, off, s[0:3], 0 offset:416
	s_waitcnt vmcnt(12) lgkmcnt(1)
	v_mul_f32_e32 v96, v88, v229
	v_fmac_f32_e32 v96, v89, v228
	v_add_f32_e32 v47, v47, v96
	s_waitcnt vmcnt(10)
	v_mul_f32_e32 v96, v90, v232
	v_fmac_f32_e32 v96, v91, v231
	v_add_f32_e32 v47, v47, v96
	s_waitcnt vmcnt(8) lgkmcnt(0)
	v_mul_f32_e32 v96, v92, v234
	v_fmac_f32_e32 v96, v93, v233
	s_waitcnt vmcnt(6)
	v_mul_f32_e32 v104, v94, v236
	v_add_f32_e32 v47, v47, v96
	v_fmac_f32_e32 v104, v95, v235
	ds_read_b128 v[96:99], v230 offset:880
	v_add_f32_e32 v47, v47, v104
	ds_read_b128 v[104:107], v230 offset:896
	buffer_load_dword v113, off, s[0:3], 0 offset:452
	buffer_load_dword v112, off, s[0:3], 0 offset:448
	;; [unrolled: 1-line block ×14, first 2 shown]
	v_fma_f32 v15, v16, v128, -v15
	v_mul_f32_e32 v1, v11, v1
	v_add_f32_e32 v14, v14, v15
	v_fma_f32 v1, v10, v127, -v1
	v_mul_f32_e32 v10, v13, v42
	v_add_f32_e32 v1, v14, v1
	;; [unrolled: 3-line block ×3, first 2 shown]
	v_fma_f32 v6, v6, v133, -v7
	v_add_f32_e32 v1, v1, v6
	v_mul_f32_e32 v6, v9, v44
	v_fma_f32 v6, v8, v132, -v6
	v_mul_f32_e32 v3, v3, v45
	v_add_f32_e32 v1, v1, v6
	v_fma_f32 v2, v2, v131, -v3
	v_add_f32_e32 v1, v1, v2
	v_mul_f32_e32 v2, v5, v46
	v_fma_f32 v2, v4, v139, -v2
	v_add_f32_e32 v1, v1, v2
	v_mul_f32_e32 v2, v27, v140
	;; [unrolled: 3-line block ×29, first 2 shown]
	v_fma_f32 v2, v94, v235, -v2
	s_waitcnt vmcnt(15)
	v_mov_b32_e32 v16, v101
	s_waitcnt lgkmcnt(1)
	v_mul_f32_e32 v109, v96, v238
	v_add_f32_e32 v46, v1, v2
	v_mul_f32_e32 v1, v97, v238
	s_waitcnt lgkmcnt(0)
	v_pk_mul_f32 v[16:17], v[104:105], v[16:17] op_sel_hi:[1,0]
	v_fmac_f32_e32 v109, v97, v237
	v_mul_f32_e32 v111, v98, v240
	v_fma_f32 v108, v96, v237, -v1
	v_mul_f32_e32 v1, v99, v240
	s_waitcnt vmcnt(14)
	v_pk_fma_f32 v[18:19], v[104:105], v[100:101], v[16:17] op_sel:[0,0,1] op_sel_hi:[1,1,0] neg_lo:[0,0,1] neg_hi:[0,0,1]
	v_pk_fma_f32 v[16:17], v[104:105], v[100:101], v[16:17] op_sel:[0,0,1] op_sel_hi:[1,0,0]
	v_fmac_f32_e32 v111, v99, v239
	v_fma_f32 v110, v98, v239, -v1
	v_pk_add_f32 v[14:15], v[46:47], v[108:109]
	s_waitcnt vmcnt(7)
	v_mov_b32_e32 v16, v119
	ds_read_b128 v[2:5], v230 offset:912
	ds_read_b128 v[6:9], v230 offset:928
	;; [unrolled: 1-line block ×3, first 2 shown]
	v_pk_add_f32 v[14:15], v[14:15], v[110:111]
	v_mov_b32_e32 v19, v17
	v_pk_mul_f32 v[16:17], v[106:107], v[16:17] op_sel_hi:[1,0]
	v_pk_add_f32 v[14:15], v[14:15], v[18:19]
	s_waitcnt vmcnt(6)
	v_pk_fma_f32 v[18:19], v[106:107], v[118:119], v[16:17] op_sel:[0,0,1] op_sel_hi:[1,1,0] neg_lo:[0,0,1] neg_hi:[0,0,1]
	v_pk_fma_f32 v[16:17], v[106:107], v[118:119], v[16:17] op_sel:[0,0,1] op_sel_hi:[1,0,0]
	v_mov_b32_e32 v16, v117
	v_mov_b32_e32 v19, v17
	s_waitcnt lgkmcnt(2)
	v_pk_mul_f32 v[16:17], v[2:3], v[16:17] op_sel_hi:[1,0]
	v_pk_add_f32 v[14:15], v[14:15], v[18:19]
	v_pk_fma_f32 v[18:19], v[2:3], v[116:117], v[16:17] op_sel:[0,0,1] op_sel_hi:[1,1,0] neg_lo:[0,0,1] neg_hi:[0,0,1]
	v_pk_fma_f32 v[2:3], v[2:3], v[116:117], v[16:17] op_sel:[0,0,1] op_sel_hi:[1,0,0]
	v_mov_b32_e32 v19, v3
	v_pk_add_f32 v[2:3], v[14:15], v[18:19]
	v_mov_b32_e32 v14, v115
	v_pk_mul_f32 v[14:15], v[4:5], v[14:15] op_sel_hi:[1,0]
	v_pk_fma_f32 v[16:17], v[4:5], v[114:115], v[14:15] op_sel:[0,0,1] op_sel_hi:[1,1,0] neg_lo:[0,0,1] neg_hi:[0,0,1]
	v_pk_fma_f32 v[4:5], v[4:5], v[114:115], v[14:15] op_sel:[0,0,1] op_sel_hi:[1,0,0]
	v_mov_b32_e32 v4, v113
	v_mov_b32_e32 v17, v5
	s_waitcnt lgkmcnt(1)
	v_pk_mul_f32 v[4:5], v[6:7], v[4:5] op_sel_hi:[1,0]
	v_pk_fma_f32 v[14:15], v[6:7], v[112:113], v[4:5] op_sel:[0,0,1] op_sel_hi:[1,1,0] neg_lo:[0,0,1] neg_hi:[0,0,1]
	v_pk_fma_f32 v[4:5], v[6:7], v[112:113], v[4:5] op_sel:[0,0,1] op_sel_hi:[1,0,0]
	s_waitcnt vmcnt(1)
	v_mov_b32_e32 v4, v125
	v_mov_b32_e32 v15, v5
	v_pk_mul_f32 v[4:5], v[8:9], v[4:5] op_sel_hi:[1,0]
	s_waitcnt vmcnt(0)
	v_pk_fma_f32 v[6:7], v[8:9], v[124:125], v[4:5] op_sel:[0,0,1] op_sel_hi:[1,1,0] neg_lo:[0,0,1] neg_hi:[0,0,1]
	v_pk_fma_f32 v[4:5], v[8:9], v[124:125], v[4:5] op_sel:[0,0,1] op_sel_hi:[1,0,0]
	v_pk_add_f32 v[2:3], v[2:3], v[16:17]
	v_mov_b32_e32 v4, v123
	v_pk_add_f32 v[2:3], v[2:3], v[14:15]
	v_mov_b32_e32 v7, v5
	s_waitcnt lgkmcnt(0)
	v_pk_mul_f32 v[4:5], v[10:11], v[4:5] op_sel_hi:[1,0]
	v_pk_add_f32 v[2:3], v[2:3], v[6:7]
	v_pk_fma_f32 v[6:7], v[10:11], v[122:123], v[4:5] op_sel:[0,0,1] op_sel_hi:[1,1,0] neg_lo:[0,0,1] neg_hi:[0,0,1]
	v_pk_fma_f32 v[4:5], v[10:11], v[122:123], v[4:5] op_sel:[0,0,1] op_sel_hi:[1,0,0]
	v_mov_b32_e32 v4, v121
	v_mov_b32_e32 v7, v5
	v_pk_mul_f32 v[4:5], v[12:13], v[4:5] op_sel_hi:[1,0]
	v_pk_add_f32 v[2:3], v[2:3], v[6:7]
	v_pk_fma_f32 v[6:7], v[12:13], v[120:121], v[4:5] op_sel:[0,0,1] op_sel_hi:[1,1,0] neg_lo:[0,0,1] neg_hi:[0,0,1]
	v_pk_fma_f32 v[4:5], v[12:13], v[120:121], v[4:5] op_sel:[0,0,1] op_sel_hi:[1,0,0]
	v_mov_b32_e32 v7, v5
	v_pk_add_f32 v[2:3], v[2:3], v[6:7]
	v_pk_add_f32 v[2:3], v[34:35], v[2:3] neg_lo:[0,1] neg_hi:[0,1]
	buffer_store_dword v3, off, s[0:3], 0 offset:76
	buffer_store_dword v2, off, s[0:3], 0 offset:72
	s_and_saveexec_b64 s[4:5], vcc
	s_cbranch_execz .LBB59_357
; %bb.356:
	buffer_load_dword v2, off, s[0:3], 0 offset:64
	buffer_load_dword v3, off, s[0:3], 0 offset:68
	v_mov_b32_e32 v1, 0
	buffer_store_dword v1, off, s[0:3], 0 offset:64
	buffer_store_dword v1, off, s[0:3], 0 offset:68
	s_waitcnt vmcnt(2)
	ds_write_b64 v195, v[2:3]
.LBB59_357:
	s_or_b64 exec, exec, s[4:5]
	s_waitcnt lgkmcnt(0)
	; wave barrier
	s_waitcnt lgkmcnt(0)
	buffer_load_dword v45, off, s[0:3], 0 offset:76
	buffer_load_dword v44, off, s[0:3], 0 offset:84
	buffer_load_dword v43, off, s[0:3], 0 offset:100
	buffer_load_dword v42, off, s[0:3], 0 offset:108
	buffer_load_dword v41, off, s[0:3], 0 offset:116
	buffer_load_dword v40, off, s[0:3], 0 offset:124
	buffer_load_dword v46, off, s[0:3], 0 offset:92
	buffer_load_dword v47, off, s[0:3], 0 offset:132
	buffer_load_dword v48, off, s[0:3], 0 offset:140
	buffer_load_dword v49, off, s[0:3], 0 offset:148
	buffer_load_dword v50, off, s[0:3], 0 offset:156
	buffer_load_dword v51, off, s[0:3], 0 offset:164
	buffer_load_dword v57, off, s[0:3], 0 offset:88
	buffer_load_dword v60, off, s[0:3], 0 offset:80
	buffer_load_dword v100, off, s[0:3], 0 offset:72
	buffer_load_dword v54, off, s[0:3], 0 offset:120
	buffer_load_dword v56, off, s[0:3], 0 offset:112
	buffer_load_dword v59, off, s[0:3], 0 offset:104
	buffer_load_dword v62, off, s[0:3], 0 offset:96
	buffer_load_dword v52, off, s[0:3], 0 offset:152
	buffer_load_dword v53, off, s[0:3], 0 offset:144
	buffer_load_dword v55, off, s[0:3], 0 offset:136
	buffer_load_dword v58, off, s[0:3], 0 offset:128
	buffer_load_dword v61, off, s[0:3], 0 offset:184
	buffer_load_dword v120, off, s[0:3], 0 offset:188
	buffer_load_dword v138, off, s[0:3], 0 offset:176
	buffer_load_dword v139, off, s[0:3], 0 offset:168
	buffer_load_dword v140, off, s[0:3], 0 offset:160
	buffer_load_dword v141, off, s[0:3], 0 offset:172
	buffer_load_dword v142, off, s[0:3], 0 offset:180
	buffer_load_dword v38, off, s[0:3], 0 offset:64
	buffer_load_dword v39, off, s[0:3], 0 offset:68
	v_mov_b32_e32 v1, 0
	buffer_load_dword v143, off, s[0:3], 0 offset:192
	buffer_load_dword v144, off, s[0:3], 0 offset:196
	;; [unrolled: 1-line block ×16, first 2 shown]
	ds_read2_b64 v[22:25], v1 offset0:69 offset1:70
	ds_read2_b64 v[18:21], v1 offset0:71 offset1:72
	;; [unrolled: 1-line block ×6, first 2 shown]
	buffer_load_dword v159, off, s[0:3], 0 offset:256
	buffer_load_dword v160, off, s[0:3], 0 offset:260
	v_cmp_lt_u32_e32 vcc, 7, v0
	s_waitcnt vmcnt(49) lgkmcnt(5)
	v_mul_f32_e32 v26, v22, v45
	s_waitcnt vmcnt(48)
	v_mul_f32_e32 v27, v24, v44
	s_waitcnt vmcnt(47) lgkmcnt(4)
	v_mul_f32_e32 v29, v20, v43
	s_waitcnt vmcnt(46) lgkmcnt(3)
	v_mul_f32_e32 v30, v14, v42
	s_waitcnt vmcnt(45)
	v_mul_f32_e32 v31, v16, v41
	s_waitcnt vmcnt(44) lgkmcnt(2)
	v_mul_f32_e32 v32, v10, v40
	s_waitcnt vmcnt(43)
	v_mul_f32_e32 v28, v18, v46
	s_waitcnt vmcnt(42)
	v_mul_f32_e32 v33, v12, v47
	s_waitcnt vmcnt(41) lgkmcnt(1)
	v_mul_f32_e32 v34, v6, v48
	s_waitcnt vmcnt(40)
	v_mul_f32_e32 v35, v8, v49
	s_waitcnt vmcnt(39) lgkmcnt(0)
	v_mul_f32_e32 v36, v2, v50
	s_waitcnt vmcnt(38)
	v_mul_f32_e32 v37, v4, v51
	s_waitcnt vmcnt(37)
	v_fmac_f32_e32 v28, v19, v57
	s_waitcnt vmcnt(36)
	v_fmac_f32_e32 v27, v25, v60
	;; [unrolled: 2-line block ×3, first 2 shown]
	v_add_f32_e32 v26, 0, v26
	v_add_f32_e32 v26, v26, v27
	;; [unrolled: 1-line block ×3, first 2 shown]
	s_waitcnt vmcnt(31)
	v_fmac_f32_e32 v29, v21, v62
	v_fmac_f32_e32 v30, v15, v59
	v_add_f32_e32 v26, v26, v29
	v_fmac_f32_e32 v31, v17, v56
	v_add_f32_e32 v26, v26, v30
	;; [unrolled: 2-line block ×3, first 2 shown]
	s_waitcnt vmcnt(27)
	v_fmac_f32_e32 v33, v13, v58
	v_add_f32_e32 v26, v26, v32
	v_fmac_f32_e32 v34, v7, v55
	v_add_f32_e32 v26, v26, v33
	;; [unrolled: 2-line block ×4, first 2 shown]
	s_waitcnt vmcnt(22)
	v_fmac_f32_e32 v37, v5, v140
	v_add_f32_e32 v26, v26, v36
	v_add_f32_e32 v34, v26, v37
	ds_read2_b64 v[26:29], v1 offset0:81 offset1:82
	buffer_load_dword v161, off, s[0:3], 0 offset:264
	buffer_load_dword v162, off, s[0:3], 0 offset:268
	ds_read2_b64 v[30:33], v1 offset0:83 offset1:84
	buffer_load_dword v163, off, s[0:3], 0 offset:272
	buffer_load_dword v164, off, s[0:3], 0 offset:276
	buffer_load_dword v165, off, s[0:3], 0 offset:280
	buffer_load_dword v166, off, s[0:3], 0 offset:284
	buffer_load_dword v167, off, s[0:3], 0 offset:288
	buffer_load_dword v168, off, s[0:3], 0 offset:292
	buffer_load_dword v169, off, s[0:3], 0 offset:296
	buffer_load_dword v170, off, s[0:3], 0 offset:300
	buffer_load_dword v171, off, s[0:3], 0 offset:304
	buffer_load_dword v172, off, s[0:3], 0 offset:308
	buffer_load_dword v173, off, s[0:3], 0 offset:312
	buffer_load_dword v174, off, s[0:3], 0 offset:316
	buffer_load_dword v175, off, s[0:3], 0 offset:320
	buffer_load_dword v176, off, s[0:3], 0 offset:324
	s_waitcnt vmcnt(37) lgkmcnt(1)
	v_mul_f32_e32 v35, v26, v141
	v_fmac_f32_e32 v35, v27, v139
	v_add_f32_e32 v34, v34, v35
	s_waitcnt vmcnt(36)
	v_mul_f32_e32 v35, v28, v142
	v_fmac_f32_e32 v35, v29, v138
	v_add_f32_e32 v34, v34, v35
	s_waitcnt lgkmcnt(0)
	v_mul_f32_e32 v35, v30, v120
	v_fmac_f32_e32 v35, v31, v61
	v_add_f32_e32 v63, v34, v35
	buffer_load_dword v177, off, s[0:3], 0 offset:328
	buffer_load_dword v222, off, s[0:3], 0 offset:332
	ds_read2_b64 v[34:37], v1 offset0:85 offset1:86
	s_waitcnt vmcnt(34)
	v_mul_f32_e32 v64, v32, v144
	v_fmac_f32_e32 v64, v33, v143
	buffer_load_dword v223, off, s[0:3], 0 offset:336
	buffer_load_dword v224, off, s[0:3], 0 offset:340
	v_add_f32_e32 v63, v63, v64
	buffer_load_dword v225, off, s[0:3], 0 offset:344
	buffer_load_dword v226, off, s[0:3], 0 offset:348
	ds_read2_b64 v[64:67], v1 offset0:87 offset1:88
	s_waitcnt vmcnt(36) lgkmcnt(1)
	v_mul_f32_e32 v68, v34, v146
	v_fmac_f32_e32 v68, v35, v145
	v_add_f32_e32 v63, v63, v68
	s_waitcnt vmcnt(34)
	v_mul_f32_e32 v68, v36, v148
	v_fmac_f32_e32 v68, v37, v147
	v_add_f32_e32 v63, v63, v68
	s_waitcnt vmcnt(32) lgkmcnt(0)
	v_mul_f32_e32 v68, v64, v150
	v_fmac_f32_e32 v68, v65, v149
	buffer_load_dword v227, off, s[0:3], 0 offset:352
	buffer_load_dword v228, off, s[0:3], 0 offset:356
	;; [unrolled: 1-line block ×10, first 2 shown]
	v_add_f32_e32 v63, v63, v68
	buffer_load_dword v237, off, s[0:3], 0 offset:392
	buffer_load_dword v238, off, s[0:3], 0 offset:396
	;; [unrolled: 1-line block ×6, first 2 shown]
	ds_read2_b64 v[68:71], v1 offset0:89 offset1:90
	s_waitcnt vmcnt(46)
	v_mul_f32_e32 v72, v66, v152
	v_fmac_f32_e32 v72, v67, v151
	v_add_f32_e32 v63, v63, v72
	ds_read2_b64 v[72:75], v1 offset0:91 offset1:92
	s_waitcnt vmcnt(44) lgkmcnt(1)
	v_mul_f32_e32 v76, v68, v154
	v_fmac_f32_e32 v76, v69, v153
	v_add_f32_e32 v63, v63, v76
	s_waitcnt vmcnt(42)
	v_mul_f32_e32 v76, v70, v156
	v_fmac_f32_e32 v76, v71, v155
	v_add_f32_e32 v63, v63, v76
	s_waitcnt vmcnt(40) lgkmcnt(0)
	v_mul_f32_e32 v76, v72, v158
	v_fmac_f32_e32 v76, v73, v157
	v_add_f32_e32 v63, v63, v76
	ds_read2_b64 v[76:79], v1 offset0:93 offset1:94
	s_waitcnt vmcnt(38)
	v_mul_f32_e32 v80, v74, v160
	v_fmac_f32_e32 v80, v75, v159
	v_add_f32_e32 v63, v63, v80
	ds_read2_b64 v[80:83], v1 offset0:95 offset1:96
	ds_read2_b64 v[104:107], v1 offset0:105 offset1:106
	;; [unrolled: 1-line block ×5, first 2 shown]
	v_mul_f32_e32 v23, v23, v45
	v_fma_f32 v22, v22, v100, -v23
	v_mul_f32_e32 v23, v25, v44
	v_add_f32_e32 v22, 0, v22
	v_fma_f32 v23, v24, v60, -v23
	v_mul_f32_e32 v19, v19, v46
	v_add_f32_e32 v22, v22, v23
	;; [unrolled: 3-line block ×5, first 2 shown]
	s_waitcnt vmcnt(36) lgkmcnt(5)
	v_mul_f32_e32 v84, v76, v162
	v_fmac_f32_e32 v84, v77, v161
	v_add_f32_e32 v63, v63, v84
	s_waitcnt vmcnt(34)
	v_mul_f32_e32 v84, v78, v164
	v_fmac_f32_e32 v84, v79, v163
	v_add_f32_e32 v63, v63, v84
	s_waitcnt vmcnt(32) lgkmcnt(4)
	v_mul_f32_e32 v84, v80, v166
	v_fmac_f32_e32 v84, v81, v165
	v_add_f32_e32 v63, v63, v84
	ds_read2_b64 v[84:87], v1 offset0:97 offset1:98
	s_waitcnt vmcnt(30)
	v_mul_f32_e32 v88, v82, v168
	v_fmac_f32_e32 v88, v83, v167
	v_add_f32_e32 v63, v63, v88
	ds_read2_b64 v[88:91], v1 offset0:99 offset1:100
	s_waitcnt vmcnt(28) lgkmcnt(1)
	v_mul_f32_e32 v92, v84, v170
	v_fmac_f32_e32 v92, v85, v169
	v_add_f32_e32 v63, v63, v92
	s_waitcnt vmcnt(26)
	v_mul_f32_e32 v92, v86, v172
	v_fmac_f32_e32 v92, v87, v171
	v_add_f32_e32 v63, v63, v92
	s_waitcnt vmcnt(24) lgkmcnt(0)
	v_mul_f32_e32 v92, v88, v174
	v_fmac_f32_e32 v92, v89, v173
	s_waitcnt vmcnt(22)
	v_mul_f32_e32 v96, v90, v176
	v_add_f32_e32 v63, v63, v92
	v_fmac_f32_e32 v96, v91, v175
	ds_read2_b64 v[92:95], v1 offset0:101 offset1:102
	v_add_f32_e32 v63, v63, v96
	ds_read2_b64 v[96:99], v1 offset0:103 offset1:104
	buffer_load_dword v123, off, s[0:3], 0 offset:444
	buffer_load_dword v122, off, s[0:3], 0 offset:440
	;; [unrolled: 1-line block ×16, first 2 shown]
	v_fma_f32 v15, v16, v56, -v15
	v_mul_f32_e32 v11, v11, v40
	v_add_f32_e32 v14, v14, v15
	v_fma_f32 v10, v10, v54, -v11
	v_mul_f32_e32 v11, v13, v47
	v_add_f32_e32 v10, v14, v10
	;; [unrolled: 3-line block ×6, first 2 shown]
	v_fma_f32 v3, v4, v140, -v3
	v_add_f32_e32 v2, v2, v3
	v_mul_f32_e32 v3, v27, v141
	v_fma_f32 v3, v26, v139, -v3
	v_add_f32_e32 v2, v2, v3
	v_mul_f32_e32 v3, v29, v142
	;; [unrolled: 3-line block ×20, first 2 shown]
	v_fma_f32 v3, v90, v175, -v3
	v_add_f32_e32 v2, v2, v3
	s_waitcnt vmcnt(36) lgkmcnt(1)
	v_mul_f32_e32 v3, v93, v222
	v_mul_f32_e32 v101, v92, v222
	v_fma_f32 v3, v92, v177, -v3
	v_fmac_f32_e32 v101, v93, v177
	v_add_f32_e32 v2, v2, v3
	s_waitcnt vmcnt(34)
	v_mul_f32_e32 v3, v95, v224
	v_add_f32_e32 v63, v63, v101
	v_mul_f32_e32 v101, v94, v224
	v_fma_f32 v3, v94, v223, -v3
	v_fmac_f32_e32 v101, v95, v223
	v_add_f32_e32 v2, v2, v3
	s_waitcnt vmcnt(32) lgkmcnt(0)
	v_mul_f32_e32 v3, v97, v226
	v_add_f32_e32 v63, v63, v101
	v_mul_f32_e32 v101, v96, v226
	v_fma_f32 v3, v96, v225, -v3
	v_fmac_f32_e32 v101, v97, v225
	v_add_f32_e32 v2, v2, v3
	s_waitcnt vmcnt(30)
	v_mul_f32_e32 v3, v99, v228
	v_add_f32_e32 v63, v63, v101
	v_mul_f32_e32 v101, v98, v228
	v_fma_f32 v3, v98, v227, -v3
	v_fmac_f32_e32 v101, v99, v227
	v_add_f32_e32 v2, v2, v3
	s_waitcnt vmcnt(28)
	;; [unrolled: 7-line block ×7, first 2 shown]
	v_mul_f32_e32 v2, v115, v240
	s_waitcnt vmcnt(9)
	v_mov_b32_e32 v18, v129
	v_add_f32_e32 v63, v63, v101
	v_mul_f32_e32 v101, v114, v240
	v_fma_f32 v100, v114, v239, -v2
	v_mul_f32_e32 v2, v117, v242
	v_pk_mul_f32 v[18:19], v[118:119], v[18:19] op_sel_hi:[1,0]
	v_fmac_f32_e32 v101, v115, v239
	v_mul_f32_e32 v121, v116, v242
	v_fma_f32 v120, v116, v241, -v2
	ds_read2_b64 v[2:5], v1 offset0:113 offset1:114
	ds_read2_b64 v[6:9], v1 offset0:115 offset1:116
	;; [unrolled: 1-line block ×3, first 2 shown]
	ds_read_b64 v[14:15], v1 offset:952
	s_waitcnt vmcnt(8)
	v_pk_fma_f32 v[20:21], v[118:119], v[128:129], v[18:19] op_sel:[0,0,1] op_sel_hi:[1,1,0] neg_lo:[0,0,1] neg_hi:[0,0,1]
	v_pk_fma_f32 v[18:19], v[118:119], v[128:129], v[18:19] op_sel:[0,0,1] op_sel_hi:[1,0,0]
	v_fmac_f32_e32 v121, v117, v241
	v_pk_add_f32 v[16:17], v[62:63], v[100:101]
	v_mov_b32_e32 v18, v127
	v_pk_add_f32 v[16:17], v[16:17], v[120:121]
	v_mov_b32_e32 v21, v19
	s_waitcnt lgkmcnt(3)
	v_pk_mul_f32 v[18:19], v[2:3], v[18:19] op_sel_hi:[1,0]
	v_pk_add_f32 v[16:17], v[16:17], v[20:21]
	v_pk_fma_f32 v[20:21], v[2:3], v[126:127], v[18:19] op_sel:[0,0,1] op_sel_hi:[1,1,0] neg_lo:[0,0,1] neg_hi:[0,0,1]
	v_pk_fma_f32 v[2:3], v[2:3], v[126:127], v[18:19] op_sel:[0,0,1] op_sel_hi:[1,0,0]
	v_mov_b32_e32 v21, v3
	v_pk_add_f32 v[2:3], v[16:17], v[20:21]
	v_mov_b32_e32 v16, v125
	v_pk_mul_f32 v[16:17], v[4:5], v[16:17] op_sel_hi:[1,0]
	v_pk_fma_f32 v[18:19], v[4:5], v[124:125], v[16:17] op_sel:[0,0,1] op_sel_hi:[1,1,0] neg_lo:[0,0,1] neg_hi:[0,0,1]
	v_pk_fma_f32 v[4:5], v[4:5], v[124:125], v[16:17] op_sel:[0,0,1] op_sel_hi:[1,0,0]
	v_mov_b32_e32 v4, v123
	v_mov_b32_e32 v19, v5
	s_waitcnt lgkmcnt(2)
	v_pk_mul_f32 v[4:5], v[6:7], v[4:5] op_sel_hi:[1,0]
	v_pk_fma_f32 v[16:17], v[6:7], v[122:123], v[4:5] op_sel:[0,0,1] op_sel_hi:[1,1,0] neg_lo:[0,0,1] neg_hi:[0,0,1]
	v_pk_fma_f32 v[4:5], v[6:7], v[122:123], v[4:5] op_sel:[0,0,1] op_sel_hi:[1,0,0]
	s_waitcnt vmcnt(1)
	v_mov_b32_e32 v4, v137
	v_mov_b32_e32 v17, v5
	v_pk_mul_f32 v[4:5], v[8:9], v[4:5] op_sel_hi:[1,0]
	s_waitcnt vmcnt(0)
	v_pk_fma_f32 v[6:7], v[8:9], v[136:137], v[4:5] op_sel:[0,0,1] op_sel_hi:[1,1,0] neg_lo:[0,0,1] neg_hi:[0,0,1]
	v_pk_fma_f32 v[4:5], v[8:9], v[136:137], v[4:5] op_sel:[0,0,1] op_sel_hi:[1,0,0]
	v_pk_add_f32 v[2:3], v[2:3], v[18:19]
	v_mov_b32_e32 v4, v135
	v_pk_add_f32 v[2:3], v[2:3], v[16:17]
	v_mov_b32_e32 v7, v5
	s_waitcnt lgkmcnt(1)
	v_pk_mul_f32 v[4:5], v[10:11], v[4:5] op_sel_hi:[1,0]
	v_pk_add_f32 v[2:3], v[2:3], v[6:7]
	v_pk_fma_f32 v[6:7], v[10:11], v[134:135], v[4:5] op_sel:[0,0,1] op_sel_hi:[1,1,0] neg_lo:[0,0,1] neg_hi:[0,0,1]
	v_pk_fma_f32 v[4:5], v[10:11], v[134:135], v[4:5] op_sel:[0,0,1] op_sel_hi:[1,0,0]
	v_mov_b32_e32 v4, v133
	v_mov_b32_e32 v7, v5
	v_pk_mul_f32 v[4:5], v[12:13], v[4:5] op_sel_hi:[1,0]
	v_pk_add_f32 v[2:3], v[2:3], v[6:7]
	v_pk_fma_f32 v[6:7], v[12:13], v[132:133], v[4:5] op_sel:[0,0,1] op_sel_hi:[1,1,0] neg_lo:[0,0,1] neg_hi:[0,0,1]
	v_pk_fma_f32 v[4:5], v[12:13], v[132:133], v[4:5] op_sel:[0,0,1] op_sel_hi:[1,0,0]
	v_mov_b32_e32 v4, v131
	v_mov_b32_e32 v7, v5
	s_waitcnt lgkmcnt(0)
	v_pk_mul_f32 v[4:5], v[14:15], v[4:5] op_sel_hi:[1,0]
	v_pk_add_f32 v[2:3], v[2:3], v[6:7]
	v_pk_fma_f32 v[6:7], v[14:15], v[130:131], v[4:5] op_sel:[0,0,1] op_sel_hi:[1,1,0] neg_lo:[0,0,1] neg_hi:[0,0,1]
	v_pk_fma_f32 v[4:5], v[14:15], v[130:131], v[4:5] op_sel:[0,0,1] op_sel_hi:[1,0,0]
	v_mov_b32_e32 v7, v5
	v_pk_add_f32 v[2:3], v[2:3], v[6:7]
	v_pk_add_f32 v[2:3], v[38:39], v[2:3] neg_lo:[0,1] neg_hi:[0,1]
	buffer_store_dword v3, off, s[0:3], 0 offset:68
	buffer_store_dword v2, off, s[0:3], 0 offset:64
	s_and_saveexec_b64 s[4:5], vcc
	s_cbranch_execz .LBB59_359
; %bb.358:
	buffer_load_dword v2, off, s[0:3], 0 offset:56
	buffer_load_dword v3, off, s[0:3], 0 offset:60
	s_waitcnt vmcnt(0)
	ds_write_b64 v195, v[2:3]
	buffer_store_dword v1, off, s[0:3], 0 offset:56
	buffer_store_dword v1, off, s[0:3], 0 offset:60
.LBB59_359:
	s_or_b64 exec, exec, s[4:5]
	s_waitcnt lgkmcnt(0)
	; wave barrier
	s_waitcnt lgkmcnt(0)
	buffer_load_dword v49, off, s[0:3], 0 offset:68
	buffer_load_dword v48, off, s[0:3], 0 offset:76
	;; [unrolled: 1-line block ×32, first 2 shown]
	ds_read_b128 v[26:29], v1 offset:544
	ds_read_b128 v[22:25], v1 offset:560
	;; [unrolled: 1-line block ×4, first 2 shown]
	buffer_load_dword v143, off, s[0:3], 0 offset:184
	buffer_load_dword v144, off, s[0:3], 0 offset:188
	ds_read_b128 v[14:17], v1 offset:608
	ds_read_b128 v[6:9], v1 offset:624
	;; [unrolled: 1-line block ×3, first 2 shown]
	buffer_load_dword v145, off, s[0:3], 0 offset:192
	buffer_load_dword v146, off, s[0:3], 0 offset:196
	;; [unrolled: 1-line block ×16, first 2 shown]
	v_cmp_lt_u32_e32 vcc, 6, v0
	s_waitcnt vmcnt(49) lgkmcnt(6)
	v_mul_f32_e32 v30, v26, v49
	s_waitcnt vmcnt(48)
	v_mul_f32_e32 v31, v28, v48
	s_waitcnt vmcnt(47) lgkmcnt(5)
	v_mul_f32_e32 v33, v24, v47
	s_waitcnt vmcnt(46) lgkmcnt(4)
	v_mul_f32_e32 v34, v18, v46
	s_waitcnt vmcnt(45)
	v_mul_f32_e32 v35, v20, v44
	s_waitcnt vmcnt(44)
	v_mul_f32_e32 v32, v22, v50
	s_waitcnt vmcnt(43) lgkmcnt(3)
	v_mul_f32_e32 v36, v10, v45
	s_waitcnt vmcnt(42)
	v_mul_f32_e32 v37, v12, v51
	s_waitcnt vmcnt(41) lgkmcnt(2)
	;; [unrolled: 4-line block ×3, first 2 shown]
	v_mul_f32_e32 v40, v6, v54
	s_waitcnt vmcnt(38)
	v_mul_f32_e32 v41, v8, v55
	s_waitcnt vmcnt(37)
	v_fmac_f32_e32 v32, v23, v61
	s_waitcnt vmcnt(36)
	v_fmac_f32_e32 v31, v29, v64
	;; [unrolled: 2-line block ×3, first 2 shown]
	v_add_f32_e32 v30, 0, v30
	v_add_f32_e32 v30, v30, v31
	;; [unrolled: 1-line block ×3, first 2 shown]
	s_waitcnt vmcnt(31)
	v_fmac_f32_e32 v33, v25, v65
	v_fmac_f32_e32 v34, v19, v63
	v_add_f32_e32 v30, v30, v33
	v_fmac_f32_e32 v35, v21, v60
	v_add_f32_e32 v30, v30, v34
	;; [unrolled: 2-line block ×3, first 2 shown]
	s_waitcnt vmcnt(27)
	v_fmac_f32_e32 v37, v13, v62
	v_add_f32_e32 v30, v30, v36
	v_fmac_f32_e32 v38, v15, v59
	v_add_f32_e32 v30, v30, v37
	;; [unrolled: 2-line block ×4, first 2 shown]
	s_waitcnt vmcnt(23)
	v_fmac_f32_e32 v41, v9, v139
	v_add_f32_e32 v30, v30, v40
	v_add_f32_e32 v34, v30, v41
	ds_read_b128 v[30:33], v1 offset:656
	buffer_load_dword v161, off, s[0:3], 0 offset:256
	buffer_load_dword v162, off, s[0:3], 0 offset:260
	;; [unrolled: 1-line block ×16, first 2 shown]
	s_waitcnt vmcnt(38) lgkmcnt(1)
	v_mul_f32_e32 v35, v2, v140
	v_fmac_f32_e32 v35, v3, v138
	v_add_f32_e32 v34, v34, v35
	s_waitcnt vmcnt(37)
	v_mul_f32_e32 v35, v4, v141
	v_fmac_f32_e32 v35, v5, v126
	v_add_f32_e32 v34, v34, v35
	s_waitcnt vmcnt(36) lgkmcnt(0)
	v_mul_f32_e32 v35, v30, v142
	v_fmac_f32_e32 v35, v31, v66
	v_add_f32_e32 v34, v34, v35
	s_waitcnt vmcnt(32)
	v_mul_f32_e32 v35, v32, v144
	v_fmac_f32_e32 v35, v33, v143
	v_add_f32_e32 v67, v34, v35
	ds_read_b128 v[34:37], v1 offset:672
	buffer_load_dword v177, off, s[0:3], 0 offset:320
	buffer_load_dword v222, off, s[0:3], 0 offset:324
	ds_read_b128 v[38:41], v1 offset:688
	buffer_load_dword v223, off, s[0:3], 0 offset:328
	buffer_load_dword v224, off, s[0:3], 0 offset:332
	;; [unrolled: 1-line block ×4, first 2 shown]
	s_waitcnt vmcnt(36) lgkmcnt(1)
	v_mul_f32_e32 v68, v34, v146
	v_fmac_f32_e32 v68, v35, v145
	v_add_f32_e32 v67, v67, v68
	s_waitcnt vmcnt(34)
	v_mul_f32_e32 v68, v36, v148
	v_fmac_f32_e32 v68, v37, v147
	v_add_f32_e32 v67, v67, v68
	s_waitcnt vmcnt(32) lgkmcnt(0)
	v_mul_f32_e32 v68, v38, v150
	v_fmac_f32_e32 v68, v39, v149
	buffer_load_dword v227, off, s[0:3], 0 offset:344
	buffer_load_dword v228, off, s[0:3], 0 offset:348
	;; [unrolled: 1-line block ×8, first 2 shown]
	v_add_f32_e32 v67, v67, v68
	buffer_load_dword v235, off, s[0:3], 0 offset:376
	buffer_load_dword v236, off, s[0:3], 0 offset:380
	;; [unrolled: 1-line block ×4, first 2 shown]
	ds_read_b128 v[68:71], v1 offset:704
	s_waitcnt vmcnt(42)
	v_mul_f32_e32 v72, v40, v152
	v_fmac_f32_e32 v72, v41, v151
	buffer_load_dword v239, off, s[0:3], 0 offset:392
	buffer_load_dword v240, off, s[0:3], 0 offset:396
	v_add_f32_e32 v67, v67, v72
	buffer_load_dword v241, off, s[0:3], 0 offset:400
	buffer_load_dword v242, off, s[0:3], 0 offset:404
	ds_read_b128 v[72:75], v1 offset:720
	s_waitcnt vmcnt(44) lgkmcnt(1)
	v_mul_f32_e32 v76, v68, v154
	v_fmac_f32_e32 v76, v69, v153
	v_add_f32_e32 v67, v67, v76
	s_waitcnt vmcnt(42)
	v_mul_f32_e32 v76, v70, v156
	v_fmac_f32_e32 v76, v71, v155
	v_add_f32_e32 v67, v67, v76
	s_waitcnt vmcnt(40) lgkmcnt(0)
	v_mul_f32_e32 v76, v72, v158
	v_fmac_f32_e32 v76, v73, v157
	buffer_load_dword v243, off, s[0:3], 0 offset:408
	buffer_load_dword v244, off, s[0:3], 0 offset:412
	v_add_f32_e32 v67, v67, v76
	ds_read_b128 v[76:79], v1 offset:736
	s_waitcnt vmcnt(40)
	v_mul_f32_e32 v80, v74, v160
	v_fmac_f32_e32 v80, v75, v159
	v_add_f32_e32 v67, v67, v80
	ds_read_b128 v[80:83], v1 offset:752
	ds_read_b128 v[104:107], v1 offset:832
	;; [unrolled: 1-line block ×5, first 2 shown]
	v_mul_f32_e32 v27, v27, v49
	v_fma_f32 v26, v26, v100, -v27
	v_mul_f32_e32 v27, v29, v48
	v_add_f32_e32 v26, 0, v26
	v_fma_f32 v27, v28, v64, -v27
	v_mul_f32_e32 v23, v23, v50
	v_add_f32_e32 v26, v26, v27
	;; [unrolled: 3-line block ×4, first 2 shown]
	v_fma_f32 v18, v18, v63, -v19
	s_waitcnt vmcnt(38) lgkmcnt(5)
	v_mul_f32_e32 v84, v76, v162
	v_fmac_f32_e32 v84, v77, v161
	v_add_f32_e32 v67, v67, v84
	s_waitcnt vmcnt(36)
	v_mul_f32_e32 v84, v78, v164
	v_fmac_f32_e32 v84, v79, v163
	v_add_f32_e32 v67, v67, v84
	s_waitcnt vmcnt(34) lgkmcnt(4)
	v_mul_f32_e32 v84, v80, v166
	v_fmac_f32_e32 v84, v81, v165
	v_add_f32_e32 v67, v67, v84
	ds_read_b128 v[84:87], v1 offset:768
	s_waitcnt vmcnt(32)
	v_mul_f32_e32 v88, v82, v168
	v_fmac_f32_e32 v88, v83, v167
	v_add_f32_e32 v67, v67, v88
	ds_read_b128 v[88:91], v1 offset:784
	s_waitcnt vmcnt(30) lgkmcnt(1)
	v_mul_f32_e32 v92, v84, v170
	v_fmac_f32_e32 v92, v85, v169
	v_add_f32_e32 v67, v67, v92
	s_waitcnt vmcnt(28)
	v_mul_f32_e32 v92, v86, v172
	v_fmac_f32_e32 v92, v87, v171
	v_add_f32_e32 v67, v67, v92
	s_waitcnt vmcnt(26) lgkmcnt(0)
	v_mul_f32_e32 v92, v88, v174
	v_fmac_f32_e32 v92, v89, v173
	s_waitcnt vmcnt(24)
	v_mul_f32_e32 v96, v90, v176
	v_add_f32_e32 v67, v67, v92
	v_fmac_f32_e32 v96, v91, v175
	ds_read_b128 v[92:95], v1 offset:800
	v_add_f32_e32 v67, v67, v96
	ds_read_b128 v[96:99], v1 offset:816
	buffer_load_dword v121, off, s[0:3], 0 offset:436
	buffer_load_dword v120, off, s[0:3], 0 offset:432
	;; [unrolled: 1-line block ×6, first 2 shown]
	v_mul_f32_e32 v19, v21, v44
	v_add_f32_e32 v18, v22, v18
	v_fma_f32 v19, v20, v60, -v19
	v_mul_f32_e32 v11, v11, v45
	v_add_f32_e32 v18, v18, v19
	v_fma_f32 v10, v10, v58, -v11
	;; [unrolled: 3-line block ×3, first 2 shown]
	buffer_load_dword v129, off, s[0:3], 0 offset:468
	buffer_load_dword v128, off, s[0:3], 0 offset:464
	;; [unrolled: 1-line block ×10, first 2 shown]
	v_add_f32_e32 v10, v10, v11
	v_mul_f32_e32 v11, v15, v52
	v_fma_f32 v11, v14, v59, -v11
	v_add_f32_e32 v10, v10, v11
	v_mul_f32_e32 v11, v17, v53
	v_fma_f32 v11, v16, v57, -v11
	v_mul_f32_e32 v7, v7, v54
	v_add_f32_e32 v10, v10, v11
	v_fma_f32 v6, v6, v56, -v7
	v_mul_f32_e32 v7, v9, v55
	v_add_f32_e32 v6, v10, v6
	v_fma_f32 v7, v8, v139, -v7
	v_mul_f32_e32 v3, v3, v140
	v_add_f32_e32 v6, v6, v7
	v_fma_f32 v2, v2, v138, -v3
	v_mul_f32_e32 v3, v5, v141
	v_add_f32_e32 v2, v6, v2
	v_fma_f32 v3, v4, v126, -v3
	v_add_f32_e32 v2, v2, v3
	v_mul_f32_e32 v3, v31, v142
	v_fma_f32 v3, v30, v66, -v3
	v_add_f32_e32 v2, v2, v3
	v_mul_f32_e32 v3, v33, v144
	;; [unrolled: 3-line block ×18, first 2 shown]
	v_fma_f32 v3, v90, v175, -v3
	v_add_f32_e32 v2, v2, v3
	s_waitcnt vmcnt(38) lgkmcnt(1)
	v_mul_f32_e32 v3, v93, v222
	v_fma_f32 v3, v92, v177, -v3
	v_add_f32_e32 v2, v2, v3
	s_waitcnt vmcnt(36)
	v_mul_f32_e32 v3, v95, v224
	v_mul_f32_e32 v101, v92, v222
	v_fma_f32 v3, v94, v223, -v3
	v_fmac_f32_e32 v101, v93, v177
	v_add_f32_e32 v2, v2, v3
	s_waitcnt vmcnt(34) lgkmcnt(0)
	v_mul_f32_e32 v3, v97, v226
	v_add_f32_e32 v67, v67, v101
	v_mul_f32_e32 v101, v94, v224
	v_fma_f32 v3, v96, v225, -v3
	v_fmac_f32_e32 v101, v95, v223
	v_add_f32_e32 v2, v2, v3
	s_waitcnt vmcnt(32)
	v_mul_f32_e32 v3, v99, v228
	v_add_f32_e32 v67, v67, v101
	v_mul_f32_e32 v101, v96, v226
	v_fma_f32 v3, v98, v227, -v3
	v_fmac_f32_e32 v101, v97, v225
	v_add_f32_e32 v2, v2, v3
	s_waitcnt vmcnt(30)
	;; [unrolled: 7-line block ×8, first 2 shown]
	v_mul_f32_e32 v2, v117, v242
	v_add_f32_e32 v67, v67, v101
	v_mul_f32_e32 v101, v114, v240
	v_fma_f32 v100, v116, v241, -v2
	s_waitcnt vmcnt(16)
	v_mul_f32_e32 v2, v119, v244
	v_fmac_f32_e32 v101, v115, v239
	v_fma_f32 v126, v118, v243, -v2
	ds_read_b128 v[2:5], v1 offset:896
	ds_read_b128 v[6:9], v1 offset:912
	;; [unrolled: 1-line block ×4, first 2 shown]
	v_add_f32_e32 v67, v67, v101
	v_mul_f32_e32 v101, v116, v242
	s_waitcnt vmcnt(11)
	v_mov_b32_e32 v20, v125
	v_fmac_f32_e32 v101, v117, v241
	v_mul_f32_e32 v127, v118, v244
	s_waitcnt lgkmcnt(3)
	v_pk_mul_f32 v[20:21], v[2:3], v[20:21] op_sel_hi:[1,0]
	v_fmac_f32_e32 v127, v119, v243
	v_pk_add_f32 v[18:19], v[66:67], v[100:101]
	s_waitcnt vmcnt(10)
	v_pk_fma_f32 v[22:23], v[2:3], v[124:125], v[20:21] op_sel:[0,0,1] op_sel_hi:[1,1,0] neg_lo:[0,0,1] neg_hi:[0,0,1]
	v_pk_fma_f32 v[2:3], v[2:3], v[124:125], v[20:21] op_sel:[0,0,1] op_sel_hi:[1,0,0]
	v_pk_add_f32 v[18:19], v[18:19], v[126:127]
	v_mov_b32_e32 v23, v3
	v_pk_add_f32 v[2:3], v[18:19], v[22:23]
	v_mov_b32_e32 v18, v123
	v_pk_mul_f32 v[18:19], v[4:5], v[18:19] op_sel_hi:[1,0]
	v_pk_fma_f32 v[20:21], v[4:5], v[122:123], v[18:19] op_sel:[0,0,1] op_sel_hi:[1,1,0] neg_lo:[0,0,1] neg_hi:[0,0,1]
	v_pk_fma_f32 v[4:5], v[4:5], v[122:123], v[18:19] op_sel:[0,0,1] op_sel_hi:[1,0,0]
	v_mov_b32_e32 v4, v121
	v_mov_b32_e32 v21, v5
	s_waitcnt lgkmcnt(2)
	v_pk_mul_f32 v[4:5], v[6:7], v[4:5] op_sel_hi:[1,0]
	v_pk_fma_f32 v[18:19], v[6:7], v[120:121], v[4:5] op_sel:[0,0,1] op_sel_hi:[1,1,0] neg_lo:[0,0,1] neg_hi:[0,0,1]
	v_pk_fma_f32 v[4:5], v[6:7], v[120:121], v[4:5] op_sel:[0,0,1] op_sel_hi:[1,0,0]
	s_waitcnt vmcnt(3)
	v_mov_b32_e32 v4, v135
	v_mov_b32_e32 v19, v5
	v_pk_mul_f32 v[4:5], v[8:9], v[4:5] op_sel_hi:[1,0]
	s_waitcnt vmcnt(2)
	v_pk_fma_f32 v[6:7], v[8:9], v[134:135], v[4:5] op_sel:[0,0,1] op_sel_hi:[1,1,0] neg_lo:[0,0,1] neg_hi:[0,0,1]
	v_pk_fma_f32 v[4:5], v[8:9], v[134:135], v[4:5] op_sel:[0,0,1] op_sel_hi:[1,0,0]
	v_pk_add_f32 v[2:3], v[2:3], v[20:21]
	v_mov_b32_e32 v4, v133
	v_pk_add_f32 v[2:3], v[2:3], v[18:19]
	v_mov_b32_e32 v7, v5
	s_waitcnt lgkmcnt(1)
	v_pk_mul_f32 v[4:5], v[10:11], v[4:5] op_sel_hi:[1,0]
	v_pk_add_f32 v[2:3], v[2:3], v[6:7]
	v_pk_fma_f32 v[6:7], v[10:11], v[132:133], v[4:5] op_sel:[0,0,1] op_sel_hi:[1,1,0] neg_lo:[0,0,1] neg_hi:[0,0,1]
	v_pk_fma_f32 v[4:5], v[10:11], v[132:133], v[4:5] op_sel:[0,0,1] op_sel_hi:[1,0,0]
	v_mov_b32_e32 v4, v131
	v_mov_b32_e32 v7, v5
	v_pk_mul_f32 v[4:5], v[12:13], v[4:5] op_sel_hi:[1,0]
	v_pk_add_f32 v[2:3], v[2:3], v[6:7]
	v_pk_fma_f32 v[6:7], v[12:13], v[130:131], v[4:5] op_sel:[0,0,1] op_sel_hi:[1,1,0] neg_lo:[0,0,1] neg_hi:[0,0,1]
	v_pk_fma_f32 v[4:5], v[12:13], v[130:131], v[4:5] op_sel:[0,0,1] op_sel_hi:[1,0,0]
	v_mov_b32_e32 v4, v129
	v_mov_b32_e32 v7, v5
	s_waitcnt lgkmcnt(0)
	v_pk_mul_f32 v[4:5], v[14:15], v[4:5] op_sel_hi:[1,0]
	v_pk_add_f32 v[2:3], v[2:3], v[6:7]
	v_pk_fma_f32 v[6:7], v[14:15], v[128:129], v[4:5] op_sel:[0,0,1] op_sel_hi:[1,1,0] neg_lo:[0,0,1] neg_hi:[0,0,1]
	v_pk_fma_f32 v[4:5], v[14:15], v[128:129], v[4:5] op_sel:[0,0,1] op_sel_hi:[1,0,0]
	s_waitcnt vmcnt(1)
	v_mov_b32_e32 v4, v137
	v_mov_b32_e32 v7, v5
	v_pk_mul_f32 v[4:5], v[16:17], v[4:5] op_sel_hi:[1,0]
	v_pk_add_f32 v[2:3], v[2:3], v[6:7]
	s_waitcnt vmcnt(0)
	v_pk_fma_f32 v[6:7], v[16:17], v[136:137], v[4:5] op_sel:[0,0,1] op_sel_hi:[1,1,0] neg_lo:[0,0,1] neg_hi:[0,0,1]
	v_pk_fma_f32 v[4:5], v[16:17], v[136:137], v[4:5] op_sel:[0,0,1] op_sel_hi:[1,0,0]
	v_mov_b32_e32 v7, v5
	v_pk_add_f32 v[2:3], v[2:3], v[6:7]
	v_pk_add_f32 v[2:3], v[42:43], v[2:3] neg_lo:[0,1] neg_hi:[0,1]
	buffer_store_dword v3, off, s[0:3], 0 offset:60
	buffer_store_dword v2, off, s[0:3], 0 offset:56
	s_and_saveexec_b64 s[4:5], vcc
	s_cbranch_execz .LBB59_361
; %bb.360:
	buffer_load_dword v2, off, s[0:3], 0 offset:48
	buffer_load_dword v3, off, s[0:3], 0 offset:52
	v_mov_b32_e32 v1, 0
	buffer_store_dword v1, off, s[0:3], 0 offset:48
	buffer_store_dword v1, off, s[0:3], 0 offset:52
	s_waitcnt vmcnt(2)
	ds_write_b64 v195, v[2:3]
.LBB59_361:
	s_or_b64 exec, exec, s[4:5]
	v_mov_b32_e32 v238, 0
	s_waitcnt lgkmcnt(0)
	; wave barrier
	s_waitcnt lgkmcnt(0)
	ds_read2_b64 v[2:5], v238 offset0:67 offset1:68
	buffer_load_dword v94, off, s[0:3], 0 offset:48
	buffer_load_dword v95, off, s[0:3], 0 offset:52
	buffer_load_dword v1, off, s[0:3], 0 offset:56
	buffer_load_dword v104, off, s[0:3], 0 offset:60
	buffer_load_dword v96, off, s[0:3], 0 offset:64
	buffer_load_dword v106, off, s[0:3], 0 offset:68
	buffer_load_dword v98, off, s[0:3], 0 offset:72
	buffer_load_dword v222, off, s[0:3], 0 offset:76
	buffer_load_dword v105, off, s[0:3], 0 offset:80
	buffer_load_dword v240, off, s[0:3], 0 offset:84
	buffer_load_dword v107, off, s[0:3], 0 offset:88
	buffer_load_dword v242, off, s[0:3], 0 offset:92
	buffer_load_dword v239, off, s[0:3], 0 offset:96
	buffer_load_dword v243, off, s[0:3], 0 offset:100
	buffer_load_dword v241, off, s[0:3], 0 offset:104
	buffer_load_dword v244, off, s[0:3], 0 offset:108
	v_cmp_lt_u32_e32 vcc, 5, v0
	s_waitcnt vmcnt(12) lgkmcnt(0)
	v_mul_f32_e32 v6, v2, v104
	v_fmac_f32_e32 v6, v3, v1
	s_waitcnt vmcnt(10)
	v_mul_f32_e32 v7, v4, v106
	v_add_f32_e32 v6, 0, v6
	v_fmac_f32_e32 v7, v5, v96
	v_add_f32_e32 v10, v6, v7
	ds_read2_b64 v[6:9], v238 offset0:69 offset1:70
	v_mul_f32_e32 v3, v3, v104
	v_fma_f32 v1, v2, v1, -v3
	v_mul_f32_e32 v2, v5, v106
	v_add_f32_e32 v1, 0, v1
	s_waitcnt vmcnt(8) lgkmcnt(0)
	v_mul_f32_e32 v11, v6, v222
	v_fmac_f32_e32 v11, v7, v98
	v_add_f32_e32 v10, v10, v11
	s_waitcnt vmcnt(6)
	v_mul_f32_e32 v11, v8, v240
	v_fmac_f32_e32 v11, v9, v105
	v_add_f32_e32 v14, v10, v11
	ds_read2_b64 v[10:13], v238 offset0:71 offset1:72
	v_fma_f32 v2, v4, v96, -v2
	v_add_f32_e32 v1, v1, v2
	v_mul_f32_e32 v2, v7, v222
	v_fma_f32 v2, v6, v98, -v2
	s_waitcnt vmcnt(4) lgkmcnt(0)
	v_mul_f32_e32 v15, v10, v242
	v_fmac_f32_e32 v15, v11, v107
	v_add_f32_e32 v14, v14, v15
	s_waitcnt vmcnt(2)
	v_mul_f32_e32 v15, v12, v243
	v_fmac_f32_e32 v15, v13, v239
	v_add_f32_e32 v18, v14, v15
	ds_read2_b64 v[14:17], v238 offset0:73 offset1:74
	buffer_load_dword v108, off, s[0:3], 0 offset:112
	buffer_load_dword v109, off, s[0:3], 0 offset:116
	v_add_f32_e32 v1, v1, v2
	v_mul_f32_e32 v2, v9, v240
	v_fma_f32 v2, v8, v105, -v2
	s_waitcnt vmcnt(2) lgkmcnt(0)
	v_mul_f32_e32 v19, v14, v244
	v_fmac_f32_e32 v19, v15, v241
	v_add_f32_e32 v18, v18, v19
	v_add_f32_e32 v1, v1, v2
	v_mul_f32_e32 v2, v11, v242
	v_fma_f32 v2, v10, v107, -v2
	v_add_f32_e32 v1, v1, v2
	v_mul_f32_e32 v2, v13, v243
	v_fma_f32 v2, v12, v239, -v2
	;; [unrolled: 3-line block ×3, first 2 shown]
	v_add_f32_e32 v1, v1, v2
	s_waitcnt vmcnt(0)
	v_mul_f32_e32 v19, v16, v109
	v_fmac_f32_e32 v19, v17, v108
	v_add_f32_e32 v22, v18, v19
	ds_read2_b64 v[18:21], v238 offset0:75 offset1:76
	buffer_load_dword v110, off, s[0:3], 0 offset:120
	buffer_load_dword v111, off, s[0:3], 0 offset:124
	buffer_load_dword v112, off, s[0:3], 0 offset:128
	buffer_load_dword v113, off, s[0:3], 0 offset:132
	v_mul_f32_e32 v2, v17, v109
	v_fma_f32 v2, v16, v108, -v2
	v_add_f32_e32 v1, v1, v2
	s_waitcnt vmcnt(2) lgkmcnt(0)
	v_mul_f32_e32 v23, v18, v111
	v_fmac_f32_e32 v23, v19, v110
	v_add_f32_e32 v22, v22, v23
	s_waitcnt vmcnt(0)
	v_mul_f32_e32 v23, v20, v113
	v_fmac_f32_e32 v23, v21, v112
	v_add_f32_e32 v26, v22, v23
	ds_read2_b64 v[22:25], v238 offset0:77 offset1:78
	buffer_load_dword v114, off, s[0:3], 0 offset:136
	buffer_load_dword v115, off, s[0:3], 0 offset:140
	buffer_load_dword v116, off, s[0:3], 0 offset:144
	buffer_load_dword v117, off, s[0:3], 0 offset:148
	v_mul_f32_e32 v2, v19, v111
	v_fma_f32 v2, v18, v110, -v2
	v_add_f32_e32 v1, v1, v2
	v_mul_f32_e32 v2, v21, v113
	v_fma_f32 v2, v20, v112, -v2
	v_add_f32_e32 v1, v1, v2
	s_waitcnt vmcnt(2) lgkmcnt(0)
	v_mul_f32_e32 v27, v22, v115
	v_fmac_f32_e32 v27, v23, v114
	v_add_f32_e32 v26, v26, v27
	s_waitcnt vmcnt(0)
	v_mul_f32_e32 v27, v24, v117
	v_fmac_f32_e32 v27, v25, v116
	v_add_f32_e32 v30, v26, v27
	ds_read2_b64 v[26:29], v238 offset0:79 offset1:80
	buffer_load_dword v118, off, s[0:3], 0 offset:152
	buffer_load_dword v119, off, s[0:3], 0 offset:156
	buffer_load_dword v120, off, s[0:3], 0 offset:160
	buffer_load_dword v121, off, s[0:3], 0 offset:164
	v_mul_f32_e32 v2, v23, v115
	v_fma_f32 v2, v22, v114, -v2
	v_add_f32_e32 v1, v1, v2
	;; [unrolled: 19-line block ×4, first 2 shown]
	v_mul_f32_e32 v2, v33, v125
	v_fma_f32 v2, v32, v124, -v2
	v_add_f32_e32 v1, v1, v2
	s_waitcnt vmcnt(2) lgkmcnt(0)
	v_mul_f32_e32 v39, v34, v127
	v_fmac_f32_e32 v39, v35, v126
	v_add_f32_e32 v38, v38, v39
	s_waitcnt vmcnt(0)
	v_mul_f32_e32 v39, v36, v129
	v_fmac_f32_e32 v39, v37, v128
	v_add_f32_e32 v42, v38, v39
	ds_read2_b64 v[38:41], v238 offset0:85 offset1:86
	buffer_load_dword v130, off, s[0:3], 0 offset:200
	buffer_load_dword v131, off, s[0:3], 0 offset:204
	buffer_load_dword v132, off, s[0:3], 0 offset:208
	buffer_load_dword v133, off, s[0:3], 0 offset:212
	ds_read2_b64 v[46:49], v238 offset0:87 offset1:88
	buffer_load_dword v134, off, s[0:3], 0 offset:216
	buffer_load_dword v135, off, s[0:3], 0 offset:220
	buffer_load_dword v136, off, s[0:3], 0 offset:224
	buffer_load_dword v137, off, s[0:3], 0 offset:228
	;; [unrolled: 5-line block ×13, first 2 shown]
	v_mul_f32_e32 v2, v35, v127
	v_fma_f32 v2, v34, v126, -v2
	v_add_f32_e32 v1, v1, v2
	v_mul_f32_e32 v2, v37, v129
	v_fma_f32 v2, v36, v128, -v2
	v_add_f32_e32 v1, v1, v2
	s_waitcnt vmcnt(50) lgkmcnt(12)
	v_mul_f32_e32 v43, v38, v131
	v_fmac_f32_e32 v43, v39, v130
	v_add_f32_e32 v42, v42, v43
	s_waitcnt vmcnt(48)
	v_mul_f32_e32 v43, v40, v133
	v_fmac_f32_e32 v43, v41, v132
	v_add_f32_e32 v42, v42, v43
	s_waitcnt vmcnt(46) lgkmcnt(11)
	v_mul_f32_e32 v43, v46, v135
	v_fmac_f32_e32 v43, v47, v134
	v_add_f32_e32 v42, v42, v43
	s_waitcnt vmcnt(44)
	v_mul_f32_e32 v43, v48, v137
	v_fmac_f32_e32 v43, v49, v136
	v_add_f32_e32 v42, v42, v43
	s_waitcnt vmcnt(42) lgkmcnt(10)
	v_mul_f32_e32 v43, v50, v139
	v_fmac_f32_e32 v43, v51, v138
	v_add_f32_e32 v42, v42, v43
	s_waitcnt vmcnt(40)
	v_mul_f32_e32 v43, v52, v140
	v_fmac_f32_e32 v43, v53, v245
	v_add_f32_e32 v42, v42, v43
	s_waitcnt vmcnt(38) lgkmcnt(9)
	v_mul_f32_e32 v43, v54, v142
	v_fmac_f32_e32 v43, v55, v141
	v_add_f32_e32 v42, v42, v43
	s_waitcnt vmcnt(36)
	v_mul_f32_e32 v43, v56, v144
	v_fmac_f32_e32 v43, v57, v143
	v_add_f32_e32 v42, v42, v43
	s_waitcnt vmcnt(34) lgkmcnt(8)
	v_mul_f32_e32 v43, v58, v146
	v_fmac_f32_e32 v43, v59, v145
	v_add_f32_e32 v42, v42, v43
	s_waitcnt vmcnt(32)
	v_mul_f32_e32 v43, v60, v148
	v_fmac_f32_e32 v43, v61, v147
	v_add_f32_e32 v42, v42, v43
	s_waitcnt vmcnt(30) lgkmcnt(7)
	v_mul_f32_e32 v43, v62, v150
	v_fmac_f32_e32 v43, v63, v149
	v_add_f32_e32 v42, v42, v43
	s_waitcnt vmcnt(28)
	v_mul_f32_e32 v43, v64, v152
	v_fmac_f32_e32 v43, v65, v151
	v_add_f32_e32 v42, v42, v43
	s_waitcnt vmcnt(26) lgkmcnt(6)
	v_mul_f32_e32 v43, v66, v154
	v_fmac_f32_e32 v43, v67, v153
	v_add_f32_e32 v42, v42, v43
	s_waitcnt vmcnt(24)
	v_mul_f32_e32 v43, v68, v156
	v_fmac_f32_e32 v43, v69, v155
	v_add_f32_e32 v42, v42, v43
	s_waitcnt vmcnt(22) lgkmcnt(5)
	v_mul_f32_e32 v43, v70, v158
	v_fmac_f32_e32 v43, v71, v157
	v_add_f32_e32 v42, v42, v43
	s_waitcnt vmcnt(20)
	v_mul_f32_e32 v43, v72, v160
	v_fmac_f32_e32 v43, v73, v159
	v_add_f32_e32 v42, v42, v43
	s_waitcnt vmcnt(18) lgkmcnt(4)
	v_mul_f32_e32 v43, v74, v162
	v_fmac_f32_e32 v43, v75, v161
	v_add_f32_e32 v42, v42, v43
	s_waitcnt vmcnt(16)
	v_mul_f32_e32 v43, v76, v164
	v_fmac_f32_e32 v43, v77, v163
	v_add_f32_e32 v42, v42, v43
	s_waitcnt vmcnt(14) lgkmcnt(3)
	v_mul_f32_e32 v43, v78, v166
	v_fmac_f32_e32 v43, v79, v165
	v_add_f32_e32 v42, v42, v43
	s_waitcnt vmcnt(12)
	v_mul_f32_e32 v43, v80, v168
	v_fmac_f32_e32 v43, v81, v167
	v_add_f32_e32 v42, v42, v43
	s_waitcnt vmcnt(10) lgkmcnt(2)
	v_mul_f32_e32 v43, v82, v170
	v_fmac_f32_e32 v43, v83, v169
	v_add_f32_e32 v42, v42, v43
	s_waitcnt vmcnt(8)
	v_mul_f32_e32 v43, v84, v172
	v_fmac_f32_e32 v43, v85, v171
	v_add_f32_e32 v42, v42, v43
	s_waitcnt vmcnt(6) lgkmcnt(1)
	v_mul_f32_e32 v43, v86, v174
	v_fmac_f32_e32 v43, v87, v173
	v_add_f32_e32 v42, v42, v43
	s_waitcnt vmcnt(4)
	v_mul_f32_e32 v43, v88, v176
	v_fmac_f32_e32 v43, v89, v175
	v_add_f32_e32 v42, v42, v43
	s_waitcnt vmcnt(2) lgkmcnt(0)
	v_mul_f32_e32 v43, v90, v246
	v_fmac_f32_e32 v43, v91, v177
	v_add_f32_e32 v97, v42, v43
	ds_read2_b64 v[42:45], v238 offset0:111 offset1:112
	buffer_load_dword v249, off, s[0:3], 0 offset:408
	buffer_load_dword v250, off, s[0:3], 0 offset:412
	;; [unrolled: 1-line block ×18, first 2 shown]
	v_mul_f32_e32 v2, v39, v131
	v_fma_f32 v2, v38, v130, -v2
	v_add_f32_e32 v1, v1, v2
	v_mul_f32_e32 v2, v41, v133
	v_fma_f32 v2, v40, v132, -v2
	v_add_f32_e32 v1, v1, v2
	;; [unrolled: 3-line block ×24, first 2 shown]
	v_mul_f32_e32 v2, v91, v246
	v_fma_f32 v2, v90, v177, -v2
	s_waitcnt vmcnt(15)
	v_mov_b32_e32 v18, v101
	v_mul_f32_e32 v99, v92, v248
	v_add_f32_e32 v96, v1, v2
	v_mul_f32_e32 v1, v93, v248
	s_waitcnt lgkmcnt(0)
	v_pk_mul_f32 v[18:19], v[44:45], v[18:19] op_sel_hi:[1,0]
	v_fmac_f32_e32 v99, v93, v247
	v_mul_f32_e32 v223, v42, v250
	v_fma_f32 v98, v92, v247, -v1
	v_mul_f32_e32 v1, v43, v250
	ds_read2_b64 v[2:5], v238 offset0:113 offset1:114
	ds_read2_b64 v[6:9], v238 offset0:115 offset1:116
	;; [unrolled: 1-line block ×3, first 2 shown]
	ds_read_b64 v[14:15], v238 offset:952
	s_waitcnt vmcnt(14)
	v_pk_fma_f32 v[20:21], v[44:45], v[100:101], v[18:19] op_sel:[0,0,1] op_sel_hi:[1,1,0] neg_lo:[0,0,1] neg_hi:[0,0,1]
	v_pk_fma_f32 v[18:19], v[44:45], v[100:101], v[18:19] op_sel:[0,0,1] op_sel_hi:[1,0,0]
	v_fmac_f32_e32 v223, v43, v249
	v_fma_f32 v222, v42, v249, -v1
	v_pk_add_f32 v[16:17], v[96:97], v[98:99]
	s_waitcnt vmcnt(13)
	v_mov_b32_e32 v18, v237
	v_pk_add_f32 v[16:17], v[16:17], v[222:223]
	v_mov_b32_e32 v21, v19
	s_waitcnt lgkmcnt(3)
	v_pk_mul_f32 v[18:19], v[2:3], v[18:19] op_sel_hi:[1,0]
	v_pk_add_f32 v[16:17], v[16:17], v[20:21]
	s_waitcnt vmcnt(12)
	v_pk_fma_f32 v[20:21], v[2:3], v[236:237], v[18:19] op_sel:[0,0,1] op_sel_hi:[1,1,0] neg_lo:[0,0,1] neg_hi:[0,0,1]
	v_pk_fma_f32 v[2:3], v[2:3], v[236:237], v[18:19] op_sel:[0,0,1] op_sel_hi:[1,0,0]
	v_mov_b32_e32 v21, v3
	v_pk_add_f32 v[2:3], v[16:17], v[20:21]
	s_waitcnt vmcnt(11)
	v_mov_b32_e32 v16, v235
	v_pk_mul_f32 v[16:17], v[4:5], v[16:17] op_sel_hi:[1,0]
	s_waitcnt vmcnt(10)
	v_pk_fma_f32 v[18:19], v[4:5], v[234:235], v[16:17] op_sel:[0,0,1] op_sel_hi:[1,1,0] neg_lo:[0,0,1] neg_hi:[0,0,1]
	v_pk_fma_f32 v[4:5], v[4:5], v[234:235], v[16:17] op_sel:[0,0,1] op_sel_hi:[1,0,0]
	s_waitcnt vmcnt(9)
	v_mov_b32_e32 v4, v233
	v_mov_b32_e32 v19, v5
	s_waitcnt lgkmcnt(2)
	v_pk_mul_f32 v[4:5], v[6:7], v[4:5] op_sel_hi:[1,0]
	s_waitcnt vmcnt(8)
	v_pk_fma_f32 v[16:17], v[6:7], v[232:233], v[4:5] op_sel:[0,0,1] op_sel_hi:[1,1,0] neg_lo:[0,0,1] neg_hi:[0,0,1]
	v_pk_fma_f32 v[4:5], v[6:7], v[232:233], v[4:5] op_sel:[0,0,1] op_sel_hi:[1,0,0]
	s_waitcnt vmcnt(7)
	v_mov_b32_e32 v4, v231
	v_mov_b32_e32 v17, v5
	v_pk_mul_f32 v[4:5], v[8:9], v[4:5] op_sel_hi:[1,0]
	s_waitcnt vmcnt(6)
	v_pk_fma_f32 v[6:7], v[8:9], v[230:231], v[4:5] op_sel:[0,0,1] op_sel_hi:[1,1,0] neg_lo:[0,0,1] neg_hi:[0,0,1]
	v_pk_fma_f32 v[4:5], v[8:9], v[230:231], v[4:5] op_sel:[0,0,1] op_sel_hi:[1,0,0]
	v_pk_add_f32 v[2:3], v[2:3], v[18:19]
	s_waitcnt vmcnt(5)
	v_mov_b32_e32 v4, v229
	v_pk_add_f32 v[2:3], v[2:3], v[16:17]
	v_mov_b32_e32 v7, v5
	s_waitcnt lgkmcnt(1)
	v_pk_mul_f32 v[4:5], v[10:11], v[4:5] op_sel_hi:[1,0]
	v_pk_add_f32 v[2:3], v[2:3], v[6:7]
	s_waitcnt vmcnt(4)
	v_pk_fma_f32 v[6:7], v[10:11], v[228:229], v[4:5] op_sel:[0,0,1] op_sel_hi:[1,1,0] neg_lo:[0,0,1] neg_hi:[0,0,1]
	v_pk_fma_f32 v[4:5], v[10:11], v[228:229], v[4:5] op_sel:[0,0,1] op_sel_hi:[1,0,0]
	s_waitcnt vmcnt(3)
	v_mov_b32_e32 v4, v227
	v_mov_b32_e32 v7, v5
	v_pk_mul_f32 v[4:5], v[12:13], v[4:5] op_sel_hi:[1,0]
	v_pk_add_f32 v[2:3], v[2:3], v[6:7]
	s_waitcnt vmcnt(2)
	v_pk_fma_f32 v[6:7], v[12:13], v[226:227], v[4:5] op_sel:[0,0,1] op_sel_hi:[1,1,0] neg_lo:[0,0,1] neg_hi:[0,0,1]
	v_pk_fma_f32 v[4:5], v[12:13], v[226:227], v[4:5] op_sel:[0,0,1] op_sel_hi:[1,0,0]
	s_waitcnt vmcnt(1)
	v_mov_b32_e32 v4, v225
	v_mov_b32_e32 v7, v5
	s_waitcnt lgkmcnt(0)
	v_pk_mul_f32 v[4:5], v[14:15], v[4:5] op_sel_hi:[1,0]
	v_pk_add_f32 v[2:3], v[2:3], v[6:7]
	s_waitcnt vmcnt(0)
	v_pk_fma_f32 v[6:7], v[14:15], v[224:225], v[4:5] op_sel:[0,0,1] op_sel_hi:[1,1,0] neg_lo:[0,0,1] neg_hi:[0,0,1]
	v_pk_fma_f32 v[4:5], v[14:15], v[224:225], v[4:5] op_sel:[0,0,1] op_sel_hi:[1,0,0]
	v_mov_b32_e32 v7, v5
	v_pk_add_f32 v[2:3], v[2:3], v[6:7]
	v_pk_add_f32 v[2:3], v[94:95], v[2:3] neg_lo:[0,1] neg_hi:[0,1]
	buffer_store_dword v3, off, s[0:3], 0 offset:52
	buffer_store_dword v2, off, s[0:3], 0 offset:48
	s_and_saveexec_b64 s[4:5], vcc
	s_cbranch_execz .LBB59_363
; %bb.362:
	buffer_load_dword v2, off, s[0:3], 0 offset:40
	buffer_load_dword v3, off, s[0:3], 0 offset:44
	s_waitcnt vmcnt(0)
	ds_write_b64 v195, v[2:3]
	buffer_store_dword v238, off, s[0:3], 0 offset:40
	buffer_store_dword v238, off, s[0:3], 0 offset:44
.LBB59_363:
	s_or_b64 exec, exec, s[4:5]
	s_waitcnt lgkmcnt(0)
	; wave barrier
	s_waitcnt lgkmcnt(0)
	buffer_load_dword v48, off, s[0:3], 0 offset:52
	buffer_load_dword v47, off, s[0:3], 0 offset:60
	;; [unrolled: 1-line block ×34, first 2 shown]
	ds_read_b128 v[30:33], v238 offset:528
	ds_read_b128 v[26:29], v238 offset:544
	;; [unrolled: 1-line block ×6, first 2 shown]
	buffer_load_dword v152, off, s[0:3], 0 offset:176
	buffer_load_dword v153, off, s[0:3], 0 offset:180
	ds_read_b128 v[10:13], v238 offset:624
	ds_read_b128 v[2:5], v238 offset:640
	buffer_load_dword v154, off, s[0:3], 0 offset:184
	buffer_load_dword v155, off, s[0:3], 0 offset:188
	;; [unrolled: 1-line block ×24, first 2 shown]
	v_cmp_lt_u32_e32 vcc, 4, v0
	s_waitcnt vmcnt(59) lgkmcnt(7)
	v_mul_f32_e32 v34, v30, v48
	s_waitcnt vmcnt(58)
	v_mul_f32_e32 v35, v32, v47
	s_waitcnt vmcnt(57) lgkmcnt(6)
	v_mul_f32_e32 v37, v28, v46
	s_waitcnt vmcnt(56) lgkmcnt(5)
	v_mul_f32_e32 v38, v22, v45
	s_waitcnt vmcnt(55)
	v_mul_f32_e32 v39, v24, v1
	s_waitcnt vmcnt(54)
	v_mul_f32_e32 v36, v26, v49
	s_waitcnt vmcnt(53) lgkmcnt(4)
	v_mul_f32_e32 v40, v18, v44
	s_waitcnt vmcnt(52)
	v_mul_f32_e32 v41, v20, v110
	s_waitcnt vmcnt(51) lgkmcnt(3)
	;; [unrolled: 4-line block ×3, first 2 shown]
	v_mul_f32_e32 v52, v6, v130
	s_waitcnt vmcnt(48)
	v_mul_f32_e32 v53, v8, v131
	s_waitcnt vmcnt(47)
	v_fmac_f32_e32 v36, v27, v132
	s_waitcnt vmcnt(46)
	v_fmac_f32_e32 v35, v33, v133
	;; [unrolled: 2-line block ×3, first 2 shown]
	v_add_f32_e32 v34, 0, v34
	v_add_f32_e32 v34, v34, v35
	;; [unrolled: 1-line block ×3, first 2 shown]
	s_waitcnt vmcnt(41)
	v_fmac_f32_e32 v37, v29, v138
	v_fmac_f32_e32 v38, v23, v137
	v_add_f32_e32 v34, v34, v37
	v_fmac_f32_e32 v39, v25, v136
	v_add_f32_e32 v34, v34, v38
	;; [unrolled: 2-line block ×3, first 2 shown]
	s_waitcnt vmcnt(37)
	v_fmac_f32_e32 v41, v21, v142
	v_add_f32_e32 v34, v34, v40
	v_fmac_f32_e32 v50, v15, v141
	v_add_f32_e32 v34, v34, v41
	;; [unrolled: 2-line block ×4, first 2 shown]
	s_waitcnt vmcnt(33)
	v_fmac_f32_e32 v53, v9, v146
	v_add_f32_e32 v34, v34, v52
	s_waitcnt vmcnt(32) lgkmcnt(1)
	v_mul_f32_e32 v35, v10, v147
	v_add_f32_e32 v34, v34, v53
	v_fmac_f32_e32 v35, v11, v145
	v_add_f32_e32 v34, v34, v35
	s_waitcnt vmcnt(31)
	v_mul_f32_e32 v35, v12, v148
	v_fmac_f32_e32 v35, v13, v144
	v_add_f32_e32 v34, v34, v35
	s_waitcnt vmcnt(30) lgkmcnt(0)
	v_mul_f32_e32 v35, v2, v149
	v_fmac_f32_e32 v35, v3, v143
	v_add_f32_e32 v38, v34, v35
	ds_read_b128 v[34:37], v238 offset:656
	buffer_load_dword v222, off, s[0:3], 0 offset:280
	buffer_load_dword v223, off, s[0:3], 0 offset:284
	;; [unrolled: 1-line block ×4, first 2 shown]
	s_waitcnt vmcnt(32)
	v_mul_f32_e32 v39, v4, v151
	v_fmac_f32_e32 v39, v5, v150
	v_add_f32_e32 v50, v38, v39
	ds_read_b128 v[38:41], v238 offset:672
	buffer_load_dword v226, off, s[0:3], 0 offset:296
	buffer_load_dword v227, off, s[0:3], 0 offset:300
	;; [unrolled: 1-line block ×12, first 2 shown]
	s_waitcnt vmcnt(40) lgkmcnt(1)
	v_mul_f32_e32 v51, v34, v153
	v_fmac_f32_e32 v51, v35, v152
	buffer_load_dword v239, off, s[0:3], 0 offset:344
	buffer_load_dword v240, off, s[0:3], 0 offset:348
	v_add_f32_e32 v50, v50, v51
	s_waitcnt vmcnt(40)
	v_mul_f32_e32 v51, v36, v155
	v_fmac_f32_e32 v51, v37, v154
	buffer_load_dword v241, off, s[0:3], 0 offset:352
	buffer_load_dword v242, off, s[0:3], 0 offset:356
	v_add_f32_e32 v50, v50, v51
	s_waitcnt vmcnt(40) lgkmcnt(0)
	v_mul_f32_e32 v51, v38, v157
	v_fmac_f32_e32 v51, v39, v156
	v_add_f32_e32 v54, v50, v51
	ds_read_b128 v[50:53], v238 offset:688
	buffer_load_dword v243, off, s[0:3], 0 offset:360
	buffer_load_dword v244, off, s[0:3], 0 offset:364
	s_waitcnt vmcnt(40)
	v_mul_f32_e32 v55, v40, v159
	v_fmac_f32_e32 v55, v41, v158
	v_add_f32_e32 v58, v54, v55
	ds_read_b128 v[54:57], v238 offset:704
	buffer_load_dword v245, off, s[0:3], 0 offset:368
	buffer_load_dword v246, off, s[0:3], 0 offset:372
	;; [unrolled: 1-line block ×8, first 2 shown]
	s_waitcnt vmcnt(46) lgkmcnt(1)
	v_mul_f32_e32 v59, v50, v161
	v_fmac_f32_e32 v59, v51, v160
	v_add_f32_e32 v58, v58, v59
	s_waitcnt vmcnt(44)
	v_mul_f32_e32 v59, v52, v163
	v_fmac_f32_e32 v59, v53, v162
	v_add_f32_e32 v58, v58, v59
	s_waitcnt vmcnt(42) lgkmcnt(0)
	v_mul_f32_e32 v59, v54, v165
	v_fmac_f32_e32 v59, v55, v164
	v_add_f32_e32 v62, v58, v59
	buffer_load_dword v253, off, s[0:3], 0 offset:400
	buffer_load_dword v254, off, s[0:3], 0 offset:404
	;; [unrolled: 1-line block ×4, first 2 shown]
	ds_read_b128 v[58:61], v238 offset:720
	s_waitcnt vmcnt(44)
	v_mul_f32_e32 v63, v56, v167
	v_fmac_f32_e32 v63, v57, v166
	v_add_f32_e32 v66, v62, v63
	ds_read_b128 v[62:65], v238 offset:736
	s_waitcnt vmcnt(42) lgkmcnt(1)
	v_mul_f32_e32 v67, v58, v169
	v_fmac_f32_e32 v67, v59, v168
	v_add_f32_e32 v66, v66, v67
	s_waitcnt vmcnt(40)
	v_mul_f32_e32 v67, v60, v171
	v_fmac_f32_e32 v67, v61, v170
	v_add_f32_e32 v66, v66, v67
	s_waitcnt vmcnt(38) lgkmcnt(0)
	v_mul_f32_e32 v67, v62, v173
	v_fmac_f32_e32 v67, v63, v172
	v_add_f32_e32 v70, v66, v67
	ds_read_b128 v[66:69], v238 offset:752
	s_waitcnt vmcnt(36)
	v_mul_f32_e32 v71, v64, v175
	v_fmac_f32_e32 v71, v65, v174
	v_add_f32_e32 v74, v70, v71
	ds_read_b128 v[70:73], v238 offset:768
	s_waitcnt vmcnt(34) lgkmcnt(1)
	v_mul_f32_e32 v75, v66, v177
	v_fmac_f32_e32 v75, v67, v176
	v_add_f32_e32 v74, v74, v75
	v_mul_f32_e32 v31, v31, v48
	v_fma_f32 v30, v30, v134, -v31
	v_mul_f32_e32 v31, v33, v47
	v_add_f32_e32 v30, 0, v30
	v_fma_f32 v31, v32, v133, -v31
	v_mul_f32_e32 v27, v27, v49
	v_add_f32_e32 v30, v30, v31
	;; [unrolled: 3-line block ×4, first 2 shown]
	v_fma_f32 v22, v22, v137, -v23
	v_mul_f32_e32 v1, v25, v1
	s_waitcnt vmcnt(32)
	v_mul_f32_e32 v75, v68, v223
	v_fmac_f32_e32 v75, v69, v222
	v_add_f32_e32 v74, v74, v75
	s_waitcnt vmcnt(30) lgkmcnt(0)
	v_mul_f32_e32 v75, v70, v225
	v_fmac_f32_e32 v75, v71, v224
	v_add_f32_e32 v78, v74, v75
	ds_read_b128 v[74:77], v238 offset:784
	s_waitcnt vmcnt(28)
	v_mul_f32_e32 v79, v72, v227
	v_fmac_f32_e32 v79, v73, v226
	v_add_f32_e32 v82, v78, v79
	ds_read_b128 v[78:81], v238 offset:800
	s_waitcnt vmcnt(26) lgkmcnt(1)
	v_mul_f32_e32 v83, v74, v229
	v_fmac_f32_e32 v83, v75, v228
	v_add_f32_e32 v82, v82, v83
	s_waitcnt vmcnt(24)
	v_mul_f32_e32 v83, v76, v231
	v_fmac_f32_e32 v83, v77, v230
	v_add_f32_e32 v82, v82, v83
	s_waitcnt vmcnt(22) lgkmcnt(0)
	v_mul_f32_e32 v83, v78, v233
	v_fmac_f32_e32 v83, v79, v232
	v_add_f32_e32 v86, v82, v83
	ds_read_b128 v[82:85], v238 offset:816
	s_waitcnt vmcnt(20)
	v_mul_f32_e32 v87, v80, v235
	v_fmac_f32_e32 v87, v81, v234
	v_add_f32_e32 v90, v86, v87
	ds_read_b128 v[86:89], v238 offset:832
	s_waitcnt vmcnt(18) lgkmcnt(1)
	v_mul_f32_e32 v91, v82, v237
	v_fmac_f32_e32 v91, v83, v236
	v_add_f32_e32 v90, v90, v91
	s_waitcnt vmcnt(16)
	v_mul_f32_e32 v91, v84, v240
	v_fmac_f32_e32 v91, v85, v239
	v_add_f32_e32 v90, v90, v91
	s_waitcnt vmcnt(14) lgkmcnt(0)
	v_mul_f32_e32 v91, v86, v242
	v_fmac_f32_e32 v91, v87, v241
	v_add_f32_e32 v94, v90, v91
	ds_read_b128 v[90:93], v238 offset:848
	s_waitcnt vmcnt(12)
	v_mul_f32_e32 v95, v88, v244
	v_fmac_f32_e32 v95, v89, v243
	v_add_f32_e32 v98, v94, v95
	ds_read_b128 v[94:97], v238 offset:864
	buffer_load_dword v109, off, s[0:3], 0 offset:420
	buffer_load_dword v108, off, s[0:3], 0 offset:416
	s_waitcnt vmcnt(12) lgkmcnt(1)
	v_mul_f32_e32 v99, v90, v246
	v_fmac_f32_e32 v99, v91, v245
	v_add_f32_e32 v98, v98, v99
	s_waitcnt vmcnt(10)
	v_mul_f32_e32 v99, v92, v248
	v_fmac_f32_e32 v99, v93, v247
	v_add_f32_e32 v98, v98, v99
	s_waitcnt vmcnt(8) lgkmcnt(0)
	v_mul_f32_e32 v99, v94, v250
	v_fmac_f32_e32 v99, v95, v249
	s_waitcnt vmcnt(6)
	v_mul_f32_e32 v105, v96, v252
	v_add_f32_e32 v22, v26, v22
	v_fma_f32 v1, v24, v136, -v1
	v_mul_f32_e32 v19, v19, v44
	v_add_f32_e32 v104, v98, v99
	v_fmac_f32_e32 v105, v97, v251
	v_add_f32_e32 v1, v22, v1
	v_fma_f32 v18, v18, v135, -v19
	ds_read_b128 v[98:101], v238 offset:880
	v_add_f32_e32 v111, v104, v105
	ds_read_b128 v[104:107], v238 offset:896
	buffer_load_dword v117, off, s[0:3], 0 offset:452
	buffer_load_dword v116, off, s[0:3], 0 offset:448
	;; [unrolled: 1-line block ×14, first 2 shown]
	v_add_f32_e32 v1, v1, v18
	v_mul_f32_e32 v18, v21, v110
	v_fma_f32 v18, v20, v142, -v18
	v_mul_f32_e32 v15, v15, v112
	v_add_f32_e32 v1, v1, v18
	v_fma_f32 v14, v14, v141, -v15
	v_add_f32_e32 v1, v1, v14
	v_mul_f32_e32 v14, v17, v114
	v_fma_f32 v14, v16, v140, -v14
	v_mul_f32_e32 v7, v7, v130
	v_add_f32_e32 v1, v1, v14
	v_fma_f32 v6, v6, v139, -v7
	v_add_f32_e32 v1, v1, v6
	v_mul_f32_e32 v6, v9, v131
	v_fma_f32 v6, v8, v146, -v6
	v_add_f32_e32 v1, v1, v6
	v_mul_f32_e32 v6, v11, v147
	;; [unrolled: 3-line block ×3, first 2 shown]
	v_fma_f32 v6, v12, v144, -v6
	v_mul_f32_e32 v3, v3, v149
	v_add_f32_e32 v1, v1, v6
	v_fma_f32 v2, v2, v143, -v3
	v_add_f32_e32 v1, v1, v2
	v_mul_f32_e32 v2, v5, v151
	v_fma_f32 v2, v4, v150, -v2
	v_add_f32_e32 v1, v1, v2
	v_mul_f32_e32 v2, v35, v153
	;; [unrolled: 3-line block ×29, first 2 shown]
	v_fma_f32 v2, v96, v251, -v2
	s_waitcnt vmcnt(15)
	v_mov_b32_e32 v16, v109
	s_waitcnt lgkmcnt(1)
	v_mul_f32_e32 v113, v98, v254
	v_add_f32_e32 v110, v1, v2
	v_mul_f32_e32 v1, v99, v254
	s_waitcnt lgkmcnt(0)
	v_pk_mul_f32 v[16:17], v[104:105], v[16:17] op_sel_hi:[1,0]
	v_fmac_f32_e32 v113, v99, v253
	v_mul_f32_e32 v115, v100, v178
	v_fma_f32 v112, v98, v253, -v1
	v_mul_f32_e32 v1, v101, v178
	s_waitcnt vmcnt(14)
	v_pk_fma_f32 v[18:19], v[104:105], v[108:109], v[16:17] op_sel:[0,0,1] op_sel_hi:[1,1,0] neg_lo:[0,0,1] neg_hi:[0,0,1]
	v_pk_fma_f32 v[16:17], v[104:105], v[108:109], v[16:17] op_sel:[0,0,1] op_sel_hi:[1,0,0]
	v_fmac_f32_e32 v115, v101, v255
	v_fma_f32 v114, v100, v255, -v1
	v_pk_add_f32 v[14:15], v[110:111], v[112:113]
	s_waitcnt vmcnt(7)
	v_mov_b32_e32 v16, v123
	ds_read_b128 v[2:5], v238 offset:912
	ds_read_b128 v[6:9], v238 offset:928
	;; [unrolled: 1-line block ×3, first 2 shown]
	v_pk_add_f32 v[14:15], v[14:15], v[114:115]
	v_mov_b32_e32 v19, v17
	v_pk_mul_f32 v[16:17], v[106:107], v[16:17] op_sel_hi:[1,0]
	v_pk_add_f32 v[14:15], v[14:15], v[18:19]
	s_waitcnt vmcnt(6)
	v_pk_fma_f32 v[18:19], v[106:107], v[122:123], v[16:17] op_sel:[0,0,1] op_sel_hi:[1,1,0] neg_lo:[0,0,1] neg_hi:[0,0,1]
	v_pk_fma_f32 v[16:17], v[106:107], v[122:123], v[16:17] op_sel:[0,0,1] op_sel_hi:[1,0,0]
	v_mov_b32_e32 v16, v121
	v_mov_b32_e32 v19, v17
	s_waitcnt lgkmcnt(2)
	v_pk_mul_f32 v[16:17], v[2:3], v[16:17] op_sel_hi:[1,0]
	v_pk_add_f32 v[14:15], v[14:15], v[18:19]
	v_pk_fma_f32 v[18:19], v[2:3], v[120:121], v[16:17] op_sel:[0,0,1] op_sel_hi:[1,1,0] neg_lo:[0,0,1] neg_hi:[0,0,1]
	v_pk_fma_f32 v[2:3], v[2:3], v[120:121], v[16:17] op_sel:[0,0,1] op_sel_hi:[1,0,0]
	v_mov_b32_e32 v19, v3
	v_pk_add_f32 v[2:3], v[14:15], v[18:19]
	v_mov_b32_e32 v14, v119
	v_pk_mul_f32 v[14:15], v[4:5], v[14:15] op_sel_hi:[1,0]
	v_pk_fma_f32 v[16:17], v[4:5], v[118:119], v[14:15] op_sel:[0,0,1] op_sel_hi:[1,1,0] neg_lo:[0,0,1] neg_hi:[0,0,1]
	v_pk_fma_f32 v[4:5], v[4:5], v[118:119], v[14:15] op_sel:[0,0,1] op_sel_hi:[1,0,0]
	v_mov_b32_e32 v4, v117
	v_mov_b32_e32 v17, v5
	s_waitcnt lgkmcnt(1)
	v_pk_mul_f32 v[4:5], v[6:7], v[4:5] op_sel_hi:[1,0]
	v_pk_fma_f32 v[14:15], v[6:7], v[116:117], v[4:5] op_sel:[0,0,1] op_sel_hi:[1,1,0] neg_lo:[0,0,1] neg_hi:[0,0,1]
	v_pk_fma_f32 v[4:5], v[6:7], v[116:117], v[4:5] op_sel:[0,0,1] op_sel_hi:[1,0,0]
	s_waitcnt vmcnt(1)
	v_mov_b32_e32 v4, v129
	v_mov_b32_e32 v15, v5
	v_pk_mul_f32 v[4:5], v[8:9], v[4:5] op_sel_hi:[1,0]
	s_waitcnt vmcnt(0)
	v_pk_fma_f32 v[6:7], v[8:9], v[128:129], v[4:5] op_sel:[0,0,1] op_sel_hi:[1,1,0] neg_lo:[0,0,1] neg_hi:[0,0,1]
	v_pk_fma_f32 v[4:5], v[8:9], v[128:129], v[4:5] op_sel:[0,0,1] op_sel_hi:[1,0,0]
	v_pk_add_f32 v[2:3], v[2:3], v[16:17]
	v_mov_b32_e32 v4, v127
	v_pk_add_f32 v[2:3], v[2:3], v[14:15]
	v_mov_b32_e32 v7, v5
	s_waitcnt lgkmcnt(0)
	v_pk_mul_f32 v[4:5], v[10:11], v[4:5] op_sel_hi:[1,0]
	v_pk_add_f32 v[2:3], v[2:3], v[6:7]
	v_pk_fma_f32 v[6:7], v[10:11], v[126:127], v[4:5] op_sel:[0,0,1] op_sel_hi:[1,1,0] neg_lo:[0,0,1] neg_hi:[0,0,1]
	v_pk_fma_f32 v[4:5], v[10:11], v[126:127], v[4:5] op_sel:[0,0,1] op_sel_hi:[1,0,0]
	v_mov_b32_e32 v4, v125
	v_mov_b32_e32 v7, v5
	v_pk_mul_f32 v[4:5], v[12:13], v[4:5] op_sel_hi:[1,0]
	v_pk_add_f32 v[2:3], v[2:3], v[6:7]
	v_pk_fma_f32 v[6:7], v[12:13], v[124:125], v[4:5] op_sel:[0,0,1] op_sel_hi:[1,1,0] neg_lo:[0,0,1] neg_hi:[0,0,1]
	v_pk_fma_f32 v[4:5], v[12:13], v[124:125], v[4:5] op_sel:[0,0,1] op_sel_hi:[1,0,0]
	v_mov_b32_e32 v7, v5
	v_pk_add_f32 v[2:3], v[2:3], v[6:7]
	v_pk_add_f32 v[2:3], v[42:43], v[2:3] neg_lo:[0,1] neg_hi:[0,1]
	buffer_store_dword v3, off, s[0:3], 0 offset:44
	buffer_store_dword v2, off, s[0:3], 0 offset:40
	s_and_saveexec_b64 s[4:5], vcc
	s_cbranch_execz .LBB59_365
; %bb.364:
	buffer_load_dword v2, off, s[0:3], 0 offset:32
	buffer_load_dword v3, off, s[0:3], 0 offset:36
	v_mov_b32_e32 v1, 0
	buffer_store_dword v1, off, s[0:3], 0 offset:32
	buffer_store_dword v1, off, s[0:3], 0 offset:36
	s_waitcnt vmcnt(2)
	ds_write_b64 v195, v[2:3]
.LBB59_365:
	s_or_b64 exec, exec, s[4:5]
	s_waitcnt lgkmcnt(0)
	; wave barrier
	s_waitcnt lgkmcnt(0)
	buffer_load_dword v57, off, s[0:3], 0 offset:44
	buffer_load_dword v56, off, s[0:3], 0 offset:52
	;; [unrolled: 1-line block ×48, first 2 shown]
	v_mov_b32_e32 v52, 0
	ds_read2_b64 v[22:25], v52 offset0:65 offset1:66
	ds_read2_b64 v[18:21], v52 offset0:67 offset1:68
	;; [unrolled: 1-line block ×6, first 2 shown]
	v_cmp_lt_u32_e32 vcc, 3, v0
	s_waitcnt vmcnt(47) lgkmcnt(5)
	v_mul_f32_e32 v26, v22, v57
	s_waitcnt vmcnt(46)
	v_mul_f32_e32 v27, v24, v56
	s_waitcnt vmcnt(45) lgkmcnt(4)
	v_mul_f32_e32 v29, v20, v55
	s_waitcnt vmcnt(44) lgkmcnt(3)
	v_mul_f32_e32 v30, v14, v54
	s_waitcnt vmcnt(43)
	v_mul_f32_e32 v31, v16, v1
	s_waitcnt vmcnt(42)
	v_mul_f32_e32 v28, v18, v58
	s_waitcnt vmcnt(41) lgkmcnt(2)
	v_mul_f32_e32 v32, v10, v53
	s_waitcnt vmcnt(40)
	v_mul_f32_e32 v33, v12, v59
	s_waitcnt vmcnt(39) lgkmcnt(1)
	v_mul_f32_e32 v34, v6, v60
	s_waitcnt vmcnt(38)
	v_mul_f32_e32 v35, v8, v61
	s_waitcnt vmcnt(37) lgkmcnt(0)
	v_mul_f32_e32 v36, v2, v62
	s_waitcnt vmcnt(36)
	v_mul_f32_e32 v37, v4, v63
	s_waitcnt vmcnt(35)
	v_fmac_f32_e32 v28, v19, v69
	s_waitcnt vmcnt(34)
	v_fmac_f32_e32 v27, v25, v72
	;; [unrolled: 2-line block ×3, first 2 shown]
	v_add_f32_e32 v26, 0, v26
	v_add_f32_e32 v26, v26, v27
	;; [unrolled: 1-line block ×3, first 2 shown]
	s_waitcnt vmcnt(29)
	v_fmac_f32_e32 v29, v21, v74
	v_fmac_f32_e32 v30, v15, v71
	v_add_f32_e32 v26, v26, v29
	v_fmac_f32_e32 v31, v17, v68
	v_add_f32_e32 v26, v26, v30
	;; [unrolled: 2-line block ×3, first 2 shown]
	s_waitcnt vmcnt(25)
	v_fmac_f32_e32 v33, v13, v70
	v_add_f32_e32 v26, v26, v32
	v_fmac_f32_e32 v34, v7, v67
	v_add_f32_e32 v26, v26, v33
	;; [unrolled: 2-line block ×4, first 2 shown]
	s_waitcnt vmcnt(21)
	v_fmac_f32_e32 v37, v5, v81
	v_add_f32_e32 v30, v30, v36
	ds_read2_b64 v[26:29], v52 offset0:77 offset1:78
	v_add_f32_e32 v34, v30, v37
	ds_read2_b64 v[30:33], v52 offset0:79 offset1:80
	buffer_load_dword v167, off, s[0:3], 0 offset:224
	buffer_load_dword v168, off, s[0:3], 0 offset:228
	;; [unrolled: 1-line block ×6, first 2 shown]
	s_waitcnt vmcnt(26) lgkmcnt(1)
	v_mul_f32_e32 v35, v26, v80
	v_fmac_f32_e32 v35, v27, v78
	buffer_load_dword v173, off, s[0:3], 0 offset:248
	buffer_load_dword v174, off, s[0:3], 0 offset:252
	v_add_f32_e32 v34, v34, v35
	s_waitcnt vmcnt(27)
	v_mul_f32_e32 v35, v28, v79
	v_fmac_f32_e32 v35, v29, v76
	v_add_f32_e32 v34, v34, v35
	s_waitcnt vmcnt(26) lgkmcnt(0)
	v_mul_f32_e32 v35, v30, v77
	v_fmac_f32_e32 v35, v31, v73
	buffer_load_dword v175, off, s[0:3], 0 offset:256
	buffer_load_dword v176, off, s[0:3], 0 offset:260
	v_add_f32_e32 v34, v34, v35
	s_waitcnt vmcnt(21)
	v_mul_f32_e32 v35, v32, v140
	s_waitcnt vmcnt(20)
	v_fmac_f32_e32 v35, v33, v142
	v_add_f32_e32 v42, v34, v35
	ds_read2_b64 v[34:37], v52 offset0:81 offset1:82
	buffer_load_dword v177, off, s[0:3], 0 offset:264
	buffer_load_dword v178, off, s[0:3], 0 offset:268
	ds_read2_b64 v[38:41], v52 offset0:83 offset1:84
	buffer_load_dword v179, off, s[0:3], 0 offset:272
	buffer_load_dword v222, off, s[0:3], 0 offset:276
	;; [unrolled: 1-line block ×12, first 2 shown]
	s_waitcnt lgkmcnt(1)
	v_mul_f32_e32 v43, v34, v83
	v_fmac_f32_e32 v43, v35, v82
	buffer_load_dword v233, off, s[0:3], 0 offset:320
	buffer_load_dword v234, off, s[0:3], 0 offset:324
	v_add_f32_e32 v42, v42, v43
	v_mul_f32_e32 v43, v36, v85
	v_fmac_f32_e32 v43, v37, v84
	v_add_f32_e32 v42, v42, v43
	s_waitcnt lgkmcnt(0)
	v_mul_f32_e32 v43, v38, v87
	buffer_load_dword v235, off, s[0:3], 0 offset:328
	buffer_load_dword v236, off, s[0:3], 0 offset:332
	v_fmac_f32_e32 v43, v39, v86
	v_add_f32_e32 v46, v42, v43
	ds_read2_b64 v[42:45], v52 offset0:85 offset1:86
	buffer_load_dword v237, off, s[0:3], 0 offset:336
	buffer_load_dword v238, off, s[0:3], 0 offset:340
	;; [unrolled: 1-line block ×4, first 2 shown]
	s_waitcnt vmcnt(38)
	v_mul_f32_e32 v47, v40, v160
	v_fmac_f32_e32 v47, v41, v88
	v_add_f32_e32 v89, v46, v47
	ds_read2_b64 v[46:49], v52 offset0:87 offset1:88
	buffer_load_dword v241, off, s[0:3], 0 offset:352
	buffer_load_dword v242, off, s[0:3], 0 offset:356
	;; [unrolled: 1-line block ×10, first 2 shown]
	s_waitcnt vmcnt(46) lgkmcnt(1)
	v_mul_f32_e32 v90, v42, v162
	v_fmac_f32_e32 v90, v43, v161
	v_add_f32_e32 v89, v89, v90
	s_waitcnt vmcnt(44)
	v_mul_f32_e32 v90, v44, v164
	v_fmac_f32_e32 v90, v45, v163
	v_add_f32_e32 v89, v89, v90
	s_waitcnt vmcnt(42) lgkmcnt(0)
	v_mul_f32_e32 v90, v46, v166
	v_fmac_f32_e32 v90, v47, v165
	v_add_f32_e32 v89, v89, v90
	buffer_load_dword v251, off, s[0:3], 0 offset:392
	buffer_load_dword v252, off, s[0:3], 0 offset:396
	;; [unrolled: 1-line block ×6, first 2 shown]
	ds_read2_b64 v[90:93], v52 offset0:89 offset1:90
	v_mul_f32_e32 v23, v23, v57
	v_fma_f32 v22, v22, v75, -v23
	v_mul_f32_e32 v23, v25, v56
	v_add_f32_e32 v22, 0, v22
	v_fma_f32 v23, v24, v72, -v23
	v_mul_f32_e32 v19, v19, v58
	v_add_f32_e32 v22, v22, v23
	;; [unrolled: 3-line block ×6, first 2 shown]
	v_fma_f32 v10, v10, v66, -v11
	s_waitcnt vmcnt(46)
	v_mul_f32_e32 v94, v48, v168
	v_fmac_f32_e32 v94, v49, v167
	v_add_f32_e32 v89, v89, v94
	ds_read2_b64 v[94:97], v52 offset0:91 offset1:92
	s_waitcnt vmcnt(44) lgkmcnt(1)
	v_mul_f32_e32 v98, v90, v170
	v_fmac_f32_e32 v98, v91, v169
	v_add_f32_e32 v89, v89, v98
	s_waitcnt vmcnt(42)
	v_mul_f32_e32 v98, v92, v172
	v_fmac_f32_e32 v98, v93, v171
	v_add_f32_e32 v89, v89, v98
	s_waitcnt vmcnt(40) lgkmcnt(0)
	v_mul_f32_e32 v98, v94, v174
	v_fmac_f32_e32 v98, v95, v173
	v_add_f32_e32 v89, v89, v98
	ds_read2_b64 v[98:101], v52 offset0:93 offset1:94
	s_waitcnt vmcnt(38)
	v_mul_f32_e32 v104, v96, v176
	v_fmac_f32_e32 v104, v97, v175
	v_add_f32_e32 v89, v89, v104
	ds_read2_b64 v[104:107], v52 offset0:95 offset1:96
	s_waitcnt vmcnt(36) lgkmcnt(1)
	v_mul_f32_e32 v108, v98, v178
	v_fmac_f32_e32 v108, v99, v177
	v_add_f32_e32 v89, v89, v108
	s_waitcnt vmcnt(34)
	v_mul_f32_e32 v108, v100, v222
	v_fmac_f32_e32 v108, v101, v179
	v_add_f32_e32 v89, v89, v108
	s_waitcnt vmcnt(32) lgkmcnt(0)
	v_mul_f32_e32 v108, v104, v224
	v_fmac_f32_e32 v108, v105, v223
	v_add_f32_e32 v89, v89, v108
	ds_read2_b64 v[108:111], v52 offset0:97 offset1:98
	;; [unrolled: 18-line block ×4, first 2 shown]
	s_waitcnt vmcnt(14)
	v_mul_f32_e32 v128, v122, v242
	v_fmac_f32_e32 v128, v123, v241
	v_add_f32_e32 v89, v89, v128
	ds_read2_b64 v[128:131], v52 offset0:107 offset1:108
	s_waitcnt vmcnt(12) lgkmcnt(1)
	v_mul_f32_e32 v132, v124, v244
	v_fmac_f32_e32 v132, v125, v243
	v_add_f32_e32 v89, v89, v132
	s_waitcnt vmcnt(10)
	v_mul_f32_e32 v132, v126, v246
	v_fmac_f32_e32 v132, v127, v245
	v_add_f32_e32 v89, v89, v132
	s_waitcnt vmcnt(8) lgkmcnt(0)
	v_mul_f32_e32 v132, v128, v248
	v_fmac_f32_e32 v132, v129, v247
	s_waitcnt vmcnt(6)
	v_mul_f32_e32 v136, v130, v250
	v_add_f32_e32 v1, v1, v10
	v_mul_f32_e32 v10, v13, v59
	v_add_f32_e32 v89, v89, v132
	v_fmac_f32_e32 v136, v131, v249
	v_fma_f32 v10, v12, v70, -v10
	v_mul_f32_e32 v7, v7, v60
	ds_read2_b64 v[132:135], v52 offset0:109 offset1:110
	v_add_f32_e32 v89, v89, v136
	ds_read2_b64 v[136:139], v52 offset0:111 offset1:112
	buffer_load_dword v145, off, s[0:3], 0 offset:444
	buffer_load_dword v144, off, s[0:3], 0 offset:440
	;; [unrolled: 1-line block ×16, first 2 shown]
	v_add_f32_e32 v1, v1, v10
	v_fma_f32 v6, v6, v67, -v7
	v_add_f32_e32 v1, v1, v6
	v_mul_f32_e32 v6, v9, v61
	v_fma_f32 v6, v8, v65, -v6
	v_mul_f32_e32 v3, v3, v62
	v_add_f32_e32 v1, v1, v6
	v_fma_f32 v2, v2, v64, -v3
	v_add_f32_e32 v1, v1, v2
	v_mul_f32_e32 v2, v5, v63
	v_fma_f32 v2, v4, v81, -v2
	v_add_f32_e32 v1, v1, v2
	v_mul_f32_e32 v2, v27, v80
	;; [unrolled: 3-line block ×33, first 2 shown]
	v_fma_f32 v2, v130, v249, -v2
	s_waitcnt vmcnt(20) lgkmcnt(1)
	v_mul_f32_e32 v141, v132, v252
	v_add_f32_e32 v1, v1, v2
	v_mul_f32_e32 v2, v133, v252
	v_fmac_f32_e32 v141, v133, v251
	v_fma_f32 v2, v132, v251, -v2
	s_waitcnt vmcnt(9)
	v_mov_b32_e32 v18, v151
	v_add_f32_e32 v89, v89, v141
	v_mul_f32_e32 v141, v134, v254
	v_add_f32_e32 v88, v1, v2
	v_mul_f32_e32 v1, v135, v254
	s_waitcnt lgkmcnt(0)
	v_pk_mul_f32 v[18:19], v[138:139], v[18:19] op_sel_hi:[1,0]
	v_fmac_f32_e32 v141, v135, v253
	v_mul_f32_e32 v143, v136, v180
	v_fma_f32 v140, v134, v253, -v1
	v_mul_f32_e32 v1, v137, v180
	ds_read2_b64 v[2:5], v52 offset0:113 offset1:114
	ds_read2_b64 v[6:9], v52 offset0:115 offset1:116
	ds_read2_b64 v[10:13], v52 offset0:117 offset1:118
	ds_read_b64 v[14:15], v52 offset:952
	s_waitcnt vmcnt(8)
	v_pk_fma_f32 v[20:21], v[138:139], v[150:151], v[18:19] op_sel:[0,0,1] op_sel_hi:[1,1,0] neg_lo:[0,0,1] neg_hi:[0,0,1]
	v_pk_fma_f32 v[18:19], v[138:139], v[150:151], v[18:19] op_sel:[0,0,1] op_sel_hi:[1,0,0]
	v_fmac_f32_e32 v143, v137, v255
	v_fma_f32 v142, v136, v255, -v1
	v_pk_add_f32 v[16:17], v[88:89], v[140:141]
	v_mov_b32_e32 v18, v149
	v_pk_add_f32 v[16:17], v[16:17], v[142:143]
	v_mov_b32_e32 v21, v19
	s_waitcnt lgkmcnt(3)
	v_pk_mul_f32 v[18:19], v[2:3], v[18:19] op_sel_hi:[1,0]
	v_pk_add_f32 v[16:17], v[16:17], v[20:21]
	v_pk_fma_f32 v[20:21], v[2:3], v[148:149], v[18:19] op_sel:[0,0,1] op_sel_hi:[1,1,0] neg_lo:[0,0,1] neg_hi:[0,0,1]
	v_pk_fma_f32 v[2:3], v[2:3], v[148:149], v[18:19] op_sel:[0,0,1] op_sel_hi:[1,0,0]
	v_mov_b32_e32 v21, v3
	v_pk_add_f32 v[2:3], v[16:17], v[20:21]
	v_mov_b32_e32 v16, v147
	v_pk_mul_f32 v[16:17], v[4:5], v[16:17] op_sel_hi:[1,0]
	v_pk_fma_f32 v[18:19], v[4:5], v[146:147], v[16:17] op_sel:[0,0,1] op_sel_hi:[1,1,0] neg_lo:[0,0,1] neg_hi:[0,0,1]
	v_pk_fma_f32 v[4:5], v[4:5], v[146:147], v[16:17] op_sel:[0,0,1] op_sel_hi:[1,0,0]
	v_mov_b32_e32 v4, v145
	v_mov_b32_e32 v19, v5
	s_waitcnt lgkmcnt(2)
	v_pk_mul_f32 v[4:5], v[6:7], v[4:5] op_sel_hi:[1,0]
	v_pk_fma_f32 v[16:17], v[6:7], v[144:145], v[4:5] op_sel:[0,0,1] op_sel_hi:[1,1,0] neg_lo:[0,0,1] neg_hi:[0,0,1]
	v_pk_fma_f32 v[4:5], v[6:7], v[144:145], v[4:5] op_sel:[0,0,1] op_sel_hi:[1,0,0]
	s_waitcnt vmcnt(1)
	v_mov_b32_e32 v4, v159
	v_mov_b32_e32 v17, v5
	v_pk_mul_f32 v[4:5], v[8:9], v[4:5] op_sel_hi:[1,0]
	s_waitcnt vmcnt(0)
	v_pk_fma_f32 v[6:7], v[8:9], v[158:159], v[4:5] op_sel:[0,0,1] op_sel_hi:[1,1,0] neg_lo:[0,0,1] neg_hi:[0,0,1]
	v_pk_fma_f32 v[4:5], v[8:9], v[158:159], v[4:5] op_sel:[0,0,1] op_sel_hi:[1,0,0]
	v_pk_add_f32 v[2:3], v[2:3], v[18:19]
	v_mov_b32_e32 v4, v157
	v_pk_add_f32 v[2:3], v[2:3], v[16:17]
	v_mov_b32_e32 v7, v5
	s_waitcnt lgkmcnt(1)
	v_pk_mul_f32 v[4:5], v[10:11], v[4:5] op_sel_hi:[1,0]
	v_pk_add_f32 v[2:3], v[2:3], v[6:7]
	v_pk_fma_f32 v[6:7], v[10:11], v[156:157], v[4:5] op_sel:[0,0,1] op_sel_hi:[1,1,0] neg_lo:[0,0,1] neg_hi:[0,0,1]
	v_pk_fma_f32 v[4:5], v[10:11], v[156:157], v[4:5] op_sel:[0,0,1] op_sel_hi:[1,0,0]
	v_mov_b32_e32 v4, v155
	v_mov_b32_e32 v7, v5
	v_pk_mul_f32 v[4:5], v[12:13], v[4:5] op_sel_hi:[1,0]
	v_pk_add_f32 v[2:3], v[2:3], v[6:7]
	v_pk_fma_f32 v[6:7], v[12:13], v[154:155], v[4:5] op_sel:[0,0,1] op_sel_hi:[1,1,0] neg_lo:[0,0,1] neg_hi:[0,0,1]
	v_pk_fma_f32 v[4:5], v[12:13], v[154:155], v[4:5] op_sel:[0,0,1] op_sel_hi:[1,0,0]
	v_mov_b32_e32 v4, v153
	v_mov_b32_e32 v7, v5
	s_waitcnt lgkmcnt(0)
	v_pk_mul_f32 v[4:5], v[14:15], v[4:5] op_sel_hi:[1,0]
	v_pk_add_f32 v[2:3], v[2:3], v[6:7]
	v_pk_fma_f32 v[6:7], v[14:15], v[152:153], v[4:5] op_sel:[0,0,1] op_sel_hi:[1,1,0] neg_lo:[0,0,1] neg_hi:[0,0,1]
	v_pk_fma_f32 v[4:5], v[14:15], v[152:153], v[4:5] op_sel:[0,0,1] op_sel_hi:[1,0,0]
	v_mov_b32_e32 v7, v5
	v_pk_add_f32 v[2:3], v[2:3], v[6:7]
	v_pk_add_f32 v[2:3], v[50:51], v[2:3] neg_lo:[0,1] neg_hi:[0,1]
	buffer_store_dword v3, off, s[0:3], 0 offset:36
	buffer_store_dword v2, off, s[0:3], 0 offset:32
	s_and_saveexec_b64 s[4:5], vcc
	s_cbranch_execz .LBB59_367
; %bb.366:
	buffer_load_dword v2, off, s[0:3], 0 offset:24
	buffer_load_dword v3, off, s[0:3], 0 offset:28
	s_waitcnt vmcnt(0)
	ds_write_b64 v195, v[2:3]
	buffer_store_dword v52, off, s[0:3], 0 offset:24
	buffer_store_dword v52, off, s[0:3], 0 offset:28
.LBB59_367:
	s_or_b64 exec, exec, s[4:5]
	s_waitcnt lgkmcnt(0)
	; wave barrier
	s_waitcnt lgkmcnt(0)
	buffer_load_dword v57, off, s[0:3], 0 offset:36
	buffer_load_dword v56, off, s[0:3], 0 offset:44
	;; [unrolled: 1-line block ×40, first 2 shown]
	ds_read_b128 v[26:29], v52 offset:512
	ds_read_b128 v[22:25], v52 offset:528
	;; [unrolled: 1-line block ×7, first 2 shown]
	buffer_load_dword v90, off, s[0:3], 0 offset:184
	buffer_load_dword v91, off, s[0:3], 0 offset:188
	buffer_load_dword v92, off, s[0:3], 0 offset:192
	buffer_load_dword v93, off, s[0:3], 0 offset:196
	buffer_load_dword v94, off, s[0:3], 0 offset:200
	buffer_load_dword v100, off, s[0:3], 0 offset:204
	buffer_load_dword v154, off, s[0:3], 0 offset:208
	buffer_load_dword v166, off, s[0:3], 0 offset:212
	buffer_load_dword v167, off, s[0:3], 0 offset:216
	buffer_load_dword v168, off, s[0:3], 0 offset:220
	v_cmp_lt_u32_e32 vcc, 2, v0
	s_waitcnt vmcnt(49) lgkmcnt(6)
	v_mul_f32_e32 v30, v26, v57
	s_waitcnt vmcnt(48)
	v_mul_f32_e32 v31, v28, v56
	s_waitcnt vmcnt(47) lgkmcnt(5)
	v_mul_f32_e32 v33, v24, v55
	s_waitcnt vmcnt(46) lgkmcnt(4)
	v_mul_f32_e32 v34, v18, v54
	s_waitcnt vmcnt(45)
	v_mul_f32_e32 v35, v20, v1
	s_waitcnt vmcnt(44)
	v_mul_f32_e32 v32, v22, v58
	s_waitcnt vmcnt(43) lgkmcnt(3)
	v_mul_f32_e32 v36, v14, v53
	s_waitcnt vmcnt(42)
	v_mul_f32_e32 v37, v16, v59
	s_waitcnt vmcnt(41) lgkmcnt(2)
	;; [unrolled: 4-line block ×3, first 2 shown]
	v_mul_f32_e32 v40, v6, v62
	s_waitcnt vmcnt(38)
	v_mul_f32_e32 v41, v8, v63
	s_waitcnt vmcnt(37)
	v_fmac_f32_e32 v32, v23, v69
	s_waitcnt vmcnt(36)
	v_fmac_f32_e32 v31, v29, v72
	;; [unrolled: 2-line block ×3, first 2 shown]
	v_add_f32_e32 v30, 0, v30
	v_add_f32_e32 v30, v30, v31
	;; [unrolled: 1-line block ×3, first 2 shown]
	s_waitcnt vmcnt(31)
	v_fmac_f32_e32 v33, v25, v74
	v_fmac_f32_e32 v34, v19, v71
	v_add_f32_e32 v30, v30, v33
	v_fmac_f32_e32 v35, v21, v68
	v_add_f32_e32 v30, v30, v34
	;; [unrolled: 2-line block ×3, first 2 shown]
	s_waitcnt vmcnt(27)
	v_fmac_f32_e32 v37, v17, v70
	v_add_f32_e32 v30, v30, v36
	v_fmac_f32_e32 v38, v11, v67
	v_add_f32_e32 v30, v30, v37
	;; [unrolled: 2-line block ×4, first 2 shown]
	s_waitcnt vmcnt(23)
	v_fmac_f32_e32 v41, v9, v81
	v_add_f32_e32 v30, v30, v40
	v_add_f32_e32 v34, v30, v41
	ds_read_b128 v[30:33], v52 offset:624
	s_waitcnt vmcnt(22) lgkmcnt(1)
	v_mul_f32_e32 v35, v2, v80
	buffer_load_dword v169, off, s[0:3], 0 offset:224
	buffer_load_dword v170, off, s[0:3], 0 offset:228
	v_fmac_f32_e32 v35, v3, v78
	v_add_f32_e32 v34, v34, v35
	s_waitcnt vmcnt(23)
	v_mul_f32_e32 v35, v4, v79
	buffer_load_dword v171, off, s[0:3], 0 offset:232
	buffer_load_dword v172, off, s[0:3], 0 offset:236
	v_fmac_f32_e32 v35, v5, v76
	v_add_f32_e32 v34, v34, v35
	s_waitcnt vmcnt(24) lgkmcnt(0)
	v_mul_f32_e32 v35, v30, v77
	buffer_load_dword v173, off, s[0:3], 0 offset:240
	buffer_load_dword v174, off, s[0:3], 0 offset:244
	v_fmac_f32_e32 v35, v31, v73
	v_add_f32_e32 v38, v34, v35
	s_waitcnt vmcnt(19)
	v_mul_f32_e32 v39, v32, v89
	ds_read_b128 v[34:37], v52 offset:640
	buffer_load_dword v175, off, s[0:3], 0 offset:248
	buffer_load_dword v176, off, s[0:3], 0 offset:252
	s_waitcnt vmcnt(20)
	v_fmac_f32_e32 v39, v33, v88
	v_add_f32_e32 v42, v38, v39
	ds_read_b128 v[38:41], v52 offset:656
	buffer_load_dword v177, off, s[0:3], 0 offset:256
	buffer_load_dword v178, off, s[0:3], 0 offset:260
	;; [unrolled: 1-line block ×8, first 2 shown]
	s_waitcnt lgkmcnt(1)
	v_mul_f32_e32 v43, v34, v83
	buffer_load_dword v225, off, s[0:3], 0 offset:288
	buffer_load_dword v226, off, s[0:3], 0 offset:292
	v_fmac_f32_e32 v43, v35, v82
	v_add_f32_e32 v42, v42, v43
	v_mul_f32_e32 v43, v36, v85
	buffer_load_dword v227, off, s[0:3], 0 offset:296
	buffer_load_dword v228, off, s[0:3], 0 offset:300
	v_fmac_f32_e32 v43, v37, v84
	v_add_f32_e32 v42, v42, v43
	s_waitcnt lgkmcnt(0)
	v_mul_f32_e32 v43, v38, v87
	buffer_load_dword v229, off, s[0:3], 0 offset:304
	buffer_load_dword v230, off, s[0:3], 0 offset:308
	v_fmac_f32_e32 v43, v39, v86
	v_add_f32_e32 v42, v42, v43
	s_waitcnt vmcnt(30)
	v_mul_f32_e32 v43, v40, v91
	buffer_load_dword v231, off, s[0:3], 0 offset:312
	buffer_load_dword v232, off, s[0:3], 0 offset:316
	v_fmac_f32_e32 v43, v41, v90
	v_add_f32_e32 v95, v42, v43
	ds_read_b128 v[42:45], v52 offset:672
	buffer_load_dword v233, off, s[0:3], 0 offset:320
	buffer_load_dword v234, off, s[0:3], 0 offset:324
	ds_read_b128 v[46:49], v52 offset:688
	buffer_load_dword v235, off, s[0:3], 0 offset:328
	buffer_load_dword v236, off, s[0:3], 0 offset:332
	;; [unrolled: 1-line block ×10, first 2 shown]
	s_waitcnt vmcnt(42) lgkmcnt(1)
	v_mul_f32_e32 v96, v42, v93
	buffer_load_dword v245, off, s[0:3], 0 offset:368
	buffer_load_dword v246, off, s[0:3], 0 offset:372
	v_fmac_f32_e32 v96, v43, v92
	v_add_f32_e32 v95, v95, v96
	s_waitcnt vmcnt(42)
	v_mul_f32_e32 v96, v44, v100
	buffer_load_dword v247, off, s[0:3], 0 offset:376
	buffer_load_dword v248, off, s[0:3], 0 offset:380
	v_fmac_f32_e32 v96, v45, v94
	v_add_f32_e32 v95, v95, v96
	s_waitcnt vmcnt(42) lgkmcnt(0)
	v_mul_f32_e32 v96, v46, v166
	buffer_load_dword v249, off, s[0:3], 0 offset:384
	buffer_load_dword v250, off, s[0:3], 0 offset:388
	v_fmac_f32_e32 v96, v47, v154
	v_mul_f32_e32 v27, v27, v57
	v_add_f32_e32 v95, v95, v96
	ds_read_b128 v[96:99], v52 offset:704
	buffer_load_dword v251, off, s[0:3], 0 offset:392
	buffer_load_dword v252, off, s[0:3], 0 offset:396
	v_fma_f32 v26, v26, v75, -v27
	v_mul_f32_e32 v27, v29, v56
	v_add_f32_e32 v26, 0, v26
	v_fma_f32 v27, v28, v72, -v27
	v_mul_f32_e32 v23, v23, v58
	v_add_f32_e32 v26, v26, v27
	v_fma_f32 v22, v22, v69, -v23
	v_mul_f32_e32 v23, v25, v55
	buffer_load_dword v253, off, s[0:3], 0 offset:400
	buffer_load_dword v254, off, s[0:3], 0 offset:404
	v_add_f32_e32 v22, v26, v22
	v_fma_f32 v23, v24, v74, -v23
	v_mul_f32_e32 v19, v19, v54
	ds_read_b128 v[104:107], v52 offset:720
	buffer_load_dword v255, off, s[0:3], 0 offset:408
	buffer_load_dword v182, off, s[0:3], 0 offset:412
	ds_read_b128 v[108:111], v52 offset:736
	ds_read_b128 v[112:115], v52 offset:752
	;; [unrolled: 1-line block ×10, first 2 shown]
	buffer_load_dword v149, off, s[0:3], 0 offset:436
	buffer_load_dword v148, off, s[0:3], 0 offset:432
	;; [unrolled: 1-line block ×6, first 2 shown]
	v_add_f32_e32 v22, v22, v23
	v_fma_f32 v18, v18, v71, -v19
	v_mul_f32_e32 v1, v21, v1
	v_add_f32_e32 v18, v22, v18
	v_fma_f32 v1, v20, v68, -v1
	v_mul_f32_e32 v15, v15, v53
	v_add_f32_e32 v1, v18, v1
	v_fma_f32 v14, v14, v66, -v15
	v_add_f32_e32 v1, v1, v14
	v_mul_f32_e32 v14, v17, v59
	v_fma_f32 v14, v16, v70, -v14
	v_mul_f32_e32 v11, v11, v60
	v_add_f32_e32 v1, v1, v14
	v_fma_f32 v10, v10, v67, -v11
	v_add_f32_e32 v1, v1, v10
	v_mul_f32_e32 v10, v13, v61
	;; [unrolled: 6-line block ×3, first 2 shown]
	v_fma_f32 v6, v8, v81, -v6
	v_mul_f32_e32 v3, v3, v80
	v_add_f32_e32 v1, v1, v6
	v_fma_f32 v2, v2, v78, -v3
	buffer_load_dword v157, off, s[0:3], 0 offset:468
	buffer_load_dword v156, off, s[0:3], 0 offset:464
	;; [unrolled: 1-line block ×10, first 2 shown]
	v_add_f32_e32 v1, v1, v2
	v_mul_f32_e32 v2, v5, v79
	v_fma_f32 v2, v4, v76, -v2
	v_add_f32_e32 v1, v1, v2
	v_mul_f32_e32 v2, v31, v77
	v_fma_f32 v2, v30, v73, -v2
	;; [unrolled: 3-line block ×10, first 2 shown]
	v_add_f32_e32 v1, v1, v2
	s_waitcnt vmcnt(62)
	v_mul_f32_e32 v2, v49, v168
	v_mul_f32_e32 v101, v48, v168
	v_fma_f32 v2, v48, v167, -v2
	v_fmac_f32_e32 v101, v49, v167
	v_add_f32_e32 v1, v1, v2
	s_waitcnt lgkmcnt(11)
	v_mul_f32_e32 v2, v97, v170
	v_add_f32_e32 v95, v95, v101
	v_mul_f32_e32 v101, v96, v170
	v_fma_f32 v2, v96, v169, -v2
	v_fmac_f32_e32 v101, v97, v169
	v_add_f32_e32 v1, v1, v2
	s_waitcnt vmcnt(60)
	v_mul_f32_e32 v2, v99, v172
	v_add_f32_e32 v95, v95, v101
	v_mul_f32_e32 v101, v98, v172
	v_fma_f32 v2, v98, v171, -v2
	v_fmac_f32_e32 v101, v99, v171
	v_add_f32_e32 v1, v1, v2
	s_waitcnt vmcnt(58) lgkmcnt(10)
	v_mul_f32_e32 v2, v105, v174
	v_add_f32_e32 v95, v95, v101
	v_mul_f32_e32 v101, v104, v174
	v_fma_f32 v2, v104, v173, -v2
	v_fmac_f32_e32 v101, v105, v173
	v_add_f32_e32 v1, v1, v2
	s_waitcnt vmcnt(56)
	v_mul_f32_e32 v2, v107, v176
	v_add_f32_e32 v95, v95, v101
	v_mul_f32_e32 v101, v106, v176
	v_fma_f32 v2, v106, v175, -v2
	v_fmac_f32_e32 v101, v107, v175
	v_add_f32_e32 v1, v1, v2
	s_waitcnt vmcnt(54) lgkmcnt(9)
	;; [unrolled: 14-line block ×10, first 2 shown]
	v_mul_f32_e32 v2, v141, v250
	v_add_f32_e32 v95, v95, v101
	v_mul_f32_e32 v101, v140, v250
	v_fma_f32 v2, v140, v249, -v2
	v_fmac_f32_e32 v101, v141, v249
	v_add_f32_e32 v1, v1, v2
	s_waitcnt vmcnt(20)
	v_mul_f32_e32 v2, v143, v252
	v_add_f32_e32 v95, v95, v101
	v_mul_f32_e32 v101, v142, v252
	v_fma_f32 v2, v142, v251, -v2
	v_fmac_f32_e32 v101, v143, v251
	v_add_f32_e32 v94, v1, v2
	ds_read_b128 v[2:5], v52 offset:896
	ds_read_b128 v[6:9], v52 offset:912
	;; [unrolled: 1-line block ×4, first 2 shown]
	v_add_f32_e32 v95, v95, v101
	s_waitcnt vmcnt(18) lgkmcnt(4)
	v_mul_f32_e32 v101, v144, v254
	v_mul_f32_e32 v1, v145, v254
	s_waitcnt vmcnt(11)
	v_mov_b32_e32 v20, v153
	v_fmac_f32_e32 v101, v145, v253
	v_mul_f32_e32 v155, v146, v182
	v_fma_f32 v100, v144, v253, -v1
	v_mul_f32_e32 v1, v147, v182
	s_waitcnt lgkmcnt(3)
	v_pk_mul_f32 v[20:21], v[2:3], v[20:21] op_sel_hi:[1,0]
	v_fmac_f32_e32 v155, v147, v255
	v_fma_f32 v154, v146, v255, -v1
	v_pk_add_f32 v[18:19], v[94:95], v[100:101]
	s_waitcnt vmcnt(10)
	v_pk_fma_f32 v[22:23], v[2:3], v[152:153], v[20:21] op_sel:[0,0,1] op_sel_hi:[1,1,0] neg_lo:[0,0,1] neg_hi:[0,0,1]
	v_pk_fma_f32 v[2:3], v[2:3], v[152:153], v[20:21] op_sel:[0,0,1] op_sel_hi:[1,0,0]
	v_pk_add_f32 v[18:19], v[18:19], v[154:155]
	v_mov_b32_e32 v23, v3
	v_pk_add_f32 v[2:3], v[18:19], v[22:23]
	v_mov_b32_e32 v18, v151
	v_pk_mul_f32 v[18:19], v[4:5], v[18:19] op_sel_hi:[1,0]
	v_pk_fma_f32 v[20:21], v[4:5], v[150:151], v[18:19] op_sel:[0,0,1] op_sel_hi:[1,1,0] neg_lo:[0,0,1] neg_hi:[0,0,1]
	v_pk_fma_f32 v[4:5], v[4:5], v[150:151], v[18:19] op_sel:[0,0,1] op_sel_hi:[1,0,0]
	v_mov_b32_e32 v4, v149
	v_mov_b32_e32 v21, v5
	s_waitcnt lgkmcnt(2)
	v_pk_mul_f32 v[4:5], v[6:7], v[4:5] op_sel_hi:[1,0]
	v_pk_fma_f32 v[18:19], v[6:7], v[148:149], v[4:5] op_sel:[0,0,1] op_sel_hi:[1,1,0] neg_lo:[0,0,1] neg_hi:[0,0,1]
	v_pk_fma_f32 v[4:5], v[6:7], v[148:149], v[4:5] op_sel:[0,0,1] op_sel_hi:[1,0,0]
	s_waitcnt vmcnt(3)
	v_mov_b32_e32 v4, v163
	v_mov_b32_e32 v19, v5
	v_pk_mul_f32 v[4:5], v[8:9], v[4:5] op_sel_hi:[1,0]
	s_waitcnt vmcnt(2)
	v_pk_fma_f32 v[6:7], v[8:9], v[162:163], v[4:5] op_sel:[0,0,1] op_sel_hi:[1,1,0] neg_lo:[0,0,1] neg_hi:[0,0,1]
	v_pk_fma_f32 v[4:5], v[8:9], v[162:163], v[4:5] op_sel:[0,0,1] op_sel_hi:[1,0,0]
	v_pk_add_f32 v[2:3], v[2:3], v[20:21]
	v_mov_b32_e32 v4, v161
	v_pk_add_f32 v[2:3], v[2:3], v[18:19]
	v_mov_b32_e32 v7, v5
	s_waitcnt lgkmcnt(1)
	v_pk_mul_f32 v[4:5], v[10:11], v[4:5] op_sel_hi:[1,0]
	v_pk_add_f32 v[2:3], v[2:3], v[6:7]
	v_pk_fma_f32 v[6:7], v[10:11], v[160:161], v[4:5] op_sel:[0,0,1] op_sel_hi:[1,1,0] neg_lo:[0,0,1] neg_hi:[0,0,1]
	v_pk_fma_f32 v[4:5], v[10:11], v[160:161], v[4:5] op_sel:[0,0,1] op_sel_hi:[1,0,0]
	v_mov_b32_e32 v4, v159
	v_mov_b32_e32 v7, v5
	v_pk_mul_f32 v[4:5], v[12:13], v[4:5] op_sel_hi:[1,0]
	v_pk_add_f32 v[2:3], v[2:3], v[6:7]
	v_pk_fma_f32 v[6:7], v[12:13], v[158:159], v[4:5] op_sel:[0,0,1] op_sel_hi:[1,1,0] neg_lo:[0,0,1] neg_hi:[0,0,1]
	v_pk_fma_f32 v[4:5], v[12:13], v[158:159], v[4:5] op_sel:[0,0,1] op_sel_hi:[1,0,0]
	v_mov_b32_e32 v4, v157
	v_mov_b32_e32 v7, v5
	s_waitcnt lgkmcnt(0)
	v_pk_mul_f32 v[4:5], v[14:15], v[4:5] op_sel_hi:[1,0]
	v_pk_add_f32 v[2:3], v[2:3], v[6:7]
	v_pk_fma_f32 v[6:7], v[14:15], v[156:157], v[4:5] op_sel:[0,0,1] op_sel_hi:[1,1,0] neg_lo:[0,0,1] neg_hi:[0,0,1]
	v_pk_fma_f32 v[4:5], v[14:15], v[156:157], v[4:5] op_sel:[0,0,1] op_sel_hi:[1,0,0]
	s_waitcnt vmcnt(1)
	v_mov_b32_e32 v4, v165
	v_mov_b32_e32 v7, v5
	v_pk_mul_f32 v[4:5], v[16:17], v[4:5] op_sel_hi:[1,0]
	v_pk_add_f32 v[2:3], v[2:3], v[6:7]
	s_waitcnt vmcnt(0)
	v_pk_fma_f32 v[6:7], v[16:17], v[164:165], v[4:5] op_sel:[0,0,1] op_sel_hi:[1,1,0] neg_lo:[0,0,1] neg_hi:[0,0,1]
	v_pk_fma_f32 v[4:5], v[16:17], v[164:165], v[4:5] op_sel:[0,0,1] op_sel_hi:[1,0,0]
	v_mov_b32_e32 v7, v5
	v_pk_add_f32 v[2:3], v[2:3], v[6:7]
	v_pk_add_f32 v[2:3], v[50:51], v[2:3] neg_lo:[0,1] neg_hi:[0,1]
	buffer_store_dword v3, off, s[0:3], 0 offset:28
	buffer_store_dword v2, off, s[0:3], 0 offset:24
	s_and_saveexec_b64 s[4:5], vcc
	s_cbranch_execz .LBB59_369
; %bb.368:
	buffer_load_dword v2, off, s[0:3], 0 offset:16
	buffer_load_dword v3, off, s[0:3], 0 offset:20
	v_mov_b32_e32 v1, 0
	buffer_store_dword v1, off, s[0:3], 0 offset:16
	buffer_store_dword v1, off, s[0:3], 0 offset:20
	s_waitcnt vmcnt(2)
	ds_write_b64 v195, v[2:3]
.LBB59_369:
	s_or_b64 exec, exec, s[4:5]
	v_mov_b32_e32 v246, 0
	s_waitcnt lgkmcnt(0)
	; wave barrier
	s_waitcnt lgkmcnt(0)
	ds_read2_b64 v[2:5], v246 offset0:63 offset1:64
	buffer_load_dword v222, off, s[0:3], 0 offset:16
	buffer_load_dword v223, off, s[0:3], 0 offset:20
	;; [unrolled: 1-line block ×16, first 2 shown]
	v_cmp_lt_u32_e32 vcc, 1, v0
	s_waitcnt vmcnt(12) lgkmcnt(0)
	v_mul_f32_e32 v6, v2, v247
	v_fmac_f32_e32 v6, v3, v224
	s_waitcnt vmcnt(10)
	v_mul_f32_e32 v7, v4, v249
	v_add_f32_e32 v6, 0, v6
	v_fmac_f32_e32 v7, v5, v226
	v_add_f32_e32 v10, v6, v7
	ds_read2_b64 v[6:9], v246 offset0:65 offset1:66
	v_mul_f32_e32 v3, v3, v247
	v_fma_f32 v2, v2, v224, -v3
	v_mul_f32_e32 v3, v5, v249
	v_add_f32_e32 v2, 0, v2
	s_waitcnt vmcnt(8) lgkmcnt(0)
	v_mul_f32_e32 v11, v6, v251
	v_fmac_f32_e32 v11, v7, v230
	v_add_f32_e32 v10, v10, v11
	s_waitcnt vmcnt(6)
	v_mul_f32_e32 v11, v8, v253
	v_fmac_f32_e32 v11, v9, v248
	v_add_f32_e32 v14, v10, v11
	ds_read2_b64 v[10:13], v246 offset0:67 offset1:68
	v_fma_f32 v3, v4, v226, -v3
	v_add_f32_e32 v2, v2, v3
	v_mul_f32_e32 v3, v7, v251
	v_fma_f32 v3, v6, v230, -v3
	s_waitcnt vmcnt(4) lgkmcnt(0)
	v_mul_f32_e32 v15, v10, v255
	v_fmac_f32_e32 v15, v11, v250
	v_add_f32_e32 v14, v14, v15
	s_waitcnt vmcnt(2)
	v_mul_f32_e32 v15, v12, v1
	v_fmac_f32_e32 v15, v13, v252
	v_add_f32_e32 v18, v14, v15
	ds_read2_b64 v[14:17], v246 offset0:69 offset1:70
	buffer_load_dword v105, off, s[0:3], 0 offset:80
	buffer_load_dword v106, off, s[0:3], 0 offset:84
	v_add_f32_e32 v2, v2, v3
	v_mul_f32_e32 v3, v9, v253
	v_fma_f32 v3, v8, v248, -v3
	s_waitcnt vmcnt(2) lgkmcnt(0)
	v_mul_f32_e32 v19, v14, v104
	v_fmac_f32_e32 v19, v15, v254
	v_add_f32_e32 v18, v18, v19
	v_add_f32_e32 v2, v2, v3
	v_mul_f32_e32 v3, v11, v255
	v_fma_f32 v3, v10, v250, -v3
	v_mul_f32_e32 v1, v13, v1
	v_add_f32_e32 v2, v2, v3
	v_fma_f32 v1, v12, v252, -v1
	v_add_f32_e32 v1, v2, v1
	v_mul_f32_e32 v2, v15, v104
	v_fma_f32 v2, v14, v254, -v2
	v_add_f32_e32 v1, v1, v2
	s_waitcnt vmcnt(0)
	v_mul_f32_e32 v19, v16, v106
	v_fmac_f32_e32 v19, v17, v105
	v_add_f32_e32 v22, v18, v19
	ds_read2_b64 v[18:21], v246 offset0:71 offset1:72
	buffer_load_dword v107, off, s[0:3], 0 offset:88
	buffer_load_dword v108, off, s[0:3], 0 offset:92
	;; [unrolled: 1-line block ×4, first 2 shown]
	v_mul_f32_e32 v2, v17, v106
	v_fma_f32 v2, v16, v105, -v2
	v_add_f32_e32 v1, v1, v2
	s_waitcnt vmcnt(2) lgkmcnt(0)
	v_mul_f32_e32 v23, v18, v108
	v_fmac_f32_e32 v23, v19, v107
	v_add_f32_e32 v22, v22, v23
	s_waitcnt vmcnt(0)
	v_mul_f32_e32 v23, v20, v110
	v_fmac_f32_e32 v23, v21, v109
	v_add_f32_e32 v26, v22, v23
	ds_read2_b64 v[22:25], v246 offset0:73 offset1:74
	buffer_load_dword v111, off, s[0:3], 0 offset:104
	buffer_load_dword v112, off, s[0:3], 0 offset:108
	buffer_load_dword v113, off, s[0:3], 0 offset:112
	buffer_load_dword v114, off, s[0:3], 0 offset:116
	v_mul_f32_e32 v2, v19, v108
	v_fma_f32 v2, v18, v107, -v2
	v_add_f32_e32 v1, v1, v2
	v_mul_f32_e32 v2, v21, v110
	v_fma_f32 v2, v20, v109, -v2
	v_add_f32_e32 v1, v1, v2
	s_waitcnt vmcnt(2) lgkmcnt(0)
	v_mul_f32_e32 v27, v22, v112
	v_fmac_f32_e32 v27, v23, v111
	v_add_f32_e32 v26, v26, v27
	s_waitcnt vmcnt(0)
	v_mul_f32_e32 v27, v24, v114
	v_fmac_f32_e32 v27, v25, v113
	v_add_f32_e32 v30, v26, v27
	ds_read2_b64 v[26:29], v246 offset0:75 offset1:76
	buffer_load_dword v115, off, s[0:3], 0 offset:120
	buffer_load_dword v116, off, s[0:3], 0 offset:124
	buffer_load_dword v117, off, s[0:3], 0 offset:128
	buffer_load_dword v118, off, s[0:3], 0 offset:132
	v_mul_f32_e32 v2, v23, v112
	v_fma_f32 v2, v22, v111, -v2
	v_add_f32_e32 v1, v1, v2
	;; [unrolled: 19-line block ×6, first 2 shown]
	v_mul_f32_e32 v2, v41, v130
	v_fma_f32 v2, v40, v129, -v2
	v_add_f32_e32 v1, v1, v2
	s_waitcnt vmcnt(2) lgkmcnt(0)
	v_mul_f32_e32 v47, v42, v132
	v_fmac_f32_e32 v47, v43, v131
	v_add_f32_e32 v46, v46, v47
	s_waitcnt vmcnt(0)
	v_mul_f32_e32 v47, v44, v134
	v_fmac_f32_e32 v47, v45, v133
	v_add_f32_e32 v50, v46, v47
	ds_read2_b64 v[46:49], v246 offset0:85 offset1:86
	buffer_load_dword v135, off, s[0:3], 0 offset:200
	buffer_load_dword v136, off, s[0:3], 0 offset:204
	buffer_load_dword v137, off, s[0:3], 0 offset:208
	buffer_load_dword v138, off, s[0:3], 0 offset:212
	ds_read2_b64 v[54:57], v246 offset0:87 offset1:88
	buffer_load_dword v139, off, s[0:3], 0 offset:216
	buffer_load_dword v140, off, s[0:3], 0 offset:220
	buffer_load_dword v141, off, s[0:3], 0 offset:224
	buffer_load_dword v142, off, s[0:3], 0 offset:228
	;; [unrolled: 5-line block ×13, first 2 shown]
	v_mul_f32_e32 v2, v43, v132
	v_fma_f32 v2, v42, v131, -v2
	v_add_f32_e32 v1, v1, v2
	v_mul_f32_e32 v2, v45, v134
	v_fma_f32 v2, v44, v133, -v2
	v_add_f32_e32 v1, v1, v2
	s_waitcnt vmcnt(50) lgkmcnt(12)
	v_mul_f32_e32 v51, v46, v136
	v_fmac_f32_e32 v51, v47, v135
	v_add_f32_e32 v50, v50, v51
	s_waitcnt vmcnt(48)
	v_mul_f32_e32 v51, v48, v138
	v_fmac_f32_e32 v51, v49, v137
	v_add_f32_e32 v50, v50, v51
	s_waitcnt vmcnt(46) lgkmcnt(11)
	v_mul_f32_e32 v51, v54, v140
	v_fmac_f32_e32 v51, v55, v139
	v_add_f32_e32 v50, v50, v51
	s_waitcnt vmcnt(44)
	v_mul_f32_e32 v51, v56, v142
	v_fmac_f32_e32 v51, v57, v141
	;; [unrolled: 8-line block ×12, first 2 shown]
	v_add_f32_e32 v50, v50, v51
	s_waitcnt vmcnt(2) lgkmcnt(0)
	v_mul_f32_e32 v51, v98, v184
	v_fmac_f32_e32 v51, v99, v183
	v_add_f32_e32 v225, v50, v51
	ds_read2_b64 v[50:53], v246 offset0:111 offset1:112
	buffer_load_dword v187, off, s[0:3], 0 offset:408
	buffer_load_dword v188, off, s[0:3], 0 offset:412
	;; [unrolled: 1-line block ×18, first 2 shown]
	v_mul_f32_e32 v2, v47, v136
	v_fma_f32 v2, v46, v135, -v2
	v_add_f32_e32 v1, v1, v2
	v_mul_f32_e32 v2, v49, v138
	v_fma_f32 v2, v48, v137, -v2
	v_add_f32_e32 v1, v1, v2
	;; [unrolled: 3-line block ×24, first 2 shown]
	v_mul_f32_e32 v2, v99, v184
	v_fma_f32 v2, v98, v183, -v2
	s_waitcnt vmcnt(15)
	v_mov_b32_e32 v18, v229
	v_mul_f32_e32 v227, v100, v186
	v_add_f32_e32 v224, v1, v2
	v_mul_f32_e32 v1, v101, v186
	s_waitcnt lgkmcnt(0)
	v_pk_mul_f32 v[18:19], v[52:53], v[18:19] op_sel_hi:[1,0]
	v_fmac_f32_e32 v227, v101, v185
	v_mul_f32_e32 v231, v50, v188
	v_fma_f32 v226, v100, v185, -v1
	v_mul_f32_e32 v1, v51, v188
	ds_read2_b64 v[2:5], v246 offset0:113 offset1:114
	ds_read2_b64 v[6:9], v246 offset0:115 offset1:116
	;; [unrolled: 1-line block ×3, first 2 shown]
	ds_read_b64 v[14:15], v246 offset:952
	s_waitcnt vmcnt(14)
	v_pk_fma_f32 v[20:21], v[52:53], v[228:229], v[18:19] op_sel:[0,0,1] op_sel_hi:[1,1,0] neg_lo:[0,0,1] neg_hi:[0,0,1]
	v_pk_fma_f32 v[18:19], v[52:53], v[228:229], v[18:19] op_sel:[0,0,1] op_sel_hi:[1,0,0]
	v_fmac_f32_e32 v231, v51, v187
	v_fma_f32 v230, v50, v187, -v1
	v_pk_add_f32 v[16:17], v[224:225], v[226:227]
	s_waitcnt vmcnt(13)
	v_mov_b32_e32 v18, v245
	v_pk_add_f32 v[16:17], v[16:17], v[230:231]
	v_mov_b32_e32 v21, v19
	s_waitcnt lgkmcnt(3)
	v_pk_mul_f32 v[18:19], v[2:3], v[18:19] op_sel_hi:[1,0]
	v_pk_add_f32 v[16:17], v[16:17], v[20:21]
	s_waitcnt vmcnt(12)
	v_pk_fma_f32 v[20:21], v[2:3], v[244:245], v[18:19] op_sel:[0,0,1] op_sel_hi:[1,1,0] neg_lo:[0,0,1] neg_hi:[0,0,1]
	v_pk_fma_f32 v[2:3], v[2:3], v[244:245], v[18:19] op_sel:[0,0,1] op_sel_hi:[1,0,0]
	v_mov_b32_e32 v21, v3
	v_pk_add_f32 v[2:3], v[16:17], v[20:21]
	s_waitcnt vmcnt(11)
	v_mov_b32_e32 v16, v243
	v_pk_mul_f32 v[16:17], v[4:5], v[16:17] op_sel_hi:[1,0]
	s_waitcnt vmcnt(10)
	v_pk_fma_f32 v[18:19], v[4:5], v[242:243], v[16:17] op_sel:[0,0,1] op_sel_hi:[1,1,0] neg_lo:[0,0,1] neg_hi:[0,0,1]
	v_pk_fma_f32 v[4:5], v[4:5], v[242:243], v[16:17] op_sel:[0,0,1] op_sel_hi:[1,0,0]
	s_waitcnt vmcnt(9)
	v_mov_b32_e32 v4, v241
	v_mov_b32_e32 v19, v5
	s_waitcnt lgkmcnt(2)
	v_pk_mul_f32 v[4:5], v[6:7], v[4:5] op_sel_hi:[1,0]
	s_waitcnt vmcnt(8)
	v_pk_fma_f32 v[16:17], v[6:7], v[240:241], v[4:5] op_sel:[0,0,1] op_sel_hi:[1,1,0] neg_lo:[0,0,1] neg_hi:[0,0,1]
	v_pk_fma_f32 v[4:5], v[6:7], v[240:241], v[4:5] op_sel:[0,0,1] op_sel_hi:[1,0,0]
	s_waitcnt vmcnt(7)
	v_mov_b32_e32 v4, v239
	v_mov_b32_e32 v17, v5
	v_pk_mul_f32 v[4:5], v[8:9], v[4:5] op_sel_hi:[1,0]
	s_waitcnt vmcnt(6)
	v_pk_fma_f32 v[6:7], v[8:9], v[238:239], v[4:5] op_sel:[0,0,1] op_sel_hi:[1,1,0] neg_lo:[0,0,1] neg_hi:[0,0,1]
	v_pk_fma_f32 v[4:5], v[8:9], v[238:239], v[4:5] op_sel:[0,0,1] op_sel_hi:[1,0,0]
	v_pk_add_f32 v[2:3], v[2:3], v[18:19]
	s_waitcnt vmcnt(5)
	v_mov_b32_e32 v4, v237
	v_pk_add_f32 v[2:3], v[2:3], v[16:17]
	v_mov_b32_e32 v7, v5
	s_waitcnt lgkmcnt(1)
	v_pk_mul_f32 v[4:5], v[10:11], v[4:5] op_sel_hi:[1,0]
	v_pk_add_f32 v[2:3], v[2:3], v[6:7]
	s_waitcnt vmcnt(4)
	v_pk_fma_f32 v[6:7], v[10:11], v[236:237], v[4:5] op_sel:[0,0,1] op_sel_hi:[1,1,0] neg_lo:[0,0,1] neg_hi:[0,0,1]
	v_pk_fma_f32 v[4:5], v[10:11], v[236:237], v[4:5] op_sel:[0,0,1] op_sel_hi:[1,0,0]
	s_waitcnt vmcnt(3)
	v_mov_b32_e32 v4, v235
	v_mov_b32_e32 v7, v5
	v_pk_mul_f32 v[4:5], v[12:13], v[4:5] op_sel_hi:[1,0]
	v_pk_add_f32 v[2:3], v[2:3], v[6:7]
	s_waitcnt vmcnt(2)
	v_pk_fma_f32 v[6:7], v[12:13], v[234:235], v[4:5] op_sel:[0,0,1] op_sel_hi:[1,1,0] neg_lo:[0,0,1] neg_hi:[0,0,1]
	v_pk_fma_f32 v[4:5], v[12:13], v[234:235], v[4:5] op_sel:[0,0,1] op_sel_hi:[1,0,0]
	s_waitcnt vmcnt(1)
	v_mov_b32_e32 v4, v233
	v_mov_b32_e32 v7, v5
	s_waitcnt lgkmcnt(0)
	v_pk_mul_f32 v[4:5], v[14:15], v[4:5] op_sel_hi:[1,0]
	v_pk_add_f32 v[2:3], v[2:3], v[6:7]
	s_waitcnt vmcnt(0)
	v_pk_fma_f32 v[6:7], v[14:15], v[232:233], v[4:5] op_sel:[0,0,1] op_sel_hi:[1,1,0] neg_lo:[0,0,1] neg_hi:[0,0,1]
	v_pk_fma_f32 v[4:5], v[14:15], v[232:233], v[4:5] op_sel:[0,0,1] op_sel_hi:[1,0,0]
	v_mov_b32_e32 v7, v5
	v_pk_add_f32 v[2:3], v[2:3], v[6:7]
	v_pk_add_f32 v[2:3], v[222:223], v[2:3] neg_lo:[0,1] neg_hi:[0,1]
	buffer_store_dword v3, off, s[0:3], 0 offset:20
	buffer_store_dword v2, off, s[0:3], 0 offset:16
	s_and_saveexec_b64 s[4:5], vcc
	s_cbranch_execz .LBB59_371
; %bb.370:
	buffer_load_dword v2, off, s[0:3], 0 offset:8
	buffer_load_dword v3, off, s[0:3], 0 offset:12
	s_waitcnt vmcnt(0)
	ds_write_b64 v195, v[2:3]
	buffer_store_dword v246, off, s[0:3], 0 offset:8
	buffer_store_dword v246, off, s[0:3], 0 offset:12
.LBB59_371:
	s_or_b64 exec, exec, s[4:5]
	s_waitcnt lgkmcnt(0)
	; wave barrier
	s_waitcnt lgkmcnt(0)
	buffer_load_dword v64, off, s[0:3], 0 offset:20
	buffer_load_dword v63, off, s[0:3], 0 offset:28
	;; [unrolled: 1-line block ×40, first 2 shown]
	ds_read_b128 v[22:25], v246 offset:496
	ds_read_b128 v[18:21], v246 offset:512
	;; [unrolled: 1-line block ×6, first 2 shown]
	buffer_load_dword v97, off, s[0:3], 0 offset:168
	buffer_load_dword v98, off, s[0:3], 0 offset:172
	;; [unrolled: 1-line block ×10, first 2 shown]
	v_cmp_ne_u32_e32 vcc, 0, v0
	s_waitcnt vmcnt(49) lgkmcnt(5)
	v_mul_f32_e32 v26, v22, v64
	s_waitcnt vmcnt(48)
	v_mul_f32_e32 v27, v24, v63
	s_waitcnt vmcnt(47) lgkmcnt(4)
	v_mul_f32_e32 v29, v20, v62
	s_waitcnt vmcnt(46) lgkmcnt(3)
	v_mul_f32_e32 v30, v14, v61
	s_waitcnt vmcnt(45)
	v_mul_f32_e32 v31, v16, v1
	s_waitcnt vmcnt(44)
	v_mul_f32_e32 v28, v18, v65
	s_waitcnt vmcnt(43) lgkmcnt(2)
	v_mul_f32_e32 v32, v10, v60
	s_waitcnt vmcnt(42)
	v_mul_f32_e32 v33, v12, v66
	s_waitcnt vmcnt(41) lgkmcnt(1)
	;; [unrolled: 4-line block ×3, first 2 shown]
	v_mul_f32_e32 v36, v2, v69
	s_waitcnt vmcnt(38)
	v_mul_f32_e32 v37, v4, v70
	s_waitcnt vmcnt(37)
	v_fmac_f32_e32 v28, v19, v76
	s_waitcnt vmcnt(36)
	v_fmac_f32_e32 v27, v25, v79
	;; [unrolled: 2-line block ×3, first 2 shown]
	v_add_f32_e32 v26, 0, v26
	v_add_f32_e32 v26, v26, v27
	v_add_f32_e32 v26, v26, v28
	s_waitcnt vmcnt(31)
	v_fmac_f32_e32 v29, v21, v81
	v_fmac_f32_e32 v30, v15, v78
	v_add_f32_e32 v26, v26, v29
	v_fmac_f32_e32 v31, v17, v75
	v_add_f32_e32 v26, v26, v30
	;; [unrolled: 2-line block ×3, first 2 shown]
	s_waitcnt vmcnt(27)
	v_fmac_f32_e32 v33, v13, v77
	v_add_f32_e32 v26, v26, v32
	v_fmac_f32_e32 v34, v7, v74
	v_add_f32_e32 v26, v26, v33
	;; [unrolled: 2-line block ×3, first 2 shown]
	v_add_f32_e32 v30, v26, v35
	ds_read_b128 v[26:29], v246 offset:592
	v_fmac_f32_e32 v36, v3, v71
	v_add_f32_e32 v30, v30, v36
	s_waitcnt vmcnt(23)
	v_fmac_f32_e32 v37, v5, v88
	v_add_f32_e32 v34, v30, v37
	ds_read_b128 v[30:33], v246 offset:608
	s_waitcnt vmcnt(22) lgkmcnt(1)
	v_mul_f32_e32 v35, v26, v87
	buffer_load_dword v160, off, s[0:3], 0 offset:208
	buffer_load_dword v162, off, s[0:3], 0 offset:212
	v_fmac_f32_e32 v35, v27, v85
	v_add_f32_e32 v34, v34, v35
	s_waitcnt vmcnt(23)
	v_mul_f32_e32 v35, v28, v86
	buffer_load_dword v178, off, s[0:3], 0 offset:216
	buffer_load_dword v179, off, s[0:3], 0 offset:220
	v_fmac_f32_e32 v35, v29, v83
	v_add_f32_e32 v34, v34, v35
	s_waitcnt vmcnt(24) lgkmcnt(0)
	v_mul_f32_e32 v35, v30, v84
	buffer_load_dword v180, off, s[0:3], 0 offset:224
	buffer_load_dword v181, off, s[0:3], 0 offset:228
	v_fmac_f32_e32 v35, v31, v80
	v_add_f32_e32 v34, v34, v35
	s_waitcnt vmcnt(20)
	v_mul_f32_e32 v35, v32, v96
	s_waitcnt vmcnt(19)
	v_fmac_f32_e32 v35, v33, v95
	ds_read_b128 v[38:41], v246 offset:624
	v_add_f32_e32 v42, v34, v35
	ds_read_b128 v[34:37], v246 offset:640
	buffer_load_dword v182, off, s[0:3], 0 offset:232
	buffer_load_dword v183, off, s[0:3], 0 offset:236
	;; [unrolled: 1-line block ×8, first 2 shown]
	s_waitcnt vmcnt(26) lgkmcnt(1)
	v_mul_f32_e32 v43, v38, v94
	v_fmac_f32_e32 v43, v39, v93
	buffer_load_dword v222, off, s[0:3], 0 offset:264
	buffer_load_dword v223, off, s[0:3], 0 offset:268
	v_add_f32_e32 v42, v42, v43
	v_mul_f32_e32 v43, v40, v90
	v_fmac_f32_e32 v43, v41, v89
	v_add_f32_e32 v42, v42, v43
	s_waitcnt lgkmcnt(0)
	v_mul_f32_e32 v43, v34, v92
	buffer_load_dword v224, off, s[0:3], 0 offset:272
	buffer_load_dword v225, off, s[0:3], 0 offset:276
	v_fmac_f32_e32 v43, v35, v91
	v_add_f32_e32 v46, v42, v43
	ds_read_b128 v[42:45], v246 offset:656
	buffer_load_dword v226, off, s[0:3], 0 offset:280
	buffer_load_dword v227, off, s[0:3], 0 offset:284
	;; [unrolled: 1-line block ×4, first 2 shown]
	s_waitcnt vmcnt(30)
	v_mul_f32_e32 v47, v36, v98
	v_fmac_f32_e32 v47, v37, v97
	v_add_f32_e32 v50, v46, v47
	ds_read_b128 v[46:49], v246 offset:672
	buffer_load_dword v230, off, s[0:3], 0 offset:296
	buffer_load_dword v231, off, s[0:3], 0 offset:300
	;; [unrolled: 1-line block ×12, first 2 shown]
	s_waitcnt vmcnt(40) lgkmcnt(1)
	v_mul_f32_e32 v51, v42, v100
	v_fmac_f32_e32 v51, v43, v99
	buffer_load_dword v242, off, s[0:3], 0 offset:344
	buffer_load_dword v243, off, s[0:3], 0 offset:348
	v_add_f32_e32 v50, v50, v51
	s_waitcnt vmcnt(40)
	v_mul_f32_e32 v51, v44, v104
	v_fmac_f32_e32 v51, v45, v101
	buffer_load_dword v244, off, s[0:3], 0 offset:352
	buffer_load_dword v245, off, s[0:3], 0 offset:356
	v_add_f32_e32 v50, v50, v51
	s_waitcnt vmcnt(40) lgkmcnt(0)
	v_mul_f32_e32 v51, v46, v106
	v_fmac_f32_e32 v51, v47, v105
	v_add_f32_e32 v54, v50, v51
	ds_read_b128 v[50:53], v246 offset:688
	buffer_load_dword v247, off, s[0:3], 0 offset:360
	buffer_load_dword v248, off, s[0:3], 0 offset:364
	s_waitcnt vmcnt(40)
	v_mul_f32_e32 v55, v48, v108
	v_fmac_f32_e32 v55, v49, v107
	v_add_f32_e32 v109, v54, v55
	ds_read_b128 v[54:57], v246 offset:704
	buffer_load_dword v249, off, s[0:3], 0 offset:368
	buffer_load_dword v250, off, s[0:3], 0 offset:372
	;; [unrolled: 1-line block ×12, first 2 shown]
	v_mul_f32_e32 v23, v23, v64
	v_fma_f32 v22, v22, v82, -v23
	v_mul_f32_e32 v23, v25, v63
	v_add_f32_e32 v22, 0, v22
	v_fma_f32 v23, v24, v79, -v23
	v_mul_f32_e32 v19, v19, v65
	v_add_f32_e32 v22, v22, v23
	v_fma_f32 v18, v18, v76, -v19
	v_mul_f32_e32 v19, v21, v62
	v_add_f32_e32 v18, v22, v18
	v_fma_f32 v19, v20, v81, -v19
	v_mul_f32_e32 v15, v15, v61
	v_add_f32_e32 v18, v18, v19
	v_fma_f32 v14, v14, v78, -v15
	s_waitcnt vmcnt(50) lgkmcnt(1)
	v_mul_f32_e32 v110, v50, v162
	v_fmac_f32_e32 v110, v51, v160
	v_add_f32_e32 v109, v109, v110
	v_mul_f32_e32 v1, v17, v1
	s_waitcnt vmcnt(48)
	v_mul_f32_e32 v110, v52, v179
	v_fmac_f32_e32 v110, v53, v178
	v_add_f32_e32 v109, v109, v110
	v_add_f32_e32 v14, v18, v14
	s_waitcnt vmcnt(46) lgkmcnt(0)
	v_mul_f32_e32 v110, v54, v181
	v_fmac_f32_e32 v110, v55, v180
	v_add_f32_e32 v109, v109, v110
	ds_read_b128 v[110:113], v246 offset:720
	v_fma_f32 v1, v16, v75, -v1
	v_mul_f32_e32 v11, v11, v60
	v_add_f32_e32 v1, v14, v1
	v_fma_f32 v10, v10, v73, -v11
	s_waitcnt vmcnt(44)
	v_mul_f32_e32 v114, v56, v183
	v_fmac_f32_e32 v114, v57, v182
	v_add_f32_e32 v109, v109, v114
	ds_read_b128 v[114:117], v246 offset:736
	s_waitcnt vmcnt(42) lgkmcnt(1)
	v_mul_f32_e32 v118, v110, v185
	v_fmac_f32_e32 v118, v111, v184
	v_add_f32_e32 v109, v109, v118
	s_waitcnt vmcnt(40)
	v_mul_f32_e32 v118, v112, v187
	v_fmac_f32_e32 v118, v113, v186
	v_add_f32_e32 v109, v109, v118
	s_waitcnt vmcnt(38) lgkmcnt(0)
	v_mul_f32_e32 v118, v114, v189
	v_fmac_f32_e32 v118, v115, v188
	v_add_f32_e32 v109, v109, v118
	ds_read_b128 v[118:121], v246 offset:752
	s_waitcnt vmcnt(36)
	v_mul_f32_e32 v122, v116, v223
	v_fmac_f32_e32 v122, v117, v222
	v_add_f32_e32 v109, v109, v122
	ds_read_b128 v[122:125], v246 offset:768
	s_waitcnt vmcnt(34) lgkmcnt(1)
	v_mul_f32_e32 v126, v118, v225
	v_fmac_f32_e32 v126, v119, v224
	v_add_f32_e32 v109, v109, v126
	s_waitcnt vmcnt(32)
	v_mul_f32_e32 v126, v120, v227
	v_fmac_f32_e32 v126, v121, v226
	v_add_f32_e32 v109, v109, v126
	s_waitcnt vmcnt(30) lgkmcnt(0)
	v_mul_f32_e32 v126, v122, v229
	v_fmac_f32_e32 v126, v123, v228
	v_add_f32_e32 v109, v109, v126
	ds_read_b128 v[126:129], v246 offset:784
	s_waitcnt vmcnt(28)
	v_mul_f32_e32 v130, v124, v231
	v_fmac_f32_e32 v130, v125, v230
	v_add_f32_e32 v109, v109, v130
	ds_read_b128 v[130:133], v246 offset:800
	s_waitcnt vmcnt(26) lgkmcnt(1)
	v_mul_f32_e32 v134, v126, v233
	v_fmac_f32_e32 v134, v127, v232
	v_add_f32_e32 v109, v109, v134
	s_waitcnt vmcnt(24)
	v_mul_f32_e32 v134, v128, v235
	v_fmac_f32_e32 v134, v129, v234
	v_add_f32_e32 v109, v109, v134
	s_waitcnt vmcnt(22) lgkmcnt(0)
	v_mul_f32_e32 v134, v130, v237
	v_fmac_f32_e32 v134, v131, v236
	v_add_f32_e32 v109, v109, v134
	ds_read_b128 v[134:137], v246 offset:816
	s_waitcnt vmcnt(20)
	v_mul_f32_e32 v138, v132, v239
	v_fmac_f32_e32 v138, v133, v238
	v_add_f32_e32 v109, v109, v138
	ds_read_b128 v[138:141], v246 offset:832
	s_waitcnt vmcnt(18) lgkmcnt(1)
	v_mul_f32_e32 v142, v134, v241
	v_fmac_f32_e32 v142, v135, v240
	v_add_f32_e32 v109, v109, v142
	s_waitcnt vmcnt(16)
	v_mul_f32_e32 v142, v136, v243
	v_fmac_f32_e32 v142, v137, v242
	v_add_f32_e32 v109, v109, v142
	s_waitcnt vmcnt(14) lgkmcnt(0)
	v_mul_f32_e32 v142, v138, v245
	v_fmac_f32_e32 v142, v139, v244
	v_add_f32_e32 v109, v109, v142
	ds_read_b128 v[142:145], v246 offset:848
	s_waitcnt vmcnt(12)
	v_mul_f32_e32 v146, v140, v248
	v_fmac_f32_e32 v146, v141, v247
	v_add_f32_e32 v109, v109, v146
	ds_read_b128 v[146:149], v246 offset:864
	buffer_load_dword v159, off, s[0:3], 0 offset:420
	buffer_load_dword v158, off, s[0:3], 0 offset:416
	v_add_f32_e32 v1, v1, v10
	v_mul_f32_e32 v10, v13, v66
	v_fma_f32 v10, v12, v77, -v10
	v_mul_f32_e32 v7, v7, v67
	s_waitcnt vmcnt(12) lgkmcnt(1)
	v_mul_f32_e32 v150, v142, v250
	v_add_f32_e32 v1, v1, v10
	v_fma_f32 v6, v6, v74, -v7
	v_fmac_f32_e32 v150, v143, v249
	v_add_f32_e32 v1, v1, v6
	v_mul_f32_e32 v6, v9, v68
	v_add_f32_e32 v109, v109, v150
	s_waitcnt vmcnt(10)
	v_mul_f32_e32 v150, v144, v252
	v_fma_f32 v6, v8, v72, -v6
	v_mul_f32_e32 v3, v3, v69
	v_fmac_f32_e32 v150, v145, v251
	v_add_f32_e32 v1, v1, v6
	v_fma_f32 v2, v2, v71, -v3
	v_add_f32_e32 v109, v109, v150
	s_waitcnt vmcnt(8) lgkmcnt(0)
	v_mul_f32_e32 v150, v146, v254
	v_add_f32_e32 v1, v1, v2
	v_mul_f32_e32 v2, v5, v70
	v_fmac_f32_e32 v150, v147, v253
	s_waitcnt vmcnt(6)
	v_mul_f32_e32 v154, v148, v190
	v_fma_f32 v2, v4, v88, -v2
	v_add_f32_e32 v109, v109, v150
	v_fmac_f32_e32 v154, v149, v255
	v_add_f32_e32 v1, v1, v2
	v_mul_f32_e32 v2, v27, v87
	ds_read_b128 v[150:153], v246 offset:880
	v_add_f32_e32 v109, v109, v154
	ds_read_b128 v[154:157], v246 offset:896
	buffer_load_dword v165, off, s[0:3], 0 offset:452
	buffer_load_dword v164, off, s[0:3], 0 offset:448
	;; [unrolled: 1-line block ×14, first 2 shown]
	v_fma_f32 v2, v26, v85, -v2
	v_add_f32_e32 v1, v1, v2
	v_mul_f32_e32 v2, v29, v86
	v_fma_f32 v2, v28, v83, -v2
	v_add_f32_e32 v1, v1, v2
	v_mul_f32_e32 v2, v31, v84
	;; [unrolled: 3-line block ×35, first 2 shown]
	v_fma_f32 v2, v148, v255, -v2
	s_waitcnt vmcnt(15)
	v_mov_b32_e32 v16, v159
	s_waitcnt lgkmcnt(1)
	v_mul_f32_e32 v161, v150, v192
	v_add_f32_e32 v108, v1, v2
	v_mul_f32_e32 v1, v151, v192
	s_waitcnt lgkmcnt(0)
	v_pk_mul_f32 v[16:17], v[154:155], v[16:17] op_sel_hi:[1,0]
	v_fmac_f32_e32 v161, v151, v191
	v_mul_f32_e32 v163, v152, v194
	v_fma_f32 v160, v150, v191, -v1
	v_mul_f32_e32 v1, v153, v194
	s_waitcnt vmcnt(14)
	v_pk_fma_f32 v[18:19], v[154:155], v[158:159], v[16:17] op_sel:[0,0,1] op_sel_hi:[1,1,0] neg_lo:[0,0,1] neg_hi:[0,0,1]
	v_pk_fma_f32 v[16:17], v[154:155], v[158:159], v[16:17] op_sel:[0,0,1] op_sel_hi:[1,0,0]
	v_fmac_f32_e32 v163, v153, v193
	v_fma_f32 v162, v152, v193, -v1
	v_pk_add_f32 v[14:15], v[108:109], v[160:161]
	s_waitcnt vmcnt(7)
	v_mov_b32_e32 v16, v171
	ds_read_b128 v[2:5], v246 offset:912
	ds_read_b128 v[6:9], v246 offset:928
	;; [unrolled: 1-line block ×3, first 2 shown]
	v_pk_add_f32 v[14:15], v[14:15], v[162:163]
	v_mov_b32_e32 v19, v17
	v_pk_mul_f32 v[16:17], v[156:157], v[16:17] op_sel_hi:[1,0]
	v_pk_add_f32 v[14:15], v[14:15], v[18:19]
	s_waitcnt vmcnt(6)
	v_pk_fma_f32 v[18:19], v[156:157], v[170:171], v[16:17] op_sel:[0,0,1] op_sel_hi:[1,1,0] neg_lo:[0,0,1] neg_hi:[0,0,1]
	v_pk_fma_f32 v[16:17], v[156:157], v[170:171], v[16:17] op_sel:[0,0,1] op_sel_hi:[1,0,0]
	v_mov_b32_e32 v16, v169
	v_mov_b32_e32 v19, v17
	s_waitcnt lgkmcnt(2)
	v_pk_mul_f32 v[16:17], v[2:3], v[16:17] op_sel_hi:[1,0]
	v_pk_add_f32 v[14:15], v[14:15], v[18:19]
	v_pk_fma_f32 v[18:19], v[2:3], v[168:169], v[16:17] op_sel:[0,0,1] op_sel_hi:[1,1,0] neg_lo:[0,0,1] neg_hi:[0,0,1]
	v_pk_fma_f32 v[2:3], v[2:3], v[168:169], v[16:17] op_sel:[0,0,1] op_sel_hi:[1,0,0]
	v_mov_b32_e32 v19, v3
	v_pk_add_f32 v[2:3], v[14:15], v[18:19]
	v_mov_b32_e32 v14, v167
	v_pk_mul_f32 v[14:15], v[4:5], v[14:15] op_sel_hi:[1,0]
	v_pk_fma_f32 v[16:17], v[4:5], v[166:167], v[14:15] op_sel:[0,0,1] op_sel_hi:[1,1,0] neg_lo:[0,0,1] neg_hi:[0,0,1]
	v_pk_fma_f32 v[4:5], v[4:5], v[166:167], v[14:15] op_sel:[0,0,1] op_sel_hi:[1,0,0]
	v_mov_b32_e32 v4, v165
	v_mov_b32_e32 v17, v5
	s_waitcnt lgkmcnt(1)
	v_pk_mul_f32 v[4:5], v[6:7], v[4:5] op_sel_hi:[1,0]
	v_pk_fma_f32 v[14:15], v[6:7], v[164:165], v[4:5] op_sel:[0,0,1] op_sel_hi:[1,1,0] neg_lo:[0,0,1] neg_hi:[0,0,1]
	v_pk_fma_f32 v[4:5], v[6:7], v[164:165], v[4:5] op_sel:[0,0,1] op_sel_hi:[1,0,0]
	s_waitcnt vmcnt(1)
	v_mov_b32_e32 v4, v177
	v_mov_b32_e32 v15, v5
	v_pk_mul_f32 v[4:5], v[8:9], v[4:5] op_sel_hi:[1,0]
	s_waitcnt vmcnt(0)
	v_pk_fma_f32 v[6:7], v[8:9], v[176:177], v[4:5] op_sel:[0,0,1] op_sel_hi:[1,1,0] neg_lo:[0,0,1] neg_hi:[0,0,1]
	v_pk_fma_f32 v[4:5], v[8:9], v[176:177], v[4:5] op_sel:[0,0,1] op_sel_hi:[1,0,0]
	v_pk_add_f32 v[2:3], v[2:3], v[16:17]
	v_mov_b32_e32 v4, v175
	v_pk_add_f32 v[2:3], v[2:3], v[14:15]
	v_mov_b32_e32 v7, v5
	s_waitcnt lgkmcnt(0)
	v_pk_mul_f32 v[4:5], v[10:11], v[4:5] op_sel_hi:[1,0]
	v_pk_add_f32 v[2:3], v[2:3], v[6:7]
	v_pk_fma_f32 v[6:7], v[10:11], v[174:175], v[4:5] op_sel:[0,0,1] op_sel_hi:[1,1,0] neg_lo:[0,0,1] neg_hi:[0,0,1]
	v_pk_fma_f32 v[4:5], v[10:11], v[174:175], v[4:5] op_sel:[0,0,1] op_sel_hi:[1,0,0]
	v_mov_b32_e32 v4, v173
	v_mov_b32_e32 v7, v5
	v_pk_mul_f32 v[4:5], v[12:13], v[4:5] op_sel_hi:[1,0]
	v_pk_add_f32 v[2:3], v[2:3], v[6:7]
	v_pk_fma_f32 v[6:7], v[12:13], v[172:173], v[4:5] op_sel:[0,0,1] op_sel_hi:[1,1,0] neg_lo:[0,0,1] neg_hi:[0,0,1]
	v_pk_fma_f32 v[4:5], v[12:13], v[172:173], v[4:5] op_sel:[0,0,1] op_sel_hi:[1,0,0]
	v_mov_b32_e32 v7, v5
	v_pk_add_f32 v[2:3], v[2:3], v[6:7]
	v_pk_add_f32 v[2:3], v[58:59], v[2:3] neg_lo:[0,1] neg_hi:[0,1]
	buffer_store_dword v3, off, s[0:3], 0 offset:12
	buffer_store_dword v2, off, s[0:3], 0 offset:8
	s_and_saveexec_b64 s[4:5], vcc
	s_cbranch_execz .LBB59_373
; %bb.372:
	buffer_load_dword v0, off, s[0:3], 0
	buffer_load_dword v1, off, s[0:3], 0 offset:4
	v_mov_b32_e32 v2, 0
	buffer_store_dword v2, off, s[0:3], 0
	buffer_store_dword v2, off, s[0:3], 0 offset:4
	s_waitcnt vmcnt(2)
	ds_write_b64 v195, v[0:1]
.LBB59_373:
	s_or_b64 exec, exec, s[4:5]
	s_waitcnt lgkmcnt(0)
	; wave barrier
	s_waitcnt lgkmcnt(0)
	buffer_load_dword v64, off, s[0:3], 0 offset:12
	buffer_load_dword v63, off, s[0:3], 0 offset:20
	;; [unrolled: 1-line block ×32, first 2 shown]
	buffer_load_dword v56, off, s[0:3], 0
	buffer_load_dword v57, off, s[0:3], 0 offset:4
	buffer_load_dword v91, off, s[0:3], 0 offset:136
	;; [unrolled: 1-line block ×15, first 2 shown]
	v_mov_b32_e32 v58, 0
	ds_read2_b64 v[20:23], v58 offset0:61 offset1:62
	ds_read2_b64 v[16:19], v58 offset0:63 offset1:64
	;; [unrolled: 1-line block ×6, first 2 shown]
	buffer_load_dword v156, off, s[0:3], 0 offset:192
	buffer_load_dword v158, off, s[0:3], 0 offset:196
	s_and_b64 vcc, exec, s[20:21]
	s_waitcnt vmcnt(49) lgkmcnt(5)
	v_mul_f32_e32 v24, v20, v64
	s_waitcnt vmcnt(48)
	v_mul_f32_e32 v25, v22, v63
	s_waitcnt vmcnt(47) lgkmcnt(4)
	v_mul_f32_e32 v27, v18, v62
	s_waitcnt vmcnt(46) lgkmcnt(3)
	v_mul_f32_e32 v28, v12, v61
	s_waitcnt vmcnt(45)
	v_mul_f32_e32 v29, v14, v59
	s_waitcnt vmcnt(44)
	v_mul_f32_e32 v26, v16, v65
	s_waitcnt vmcnt(43) lgkmcnt(2)
	v_mul_f32_e32 v30, v8, v60
	s_waitcnt vmcnt(42)
	v_mul_f32_e32 v31, v10, v66
	s_waitcnt vmcnt(41) lgkmcnt(1)
	;; [unrolled: 4-line block ×3, first 2 shown]
	v_mul_f32_e32 v34, v0, v69
	s_waitcnt vmcnt(38)
	v_mul_f32_e32 v35, v2, v70
	s_waitcnt vmcnt(37)
	v_fmac_f32_e32 v26, v17, v76
	s_waitcnt vmcnt(36)
	v_fmac_f32_e32 v25, v23, v79
	;; [unrolled: 2-line block ×3, first 2 shown]
	v_add_f32_e32 v24, 0, v24
	v_add_f32_e32 v24, v24, v25
	;; [unrolled: 1-line block ×3, first 2 shown]
	s_waitcnt vmcnt(31)
	v_fmac_f32_e32 v27, v19, v81
	v_fmac_f32_e32 v28, v13, v78
	v_add_f32_e32 v24, v24, v27
	v_fmac_f32_e32 v29, v15, v75
	v_add_f32_e32 v24, v24, v28
	;; [unrolled: 2-line block ×3, first 2 shown]
	s_waitcnt vmcnt(27)
	v_fmac_f32_e32 v31, v11, v77
	v_add_f32_e32 v24, v24, v30
	v_fmac_f32_e32 v32, v5, v74
	v_add_f32_e32 v24, v24, v31
	;; [unrolled: 2-line block ×4, first 2 shown]
	v_add_f32_e32 v28, v24, v34
	ds_read2_b64 v[24:27], v58 offset0:73 offset1:74
	s_waitcnt vmcnt(23)
	v_fmac_f32_e32 v35, v3, v90
	v_add_f32_e32 v32, v28, v35
	buffer_load_dword v176, off, s[0:3], 0 offset:200
	buffer_load_dword v177, off, s[0:3], 0 offset:204
	ds_read2_b64 v[28:31], v58 offset0:75 offset1:76
	s_waitcnt vmcnt(24) lgkmcnt(1)
	v_mul_f32_e32 v33, v24, v89
	v_fmac_f32_e32 v33, v25, v85
	v_add_f32_e32 v32, v32, v33
	s_waitcnt vmcnt(23)
	v_mul_f32_e32 v33, v26, v87
	buffer_load_dword v178, off, s[0:3], 0 offset:208
	buffer_load_dword v179, off, s[0:3], 0 offset:212
	v_fmac_f32_e32 v33, v27, v83
	v_add_f32_e32 v32, v32, v33
	s_waitcnt vmcnt(24) lgkmcnt(0)
	v_mul_f32_e32 v33, v28, v84
	buffer_load_dword v180, off, s[0:3], 0 offset:216
	buffer_load_dword v181, off, s[0:3], 0 offset:220
	v_fmac_f32_e32 v33, v29, v80
	v_add_f32_e32 v32, v32, v33
	s_waitcnt vmcnt(24)
	v_mul_f32_e32 v33, v30, v88
	v_fmac_f32_e32 v33, v31, v86
	ds_read2_b64 v[36:39], v58 offset0:77 offset1:78
	v_add_f32_e32 v40, v32, v33
	ds_read2_b64 v[32:35], v58 offset0:79 offset1:80
	buffer_load_dword v182, off, s[0:3], 0 offset:224
	buffer_load_dword v183, off, s[0:3], 0 offset:228
	;; [unrolled: 1-line block ×6, first 2 shown]
	s_waitcnt vmcnt(26) lgkmcnt(1)
	v_mul_f32_e32 v41, v36, v92
	v_fmac_f32_e32 v41, v37, v91
	buffer_load_dword v188, off, s[0:3], 0 offset:248
	buffer_load_dword v189, off, s[0:3], 0 offset:252
	v_add_f32_e32 v40, v40, v41
	s_waitcnt vmcnt(26)
	v_mul_f32_e32 v41, v38, v94
	v_fmac_f32_e32 v41, v39, v93
	v_add_f32_e32 v40, v40, v41
	s_waitcnt vmcnt(24) lgkmcnt(0)
	v_mul_f32_e32 v41, v32, v96
	v_fmac_f32_e32 v41, v33, v95
	buffer_load_dword v190, off, s[0:3], 0 offset:256
	buffer_load_dword v191, off, s[0:3], 0 offset:260
	v_add_f32_e32 v40, v40, v41
	s_waitcnt vmcnt(24)
	v_mul_f32_e32 v41, v34, v98
	v_fmac_f32_e32 v41, v35, v97
	v_add_f32_e32 v48, v40, v41
	ds_read2_b64 v[40:43], v58 offset0:81 offset1:82
	buffer_load_dword v192, off, s[0:3], 0 offset:264
	buffer_load_dword v193, off, s[0:3], 0 offset:268
	ds_read2_b64 v[44:47], v58 offset0:83 offset1:84
	buffer_load_dword v194, off, s[0:3], 0 offset:272
	buffer_load_dword v195, off, s[0:3], 0 offset:276
	;; [unrolled: 1-line block ×12, first 2 shown]
	s_waitcnt vmcnt(36) lgkmcnt(1)
	v_mul_f32_e32 v49, v40, v100
	v_fmac_f32_e32 v49, v41, v99
	buffer_load_dword v232, off, s[0:3], 0 offset:320
	buffer_load_dword v233, off, s[0:3], 0 offset:324
	v_add_f32_e32 v48, v48, v49
	s_waitcnt vmcnt(36)
	v_mul_f32_e32 v49, v42, v104
	v_fmac_f32_e32 v49, v43, v101
	v_add_f32_e32 v48, v48, v49
	s_waitcnt vmcnt(34) lgkmcnt(0)
	v_mul_f32_e32 v49, v44, v106
	buffer_load_dword v234, off, s[0:3], 0 offset:328
	buffer_load_dword v235, off, s[0:3], 0 offset:332
	v_fmac_f32_e32 v49, v45, v105
	v_add_f32_e32 v52, v48, v49
	ds_read2_b64 v[48:51], v58 offset0:85 offset1:86
	buffer_load_dword v236, off, s[0:3], 0 offset:336
	buffer_load_dword v237, off, s[0:3], 0 offset:340
	;; [unrolled: 1-line block ×4, first 2 shown]
	s_waitcnt vmcnt(38)
	v_mul_f32_e32 v53, v46, v158
	v_fmac_f32_e32 v53, v47, v156
	v_add_f32_e32 v107, v52, v53
	ds_read2_b64 v[52:55], v58 offset0:87 offset1:88
	buffer_load_dword v240, off, s[0:3], 0 offset:352
	buffer_load_dword v241, off, s[0:3], 0 offset:356
	;; [unrolled: 1-line block ×16, first 2 shown]
	v_mul_f32_e32 v21, v21, v64
	v_fma_f32 v20, v20, v82, -v21
	v_mul_f32_e32 v21, v23, v63
	v_add_f32_e32 v20, 0, v20
	v_fma_f32 v21, v22, v79, -v21
	v_mul_f32_e32 v17, v17, v65
	v_add_f32_e32 v20, v20, v21
	v_fma_f32 v16, v16, v76, -v17
	v_mul_f32_e32 v17, v19, v62
	v_add_f32_e32 v16, v20, v16
	v_fma_f32 v17, v18, v81, -v17
	v_mul_f32_e32 v13, v13, v61
	s_waitcnt vmcnt(52) lgkmcnt(1)
	v_mul_f32_e32 v108, v48, v177
	v_fmac_f32_e32 v108, v49, v176
	v_add_f32_e32 v107, v107, v108
	v_add_f32_e32 v16, v16, v17
	v_fma_f32 v12, v12, v78, -v13
	v_mul_f32_e32 v13, v15, v59
	s_waitcnt vmcnt(50)
	v_mul_f32_e32 v108, v50, v179
	v_fmac_f32_e32 v108, v51, v178
	v_add_f32_e32 v107, v107, v108
	v_add_f32_e32 v12, v16, v12
	s_waitcnt vmcnt(48) lgkmcnt(0)
	v_mul_f32_e32 v108, v52, v181
	v_fmac_f32_e32 v108, v53, v180
	v_add_f32_e32 v107, v107, v108
	ds_read2_b64 v[108:111], v58 offset0:89 offset1:90
	v_fma_f32 v13, v14, v75, -v13
	v_mul_f32_e32 v9, v9, v60
	v_add_f32_e32 v12, v12, v13
	v_fma_f32 v8, v8, v73, -v9
	s_waitcnt vmcnt(46)
	v_mul_f32_e32 v112, v54, v183
	v_fmac_f32_e32 v112, v55, v182
	v_add_f32_e32 v107, v107, v112
	ds_read2_b64 v[112:115], v58 offset0:91 offset1:92
	s_waitcnt vmcnt(44) lgkmcnt(1)
	v_mul_f32_e32 v116, v108, v185
	v_fmac_f32_e32 v116, v109, v184
	v_add_f32_e32 v107, v107, v116
	s_waitcnt vmcnt(42)
	v_mul_f32_e32 v116, v110, v187
	v_fmac_f32_e32 v116, v111, v186
	v_add_f32_e32 v107, v107, v116
	s_waitcnt vmcnt(40) lgkmcnt(0)
	v_mul_f32_e32 v116, v112, v189
	v_fmac_f32_e32 v116, v113, v188
	v_add_f32_e32 v107, v107, v116
	ds_read2_b64 v[116:119], v58 offset0:93 offset1:94
	s_waitcnt vmcnt(38)
	v_mul_f32_e32 v120, v114, v191
	v_fmac_f32_e32 v120, v115, v190
	v_add_f32_e32 v107, v107, v120
	ds_read2_b64 v[120:123], v58 offset0:95 offset1:96
	s_waitcnt vmcnt(36) lgkmcnt(1)
	v_mul_f32_e32 v124, v116, v193
	v_fmac_f32_e32 v124, v117, v192
	v_add_f32_e32 v107, v107, v124
	s_waitcnt vmcnt(34)
	v_mul_f32_e32 v124, v118, v195
	v_fmac_f32_e32 v124, v119, v194
	v_add_f32_e32 v107, v107, v124
	s_waitcnt vmcnt(32) lgkmcnt(0)
	v_mul_f32_e32 v124, v120, v223
	v_fmac_f32_e32 v124, v121, v222
	v_add_f32_e32 v107, v107, v124
	ds_read2_b64 v[124:127], v58 offset0:97 offset1:98
	s_waitcnt vmcnt(30)
	v_mul_f32_e32 v128, v122, v225
	v_fmac_f32_e32 v128, v123, v224
	v_add_f32_e32 v107, v107, v128
	ds_read2_b64 v[128:131], v58 offset0:99 offset1:100
	s_waitcnt vmcnt(28) lgkmcnt(1)
	v_mul_f32_e32 v132, v124, v227
	v_fmac_f32_e32 v132, v125, v226
	v_add_f32_e32 v107, v107, v132
	s_waitcnt vmcnt(26)
	v_mul_f32_e32 v132, v126, v229
	v_fmac_f32_e32 v132, v127, v228
	v_add_f32_e32 v107, v107, v132
	s_waitcnt vmcnt(24) lgkmcnt(0)
	v_mul_f32_e32 v132, v128, v231
	v_fmac_f32_e32 v132, v129, v230
	v_add_f32_e32 v107, v107, v132
	ds_read2_b64 v[132:135], v58 offset0:101 offset1:102
	s_waitcnt vmcnt(22)
	v_mul_f32_e32 v136, v130, v233
	v_fmac_f32_e32 v136, v131, v232
	v_add_f32_e32 v107, v107, v136
	ds_read2_b64 v[136:139], v58 offset0:103 offset1:104
	s_waitcnt vmcnt(20) lgkmcnt(1)
	v_mul_f32_e32 v140, v132, v235
	v_fmac_f32_e32 v140, v133, v234
	v_add_f32_e32 v107, v107, v140
	s_waitcnt vmcnt(18)
	v_mul_f32_e32 v140, v134, v237
	v_fmac_f32_e32 v140, v135, v236
	v_add_f32_e32 v107, v107, v140
	s_waitcnt vmcnt(16) lgkmcnt(0)
	v_mul_f32_e32 v140, v136, v239
	v_fmac_f32_e32 v140, v137, v238
	v_add_f32_e32 v107, v107, v140
	ds_read2_b64 v[140:143], v58 offset0:105 offset1:106
	s_waitcnt vmcnt(14)
	v_mul_f32_e32 v144, v138, v241
	v_fmac_f32_e32 v144, v139, v240
	v_mul_f32_e32 v9, v11, v66
	v_add_f32_e32 v107, v107, v144
	ds_read2_b64 v[144:147], v58 offset0:107 offset1:108
	v_add_f32_e32 v8, v12, v8
	v_fma_f32 v9, v10, v77, -v9
	v_mul_f32_e32 v5, v5, v67
	s_waitcnt vmcnt(12) lgkmcnt(1)
	v_mul_f32_e32 v148, v140, v243
	v_add_f32_e32 v8, v8, v9
	v_fma_f32 v4, v4, v74, -v5
	v_mul_f32_e32 v5, v7, v68
	v_fmac_f32_e32 v148, v141, v242
	v_add_f32_e32 v4, v8, v4
	v_fma_f32 v5, v6, v72, -v5
	v_mul_f32_e32 v1, v1, v69
	v_add_f32_e32 v107, v107, v148
	s_waitcnt vmcnt(10)
	v_mul_f32_e32 v148, v142, v245
	v_add_f32_e32 v4, v4, v5
	v_fma_f32 v0, v0, v71, -v1
	v_mul_f32_e32 v1, v3, v70
	v_fmac_f32_e32 v148, v143, v244
	v_add_f32_e32 v0, v4, v0
	v_fma_f32 v1, v2, v90, -v1
	v_add_f32_e32 v107, v107, v148
	s_waitcnt vmcnt(8) lgkmcnt(0)
	v_mul_f32_e32 v148, v144, v247
	v_add_f32_e32 v0, v0, v1
	v_mul_f32_e32 v1, v25, v89
	v_fmac_f32_e32 v148, v145, v246
	s_waitcnt vmcnt(6)
	v_mul_f32_e32 v152, v146, v249
	v_fma_f32 v1, v24, v85, -v1
	v_add_f32_e32 v107, v107, v148
	v_fmac_f32_e32 v152, v147, v248
	v_add_f32_e32 v0, v0, v1
	v_mul_f32_e32 v1, v27, v87
	ds_read2_b64 v[148:151], v58 offset0:109 offset1:110
	v_add_f32_e32 v107, v107, v152
	ds_read2_b64 v[152:155], v58 offset0:111 offset1:112
	buffer_load_dword v161, off, s[0:3], 0 offset:444
	buffer_load_dword v160, off, s[0:3], 0 offset:440
	;; [unrolled: 1-line block ×16, first 2 shown]
	v_fma_f32 v1, v26, v83, -v1
	v_add_f32_e32 v0, v0, v1
	v_mul_f32_e32 v1, v29, v84
	v_fma_f32 v1, v28, v80, -v1
	v_add_f32_e32 v0, v0, v1
	v_mul_f32_e32 v1, v31, v88
	;; [unrolled: 3-line block ×34, first 2 shown]
	v_fma_f32 v1, v146, v248, -v1
	v_add_f32_e32 v0, v0, v1
	s_waitcnt vmcnt(20) lgkmcnt(1)
	v_mul_f32_e32 v1, v149, v251
	v_mul_f32_e32 v157, v148, v251
	v_fma_f32 v1, v148, v250, -v1
	v_fmac_f32_e32 v157, v149, v250
	v_add_f32_e32 v106, v0, v1
	s_waitcnt vmcnt(18)
	v_mul_f32_e32 v0, v151, v253
	s_waitcnt vmcnt(9)
	v_mov_b32_e32 v16, v167
	v_add_f32_e32 v107, v107, v157
	v_mul_f32_e32 v157, v150, v253
	v_fma_f32 v156, v150, v252, -v0
	s_waitcnt lgkmcnt(0)
	v_mul_f32_e32 v0, v153, v255
	v_pk_mul_f32 v[16:17], v[154:155], v[16:17] op_sel_hi:[1,0]
	v_fmac_f32_e32 v157, v151, v252
	v_mul_f32_e32 v159, v152, v255
	v_fma_f32 v158, v152, v254, -v0
	ds_read2_b64 v[0:3], v58 offset0:113 offset1:114
	ds_read2_b64 v[4:7], v58 offset0:115 offset1:116
	ds_read2_b64 v[8:11], v58 offset0:117 offset1:118
	ds_read_b64 v[12:13], v58 offset:952
	s_waitcnt vmcnt(8)
	v_pk_fma_f32 v[18:19], v[154:155], v[166:167], v[16:17] op_sel:[0,0,1] op_sel_hi:[1,1,0] neg_lo:[0,0,1] neg_hi:[0,0,1]
	v_pk_fma_f32 v[16:17], v[154:155], v[166:167], v[16:17] op_sel:[0,0,1] op_sel_hi:[1,0,0]
	v_fmac_f32_e32 v159, v153, v254
	v_pk_add_f32 v[14:15], v[106:107], v[156:157]
	v_mov_b32_e32 v16, v165
	v_pk_add_f32 v[14:15], v[14:15], v[158:159]
	v_mov_b32_e32 v19, v17
	s_waitcnt lgkmcnt(3)
	v_pk_mul_f32 v[16:17], v[0:1], v[16:17] op_sel_hi:[1,0]
	v_pk_add_f32 v[14:15], v[14:15], v[18:19]
	v_pk_fma_f32 v[18:19], v[0:1], v[164:165], v[16:17] op_sel:[0,0,1] op_sel_hi:[1,1,0] neg_lo:[0,0,1] neg_hi:[0,0,1]
	v_pk_fma_f32 v[0:1], v[0:1], v[164:165], v[16:17] op_sel:[0,0,1] op_sel_hi:[1,0,0]
	v_mov_b32_e32 v19, v1
	v_pk_add_f32 v[0:1], v[14:15], v[18:19]
	v_mov_b32_e32 v14, v163
	v_pk_mul_f32 v[14:15], v[2:3], v[14:15] op_sel_hi:[1,0]
	v_pk_fma_f32 v[16:17], v[2:3], v[162:163], v[14:15] op_sel:[0,0,1] op_sel_hi:[1,1,0] neg_lo:[0,0,1] neg_hi:[0,0,1]
	v_pk_fma_f32 v[2:3], v[2:3], v[162:163], v[14:15] op_sel:[0,0,1] op_sel_hi:[1,0,0]
	v_mov_b32_e32 v2, v161
	v_mov_b32_e32 v17, v3
	s_waitcnt lgkmcnt(2)
	v_pk_mul_f32 v[2:3], v[4:5], v[2:3] op_sel_hi:[1,0]
	v_pk_fma_f32 v[14:15], v[4:5], v[160:161], v[2:3] op_sel:[0,0,1] op_sel_hi:[1,1,0] neg_lo:[0,0,1] neg_hi:[0,0,1]
	v_pk_fma_f32 v[2:3], v[4:5], v[160:161], v[2:3] op_sel:[0,0,1] op_sel_hi:[1,0,0]
	s_waitcnt vmcnt(1)
	v_mov_b32_e32 v2, v175
	v_mov_b32_e32 v15, v3
	v_pk_mul_f32 v[2:3], v[6:7], v[2:3] op_sel_hi:[1,0]
	s_waitcnt vmcnt(0)
	v_pk_fma_f32 v[4:5], v[6:7], v[174:175], v[2:3] op_sel:[0,0,1] op_sel_hi:[1,1,0] neg_lo:[0,0,1] neg_hi:[0,0,1]
	v_pk_fma_f32 v[2:3], v[6:7], v[174:175], v[2:3] op_sel:[0,0,1] op_sel_hi:[1,0,0]
	v_pk_add_f32 v[0:1], v[0:1], v[16:17]
	v_mov_b32_e32 v2, v173
	v_pk_add_f32 v[0:1], v[0:1], v[14:15]
	v_mov_b32_e32 v5, v3
	s_waitcnt lgkmcnt(1)
	v_pk_mul_f32 v[2:3], v[8:9], v[2:3] op_sel_hi:[1,0]
	v_pk_add_f32 v[0:1], v[0:1], v[4:5]
	v_pk_fma_f32 v[4:5], v[8:9], v[172:173], v[2:3] op_sel:[0,0,1] op_sel_hi:[1,1,0] neg_lo:[0,0,1] neg_hi:[0,0,1]
	v_pk_fma_f32 v[2:3], v[8:9], v[172:173], v[2:3] op_sel:[0,0,1] op_sel_hi:[1,0,0]
	v_mov_b32_e32 v2, v171
	v_mov_b32_e32 v5, v3
	v_pk_mul_f32 v[2:3], v[10:11], v[2:3] op_sel_hi:[1,0]
	v_pk_add_f32 v[0:1], v[0:1], v[4:5]
	v_pk_fma_f32 v[4:5], v[10:11], v[170:171], v[2:3] op_sel:[0,0,1] op_sel_hi:[1,1,0] neg_lo:[0,0,1] neg_hi:[0,0,1]
	v_pk_fma_f32 v[2:3], v[10:11], v[170:171], v[2:3] op_sel:[0,0,1] op_sel_hi:[1,0,0]
	v_mov_b32_e32 v2, v169
	v_mov_b32_e32 v5, v3
	s_waitcnt lgkmcnt(0)
	v_pk_mul_f32 v[2:3], v[12:13], v[2:3] op_sel_hi:[1,0]
	v_pk_add_f32 v[0:1], v[0:1], v[4:5]
	v_pk_fma_f32 v[4:5], v[12:13], v[168:169], v[2:3] op_sel:[0,0,1] op_sel_hi:[1,1,0] neg_lo:[0,0,1] neg_hi:[0,0,1]
	v_pk_fma_f32 v[2:3], v[12:13], v[168:169], v[2:3] op_sel:[0,0,1] op_sel_hi:[1,0,0]
	v_mov_b32_e32 v5, v3
	v_pk_add_f32 v[0:1], v[0:1], v[4:5]
	v_pk_add_f32 v[0:1], v[56:57], v[0:1] neg_lo:[0,1] neg_hi:[0,1]
	buffer_store_dword v1, off, s[0:3], 0 offset:4
	buffer_store_dword v0, off, s[0:3], 0
	s_cbranch_vccz .LBB59_493
; %bb.374:
	v_pk_mov_b32 v[0:1], s[10:11], s[10:11] op_sel:[0,1]
	flat_load_dword v0, v[0:1] offset:232
	s_waitcnt vmcnt(0) lgkmcnt(0)
	v_add_u32_e32 v0, -1, v0
	v_cmp_ne_u32_e32 vcc, 58, v0
	s_and_saveexec_b64 s[4:5], vcc
	s_cbranch_execz .LBB59_376
; %bb.375:
	v_mov_b32_e32 v1, 0
	v_lshl_add_u32 v0, v0, 3, v1
	buffer_load_dword v1, v0, s[0:3], 0 offen
	buffer_load_dword v2, v0, s[0:3], 0 offen offset:4
	buffer_load_dword v3, off, s[0:3], 0 offset:468
	buffer_load_dword v4, off, s[0:3], 0 offset:464
	s_waitcnt vmcnt(3)
	buffer_store_dword v1, off, s[0:3], 0 offset:464
	s_waitcnt vmcnt(3)
	buffer_store_dword v2, off, s[0:3], 0 offset:468
	s_waitcnt vmcnt(3)
	buffer_store_dword v3, v0, s[0:3], 0 offen offset:4
	s_waitcnt vmcnt(3)
	buffer_store_dword v4, v0, s[0:3], 0 offen
.LBB59_376:
	s_or_b64 exec, exec, s[4:5]
	v_pk_mov_b32 v[0:1], s[10:11], s[10:11] op_sel:[0,1]
	flat_load_dword v0, v[0:1] offset:228
	s_waitcnt vmcnt(0) lgkmcnt(0)
	v_add_u32_e32 v0, -1, v0
	v_cmp_ne_u32_e32 vcc, 57, v0
	s_and_saveexec_b64 s[4:5], vcc
	s_cbranch_execz .LBB59_378
; %bb.377:
	v_mov_b32_e32 v1, 0
	v_lshl_add_u32 v0, v0, 3, v1
	buffer_load_dword v1, v0, s[0:3], 0 offen
	buffer_load_dword v2, v0, s[0:3], 0 offen offset:4
	buffer_load_dword v3, off, s[0:3], 0 offset:456
	buffer_load_dword v4, off, s[0:3], 0 offset:460
	s_waitcnt vmcnt(3)
	buffer_store_dword v1, off, s[0:3], 0 offset:456
	s_waitcnt vmcnt(3)
	buffer_store_dword v2, off, s[0:3], 0 offset:460
	s_waitcnt vmcnt(3)
	buffer_store_dword v3, v0, s[0:3], 0 offen
	s_waitcnt vmcnt(3)
	buffer_store_dword v4, v0, s[0:3], 0 offen offset:4
.LBB59_378:
	s_or_b64 exec, exec, s[4:5]
	v_pk_mov_b32 v[0:1], s[10:11], s[10:11] op_sel:[0,1]
	flat_load_dword v0, v[0:1] offset:224
	s_waitcnt vmcnt(0) lgkmcnt(0)
	v_add_u32_e32 v0, -1, v0
	v_cmp_ne_u32_e32 vcc, 56, v0
	s_and_saveexec_b64 s[4:5], vcc
	s_cbranch_execz .LBB59_380
; %bb.379:
	v_mov_b32_e32 v1, 0
	v_lshl_add_u32 v0, v0, 3, v1
	buffer_load_dword v1, v0, s[0:3], 0 offen
	buffer_load_dword v2, v0, s[0:3], 0 offen offset:4
	buffer_load_dword v3, off, s[0:3], 0 offset:452
	buffer_load_dword v4, off, s[0:3], 0 offset:448
	s_waitcnt vmcnt(3)
	buffer_store_dword v1, off, s[0:3], 0 offset:448
	s_waitcnt vmcnt(3)
	buffer_store_dword v2, off, s[0:3], 0 offset:452
	s_waitcnt vmcnt(3)
	buffer_store_dword v3, v0, s[0:3], 0 offen offset:4
	s_waitcnt vmcnt(3)
	buffer_store_dword v4, v0, s[0:3], 0 offen
.LBB59_380:
	s_or_b64 exec, exec, s[4:5]
	v_pk_mov_b32 v[0:1], s[10:11], s[10:11] op_sel:[0,1]
	flat_load_dword v0, v[0:1] offset:220
	s_waitcnt vmcnt(0) lgkmcnt(0)
	v_add_u32_e32 v0, -1, v0
	v_cmp_ne_u32_e32 vcc, 55, v0
	s_and_saveexec_b64 s[4:5], vcc
	s_cbranch_execz .LBB59_382
; %bb.381:
	v_mov_b32_e32 v1, 0
	v_lshl_add_u32 v0, v0, 3, v1
	buffer_load_dword v1, v0, s[0:3], 0 offen
	buffer_load_dword v2, v0, s[0:3], 0 offen offset:4
	buffer_load_dword v3, off, s[0:3], 0 offset:440
	buffer_load_dword v4, off, s[0:3], 0 offset:444
	s_waitcnt vmcnt(3)
	buffer_store_dword v1, off, s[0:3], 0 offset:440
	s_waitcnt vmcnt(3)
	buffer_store_dword v2, off, s[0:3], 0 offset:444
	s_waitcnt vmcnt(3)
	buffer_store_dword v3, v0, s[0:3], 0 offen
	s_waitcnt vmcnt(3)
	buffer_store_dword v4, v0, s[0:3], 0 offen offset:4
.LBB59_382:
	s_or_b64 exec, exec, s[4:5]
	;; [unrolled: 48-line block ×29, first 2 shown]
	v_pk_mov_b32 v[0:1], s[10:11], s[10:11] op_sel:[0,1]
	flat_load_dword v2, v[0:1]
	s_nop 0
	buffer_load_dword v0, off, s[0:3], 0
	buffer_load_dword v1, off, s[0:3], 0 offset:4
	s_waitcnt vmcnt(0) lgkmcnt(0)
	v_add_u32_e32 v2, -1, v2
	v_cmp_ne_u32_e32 vcc, 0, v2
	s_and_saveexec_b64 s[4:5], vcc
	s_cbranch_execz .LBB59_492
; %bb.491:
	v_mov_b32_e32 v3, 0
	v_lshl_add_u32 v2, v2, 3, v3
	buffer_load_dword v3, v2, s[0:3], 0 offen offset:4
	buffer_load_dword v4, v2, s[0:3], 0 offen
	s_waitcnt vmcnt(1)
	buffer_store_dword v3, off, s[0:3], 0 offset:4
	s_waitcnt vmcnt(1)
	buffer_store_dword v4, off, s[0:3], 0
	buffer_store_dword v1, v2, s[0:3], 0 offen offset:4
	buffer_store_dword v0, v2, s[0:3], 0 offen
	buffer_load_dword v0, off, s[0:3], 0
	s_nop 0
	buffer_load_dword v1, off, s[0:3], 0 offset:4
.LBB59_492:
	s_or_b64 exec, exec, s[4:5]
.LBB59_493:
	buffer_load_dword v2, off, s[0:3], 0 offset:8
	buffer_load_dword v3, off, s[0:3], 0 offset:12
	;; [unrolled: 1-line block ×118, first 2 shown]
	s_waitcnt vmcnt(62)
	global_store_dwordx2 v[102:103], v[0:1], off
	v_accvgpr_read_b32 v0, a0
	v_accvgpr_read_b32 v1, a1
	global_store_dwordx2 v[0:1], v[2:3], off
	v_accvgpr_read_b32 v0, a2
	v_accvgpr_read_b32 v1, a3
	;; [unrolled: 3-line block ×29, first 2 shown]
	s_waitcnt vmcnt(62)
	global_store_dwordx2 v[0:1], v[58:59], off
	v_accvgpr_read_b32 v0, a64
	v_accvgpr_read_b32 v1, a65
	global_store_dwordx2 v[0:1], v[60:61], off
	v_accvgpr_read_b32 v0, a66
	v_accvgpr_read_b32 v1, a67
	;; [unrolled: 3-line block ×14, first 2 shown]
	s_waitcnt vmcnt(62)
	global_store_dwordx2 v[0:1], v[86:87], off
	global_store_dwordx2 v[196:197], v[88:89], off
	;; [unrolled: 1-line block ×7, first 2 shown]
	s_waitcnt vmcnt(62)
	global_store_dwordx2 v[208:209], v[100:101], off
	global_store_dwordx2 v[210:211], v[104:105], off
	;; [unrolled: 1-line block ×4, first 2 shown]
	s_waitcnt vmcnt(62)
	global_store_dwordx2 v[216:217], v[110:111], off
	global_store_dwordx2 v[218:219], v[112:113], off
	s_waitcnt vmcnt(62)
	global_store_dwordx2 v[220:221], v[114:115], off
	v_accvgpr_read_b32 v0, a32
	v_accvgpr_read_b32 v1, a33
	s_waitcnt vmcnt(61)
	global_store_dwordx2 v[0:1], v[116:117], off
	v_accvgpr_read_b32 v0, a34
	v_accvgpr_read_b32 v1, a35
	;; [unrolled: 4-line block ×3, first 2 shown]
	s_waitcnt vmcnt(59)
	global_store_dwordx2 v[0:1], v[120:121], off
	s_endpgm
	.section	.rodata,"a",@progbits
	.p2align	6, 0x0
	.amdhsa_kernel _ZN9rocsolver6v33100L18getri_kernel_smallILi60E19rocblas_complex_numIfEPS3_EEvT1_iilPiilS6_bb
		.amdhsa_group_segment_fixed_size 964
		.amdhsa_private_segment_fixed_size 496
		.amdhsa_kernarg_size 60
		.amdhsa_user_sgpr_count 8
		.amdhsa_user_sgpr_private_segment_buffer 1
		.amdhsa_user_sgpr_dispatch_ptr 0
		.amdhsa_user_sgpr_queue_ptr 0
		.amdhsa_user_sgpr_kernarg_segment_ptr 1
		.amdhsa_user_sgpr_dispatch_id 0
		.amdhsa_user_sgpr_flat_scratch_init 1
		.amdhsa_user_sgpr_kernarg_preload_length 0
		.amdhsa_user_sgpr_kernarg_preload_offset 0
		.amdhsa_user_sgpr_private_segment_size 0
		.amdhsa_uses_dynamic_stack 0
		.amdhsa_system_sgpr_private_segment_wavefront_offset 1
		.amdhsa_system_sgpr_workgroup_id_x 1
		.amdhsa_system_sgpr_workgroup_id_y 0
		.amdhsa_system_sgpr_workgroup_id_z 0
		.amdhsa_system_sgpr_workgroup_info 0
		.amdhsa_system_vgpr_workitem_id 0
		.amdhsa_next_free_vgpr 348
		.amdhsa_next_free_sgpr 23
		.amdhsa_accum_offset 256
		.amdhsa_reserve_vcc 1
		.amdhsa_reserve_flat_scratch 1
		.amdhsa_float_round_mode_32 0
		.amdhsa_float_round_mode_16_64 0
		.amdhsa_float_denorm_mode_32 3
		.amdhsa_float_denorm_mode_16_64 3
		.amdhsa_dx10_clamp 1
		.amdhsa_ieee_mode 1
		.amdhsa_fp16_overflow 0
		.amdhsa_tg_split 0
		.amdhsa_exception_fp_ieee_invalid_op 0
		.amdhsa_exception_fp_denorm_src 0
		.amdhsa_exception_fp_ieee_div_zero 0
		.amdhsa_exception_fp_ieee_overflow 0
		.amdhsa_exception_fp_ieee_underflow 0
		.amdhsa_exception_fp_ieee_inexact 0
		.amdhsa_exception_int_div_zero 0
	.end_amdhsa_kernel
	.section	.text._ZN9rocsolver6v33100L18getri_kernel_smallILi60E19rocblas_complex_numIfEPS3_EEvT1_iilPiilS6_bb,"axG",@progbits,_ZN9rocsolver6v33100L18getri_kernel_smallILi60E19rocblas_complex_numIfEPS3_EEvT1_iilPiilS6_bb,comdat
.Lfunc_end59:
	.size	_ZN9rocsolver6v33100L18getri_kernel_smallILi60E19rocblas_complex_numIfEPS3_EEvT1_iilPiilS6_bb, .Lfunc_end59-_ZN9rocsolver6v33100L18getri_kernel_smallILi60E19rocblas_complex_numIfEPS3_EEvT1_iilPiilS6_bb
                                        ; -- End function
	.section	.AMDGPU.csdata,"",@progbits
; Kernel info:
; codeLenInByte = 134628
; NumSgprs: 29
; NumVgprs: 256
; NumAgprs: 92
; TotalNumVgprs: 348
; ScratchSize: 496
; MemoryBound: 0
; FloatMode: 240
; IeeeMode: 1
; LDSByteSize: 964 bytes/workgroup (compile time only)
; SGPRBlocks: 3
; VGPRBlocks: 43
; NumSGPRsForWavesPerEU: 29
; NumVGPRsForWavesPerEU: 348
; AccumOffset: 256
; Occupancy: 1
; WaveLimiterHint : 1
; COMPUTE_PGM_RSRC2:SCRATCH_EN: 1
; COMPUTE_PGM_RSRC2:USER_SGPR: 8
; COMPUTE_PGM_RSRC2:TRAP_HANDLER: 0
; COMPUTE_PGM_RSRC2:TGID_X_EN: 1
; COMPUTE_PGM_RSRC2:TGID_Y_EN: 0
; COMPUTE_PGM_RSRC2:TGID_Z_EN: 0
; COMPUTE_PGM_RSRC2:TIDIG_COMP_CNT: 0
; COMPUTE_PGM_RSRC3_GFX90A:ACCUM_OFFSET: 63
; COMPUTE_PGM_RSRC3_GFX90A:TG_SPLIT: 0
	.section	.text._ZN9rocsolver6v33100L18getri_kernel_smallILi61E19rocblas_complex_numIfEPS3_EEvT1_iilPiilS6_bb,"axG",@progbits,_ZN9rocsolver6v33100L18getri_kernel_smallILi61E19rocblas_complex_numIfEPS3_EEvT1_iilPiilS6_bb,comdat
	.globl	_ZN9rocsolver6v33100L18getri_kernel_smallILi61E19rocblas_complex_numIfEPS3_EEvT1_iilPiilS6_bb ; -- Begin function _ZN9rocsolver6v33100L18getri_kernel_smallILi61E19rocblas_complex_numIfEPS3_EEvT1_iilPiilS6_bb
	.p2align	8
	.type	_ZN9rocsolver6v33100L18getri_kernel_smallILi61E19rocblas_complex_numIfEPS3_EEvT1_iilPiilS6_bb,@function
_ZN9rocsolver6v33100L18getri_kernel_smallILi61E19rocblas_complex_numIfEPS3_EEvT1_iilPiilS6_bb: ; @_ZN9rocsolver6v33100L18getri_kernel_smallILi61E19rocblas_complex_numIfEPS3_EEvT1_iilPiilS6_bb
; %bb.0:
	s_add_u32 flat_scratch_lo, s6, s9
	s_addc_u32 flat_scratch_hi, s7, 0
	s_add_u32 s0, s0, s9
	s_addc_u32 s1, s1, 0
	v_cmp_gt_u32_e32 vcc, 61, v0
	s_and_saveexec_b64 s[6:7], vcc
	s_cbranch_execz .LBB60_258
; %bb.1:
	s_load_dword s22, s[4:5], 0x38
	s_load_dwordx4 s[16:19], s[4:5], 0x10
	s_load_dwordx4 s[12:15], s[4:5], 0x28
                                        ; implicit-def: $sgpr10_sgpr11
	s_waitcnt lgkmcnt(0)
	s_bitcmp1_b32 s22, 8
	s_cselect_b64 s[20:21], -1, 0
	s_ashr_i32 s9, s8, 31
	s_bfe_u32 s6, s22, 0x10008
	s_cmp_eq_u32 s6, 0
	s_cbranch_scc1 .LBB60_3
; %bb.2:
	s_load_dword s6, s[4:5], 0x20
	s_mul_i32 s7, s8, s13
	s_mul_hi_u32 s10, s8, s12
	s_mul_i32 s11, s9, s12
	s_add_i32 s10, s10, s7
	s_add_i32 s11, s10, s11
	s_mul_i32 s10, s8, s12
	s_waitcnt lgkmcnt(0)
	s_ashr_i32 s7, s6, 31
	s_lshl_b64 s[10:11], s[10:11], 2
	s_add_u32 s10, s18, s10
	s_addc_u32 s11, s19, s11
	s_lshl_b64 s[6:7], s[6:7], 2
	s_add_u32 s10, s10, s6
	s_addc_u32 s11, s11, s7
.LBB60_3:
	s_load_dwordx4 s[4:7], s[4:5], 0x0
	s_mul_i32 s12, s8, s17
	s_mul_hi_u32 s13, s8, s16
	s_add_i32 s17, s13, s12
	v_lshlrev_b32_e32 v82, 3, v0
	s_waitcnt lgkmcnt(0)
	s_ashr_i32 s13, s6, 31
	s_mov_b32 s12, s6
	s_mul_i32 s6, s9, s16
	s_add_i32 s17, s17, s6
	s_mul_i32 s16, s8, s16
	s_lshl_b64 s[16:17], s[16:17], 3
	s_add_u32 s6, s4, s16
	s_addc_u32 s16, s5, s17
	s_lshl_b64 s[4:5], s[12:13], 3
	s_add_u32 s4, s6, s4
	s_addc_u32 s5, s16, s5
	v_mov_b32_e32 v1, s5
	v_add_co_u32_e32 v102, vcc, s4, v82
	s_ashr_i32 s13, s7, 31
	s_mov_b32 s12, s7
	s_add_i32 s6, s7, s7
	v_addc_co_u32_e32 v103, vcc, 0, v1, vcc
	s_lshl_b64 s[12:13], s[12:13], 3
	v_add_u32_e32 v2, s6, v0
	v_mov_b32_e32 v1, s13
	v_add_co_u32_e32 v8, vcc, s12, v102
	v_ashrrev_i32_e32 v3, 31, v2
	v_addc_co_u32_e32 v9, vcc, v103, v1, vcc
	v_lshlrev_b64 v[6:7], 3, v[2:3]
	v_add_u32_e32 v2, s7, v2
	v_mov_b32_e32 v1, s5
	v_add_co_u32_e32 v10, vcc, s4, v6
	v_ashrrev_i32_e32 v3, 31, v2
	v_addc_co_u32_e32 v11, vcc, v1, v7, vcc
	v_lshlrev_b64 v[6:7], 3, v[2:3]
	v_add_u32_e32 v2, s7, v2
	v_add_co_u32_e32 v14, vcc, s4, v6
	v_ashrrev_i32_e32 v3, 31, v2
	v_addc_co_u32_e32 v15, vcc, v1, v7, vcc
	v_lshlrev_b64 v[6:7], 3, v[2:3]
	v_add_co_u32_e32 v6, vcc, s4, v6
	v_add_u32_e32 v2, s7, v2
	v_addc_co_u32_e32 v7, vcc, v1, v7, vcc
	v_accvgpr_write_b32 a0, v8
	v_accvgpr_write_b32 a2, v10
	;; [unrolled: 1-line block ×4, first 2 shown]
	v_ashrrev_i32_e32 v3, 31, v2
	global_load_dwordx2 v[4:5], v82, s[4:5]
	v_accvgpr_write_b32 a1, v9
	global_load_dwordx2 v[12:13], v[8:9], off
	v_accvgpr_write_b32 a3, v11
	global_load_dwordx2 v[10:11], v[10:11], off
	v_accvgpr_write_b32 a5, v15
	v_accvgpr_write_b32 a7, v7
	global_load_dwordx2 v[6:7], v[6:7], off
	s_bitcmp0_b32 s22, 0
	global_load_dwordx2 v[8:9], v[14:15], off
	v_lshlrev_b64 v[14:15], 3, v[2:3]
	v_add_u32_e32 v2, s7, v2
	v_add_co_u32_e32 v16, vcc, s4, v14
	v_ashrrev_i32_e32 v3, 31, v2
	v_addc_co_u32_e32 v17, vcc, v1, v15, vcc
	v_lshlrev_b64 v[14:15], 3, v[2:3]
	v_add_u32_e32 v2, s7, v2
	v_add_co_u32_e32 v18, vcc, s4, v14
	v_ashrrev_i32_e32 v3, 31, v2
	v_addc_co_u32_e32 v19, vcc, v1, v15, vcc
	;; [unrolled: 5-line block ×3, first 2 shown]
	v_lshlrev_b64 v[14:15], 3, v[2:3]
	v_add_co_u32_e32 v22, vcc, s4, v14
	v_add_u32_e32 v2, s7, v2
	v_addc_co_u32_e32 v23, vcc, v1, v15, vcc
	v_accvgpr_write_b32 a8, v16
	v_accvgpr_write_b32 a10, v18
	;; [unrolled: 1-line block ×4, first 2 shown]
	v_ashrrev_i32_e32 v3, 31, v2
	v_accvgpr_write_b32 a9, v17
	global_load_dwordx2 v[14:15], v[16:17], off
	v_accvgpr_write_b32 a11, v19
	global_load_dwordx2 v[16:17], v[18:19], off
	;; [unrolled: 2-line block ×4, first 2 shown]
	v_lshlrev_b64 v[22:23], 3, v[2:3]
	v_add_u32_e32 v2, s7, v2
	v_add_co_u32_e32 v24, vcc, s4, v22
	v_ashrrev_i32_e32 v3, 31, v2
	v_addc_co_u32_e32 v25, vcc, v1, v23, vcc
	v_lshlrev_b64 v[22:23], 3, v[2:3]
	v_add_u32_e32 v2, s7, v2
	v_add_co_u32_e32 v26, vcc, s4, v22
	v_ashrrev_i32_e32 v3, 31, v2
	v_addc_co_u32_e32 v27, vcc, v1, v23, vcc
	;; [unrolled: 5-line block ×3, first 2 shown]
	v_lshlrev_b64 v[22:23], 3, v[2:3]
	v_add_co_u32_e32 v30, vcc, s4, v22
	v_add_u32_e32 v2, s7, v2
	v_addc_co_u32_e32 v31, vcc, v1, v23, vcc
	v_accvgpr_write_b32 a16, v24
	v_accvgpr_write_b32 a18, v26
	;; [unrolled: 1-line block ×4, first 2 shown]
	v_ashrrev_i32_e32 v3, 31, v2
	v_accvgpr_write_b32 a17, v25
	global_load_dwordx2 v[22:23], v[24:25], off
	v_accvgpr_write_b32 a19, v27
	global_load_dwordx2 v[24:25], v[26:27], off
	;; [unrolled: 2-line block ×4, first 2 shown]
	v_lshlrev_b64 v[30:31], 3, v[2:3]
	v_add_u32_e32 v2, s7, v2
	v_add_co_u32_e32 v32, vcc, s4, v30
	v_ashrrev_i32_e32 v3, 31, v2
	v_addc_co_u32_e32 v33, vcc, v1, v31, vcc
	v_lshlrev_b64 v[30:31], 3, v[2:3]
	v_add_u32_e32 v2, s7, v2
	v_add_co_u32_e32 v34, vcc, s4, v30
	v_ashrrev_i32_e32 v3, 31, v2
	v_addc_co_u32_e32 v35, vcc, v1, v31, vcc
	;; [unrolled: 5-line block ×3, first 2 shown]
	v_lshlrev_b64 v[30:31], 3, v[2:3]
	v_add_co_u32_e32 v38, vcc, s4, v30
	v_add_u32_e32 v2, s7, v2
	v_addc_co_u32_e32 v39, vcc, v1, v31, vcc
	v_accvgpr_write_b32 a24, v32
	global_load_dwordx2 v[30:31], v[32:33], off
	v_accvgpr_write_b32 a26, v34
	v_accvgpr_write_b32 a28, v36
	;; [unrolled: 1-line block ×3, first 2 shown]
	v_ashrrev_i32_e32 v3, 31, v2
	v_accvgpr_write_b32 a25, v33
	v_accvgpr_write_b32 a27, v35
	global_load_dwordx2 v[32:33], v[34:35], off
	v_accvgpr_write_b32 a29, v37
	global_load_dwordx2 v[34:35], v[36:37], off
	v_accvgpr_write_b32 a31, v39
	global_load_dwordx2 v[36:37], v[38:39], off
	v_lshlrev_b64 v[38:39], 3, v[2:3]
	v_add_u32_e32 v2, s7, v2
	v_add_co_u32_e32 v40, vcc, s4, v38
	v_ashrrev_i32_e32 v3, 31, v2
	v_addc_co_u32_e32 v41, vcc, v1, v39, vcc
	v_lshlrev_b64 v[38:39], 3, v[2:3]
	v_add_u32_e32 v2, s7, v2
	v_add_co_u32_e32 v42, vcc, s4, v38
	v_ashrrev_i32_e32 v3, 31, v2
	v_addc_co_u32_e32 v43, vcc, v1, v39, vcc
	v_lshlrev_b64 v[38:39], 3, v[2:3]
	v_add_co_u32_e32 v44, vcc, s4, v38
	v_addc_co_u32_e32 v45, vcc, v1, v39, vcc
	v_accvgpr_write_b32 a32, v40
	v_accvgpr_write_b32 a34, v42
	;; [unrolled: 1-line block ×4, first 2 shown]
	global_load_dwordx2 v[38:39], v[40:41], off
	v_accvgpr_write_b32 a35, v43
	global_load_dwordx2 v[40:41], v[42:43], off
	v_accvgpr_write_b32 a37, v45
	global_load_dwordx2 v[42:43], v[44:45], off
	v_add_u32_e32 v44, s7, v2
	v_ashrrev_i32_e32 v45, 31, v44
	v_lshlrev_b64 v[2:3], 3, v[44:45]
	v_add_co_u32_e32 v2, vcc, s4, v2
	v_addc_co_u32_e32 v3, vcc, v1, v3, vcc
	v_accvgpr_write_b32 a39, v3
	v_accvgpr_write_b32 a38, v2
	global_load_dwordx2 v[2:3], v[2:3], off
	s_waitcnt vmcnt(20)
	buffer_store_dword v5, off, s[0:3], 0 offset:4
	buffer_store_dword v4, off, s[0:3], 0
	s_waitcnt vmcnt(21)
	buffer_store_dword v13, off, s[0:3], 0 offset:12
	buffer_store_dword v12, off, s[0:3], 0 offset:8
	s_waitcnt vmcnt(22)
	buffer_store_dword v11, off, s[0:3], 0 offset:20
	buffer_store_dword v10, off, s[0:3], 0 offset:16
	;; [unrolled: 3-line block ×3, first 2 shown]
	buffer_store_dword v7, off, s[0:3], 0 offset:36
	buffer_store_dword v6, off, s[0:3], 0 offset:32
	s_waitcnt vmcnt(25)
	buffer_store_dword v15, off, s[0:3], 0 offset:44
	buffer_store_dword v14, off, s[0:3], 0 offset:40
	s_waitcnt vmcnt(26)
	;; [unrolled: 3-line block ×16, first 2 shown]
	buffer_store_dword v3, off, s[0:3], 0 offset:164
	v_add_u32_e32 v4, s7, v44
	v_ashrrev_i32_e32 v5, 31, v4
	v_lshlrev_b64 v[6:7], 3, v[4:5]
	v_add_u32_e32 v4, s7, v4
	v_add_co_u32_e32 v8, vcc, s4, v6
	v_ashrrev_i32_e32 v5, 31, v4
	v_addc_co_u32_e32 v9, vcc, v1, v7, vcc
	v_lshlrev_b64 v[6:7], 3, v[4:5]
	v_add_u32_e32 v4, s7, v4
	v_add_co_u32_e32 v14, vcc, s4, v6
	v_ashrrev_i32_e32 v5, 31, v4
	v_addc_co_u32_e32 v15, vcc, v1, v7, vcc
	v_lshlrev_b64 v[6:7], 3, v[4:5]
	v_add_u32_e32 v12, s7, v4
	v_add_co_u32_e32 v6, vcc, s4, v6
	v_ashrrev_i32_e32 v13, 31, v12
	v_addc_co_u32_e32 v7, vcc, v1, v7, vcc
	v_lshlrev_b64 v[4:5], 3, v[12:13]
	v_add_u32_e32 v12, s7, v12
	v_add_co_u32_e32 v4, vcc, s4, v4
	v_accvgpr_write_b32 a41, v9
	v_accvgpr_write_b32 a43, v15
	v_accvgpr_write_b32 a45, v7
	v_ashrrev_i32_e32 v13, 31, v12
	v_addc_co_u32_e32 v5, vcc, v1, v5, vcc
	v_accvgpr_write_b32 a40, v8
	global_load_dwordx2 v[10:11], v[8:9], off
	v_accvgpr_write_b32 a42, v14
	v_accvgpr_write_b32 a44, v6
	global_load_dwordx2 v[6:7], v[6:7], off
	v_accvgpr_write_b32 a47, v5
	global_load_dwordx2 v[8:9], v[14:15], off
	v_lshlrev_b64 v[14:15], 3, v[12:13]
	v_add_u32_e32 v12, s7, v12
	v_add_co_u32_e32 v16, vcc, s4, v14
	v_ashrrev_i32_e32 v13, 31, v12
	v_addc_co_u32_e32 v17, vcc, v1, v15, vcc
	v_lshlrev_b64 v[14:15], 3, v[12:13]
	v_add_u32_e32 v12, s7, v12
	v_add_co_u32_e32 v22, vcc, s4, v14
	v_ashrrev_i32_e32 v13, 31, v12
	v_addc_co_u32_e32 v23, vcc, v1, v15, vcc
	v_lshlrev_b64 v[14:15], 3, v[12:13]
	v_add_u32_e32 v20, s7, v12
	v_add_co_u32_e32 v14, vcc, s4, v14
	v_ashrrev_i32_e32 v21, 31, v20
	v_addc_co_u32_e32 v15, vcc, v1, v15, vcc
	v_lshlrev_b64 v[12:13], 3, v[20:21]
	v_add_u32_e32 v20, s7, v20
	v_add_co_u32_e32 v12, vcc, s4, v12
	v_accvgpr_write_b32 a49, v17
	v_accvgpr_write_b32 a51, v23
	v_accvgpr_write_b32 a53, v15
	v_ashrrev_i32_e32 v21, 31, v20
	v_addc_co_u32_e32 v13, vcc, v1, v13, vcc
	v_accvgpr_write_b32 a48, v16
	global_load_dwordx2 v[18:19], v[16:17], off
	v_accvgpr_write_b32 a50, v22
	v_accvgpr_write_b32 a52, v14
	global_load_dwordx2 v[14:15], v[14:15], off
	v_accvgpr_write_b32 a55, v13
	global_load_dwordx2 v[16:17], v[22:23], off
	;; [unrolled: 30-line block ×7, first 2 shown]
	v_lshlrev_b64 v[62:63], 3, v[60:61]
	v_add_u32_e32 v60, s7, v60
	v_add_co_u32_e32 v200, vcc, s4, v62
	v_ashrrev_i32_e32 v61, 31, v60
	v_addc_co_u32_e32 v201, vcc, v1, v63, vcc
	v_lshlrev_b64 v[62:63], 3, v[60:61]
	v_add_u32_e32 v60, s7, v60
	v_add_co_u32_e32 v202, vcc, s4, v62
	v_ashrrev_i32_e32 v61, 31, v60
	v_addc_co_u32_e32 v203, vcc, v1, v63, vcc
	v_lshlrev_b64 v[62:63], 3, v[60:61]
	v_add_u32_e32 v68, s7, v60
	v_add_co_u32_e32 v204, vcc, s4, v62
	v_ashrrev_i32_e32 v69, 31, v68
	v_addc_co_u32_e32 v205, vcc, v1, v63, vcc
	v_lshlrev_b64 v[60:61], 3, v[68:69]
	v_add_u32_e32 v68, s7, v68
	v_add_co_u32_e32 v206, vcc, s4, v60
	v_ashrrev_i32_e32 v69, 31, v68
	v_addc_co_u32_e32 v207, vcc, v1, v61, vcc
	v_lshlrev_b64 v[70:71], 3, v[68:69]
	v_add_u32_e32 v68, s7, v68
	v_add_co_u32_e32 v208, vcc, s4, v70
	v_ashrrev_i32_e32 v69, 31, v68
	v_addc_co_u32_e32 v209, vcc, v1, v71, vcc
	v_lshlrev_b64 v[70:71], 3, v[68:69]
	v_add_u32_e32 v68, s7, v68
	v_add_co_u32_e32 v210, vcc, s4, v70
	v_ashrrev_i32_e32 v69, 31, v68
	v_addc_co_u32_e32 v211, vcc, v1, v71, vcc
	v_lshlrev_b64 v[70:71], 3, v[68:69]
	v_add_u32_e32 v76, s7, v68
	v_add_co_u32_e32 v212, vcc, s4, v70
	v_ashrrev_i32_e32 v77, 31, v76
	v_addc_co_u32_e32 v213, vcc, v1, v71, vcc
	v_lshlrev_b64 v[68:69], 3, v[76:77]
	v_add_u32_e32 v76, s7, v76
	v_add_co_u32_e32 v214, vcc, s4, v68
	v_ashrrev_i32_e32 v77, 31, v76
	v_addc_co_u32_e32 v215, vcc, v1, v69, vcc
	v_lshlrev_b64 v[78:79], 3, v[76:77]
	v_add_u32_e32 v76, s7, v76
	v_add_co_u32_e32 v216, vcc, s4, v78
	v_ashrrev_i32_e32 v77, 31, v76
	v_addc_co_u32_e32 v217, vcc, v1, v79, vcc
	v_lshlrev_b64 v[78:79], 3, v[76:77]
	v_add_u32_e32 v84, s7, v76
	v_add_co_u32_e32 v218, vcc, s4, v78
	v_ashrrev_i32_e32 v85, 31, v84
	v_addc_co_u32_e32 v219, vcc, v1, v79, vcc
	v_lshlrev_b64 v[76:77], 3, v[84:85]
	v_add_co_u32_e32 v220, vcc, s4, v76
	v_accvgpr_write_b32 a46, v4
	global_load_dwordx2 v[4:5], v[4:5], off
	v_accvgpr_write_b32 a54, v12
	global_load_dwordx2 v[12:13], v[12:13], off
	;; [unrolled: 2-line block ×7, first 2 shown]
	s_nop 0
	global_load_dwordx2 v[66:67], v[200:201], off
	global_load_dwordx2 v[64:65], v[202:203], off
	;; [unrolled: 1-line block ×8, first 2 shown]
	v_addc_co_u32_e32 v221, vcc, v1, v77, vcc
	global_load_dwordx2 v[80:81], v[216:217], off
	global_load_dwordx2 v[78:79], v[218:219], off
	;; [unrolled: 1-line block ×3, first 2 shown]
	v_add_u32_e32 v84, s7, v84
	v_ashrrev_i32_e32 v85, 31, v84
	v_lshlrev_b64 v[84:85], 3, v[84:85]
	v_add_co_u32_e32 v222, vcc, s4, v84
	v_addc_co_u32_e32 v223, vcc, v1, v85, vcc
	global_load_dwordx2 v[84:85], v[222:223], off
	s_mov_b64 s[6:7], -1
	buffer_store_dword v2, off, s[0:3], 0 offset:160
	s_waitcnt vmcnt(40)
	buffer_store_dword v10, off, s[0:3], 0 offset:168
	buffer_store_dword v11, off, s[0:3], 0 offset:172
	s_waitcnt vmcnt(40)
	buffer_store_dword v8, off, s[0:3], 0 offset:176
	buffer_store_dword v9, off, s[0:3], 0 offset:180
	buffer_store_dword v6, off, s[0:3], 0 offset:184
	buffer_store_dword v7, off, s[0:3], 0 offset:188
	s_waitcnt vmcnt(25)
	buffer_store_dword v4, off, s[0:3], 0 offset:192
	buffer_store_dword v5, off, s[0:3], 0 offset:196
	buffer_store_dword v19, off, s[0:3], 0 offset:204
	buffer_store_dword v18, off, s[0:3], 0 offset:200
	buffer_store_dword v17, off, s[0:3], 0 offset:212
	buffer_store_dword v16, off, s[0:3], 0 offset:208
	buffer_store_dword v14, off, s[0:3], 0 offset:216
	buffer_store_dword v15, off, s[0:3], 0 offset:220
	s_waitcnt vmcnt(32)
	buffer_store_dword v12, off, s[0:3], 0 offset:224
	buffer_store_dword v13, off, s[0:3], 0 offset:228
	buffer_store_dword v26, off, s[0:3], 0 offset:232
	buffer_store_dword v27, off, s[0:3], 0 offset:236
	;; [unrolled: 9-line block ×7, first 2 shown]
	buffer_store_dword v65, off, s[0:3], 0 offset:404
	buffer_store_dword v64, off, s[0:3], 0 offset:400
	;; [unrolled: 1-line block ×8, first 2 shown]
	s_waitcnt vmcnt(62)
	buffer_store_dword v72, off, s[0:3], 0 offset:432
	buffer_store_dword v73, off, s[0:3], 0 offset:436
	;; [unrolled: 1-line block ×14, first 2 shown]
	s_cbranch_scc1 .LBB60_256
; %bb.4:
	v_cmp_eq_u32_e64 s[4:5], 0, v0
	s_and_saveexec_b64 s[6:7], s[4:5]
	s_cbranch_execz .LBB60_6
; %bb.5:
	v_mov_b32_e32 v1, 0
	ds_write_b32 v1, v1 offset:488
.LBB60_6:
	s_or_b64 exec, exec, s[6:7]
	v_mov_b32_e32 v1, 0
	v_lshl_add_u32 v6, v0, 3, v1
	s_waitcnt lgkmcnt(0)
	; wave barrier
	s_waitcnt lgkmcnt(0)
	buffer_load_dword v1, v6, s[0:3], 0 offen
	buffer_load_dword v2, v6, s[0:3], 0 offen offset:4
	s_waitcnt vmcnt(1)
	v_cmp_eq_f32_e32 vcc, 0, v1
	s_waitcnt vmcnt(0)
	v_cmp_eq_f32_e64 s[6:7], 0, v2
	s_and_b64 s[6:7], vcc, s[6:7]
	s_and_saveexec_b64 s[12:13], s[6:7]
	s_cbranch_execz .LBB60_10
; %bb.7:
	v_mov_b32_e32 v1, 0
	ds_read_b32 v3, v1 offset:488
	v_add_u32_e32 v2, 1, v0
	s_waitcnt lgkmcnt(0)
	v_readfirstlane_b32 s6, v3
	s_cmp_eq_u32 s6, 0
	s_cselect_b64 s[16:17], -1, 0
	v_cmp_gt_i32_e32 vcc, s6, v2
	s_or_b64 s[16:17], s[16:17], vcc
	s_and_b64 exec, exec, s[16:17]
	s_cbranch_execz .LBB60_10
; %bb.8:
	s_mov_b64 s[16:17], 0
	v_mov_b32_e32 v3, s6
.LBB60_9:                               ; =>This Inner Loop Header: Depth=1
	ds_cmpst_rtn_b32 v3, v1, v3, v2 offset:488
	s_waitcnt lgkmcnt(0)
	v_cmp_ne_u32_e32 vcc, 0, v3
	v_cmp_le_i32_e64 s[6:7], v3, v2
	s_and_b64 s[6:7], vcc, s[6:7]
	s_and_b64 s[6:7], exec, s[6:7]
	s_or_b64 s[16:17], s[6:7], s[16:17]
	s_andn2_b64 exec, exec, s[16:17]
	s_cbranch_execnz .LBB60_9
.LBB60_10:
	s_or_b64 exec, exec, s[12:13]
	v_mov_b32_e32 v2, 0
	s_waitcnt lgkmcnt(0)
	; wave barrier
	ds_read_b32 v1, v2 offset:488
	s_and_saveexec_b64 s[6:7], s[4:5]
	s_cbranch_execz .LBB60_12
; %bb.11:
	s_lshl_b64 s[12:13], s[8:9], 2
	s_add_u32 s12, s14, s12
	s_addc_u32 s13, s15, s13
	s_waitcnt lgkmcnt(0)
	global_store_dword v2, v1, s[12:13]
.LBB60_12:
	s_or_b64 exec, exec, s[6:7]
	s_waitcnt lgkmcnt(0)
	v_cmp_ne_u32_e32 vcc, 0, v1
	s_mov_b64 s[6:7], 0
	s_cbranch_vccnz .LBB60_256
; %bb.13:
	buffer_load_dword v7, v6, s[0:3], 0 offen offset:4
	buffer_load_dword v3, v6, s[0:3], 0 offen
	s_waitcnt vmcnt(1)
	v_cmp_gt_f32_e32 vcc, 0, v7
	v_cndmask_b32_e64 v1, v7, -v7, vcc
	s_waitcnt vmcnt(0)
	v_cmp_gt_f32_e32 vcc, 0, v3
	v_cndmask_b32_e64 v2, v3, -v3, vcc
	v_cmp_ngt_f32_e32 vcc, v2, v1
                                        ; implicit-def: $vgpr1
                                        ; implicit-def: $vgpr2
	s_and_saveexec_b64 s[6:7], vcc
	s_xor_b64 s[6:7], exec, s[6:7]
                                        ; implicit-def: $vgpr4_vgpr5
	s_cbranch_execz .LBB60_15
; %bb.14:
	v_div_scale_f32 v1, s[12:13], v7, v7, v3
	v_rcp_f32_e32 v2, v1
	v_div_scale_f32 v4, vcc, v3, v7, v3
	v_fma_f32 v5, -v1, v2, 1.0
	v_fmac_f32_e32 v2, v5, v2
	v_mul_f32_e32 v5, v4, v2
	v_fma_f32 v8, -v1, v5, v4
	v_fmac_f32_e32 v5, v8, v2
	v_fma_f32 v1, -v1, v5, v4
	v_div_fmas_f32 v1, v1, v2, v5
	v_div_fixup_f32 v2, v1, v7, v3
	v_fmac_f32_e32 v7, v3, v2
	v_div_scale_f32 v1, s[12:13], v7, v7, -1.0
	v_rcp_f32_e32 v3, v1
	v_fma_f32 v4, -v1, v3, 1.0
	v_fmac_f32_e32 v3, v4, v3
	v_div_scale_f32 v4, vcc, -1.0, v7, -1.0
	v_mul_f32_e32 v5, v4, v3
	v_fma_f32 v8, -v1, v5, v4
	v_fmac_f32_e32 v5, v8, v3
	v_fma_f32 v1, -v1, v5, v4
	v_div_fmas_f32 v1, v1, v3, v5
	v_div_fixup_f32 v1, v1, v7, -1.0
	v_mul_f32_e32 v2, v2, v1
	v_xor_b32_e32 v4, 0x80000000, v2
                                        ; implicit-def: $vgpr3
                                        ; implicit-def: $vgpr7
.LBB60_15:
	s_andn2_saveexec_b64 s[6:7], s[6:7]
	s_cbranch_execz .LBB60_17
; %bb.16:
	v_div_scale_f32 v1, s[12:13], v3, v3, v7
	v_rcp_f32_e32 v2, v1
	v_div_scale_f32 v4, vcc, v7, v3, v7
	v_fma_f32 v5, -v1, v2, 1.0
	v_fmac_f32_e32 v2, v5, v2
	v_mul_f32_e32 v5, v4, v2
	v_fma_f32 v8, -v1, v5, v4
	v_fmac_f32_e32 v5, v8, v2
	v_fma_f32 v1, -v1, v5, v4
	v_div_fmas_f32 v1, v1, v2, v5
	v_div_fixup_f32 v1, v1, v3, v7
	v_fmac_f32_e32 v3, v7, v1
	v_div_scale_f32 v2, s[12:13], v3, v3, 1.0
	v_rcp_f32_e32 v4, v2
	v_fma_f32 v5, -v2, v4, 1.0
	v_fmac_f32_e32 v4, v5, v4
	v_div_scale_f32 v5, vcc, 1.0, v3, 1.0
	v_mul_f32_e32 v7, v5, v4
	v_fma_f32 v8, -v2, v7, v5
	v_fmac_f32_e32 v7, v8, v4
	v_fma_f32 v2, -v2, v7, v5
	v_div_fmas_f32 v2, v2, v4, v7
	v_div_fixup_f32 v4, v2, v3, 1.0
	v_xor_b32_e32 v2, 0x80000000, v4
	v_mul_f32_e64 v1, v1, -v4
.LBB60_17:
	s_or_b64 exec, exec, s[6:7]
	buffer_store_dword v1, v6, s[0:3], 0 offen offset:4
	buffer_store_dword v4, v6, s[0:3], 0 offen
	buffer_load_dword v5, off, s[0:3], 0 offset:12
	s_nop 0
	buffer_load_dword v4, off, s[0:3], 0 offset:8
	v_xor_b32_e32 v3, 0x80000000, v1
	v_add_u32_e32 v1, 0x1f0, v82
	s_waitcnt vmcnt(0)
	ds_write2_b64 v82, v[2:3], v[4:5] offset1:62
	s_waitcnt lgkmcnt(0)
	; wave barrier
	s_waitcnt lgkmcnt(0)
	s_and_saveexec_b64 s[6:7], s[4:5]
	s_cbranch_execz .LBB60_19
; %bb.18:
	buffer_load_dword v7, v6, s[0:3], 0 offen offset:4
	buffer_load_dword v8, v6, s[0:3], 0 offen
	ds_read_b64 v[2:3], v1
	v_mov_b32_e32 v4, 0
	ds_read_b64 v[4:5], v4 offset:8
	s_waitcnt vmcnt(1) lgkmcnt(1)
	v_mul_f32_e32 v9, v3, v7
	v_mul_f32_e32 v7, v2, v7
	s_waitcnt vmcnt(0)
	v_fmac_f32_e32 v7, v3, v8
	v_fma_f32 v2, v2, v8, -v9
	v_add_f32_e32 v3, 0, v7
	v_add_f32_e32 v2, 0, v2
	s_waitcnt lgkmcnt(0)
	v_mul_f32_e32 v7, v3, v5
	v_mul_f32_e32 v5, v2, v5
	v_fma_f32 v2, v2, v4, -v7
	v_fmac_f32_e32 v5, v3, v4
	buffer_store_dword v2, off, s[0:3], 0 offset:8
	buffer_store_dword v5, off, s[0:3], 0 offset:12
.LBB60_19:
	s_or_b64 exec, exec, s[6:7]
	s_waitcnt lgkmcnt(0)
	; wave barrier
	buffer_load_dword v2, off, s[0:3], 0 offset:16
	buffer_load_dword v3, off, s[0:3], 0 offset:20
	v_cmp_gt_u32_e32 vcc, 2, v0
	s_waitcnt vmcnt(0)
	ds_write_b64 v1, v[2:3]
	s_waitcnt lgkmcnt(0)
	; wave barrier
	s_waitcnt lgkmcnt(0)
	s_and_saveexec_b64 s[6:7], vcc
	s_cbranch_execz .LBB60_23
; %bb.20:
	buffer_load_dword v4, v6, s[0:3], 0 offen offset:4
	buffer_load_dword v5, v6, s[0:3], 0 offen
	ds_read_b64 v[2:3], v1
	s_waitcnt vmcnt(1) lgkmcnt(0)
	v_mul_f32_e32 v6, v3, v4
	v_mul_f32_e32 v4, v2, v4
	s_waitcnt vmcnt(0)
	v_fma_f32 v2, v2, v5, -v6
	v_fmac_f32_e32 v4, v3, v5
	v_add_f32_e32 v3, 0, v2
	v_add_f32_e32 v2, 0, v4
	s_and_saveexec_b64 s[12:13], s[4:5]
	s_cbranch_execz .LBB60_22
; %bb.21:
	buffer_load_dword v6, off, s[0:3], 0 offset:12
	buffer_load_dword v7, off, s[0:3], 0 offset:8
	v_mov_b32_e32 v4, 0
	ds_read_b64 v[4:5], v4 offset:504
	s_waitcnt vmcnt(1) lgkmcnt(0)
	v_mul_f32_e32 v8, v4, v6
	v_mul_f32_e32 v6, v5, v6
	s_waitcnt vmcnt(0)
	v_fmac_f32_e32 v8, v5, v7
	v_fma_f32 v4, v4, v7, -v6
	v_add_f32_e32 v2, v2, v8
	v_add_f32_e32 v3, v3, v4
.LBB60_22:
	s_or_b64 exec, exec, s[12:13]
	v_mov_b32_e32 v4, 0
	ds_read_b64 v[4:5], v4 offset:16
	s_waitcnt lgkmcnt(0)
	v_mul_f32_e32 v6, v2, v5
	v_mul_f32_e32 v5, v3, v5
	v_fma_f32 v3, v3, v4, -v6
	v_fmac_f32_e32 v5, v2, v4
	buffer_store_dword v3, off, s[0:3], 0 offset:16
	buffer_store_dword v5, off, s[0:3], 0 offset:20
.LBB60_23:
	s_or_b64 exec, exec, s[6:7]
	s_waitcnt lgkmcnt(0)
	; wave barrier
	buffer_load_dword v2, off, s[0:3], 0 offset:24
	buffer_load_dword v3, off, s[0:3], 0 offset:28
	v_cmp_gt_u32_e32 vcc, 3, v0
	s_waitcnt vmcnt(0)
	ds_write_b64 v1, v[2:3]
	v_add_u32_e32 v2, -1, v0
	s_waitcnt lgkmcnt(0)
	; wave barrier
	s_waitcnt lgkmcnt(0)
	s_and_saveexec_b64 s[4:5], vcc
	s_cbranch_execz .LBB60_27
; %bb.24:
	v_add_u32_e32 v4, -1, v0
	v_add_u32_e32 v5, 0x1f0, v82
	v_add_u32_e32 v6, 0, v82
	s_mov_b64 s[6:7], 0
	v_mov_b32_e32 v3, 0
	v_mov_b32_e32 v7, 0
.LBB60_25:                              ; =>This Inner Loop Header: Depth=1
	buffer_load_dword v10, v6, s[0:3], 0 offen offset:4
	buffer_load_dword v11, v6, s[0:3], 0 offen
	ds_read_b64 v[8:9], v5
	v_add_u32_e32 v4, 1, v4
	v_cmp_lt_u32_e32 vcc, 1, v4
	v_add_u32_e32 v5, 8, v5
	v_add_u32_e32 v6, 8, v6
	s_or_b64 s[6:7], vcc, s[6:7]
	s_waitcnt vmcnt(1) lgkmcnt(0)
	v_mul_f32_e32 v12, v9, v10
	v_mul_f32_e32 v10, v8, v10
	s_waitcnt vmcnt(0)
	v_fma_f32 v8, v8, v11, -v12
	v_fmac_f32_e32 v10, v9, v11
	v_add_f32_e32 v7, v7, v8
	v_add_f32_e32 v3, v3, v10
	s_andn2_b64 exec, exec, s[6:7]
	s_cbranch_execnz .LBB60_25
; %bb.26:
	s_or_b64 exec, exec, s[6:7]
	v_mov_b32_e32 v4, 0
	ds_read_b64 v[4:5], v4 offset:24
	s_waitcnt lgkmcnt(0)
	v_mul_f32_e32 v6, v3, v5
	v_mul_f32_e32 v5, v7, v5
	v_fma_f32 v6, v7, v4, -v6
	v_fmac_f32_e32 v5, v3, v4
	buffer_store_dword v6, off, s[0:3], 0 offset:24
	buffer_store_dword v5, off, s[0:3], 0 offset:28
.LBB60_27:
	s_or_b64 exec, exec, s[4:5]
	s_waitcnt lgkmcnt(0)
	; wave barrier
	buffer_load_dword v4, off, s[0:3], 0 offset:32
	buffer_load_dword v5, off, s[0:3], 0 offset:36
	v_cmp_gt_u32_e32 vcc, 4, v0
	s_waitcnt vmcnt(0)
	ds_write_b64 v1, v[4:5]
	s_waitcnt lgkmcnt(0)
	; wave barrier
	s_waitcnt lgkmcnt(0)
	s_and_saveexec_b64 s[4:5], vcc
	s_cbranch_execz .LBB60_31
; %bb.28:
	v_add_u32_e32 v4, -1, v0
	v_add_u32_e32 v5, 0x1f0, v82
	v_add_u32_e32 v6, 0, v82
	s_mov_b64 s[6:7], 0
	v_mov_b32_e32 v3, 0
	v_mov_b32_e32 v7, 0
.LBB60_29:                              ; =>This Inner Loop Header: Depth=1
	buffer_load_dword v10, v6, s[0:3], 0 offen offset:4
	buffer_load_dword v11, v6, s[0:3], 0 offen
	ds_read_b64 v[8:9], v5
	v_add_u32_e32 v4, 1, v4
	v_cmp_lt_u32_e32 vcc, 2, v4
	v_add_u32_e32 v5, 8, v5
	v_add_u32_e32 v6, 8, v6
	s_or_b64 s[6:7], vcc, s[6:7]
	s_waitcnt vmcnt(1) lgkmcnt(0)
	v_mul_f32_e32 v12, v9, v10
	v_mul_f32_e32 v10, v8, v10
	s_waitcnt vmcnt(0)
	v_fma_f32 v8, v8, v11, -v12
	v_fmac_f32_e32 v10, v9, v11
	v_add_f32_e32 v7, v7, v8
	v_add_f32_e32 v3, v3, v10
	s_andn2_b64 exec, exec, s[6:7]
	s_cbranch_execnz .LBB60_29
; %bb.30:
	s_or_b64 exec, exec, s[6:7]
	v_mov_b32_e32 v4, 0
	ds_read_b64 v[4:5], v4 offset:32
	s_waitcnt lgkmcnt(0)
	v_mul_f32_e32 v6, v3, v5
	v_mul_f32_e32 v5, v7, v5
	v_fma_f32 v6, v7, v4, -v6
	v_fmac_f32_e32 v5, v3, v4
	buffer_store_dword v6, off, s[0:3], 0 offset:32
	buffer_store_dword v5, off, s[0:3], 0 offset:36
.LBB60_31:
	s_or_b64 exec, exec, s[4:5]
	s_waitcnt lgkmcnt(0)
	; wave barrier
	buffer_load_dword v4, off, s[0:3], 0 offset:40
	buffer_load_dword v5, off, s[0:3], 0 offset:44
	v_cmp_gt_u32_e32 vcc, 5, v0
	s_waitcnt vmcnt(0)
	ds_write_b64 v1, v[4:5]
	;; [unrolled: 51-line block ×19, first 2 shown]
	s_waitcnt lgkmcnt(0)
	; wave barrier
	s_waitcnt lgkmcnt(0)
	s_and_saveexec_b64 s[4:5], vcc
	s_cbranch_execz .LBB60_103
; %bb.100:
	v_add_u32_e32 v4, -1, v0
	v_add_u32_e32 v5, 0x1f0, v82
	v_add_u32_e32 v6, 0, v82
	s_mov_b64 s[6:7], 0
	v_mov_b32_e32 v3, 0
	v_mov_b32_e32 v7, 0
.LBB60_101:                             ; =>This Inner Loop Header: Depth=1
	buffer_load_dword v10, v6, s[0:3], 0 offen offset:4
	buffer_load_dword v11, v6, s[0:3], 0 offen
	ds_read_b64 v[8:9], v5
	v_add_u32_e32 v4, 1, v4
	v_cmp_lt_u32_e32 vcc, 20, v4
	v_add_u32_e32 v5, 8, v5
	v_add_u32_e32 v6, 8, v6
	s_or_b64 s[6:7], vcc, s[6:7]
	s_waitcnt vmcnt(1) lgkmcnt(0)
	v_mul_f32_e32 v12, v9, v10
	v_mul_f32_e32 v10, v8, v10
	s_waitcnt vmcnt(0)
	v_fma_f32 v8, v8, v11, -v12
	v_fmac_f32_e32 v10, v9, v11
	v_add_f32_e32 v7, v7, v8
	v_add_f32_e32 v3, v3, v10
	s_andn2_b64 exec, exec, s[6:7]
	s_cbranch_execnz .LBB60_101
; %bb.102:
	s_or_b64 exec, exec, s[6:7]
	v_mov_b32_e32 v4, 0
	ds_read_b64 v[4:5], v4 offset:176
	s_waitcnt lgkmcnt(0)
	v_mul_f32_e32 v6, v3, v5
	v_mul_f32_e32 v5, v7, v5
	v_fma_f32 v6, v7, v4, -v6
	v_fmac_f32_e32 v5, v3, v4
	buffer_store_dword v6, off, s[0:3], 0 offset:176
	buffer_store_dword v5, off, s[0:3], 0 offset:180
.LBB60_103:
	s_or_b64 exec, exec, s[4:5]
	s_waitcnt lgkmcnt(0)
	; wave barrier
	buffer_load_dword v4, off, s[0:3], 0 offset:184
	buffer_load_dword v5, off, s[0:3], 0 offset:188
	v_cmp_gt_u32_e32 vcc, 23, v0
	s_waitcnt vmcnt(0)
	ds_write_b64 v1, v[4:5]
	s_waitcnt lgkmcnt(0)
	; wave barrier
	s_waitcnt lgkmcnt(0)
	s_and_saveexec_b64 s[4:5], vcc
	s_cbranch_execz .LBB60_107
; %bb.104:
	v_add_u32_e32 v4, -1, v0
	v_add_u32_e32 v5, 0x1f0, v82
	v_add_u32_e32 v6, 0, v82
	s_mov_b64 s[6:7], 0
	v_mov_b32_e32 v3, 0
	v_mov_b32_e32 v7, 0
.LBB60_105:                             ; =>This Inner Loop Header: Depth=1
	buffer_load_dword v10, v6, s[0:3], 0 offen offset:4
	buffer_load_dword v11, v6, s[0:3], 0 offen
	ds_read_b64 v[8:9], v5
	v_add_u32_e32 v4, 1, v4
	v_cmp_lt_u32_e32 vcc, 21, v4
	v_add_u32_e32 v5, 8, v5
	v_add_u32_e32 v6, 8, v6
	s_or_b64 s[6:7], vcc, s[6:7]
	s_waitcnt vmcnt(1) lgkmcnt(0)
	v_mul_f32_e32 v12, v9, v10
	v_mul_f32_e32 v10, v8, v10
	s_waitcnt vmcnt(0)
	v_fma_f32 v8, v8, v11, -v12
	v_fmac_f32_e32 v10, v9, v11
	v_add_f32_e32 v7, v7, v8
	v_add_f32_e32 v3, v3, v10
	s_andn2_b64 exec, exec, s[6:7]
	s_cbranch_execnz .LBB60_105
; %bb.106:
	s_or_b64 exec, exec, s[6:7]
	v_mov_b32_e32 v4, 0
	ds_read_b64 v[4:5], v4 offset:184
	s_waitcnt lgkmcnt(0)
	v_mul_f32_e32 v6, v3, v5
	v_mul_f32_e32 v5, v7, v5
	v_fma_f32 v6, v7, v4, -v6
	v_fmac_f32_e32 v5, v3, v4
	buffer_store_dword v6, off, s[0:3], 0 offset:184
	buffer_store_dword v5, off, s[0:3], 0 offset:188
.LBB60_107:
	s_or_b64 exec, exec, s[4:5]
	s_waitcnt lgkmcnt(0)
	; wave barrier
	buffer_load_dword v4, off, s[0:3], 0 offset:192
	buffer_load_dword v5, off, s[0:3], 0 offset:196
	v_cmp_gt_u32_e32 vcc, 24, v0
	s_waitcnt vmcnt(0)
	ds_write_b64 v1, v[4:5]
	;; [unrolled: 51-line block ×37, first 2 shown]
	s_waitcnt lgkmcnt(0)
	; wave barrier
	s_waitcnt lgkmcnt(0)
	s_and_saveexec_b64 s[4:5], vcc
	s_cbranch_execz .LBB60_251
; %bb.248:
	v_add_u32_e32 v4, -1, v0
	v_add_u32_e32 v5, 0x1f0, v82
	v_add_u32_e32 v6, 0, v82
	s_mov_b64 s[6:7], 0
	v_mov_b32_e32 v3, 0
	v_mov_b32_e32 v7, 0
.LBB60_249:                             ; =>This Inner Loop Header: Depth=1
	buffer_load_dword v10, v6, s[0:3], 0 offen offset:4
	buffer_load_dword v11, v6, s[0:3], 0 offen
	ds_read_b64 v[8:9], v5
	v_add_u32_e32 v4, 1, v4
	v_cmp_lt_u32_e32 vcc, 57, v4
	v_add_u32_e32 v5, 8, v5
	v_add_u32_e32 v6, 8, v6
	s_or_b64 s[6:7], vcc, s[6:7]
	s_waitcnt vmcnt(1) lgkmcnt(0)
	v_mul_f32_e32 v12, v9, v10
	v_mul_f32_e32 v10, v8, v10
	s_waitcnt vmcnt(0)
	v_fma_f32 v8, v8, v11, -v12
	v_fmac_f32_e32 v10, v9, v11
	v_add_f32_e32 v7, v7, v8
	v_add_f32_e32 v3, v3, v10
	s_andn2_b64 exec, exec, s[6:7]
	s_cbranch_execnz .LBB60_249
; %bb.250:
	s_or_b64 exec, exec, s[6:7]
	v_mov_b32_e32 v4, 0
	ds_read_b64 v[4:5], v4 offset:472
	s_waitcnt lgkmcnt(0)
	v_mul_f32_e32 v6, v3, v5
	v_mul_f32_e32 v5, v7, v5
	v_fma_f32 v6, v7, v4, -v6
	v_fmac_f32_e32 v5, v3, v4
	buffer_store_dword v6, off, s[0:3], 0 offset:472
	buffer_store_dword v5, off, s[0:3], 0 offset:476
.LBB60_251:
	s_or_b64 exec, exec, s[4:5]
	s_waitcnt lgkmcnt(0)
	; wave barrier
	buffer_load_dword v4, off, s[0:3], 0 offset:480
	buffer_load_dword v5, off, s[0:3], 0 offset:484
	v_cmp_ne_u32_e32 vcc, 60, v0
	s_waitcnt vmcnt(0)
	ds_write_b64 v1, v[4:5]
	s_waitcnt lgkmcnt(0)
	; wave barrier
	s_waitcnt lgkmcnt(0)
	s_and_saveexec_b64 s[4:5], vcc
	s_cbranch_execz .LBB60_255
; %bb.252:
	v_add_u32_e32 v3, 0x1f0, v82
	v_add_u32_e32 v4, 0, v82
	s_mov_b64 s[6:7], 0
	v_mov_b32_e32 v1, 0
	v_mov_b32_e32 v5, 0
.LBB60_253:                             ; =>This Inner Loop Header: Depth=1
	buffer_load_dword v8, v4, s[0:3], 0 offen offset:4
	buffer_load_dword v9, v4, s[0:3], 0 offen
	ds_read_b64 v[6:7], v3
	v_add_u32_e32 v2, 1, v2
	v_cmp_lt_u32_e32 vcc, 58, v2
	v_add_u32_e32 v3, 8, v3
	v_add_u32_e32 v4, 8, v4
	s_or_b64 s[6:7], vcc, s[6:7]
	s_waitcnt vmcnt(1) lgkmcnt(0)
	v_mul_f32_e32 v10, v7, v8
	v_mul_f32_e32 v8, v6, v8
	s_waitcnt vmcnt(0)
	v_fma_f32 v6, v6, v9, -v10
	v_fmac_f32_e32 v8, v7, v9
	v_add_f32_e32 v5, v5, v6
	v_add_f32_e32 v1, v1, v8
	s_andn2_b64 exec, exec, s[6:7]
	s_cbranch_execnz .LBB60_253
; %bb.254:
	s_or_b64 exec, exec, s[6:7]
	v_mov_b32_e32 v2, 0
	ds_read_b64 v[2:3], v2 offset:480
	s_waitcnt lgkmcnt(0)
	v_mul_f32_e32 v4, v1, v3
	v_mul_f32_e32 v3, v5, v3
	v_fma_f32 v4, v5, v2, -v4
	v_fmac_f32_e32 v3, v1, v2
	buffer_store_dword v4, off, s[0:3], 0 offset:480
	buffer_store_dword v3, off, s[0:3], 0 offset:484
.LBB60_255:
	s_or_b64 exec, exec, s[4:5]
	s_mov_b64 s[6:7], -1
	s_waitcnt lgkmcnt(0)
	; wave barrier
.LBB60_256:
	s_and_b64 vcc, exec, s[6:7]
	s_cbranch_vccz .LBB60_258
; %bb.257:
	s_lshl_b64 s[4:5], s[8:9], 2
	s_add_u32 s4, s14, s4
	s_addc_u32 s5, s15, s5
	v_mov_b32_e32 v1, 0
	global_load_dword v1, v1, s[4:5]
	s_waitcnt vmcnt(0)
	v_cmp_ne_u32_e32 vcc, 0, v1
	s_cbranch_vccz .LBB60_259
.LBB60_258:
	s_endpgm
.LBB60_259:
	v_mov_b32_e32 v1, 0x1f0
	v_lshl_add_u32 v199, v0, 3, v1
	v_cmp_eq_u32_e32 vcc, 60, v0
	s_and_saveexec_b64 s[4:5], vcc
	s_cbranch_execz .LBB60_261
; %bb.260:
	buffer_load_dword v2, off, s[0:3], 0 offset:472
	buffer_load_dword v3, off, s[0:3], 0 offset:476
	v_mov_b32_e32 v1, 0
	buffer_store_dword v1, off, s[0:3], 0 offset:472
	buffer_store_dword v1, off, s[0:3], 0 offset:476
	s_waitcnt vmcnt(2)
	ds_write_b64 v199, v[2:3]
.LBB60_261:
	s_or_b64 exec, exec, s[4:5]
	s_waitcnt lgkmcnt(0)
	; wave barrier
	s_waitcnt lgkmcnt(0)
	buffer_load_dword v3, off, s[0:3], 0 offset:484
	buffer_load_dword v2, off, s[0:3], 0 offset:480
	;; [unrolled: 1-line block ×4, first 2 shown]
	v_mov_b32_e32 v1, 0
	ds_read_b64 v[6:7], v1 offset:976
	v_cmp_lt_u32_e32 vcc, 58, v0
	s_waitcnt vmcnt(3)
	v_mov_b32_e32 v8, v3
	s_waitcnt lgkmcnt(0)
	v_pk_mul_f32 v[8:9], v[6:7], v[8:9] op_sel_hi:[1,0]
	s_waitcnt vmcnt(2)
	v_pk_fma_f32 v[10:11], v[6:7], v[2:3], v[8:9] op_sel:[0,0,1] op_sel_hi:[1,1,0] neg_lo:[0,0,1] neg_hi:[0,0,1]
	v_pk_fma_f32 v[2:3], v[6:7], v[2:3], v[8:9] op_sel:[0,0,1] op_sel_hi:[1,0,0]
	v_mov_b32_e32 v11, v3
	v_pk_add_f32 v[2:3], v[10:11], 0 op_sel_hi:[1,0]
	s_waitcnt vmcnt(0)
	v_pk_add_f32 v[2:3], v[4:5], v[2:3] neg_lo:[0,1] neg_hi:[0,1]
	buffer_store_dword v2, off, s[0:3], 0 offset:472
	buffer_store_dword v3, off, s[0:3], 0 offset:476
	s_and_saveexec_b64 s[4:5], vcc
	s_cbranch_execz .LBB60_263
; %bb.262:
	buffer_load_dword v2, off, s[0:3], 0 offset:464
	buffer_load_dword v3, off, s[0:3], 0 offset:468
	s_waitcnt vmcnt(0)
	ds_write_b64 v199, v[2:3]
	buffer_store_dword v1, off, s[0:3], 0 offset:464
	buffer_store_dword v1, off, s[0:3], 0 offset:468
.LBB60_263:
	s_or_b64 exec, exec, s[4:5]
	s_waitcnt lgkmcnt(0)
	; wave barrier
	s_waitcnt lgkmcnt(0)
	buffer_load_dword v7, off, s[0:3], 0 offset:476
	buffer_load_dword v9, off, s[0:3], 0 offset:484
	;; [unrolled: 1-line block ×6, first 2 shown]
	ds_read2_b64 v[2:5], v1 offset0:121 offset1:122
	v_cmp_lt_u32_e32 vcc, 57, v0
	s_waitcnt vmcnt(5)
	v_mov_b32_e32 v12, v7
	s_waitcnt vmcnt(4)
	v_mov_b32_e32 v14, v9
	s_waitcnt lgkmcnt(0)
	v_pk_mul_f32 v[12:13], v[2:3], v[12:13] op_sel_hi:[1,0]
	v_pk_mul_f32 v[14:15], v[4:5], v[14:15] op_sel_hi:[1,0]
	s_waitcnt vmcnt(3)
	v_pk_fma_f32 v[16:17], v[2:3], v[6:7], v[12:13] op_sel:[0,0,1] op_sel_hi:[1,1,0] neg_lo:[0,0,1] neg_hi:[0,0,1]
	v_pk_fma_f32 v[2:3], v[2:3], v[6:7], v[12:13] op_sel:[0,0,1] op_sel_hi:[1,0,0]
	s_waitcnt vmcnt(2)
	v_pk_fma_f32 v[6:7], v[4:5], v[8:9], v[14:15] op_sel:[0,0,1] op_sel_hi:[1,1,0] neg_lo:[0,0,1] neg_hi:[0,0,1]
	v_pk_fma_f32 v[4:5], v[4:5], v[8:9], v[14:15] op_sel:[0,0,1] op_sel_hi:[1,0,0]
	v_mov_b32_e32 v17, v3
	v_mov_b32_e32 v7, v5
	v_pk_add_f32 v[2:3], v[16:17], 0 op_sel_hi:[1,0]
	v_pk_add_f32 v[2:3], v[2:3], v[6:7]
	s_waitcnt vmcnt(0)
	v_pk_add_f32 v[2:3], v[10:11], v[2:3] neg_lo:[0,1] neg_hi:[0,1]
	buffer_store_dword v2, off, s[0:3], 0 offset:464
	buffer_store_dword v3, off, s[0:3], 0 offset:468
	s_and_saveexec_b64 s[4:5], vcc
	s_cbranch_execz .LBB60_265
; %bb.264:
	buffer_load_dword v2, off, s[0:3], 0 offset:456
	buffer_load_dword v3, off, s[0:3], 0 offset:460
	v_mov_b32_e32 v1, 0
	buffer_store_dword v1, off, s[0:3], 0 offset:456
	buffer_store_dword v1, off, s[0:3], 0 offset:460
	s_waitcnt vmcnt(2)
	ds_write_b64 v199, v[2:3]
.LBB60_265:
	s_or_b64 exec, exec, s[4:5]
	s_waitcnt lgkmcnt(0)
	; wave barrier
	s_waitcnt lgkmcnt(0)
	buffer_load_dword v7, off, s[0:3], 0 offset:468
	buffer_load_dword v9, off, s[0:3], 0 offset:476
	;; [unrolled: 1-line block ×8, first 2 shown]
	v_mov_b32_e32 v1, 0
	ds_read_b128 v[2:5], v1 offset:960
	ds_read_b64 v[14:15], v1 offset:976
	v_cmp_lt_u32_e32 vcc, 56, v0
	s_waitcnt vmcnt(7)
	v_mov_b32_e32 v16, v7
	s_waitcnt vmcnt(6)
	v_mov_b32_e32 v18, v9
	s_waitcnt lgkmcnt(1)
	v_pk_mul_f32 v[16:17], v[2:3], v[16:17] op_sel_hi:[1,0]
	s_waitcnt vmcnt(5)
	v_mov_b32_e32 v20, v11
	v_pk_mul_f32 v[18:19], v[4:5], v[18:19] op_sel_hi:[1,0]
	s_waitcnt vmcnt(4)
	v_pk_fma_f32 v[22:23], v[2:3], v[6:7], v[16:17] op_sel:[0,0,1] op_sel_hi:[1,1,0] neg_lo:[0,0,1] neg_hi:[0,0,1]
	v_pk_fma_f32 v[2:3], v[2:3], v[6:7], v[16:17] op_sel:[0,0,1] op_sel_hi:[1,0,0]
	s_waitcnt lgkmcnt(0)
	v_pk_mul_f32 v[20:21], v[14:15], v[20:21] op_sel_hi:[1,0]
	s_waitcnt vmcnt(3)
	v_pk_fma_f32 v[6:7], v[4:5], v[8:9], v[18:19] op_sel:[0,0,1] op_sel_hi:[1,1,0] neg_lo:[0,0,1] neg_hi:[0,0,1]
	v_pk_fma_f32 v[4:5], v[4:5], v[8:9], v[18:19] op_sel:[0,0,1] op_sel_hi:[1,0,0]
	v_mov_b32_e32 v23, v3
	s_waitcnt vmcnt(2)
	v_pk_fma_f32 v[8:9], v[14:15], v[10:11], v[20:21] op_sel:[0,0,1] op_sel_hi:[1,1,0] neg_lo:[0,0,1] neg_hi:[0,0,1]
	v_pk_fma_f32 v[10:11], v[14:15], v[10:11], v[20:21] op_sel:[0,0,1] op_sel_hi:[1,0,0]
	v_mov_b32_e32 v7, v5
	v_pk_add_f32 v[2:3], v[22:23], 0 op_sel_hi:[1,0]
	v_mov_b32_e32 v9, v11
	v_pk_add_f32 v[2:3], v[2:3], v[6:7]
	v_pk_add_f32 v[2:3], v[2:3], v[8:9]
	s_waitcnt vmcnt(0)
	v_pk_add_f32 v[2:3], v[12:13], v[2:3] neg_lo:[0,1] neg_hi:[0,1]
	buffer_store_dword v2, off, s[0:3], 0 offset:456
	buffer_store_dword v3, off, s[0:3], 0 offset:460
	s_and_saveexec_b64 s[4:5], vcc
	s_cbranch_execz .LBB60_267
; %bb.266:
	buffer_load_dword v2, off, s[0:3], 0 offset:448
	buffer_load_dword v3, off, s[0:3], 0 offset:452
	s_waitcnt vmcnt(0)
	ds_write_b64 v199, v[2:3]
	buffer_store_dword v1, off, s[0:3], 0 offset:448
	buffer_store_dword v1, off, s[0:3], 0 offset:452
.LBB60_267:
	s_or_b64 exec, exec, s[4:5]
	s_waitcnt lgkmcnt(0)
	; wave barrier
	s_waitcnt lgkmcnt(0)
	buffer_load_dword v11, off, s[0:3], 0 offset:460
	buffer_load_dword v13, off, s[0:3], 0 offset:468
	;; [unrolled: 1-line block ×10, first 2 shown]
	ds_read2_b64 v[2:5], v1 offset0:119 offset1:120
	ds_read2_b64 v[6:9], v1 offset0:121 offset1:122
	v_cmp_lt_u32_e32 vcc, 55, v0
	s_waitcnt vmcnt(9)
	v_mov_b32_e32 v20, v11
	s_waitcnt vmcnt(8)
	v_mov_b32_e32 v22, v13
	s_waitcnt lgkmcnt(1)
	v_pk_mul_f32 v[20:21], v[2:3], v[20:21] op_sel_hi:[1,0]
	s_waitcnt vmcnt(7)
	v_mov_b32_e32 v24, v15
	v_pk_mul_f32 v[22:23], v[4:5], v[22:23] op_sel_hi:[1,0]
	s_waitcnt vmcnt(5)
	v_pk_fma_f32 v[28:29], v[2:3], v[10:11], v[20:21] op_sel:[0,0,1] op_sel_hi:[1,1,0] neg_lo:[0,0,1] neg_hi:[0,0,1]
	v_pk_fma_f32 v[2:3], v[2:3], v[10:11], v[20:21] op_sel:[0,0,1] op_sel_hi:[1,0,0]
	v_mov_b32_e32 v26, v17
	s_waitcnt lgkmcnt(0)
	v_pk_mul_f32 v[24:25], v[6:7], v[24:25] op_sel_hi:[1,0]
	s_waitcnt vmcnt(4)
	v_pk_fma_f32 v[10:11], v[4:5], v[12:13], v[22:23] op_sel:[0,0,1] op_sel_hi:[1,1,0] neg_lo:[0,0,1] neg_hi:[0,0,1]
	v_pk_fma_f32 v[4:5], v[4:5], v[12:13], v[22:23] op_sel:[0,0,1] op_sel_hi:[1,0,0]
	v_mov_b32_e32 v29, v3
	v_pk_mul_f32 v[26:27], v[8:9], v[26:27] op_sel_hi:[1,0]
	s_waitcnt vmcnt(3)
	v_pk_fma_f32 v[12:13], v[6:7], v[14:15], v[24:25] op_sel:[0,0,1] op_sel_hi:[1,1,0] neg_lo:[0,0,1] neg_hi:[0,0,1]
	v_pk_fma_f32 v[6:7], v[6:7], v[14:15], v[24:25] op_sel:[0,0,1] op_sel_hi:[1,0,0]
	v_mov_b32_e32 v11, v5
	v_pk_add_f32 v[2:3], v[28:29], 0 op_sel_hi:[1,0]
	s_waitcnt vmcnt(2)
	v_pk_fma_f32 v[14:15], v[8:9], v[16:17], v[26:27] op_sel:[0,0,1] op_sel_hi:[1,1,0] neg_lo:[0,0,1] neg_hi:[0,0,1]
	v_pk_fma_f32 v[8:9], v[8:9], v[16:17], v[26:27] op_sel:[0,0,1] op_sel_hi:[1,0,0]
	v_mov_b32_e32 v13, v7
	v_pk_add_f32 v[2:3], v[2:3], v[10:11]
	v_mov_b32_e32 v15, v9
	v_pk_add_f32 v[2:3], v[2:3], v[12:13]
	v_pk_add_f32 v[2:3], v[2:3], v[14:15]
	s_waitcnt vmcnt(0)
	v_pk_add_f32 v[2:3], v[18:19], v[2:3] neg_lo:[0,1] neg_hi:[0,1]
	buffer_store_dword v2, off, s[0:3], 0 offset:448
	buffer_store_dword v3, off, s[0:3], 0 offset:452
	s_and_saveexec_b64 s[4:5], vcc
	s_cbranch_execz .LBB60_269
; %bb.268:
	buffer_load_dword v2, off, s[0:3], 0 offset:440
	buffer_load_dword v3, off, s[0:3], 0 offset:444
	v_mov_b32_e32 v1, 0
	buffer_store_dword v1, off, s[0:3], 0 offset:440
	buffer_store_dword v1, off, s[0:3], 0 offset:444
	s_waitcnt vmcnt(2)
	ds_write_b64 v199, v[2:3]
.LBB60_269:
	s_or_b64 exec, exec, s[4:5]
	s_waitcnt lgkmcnt(0)
	; wave barrier
	s_waitcnt lgkmcnt(0)
	buffer_load_dword v11, off, s[0:3], 0 offset:452
	buffer_load_dword v13, off, s[0:3], 0 offset:460
	;; [unrolled: 1-line block ×12, first 2 shown]
	v_mov_b32_e32 v1, 0
	ds_read_b128 v[2:5], v1 offset:944
	ds_read_b128 v[6:9], v1 offset:960
	ds_read_b64 v[22:23], v1 offset:976
	v_cmp_lt_u32_e32 vcc, 54, v0
	s_waitcnt vmcnt(11)
	v_mov_b32_e32 v24, v11
	s_waitcnt vmcnt(10)
	v_mov_b32_e32 v26, v13
	s_waitcnt lgkmcnt(2)
	v_pk_mul_f32 v[24:25], v[2:3], v[24:25] op_sel_hi:[1,0]
	s_waitcnt vmcnt(9)
	v_mov_b32_e32 v28, v15
	v_pk_mul_f32 v[26:27], v[4:5], v[26:27] op_sel_hi:[1,0]
	s_waitcnt vmcnt(6)
	v_pk_fma_f32 v[34:35], v[2:3], v[10:11], v[24:25] op_sel:[0,0,1] op_sel_hi:[1,1,0] neg_lo:[0,0,1] neg_hi:[0,0,1]
	v_pk_fma_f32 v[2:3], v[2:3], v[10:11], v[24:25] op_sel:[0,0,1] op_sel_hi:[1,0,0]
	v_mov_b32_e32 v30, v17
	s_waitcnt lgkmcnt(1)
	v_pk_mul_f32 v[28:29], v[6:7], v[28:29] op_sel_hi:[1,0]
	s_waitcnt vmcnt(5)
	v_pk_fma_f32 v[10:11], v[4:5], v[12:13], v[26:27] op_sel:[0,0,1] op_sel_hi:[1,1,0] neg_lo:[0,0,1] neg_hi:[0,0,1]
	v_pk_fma_f32 v[4:5], v[4:5], v[12:13], v[26:27] op_sel:[0,0,1] op_sel_hi:[1,0,0]
	v_mov_b32_e32 v35, v3
	v_mov_b32_e32 v32, v19
	v_pk_mul_f32 v[30:31], v[8:9], v[30:31] op_sel_hi:[1,0]
	s_waitcnt vmcnt(4)
	v_pk_fma_f32 v[12:13], v[6:7], v[14:15], v[28:29] op_sel:[0,0,1] op_sel_hi:[1,1,0] neg_lo:[0,0,1] neg_hi:[0,0,1]
	v_pk_fma_f32 v[6:7], v[6:7], v[14:15], v[28:29] op_sel:[0,0,1] op_sel_hi:[1,0,0]
	v_mov_b32_e32 v11, v5
	v_pk_add_f32 v[2:3], v[34:35], 0 op_sel_hi:[1,0]
	s_waitcnt lgkmcnt(0)
	v_pk_mul_f32 v[32:33], v[22:23], v[32:33] op_sel_hi:[1,0]
	s_waitcnt vmcnt(3)
	v_pk_fma_f32 v[14:15], v[8:9], v[16:17], v[30:31] op_sel:[0,0,1] op_sel_hi:[1,1,0] neg_lo:[0,0,1] neg_hi:[0,0,1]
	v_pk_fma_f32 v[8:9], v[8:9], v[16:17], v[30:31] op_sel:[0,0,1] op_sel_hi:[1,0,0]
	v_mov_b32_e32 v13, v7
	v_pk_add_f32 v[2:3], v[2:3], v[10:11]
	s_waitcnt vmcnt(2)
	v_pk_fma_f32 v[16:17], v[22:23], v[18:19], v[32:33] op_sel:[0,0,1] op_sel_hi:[1,1,0] neg_lo:[0,0,1] neg_hi:[0,0,1]
	v_pk_fma_f32 v[18:19], v[22:23], v[18:19], v[32:33] op_sel:[0,0,1] op_sel_hi:[1,0,0]
	v_mov_b32_e32 v15, v9
	v_pk_add_f32 v[2:3], v[2:3], v[12:13]
	v_mov_b32_e32 v17, v19
	v_pk_add_f32 v[2:3], v[2:3], v[14:15]
	v_pk_add_f32 v[2:3], v[2:3], v[16:17]
	s_waitcnt vmcnt(0)
	v_pk_add_f32 v[2:3], v[20:21], v[2:3] neg_lo:[0,1] neg_hi:[0,1]
	buffer_store_dword v2, off, s[0:3], 0 offset:440
	buffer_store_dword v3, off, s[0:3], 0 offset:444
	s_and_saveexec_b64 s[4:5], vcc
	s_cbranch_execz .LBB60_271
; %bb.270:
	buffer_load_dword v2, off, s[0:3], 0 offset:432
	buffer_load_dword v3, off, s[0:3], 0 offset:436
	s_waitcnt vmcnt(0)
	ds_write_b64 v199, v[2:3]
	buffer_store_dword v1, off, s[0:3], 0 offset:432
	buffer_store_dword v1, off, s[0:3], 0 offset:436
.LBB60_271:
	s_or_b64 exec, exec, s[4:5]
	s_waitcnt lgkmcnt(0)
	; wave barrier
	s_waitcnt lgkmcnt(0)
	buffer_load_dword v15, off, s[0:3], 0 offset:444
	buffer_load_dword v17, off, s[0:3], 0 offset:452
	buffer_load_dword v19, off, s[0:3], 0 offset:460
	buffer_load_dword v21, off, s[0:3], 0 offset:468
	buffer_load_dword v23, off, s[0:3], 0 offset:476
	buffer_load_dword v25, off, s[0:3], 0 offset:484
	buffer_load_dword v14, off, s[0:3], 0 offset:440
	buffer_load_dword v16, off, s[0:3], 0 offset:448
	buffer_load_dword v18, off, s[0:3], 0 offset:456
	buffer_load_dword v20, off, s[0:3], 0 offset:464
	buffer_load_dword v22, off, s[0:3], 0 offset:472
	buffer_load_dword v24, off, s[0:3], 0 offset:480
	buffer_load_dword v26, off, s[0:3], 0 offset:432
	buffer_load_dword v27, off, s[0:3], 0 offset:436
	ds_read2_b64 v[2:5], v1 offset0:117 offset1:118
	ds_read2_b64 v[6:9], v1 offset0:119 offset1:120
	;; [unrolled: 1-line block ×3, first 2 shown]
	v_cmp_lt_u32_e32 vcc, 53, v0
	s_waitcnt vmcnt(13)
	v_mov_b32_e32 v28, v15
	s_waitcnt vmcnt(12)
	v_mov_b32_e32 v30, v17
	s_waitcnt lgkmcnt(2)
	v_pk_mul_f32 v[28:29], v[2:3], v[28:29] op_sel_hi:[1,0]
	s_waitcnt vmcnt(11)
	v_mov_b32_e32 v32, v19
	v_pk_mul_f32 v[30:31], v[4:5], v[30:31] op_sel_hi:[1,0]
	s_waitcnt vmcnt(10)
	v_mov_b32_e32 v34, v21
	s_waitcnt vmcnt(7)
	v_pk_fma_f32 v[40:41], v[2:3], v[14:15], v[28:29] op_sel:[0,0,1] op_sel_hi:[1,1,0] neg_lo:[0,0,1] neg_hi:[0,0,1]
	v_pk_fma_f32 v[2:3], v[2:3], v[14:15], v[28:29] op_sel:[0,0,1] op_sel_hi:[1,0,0]
	s_waitcnt lgkmcnt(1)
	v_pk_mul_f32 v[32:33], v[6:7], v[32:33] op_sel_hi:[1,0]
	s_waitcnt vmcnt(6)
	v_pk_fma_f32 v[14:15], v[4:5], v[16:17], v[30:31] op_sel:[0,0,1] op_sel_hi:[1,1,0] neg_lo:[0,0,1] neg_hi:[0,0,1]
	v_pk_fma_f32 v[4:5], v[4:5], v[16:17], v[30:31] op_sel:[0,0,1] op_sel_hi:[1,0,0]
	v_mov_b32_e32 v41, v3
	v_mov_b32_e32 v36, v23
	v_pk_mul_f32 v[34:35], v[8:9], v[34:35] op_sel_hi:[1,0]
	s_waitcnt vmcnt(5)
	v_pk_fma_f32 v[16:17], v[6:7], v[18:19], v[32:33] op_sel:[0,0,1] op_sel_hi:[1,1,0] neg_lo:[0,0,1] neg_hi:[0,0,1]
	v_pk_fma_f32 v[6:7], v[6:7], v[18:19], v[32:33] op_sel:[0,0,1] op_sel_hi:[1,0,0]
	v_mov_b32_e32 v15, v5
	v_pk_add_f32 v[2:3], v[40:41], 0 op_sel_hi:[1,0]
	v_mov_b32_e32 v38, v25
	s_waitcnt lgkmcnt(0)
	v_pk_mul_f32 v[36:37], v[10:11], v[36:37] op_sel_hi:[1,0]
	s_waitcnt vmcnt(4)
	v_pk_fma_f32 v[18:19], v[8:9], v[20:21], v[34:35] op_sel:[0,0,1] op_sel_hi:[1,1,0] neg_lo:[0,0,1] neg_hi:[0,0,1]
	v_pk_fma_f32 v[8:9], v[8:9], v[20:21], v[34:35] op_sel:[0,0,1] op_sel_hi:[1,0,0]
	v_mov_b32_e32 v17, v7
	v_pk_add_f32 v[2:3], v[2:3], v[14:15]
	v_pk_mul_f32 v[38:39], v[12:13], v[38:39] op_sel_hi:[1,0]
	s_waitcnt vmcnt(3)
	v_pk_fma_f32 v[20:21], v[10:11], v[22:23], v[36:37] op_sel:[0,0,1] op_sel_hi:[1,1,0] neg_lo:[0,0,1] neg_hi:[0,0,1]
	v_pk_fma_f32 v[10:11], v[10:11], v[22:23], v[36:37] op_sel:[0,0,1] op_sel_hi:[1,0,0]
	v_mov_b32_e32 v19, v9
	v_pk_add_f32 v[2:3], v[2:3], v[16:17]
	s_waitcnt vmcnt(2)
	v_pk_fma_f32 v[22:23], v[12:13], v[24:25], v[38:39] op_sel:[0,0,1] op_sel_hi:[1,1,0] neg_lo:[0,0,1] neg_hi:[0,0,1]
	v_pk_fma_f32 v[12:13], v[12:13], v[24:25], v[38:39] op_sel:[0,0,1] op_sel_hi:[1,0,0]
	v_mov_b32_e32 v21, v11
	v_pk_add_f32 v[2:3], v[2:3], v[18:19]
	v_mov_b32_e32 v23, v13
	v_pk_add_f32 v[2:3], v[2:3], v[20:21]
	v_pk_add_f32 v[2:3], v[2:3], v[22:23]
	s_waitcnt vmcnt(0)
	v_pk_add_f32 v[2:3], v[26:27], v[2:3] neg_lo:[0,1] neg_hi:[0,1]
	buffer_store_dword v2, off, s[0:3], 0 offset:432
	buffer_store_dword v3, off, s[0:3], 0 offset:436
	s_and_saveexec_b64 s[4:5], vcc
	s_cbranch_execz .LBB60_273
; %bb.272:
	buffer_load_dword v2, off, s[0:3], 0 offset:424
	buffer_load_dword v3, off, s[0:3], 0 offset:428
	v_mov_b32_e32 v1, 0
	buffer_store_dword v1, off, s[0:3], 0 offset:424
	buffer_store_dword v1, off, s[0:3], 0 offset:428
	s_waitcnt vmcnt(2)
	ds_write_b64 v199, v[2:3]
.LBB60_273:
	s_or_b64 exec, exec, s[4:5]
	s_waitcnt lgkmcnt(0)
	; wave barrier
	s_waitcnt lgkmcnt(0)
	buffer_load_dword v14, off, s[0:3], 0 offset:424
	buffer_load_dword v15, off, s[0:3], 0 offset:428
	;; [unrolled: 1-line block ×16, first 2 shown]
	v_mov_b32_e32 v1, 0
	ds_read_b128 v[2:5], v1 offset:928
	ds_read_b128 v[6:9], v1 offset:944
	;; [unrolled: 1-line block ×3, first 2 shown]
	ds_read_b64 v[30:31], v1 offset:976
	v_cmp_lt_u32_e32 vcc, 52, v0
	s_waitcnt vmcnt(12)
	v_mov_b32_e32 v32, v17
	s_waitcnt lgkmcnt(3)
	v_pk_mul_f32 v[32:33], v[2:3], v[32:33] op_sel_hi:[1,0]
	v_pk_fma_f32 v[34:35], v[2:3], v[16:17], v[32:33] op_sel:[0,0,1] op_sel_hi:[1,1,0] neg_lo:[0,0,1] neg_hi:[0,0,1]
	v_pk_fma_f32 v[2:3], v[2:3], v[16:17], v[32:33] op_sel:[0,0,1] op_sel_hi:[1,0,0]
	s_waitcnt vmcnt(10)
	v_mov_b32_e32 v16, v19
	v_pk_mul_f32 v[16:17], v[4:5], v[16:17] op_sel_hi:[1,0]
	v_pk_fma_f32 v[32:33], v[4:5], v[18:19], v[16:17] op_sel:[0,0,1] op_sel_hi:[1,1,0] neg_lo:[0,0,1] neg_hi:[0,0,1]
	v_pk_fma_f32 v[4:5], v[4:5], v[18:19], v[16:17] op_sel:[0,0,1] op_sel_hi:[1,0,0]
	s_waitcnt vmcnt(8)
	v_mov_b32_e32 v4, v21
	v_mov_b32_e32 v33, v5
	s_waitcnt lgkmcnt(2)
	v_pk_mul_f32 v[4:5], v[6:7], v[4:5] op_sel_hi:[1,0]
	v_pk_fma_f32 v[16:17], v[6:7], v[20:21], v[4:5] op_sel:[0,0,1] op_sel_hi:[1,1,0] neg_lo:[0,0,1] neg_hi:[0,0,1]
	v_pk_fma_f32 v[4:5], v[6:7], v[20:21], v[4:5] op_sel:[0,0,1] op_sel_hi:[1,0,0]
	s_waitcnt vmcnt(6)
	v_mov_b32_e32 v4, v23
	v_mov_b32_e32 v35, v3
	;; [unrolled: 1-line block ×3, first 2 shown]
	v_pk_mul_f32 v[4:5], v[8:9], v[4:5] op_sel_hi:[1,0]
	v_pk_add_f32 v[2:3], v[34:35], 0 op_sel_hi:[1,0]
	v_pk_fma_f32 v[6:7], v[8:9], v[22:23], v[4:5] op_sel:[0,0,1] op_sel_hi:[1,1,0] neg_lo:[0,0,1] neg_hi:[0,0,1]
	v_pk_fma_f32 v[4:5], v[8:9], v[22:23], v[4:5] op_sel:[0,0,1] op_sel_hi:[1,0,0]
	v_pk_add_f32 v[2:3], v[2:3], v[32:33]
	s_waitcnt vmcnt(4)
	v_mov_b32_e32 v4, v25
	v_pk_add_f32 v[2:3], v[2:3], v[16:17]
	v_mov_b32_e32 v7, v5
	s_waitcnt lgkmcnt(1)
	v_pk_mul_f32 v[4:5], v[10:11], v[4:5] op_sel_hi:[1,0]
	v_pk_add_f32 v[2:3], v[2:3], v[6:7]
	v_pk_fma_f32 v[6:7], v[10:11], v[24:25], v[4:5] op_sel:[0,0,1] op_sel_hi:[1,1,0] neg_lo:[0,0,1] neg_hi:[0,0,1]
	v_pk_fma_f32 v[4:5], v[10:11], v[24:25], v[4:5] op_sel:[0,0,1] op_sel_hi:[1,0,0]
	s_waitcnt vmcnt(2)
	v_mov_b32_e32 v4, v27
	v_mov_b32_e32 v7, v5
	v_pk_mul_f32 v[4:5], v[12:13], v[4:5] op_sel_hi:[1,0]
	v_pk_add_f32 v[2:3], v[2:3], v[6:7]
	v_pk_fma_f32 v[6:7], v[12:13], v[26:27], v[4:5] op_sel:[0,0,1] op_sel_hi:[1,1,0] neg_lo:[0,0,1] neg_hi:[0,0,1]
	v_pk_fma_f32 v[4:5], v[12:13], v[26:27], v[4:5] op_sel:[0,0,1] op_sel_hi:[1,0,0]
	s_waitcnt vmcnt(0)
	v_mov_b32_e32 v4, v29
	v_mov_b32_e32 v7, v5
	s_waitcnt lgkmcnt(0)
	v_pk_mul_f32 v[4:5], v[30:31], v[4:5] op_sel_hi:[1,0]
	v_pk_add_f32 v[2:3], v[2:3], v[6:7]
	v_pk_fma_f32 v[6:7], v[30:31], v[28:29], v[4:5] op_sel:[0,0,1] op_sel_hi:[1,1,0] neg_lo:[0,0,1] neg_hi:[0,0,1]
	v_pk_fma_f32 v[4:5], v[30:31], v[28:29], v[4:5] op_sel:[0,0,1] op_sel_hi:[1,0,0]
	v_mov_b32_e32 v7, v5
	v_pk_add_f32 v[2:3], v[2:3], v[6:7]
	v_pk_add_f32 v[2:3], v[14:15], v[2:3] neg_lo:[0,1] neg_hi:[0,1]
	buffer_store_dword v2, off, s[0:3], 0 offset:424
	buffer_store_dword v3, off, s[0:3], 0 offset:428
	s_and_saveexec_b64 s[4:5], vcc
	s_cbranch_execz .LBB60_275
; %bb.274:
	buffer_load_dword v2, off, s[0:3], 0 offset:416
	buffer_load_dword v3, off, s[0:3], 0 offset:420
	s_waitcnt vmcnt(0)
	ds_write_b64 v199, v[2:3]
	buffer_store_dword v1, off, s[0:3], 0 offset:416
	buffer_store_dword v1, off, s[0:3], 0 offset:420
.LBB60_275:
	s_or_b64 exec, exec, s[4:5]
	s_waitcnt lgkmcnt(0)
	; wave barrier
	s_waitcnt lgkmcnt(0)
	buffer_load_dword v18, off, s[0:3], 0 offset:416
	buffer_load_dword v19, off, s[0:3], 0 offset:420
	;; [unrolled: 1-line block ×16, first 2 shown]
	ds_read2_b64 v[2:5], v1 offset0:115 offset1:116
	buffer_load_dword v35, off, s[0:3], 0 offset:484
	buffer_load_dword v34, off, s[0:3], 0 offset:480
	ds_read2_b64 v[6:9], v1 offset0:117 offset1:118
	ds_read2_b64 v[10:13], v1 offset0:119 offset1:120
	;; [unrolled: 1-line block ×3, first 2 shown]
	v_cmp_lt_u32_e32 vcc, 51, v0
	s_waitcnt vmcnt(14)
	v_mov_b32_e32 v36, v21
	s_waitcnt lgkmcnt(3)
	v_pk_mul_f32 v[36:37], v[2:3], v[36:37] op_sel_hi:[1,0]
	v_pk_fma_f32 v[38:39], v[2:3], v[20:21], v[36:37] op_sel:[0,0,1] op_sel_hi:[1,1,0] neg_lo:[0,0,1] neg_hi:[0,0,1]
	v_pk_fma_f32 v[2:3], v[2:3], v[20:21], v[36:37] op_sel:[0,0,1] op_sel_hi:[1,0,0]
	s_waitcnt vmcnt(12)
	v_mov_b32_e32 v20, v23
	v_pk_mul_f32 v[20:21], v[4:5], v[20:21] op_sel_hi:[1,0]
	v_pk_fma_f32 v[36:37], v[4:5], v[22:23], v[20:21] op_sel:[0,0,1] op_sel_hi:[1,1,0] neg_lo:[0,0,1] neg_hi:[0,0,1]
	v_pk_fma_f32 v[4:5], v[4:5], v[22:23], v[20:21] op_sel:[0,0,1] op_sel_hi:[1,0,0]
	s_waitcnt vmcnt(10)
	v_mov_b32_e32 v4, v25
	v_mov_b32_e32 v37, v5
	s_waitcnt lgkmcnt(2)
	v_pk_mul_f32 v[4:5], v[6:7], v[4:5] op_sel_hi:[1,0]
	v_pk_fma_f32 v[20:21], v[6:7], v[24:25], v[4:5] op_sel:[0,0,1] op_sel_hi:[1,1,0] neg_lo:[0,0,1] neg_hi:[0,0,1]
	v_pk_fma_f32 v[4:5], v[6:7], v[24:25], v[4:5] op_sel:[0,0,1] op_sel_hi:[1,0,0]
	s_waitcnt vmcnt(8)
	v_mov_b32_e32 v4, v27
	v_mov_b32_e32 v39, v3
	;; [unrolled: 1-line block ×3, first 2 shown]
	v_pk_mul_f32 v[4:5], v[8:9], v[4:5] op_sel_hi:[1,0]
	v_pk_add_f32 v[2:3], v[38:39], 0 op_sel_hi:[1,0]
	v_pk_fma_f32 v[6:7], v[8:9], v[26:27], v[4:5] op_sel:[0,0,1] op_sel_hi:[1,1,0] neg_lo:[0,0,1] neg_hi:[0,0,1]
	v_pk_fma_f32 v[4:5], v[8:9], v[26:27], v[4:5] op_sel:[0,0,1] op_sel_hi:[1,0,0]
	v_pk_add_f32 v[2:3], v[2:3], v[36:37]
	s_waitcnt vmcnt(6)
	v_mov_b32_e32 v4, v29
	v_pk_add_f32 v[2:3], v[2:3], v[20:21]
	v_mov_b32_e32 v7, v5
	s_waitcnt lgkmcnt(1)
	v_pk_mul_f32 v[4:5], v[10:11], v[4:5] op_sel_hi:[1,0]
	v_pk_add_f32 v[2:3], v[2:3], v[6:7]
	v_pk_fma_f32 v[6:7], v[10:11], v[28:29], v[4:5] op_sel:[0,0,1] op_sel_hi:[1,1,0] neg_lo:[0,0,1] neg_hi:[0,0,1]
	v_pk_fma_f32 v[4:5], v[10:11], v[28:29], v[4:5] op_sel:[0,0,1] op_sel_hi:[1,0,0]
	s_waitcnt vmcnt(4)
	v_mov_b32_e32 v4, v31
	v_mov_b32_e32 v7, v5
	v_pk_mul_f32 v[4:5], v[12:13], v[4:5] op_sel_hi:[1,0]
	v_pk_add_f32 v[2:3], v[2:3], v[6:7]
	v_pk_fma_f32 v[6:7], v[12:13], v[30:31], v[4:5] op_sel:[0,0,1] op_sel_hi:[1,1,0] neg_lo:[0,0,1] neg_hi:[0,0,1]
	v_pk_fma_f32 v[4:5], v[12:13], v[30:31], v[4:5] op_sel:[0,0,1] op_sel_hi:[1,0,0]
	s_waitcnt vmcnt(2)
	v_mov_b32_e32 v4, v33
	v_mov_b32_e32 v7, v5
	s_waitcnt lgkmcnt(0)
	v_pk_mul_f32 v[4:5], v[14:15], v[4:5] op_sel_hi:[1,0]
	v_pk_add_f32 v[2:3], v[2:3], v[6:7]
	v_pk_fma_f32 v[6:7], v[14:15], v[32:33], v[4:5] op_sel:[0,0,1] op_sel_hi:[1,1,0] neg_lo:[0,0,1] neg_hi:[0,0,1]
	v_pk_fma_f32 v[4:5], v[14:15], v[32:33], v[4:5] op_sel:[0,0,1] op_sel_hi:[1,0,0]
	s_waitcnt vmcnt(1)
	v_mov_b32_e32 v4, v35
	v_mov_b32_e32 v7, v5
	v_pk_mul_f32 v[4:5], v[16:17], v[4:5] op_sel_hi:[1,0]
	v_pk_add_f32 v[2:3], v[2:3], v[6:7]
	s_waitcnt vmcnt(0)
	v_pk_fma_f32 v[6:7], v[16:17], v[34:35], v[4:5] op_sel:[0,0,1] op_sel_hi:[1,1,0] neg_lo:[0,0,1] neg_hi:[0,0,1]
	v_pk_fma_f32 v[4:5], v[16:17], v[34:35], v[4:5] op_sel:[0,0,1] op_sel_hi:[1,0,0]
	v_mov_b32_e32 v7, v5
	v_pk_add_f32 v[2:3], v[2:3], v[6:7]
	v_pk_add_f32 v[2:3], v[18:19], v[2:3] neg_lo:[0,1] neg_hi:[0,1]
	buffer_store_dword v2, off, s[0:3], 0 offset:416
	buffer_store_dword v3, off, s[0:3], 0 offset:420
	s_and_saveexec_b64 s[4:5], vcc
	s_cbranch_execz .LBB60_277
; %bb.276:
	buffer_load_dword v2, off, s[0:3], 0 offset:408
	buffer_load_dword v3, off, s[0:3], 0 offset:412
	v_mov_b32_e32 v1, 0
	buffer_store_dword v1, off, s[0:3], 0 offset:408
	buffer_store_dword v1, off, s[0:3], 0 offset:412
	s_waitcnt vmcnt(2)
	ds_write_b64 v199, v[2:3]
.LBB60_277:
	s_or_b64 exec, exec, s[4:5]
	v_mov_b32_e32 v1, 0
	s_waitcnt lgkmcnt(0)
	; wave barrier
	s_waitcnt lgkmcnt(0)
	ds_read_b128 v[2:5], v1 offset:912
	ds_read_b128 v[6:9], v1 offset:928
	;; [unrolled: 1-line block ×4, first 2 shown]
	buffer_load_dword v18, off, s[0:3], 0 offset:408
	buffer_load_dword v19, off, s[0:3], 0 offset:412
	;; [unrolled: 1-line block ×20, first 2 shown]
	v_cmp_lt_u32_e32 vcc, 50, v0
	s_waitcnt vmcnt(16) lgkmcnt(3)
	v_mul_f32_e32 v33, v2, v38
	v_fmac_f32_e32 v33, v3, v32
	v_mul_f32_e32 v3, v3, v38
	s_waitcnt vmcnt(14)
	v_mov_b32_e32 v38, v21
	v_pk_mul_f32 v[38:39], v[4:5], v[38:39] op_sel_hi:[1,0]
	v_fma_f32 v32, v2, v32, -v3
	v_pk_fma_f32 v[40:41], v[4:5], v[20:21], v[38:39] op_sel:[0,0,1] op_sel_hi:[1,1,0] neg_lo:[0,0,1] neg_hi:[0,0,1]
	v_pk_fma_f32 v[4:5], v[4:5], v[20:21], v[38:39] op_sel:[0,0,1] op_sel_hi:[1,0,0]
	s_waitcnt vmcnt(12)
	v_mov_b32_e32 v20, v23
	v_pk_add_f32 v[32:33], v[32:33], 0 op_sel_hi:[1,0]
	v_mov_b32_e32 v41, v5
	s_waitcnt lgkmcnt(2)
	v_pk_mul_f32 v[20:21], v[6:7], v[20:21] op_sel_hi:[1,0]
	v_pk_add_f32 v[4:5], v[32:33], v[40:41]
	v_pk_fma_f32 v[32:33], v[6:7], v[22:23], v[20:21] op_sel:[0,0,1] op_sel_hi:[1,1,0] neg_lo:[0,0,1] neg_hi:[0,0,1]
	v_pk_fma_f32 v[6:7], v[6:7], v[22:23], v[20:21] op_sel:[0,0,1] op_sel_hi:[1,0,0]
	s_waitcnt vmcnt(10)
	v_mov_b32_e32 v6, v25
	v_mov_b32_e32 v33, v7
	v_pk_mul_f32 v[6:7], v[8:9], v[6:7] op_sel_hi:[1,0]
	v_pk_fma_f32 v[20:21], v[8:9], v[24:25], v[6:7] op_sel:[0,0,1] op_sel_hi:[1,1,0] neg_lo:[0,0,1] neg_hi:[0,0,1]
	v_pk_fma_f32 v[6:7], v[8:9], v[24:25], v[6:7] op_sel:[0,0,1] op_sel_hi:[1,0,0]
	s_waitcnt vmcnt(8)
	v_mov_b32_e32 v6, v27
	v_mov_b32_e32 v21, v7
	s_waitcnt lgkmcnt(1)
	v_pk_mul_f32 v[6:7], v[10:11], v[6:7] op_sel_hi:[1,0]
	v_pk_fma_f32 v[8:9], v[10:11], v[26:27], v[6:7] op_sel:[0,0,1] op_sel_hi:[1,1,0] neg_lo:[0,0,1] neg_hi:[0,0,1]
	v_pk_fma_f32 v[6:7], v[10:11], v[26:27], v[6:7] op_sel:[0,0,1] op_sel_hi:[1,0,0]
	v_pk_add_f32 v[4:5], v[4:5], v[32:33]
	s_waitcnt vmcnt(6)
	v_mov_b32_e32 v6, v29
	v_pk_add_f32 v[4:5], v[4:5], v[20:21]
	v_mov_b32_e32 v9, v7
	v_pk_mul_f32 v[6:7], v[12:13], v[6:7] op_sel_hi:[1,0]
	v_pk_add_f32 v[4:5], v[4:5], v[8:9]
	v_pk_fma_f32 v[8:9], v[12:13], v[28:29], v[6:7] op_sel:[0,0,1] op_sel_hi:[1,1,0] neg_lo:[0,0,1] neg_hi:[0,0,1]
	v_pk_fma_f32 v[6:7], v[12:13], v[28:29], v[6:7] op_sel:[0,0,1] op_sel_hi:[1,0,0]
	s_waitcnt vmcnt(4)
	v_mov_b32_e32 v6, v31
	v_mov_b32_e32 v9, v7
	s_waitcnt lgkmcnt(0)
	v_pk_mul_f32 v[6:7], v[14:15], v[6:7] op_sel_hi:[1,0]
	ds_read_b64 v[2:3], v1 offset:976
	v_pk_add_f32 v[4:5], v[4:5], v[8:9]
	v_pk_fma_f32 v[8:9], v[14:15], v[30:31], v[6:7] op_sel:[0,0,1] op_sel_hi:[1,1,0] neg_lo:[0,0,1] neg_hi:[0,0,1]
	v_pk_fma_f32 v[6:7], v[14:15], v[30:31], v[6:7] op_sel:[0,0,1] op_sel_hi:[1,0,0]
	s_waitcnt vmcnt(3)
	v_mov_b32_e32 v6, v35
	v_mov_b32_e32 v9, v7
	v_pk_mul_f32 v[6:7], v[16:17], v[6:7] op_sel_hi:[1,0]
	v_pk_add_f32 v[4:5], v[4:5], v[8:9]
	s_waitcnt vmcnt(2)
	v_pk_fma_f32 v[8:9], v[16:17], v[34:35], v[6:7] op_sel:[0,0,1] op_sel_hi:[1,1,0] neg_lo:[0,0,1] neg_hi:[0,0,1]
	v_pk_fma_f32 v[6:7], v[16:17], v[34:35], v[6:7] op_sel:[0,0,1] op_sel_hi:[1,0,0]
	s_waitcnt vmcnt(1)
	v_mov_b32_e32 v6, v37
	v_mov_b32_e32 v9, v7
	s_waitcnt lgkmcnt(0)
	v_pk_mul_f32 v[6:7], v[2:3], v[6:7] op_sel_hi:[1,0]
	v_pk_add_f32 v[4:5], v[4:5], v[8:9]
	s_waitcnt vmcnt(0)
	v_pk_fma_f32 v[8:9], v[2:3], v[36:37], v[6:7] op_sel:[0,0,1] op_sel_hi:[1,1,0] neg_lo:[0,0,1] neg_hi:[0,0,1]
	v_pk_fma_f32 v[2:3], v[2:3], v[36:37], v[6:7] op_sel:[0,0,1] op_sel_hi:[1,0,0]
	v_mov_b32_e32 v9, v3
	v_pk_add_f32 v[2:3], v[4:5], v[8:9]
	v_pk_add_f32 v[2:3], v[18:19], v[2:3] neg_lo:[0,1] neg_hi:[0,1]
	buffer_store_dword v2, off, s[0:3], 0 offset:408
	buffer_store_dword v3, off, s[0:3], 0 offset:412
	s_and_saveexec_b64 s[4:5], vcc
	s_cbranch_execz .LBB60_279
; %bb.278:
	buffer_load_dword v2, off, s[0:3], 0 offset:400
	buffer_load_dword v3, off, s[0:3], 0 offset:404
	s_waitcnt vmcnt(0)
	ds_write_b64 v199, v[2:3]
	buffer_store_dword v1, off, s[0:3], 0 offset:400
	buffer_store_dword v1, off, s[0:3], 0 offset:404
.LBB60_279:
	s_or_b64 exec, exec, s[4:5]
	s_waitcnt lgkmcnt(0)
	; wave barrier
	s_waitcnt lgkmcnt(0)
	ds_read2_b64 v[2:5], v1 offset0:113 offset1:114
	buffer_load_dword v18, off, s[0:3], 0 offset:400
	buffer_load_dword v19, off, s[0:3], 0 offset:404
	;; [unrolled: 1-line block ×16, first 2 shown]
	ds_read2_b64 v[6:9], v1 offset0:115 offset1:116
	buffer_load_dword v35, off, s[0:3], 0 offset:468
	buffer_load_dword v34, off, s[0:3], 0 offset:464
	;; [unrolled: 1-line block ×6, first 2 shown]
	v_cmp_lt_u32_e32 vcc, 49, v0
	s_waitcnt vmcnt(18) lgkmcnt(1)
	v_mul_f32_e32 v31, v2, v11
	v_fmac_f32_e32 v31, v3, v10
	v_mul_f32_e32 v3, v3, v11
	s_waitcnt vmcnt(16)
	v_mul_f32_e32 v33, v4, v13
	v_fma_f32 v30, v2, v10, -v3
	v_mul_f32_e32 v2, v5, v13
	v_fmac_f32_e32 v33, v5, v12
	v_fma_f32 v32, v4, v12, -v2
	v_pk_add_f32 v[30:31], v[30:31], 0 op_sel_hi:[1,0]
	v_pk_add_f32 v[30:31], v[30:31], v[32:33]
	s_waitcnt vmcnt(14)
	v_mov_b32_e32 v32, v21
	s_waitcnt lgkmcnt(0)
	v_pk_mul_f32 v[32:33], v[6:7], v[32:33] op_sel_hi:[1,0]
	v_pk_fma_f32 v[40:41], v[6:7], v[20:21], v[32:33] op_sel:[0,0,1] op_sel_hi:[1,1,0] neg_lo:[0,0,1] neg_hi:[0,0,1]
	v_pk_fma_f32 v[6:7], v[6:7], v[20:21], v[32:33] op_sel:[0,0,1] op_sel_hi:[1,0,0]
	s_waitcnt vmcnt(12)
	v_mov_b32_e32 v20, v23
	ds_read2_b64 v[2:5], v1 offset0:117 offset1:118
	ds_read2_b64 v[10:13], v1 offset0:119 offset1:120
	;; [unrolled: 1-line block ×3, first 2 shown]
	v_mov_b32_e32 v41, v7
	v_pk_mul_f32 v[20:21], v[8:9], v[20:21] op_sel_hi:[1,0]
	v_pk_add_f32 v[6:7], v[30:31], v[40:41]
	v_pk_fma_f32 v[30:31], v[8:9], v[22:23], v[20:21] op_sel:[0,0,1] op_sel_hi:[1,1,0] neg_lo:[0,0,1] neg_hi:[0,0,1]
	v_pk_fma_f32 v[8:9], v[8:9], v[22:23], v[20:21] op_sel:[0,0,1] op_sel_hi:[1,0,0]
	s_waitcnt vmcnt(10)
	v_mov_b32_e32 v8, v25
	v_mov_b32_e32 v31, v9
	s_waitcnt lgkmcnt(2)
	v_pk_mul_f32 v[8:9], v[2:3], v[8:9] op_sel_hi:[1,0]
	v_pk_fma_f32 v[20:21], v[2:3], v[24:25], v[8:9] op_sel:[0,0,1] op_sel_hi:[1,1,0] neg_lo:[0,0,1] neg_hi:[0,0,1]
	v_pk_fma_f32 v[2:3], v[2:3], v[24:25], v[8:9] op_sel:[0,0,1] op_sel_hi:[1,0,0]
	v_pk_add_f32 v[6:7], v[6:7], v[30:31]
	v_mov_b32_e32 v21, v3
	v_pk_add_f32 v[2:3], v[6:7], v[20:21]
	s_waitcnt vmcnt(8)
	v_mov_b32_e32 v6, v27
	v_pk_mul_f32 v[6:7], v[4:5], v[6:7] op_sel_hi:[1,0]
	v_pk_fma_f32 v[8:9], v[4:5], v[26:27], v[6:7] op_sel:[0,0,1] op_sel_hi:[1,1,0] neg_lo:[0,0,1] neg_hi:[0,0,1]
	v_pk_fma_f32 v[4:5], v[4:5], v[26:27], v[6:7] op_sel:[0,0,1] op_sel_hi:[1,0,0]
	s_waitcnt vmcnt(6)
	v_mov_b32_e32 v4, v29
	v_mov_b32_e32 v9, v5
	s_waitcnt lgkmcnt(1)
	v_pk_mul_f32 v[4:5], v[10:11], v[4:5] op_sel_hi:[1,0]
	v_pk_fma_f32 v[6:7], v[10:11], v[28:29], v[4:5] op_sel:[0,0,1] op_sel_hi:[1,1,0] neg_lo:[0,0,1] neg_hi:[0,0,1]
	v_pk_fma_f32 v[4:5], v[10:11], v[28:29], v[4:5] op_sel:[0,0,1] op_sel_hi:[1,0,0]
	s_waitcnt vmcnt(5)
	v_mov_b32_e32 v4, v35
	v_pk_add_f32 v[2:3], v[2:3], v[8:9]
	v_mov_b32_e32 v7, v5
	v_pk_mul_f32 v[4:5], v[12:13], v[4:5] op_sel_hi:[1,0]
	v_pk_add_f32 v[2:3], v[2:3], v[6:7]
	s_waitcnt vmcnt(4)
	v_pk_fma_f32 v[6:7], v[12:13], v[34:35], v[4:5] op_sel:[0,0,1] op_sel_hi:[1,1,0] neg_lo:[0,0,1] neg_hi:[0,0,1]
	v_pk_fma_f32 v[4:5], v[12:13], v[34:35], v[4:5] op_sel:[0,0,1] op_sel_hi:[1,0,0]
	s_waitcnt vmcnt(3)
	v_mov_b32_e32 v4, v37
	v_mov_b32_e32 v7, v5
	s_waitcnt lgkmcnt(0)
	v_pk_mul_f32 v[4:5], v[14:15], v[4:5] op_sel_hi:[1,0]
	v_pk_add_f32 v[2:3], v[2:3], v[6:7]
	s_waitcnt vmcnt(2)
	v_pk_fma_f32 v[6:7], v[14:15], v[36:37], v[4:5] op_sel:[0,0,1] op_sel_hi:[1,1,0] neg_lo:[0,0,1] neg_hi:[0,0,1]
	v_pk_fma_f32 v[4:5], v[14:15], v[36:37], v[4:5] op_sel:[0,0,1] op_sel_hi:[1,0,0]
	s_waitcnt vmcnt(1)
	v_mov_b32_e32 v4, v39
	v_mov_b32_e32 v7, v5
	v_pk_mul_f32 v[4:5], v[16:17], v[4:5] op_sel_hi:[1,0]
	v_pk_add_f32 v[2:3], v[2:3], v[6:7]
	s_waitcnt vmcnt(0)
	v_pk_fma_f32 v[6:7], v[16:17], v[38:39], v[4:5] op_sel:[0,0,1] op_sel_hi:[1,1,0] neg_lo:[0,0,1] neg_hi:[0,0,1]
	v_pk_fma_f32 v[4:5], v[16:17], v[38:39], v[4:5] op_sel:[0,0,1] op_sel_hi:[1,0,0]
	v_mov_b32_e32 v7, v5
	v_pk_add_f32 v[2:3], v[2:3], v[6:7]
	v_pk_add_f32 v[2:3], v[18:19], v[2:3] neg_lo:[0,1] neg_hi:[0,1]
	buffer_store_dword v2, off, s[0:3], 0 offset:400
	buffer_store_dword v3, off, s[0:3], 0 offset:404
	s_and_saveexec_b64 s[4:5], vcc
	s_cbranch_execz .LBB60_281
; %bb.280:
	buffer_load_dword v2, off, s[0:3], 0 offset:392
	buffer_load_dword v3, off, s[0:3], 0 offset:396
	v_mov_b32_e32 v1, 0
	buffer_store_dword v1, off, s[0:3], 0 offset:392
	buffer_store_dword v1, off, s[0:3], 0 offset:396
	s_waitcnt vmcnt(2)
	ds_write_b64 v199, v[2:3]
.LBB60_281:
	s_or_b64 exec, exec, s[4:5]
	s_waitcnt lgkmcnt(0)
	; wave barrier
	s_waitcnt lgkmcnt(0)
	buffer_load_dword v42, off, s[0:3], 0 offset:404
	buffer_load_dword v44, off, s[0:3], 0 offset:412
	;; [unrolled: 1-line block ×24, first 2 shown]
	v_mov_b32_e32 v1, 0
	ds_read_b128 v[2:5], v1 offset:896
	ds_read_b128 v[6:9], v1 offset:912
	;; [unrolled: 1-line block ×5, first 2 shown]
	ds_read_b64 v[40:41], v1 offset:976
	v_cmp_lt_u32_e32 vcc, 48, v0
	s_waitcnt vmcnt(23) lgkmcnt(5)
	v_mul_f32_e32 v55, v2, v42
	v_mul_f32_e32 v42, v3, v42
	s_waitcnt vmcnt(22)
	v_mul_f32_e32 v43, v4, v44
	s_waitcnt vmcnt(21) lgkmcnt(4)
	v_mul_f32_e32 v45, v6, v46
	v_mul_f32_e32 v44, v5, v44
	;; [unrolled: 1-line block ×3, first 2 shown]
	s_waitcnt vmcnt(20)
	v_mov_b32_e32 v46, v23
	s_waitcnt vmcnt(19)
	v_mov_b32_e32 v48, v25
	;; [unrolled: 2-line block ×5, first 2 shown]
	s_waitcnt vmcnt(12)
	v_fmac_f32_e32 v55, v3, v47
	v_fma_f32 v57, v2, v47, -v42
	v_mov_b32_e32 v56, v33
	s_waitcnt vmcnt(11)
	v_fmac_f32_e32 v43, v5, v49
	s_waitcnt vmcnt(10)
	v_fmac_f32_e32 v45, v7, v51
	v_fma_f32 v42, v4, v49, -v44
	v_fma_f32 v44, v6, v51, -v53
	v_pk_mul_f32 v[2:3], v[8:9], v[46:47] op_sel_hi:[1,0]
	s_waitcnt lgkmcnt(3)
	v_pk_mul_f32 v[4:5], v[10:11], v[48:49] op_sel_hi:[1,0]
	v_pk_mul_f32 v[6:7], v[12:13], v[50:51] op_sel_hi:[1,0]
	s_waitcnt lgkmcnt(2)
	v_pk_mul_f32 v[46:47], v[14:15], v[52:53] op_sel_hi:[1,0]
	v_pk_mul_f32 v[48:49], v[16:17], v[54:55] op_sel_hi:[1,0]
	v_add_f32_e32 v55, 0, v55
	v_add_f32_e32 v54, 0, v57
	s_waitcnt lgkmcnt(1)
	v_pk_mul_f32 v[50:51], v[18:19], v[56:57] op_sel_hi:[1,0]
	s_waitcnt vmcnt(9)
	v_pk_fma_f32 v[56:57], v[8:9], v[22:23], v[2:3] op_sel:[0,0,1] op_sel_hi:[1,1,0] neg_lo:[0,0,1] neg_hi:[0,0,1]
	v_pk_fma_f32 v[2:3], v[8:9], v[22:23], v[2:3] op_sel:[0,0,1] op_sel_hi:[1,0,0]
	s_waitcnt vmcnt(8)
	v_pk_fma_f32 v[8:9], v[10:11], v[24:25], v[4:5] op_sel:[0,0,1] op_sel_hi:[1,1,0] neg_lo:[0,0,1] neg_hi:[0,0,1]
	v_pk_fma_f32 v[4:5], v[10:11], v[24:25], v[4:5] op_sel:[0,0,1] op_sel_hi:[1,0,0]
	;; [unrolled: 3-line block ×4, first 2 shown]
	v_pk_add_f32 v[28:29], v[54:55], v[42:43]
	v_mov_b32_e32 v57, v3
	v_pk_add_f32 v[2:3], v[28:29], v[44:45]
	v_mov_b32_e32 v9, v5
	;; [unrolled: 2-line block ×4, first 2 shown]
	s_waitcnt vmcnt(2)
	v_pk_fma_f32 v[22:23], v[16:17], v[30:31], v[48:49] op_sel:[0,0,1] op_sel_hi:[1,1,0] neg_lo:[0,0,1] neg_hi:[0,0,1]
	v_pk_fma_f32 v[16:17], v[16:17], v[30:31], v[48:49] op_sel:[0,0,1] op_sel_hi:[1,0,0]
	v_mov_b32_e32 v13, v15
	v_pk_add_f32 v[2:3], v[2:3], v[10:11]
	v_mov_b32_e32 v60, v37
	v_pk_mul_f32 v[52:53], v[20:21], v[58:59] op_sel_hi:[1,0]
	v_pk_fma_f32 v[24:25], v[18:19], v[32:33], v[50:51] op_sel:[0,0,1] op_sel_hi:[1,1,0] neg_lo:[0,0,1] neg_hi:[0,0,1]
	v_pk_fma_f32 v[18:19], v[18:19], v[32:33], v[50:51] op_sel:[0,0,1] op_sel_hi:[1,0,0]
	v_mov_b32_e32 v23, v17
	v_pk_add_f32 v[2:3], v[2:3], v[12:13]
	v_pk_fma_f32 v[26:27], v[20:21], v[34:35], v[52:53] op_sel:[0,0,1] op_sel_hi:[1,1,0] neg_lo:[0,0,1] neg_hi:[0,0,1]
	v_pk_fma_f32 v[20:21], v[20:21], v[34:35], v[52:53] op_sel:[0,0,1] op_sel_hi:[1,0,0]
	v_mov_b32_e32 v25, v19
	v_pk_add_f32 v[2:3], v[2:3], v[22:23]
	s_waitcnt lgkmcnt(0)
	v_pk_mul_f32 v[4:5], v[40:41], v[60:61] op_sel_hi:[1,0]
	v_mov_b32_e32 v27, v21
	v_pk_add_f32 v[2:3], v[2:3], v[24:25]
	v_pk_fma_f32 v[6:7], v[40:41], v[36:37], v[4:5] op_sel:[0,0,1] op_sel_hi:[1,1,0] neg_lo:[0,0,1] neg_hi:[0,0,1]
	v_pk_fma_f32 v[4:5], v[40:41], v[36:37], v[4:5] op_sel:[0,0,1] op_sel_hi:[1,0,0]
	v_pk_add_f32 v[2:3], v[2:3], v[26:27]
	v_mov_b32_e32 v7, v5
	v_pk_add_f32 v[2:3], v[2:3], v[6:7]
	s_waitcnt vmcnt(0)
	v_pk_add_f32 v[2:3], v[38:39], v[2:3] neg_lo:[0,1] neg_hi:[0,1]
	buffer_store_dword v3, off, s[0:3], 0 offset:396
	buffer_store_dword v2, off, s[0:3], 0 offset:392
	s_and_saveexec_b64 s[4:5], vcc
	s_cbranch_execz .LBB60_283
; %bb.282:
	buffer_load_dword v2, off, s[0:3], 0 offset:384
	buffer_load_dword v3, off, s[0:3], 0 offset:388
	s_waitcnt vmcnt(0)
	ds_write_b64 v199, v[2:3]
	buffer_store_dword v1, off, s[0:3], 0 offset:384
	buffer_store_dword v1, off, s[0:3], 0 offset:388
.LBB60_283:
	s_or_b64 exec, exec, s[4:5]
	s_waitcnt lgkmcnt(0)
	; wave barrier
	s_waitcnt lgkmcnt(0)
	buffer_load_dword v44, off, s[0:3], 0 offset:396
	buffer_load_dword v46, off, s[0:3], 0 offset:404
	;; [unrolled: 1-line block ×26, first 2 shown]
	ds_read2_b64 v[2:5], v1 offset0:111 offset1:112
	ds_read2_b64 v[6:9], v1 offset0:113 offset1:114
	;; [unrolled: 1-line block ×6, first 2 shown]
	v_cmp_lt_u32_e32 vcc, 47, v0
	s_waitcnt vmcnt(25) lgkmcnt(5)
	v_mul_f32_e32 v1, v2, v44
	v_mul_f32_e32 v44, v3, v44
	s_waitcnt vmcnt(24)
	v_mul_f32_e32 v59, v4, v46
	s_waitcnt vmcnt(23) lgkmcnt(4)
	v_mul_f32_e32 v45, v6, v48
	s_waitcnt vmcnt(22)
	v_mul_f32_e32 v47, v8, v49
	v_mul_f32_e32 v46, v5, v46
	;; [unrolled: 1-line block ×4, first 2 shown]
	s_waitcnt vmcnt(21)
	v_mov_b32_e32 v48, v27
	s_waitcnt vmcnt(20)
	v_mov_b32_e32 v50, v29
	;; [unrolled: 2-line block ×3, first 2 shown]
	s_waitcnt vmcnt(15)
	v_fmac_f32_e32 v1, v3, v51
	v_fma_f32 v61, v2, v51, -v44
	v_mov_b32_e32 v52, v31
	s_waitcnt vmcnt(14)
	v_fmac_f32_e32 v59, v5, v53
	s_waitcnt vmcnt(12)
	v_fmac_f32_e32 v47, v9, v57
	v_fma_f32 v62, v4, v53, -v46
	v_fma_f32 v46, v8, v57, -v49
	s_waitcnt lgkmcnt(3)
	v_pk_mul_f32 v[2:3], v[10:11], v[48:49] op_sel_hi:[1,0]
	v_pk_mul_f32 v[4:5], v[12:13], v[50:51] op_sel_hi:[1,0]
	s_waitcnt lgkmcnt(2)
	v_pk_mul_f32 v[8:9], v[16:17], v[54:55] op_sel_hi:[1,0]
	v_add_f32_e32 v1, 0, v1
	v_add_f32_e32 v54, 0, v61
	v_fmac_f32_e32 v45, v7, v55
	v_fma_f32 v44, v6, v55, -v60
	v_pk_mul_f32 v[6:7], v[14:15], v[52:53] op_sel_hi:[1,0]
	s_waitcnt vmcnt(11)
	v_pk_fma_f32 v[52:53], v[10:11], v[26:27], v[2:3] op_sel:[0,0,1] op_sel_hi:[1,1,0] neg_lo:[0,0,1] neg_hi:[0,0,1]
	v_pk_fma_f32 v[2:3], v[10:11], v[26:27], v[2:3] op_sel:[0,0,1] op_sel_hi:[1,0,0]
	s_waitcnt vmcnt(10)
	v_pk_fma_f32 v[10:11], v[12:13], v[28:29], v[4:5] op_sel:[0,0,1] op_sel_hi:[1,1,0] neg_lo:[0,0,1] neg_hi:[0,0,1]
	v_pk_fma_f32 v[4:5], v[12:13], v[28:29], v[4:5] op_sel:[0,0,1] op_sel_hi:[1,0,0]
	v_add_f32_e32 v29, v1, v59
	v_add_f32_e32 v28, v54, v62
	v_mov_b32_e32 v53, v3
	v_pk_add_f32 v[2:3], v[28:29], v[44:45]
	v_pk_add_f32 v[2:3], v[2:3], v[46:47]
	v_mov_b32_e32 v56, v35
	s_waitcnt vmcnt(9)
	v_pk_fma_f32 v[12:13], v[14:15], v[30:31], v[6:7] op_sel:[0,0,1] op_sel_hi:[1,1,0] neg_lo:[0,0,1] neg_hi:[0,0,1]
	v_pk_fma_f32 v[6:7], v[14:15], v[30:31], v[6:7] op_sel:[0,0,1] op_sel_hi:[1,0,0]
	v_mov_b32_e32 v11, v5
	v_pk_add_f32 v[2:3], v[2:3], v[52:53]
	v_mov_b32_e32 v58, v37
	s_waitcnt lgkmcnt(1)
	v_pk_mul_f32 v[48:49], v[18:19], v[56:57] op_sel_hi:[1,0]
	s_waitcnt vmcnt(5)
	v_pk_fma_f32 v[14:15], v[16:17], v[32:33], v[8:9] op_sel:[0,0,1] op_sel_hi:[1,1,0] neg_lo:[0,0,1] neg_hi:[0,0,1]
	v_pk_fma_f32 v[8:9], v[16:17], v[32:33], v[8:9] op_sel:[0,0,1] op_sel_hi:[1,0,0]
	v_mov_b32_e32 v13, v7
	v_pk_add_f32 v[2:3], v[2:3], v[10:11]
	s_waitcnt vmcnt(4)
	v_mov_b32_e32 v4, v39
	v_pk_mul_f32 v[50:51], v[20:21], v[58:59] op_sel_hi:[1,0]
	v_pk_fma_f32 v[16:17], v[18:19], v[34:35], v[48:49] op_sel:[0,0,1] op_sel_hi:[1,1,0] neg_lo:[0,0,1] neg_hi:[0,0,1]
	v_pk_fma_f32 v[18:19], v[18:19], v[34:35], v[48:49] op_sel:[0,0,1] op_sel_hi:[1,0,0]
	v_mov_b32_e32 v15, v9
	v_pk_add_f32 v[2:3], v[2:3], v[12:13]
	s_waitcnt lgkmcnt(0)
	v_pk_mul_f32 v[4:5], v[22:23], v[4:5] op_sel_hi:[1,0]
	v_pk_fma_f32 v[26:27], v[20:21], v[36:37], v[50:51] op_sel:[0,0,1] op_sel_hi:[1,1,0] neg_lo:[0,0,1] neg_hi:[0,0,1]
	v_pk_fma_f32 v[20:21], v[20:21], v[36:37], v[50:51] op_sel:[0,0,1] op_sel_hi:[1,0,0]
	v_mov_b32_e32 v17, v19
	v_pk_add_f32 v[2:3], v[2:3], v[14:15]
	v_pk_fma_f32 v[6:7], v[22:23], v[38:39], v[4:5] op_sel:[0,0,1] op_sel_hi:[1,1,0] neg_lo:[0,0,1] neg_hi:[0,0,1]
	v_pk_fma_f32 v[4:5], v[22:23], v[38:39], v[4:5] op_sel:[0,0,1] op_sel_hi:[1,0,0]
	v_mov_b32_e32 v27, v21
	v_pk_add_f32 v[2:3], v[2:3], v[16:17]
	s_waitcnt vmcnt(3)
	v_mov_b32_e32 v4, v41
	v_pk_add_f32 v[2:3], v[2:3], v[26:27]
	v_mov_b32_e32 v7, v5
	v_pk_mul_f32 v[4:5], v[24:25], v[4:5] op_sel_hi:[1,0]
	v_pk_add_f32 v[2:3], v[2:3], v[6:7]
	s_waitcnt vmcnt(2)
	v_pk_fma_f32 v[6:7], v[24:25], v[40:41], v[4:5] op_sel:[0,0,1] op_sel_hi:[1,1,0] neg_lo:[0,0,1] neg_hi:[0,0,1]
	v_pk_fma_f32 v[4:5], v[24:25], v[40:41], v[4:5] op_sel:[0,0,1] op_sel_hi:[1,0,0]
	v_mov_b32_e32 v7, v5
	v_pk_add_f32 v[2:3], v[2:3], v[6:7]
	s_waitcnt vmcnt(0)
	v_pk_add_f32 v[2:3], v[42:43], v[2:3] neg_lo:[0,1] neg_hi:[0,1]
	buffer_store_dword v3, off, s[0:3], 0 offset:388
	buffer_store_dword v2, off, s[0:3], 0 offset:384
	s_and_saveexec_b64 s[4:5], vcc
	s_cbranch_execz .LBB60_285
; %bb.284:
	buffer_load_dword v2, off, s[0:3], 0 offset:376
	buffer_load_dword v3, off, s[0:3], 0 offset:380
	v_mov_b32_e32 v1, 0
	buffer_store_dword v1, off, s[0:3], 0 offset:376
	buffer_store_dword v1, off, s[0:3], 0 offset:380
	s_waitcnt vmcnt(2)
	ds_write_b64 v199, v[2:3]
.LBB60_285:
	s_or_b64 exec, exec, s[4:5]
	s_waitcnt lgkmcnt(0)
	; wave barrier
	s_waitcnt lgkmcnt(0)
	buffer_load_dword v46, off, s[0:3], 0 offset:388
	buffer_load_dword v48, off, s[0:3], 0 offset:396
	buffer_load_dword v50, off, s[0:3], 0 offset:404
	buffer_load_dword v51, off, s[0:3], 0 offset:412
	buffer_load_dword v52, off, s[0:3], 0 offset:420
	buffer_load_dword v27, off, s[0:3], 0 offset:428
	buffer_load_dword v29, off, s[0:3], 0 offset:436
	buffer_load_dword v31, off, s[0:3], 0 offset:444
	buffer_load_dword v33, off, s[0:3], 0 offset:452
	buffer_load_dword v35, off, s[0:3], 0 offset:460
	buffer_load_dword v53, off, s[0:3], 0 offset:384
	buffer_load_dword v55, off, s[0:3], 0 offset:392
	buffer_load_dword v57, off, s[0:3], 0 offset:400
	buffer_load_dword v59, off, s[0:3], 0 offset:408
	buffer_load_dword v60, off, s[0:3], 0 offset:416
	buffer_load_dword v26, off, s[0:3], 0 offset:424
	buffer_load_dword v28, off, s[0:3], 0 offset:432
	buffer_load_dword v36, off, s[0:3], 0 offset:464
	buffer_load_dword v34, off, s[0:3], 0 offset:456
	buffer_load_dword v32, off, s[0:3], 0 offset:448
	buffer_load_dword v30, off, s[0:3], 0 offset:440
	buffer_load_dword v37, off, s[0:3], 0 offset:468
	buffer_load_dword v39, off, s[0:3], 0 offset:476
	buffer_load_dword v40, off, s[0:3], 0 offset:480
	buffer_load_dword v38, off, s[0:3], 0 offset:472
	buffer_load_dword v41, off, s[0:3], 0 offset:484
	buffer_load_dword v42, off, s[0:3], 0 offset:376
	buffer_load_dword v43, off, s[0:3], 0 offset:380
	v_mov_b32_e32 v1, 0
	ds_read_b128 v[2:5], v1 offset:880
	ds_read_b128 v[6:9], v1 offset:896
	;; [unrolled: 1-line block ×6, first 2 shown]
	ds_read_b64 v[44:45], v1 offset:976
	v_cmp_lt_u32_e32 vcc, 46, v0
	s_waitcnt vmcnt(27) lgkmcnt(6)
	v_mul_f32_e32 v61, v2, v46
	s_waitcnt vmcnt(26)
	v_mul_f32_e32 v62, v4, v48
	v_mul_f32_e32 v46, v3, v46
	;; [unrolled: 1-line block ×3, first 2 shown]
	s_waitcnt vmcnt(23) lgkmcnt(4)
	v_mul_f32_e32 v49, v10, v52
	v_mul_f32_e32 v63, v6, v50
	;; [unrolled: 1-line block ×6, first 2 shown]
	s_waitcnt vmcnt(22)
	v_mov_b32_e32 v50, v27
	s_waitcnt vmcnt(21)
	v_mov_b32_e32 v52, v29
	s_waitcnt vmcnt(17)
	v_fmac_f32_e32 v61, v3, v53
	s_waitcnt vmcnt(16)
	v_fmac_f32_e32 v62, v5, v55
	;; [unrolled: 2-line block ×3, first 2 shown]
	v_fma_f32 v11, v2, v53, -v46
	v_fma_f32 v53, v4, v55, -v48
	v_pk_mul_f32 v[2:3], v[12:13], v[50:51] op_sel_hi:[1,0]
	s_waitcnt lgkmcnt(3)
	v_pk_mul_f32 v[4:5], v[14:15], v[52:53] op_sel_hi:[1,0]
	v_fma_f32 v46, v8, v59, -v51
	v_fma_f32 v48, v10, v60, -v65
	v_add_f32_e32 v50, 0, v61
	v_add_f32_e32 v51, 0, v11
	s_waitcnt vmcnt(12)
	v_pk_fma_f32 v[10:11], v[12:13], v[26:27], v[2:3] op_sel:[0,0,1] op_sel_hi:[1,1,0] neg_lo:[0,0,1] neg_hi:[0,0,1]
	v_pk_fma_f32 v[2:3], v[12:13], v[26:27], v[2:3] op_sel:[0,0,1] op_sel_hi:[1,0,0]
	s_waitcnt vmcnt(11)
	v_pk_fma_f32 v[12:13], v[14:15], v[28:29], v[4:5] op_sel:[0,0,1] op_sel_hi:[1,1,0] neg_lo:[0,0,1] neg_hi:[0,0,1]
	v_pk_fma_f32 v[4:5], v[14:15], v[28:29], v[4:5] op_sel:[0,0,1] op_sel_hi:[1,0,0]
	v_fmac_f32_e32 v63, v7, v57
	v_fma_f32 v55, v6, v57, -v64
	v_add_f32_e32 v2, v50, v62
	v_add_f32_e32 v4, v51, v53
	v_fmac_f32_e32 v47, v9, v59
	v_mov_b32_e32 v11, v3
	v_add_f32_e32 v3, v2, v63
	v_add_f32_e32 v2, v4, v55
	v_mov_b32_e32 v54, v31
	v_pk_add_f32 v[2:3], v[2:3], v[46:47]
	v_mov_b32_e32 v56, v33
	v_mov_b32_e32 v58, v35
	v_pk_mul_f32 v[6:7], v[16:17], v[54:55] op_sel_hi:[1,0]
	v_pk_add_f32 v[2:3], v[2:3], v[48:49]
	s_waitcnt lgkmcnt(2)
	v_pk_mul_f32 v[8:9], v[18:19], v[56:57] op_sel_hi:[1,0]
	s_waitcnt vmcnt(7)
	v_pk_fma_f32 v[14:15], v[16:17], v[30:31], v[6:7] op_sel:[0,0,1] op_sel_hi:[1,1,0] neg_lo:[0,0,1] neg_hi:[0,0,1]
	v_pk_fma_f32 v[6:7], v[16:17], v[30:31], v[6:7] op_sel:[0,0,1] op_sel_hi:[1,0,0]
	v_mov_b32_e32 v13, v5
	v_pk_add_f32 v[2:3], v[2:3], v[10:11]
	v_pk_mul_f32 v[4:5], v[20:21], v[58:59] op_sel_hi:[1,0]
	v_pk_fma_f32 v[16:17], v[18:19], v[32:33], v[8:9] op_sel:[0,0,1] op_sel_hi:[1,1,0] neg_lo:[0,0,1] neg_hi:[0,0,1]
	v_pk_fma_f32 v[8:9], v[18:19], v[32:33], v[8:9] op_sel:[0,0,1] op_sel_hi:[1,0,0]
	v_mov_b32_e32 v15, v7
	v_pk_add_f32 v[2:3], v[2:3], v[12:13]
	v_pk_fma_f32 v[6:7], v[20:21], v[34:35], v[4:5] op_sel:[0,0,1] op_sel_hi:[1,1,0] neg_lo:[0,0,1] neg_hi:[0,0,1]
	v_pk_fma_f32 v[4:5], v[20:21], v[34:35], v[4:5] op_sel:[0,0,1] op_sel_hi:[1,0,0]
	v_mov_b32_e32 v17, v9
	v_pk_add_f32 v[2:3], v[2:3], v[14:15]
	s_waitcnt vmcnt(6)
	v_mov_b32_e32 v4, v37
	v_pk_add_f32 v[2:3], v[2:3], v[16:17]
	v_mov_b32_e32 v7, v5
	s_waitcnt lgkmcnt(1)
	v_pk_mul_f32 v[4:5], v[22:23], v[4:5] op_sel_hi:[1,0]
	v_pk_add_f32 v[2:3], v[2:3], v[6:7]
	v_pk_fma_f32 v[6:7], v[22:23], v[36:37], v[4:5] op_sel:[0,0,1] op_sel_hi:[1,1,0] neg_lo:[0,0,1] neg_hi:[0,0,1]
	v_pk_fma_f32 v[4:5], v[22:23], v[36:37], v[4:5] op_sel:[0,0,1] op_sel_hi:[1,0,0]
	s_waitcnt vmcnt(5)
	v_mov_b32_e32 v4, v39
	v_mov_b32_e32 v7, v5
	v_pk_mul_f32 v[4:5], v[24:25], v[4:5] op_sel_hi:[1,0]
	v_pk_add_f32 v[2:3], v[2:3], v[6:7]
	s_waitcnt vmcnt(3)
	v_pk_fma_f32 v[6:7], v[24:25], v[38:39], v[4:5] op_sel:[0,0,1] op_sel_hi:[1,1,0] neg_lo:[0,0,1] neg_hi:[0,0,1]
	v_pk_fma_f32 v[4:5], v[24:25], v[38:39], v[4:5] op_sel:[0,0,1] op_sel_hi:[1,0,0]
	s_waitcnt vmcnt(2)
	v_mov_b32_e32 v4, v41
	v_mov_b32_e32 v7, v5
	s_waitcnt lgkmcnt(0)
	v_pk_mul_f32 v[4:5], v[44:45], v[4:5] op_sel_hi:[1,0]
	v_pk_add_f32 v[2:3], v[2:3], v[6:7]
	v_pk_fma_f32 v[6:7], v[44:45], v[40:41], v[4:5] op_sel:[0,0,1] op_sel_hi:[1,1,0] neg_lo:[0,0,1] neg_hi:[0,0,1]
	v_pk_fma_f32 v[4:5], v[44:45], v[40:41], v[4:5] op_sel:[0,0,1] op_sel_hi:[1,0,0]
	v_mov_b32_e32 v7, v5
	v_pk_add_f32 v[2:3], v[2:3], v[6:7]
	s_waitcnt vmcnt(0)
	v_pk_add_f32 v[2:3], v[42:43], v[2:3] neg_lo:[0,1] neg_hi:[0,1]
	buffer_store_dword v3, off, s[0:3], 0 offset:380
	buffer_store_dword v2, off, s[0:3], 0 offset:376
	s_and_saveexec_b64 s[4:5], vcc
	s_cbranch_execz .LBB60_287
; %bb.286:
	buffer_load_dword v2, off, s[0:3], 0 offset:368
	buffer_load_dword v3, off, s[0:3], 0 offset:372
	s_waitcnt vmcnt(0)
	ds_write_b64 v199, v[2:3]
	buffer_store_dword v1, off, s[0:3], 0 offset:368
	buffer_store_dword v1, off, s[0:3], 0 offset:372
.LBB60_287:
	s_or_b64 exec, exec, s[4:5]
	s_waitcnt lgkmcnt(0)
	; wave barrier
	s_waitcnt lgkmcnt(0)
	buffer_load_dword v48, off, s[0:3], 0 offset:380
	buffer_load_dword v50, off, s[0:3], 0 offset:388
	;; [unrolled: 1-line block ×30, first 2 shown]
	ds_read2_b64 v[2:5], v1 offset0:109 offset1:110
	ds_read2_b64 v[6:9], v1 offset0:111 offset1:112
	;; [unrolled: 1-line block ×7, first 2 shown]
	v_cmp_lt_u32_e32 vcc, 45, v0
	s_waitcnt vmcnt(29) lgkmcnt(6)
	v_mul_f32_e32 v1, v2, v48
	v_mul_f32_e32 v48, v3, v48
	s_waitcnt vmcnt(27) lgkmcnt(5)
	v_mul_f32_e32 v64, v6, v52
	s_waitcnt vmcnt(26)
	v_mul_f32_e32 v65, v8, v53
	v_mul_f32_e32 v53, v9, v53
	;; [unrolled: 1-line block ×3, first 2 shown]
	s_waitcnt vmcnt(23)
	v_mov_b32_e32 v52, v31
	v_mul_f32_e32 v63, v4, v50
	v_mul_f32_e32 v50, v5, v50
	s_waitcnt vmcnt(20)
	v_fmac_f32_e32 v1, v3, v57
	s_waitcnt vmcnt(19)
	v_fmac_f32_e32 v63, v5, v58
	v_add_f32_e32 v1, 0, v1
	s_waitcnt vmcnt(17)
	v_fma_f32 v53, v8, v60, -v53
	v_fmac_f32_e32 v65, v9, v60
	v_fma_f32 v9, v2, v57, -v48
	s_waitcnt lgkmcnt(3)
	v_pk_mul_f32 v[2:3], v[14:15], v[52:53] op_sel_hi:[1,0]
	v_fma_f32 v57, v4, v58, -v50
	v_add_f32_e32 v52, 0, v9
	s_waitcnt vmcnt(14)
	v_pk_fma_f32 v[8:9], v[14:15], v[30:31], v[2:3] op_sel:[0,0,1] op_sel_hi:[1,1,0] neg_lo:[0,0,1] neg_hi:[0,0,1]
	v_pk_fma_f32 v[2:3], v[14:15], v[30:31], v[2:3] op_sel:[0,0,1] op_sel_hi:[1,0,0]
	v_mul_f32_e32 v49, v10, v54
	v_mul_f32_e32 v51, v12, v55
	;; [unrolled: 1-line block ×4, first 2 shown]
	v_mov_b32_e32 v54, v33
	v_fmac_f32_e32 v64, v7, v59
	v_fma_f32 v58, v6, v59, -v66
	v_add_f32_e32 v1, v1, v63
	v_add_f32_e32 v2, v52, v57
	v_pk_mul_f32 v[4:5], v[16:17], v[54:55] op_sel_hi:[1,0]
	v_add_f32_e32 v1, v1, v64
	v_add_f32_e32 v2, v2, v58
	v_mov_b32_e32 v56, v35
	v_fmac_f32_e32 v49, v11, v61
	v_fma_f32 v48, v10, v61, -v67
	s_waitcnt vmcnt(10)
	v_pk_fma_f32 v[10:11], v[16:17], v[32:33], v[4:5] op_sel:[0,0,1] op_sel_hi:[1,1,0] neg_lo:[0,0,1] neg_hi:[0,0,1]
	v_pk_fma_f32 v[4:5], v[16:17], v[32:33], v[4:5] op_sel:[0,0,1] op_sel_hi:[1,0,0]
	v_mov_b32_e32 v9, v3
	v_add_f32_e32 v3, v1, v65
	v_add_f32_e32 v2, v2, v53
	v_fmac_f32_e32 v51, v13, v62
	v_fma_f32 v50, v12, v62, -v55
	s_waitcnt lgkmcnt(2)
	v_pk_mul_f32 v[6:7], v[18:19], v[56:57] op_sel_hi:[1,0]
	v_pk_add_f32 v[2:3], v[2:3], v[48:49]
	s_waitcnt vmcnt(9)
	v_mov_b32_e32 v4, v39
	v_pk_fma_f32 v[12:13], v[18:19], v[34:35], v[6:7] op_sel:[0,0,1] op_sel_hi:[1,1,0] neg_lo:[0,0,1] neg_hi:[0,0,1]
	v_pk_fma_f32 v[6:7], v[18:19], v[34:35], v[6:7] op_sel:[0,0,1] op_sel_hi:[1,0,0]
	v_mov_b32_e32 v11, v5
	v_pk_add_f32 v[2:3], v[2:3], v[50:51]
	v_pk_mul_f32 v[4:5], v[20:21], v[4:5] op_sel_hi:[1,0]
	v_mov_b32_e32 v13, v7
	v_pk_add_f32 v[2:3], v[2:3], v[8:9]
	v_pk_fma_f32 v[6:7], v[20:21], v[38:39], v[4:5] op_sel:[0,0,1] op_sel_hi:[1,1,0] neg_lo:[0,0,1] neg_hi:[0,0,1]
	v_pk_fma_f32 v[4:5], v[20:21], v[38:39], v[4:5] op_sel:[0,0,1] op_sel_hi:[1,0,0]
	v_pk_add_f32 v[2:3], v[2:3], v[10:11]
	s_waitcnt vmcnt(8)
	v_mov_b32_e32 v4, v37
	v_pk_add_f32 v[2:3], v[2:3], v[12:13]
	v_mov_b32_e32 v7, v5
	s_waitcnt lgkmcnt(1)
	v_pk_mul_f32 v[4:5], v[22:23], v[4:5] op_sel_hi:[1,0]
	v_pk_add_f32 v[2:3], v[2:3], v[6:7]
	v_pk_fma_f32 v[6:7], v[22:23], v[36:37], v[4:5] op_sel:[0,0,1] op_sel_hi:[1,1,0] neg_lo:[0,0,1] neg_hi:[0,0,1]
	v_pk_fma_f32 v[4:5], v[22:23], v[36:37], v[4:5] op_sel:[0,0,1] op_sel_hi:[1,0,0]
	s_waitcnt vmcnt(7)
	v_mov_b32_e32 v4, v41
	v_mov_b32_e32 v7, v5
	v_pk_mul_f32 v[4:5], v[24:25], v[4:5] op_sel_hi:[1,0]
	v_pk_add_f32 v[2:3], v[2:3], v[6:7]
	s_waitcnt vmcnt(4)
	v_pk_fma_f32 v[6:7], v[24:25], v[40:41], v[4:5] op_sel:[0,0,1] op_sel_hi:[1,1,0] neg_lo:[0,0,1] neg_hi:[0,0,1]
	v_pk_fma_f32 v[4:5], v[24:25], v[40:41], v[4:5] op_sel:[0,0,1] op_sel_hi:[1,0,0]
	s_waitcnt vmcnt(3)
	v_mov_b32_e32 v4, v45
	v_mov_b32_e32 v7, v5
	s_waitcnt lgkmcnt(0)
	v_pk_mul_f32 v[4:5], v[26:27], v[4:5] op_sel_hi:[1,0]
	v_pk_add_f32 v[2:3], v[2:3], v[6:7]
	v_pk_fma_f32 v[6:7], v[26:27], v[44:45], v[4:5] op_sel:[0,0,1] op_sel_hi:[1,1,0] neg_lo:[0,0,1] neg_hi:[0,0,1]
	v_pk_fma_f32 v[4:5], v[26:27], v[44:45], v[4:5] op_sel:[0,0,1] op_sel_hi:[1,0,0]
	s_waitcnt vmcnt(0)
	v_mov_b32_e32 v4, v43
	v_mov_b32_e32 v7, v5
	v_pk_mul_f32 v[4:5], v[28:29], v[4:5] op_sel_hi:[1,0]
	v_pk_add_f32 v[2:3], v[2:3], v[6:7]
	v_pk_fma_f32 v[6:7], v[28:29], v[42:43], v[4:5] op_sel:[0,0,1] op_sel_hi:[1,1,0] neg_lo:[0,0,1] neg_hi:[0,0,1]
	v_pk_fma_f32 v[4:5], v[28:29], v[42:43], v[4:5] op_sel:[0,0,1] op_sel_hi:[1,0,0]
	v_mov_b32_e32 v7, v5
	v_pk_add_f32 v[2:3], v[2:3], v[6:7]
	v_pk_add_f32 v[2:3], v[46:47], v[2:3] neg_lo:[0,1] neg_hi:[0,1]
	buffer_store_dword v3, off, s[0:3], 0 offset:372
	buffer_store_dword v2, off, s[0:3], 0 offset:368
	s_and_saveexec_b64 s[4:5], vcc
	s_cbranch_execz .LBB60_289
; %bb.288:
	buffer_load_dword v2, off, s[0:3], 0 offset:360
	buffer_load_dword v3, off, s[0:3], 0 offset:364
	v_mov_b32_e32 v1, 0
	buffer_store_dword v1, off, s[0:3], 0 offset:360
	buffer_store_dword v1, off, s[0:3], 0 offset:364
	s_waitcnt vmcnt(2)
	ds_write_b64 v199, v[2:3]
.LBB60_289:
	s_or_b64 exec, exec, s[4:5]
	s_waitcnt lgkmcnt(0)
	; wave barrier
	s_waitcnt lgkmcnt(0)
	buffer_load_dword v50, off, s[0:3], 0 offset:372
	buffer_load_dword v52, off, s[0:3], 0 offset:380
	;; [unrolled: 1-line block ×32, first 2 shown]
	v_mov_b32_e32 v1, 0
	ds_read_b128 v[2:5], v1 offset:864
	ds_read_b128 v[6:9], v1 offset:880
	;; [unrolled: 1-line block ×7, first 2 shown]
	ds_read_b64 v[48:49], v1 offset:976
	v_cmp_lt_u32_e32 vcc, 44, v0
	s_waitcnt vmcnt(31) lgkmcnt(7)
	v_mul_f32_e32 v66, v2, v50
	s_waitcnt vmcnt(30)
	v_mul_f32_e32 v67, v4, v52
	s_waitcnt vmcnt(29) lgkmcnt(6)
	v_mul_f32_e32 v68, v6, v54
	s_waitcnt vmcnt(28)
	v_mul_f32_e32 v69, v8, v55
	v_mul_f32_e32 v50, v3, v50
	;; [unrolled: 1-line block ×4, first 2 shown]
	s_waitcnt vmcnt(24)
	v_mov_b32_e32 v54, v31
	s_waitcnt lgkmcnt(5)
	v_mul_f32_e32 v70, v10, v56
	v_mul_f32_e32 v52, v5, v52
	;; [unrolled: 1-line block ×3, first 2 shown]
	s_waitcnt vmcnt(22)
	v_fmac_f32_e32 v66, v3, v59
	s_waitcnt vmcnt(21)
	v_fmac_f32_e32 v67, v5, v60
	v_fma_f32 v5, v2, v59, -v50
	s_waitcnt lgkmcnt(4)
	v_pk_mul_f32 v[2:3], v[16:17], v[54:55] op_sel_hi:[1,0]
	s_waitcnt vmcnt(20)
	v_fmac_f32_e32 v68, v7, v61
	s_waitcnt vmcnt(19)
	v_fmac_f32_e32 v69, v9, v62
	;; [unrolled: 2-line block ×3, first 2 shown]
	v_fma_f32 v7, v4, v60, -v52
	v_fma_f32 v9, v10, v63, -v72
	v_add_f32_e32 v10, 0, v66
	v_add_f32_e32 v11, 0, v5
	s_waitcnt vmcnt(12)
	v_pk_fma_f32 v[4:5], v[16:17], v[30:31], v[2:3] op_sel:[0,0,1] op_sel_hi:[1,1,0] neg_lo:[0,0,1] neg_hi:[0,0,1]
	v_pk_fma_f32 v[2:3], v[16:17], v[30:31], v[2:3] op_sel:[0,0,1] op_sel_hi:[1,0,0]
	v_fma_f32 v6, v6, v61, -v71
	v_add_f32_e32 v2, v10, v67
	v_add_f32_e32 v7, v11, v7
	v_fma_f32 v8, v8, v62, -v55
	v_mov_b32_e32 v5, v3
	v_add_f32_e32 v2, v2, v68
	v_add_f32_e32 v3, v7, v6
	v_mul_f32_e32 v51, v12, v57
	v_mul_f32_e32 v57, v13, v57
	v_add_f32_e32 v2, v2, v69
	v_add_f32_e32 v6, v3, v8
	v_mul_f32_e32 v53, v14, v58
	v_mul_f32_e32 v58, v15, v58
	v_fmac_f32_e32 v51, v13, v64
	v_fma_f32 v50, v12, v64, -v57
	v_add_f32_e32 v3, v2, v70
	v_add_f32_e32 v2, v6, v9
	v_fmac_f32_e32 v53, v15, v65
	v_fma_f32 v52, v14, v65, -v58
	v_pk_add_f32 v[2:3], v[2:3], v[50:51]
	v_mov_b32_e32 v56, v33
	v_pk_add_f32 v[2:3], v[2:3], v[52:53]
	v_pk_add_f32 v[2:3], v[2:3], v[4:5]
	s_waitcnt lgkmcnt(3)
	v_pk_mul_f32 v[4:5], v[18:19], v[56:57] op_sel_hi:[1,0]
	v_pk_fma_f32 v[6:7], v[18:19], v[32:33], v[4:5] op_sel:[0,0,1] op_sel_hi:[1,1,0] neg_lo:[0,0,1] neg_hi:[0,0,1]
	v_pk_fma_f32 v[4:5], v[18:19], v[32:33], v[4:5] op_sel:[0,0,1] op_sel_hi:[1,0,0]
	s_waitcnt vmcnt(11)
	v_mov_b32_e32 v4, v37
	v_mov_b32_e32 v7, v5
	v_pk_mul_f32 v[4:5], v[20:21], v[4:5] op_sel_hi:[1,0]
	v_pk_add_f32 v[2:3], v[2:3], v[6:7]
	v_pk_fma_f32 v[6:7], v[20:21], v[36:37], v[4:5] op_sel:[0,0,1] op_sel_hi:[1,1,0] neg_lo:[0,0,1] neg_hi:[0,0,1]
	v_pk_fma_f32 v[4:5], v[20:21], v[36:37], v[4:5] op_sel:[0,0,1] op_sel_hi:[1,0,0]
	s_waitcnt vmcnt(10)
	v_mov_b32_e32 v4, v35
	v_mov_b32_e32 v7, v5
	s_waitcnt lgkmcnt(2)
	v_pk_mul_f32 v[4:5], v[22:23], v[4:5] op_sel_hi:[1,0]
	v_pk_add_f32 v[2:3], v[2:3], v[6:7]
	v_pk_fma_f32 v[6:7], v[22:23], v[34:35], v[4:5] op_sel:[0,0,1] op_sel_hi:[1,1,0] neg_lo:[0,0,1] neg_hi:[0,0,1]
	v_pk_fma_f32 v[4:5], v[22:23], v[34:35], v[4:5] op_sel:[0,0,1] op_sel_hi:[1,0,0]
	s_waitcnt vmcnt(9)
	v_mov_b32_e32 v4, v39
	v_mov_b32_e32 v7, v5
	v_pk_mul_f32 v[4:5], v[24:25], v[4:5] op_sel_hi:[1,0]
	v_pk_add_f32 v[2:3], v[2:3], v[6:7]
	s_waitcnt vmcnt(4)
	v_pk_fma_f32 v[6:7], v[24:25], v[38:39], v[4:5] op_sel:[0,0,1] op_sel_hi:[1,1,0] neg_lo:[0,0,1] neg_hi:[0,0,1]
	v_pk_fma_f32 v[4:5], v[24:25], v[38:39], v[4:5] op_sel:[0,0,1] op_sel_hi:[1,0,0]
	v_mov_b32_e32 v4, v45
	v_mov_b32_e32 v7, v5
	s_waitcnt lgkmcnt(1)
	v_pk_mul_f32 v[4:5], v[26:27], v[4:5] op_sel_hi:[1,0]
	v_pk_add_f32 v[2:3], v[2:3], v[6:7]
	v_pk_fma_f32 v[6:7], v[26:27], v[44:45], v[4:5] op_sel:[0,0,1] op_sel_hi:[1,1,0] neg_lo:[0,0,1] neg_hi:[0,0,1]
	v_pk_fma_f32 v[4:5], v[26:27], v[44:45], v[4:5] op_sel:[0,0,1] op_sel_hi:[1,0,0]
	s_waitcnt vmcnt(3)
	v_mov_b32_e32 v4, v43
	v_mov_b32_e32 v7, v5
	v_pk_mul_f32 v[4:5], v[28:29], v[4:5] op_sel_hi:[1,0]
	v_pk_add_f32 v[2:3], v[2:3], v[6:7]
	v_pk_fma_f32 v[6:7], v[28:29], v[42:43], v[4:5] op_sel:[0,0,1] op_sel_hi:[1,1,0] neg_lo:[0,0,1] neg_hi:[0,0,1]
	v_pk_fma_f32 v[4:5], v[28:29], v[42:43], v[4:5] op_sel:[0,0,1] op_sel_hi:[1,0,0]
	s_waitcnt vmcnt(0)
	v_mov_b32_e32 v4, v41
	v_mov_b32_e32 v7, v5
	s_waitcnt lgkmcnt(0)
	v_pk_mul_f32 v[4:5], v[48:49], v[4:5] op_sel_hi:[1,0]
	v_pk_add_f32 v[2:3], v[2:3], v[6:7]
	v_pk_fma_f32 v[6:7], v[48:49], v[40:41], v[4:5] op_sel:[0,0,1] op_sel_hi:[1,1,0] neg_lo:[0,0,1] neg_hi:[0,0,1]
	v_pk_fma_f32 v[4:5], v[48:49], v[40:41], v[4:5] op_sel:[0,0,1] op_sel_hi:[1,0,0]
	v_mov_b32_e32 v7, v5
	v_pk_add_f32 v[2:3], v[2:3], v[6:7]
	v_pk_add_f32 v[2:3], v[46:47], v[2:3] neg_lo:[0,1] neg_hi:[0,1]
	buffer_store_dword v3, off, s[0:3], 0 offset:364
	buffer_store_dword v2, off, s[0:3], 0 offset:360
	s_and_saveexec_b64 s[4:5], vcc
	s_cbranch_execz .LBB60_291
; %bb.290:
	buffer_load_dword v2, off, s[0:3], 0 offset:352
	buffer_load_dword v3, off, s[0:3], 0 offset:356
	s_waitcnt vmcnt(0)
	ds_write_b64 v199, v[2:3]
	buffer_store_dword v1, off, s[0:3], 0 offset:352
	buffer_store_dword v1, off, s[0:3], 0 offset:356
.LBB60_291:
	s_or_b64 exec, exec, s[4:5]
	s_waitcnt lgkmcnt(0)
	; wave barrier
	s_waitcnt lgkmcnt(0)
	buffer_load_dword v52, off, s[0:3], 0 offset:364
	buffer_load_dword v54, off, s[0:3], 0 offset:372
	;; [unrolled: 1-line block ×32, first 2 shown]
	ds_read2_b64 v[2:5], v1 offset0:107 offset1:108
	ds_read2_b64 v[6:9], v1 offset0:109 offset1:110
	;; [unrolled: 1-line block ×4, first 2 shown]
	buffer_load_dword v51, off, s[0:3], 0 offset:484
	buffer_load_dword v50, off, s[0:3], 0 offset:480
	ds_read2_b64 v[18:21], v1 offset0:115 offset1:116
	ds_read2_b64 v[22:25], v1 offset0:117 offset1:118
	;; [unrolled: 1-line block ×4, first 2 shown]
	v_cmp_lt_u32_e32 vcc, 43, v0
	s_waitcnt vmcnt(33) lgkmcnt(7)
	v_mul_f32_e32 v1, v2, v52
	v_mul_f32_e32 v52, v3, v52
	s_waitcnt vmcnt(32)
	v_mul_f32_e32 v70, v4, v54
	v_mul_f32_e32 v54, v5, v54
	s_waitcnt vmcnt(31) lgkmcnt(6)
	v_mul_f32_e32 v71, v6, v56
	v_mul_f32_e32 v56, v7, v56
	s_waitcnt vmcnt(30)
	v_mul_f32_e32 v72, v8, v57
	v_mul_f32_e32 v57, v9, v57
	s_waitcnt vmcnt(25)
	v_fmac_f32_e32 v1, v3, v62
	v_fma_f32 v2, v2, v62, -v52
	s_waitcnt vmcnt(24)
	v_fmac_f32_e32 v70, v5, v63
	v_fma_f32 v3, v4, v63, -v54
	v_add_f32_e32 v1, 0, v1
	v_add_f32_e32 v2, 0, v2
	s_waitcnt vmcnt(23)
	v_fmac_f32_e32 v71, v7, v64
	v_fma_f32 v4, v6, v64, -v56
	v_add_f32_e32 v1, v1, v70
	v_add_f32_e32 v2, v2, v3
	s_waitcnt lgkmcnt(5)
	v_mul_f32_e32 v73, v10, v58
	v_mul_f32_e32 v58, v11, v58
	s_waitcnt vmcnt(22)
	v_fmac_f32_e32 v72, v9, v65
	v_fma_f32 v5, v8, v65, -v57
	v_add_f32_e32 v1, v1, v71
	v_add_f32_e32 v2, v2, v4
	v_mul_f32_e32 v74, v12, v59
	v_mul_f32_e32 v59, v13, v59
	s_waitcnt vmcnt(21)
	v_fmac_f32_e32 v73, v11, v66
	v_fma_f32 v6, v10, v66, -v58
	v_add_f32_e32 v1, v1, v72
	v_add_f32_e32 v2, v2, v5
	s_waitcnt vmcnt(17)
	v_mov_b32_e32 v4, v35
	s_waitcnt lgkmcnt(4)
	v_mul_f32_e32 v53, v14, v60
	v_mul_f32_e32 v60, v15, v60
	v_fmac_f32_e32 v74, v13, v67
	v_fma_f32 v7, v12, v67, -v59
	v_add_f32_e32 v1, v1, v73
	v_add_f32_e32 v2, v2, v6
	s_waitcnt lgkmcnt(3)
	v_pk_mul_f32 v[4:5], v[18:19], v[4:5] op_sel_hi:[1,0]
	v_mul_f32_e32 v55, v16, v61
	v_mul_f32_e32 v61, v17, v61
	v_fmac_f32_e32 v53, v15, v68
	v_fma_f32 v52, v14, v68, -v60
	v_add_f32_e32 v3, v1, v74
	v_add_f32_e32 v2, v2, v7
	s_waitcnt vmcnt(14)
	v_pk_fma_f32 v[6:7], v[18:19], v[34:35], v[4:5] op_sel:[0,0,1] op_sel_hi:[1,1,0] neg_lo:[0,0,1] neg_hi:[0,0,1]
	v_pk_fma_f32 v[4:5], v[18:19], v[34:35], v[4:5] op_sel:[0,0,1] op_sel_hi:[1,0,0]
	v_fmac_f32_e32 v55, v17, v69
	v_fma_f32 v54, v16, v69, -v61
	v_pk_add_f32 v[2:3], v[2:3], v[52:53]
	s_waitcnt vmcnt(13)
	v_mov_b32_e32 v4, v39
	v_pk_add_f32 v[2:3], v[2:3], v[54:55]
	v_mov_b32_e32 v7, v5
	v_pk_mul_f32 v[4:5], v[20:21], v[4:5] op_sel_hi:[1,0]
	v_pk_add_f32 v[2:3], v[2:3], v[6:7]
	v_pk_fma_f32 v[6:7], v[20:21], v[38:39], v[4:5] op_sel:[0,0,1] op_sel_hi:[1,1,0] neg_lo:[0,0,1] neg_hi:[0,0,1]
	v_pk_fma_f32 v[4:5], v[20:21], v[38:39], v[4:5] op_sel:[0,0,1] op_sel_hi:[1,0,0]
	s_waitcnt vmcnt(12)
	v_mov_b32_e32 v4, v37
	v_mov_b32_e32 v7, v5
	s_waitcnt lgkmcnt(2)
	v_pk_mul_f32 v[4:5], v[22:23], v[4:5] op_sel_hi:[1,0]
	v_pk_add_f32 v[2:3], v[2:3], v[6:7]
	v_pk_fma_f32 v[6:7], v[22:23], v[36:37], v[4:5] op_sel:[0,0,1] op_sel_hi:[1,1,0] neg_lo:[0,0,1] neg_hi:[0,0,1]
	v_pk_fma_f32 v[4:5], v[22:23], v[36:37], v[4:5] op_sel:[0,0,1] op_sel_hi:[1,0,0]
	s_waitcnt vmcnt(11)
	v_mov_b32_e32 v4, v41
	v_mov_b32_e32 v7, v5
	v_pk_mul_f32 v[4:5], v[24:25], v[4:5] op_sel_hi:[1,0]
	v_pk_add_f32 v[2:3], v[2:3], v[6:7]
	s_waitcnt vmcnt(5)
	v_pk_fma_f32 v[6:7], v[24:25], v[40:41], v[4:5] op_sel:[0,0,1] op_sel_hi:[1,1,0] neg_lo:[0,0,1] neg_hi:[0,0,1]
	v_pk_fma_f32 v[4:5], v[24:25], v[40:41], v[4:5] op_sel:[0,0,1] op_sel_hi:[1,0,0]
	v_mov_b32_e32 v4, v47
	v_mov_b32_e32 v7, v5
	s_waitcnt lgkmcnt(1)
	v_pk_mul_f32 v[4:5], v[26:27], v[4:5] op_sel_hi:[1,0]
	v_pk_add_f32 v[2:3], v[2:3], v[6:7]
	v_pk_fma_f32 v[6:7], v[26:27], v[46:47], v[4:5] op_sel:[0,0,1] op_sel_hi:[1,1,0] neg_lo:[0,0,1] neg_hi:[0,0,1]
	v_pk_fma_f32 v[4:5], v[26:27], v[46:47], v[4:5] op_sel:[0,0,1] op_sel_hi:[1,0,0]
	v_mov_b32_e32 v4, v45
	v_mov_b32_e32 v7, v5
	v_pk_mul_f32 v[4:5], v[28:29], v[4:5] op_sel_hi:[1,0]
	v_pk_add_f32 v[2:3], v[2:3], v[6:7]
	v_pk_fma_f32 v[6:7], v[28:29], v[44:45], v[4:5] op_sel:[0,0,1] op_sel_hi:[1,1,0] neg_lo:[0,0,1] neg_hi:[0,0,1]
	v_pk_fma_f32 v[4:5], v[28:29], v[44:45], v[4:5] op_sel:[0,0,1] op_sel_hi:[1,0,0]
	s_waitcnt vmcnt(2)
	v_mov_b32_e32 v4, v43
	v_mov_b32_e32 v7, v5
	s_waitcnt lgkmcnt(0)
	v_pk_mul_f32 v[4:5], v[30:31], v[4:5] op_sel_hi:[1,0]
	v_pk_add_f32 v[2:3], v[2:3], v[6:7]
	v_pk_fma_f32 v[6:7], v[30:31], v[42:43], v[4:5] op_sel:[0,0,1] op_sel_hi:[1,1,0] neg_lo:[0,0,1] neg_hi:[0,0,1]
	v_pk_fma_f32 v[4:5], v[30:31], v[42:43], v[4:5] op_sel:[0,0,1] op_sel_hi:[1,0,0]
	s_waitcnt vmcnt(1)
	v_mov_b32_e32 v4, v51
	v_mov_b32_e32 v7, v5
	v_pk_mul_f32 v[4:5], v[32:33], v[4:5] op_sel_hi:[1,0]
	v_pk_add_f32 v[2:3], v[2:3], v[6:7]
	s_waitcnt vmcnt(0)
	v_pk_fma_f32 v[6:7], v[32:33], v[50:51], v[4:5] op_sel:[0,0,1] op_sel_hi:[1,1,0] neg_lo:[0,0,1] neg_hi:[0,0,1]
	v_pk_fma_f32 v[4:5], v[32:33], v[50:51], v[4:5] op_sel:[0,0,1] op_sel_hi:[1,0,0]
	v_mov_b32_e32 v7, v5
	v_pk_add_f32 v[2:3], v[2:3], v[6:7]
	v_pk_add_f32 v[2:3], v[48:49], v[2:3] neg_lo:[0,1] neg_hi:[0,1]
	buffer_store_dword v3, off, s[0:3], 0 offset:356
	buffer_store_dword v2, off, s[0:3], 0 offset:352
	s_and_saveexec_b64 s[4:5], vcc
	s_cbranch_execz .LBB60_293
; %bb.292:
	buffer_load_dword v2, off, s[0:3], 0 offset:344
	buffer_load_dword v3, off, s[0:3], 0 offset:348
	v_mov_b32_e32 v1, 0
	buffer_store_dword v1, off, s[0:3], 0 offset:344
	buffer_store_dword v1, off, s[0:3], 0 offset:348
	s_waitcnt vmcnt(2)
	ds_write_b64 v199, v[2:3]
.LBB60_293:
	s_or_b64 exec, exec, s[4:5]
	s_waitcnt lgkmcnt(0)
	; wave barrier
	s_waitcnt lgkmcnt(0)
	buffer_load_dword v44, off, s[0:3], 0 offset:356
	buffer_load_dword v46, off, s[0:3], 0 offset:364
	buffer_load_dword v48, off, s[0:3], 0 offset:372
	buffer_load_dword v49, off, s[0:3], 0 offset:380
	buffer_load_dword v50, off, s[0:3], 0 offset:388
	buffer_load_dword v51, off, s[0:3], 0 offset:396
	buffer_load_dword v52, off, s[0:3], 0 offset:404
	buffer_load_dword v53, off, s[0:3], 0 offset:412
	buffer_load_dword v54, off, s[0:3], 0 offset:420
	buffer_load_dword v55, off, s[0:3], 0 offset:352
	buffer_load_dword v56, off, s[0:3], 0 offset:360
	buffer_load_dword v57, off, s[0:3], 0 offset:368
	buffer_load_dword v58, off, s[0:3], 0 offset:376
	buffer_load_dword v59, off, s[0:3], 0 offset:384
	buffer_load_dword v60, off, s[0:3], 0 offset:392
	buffer_load_dword v61, off, s[0:3], 0 offset:400
	buffer_load_dword v62, off, s[0:3], 0 offset:408
	buffer_load_dword v63, off, s[0:3], 0 offset:416
	buffer_load_dword v27, off, s[0:3], 0 offset:428
	buffer_load_dword v28, off, s[0:3], 0 offset:432
	buffer_load_dword v26, off, s[0:3], 0 offset:424
	buffer_load_dword v30, off, s[0:3], 0 offset:344
	buffer_load_dword v31, off, s[0:3], 0 offset:348
	buffer_load_dword v29, off, s[0:3], 0 offset:436
	buffer_load_dword v33, off, s[0:3], 0 offset:444
	buffer_load_dword v35, off, s[0:3], 0 offset:468
	buffer_load_dword v34, off, s[0:3], 0 offset:464
	buffer_load_dword v37, off, s[0:3], 0 offset:460
	buffer_load_dword v36, off, s[0:3], 0 offset:456
	buffer_load_dword v39, off, s[0:3], 0 offset:452
	buffer_load_dword v38, off, s[0:3], 0 offset:448
	buffer_load_dword v32, off, s[0:3], 0 offset:440
	buffer_load_dword v41, off, s[0:3], 0 offset:484
	buffer_load_dword v40, off, s[0:3], 0 offset:480
	buffer_load_dword v43, off, s[0:3], 0 offset:476
	buffer_load_dword v42, off, s[0:3], 0 offset:472
	v_mov_b32_e32 v1, 0
	ds_read_b128 v[2:5], v1 offset:848
	ds_read_b128 v[6:9], v1 offset:864
	;; [unrolled: 1-line block ×6, first 2 shown]
	v_cmp_lt_u32_e32 vcc, 42, v0
	s_waitcnt vmcnt(35) lgkmcnt(5)
	v_mul_f32_e32 v64, v2, v44
	s_waitcnt vmcnt(34)
	v_mul_f32_e32 v65, v4, v46
	v_mul_f32_e32 v44, v3, v44
	s_waitcnt vmcnt(32) lgkmcnt(4)
	v_mul_f32_e32 v67, v8, v49
	v_mul_f32_e32 v49, v9, v49
	;; [unrolled: 1-line block ×5, first 2 shown]
	s_waitcnt vmcnt(31) lgkmcnt(3)
	v_mul_f32_e32 v68, v10, v50
	s_waitcnt vmcnt(26)
	v_fmac_f32_e32 v64, v3, v55
	s_waitcnt vmcnt(25)
	v_fmac_f32_e32 v65, v5, v56
	v_fma_f32 v2, v2, v55, -v44
	s_waitcnt vmcnt(23)
	v_fma_f32 v5, v8, v58, -v49
	v_add_f32_e32 v8, 0, v64
	v_fmac_f32_e32 v66, v7, v57
	v_fma_f32 v3, v4, v56, -v46
	v_add_f32_e32 v2, 0, v2
	v_add_f32_e32 v8, v8, v65
	v_fmac_f32_e32 v67, v9, v58
	v_fma_f32 v4, v6, v57, -v48
	v_add_f32_e32 v2, v2, v3
	v_add_f32_e32 v3, v8, v66
	v_mul_f32_e32 v69, v12, v51
	v_mul_f32_e32 v50, v11, v50
	s_waitcnt vmcnt(22)
	v_fmac_f32_e32 v68, v11, v59
	v_add_f32_e32 v2, v2, v4
	v_add_f32_e32 v3, v3, v67
	s_waitcnt lgkmcnt(2)
	v_mul_f32_e32 v70, v14, v52
	v_mul_f32_e32 v51, v13, v51
	s_waitcnt vmcnt(21)
	v_fmac_f32_e32 v69, v13, v60
	v_fma_f32 v6, v10, v59, -v50
	v_add_f32_e32 v2, v2, v5
	v_add_f32_e32 v3, v3, v68
	v_mul_f32_e32 v52, v15, v52
	s_waitcnt vmcnt(20)
	v_fmac_f32_e32 v70, v15, v61
	v_fma_f32 v7, v12, v60, -v51
	v_add_f32_e32 v2, v2, v6
	v_add_f32_e32 v3, v3, v69
	;; [unrolled: 1-line block ×4, first 2 shown]
	v_fma_f32 v3, v14, v61, -v52
	s_waitcnt vmcnt(17)
	v_mov_b32_e32 v14, v27
	v_mul_f32_e32 v45, v16, v53
	v_add_f32_e32 v10, v2, v3
	v_mul_f32_e32 v2, v17, v53
	s_waitcnt lgkmcnt(1)
	v_pk_mul_f32 v[14:15], v[20:21], v[14:15] op_sel_hi:[1,0]
	v_mul_f32_e32 v47, v18, v54
	v_fmac_f32_e32 v45, v17, v62
	v_fma_f32 v44, v16, v62, -v2
	v_mul_f32_e32 v2, v19, v54
	s_waitcnt vmcnt(15)
	v_pk_fma_f32 v[16:17], v[20:21], v[26:27], v[14:15] op_sel:[0,0,1] op_sel_hi:[1,1,0] neg_lo:[0,0,1] neg_hi:[0,0,1]
	v_pk_fma_f32 v[14:15], v[20:21], v[26:27], v[14:15] op_sel:[0,0,1] op_sel_hi:[1,0,0]
	v_fmac_f32_e32 v47, v19, v63
	v_fma_f32 v46, v18, v63, -v2
	v_pk_add_f32 v[10:11], v[10:11], v[44:45]
	s_waitcnt vmcnt(12)
	v_mov_b32_e32 v14, v29
	v_pk_add_f32 v[10:11], v[10:11], v[46:47]
	v_mov_b32_e32 v17, v15
	s_waitcnt lgkmcnt(0)
	v_pk_mul_f32 v[14:15], v[22:23], v[14:15] op_sel_hi:[1,0]
	v_pk_add_f32 v[10:11], v[10:11], v[16:17]
	v_pk_fma_f32 v[16:17], v[22:23], v[28:29], v[14:15] op_sel:[0,0,1] op_sel_hi:[1,1,0] neg_lo:[0,0,1] neg_hi:[0,0,1]
	v_pk_fma_f32 v[14:15], v[22:23], v[28:29], v[14:15] op_sel:[0,0,1] op_sel_hi:[1,0,0]
	s_waitcnt vmcnt(11)
	v_mov_b32_e32 v14, v33
	ds_read_b128 v[2:5], v1 offset:944
	ds_read_b128 v[6:9], v1 offset:960
	ds_read_b64 v[12:13], v1 offset:976
	v_mov_b32_e32 v17, v15
	v_pk_mul_f32 v[14:15], v[24:25], v[14:15] op_sel_hi:[1,0]
	v_pk_add_f32 v[10:11], v[10:11], v[16:17]
	s_waitcnt vmcnt(4)
	v_pk_fma_f32 v[16:17], v[24:25], v[32:33], v[14:15] op_sel:[0,0,1] op_sel_hi:[1,1,0] neg_lo:[0,0,1] neg_hi:[0,0,1]
	v_pk_fma_f32 v[14:15], v[24:25], v[32:33], v[14:15] op_sel:[0,0,1] op_sel_hi:[1,0,0]
	v_mov_b32_e32 v14, v39
	v_mov_b32_e32 v17, v15
	s_waitcnt lgkmcnt(2)
	v_pk_mul_f32 v[14:15], v[2:3], v[14:15] op_sel_hi:[1,0]
	v_pk_add_f32 v[10:11], v[10:11], v[16:17]
	v_pk_fma_f32 v[16:17], v[2:3], v[38:39], v[14:15] op_sel:[0,0,1] op_sel_hi:[1,1,0] neg_lo:[0,0,1] neg_hi:[0,0,1]
	v_pk_fma_f32 v[2:3], v[2:3], v[38:39], v[14:15] op_sel:[0,0,1] op_sel_hi:[1,0,0]
	v_mov_b32_e32 v17, v3
	v_pk_add_f32 v[2:3], v[10:11], v[16:17]
	v_mov_b32_e32 v10, v37
	v_pk_mul_f32 v[10:11], v[4:5], v[10:11] op_sel_hi:[1,0]
	v_pk_fma_f32 v[14:15], v[4:5], v[36:37], v[10:11] op_sel:[0,0,1] op_sel_hi:[1,1,0] neg_lo:[0,0,1] neg_hi:[0,0,1]
	v_pk_fma_f32 v[4:5], v[4:5], v[36:37], v[10:11] op_sel:[0,0,1] op_sel_hi:[1,0,0]
	v_mov_b32_e32 v4, v35
	v_mov_b32_e32 v15, v5
	s_waitcnt lgkmcnt(1)
	v_pk_mul_f32 v[4:5], v[6:7], v[4:5] op_sel_hi:[1,0]
	v_pk_fma_f32 v[10:11], v[6:7], v[34:35], v[4:5] op_sel:[0,0,1] op_sel_hi:[1,1,0] neg_lo:[0,0,1] neg_hi:[0,0,1]
	v_pk_fma_f32 v[4:5], v[6:7], v[34:35], v[4:5] op_sel:[0,0,1] op_sel_hi:[1,0,0]
	s_waitcnt vmcnt(1)
	v_mov_b32_e32 v4, v43
	v_mov_b32_e32 v11, v5
	v_pk_mul_f32 v[4:5], v[8:9], v[4:5] op_sel_hi:[1,0]
	s_waitcnt vmcnt(0)
	v_pk_fma_f32 v[6:7], v[8:9], v[42:43], v[4:5] op_sel:[0,0,1] op_sel_hi:[1,1,0] neg_lo:[0,0,1] neg_hi:[0,0,1]
	v_pk_fma_f32 v[4:5], v[8:9], v[42:43], v[4:5] op_sel:[0,0,1] op_sel_hi:[1,0,0]
	v_pk_add_f32 v[2:3], v[2:3], v[14:15]
	v_mov_b32_e32 v4, v41
	v_pk_add_f32 v[2:3], v[2:3], v[10:11]
	v_mov_b32_e32 v7, v5
	s_waitcnt lgkmcnt(0)
	v_pk_mul_f32 v[4:5], v[12:13], v[4:5] op_sel_hi:[1,0]
	v_pk_add_f32 v[2:3], v[2:3], v[6:7]
	v_pk_fma_f32 v[6:7], v[12:13], v[40:41], v[4:5] op_sel:[0,0,1] op_sel_hi:[1,1,0] neg_lo:[0,0,1] neg_hi:[0,0,1]
	v_pk_fma_f32 v[4:5], v[12:13], v[40:41], v[4:5] op_sel:[0,0,1] op_sel_hi:[1,0,0]
	v_mov_b32_e32 v7, v5
	v_pk_add_f32 v[2:3], v[2:3], v[6:7]
	v_pk_add_f32 v[2:3], v[30:31], v[2:3] neg_lo:[0,1] neg_hi:[0,1]
	buffer_store_dword v3, off, s[0:3], 0 offset:348
	buffer_store_dword v2, off, s[0:3], 0 offset:344
	s_and_saveexec_b64 s[4:5], vcc
	s_cbranch_execz .LBB60_295
; %bb.294:
	buffer_load_dword v2, off, s[0:3], 0 offset:336
	buffer_load_dword v3, off, s[0:3], 0 offset:340
	s_waitcnt vmcnt(0)
	ds_write_b64 v199, v[2:3]
	buffer_store_dword v1, off, s[0:3], 0 offset:336
	buffer_store_dword v1, off, s[0:3], 0 offset:340
.LBB60_295:
	s_or_b64 exec, exec, s[4:5]
	s_waitcnt lgkmcnt(0)
	; wave barrier
	s_waitcnt lgkmcnt(0)
	buffer_load_dword v44, off, s[0:3], 0 offset:348
	buffer_load_dword v46, off, s[0:3], 0 offset:356
	;; [unrolled: 1-line block ×22, first 2 shown]
	ds_read2_b64 v[2:5], v1 offset0:105 offset1:106
	ds_read2_b64 v[6:9], v1 offset0:107 offset1:108
	buffer_load_dword v29, off, s[0:3], 0 offset:428
	buffer_load_dword v28, off, s[0:3], 0 offset:424
	;; [unrolled: 1-line block ×10, first 2 shown]
	ds_read2_b64 v[10:13], v1 offset0:109 offset1:110
	ds_read2_b64 v[14:17], v1 offset0:111 offset1:112
	;; [unrolled: 1-line block ×4, first 2 shown]
	buffer_load_dword v39, off, s[0:3], 0 offset:484
	buffer_load_dword v38, off, s[0:3], 0 offset:480
	;; [unrolled: 1-line block ×6, first 2 shown]
	v_cmp_lt_u32_e32 vcc, 41, v0
	s_waitcnt vmcnt(37) lgkmcnt(5)
	v_mul_f32_e32 v66, v2, v44
	s_waitcnt vmcnt(36)
	v_mul_f32_e32 v67, v4, v46
	s_waitcnt vmcnt(35) lgkmcnt(4)
	v_mul_f32_e32 v68, v6, v48
	v_mul_f32_e32 v44, v3, v44
	;; [unrolled: 1-line block ×4, first 2 shown]
	s_waitcnt vmcnt(34)
	v_mul_f32_e32 v69, v8, v49
	s_waitcnt vmcnt(33) lgkmcnt(3)
	v_mul_f32_e32 v70, v10, v50
	s_waitcnt vmcnt(32)
	v_mul_f32_e32 v71, v12, v51
	s_waitcnt vmcnt(31) lgkmcnt(2)
	v_mul_f32_e32 v72, v14, v52
	s_waitcnt vmcnt(27)
	v_fmac_f32_e32 v66, v3, v56
	s_waitcnt vmcnt(26)
	v_fmac_f32_e32 v67, v5, v57
	;; [unrolled: 2-line block ×3, first 2 shown]
	v_fma_f32 v2, v2, v56, -v44
	v_add_f32_e32 v7, 0, v66
	v_fma_f32 v3, v4, v57, -v46
	v_add_f32_e32 v2, 0, v2
	v_add_f32_e32 v7, v7, v67
	s_waitcnt vmcnt(24)
	v_fmac_f32_e32 v69, v9, v59
	v_add_f32_e32 v2, v2, v3
	v_add_f32_e32 v3, v7, v68
	s_waitcnt vmcnt(23)
	v_fmac_f32_e32 v70, v11, v60
	v_add_f32_e32 v3, v3, v69
	v_mul_f32_e32 v49, v9, v49
	s_waitcnt vmcnt(22)
	v_fmac_f32_e32 v71, v13, v61
	v_fma_f32 v4, v6, v58, -v48
	v_add_f32_e32 v3, v3, v70
	v_mul_f32_e32 v73, v16, v53
	v_mul_f32_e32 v50, v11, v50
	s_waitcnt vmcnt(21)
	v_fmac_f32_e32 v72, v15, v62
	v_fma_f32 v5, v8, v59, -v49
	v_add_f32_e32 v2, v2, v4
	v_add_f32_e32 v3, v3, v71
	v_mul_f32_e32 v51, v13, v51
	s_waitcnt vmcnt(20)
	v_fmac_f32_e32 v73, v17, v63
	v_fma_f32 v6, v10, v60, -v50
	v_add_f32_e32 v2, v2, v5
	v_add_f32_e32 v3, v3, v72
	;; [unrolled: 1-line block ×4, first 2 shown]
	v_fma_f32 v3, v12, v61, -v51
	v_add_f32_e32 v2, v2, v3
	v_mul_f32_e32 v3, v15, v52
	v_fma_f32 v3, v14, v62, -v3
	v_add_f32_e32 v2, v2, v3
	v_mul_f32_e32 v3, v17, v53
	v_fma_f32 v3, v16, v63, -v3
	s_waitcnt vmcnt(15)
	v_mov_b32_e32 v16, v29
	s_waitcnt lgkmcnt(1)
	v_mul_f32_e32 v45, v18, v54
	v_add_f32_e32 v48, v2, v3
	v_mul_f32_e32 v2, v19, v54
	s_waitcnt lgkmcnt(0)
	v_pk_mul_f32 v[16:17], v[22:23], v[16:17] op_sel_hi:[1,0]
	v_mul_f32_e32 v47, v20, v55
	v_fmac_f32_e32 v45, v19, v64
	v_fma_f32 v44, v18, v64, -v2
	v_mul_f32_e32 v2, v21, v55
	s_waitcnt vmcnt(14)
	v_pk_fma_f32 v[18:19], v[22:23], v[28:29], v[16:17] op_sel:[0,0,1] op_sel_hi:[1,1,0] neg_lo:[0,0,1] neg_hi:[0,0,1]
	v_pk_fma_f32 v[16:17], v[22:23], v[28:29], v[16:17] op_sel:[0,0,1] op_sel_hi:[1,0,0]
	v_fmac_f32_e32 v47, v21, v65
	v_fma_f32 v46, v20, v65, -v2
	v_pk_add_f32 v[14:15], v[48:49], v[44:45]
	s_waitcnt vmcnt(13)
	v_mov_b32_e32 v16, v31
	ds_read2_b64 v[2:5], v1 offset0:117 offset1:118
	ds_read2_b64 v[6:9], v1 offset0:119 offset1:120
	;; [unrolled: 1-line block ×3, first 2 shown]
	v_pk_add_f32 v[14:15], v[14:15], v[46:47]
	v_mov_b32_e32 v19, v17
	v_pk_mul_f32 v[16:17], v[24:25], v[16:17] op_sel_hi:[1,0]
	v_pk_add_f32 v[14:15], v[14:15], v[18:19]
	s_waitcnt vmcnt(6)
	v_pk_fma_f32 v[18:19], v[24:25], v[30:31], v[16:17] op_sel:[0,0,1] op_sel_hi:[1,1,0] neg_lo:[0,0,1] neg_hi:[0,0,1]
	v_pk_fma_f32 v[16:17], v[24:25], v[30:31], v[16:17] op_sel:[0,0,1] op_sel_hi:[1,0,0]
	v_mov_b32_e32 v16, v37
	v_mov_b32_e32 v19, v17
	s_waitcnt lgkmcnt(2)
	v_pk_mul_f32 v[16:17], v[2:3], v[16:17] op_sel_hi:[1,0]
	v_pk_add_f32 v[14:15], v[14:15], v[18:19]
	v_pk_fma_f32 v[18:19], v[2:3], v[36:37], v[16:17] op_sel:[0,0,1] op_sel_hi:[1,1,0] neg_lo:[0,0,1] neg_hi:[0,0,1]
	v_pk_fma_f32 v[2:3], v[2:3], v[36:37], v[16:17] op_sel:[0,0,1] op_sel_hi:[1,0,0]
	v_mov_b32_e32 v19, v3
	v_pk_add_f32 v[2:3], v[14:15], v[18:19]
	v_mov_b32_e32 v14, v35
	v_pk_mul_f32 v[14:15], v[4:5], v[14:15] op_sel_hi:[1,0]
	v_pk_fma_f32 v[16:17], v[4:5], v[34:35], v[14:15] op_sel:[0,0,1] op_sel_hi:[1,1,0] neg_lo:[0,0,1] neg_hi:[0,0,1]
	v_pk_fma_f32 v[4:5], v[4:5], v[34:35], v[14:15] op_sel:[0,0,1] op_sel_hi:[1,0,0]
	v_mov_b32_e32 v4, v33
	v_mov_b32_e32 v17, v5
	s_waitcnt lgkmcnt(1)
	v_pk_mul_f32 v[4:5], v[6:7], v[4:5] op_sel_hi:[1,0]
	v_pk_fma_f32 v[14:15], v[6:7], v[32:33], v[4:5] op_sel:[0,0,1] op_sel_hi:[1,1,0] neg_lo:[0,0,1] neg_hi:[0,0,1]
	v_pk_fma_f32 v[4:5], v[6:7], v[32:33], v[4:5] op_sel:[0,0,1] op_sel_hi:[1,0,0]
	s_waitcnt vmcnt(1)
	v_mov_b32_e32 v4, v43
	v_mov_b32_e32 v15, v5
	v_pk_mul_f32 v[4:5], v[8:9], v[4:5] op_sel_hi:[1,0]
	s_waitcnt vmcnt(0)
	v_pk_fma_f32 v[6:7], v[8:9], v[42:43], v[4:5] op_sel:[0,0,1] op_sel_hi:[1,1,0] neg_lo:[0,0,1] neg_hi:[0,0,1]
	v_pk_fma_f32 v[4:5], v[8:9], v[42:43], v[4:5] op_sel:[0,0,1] op_sel_hi:[1,0,0]
	v_pk_add_f32 v[2:3], v[2:3], v[16:17]
	v_mov_b32_e32 v4, v41
	v_pk_add_f32 v[2:3], v[2:3], v[14:15]
	v_mov_b32_e32 v7, v5
	s_waitcnt lgkmcnt(0)
	v_pk_mul_f32 v[4:5], v[10:11], v[4:5] op_sel_hi:[1,0]
	v_pk_add_f32 v[2:3], v[2:3], v[6:7]
	v_pk_fma_f32 v[6:7], v[10:11], v[40:41], v[4:5] op_sel:[0,0,1] op_sel_hi:[1,1,0] neg_lo:[0,0,1] neg_hi:[0,0,1]
	v_pk_fma_f32 v[4:5], v[10:11], v[40:41], v[4:5] op_sel:[0,0,1] op_sel_hi:[1,0,0]
	v_mov_b32_e32 v4, v39
	v_mov_b32_e32 v7, v5
	v_pk_mul_f32 v[4:5], v[12:13], v[4:5] op_sel_hi:[1,0]
	v_pk_add_f32 v[2:3], v[2:3], v[6:7]
	v_pk_fma_f32 v[6:7], v[12:13], v[38:39], v[4:5] op_sel:[0,0,1] op_sel_hi:[1,1,0] neg_lo:[0,0,1] neg_hi:[0,0,1]
	v_pk_fma_f32 v[4:5], v[12:13], v[38:39], v[4:5] op_sel:[0,0,1] op_sel_hi:[1,0,0]
	v_mov_b32_e32 v7, v5
	v_pk_add_f32 v[2:3], v[2:3], v[6:7]
	v_pk_add_f32 v[2:3], v[26:27], v[2:3] neg_lo:[0,1] neg_hi:[0,1]
	buffer_store_dword v3, off, s[0:3], 0 offset:340
	buffer_store_dword v2, off, s[0:3], 0 offset:336
	s_and_saveexec_b64 s[4:5], vcc
	s_cbranch_execz .LBB60_297
; %bb.296:
	buffer_load_dword v2, off, s[0:3], 0 offset:328
	buffer_load_dword v3, off, s[0:3], 0 offset:332
	v_mov_b32_e32 v1, 0
	buffer_store_dword v1, off, s[0:3], 0 offset:328
	buffer_store_dword v1, off, s[0:3], 0 offset:332
	s_waitcnt vmcnt(2)
	ds_write_b64 v199, v[2:3]
.LBB60_297:
	s_or_b64 exec, exec, s[4:5]
	s_waitcnt lgkmcnt(0)
	; wave barrier
	s_waitcnt lgkmcnt(0)
	buffer_load_dword v44, off, s[0:3], 0 offset:340
	buffer_load_dword v46, off, s[0:3], 0 offset:348
	;; [unrolled: 1-line block ×40, first 2 shown]
	v_mov_b32_e32 v1, 0
	ds_read_b128 v[2:5], v1 offset:832
	ds_read_b128 v[6:9], v1 offset:848
	;; [unrolled: 1-line block ×6, first 2 shown]
	v_cmp_lt_u32_e32 vcc, 40, v0
	s_waitcnt vmcnt(39) lgkmcnt(5)
	v_mul_f32_e32 v68, v2, v44
	s_waitcnt vmcnt(38)
	v_mul_f32_e32 v69, v4, v46
	s_waitcnt vmcnt(37) lgkmcnt(4)
	v_mul_f32_e32 v70, v6, v48
	v_mul_f32_e32 v44, v3, v44
	;; [unrolled: 1-line block ×4, first 2 shown]
	s_waitcnt vmcnt(36)
	v_mul_f32_e32 v71, v8, v49
	s_waitcnt vmcnt(35) lgkmcnt(3)
	v_mul_f32_e32 v72, v10, v50
	s_waitcnt vmcnt(34)
	v_mul_f32_e32 v73, v12, v51
	s_waitcnt vmcnt(33) lgkmcnt(2)
	v_mul_f32_e32 v74, v14, v52
	s_waitcnt vmcnt(32)
	v_mul_f32_e32 v75, v16, v53
	s_waitcnt vmcnt(28)
	v_fmac_f32_e32 v68, v3, v57
	s_waitcnt vmcnt(27)
	v_fmac_f32_e32 v69, v5, v58
	v_fma_f32 v2, v2, v57, -v44
	v_fma_f32 v3, v4, v58, -v46
	s_waitcnt vmcnt(26)
	v_fma_f32 v4, v6, v59, -v48
	v_add_f32_e32 v6, 0, v68
	v_fmac_f32_e32 v70, v7, v59
	v_add_f32_e32 v2, 0, v2
	v_add_f32_e32 v6, v6, v69
	s_waitcnt vmcnt(25)
	v_fmac_f32_e32 v71, v9, v60
	v_add_f32_e32 v2, v2, v3
	v_add_f32_e32 v3, v6, v70
	s_waitcnt vmcnt(24)
	v_fmac_f32_e32 v72, v11, v61
	v_add_f32_e32 v3, v3, v71
	s_waitcnt vmcnt(23)
	v_fmac_f32_e32 v73, v13, v62
	;; [unrolled: 3-line block ×3, first 2 shown]
	v_add_f32_e32 v3, v3, v73
	s_waitcnt lgkmcnt(1)
	v_mul_f32_e32 v76, v18, v54
	s_waitcnt vmcnt(21)
	v_fmac_f32_e32 v75, v17, v64
	v_add_f32_e32 v3, v3, v74
	v_mul_f32_e32 v49, v9, v49
	s_waitcnt vmcnt(20)
	v_fmac_f32_e32 v76, v19, v65
	v_add_f32_e32 v3, v3, v75
	v_fma_f32 v5, v8, v60, -v49
	v_add_f32_e32 v2, v2, v4
	v_add_f32_e32 v49, v3, v76
	v_mul_f32_e32 v3, v11, v50
	v_add_f32_e32 v2, v2, v5
	v_fma_f32 v3, v10, v61, -v3
	v_add_f32_e32 v2, v2, v3
	v_mul_f32_e32 v3, v13, v51
	v_fma_f32 v3, v12, v62, -v3
	v_add_f32_e32 v2, v2, v3
	v_mul_f32_e32 v3, v15, v52
	;; [unrolled: 3-line block ×5, first 2 shown]
	s_waitcnt vmcnt(9)
	v_mov_b32_e32 v18, v35
	v_mul_f32_e32 v45, v20, v55
	v_fma_f32 v44, v20, v66, -v2
	s_waitcnt lgkmcnt(0)
	v_mul_f32_e32 v2, v23, v56
	v_pk_mul_f32 v[18:19], v[24:25], v[18:19] op_sel_hi:[1,0]
	v_mul_f32_e32 v47, v22, v56
	v_fmac_f32_e32 v45, v21, v66
	v_fma_f32 v46, v22, v67, -v2
	ds_read_b128 v[2:5], v1 offset:928
	ds_read_b128 v[6:9], v1 offset:944
	;; [unrolled: 1-line block ×3, first 2 shown]
	ds_read_b64 v[14:15], v1 offset:976
	s_waitcnt vmcnt(8)
	v_pk_fma_f32 v[20:21], v[24:25], v[34:35], v[18:19] op_sel:[0,0,1] op_sel_hi:[1,1,0] neg_lo:[0,0,1] neg_hi:[0,0,1]
	v_pk_fma_f32 v[18:19], v[24:25], v[34:35], v[18:19] op_sel:[0,0,1] op_sel_hi:[1,0,0]
	v_fmac_f32_e32 v47, v23, v67
	v_pk_add_f32 v[16:17], v[48:49], v[44:45]
	v_mov_b32_e32 v18, v33
	v_pk_add_f32 v[16:17], v[16:17], v[46:47]
	v_mov_b32_e32 v21, v19
	s_waitcnt lgkmcnt(3)
	v_pk_mul_f32 v[18:19], v[2:3], v[18:19] op_sel_hi:[1,0]
	v_pk_add_f32 v[16:17], v[16:17], v[20:21]
	v_pk_fma_f32 v[20:21], v[2:3], v[32:33], v[18:19] op_sel:[0,0,1] op_sel_hi:[1,1,0] neg_lo:[0,0,1] neg_hi:[0,0,1]
	v_pk_fma_f32 v[2:3], v[2:3], v[32:33], v[18:19] op_sel:[0,0,1] op_sel_hi:[1,0,0]
	v_mov_b32_e32 v21, v3
	v_pk_add_f32 v[2:3], v[16:17], v[20:21]
	v_mov_b32_e32 v16, v31
	v_pk_mul_f32 v[16:17], v[4:5], v[16:17] op_sel_hi:[1,0]
	v_pk_fma_f32 v[18:19], v[4:5], v[30:31], v[16:17] op_sel:[0,0,1] op_sel_hi:[1,1,0] neg_lo:[0,0,1] neg_hi:[0,0,1]
	v_pk_fma_f32 v[4:5], v[4:5], v[30:31], v[16:17] op_sel:[0,0,1] op_sel_hi:[1,0,0]
	v_mov_b32_e32 v4, v29
	v_mov_b32_e32 v19, v5
	s_waitcnt lgkmcnt(2)
	v_pk_mul_f32 v[4:5], v[6:7], v[4:5] op_sel_hi:[1,0]
	v_pk_fma_f32 v[16:17], v[6:7], v[28:29], v[4:5] op_sel:[0,0,1] op_sel_hi:[1,1,0] neg_lo:[0,0,1] neg_hi:[0,0,1]
	v_pk_fma_f32 v[4:5], v[6:7], v[28:29], v[4:5] op_sel:[0,0,1] op_sel_hi:[1,0,0]
	s_waitcnt vmcnt(1)
	v_mov_b32_e32 v4, v43
	v_mov_b32_e32 v17, v5
	v_pk_mul_f32 v[4:5], v[8:9], v[4:5] op_sel_hi:[1,0]
	s_waitcnt vmcnt(0)
	v_pk_fma_f32 v[6:7], v[8:9], v[42:43], v[4:5] op_sel:[0,0,1] op_sel_hi:[1,1,0] neg_lo:[0,0,1] neg_hi:[0,0,1]
	v_pk_fma_f32 v[4:5], v[8:9], v[42:43], v[4:5] op_sel:[0,0,1] op_sel_hi:[1,0,0]
	v_pk_add_f32 v[2:3], v[2:3], v[18:19]
	v_mov_b32_e32 v4, v41
	v_pk_add_f32 v[2:3], v[2:3], v[16:17]
	v_mov_b32_e32 v7, v5
	s_waitcnt lgkmcnt(1)
	v_pk_mul_f32 v[4:5], v[10:11], v[4:5] op_sel_hi:[1,0]
	v_pk_add_f32 v[2:3], v[2:3], v[6:7]
	v_pk_fma_f32 v[6:7], v[10:11], v[40:41], v[4:5] op_sel:[0,0,1] op_sel_hi:[1,1,0] neg_lo:[0,0,1] neg_hi:[0,0,1]
	v_pk_fma_f32 v[4:5], v[10:11], v[40:41], v[4:5] op_sel:[0,0,1] op_sel_hi:[1,0,0]
	v_mov_b32_e32 v4, v39
	v_mov_b32_e32 v7, v5
	v_pk_mul_f32 v[4:5], v[12:13], v[4:5] op_sel_hi:[1,0]
	v_pk_add_f32 v[2:3], v[2:3], v[6:7]
	v_pk_fma_f32 v[6:7], v[12:13], v[38:39], v[4:5] op_sel:[0,0,1] op_sel_hi:[1,1,0] neg_lo:[0,0,1] neg_hi:[0,0,1]
	v_pk_fma_f32 v[4:5], v[12:13], v[38:39], v[4:5] op_sel:[0,0,1] op_sel_hi:[1,0,0]
	v_mov_b32_e32 v4, v37
	v_mov_b32_e32 v7, v5
	s_waitcnt lgkmcnt(0)
	v_pk_mul_f32 v[4:5], v[14:15], v[4:5] op_sel_hi:[1,0]
	v_pk_add_f32 v[2:3], v[2:3], v[6:7]
	v_pk_fma_f32 v[6:7], v[14:15], v[36:37], v[4:5] op_sel:[0,0,1] op_sel_hi:[1,1,0] neg_lo:[0,0,1] neg_hi:[0,0,1]
	v_pk_fma_f32 v[4:5], v[14:15], v[36:37], v[4:5] op_sel:[0,0,1] op_sel_hi:[1,0,0]
	v_mov_b32_e32 v7, v5
	v_pk_add_f32 v[2:3], v[2:3], v[6:7]
	v_pk_add_f32 v[2:3], v[26:27], v[2:3] neg_lo:[0,1] neg_hi:[0,1]
	buffer_store_dword v3, off, s[0:3], 0 offset:332
	buffer_store_dword v2, off, s[0:3], 0 offset:328
	s_and_saveexec_b64 s[4:5], vcc
	s_cbranch_execz .LBB60_299
; %bb.298:
	buffer_load_dword v2, off, s[0:3], 0 offset:320
	buffer_load_dword v3, off, s[0:3], 0 offset:324
	s_waitcnt vmcnt(0)
	ds_write_b64 v199, v[2:3]
	buffer_store_dword v1, off, s[0:3], 0 offset:320
	buffer_store_dword v1, off, s[0:3], 0 offset:324
.LBB60_299:
	s_or_b64 exec, exec, s[4:5]
	s_waitcnt lgkmcnt(0)
	; wave barrier
	s_waitcnt lgkmcnt(0)
	buffer_load_dword v44, off, s[0:3], 0 offset:332
	buffer_load_dword v46, off, s[0:3], 0 offset:340
	;; [unrolled: 1-line block ×26, first 2 shown]
	ds_read2_b64 v[2:5], v1 offset0:103 offset1:104
	ds_read2_b64 v[6:9], v1 offset0:105 offset1:106
	;; [unrolled: 1-line block ×6, first 2 shown]
	buffer_load_dword v29, off, s[0:3], 0 offset:444
	buffer_load_dword v28, off, s[0:3], 0 offset:440
	;; [unrolled: 1-line block ×16, first 2 shown]
	v_cmp_lt_u32_e32 vcc, 39, v0
	s_waitcnt vmcnt(41) lgkmcnt(5)
	v_mul_f32_e32 v70, v2, v44
	s_waitcnt vmcnt(40)
	v_mul_f32_e32 v71, v4, v46
	v_mul_f32_e32 v44, v3, v44
	s_waitcnt vmcnt(39) lgkmcnt(4)
	v_mul_f32_e32 v72, v6, v48
	v_mul_f32_e32 v46, v5, v46
	s_waitcnt vmcnt(38)
	v_mul_f32_e32 v73, v8, v50
	s_waitcnt vmcnt(37) lgkmcnt(3)
	v_mul_f32_e32 v74, v10, v51
	s_waitcnt vmcnt(36)
	v_mul_f32_e32 v75, v12, v52
	s_waitcnt vmcnt(35) lgkmcnt(2)
	;; [unrolled: 4-line block ×3, first 2 shown]
	v_mul_f32_e32 v78, v18, v55
	s_waitcnt vmcnt(32)
	v_mul_f32_e32 v79, v20, v56
	s_waitcnt vmcnt(29)
	v_fmac_f32_e32 v70, v3, v49
	s_waitcnt vmcnt(28)
	v_fmac_f32_e32 v71, v5, v59
	v_fma_f32 v2, v2, v49, -v44
	v_add_f32_e32 v5, 0, v70
	s_waitcnt vmcnt(27)
	v_fmac_f32_e32 v72, v7, v60
	v_fma_f32 v3, v4, v59, -v46
	v_add_f32_e32 v2, 0, v2
	v_add_f32_e32 v5, v5, v71
	s_waitcnt vmcnt(26)
	v_fmac_f32_e32 v73, v9, v61
	v_add_f32_e32 v2, v2, v3
	v_add_f32_e32 v3, v5, v72
	s_waitcnt vmcnt(25)
	v_fmac_f32_e32 v74, v11, v62
	v_add_f32_e32 v3, v3, v73
	s_waitcnt vmcnt(24)
	v_fmac_f32_e32 v75, v13, v63
	;; [unrolled: 3-line block ×5, first 2 shown]
	v_add_f32_e32 v3, v3, v77
	v_mul_f32_e32 v48, v7, v48
	s_waitcnt vmcnt(20)
	v_fmac_f32_e32 v79, v21, v67
	v_add_f32_e32 v3, v3, v78
	v_fma_f32 v4, v6, v60, -v48
	v_add_f32_e32 v49, v3, v79
	v_mul_f32_e32 v3, v9, v50
	v_add_f32_e32 v2, v2, v4
	v_fma_f32 v3, v8, v61, -v3
	v_add_f32_e32 v2, v2, v3
	v_mul_f32_e32 v3, v11, v51
	v_fma_f32 v3, v10, v62, -v3
	v_add_f32_e32 v2, v2, v3
	v_mul_f32_e32 v3, v13, v52
	;; [unrolled: 3-line block ×6, first 2 shown]
	v_fma_f32 v3, v20, v67, -v3
	v_add_f32_e32 v48, v2, v3
	s_waitcnt lgkmcnt(0)
	v_mul_f32_e32 v2, v23, v57
	s_waitcnt vmcnt(19)
	v_fma_f32 v44, v22, v68, -v2
	v_mul_f32_e32 v2, v25, v58
	s_waitcnt vmcnt(18)
	v_fma_f32 v46, v24, v69, -v2
	ds_read2_b64 v[2:5], v1 offset0:115 offset1:116
	ds_read2_b64 v[6:9], v1 offset0:117 offset1:118
	;; [unrolled: 1-line block ×4, first 2 shown]
	v_mul_f32_e32 v45, v22, v57
	s_waitcnt vmcnt(11)
	v_mov_b32_e32 v20, v33
	v_mul_f32_e32 v47, v24, v58
	v_fmac_f32_e32 v45, v23, v68
	s_waitcnt lgkmcnt(3)
	v_pk_mul_f32 v[20:21], v[2:3], v[20:21] op_sel_hi:[1,0]
	v_fmac_f32_e32 v47, v25, v69
	v_pk_add_f32 v[18:19], v[48:49], v[44:45]
	s_waitcnt vmcnt(10)
	v_pk_fma_f32 v[22:23], v[2:3], v[32:33], v[20:21] op_sel:[0,0,1] op_sel_hi:[1,1,0] neg_lo:[0,0,1] neg_hi:[0,0,1]
	v_pk_fma_f32 v[2:3], v[2:3], v[32:33], v[20:21] op_sel:[0,0,1] op_sel_hi:[1,0,0]
	v_pk_add_f32 v[18:19], v[18:19], v[46:47]
	v_mov_b32_e32 v23, v3
	v_pk_add_f32 v[2:3], v[18:19], v[22:23]
	v_mov_b32_e32 v18, v31
	v_pk_mul_f32 v[18:19], v[4:5], v[18:19] op_sel_hi:[1,0]
	v_pk_fma_f32 v[20:21], v[4:5], v[30:31], v[18:19] op_sel:[0,0,1] op_sel_hi:[1,1,0] neg_lo:[0,0,1] neg_hi:[0,0,1]
	v_pk_fma_f32 v[4:5], v[4:5], v[30:31], v[18:19] op_sel:[0,0,1] op_sel_hi:[1,0,0]
	v_mov_b32_e32 v4, v29
	v_mov_b32_e32 v21, v5
	s_waitcnt lgkmcnt(2)
	v_pk_mul_f32 v[4:5], v[6:7], v[4:5] op_sel_hi:[1,0]
	v_pk_fma_f32 v[18:19], v[6:7], v[28:29], v[4:5] op_sel:[0,0,1] op_sel_hi:[1,1,0] neg_lo:[0,0,1] neg_hi:[0,0,1]
	v_pk_fma_f32 v[4:5], v[6:7], v[28:29], v[4:5] op_sel:[0,0,1] op_sel_hi:[1,0,0]
	s_waitcnt vmcnt(3)
	v_mov_b32_e32 v4, v41
	v_mov_b32_e32 v19, v5
	v_pk_mul_f32 v[4:5], v[8:9], v[4:5] op_sel_hi:[1,0]
	s_waitcnt vmcnt(2)
	v_pk_fma_f32 v[6:7], v[8:9], v[40:41], v[4:5] op_sel:[0,0,1] op_sel_hi:[1,1,0] neg_lo:[0,0,1] neg_hi:[0,0,1]
	v_pk_fma_f32 v[4:5], v[8:9], v[40:41], v[4:5] op_sel:[0,0,1] op_sel_hi:[1,0,0]
	v_pk_add_f32 v[2:3], v[2:3], v[20:21]
	v_mov_b32_e32 v4, v39
	v_pk_add_f32 v[2:3], v[2:3], v[18:19]
	v_mov_b32_e32 v7, v5
	s_waitcnt lgkmcnt(1)
	v_pk_mul_f32 v[4:5], v[10:11], v[4:5] op_sel_hi:[1,0]
	v_pk_add_f32 v[2:3], v[2:3], v[6:7]
	v_pk_fma_f32 v[6:7], v[10:11], v[38:39], v[4:5] op_sel:[0,0,1] op_sel_hi:[1,1,0] neg_lo:[0,0,1] neg_hi:[0,0,1]
	v_pk_fma_f32 v[4:5], v[10:11], v[38:39], v[4:5] op_sel:[0,0,1] op_sel_hi:[1,0,0]
	v_mov_b32_e32 v4, v37
	v_mov_b32_e32 v7, v5
	v_pk_mul_f32 v[4:5], v[12:13], v[4:5] op_sel_hi:[1,0]
	v_pk_add_f32 v[2:3], v[2:3], v[6:7]
	v_pk_fma_f32 v[6:7], v[12:13], v[36:37], v[4:5] op_sel:[0,0,1] op_sel_hi:[1,1,0] neg_lo:[0,0,1] neg_hi:[0,0,1]
	v_pk_fma_f32 v[4:5], v[12:13], v[36:37], v[4:5] op_sel:[0,0,1] op_sel_hi:[1,0,0]
	v_mov_b32_e32 v4, v35
	v_mov_b32_e32 v7, v5
	s_waitcnt lgkmcnt(0)
	v_pk_mul_f32 v[4:5], v[14:15], v[4:5] op_sel_hi:[1,0]
	v_pk_add_f32 v[2:3], v[2:3], v[6:7]
	v_pk_fma_f32 v[6:7], v[14:15], v[34:35], v[4:5] op_sel:[0,0,1] op_sel_hi:[1,1,0] neg_lo:[0,0,1] neg_hi:[0,0,1]
	v_pk_fma_f32 v[4:5], v[14:15], v[34:35], v[4:5] op_sel:[0,0,1] op_sel_hi:[1,0,0]
	s_waitcnt vmcnt(1)
	v_mov_b32_e32 v4, v43
	v_mov_b32_e32 v7, v5
	v_pk_mul_f32 v[4:5], v[16:17], v[4:5] op_sel_hi:[1,0]
	v_pk_add_f32 v[2:3], v[2:3], v[6:7]
	s_waitcnt vmcnt(0)
	v_pk_fma_f32 v[6:7], v[16:17], v[42:43], v[4:5] op_sel:[0,0,1] op_sel_hi:[1,1,0] neg_lo:[0,0,1] neg_hi:[0,0,1]
	v_pk_fma_f32 v[4:5], v[16:17], v[42:43], v[4:5] op_sel:[0,0,1] op_sel_hi:[1,0,0]
	v_mov_b32_e32 v7, v5
	v_pk_add_f32 v[2:3], v[2:3], v[6:7]
	v_pk_add_f32 v[2:3], v[26:27], v[2:3] neg_lo:[0,1] neg_hi:[0,1]
	buffer_store_dword v3, off, s[0:3], 0 offset:324
	buffer_store_dword v2, off, s[0:3], 0 offset:320
	s_and_saveexec_b64 s[4:5], vcc
	s_cbranch_execz .LBB60_301
; %bb.300:
	buffer_load_dword v2, off, s[0:3], 0 offset:312
	buffer_load_dword v3, off, s[0:3], 0 offset:316
	v_mov_b32_e32 v1, 0
	buffer_store_dword v1, off, s[0:3], 0 offset:312
	buffer_store_dword v1, off, s[0:3], 0 offset:316
	s_waitcnt vmcnt(2)
	ds_write_b64 v199, v[2:3]
.LBB60_301:
	s_or_b64 exec, exec, s[4:5]
	s_waitcnt lgkmcnt(0)
	; wave barrier
	s_waitcnt lgkmcnt(0)
	buffer_load_dword v52, off, s[0:3], 0 offset:324
	buffer_load_dword v54, off, s[0:3], 0 offset:332
	;; [unrolled: 1-line block ×44, first 2 shown]
	v_mov_b32_e32 v1, 0
	ds_read_b128 v[2:5], v1 offset:816
	ds_read_b128 v[6:9], v1 offset:832
	;; [unrolled: 1-line block ×8, first 2 shown]
	v_cmp_lt_u32_e32 vcc, 38, v0
	s_waitcnt vmcnt(43) lgkmcnt(7)
	v_mul_f32_e32 v57, v2, v52
	s_waitcnt vmcnt(42)
	v_mul_f32_e32 v81, v4, v54
	s_waitcnt vmcnt(41) lgkmcnt(6)
	v_mul_f32_e32 v82, v6, v56
	v_mul_f32_e32 v52, v3, v52
	s_waitcnt vmcnt(40)
	v_mul_f32_e32 v83, v8, v58
	s_waitcnt vmcnt(39) lgkmcnt(5)
	v_mul_f32_e32 v84, v10, v59
	s_waitcnt vmcnt(38)
	v_mul_f32_e32 v85, v12, v60
	s_waitcnt vmcnt(37) lgkmcnt(4)
	;; [unrolled: 4-line block ×4, first 2 shown]
	v_mul_f32_e32 v90, v22, v65
	s_waitcnt vmcnt(32)
	v_mul_f32_e32 v53, v24, v66
	s_waitcnt vmcnt(30)
	v_fmac_f32_e32 v57, v3, v68
	s_waitcnt vmcnt(29)
	v_fmac_f32_e32 v81, v5, v69
	v_add_f32_e32 v3, 0, v57
	s_waitcnt vmcnt(28)
	v_fmac_f32_e32 v82, v7, v70
	v_add_f32_e32 v3, v3, v81
	;; [unrolled: 3-line block ×10, first 2 shown]
	v_add_f32_e32 v57, v3, v90
	v_fma_f32 v2, v2, v68, -v52
	v_mul_f32_e32 v3, v5, v54
	v_add_f32_e32 v2, 0, v2
	v_fma_f32 v3, v4, v69, -v3
	v_add_f32_e32 v2, v2, v3
	v_mul_f32_e32 v3, v7, v56
	v_fma_f32 v3, v6, v70, -v3
	v_add_f32_e32 v2, v2, v3
	v_mul_f32_e32 v3, v9, v58
	;; [unrolled: 3-line block ×9, first 2 shown]
	v_fma_f32 v3, v22, v78, -v3
	s_waitcnt vmcnt(13)
	v_mov_b32_e32 v14, v39
	v_add_f32_e32 v56, v2, v3
	v_mul_f32_e32 v2, v25, v66
	s_waitcnt lgkmcnt(1)
	v_pk_mul_f32 v[14:15], v[28:29], v[14:15] op_sel_hi:[1,0]
	v_mul_f32_e32 v55, v26, v67
	v_fmac_f32_e32 v53, v25, v79
	v_fma_f32 v52, v24, v79, -v2
	v_mul_f32_e32 v2, v27, v67
	s_waitcnt vmcnt(12)
	v_pk_fma_f32 v[16:17], v[28:29], v[38:39], v[14:15] op_sel:[0,0,1] op_sel_hi:[1,1,0] neg_lo:[0,0,1] neg_hi:[0,0,1]
	v_pk_fma_f32 v[14:15], v[28:29], v[38:39], v[14:15] op_sel:[0,0,1] op_sel_hi:[1,0,0]
	v_fmac_f32_e32 v55, v27, v80
	v_fma_f32 v54, v26, v80, -v2
	v_pk_add_f32 v[12:13], v[56:57], v[52:53]
	v_mov_b32_e32 v14, v37
	v_pk_add_f32 v[12:13], v[12:13], v[54:55]
	v_mov_b32_e32 v17, v15
	s_waitcnt lgkmcnt(0)
	v_pk_mul_f32 v[14:15], v[30:31], v[14:15] op_sel_hi:[1,0]
	v_pk_add_f32 v[12:13], v[12:13], v[16:17]
	v_pk_fma_f32 v[16:17], v[30:31], v[36:37], v[14:15] op_sel:[0,0,1] op_sel_hi:[1,1,0] neg_lo:[0,0,1] neg_hi:[0,0,1]
	v_pk_fma_f32 v[14:15], v[30:31], v[36:37], v[14:15] op_sel:[0,0,1] op_sel_hi:[1,0,0]
	s_waitcnt vmcnt(5)
	v_mov_b32_e32 v14, v47
	ds_read_b128 v[2:5], v1 offset:944
	ds_read_b128 v[6:9], v1 offset:960
	ds_read_b64 v[10:11], v1 offset:976
	v_mov_b32_e32 v17, v15
	v_pk_mul_f32 v[14:15], v[32:33], v[14:15] op_sel_hi:[1,0]
	v_pk_add_f32 v[12:13], v[12:13], v[16:17]
	s_waitcnt vmcnt(4)
	v_pk_fma_f32 v[16:17], v[32:33], v[46:47], v[14:15] op_sel:[0,0,1] op_sel_hi:[1,1,0] neg_lo:[0,0,1] neg_hi:[0,0,1]
	v_pk_fma_f32 v[14:15], v[32:33], v[46:47], v[14:15] op_sel:[0,0,1] op_sel_hi:[1,0,0]
	v_mov_b32_e32 v14, v45
	v_mov_b32_e32 v17, v15
	s_waitcnt lgkmcnt(2)
	v_pk_mul_f32 v[14:15], v[2:3], v[14:15] op_sel_hi:[1,0]
	v_pk_add_f32 v[12:13], v[12:13], v[16:17]
	v_pk_fma_f32 v[16:17], v[2:3], v[44:45], v[14:15] op_sel:[0,0,1] op_sel_hi:[1,1,0] neg_lo:[0,0,1] neg_hi:[0,0,1]
	v_pk_fma_f32 v[2:3], v[2:3], v[44:45], v[14:15] op_sel:[0,0,1] op_sel_hi:[1,0,0]
	v_mov_b32_e32 v17, v3
	v_pk_add_f32 v[2:3], v[12:13], v[16:17]
	v_mov_b32_e32 v12, v43
	v_pk_mul_f32 v[12:13], v[4:5], v[12:13] op_sel_hi:[1,0]
	v_pk_fma_f32 v[14:15], v[4:5], v[42:43], v[12:13] op_sel:[0,0,1] op_sel_hi:[1,1,0] neg_lo:[0,0,1] neg_hi:[0,0,1]
	v_pk_fma_f32 v[4:5], v[4:5], v[42:43], v[12:13] op_sel:[0,0,1] op_sel_hi:[1,0,0]
	v_mov_b32_e32 v4, v41
	v_mov_b32_e32 v15, v5
	s_waitcnt lgkmcnt(1)
	v_pk_mul_f32 v[4:5], v[6:7], v[4:5] op_sel_hi:[1,0]
	v_pk_fma_f32 v[12:13], v[6:7], v[40:41], v[4:5] op_sel:[0,0,1] op_sel_hi:[1,1,0] neg_lo:[0,0,1] neg_hi:[0,0,1]
	v_pk_fma_f32 v[4:5], v[6:7], v[40:41], v[4:5] op_sel:[0,0,1] op_sel_hi:[1,0,0]
	s_waitcnt vmcnt(1)
	v_mov_b32_e32 v4, v51
	v_mov_b32_e32 v13, v5
	v_pk_mul_f32 v[4:5], v[8:9], v[4:5] op_sel_hi:[1,0]
	s_waitcnt vmcnt(0)
	v_pk_fma_f32 v[6:7], v[8:9], v[50:51], v[4:5] op_sel:[0,0,1] op_sel_hi:[1,1,0] neg_lo:[0,0,1] neg_hi:[0,0,1]
	v_pk_fma_f32 v[4:5], v[8:9], v[50:51], v[4:5] op_sel:[0,0,1] op_sel_hi:[1,0,0]
	v_pk_add_f32 v[2:3], v[2:3], v[14:15]
	v_mov_b32_e32 v4, v49
	v_pk_add_f32 v[2:3], v[2:3], v[12:13]
	v_mov_b32_e32 v7, v5
	s_waitcnt lgkmcnt(0)
	v_pk_mul_f32 v[4:5], v[10:11], v[4:5] op_sel_hi:[1,0]
	v_pk_add_f32 v[2:3], v[2:3], v[6:7]
	v_pk_fma_f32 v[6:7], v[10:11], v[48:49], v[4:5] op_sel:[0,0,1] op_sel_hi:[1,1,0] neg_lo:[0,0,1] neg_hi:[0,0,1]
	v_pk_fma_f32 v[4:5], v[10:11], v[48:49], v[4:5] op_sel:[0,0,1] op_sel_hi:[1,0,0]
	v_mov_b32_e32 v7, v5
	v_pk_add_f32 v[2:3], v[2:3], v[6:7]
	v_pk_add_f32 v[2:3], v[34:35], v[2:3] neg_lo:[0,1] neg_hi:[0,1]
	buffer_store_dword v3, off, s[0:3], 0 offset:316
	buffer_store_dword v2, off, s[0:3], 0 offset:312
	s_and_saveexec_b64 s[4:5], vcc
	s_cbranch_execz .LBB60_303
; %bb.302:
	buffer_load_dword v2, off, s[0:3], 0 offset:304
	buffer_load_dword v3, off, s[0:3], 0 offset:308
	s_waitcnt vmcnt(0)
	ds_write_b64 v199, v[2:3]
	buffer_store_dword v1, off, s[0:3], 0 offset:304
	buffer_store_dword v1, off, s[0:3], 0 offset:308
.LBB60_303:
	s_or_b64 exec, exec, s[4:5]
	s_waitcnt lgkmcnt(0)
	; wave barrier
	s_waitcnt lgkmcnt(0)
	buffer_load_dword v52, off, s[0:3], 0 offset:316
	buffer_load_dword v54, off, s[0:3], 0 offset:324
	;; [unrolled: 1-line block ×30, first 2 shown]
	ds_read2_b64 v[2:5], v1 offset0:101 offset1:102
	ds_read2_b64 v[6:9], v1 offset0:103 offset1:104
	;; [unrolled: 1-line block ×6, first 2 shown]
	buffer_load_dword v37, off, s[0:3], 0 offset:428
	buffer_load_dword v36, off, s[0:3], 0 offset:424
	ds_read2_b64 v[26:29], v1 offset0:113 offset1:114
	ds_read2_b64 v[30:33], v1 offset0:115 offset1:116
	buffer_load_dword v39, off, s[0:3], 0 offset:460
	buffer_load_dword v38, off, s[0:3], 0 offset:456
	;; [unrolled: 1-line block ×14, first 2 shown]
	v_cmp_lt_u32_e32 vcc, 37, v0
	s_waitcnt vmcnt(45) lgkmcnt(7)
	v_mul_f32_e32 v55, v2, v52
	s_waitcnt vmcnt(44)
	v_mul_f32_e32 v57, v4, v54
	s_waitcnt vmcnt(43) lgkmcnt(6)
	v_mul_f32_e32 v83, v6, v56
	s_waitcnt vmcnt(42)
	v_mul_f32_e32 v84, v8, v58
	;; [unrolled: 4-line block ×6, first 2 shown]
	s_waitcnt vmcnt(33) lgkmcnt(1)
	v_mul_f32_e32 v53, v26, v67
	s_waitcnt vmcnt(32)
	v_fmac_f32_e32 v55, v3, v68
	v_mul_f32_e32 v3, v3, v52
	v_fma_f32 v2, v2, v68, -v3
	v_mul_f32_e32 v3, v5, v54
	v_add_f32_e32 v2, 0, v2
	s_waitcnt vmcnt(31)
	v_fma_f32 v3, v4, v69, -v3
	v_add_f32_e32 v2, v2, v3
	v_mul_f32_e32 v3, v7, v56
	s_waitcnt vmcnt(30)
	v_fma_f32 v3, v6, v70, -v3
	v_add_f32_e32 v2, v2, v3
	v_mul_f32_e32 v3, v9, v58
	;; [unrolled: 4-line block ×5, first 2 shown]
	s_waitcnt vmcnt(26)
	v_fma_f32 v3, v14, v74, -v3
	v_fmac_f32_e32 v57, v5, v69
	v_add_f32_e32 v55, 0, v55
	v_add_f32_e32 v2, v2, v3
	v_mul_f32_e32 v3, v17, v62
	v_fmac_f32_e32 v83, v7, v70
	v_add_f32_e32 v55, v55, v57
	s_waitcnt vmcnt(25)
	v_fma_f32 v3, v16, v75, -v3
	v_fmac_f32_e32 v84, v9, v71
	v_add_f32_e32 v55, v55, v83
	v_add_f32_e32 v2, v2, v3
	v_mul_f32_e32 v3, v19, v63
	v_fmac_f32_e32 v85, v11, v72
	v_add_f32_e32 v55, v55, v84
	;; [unrolled: 8-line block ×5, first 2 shown]
	s_waitcnt vmcnt(21)
	v_fma_f32 v3, v24, v79, -v3
	s_waitcnt vmcnt(15)
	v_mov_b32_e32 v16, v37
	v_fmac_f32_e32 v92, v25, v79
	v_add_f32_e32 v55, v55, v91
	v_add_f32_e32 v54, v2, v3
	v_mul_f32_e32 v2, v27, v67
	s_waitcnt lgkmcnt(0)
	v_pk_mul_f32 v[16:17], v[30:31], v[16:17] op_sel_hi:[1,0]
	v_fmac_f32_e32 v53, v27, v80
	v_add_f32_e32 v55, v55, v92
	v_mul_f32_e32 v57, v28, v81
	v_fma_f32 v52, v26, v80, -v2
	v_mul_f32_e32 v2, v29, v81
	s_waitcnt vmcnt(14)
	v_pk_fma_f32 v[18:19], v[30:31], v[36:37], v[16:17] op_sel:[0,0,1] op_sel_hi:[1,1,0] neg_lo:[0,0,1] neg_hi:[0,0,1]
	v_pk_fma_f32 v[16:17], v[30:31], v[36:37], v[16:17] op_sel:[0,0,1] op_sel_hi:[1,0,0]
	v_fmac_f32_e32 v57, v29, v82
	v_fma_f32 v56, v28, v82, -v2
	v_pk_add_f32 v[14:15], v[54:55], v[52:53]
	s_waitcnt vmcnt(7)
	v_mov_b32_e32 v16, v45
	ds_read2_b64 v[2:5], v1 offset0:117 offset1:118
	ds_read2_b64 v[6:9], v1 offset0:119 offset1:120
	;; [unrolled: 1-line block ×3, first 2 shown]
	v_pk_add_f32 v[14:15], v[14:15], v[56:57]
	v_mov_b32_e32 v19, v17
	v_pk_mul_f32 v[16:17], v[32:33], v[16:17] op_sel_hi:[1,0]
	v_pk_add_f32 v[14:15], v[14:15], v[18:19]
	s_waitcnt vmcnt(6)
	v_pk_fma_f32 v[18:19], v[32:33], v[44:45], v[16:17] op_sel:[0,0,1] op_sel_hi:[1,1,0] neg_lo:[0,0,1] neg_hi:[0,0,1]
	v_pk_fma_f32 v[16:17], v[32:33], v[44:45], v[16:17] op_sel:[0,0,1] op_sel_hi:[1,0,0]
	v_mov_b32_e32 v16, v43
	v_mov_b32_e32 v19, v17
	s_waitcnt lgkmcnt(2)
	v_pk_mul_f32 v[16:17], v[2:3], v[16:17] op_sel_hi:[1,0]
	v_pk_add_f32 v[14:15], v[14:15], v[18:19]
	v_pk_fma_f32 v[18:19], v[2:3], v[42:43], v[16:17] op_sel:[0,0,1] op_sel_hi:[1,1,0] neg_lo:[0,0,1] neg_hi:[0,0,1]
	v_pk_fma_f32 v[2:3], v[2:3], v[42:43], v[16:17] op_sel:[0,0,1] op_sel_hi:[1,0,0]
	v_mov_b32_e32 v19, v3
	v_pk_add_f32 v[2:3], v[14:15], v[18:19]
	v_mov_b32_e32 v14, v41
	v_pk_mul_f32 v[14:15], v[4:5], v[14:15] op_sel_hi:[1,0]
	v_pk_fma_f32 v[16:17], v[4:5], v[40:41], v[14:15] op_sel:[0,0,1] op_sel_hi:[1,1,0] neg_lo:[0,0,1] neg_hi:[0,0,1]
	v_pk_fma_f32 v[4:5], v[4:5], v[40:41], v[14:15] op_sel:[0,0,1] op_sel_hi:[1,0,0]
	v_mov_b32_e32 v4, v39
	v_mov_b32_e32 v17, v5
	s_waitcnt lgkmcnt(1)
	v_pk_mul_f32 v[4:5], v[6:7], v[4:5] op_sel_hi:[1,0]
	v_pk_fma_f32 v[14:15], v[6:7], v[38:39], v[4:5] op_sel:[0,0,1] op_sel_hi:[1,1,0] neg_lo:[0,0,1] neg_hi:[0,0,1]
	v_pk_fma_f32 v[4:5], v[6:7], v[38:39], v[4:5] op_sel:[0,0,1] op_sel_hi:[1,0,0]
	s_waitcnt vmcnt(1)
	v_mov_b32_e32 v4, v51
	v_mov_b32_e32 v15, v5
	v_pk_mul_f32 v[4:5], v[8:9], v[4:5] op_sel_hi:[1,0]
	s_waitcnt vmcnt(0)
	v_pk_fma_f32 v[6:7], v[8:9], v[50:51], v[4:5] op_sel:[0,0,1] op_sel_hi:[1,1,0] neg_lo:[0,0,1] neg_hi:[0,0,1]
	v_pk_fma_f32 v[4:5], v[8:9], v[50:51], v[4:5] op_sel:[0,0,1] op_sel_hi:[1,0,0]
	v_pk_add_f32 v[2:3], v[2:3], v[16:17]
	v_mov_b32_e32 v4, v49
	v_pk_add_f32 v[2:3], v[2:3], v[14:15]
	v_mov_b32_e32 v7, v5
	s_waitcnt lgkmcnt(0)
	v_pk_mul_f32 v[4:5], v[10:11], v[4:5] op_sel_hi:[1,0]
	v_pk_add_f32 v[2:3], v[2:3], v[6:7]
	v_pk_fma_f32 v[6:7], v[10:11], v[48:49], v[4:5] op_sel:[0,0,1] op_sel_hi:[1,1,0] neg_lo:[0,0,1] neg_hi:[0,0,1]
	v_pk_fma_f32 v[4:5], v[10:11], v[48:49], v[4:5] op_sel:[0,0,1] op_sel_hi:[1,0,0]
	v_mov_b32_e32 v4, v47
	v_mov_b32_e32 v7, v5
	v_pk_mul_f32 v[4:5], v[12:13], v[4:5] op_sel_hi:[1,0]
	v_pk_add_f32 v[2:3], v[2:3], v[6:7]
	v_pk_fma_f32 v[6:7], v[12:13], v[46:47], v[4:5] op_sel:[0,0,1] op_sel_hi:[1,1,0] neg_lo:[0,0,1] neg_hi:[0,0,1]
	v_pk_fma_f32 v[4:5], v[12:13], v[46:47], v[4:5] op_sel:[0,0,1] op_sel_hi:[1,0,0]
	v_mov_b32_e32 v7, v5
	v_pk_add_f32 v[2:3], v[2:3], v[6:7]
	v_pk_add_f32 v[2:3], v[34:35], v[2:3] neg_lo:[0,1] neg_hi:[0,1]
	buffer_store_dword v3, off, s[0:3], 0 offset:308
	buffer_store_dword v2, off, s[0:3], 0 offset:304
	s_and_saveexec_b64 s[4:5], vcc
	s_cbranch_execz .LBB60_305
; %bb.304:
	buffer_load_dword v2, off, s[0:3], 0 offset:296
	buffer_load_dword v3, off, s[0:3], 0 offset:300
	v_mov_b32_e32 v1, 0
	buffer_store_dword v1, off, s[0:3], 0 offset:296
	buffer_store_dword v1, off, s[0:3], 0 offset:300
	s_waitcnt vmcnt(2)
	ds_write_b64 v199, v[2:3]
.LBB60_305:
	s_or_b64 exec, exec, s[4:5]
	s_waitcnt lgkmcnt(0)
	; wave barrier
	s_waitcnt lgkmcnt(0)
	buffer_load_dword v50, off, s[0:3], 0 offset:308
	buffer_load_dword v54, off, s[0:3], 0 offset:316
	;; [unrolled: 1-line block ×32, first 2 shown]
	v_mov_b32_e32 v1, 0
	buffer_load_dword v37, off, s[0:3], 0 offset:452
	buffer_load_dword v36, off, s[0:3], 0 offset:448
	;; [unrolled: 1-line block ×13, first 2 shown]
	ds_read_b128 v[2:5], v1 offset:800
	ds_read_b128 v[6:9], v1 offset:816
	;; [unrolled: 1-line block ×8, first 2 shown]
	v_cmp_lt_u32_e32 vcc, 36, v0
	s_waitcnt vmcnt(44) lgkmcnt(7)
	v_mul_f32_e32 v44, v2, v50
	s_waitcnt vmcnt(43)
	v_mul_f32_e32 v51, v4, v54
	s_waitcnt vmcnt(42) lgkmcnt(6)
	v_mul_f32_e32 v52, v6, v56
	s_waitcnt vmcnt(41)
	v_mul_f32_e32 v53, v8, v58
	;; [unrolled: 4-line block ×6, first 2 shown]
	s_waitcnt vmcnt(32) lgkmcnt(1)
	v_mul_f32_e32 v91, v26, v67
	s_waitcnt vmcnt(31)
	v_fmac_f32_e32 v44, v3, v68
	s_waitcnt vmcnt(30)
	v_fmac_f32_e32 v51, v5, v69
	v_add_f32_e32 v44, 0, v44
	s_waitcnt vmcnt(29)
	v_fmac_f32_e32 v52, v7, v70
	v_add_f32_e32 v44, v44, v51
	;; [unrolled: 3-line block ×12, first 2 shown]
	v_add_f32_e32 v51, v44, v91
	buffer_load_dword v53, off, s[0:3], 0 offset:468
	buffer_load_dword v52, off, s[0:3], 0 offset:464
	;; [unrolled: 1-line block ×3, first 2 shown]
	v_mul_f32_e32 v3, v3, v50
	v_fma_f32 v2, v2, v68, -v3
	v_mul_f32_e32 v3, v5, v54
	v_add_f32_e32 v2, 0, v2
	v_fma_f32 v3, v4, v69, -v3
	v_add_f32_e32 v2, v2, v3
	v_mul_f32_e32 v3, v7, v56
	v_fma_f32 v3, v6, v70, -v3
	v_add_f32_e32 v2, v2, v3
	v_mul_f32_e32 v3, v9, v58
	;; [unrolled: 3-line block ×11, first 2 shown]
	v_fma_f32 v3, v26, v80, -v3
	v_add_f32_e32 v50, v2, v3
	s_waitcnt vmcnt(21)
	v_mul_f32_e32 v2, v29, v81
	s_waitcnt vmcnt(9)
	v_mov_b32_e32 v18, v43
	v_mul_f32_e32 v55, v28, v81
	v_fma_f32 v54, v28, v82, -v2
	s_waitcnt lgkmcnt(0)
	v_mul_f32_e32 v2, v31, v83
	v_pk_mul_f32 v[18:19], v[32:33], v[18:19] op_sel_hi:[1,0]
	v_fmac_f32_e32 v55, v29, v82
	v_mul_f32_e32 v57, v30, v83
	v_fma_f32 v56, v30, v84, -v2
	ds_read_b128 v[2:5], v1 offset:928
	ds_read_b128 v[6:9], v1 offset:944
	;; [unrolled: 1-line block ×3, first 2 shown]
	ds_read_b64 v[14:15], v1 offset:976
	s_waitcnt vmcnt(8)
	v_pk_fma_f32 v[20:21], v[32:33], v[42:43], v[18:19] op_sel:[0,0,1] op_sel_hi:[1,1,0] neg_lo:[0,0,1] neg_hi:[0,0,1]
	v_pk_fma_f32 v[18:19], v[32:33], v[42:43], v[18:19] op_sel:[0,0,1] op_sel_hi:[1,0,0]
	v_fmac_f32_e32 v57, v31, v84
	v_pk_add_f32 v[16:17], v[50:51], v[54:55]
	v_mov_b32_e32 v18, v41
	v_pk_add_f32 v[16:17], v[16:17], v[56:57]
	v_mov_b32_e32 v21, v19
	s_waitcnt lgkmcnt(3)
	v_pk_mul_f32 v[18:19], v[2:3], v[18:19] op_sel_hi:[1,0]
	v_pk_add_f32 v[16:17], v[16:17], v[20:21]
	v_pk_fma_f32 v[20:21], v[2:3], v[40:41], v[18:19] op_sel:[0,0,1] op_sel_hi:[1,1,0] neg_lo:[0,0,1] neg_hi:[0,0,1]
	v_pk_fma_f32 v[2:3], v[2:3], v[40:41], v[18:19] op_sel:[0,0,1] op_sel_hi:[1,0,0]
	v_mov_b32_e32 v21, v3
	v_pk_add_f32 v[2:3], v[16:17], v[20:21]
	v_mov_b32_e32 v16, v39
	v_pk_mul_f32 v[16:17], v[4:5], v[16:17] op_sel_hi:[1,0]
	v_pk_fma_f32 v[18:19], v[4:5], v[38:39], v[16:17] op_sel:[0,0,1] op_sel_hi:[1,1,0] neg_lo:[0,0,1] neg_hi:[0,0,1]
	v_pk_fma_f32 v[4:5], v[4:5], v[38:39], v[16:17] op_sel:[0,0,1] op_sel_hi:[1,0,0]
	v_mov_b32_e32 v4, v37
	v_mov_b32_e32 v19, v5
	s_waitcnt lgkmcnt(2)
	v_pk_mul_f32 v[4:5], v[6:7], v[4:5] op_sel_hi:[1,0]
	v_pk_fma_f32 v[16:17], v[6:7], v[36:37], v[4:5] op_sel:[0,0,1] op_sel_hi:[1,1,0] neg_lo:[0,0,1] neg_hi:[0,0,1]
	v_pk_fma_f32 v[4:5], v[6:7], v[36:37], v[4:5] op_sel:[0,0,1] op_sel_hi:[1,0,0]
	s_waitcnt vmcnt(7)
	v_mov_b32_e32 v4, v45
	v_mov_b32_e32 v17, v5
	v_pk_mul_f32 v[4:5], v[8:9], v[4:5] op_sel_hi:[1,0]
	v_pk_add_f32 v[2:3], v[2:3], v[18:19]
	v_pk_add_f32 v[2:3], v[2:3], v[16:17]
	s_waitcnt vmcnt(0)
	v_pk_fma_f32 v[6:7], v[8:9], v[44:45], v[4:5] op_sel:[0,0,1] op_sel_hi:[1,1,0] neg_lo:[0,0,1] neg_hi:[0,0,1]
	v_pk_fma_f32 v[4:5], v[8:9], v[44:45], v[4:5] op_sel:[0,0,1] op_sel_hi:[1,0,0]
	v_mov_b32_e32 v4, v53
	v_mov_b32_e32 v7, v5
	s_waitcnt lgkmcnt(1)
	v_pk_mul_f32 v[4:5], v[10:11], v[4:5] op_sel_hi:[1,0]
	v_pk_add_f32 v[2:3], v[2:3], v[6:7]
	v_pk_fma_f32 v[6:7], v[10:11], v[52:53], v[4:5] op_sel:[0,0,1] op_sel_hi:[1,1,0] neg_lo:[0,0,1] neg_hi:[0,0,1]
	v_pk_fma_f32 v[4:5], v[10:11], v[52:53], v[4:5] op_sel:[0,0,1] op_sel_hi:[1,0,0]
	v_mov_b32_e32 v4, v49
	v_mov_b32_e32 v7, v5
	v_pk_mul_f32 v[4:5], v[12:13], v[4:5] op_sel_hi:[1,0]
	v_pk_add_f32 v[2:3], v[2:3], v[6:7]
	v_pk_fma_f32 v[6:7], v[12:13], v[48:49], v[4:5] op_sel:[0,0,1] op_sel_hi:[1,1,0] neg_lo:[0,0,1] neg_hi:[0,0,1]
	v_pk_fma_f32 v[4:5], v[12:13], v[48:49], v[4:5] op_sel:[0,0,1] op_sel_hi:[1,0,0]
	v_mov_b32_e32 v4, v47
	v_mov_b32_e32 v7, v5
	s_waitcnt lgkmcnt(0)
	v_pk_mul_f32 v[4:5], v[14:15], v[4:5] op_sel_hi:[1,0]
	v_pk_add_f32 v[2:3], v[2:3], v[6:7]
	v_pk_fma_f32 v[6:7], v[14:15], v[46:47], v[4:5] op_sel:[0,0,1] op_sel_hi:[1,1,0] neg_lo:[0,0,1] neg_hi:[0,0,1]
	v_pk_fma_f32 v[4:5], v[14:15], v[46:47], v[4:5] op_sel:[0,0,1] op_sel_hi:[1,0,0]
	v_mov_b32_e32 v7, v5
	v_pk_add_f32 v[2:3], v[2:3], v[6:7]
	v_pk_add_f32 v[2:3], v[34:35], v[2:3] neg_lo:[0,1] neg_hi:[0,1]
	buffer_store_dword v3, off, s[0:3], 0 offset:300
	buffer_store_dword v2, off, s[0:3], 0 offset:296
	s_and_saveexec_b64 s[4:5], vcc
	s_cbranch_execz .LBB60_307
; %bb.306:
	buffer_load_dword v2, off, s[0:3], 0 offset:288
	buffer_load_dword v3, off, s[0:3], 0 offset:292
	s_waitcnt vmcnt(0)
	ds_write_b64 v199, v[2:3]
	buffer_store_dword v1, off, s[0:3], 0 offset:288
	buffer_store_dword v1, off, s[0:3], 0 offset:292
.LBB60_307:
	s_or_b64 exec, exec, s[4:5]
	s_waitcnt lgkmcnt(0)
	; wave barrier
	s_waitcnt lgkmcnt(0)
	buffer_load_dword v50, off, s[0:3], 0 offset:300
	buffer_load_dword v52, off, s[0:3], 0 offset:308
	;; [unrolled: 1-line block ×34, first 2 shown]
	ds_read2_b64 v[2:5], v1 offset0:99 offset1:100
	ds_read2_b64 v[6:9], v1 offset0:101 offset1:102
	;; [unrolled: 1-line block ×8, first 2 shown]
	buffer_load_dword v37, off, s[0:3], 0 offset:444
	buffer_load_dword v36, off, s[0:3], 0 offset:440
	;; [unrolled: 1-line block ×9, first 2 shown]
	v_cmp_lt_u32_e32 vcc, 35, v0
	s_waitcnt vmcnt(42) lgkmcnt(7)
	v_mul_f32_e32 v42, v2, v50
	s_waitcnt vmcnt(41)
	v_mul_f32_e32 v46, v4, v52
	s_waitcnt vmcnt(40) lgkmcnt(6)
	v_mul_f32_e32 v47, v6, v54
	s_waitcnt vmcnt(39)
	v_mul_f32_e32 v48, v8, v58
	;; [unrolled: 4-line block ×7, first 2 shown]
	s_waitcnt vmcnt(28)
	v_fmac_f32_e32 v42, v3, v69
	s_waitcnt vmcnt(27)
	v_fmac_f32_e32 v46, v5, v70
	v_add_f32_e32 v42, 0, v42
	s_waitcnt vmcnt(26)
	v_fmac_f32_e32 v47, v7, v71
	v_add_f32_e32 v42, v42, v46
	s_waitcnt vmcnt(25)
	v_fmac_f32_e32 v48, v9, v72
	v_add_f32_e32 v42, v42, v47
	s_waitcnt vmcnt(24)
	v_fmac_f32_e32 v49, v11, v73
	v_add_f32_e32 v42, v42, v48
	s_waitcnt vmcnt(23)
	v_fmac_f32_e32 v51, v13, v74
	v_add_f32_e32 v42, v42, v49
	s_waitcnt vmcnt(22)
	v_fmac_f32_e32 v53, v15, v75
	v_add_f32_e32 v42, v42, v51
	s_waitcnt vmcnt(21)
	v_fmac_f32_e32 v55, v17, v76
	v_add_f32_e32 v42, v42, v53
	s_waitcnt vmcnt(20)
	v_fmac_f32_e32 v56, v19, v77
	v_add_f32_e32 v42, v42, v55
	s_waitcnt vmcnt(19)
	v_fmac_f32_e32 v57, v21, v78
	v_add_f32_e32 v42, v42, v56
	s_waitcnt vmcnt(18)
	v_fmac_f32_e32 v87, v23, v79
	v_add_f32_e32 v42, v42, v57
	s_waitcnt vmcnt(17)
	v_fmac_f32_e32 v88, v25, v80
	v_add_f32_e32 v42, v42, v87
	s_waitcnt vmcnt(16)
	v_fmac_f32_e32 v89, v27, v81
	v_add_f32_e32 v42, v42, v88
	v_add_f32_e32 v51, v42, v89
	buffer_load_dword v47, off, s[0:3], 0 offset:468
	buffer_load_dword v46, off, s[0:3], 0 offset:464
	buffer_load_dword v49, off, s[0:3], 0 offset:460
	buffer_load_dword v48, off, s[0:3], 0 offset:456
	buffer_load_dword v42, off, s[0:3], 0 offset:448
	buffer_load_dword v57, off, s[0:3], 0 offset:484
	buffer_load_dword v56, off, s[0:3], 0 offset:480
	v_mul_f32_e32 v3, v3, v50
	v_fma_f32 v2, v2, v69, -v3
	v_mul_f32_e32 v3, v5, v52
	v_add_f32_e32 v2, 0, v2
	v_fma_f32 v3, v4, v70, -v3
	v_add_f32_e32 v2, v2, v3
	v_mul_f32_e32 v3, v7, v54
	v_fma_f32 v3, v6, v71, -v3
	v_add_f32_e32 v2, v2, v3
	v_mul_f32_e32 v3, v9, v58
	;; [unrolled: 3-line block ×12, first 2 shown]
	s_waitcnt vmcnt(22)
	v_fma_f32 v3, v28, v82, -v3
	v_add_f32_e32 v50, v2, v3
	s_waitcnt vmcnt(21) lgkmcnt(0)
	v_mul_f32_e32 v2, v31, v83
	s_waitcnt vmcnt(20)
	v_fma_f32 v52, v30, v84, -v2
	s_waitcnt vmcnt(19)
	v_mul_f32_e32 v2, v33, v85
	s_waitcnt vmcnt(18)
	v_fma_f32 v54, v32, v86, -v2
	ds_read2_b64 v[2:5], v1 offset0:115 offset1:116
	ds_read2_b64 v[6:9], v1 offset0:117 offset1:118
	;; [unrolled: 1-line block ×4, first 2 shown]
	v_fmac_f32_e32 v90, v29, v82
	v_mul_f32_e32 v53, v30, v83
	s_waitcnt vmcnt(11)
	v_mov_b32_e32 v20, v41
	v_add_f32_e32 v51, v51, v90
	v_fmac_f32_e32 v53, v31, v84
	v_mul_f32_e32 v55, v32, v85
	s_waitcnt lgkmcnt(3)
	v_pk_mul_f32 v[20:21], v[2:3], v[20:21] op_sel_hi:[1,0]
	v_fmac_f32_e32 v55, v33, v86
	v_pk_add_f32 v[18:19], v[50:51], v[52:53]
	s_waitcnt vmcnt(10)
	v_pk_fma_f32 v[22:23], v[2:3], v[40:41], v[20:21] op_sel:[0,0,1] op_sel_hi:[1,1,0] neg_lo:[0,0,1] neg_hi:[0,0,1]
	v_pk_fma_f32 v[2:3], v[2:3], v[40:41], v[20:21] op_sel:[0,0,1] op_sel_hi:[1,0,0]
	v_pk_add_f32 v[18:19], v[18:19], v[54:55]
	v_mov_b32_e32 v23, v3
	v_pk_add_f32 v[2:3], v[18:19], v[22:23]
	v_mov_b32_e32 v18, v39
	v_pk_mul_f32 v[18:19], v[4:5], v[18:19] op_sel_hi:[1,0]
	v_pk_fma_f32 v[20:21], v[4:5], v[38:39], v[18:19] op_sel:[0,0,1] op_sel_hi:[1,1,0] neg_lo:[0,0,1] neg_hi:[0,0,1]
	v_pk_fma_f32 v[4:5], v[4:5], v[38:39], v[18:19] op_sel:[0,0,1] op_sel_hi:[1,0,0]
	v_mov_b32_e32 v4, v37
	v_mov_b32_e32 v21, v5
	s_waitcnt lgkmcnt(2)
	v_pk_mul_f32 v[4:5], v[6:7], v[4:5] op_sel_hi:[1,0]
	v_pk_fma_f32 v[18:19], v[6:7], v[36:37], v[4:5] op_sel:[0,0,1] op_sel_hi:[1,1,0] neg_lo:[0,0,1] neg_hi:[0,0,1]
	v_pk_fma_f32 v[4:5], v[6:7], v[36:37], v[4:5] op_sel:[0,0,1] op_sel_hi:[1,0,0]
	s_waitcnt vmcnt(9)
	v_mov_b32_e32 v4, v43
	v_mov_b32_e32 v19, v5
	v_pk_mul_f32 v[4:5], v[8:9], v[4:5] op_sel_hi:[1,0]
	v_pk_add_f32 v[2:3], v[2:3], v[20:21]
	v_pk_add_f32 v[2:3], v[2:3], v[18:19]
	s_waitcnt vmcnt(2)
	v_pk_fma_f32 v[6:7], v[8:9], v[42:43], v[4:5] op_sel:[0,0,1] op_sel_hi:[1,1,0] neg_lo:[0,0,1] neg_hi:[0,0,1]
	v_pk_fma_f32 v[4:5], v[8:9], v[42:43], v[4:5] op_sel:[0,0,1] op_sel_hi:[1,0,0]
	v_mov_b32_e32 v4, v49
	v_mov_b32_e32 v7, v5
	s_waitcnt lgkmcnt(1)
	v_pk_mul_f32 v[4:5], v[10:11], v[4:5] op_sel_hi:[1,0]
	v_pk_add_f32 v[2:3], v[2:3], v[6:7]
	v_pk_fma_f32 v[6:7], v[10:11], v[48:49], v[4:5] op_sel:[0,0,1] op_sel_hi:[1,1,0] neg_lo:[0,0,1] neg_hi:[0,0,1]
	v_pk_fma_f32 v[4:5], v[10:11], v[48:49], v[4:5] op_sel:[0,0,1] op_sel_hi:[1,0,0]
	v_mov_b32_e32 v4, v47
	v_mov_b32_e32 v7, v5
	v_pk_mul_f32 v[4:5], v[12:13], v[4:5] op_sel_hi:[1,0]
	v_pk_add_f32 v[2:3], v[2:3], v[6:7]
	v_pk_fma_f32 v[6:7], v[12:13], v[46:47], v[4:5] op_sel:[0,0,1] op_sel_hi:[1,1,0] neg_lo:[0,0,1] neg_hi:[0,0,1]
	v_pk_fma_f32 v[4:5], v[12:13], v[46:47], v[4:5] op_sel:[0,0,1] op_sel_hi:[1,0,0]
	v_mov_b32_e32 v4, v45
	v_mov_b32_e32 v7, v5
	s_waitcnt lgkmcnt(0)
	v_pk_mul_f32 v[4:5], v[14:15], v[4:5] op_sel_hi:[1,0]
	v_pk_add_f32 v[2:3], v[2:3], v[6:7]
	v_pk_fma_f32 v[6:7], v[14:15], v[44:45], v[4:5] op_sel:[0,0,1] op_sel_hi:[1,1,0] neg_lo:[0,0,1] neg_hi:[0,0,1]
	v_pk_fma_f32 v[4:5], v[14:15], v[44:45], v[4:5] op_sel:[0,0,1] op_sel_hi:[1,0,0]
	s_waitcnt vmcnt(1)
	v_mov_b32_e32 v4, v57
	v_mov_b32_e32 v7, v5
	v_pk_mul_f32 v[4:5], v[16:17], v[4:5] op_sel_hi:[1,0]
	v_pk_add_f32 v[2:3], v[2:3], v[6:7]
	s_waitcnt vmcnt(0)
	v_pk_fma_f32 v[6:7], v[16:17], v[56:57], v[4:5] op_sel:[0,0,1] op_sel_hi:[1,1,0] neg_lo:[0,0,1] neg_hi:[0,0,1]
	v_pk_fma_f32 v[4:5], v[16:17], v[56:57], v[4:5] op_sel:[0,0,1] op_sel_hi:[1,0,0]
	v_mov_b32_e32 v7, v5
	v_pk_add_f32 v[2:3], v[2:3], v[6:7]
	v_pk_add_f32 v[2:3], v[34:35], v[2:3] neg_lo:[0,1] neg_hi:[0,1]
	buffer_store_dword v3, off, s[0:3], 0 offset:292
	buffer_store_dword v2, off, s[0:3], 0 offset:288
	s_and_saveexec_b64 s[4:5], vcc
	s_cbranch_execz .LBB60_309
; %bb.308:
	buffer_load_dword v2, off, s[0:3], 0 offset:280
	buffer_load_dword v3, off, s[0:3], 0 offset:284
	v_mov_b32_e32 v1, 0
	buffer_store_dword v1, off, s[0:3], 0 offset:280
	buffer_store_dword v1, off, s[0:3], 0 offset:284
	s_waitcnt vmcnt(2)
	ds_write_b64 v199, v[2:3]
.LBB60_309:
	s_or_b64 exec, exec, s[4:5]
	s_waitcnt lgkmcnt(0)
	; wave barrier
	s_waitcnt lgkmcnt(0)
	buffer_load_dword v56, off, s[0:3], 0 offset:292
	buffer_load_dword v58, off, s[0:3], 0 offset:300
	buffer_load_dword v60, off, s[0:3], 0 offset:308
	buffer_load_dword v66, off, s[0:3], 0 offset:316
	buffer_load_dword v67, off, s[0:3], 0 offset:324
	buffer_load_dword v68, off, s[0:3], 0 offset:332
	buffer_load_dword v69, off, s[0:3], 0 offset:340
	buffer_load_dword v70, off, s[0:3], 0 offset:348
	buffer_load_dword v71, off, s[0:3], 0 offset:356
	buffer_load_dword v72, off, s[0:3], 0 offset:364
	buffer_load_dword v73, off, s[0:3], 0 offset:372
	buffer_load_dword v74, off, s[0:3], 0 offset:380
	buffer_load_dword v75, off, s[0:3], 0 offset:388
	buffer_load_dword v76, off, s[0:3], 0 offset:396
	buffer_load_dword v77, off, s[0:3], 0 offset:404
	buffer_load_dword v78, off, s[0:3], 0 offset:288
	buffer_load_dword v79, off, s[0:3], 0 offset:296
	buffer_load_dword v80, off, s[0:3], 0 offset:304
	buffer_load_dword v81, off, s[0:3], 0 offset:312
	buffer_load_dword v82, off, s[0:3], 0 offset:320
	buffer_load_dword v83, off, s[0:3], 0 offset:328
	buffer_load_dword v84, off, s[0:3], 0 offset:336
	buffer_load_dword v85, off, s[0:3], 0 offset:344
	buffer_load_dword v86, off, s[0:3], 0 offset:352
	buffer_load_dword v87, off, s[0:3], 0 offset:360
	buffer_load_dword v88, off, s[0:3], 0 offset:368
	buffer_load_dword v89, off, s[0:3], 0 offset:376
	buffer_load_dword v90, off, s[0:3], 0 offset:384
	buffer_load_dword v91, off, s[0:3], 0 offset:392
	buffer_load_dword v92, off, s[0:3], 0 offset:400
	buffer_load_dword v93, off, s[0:3], 0 offset:412
	buffer_load_dword v94, off, s[0:3], 0 offset:408
	buffer_load_dword v95, off, s[0:3], 0 offset:420
	buffer_load_dword v96, off, s[0:3], 0 offset:416
	buffer_load_dword v2, off, s[0:3], 0 offset:280
	buffer_load_dword v3, off, s[0:3], 0 offset:284
	v_mov_b32_e32 v1, 0
	buffer_load_dword v45, off, s[0:3], 0 offset:436
	buffer_load_dword v44, off, s[0:3], 0 offset:432
	;; [unrolled: 1-line block ×5, first 2 shown]
	ds_read_b128 v[4:7], v1 offset:784
	ds_read_b128 v[8:11], v1 offset:800
	;; [unrolled: 1-line block ×8, first 2 shown]
	v_cmp_lt_u32_e32 vcc, 34, v0
	s_waitcnt vmcnt(40) lgkmcnt(7)
	v_mul_f32_e32 v36, v4, v56
	s_waitcnt vmcnt(39)
	v_mul_f32_e32 v37, v6, v58
	s_waitcnt vmcnt(38) lgkmcnt(6)
	v_mul_f32_e32 v38, v8, v60
	s_waitcnt vmcnt(37)
	v_mul_f32_e32 v39, v10, v66
	s_waitcnt vmcnt(36) lgkmcnt(5)
	v_mul_f32_e32 v40, v12, v67
	s_waitcnt vmcnt(35)
	v_mul_f32_e32 v41, v14, v68
	s_waitcnt vmcnt(34) lgkmcnt(4)
	v_mul_f32_e32 v42, v16, v69
	s_waitcnt vmcnt(33)
	v_mul_f32_e32 v43, v18, v70
	s_waitcnt vmcnt(32) lgkmcnt(3)
	v_mul_f32_e32 v48, v20, v71
	s_waitcnt vmcnt(31)
	v_mul_f32_e32 v50, v22, v72
	s_waitcnt vmcnt(30) lgkmcnt(2)
	v_mul_f32_e32 v51, v24, v73
	s_waitcnt vmcnt(29)
	v_mul_f32_e32 v52, v26, v74
	s_waitcnt vmcnt(28) lgkmcnt(1)
	v_mul_f32_e32 v53, v28, v75
	s_waitcnt vmcnt(27)
	v_mul_f32_e32 v54, v30, v76
	s_waitcnt vmcnt(26) lgkmcnt(0)
	v_mul_f32_e32 v57, v32, v77
	s_waitcnt vmcnt(25)
	v_fmac_f32_e32 v36, v5, v78
	s_waitcnt vmcnt(24)
	v_fmac_f32_e32 v37, v7, v79
	v_add_f32_e32 v36, 0, v36
	s_waitcnt vmcnt(23)
	v_fmac_f32_e32 v38, v9, v80
	v_add_f32_e32 v36, v36, v37
	;; [unrolled: 3-line block ×13, first 2 shown]
	v_add_f32_e32 v40, v36, v54
	buffer_load_dword v51, off, s[0:3], 0 offset:468
	buffer_load_dword v50, off, s[0:3], 0 offset:464
	;; [unrolled: 1-line block ×7, first 2 shown]
	s_waitcnt vmcnt(18)
	v_fmac_f32_e32 v57, v33, v92
	ds_read_b128 v[36:39], v1 offset:912
	v_add_f32_e32 v57, v40, v57
	ds_read_b128 v[40:43], v1 offset:928
	buffer_load_dword v63, off, s[0:3], 0 offset:484
	buffer_load_dword v62, off, s[0:3], 0 offset:480
	;; [unrolled: 1-line block ×4, first 2 shown]
	v_mul_f32_e32 v5, v5, v56
	v_fma_f32 v4, v4, v78, -v5
	v_mul_f32_e32 v5, v7, v58
	v_add_f32_e32 v4, 0, v4
	v_fma_f32 v5, v6, v79, -v5
	v_add_f32_e32 v4, v4, v5
	v_mul_f32_e32 v5, v9, v60
	v_fma_f32 v5, v8, v80, -v5
	v_add_f32_e32 v4, v4, v5
	v_mul_f32_e32 v5, v11, v66
	;; [unrolled: 3-line block ×13, first 2 shown]
	v_fma_f32 v5, v32, v92, -v5
	s_waitcnt vmcnt(13)
	v_mov_b32_e32 v16, v47
	v_mul_f32_e32 v59, v34, v93
	v_add_f32_e32 v56, v4, v5
	v_mul_f32_e32 v4, v35, v93
	s_waitcnt lgkmcnt(1)
	v_pk_mul_f32 v[16:17], v[38:39], v[16:17] op_sel_hi:[1,0]
	v_fmac_f32_e32 v59, v35, v94
	v_mul_f32_e32 v61, v36, v95
	v_fma_f32 v58, v34, v94, -v4
	v_mul_f32_e32 v4, v37, v95
	s_waitcnt vmcnt(12)
	v_pk_fma_f32 v[18:19], v[38:39], v[46:47], v[16:17] op_sel:[0,0,1] op_sel_hi:[1,1,0] neg_lo:[0,0,1] neg_hi:[0,0,1]
	v_pk_fma_f32 v[16:17], v[38:39], v[46:47], v[16:17] op_sel:[0,0,1] op_sel_hi:[1,0,0]
	v_fmac_f32_e32 v61, v37, v96
	v_fma_f32 v60, v36, v96, -v4
	v_pk_add_f32 v[14:15], v[56:57], v[58:59]
	v_mov_b32_e32 v16, v45
	v_pk_add_f32 v[14:15], v[14:15], v[60:61]
	v_mov_b32_e32 v19, v17
	s_waitcnt lgkmcnt(0)
	v_pk_mul_f32 v[16:17], v[40:41], v[16:17] op_sel_hi:[1,0]
	v_pk_add_f32 v[14:15], v[14:15], v[18:19]
	v_pk_fma_f32 v[18:19], v[40:41], v[44:45], v[16:17] op_sel:[0,0,1] op_sel_hi:[1,1,0] neg_lo:[0,0,1] neg_hi:[0,0,1]
	v_pk_fma_f32 v[16:17], v[40:41], v[44:45], v[16:17] op_sel:[0,0,1] op_sel_hi:[1,0,0]
	s_waitcnt vmcnt(11)
	v_mov_b32_e32 v16, v49
	ds_read_b128 v[4:7], v1 offset:944
	ds_read_b128 v[8:11], v1 offset:960
	ds_read_b64 v[12:13], v1 offset:976
	v_mov_b32_e32 v19, v17
	v_pk_mul_f32 v[16:17], v[42:43], v[16:17] op_sel_hi:[1,0]
	v_pk_add_f32 v[14:15], v[14:15], v[18:19]
	s_waitcnt vmcnt(4)
	v_pk_fma_f32 v[18:19], v[42:43], v[48:49], v[16:17] op_sel:[0,0,1] op_sel_hi:[1,1,0] neg_lo:[0,0,1] neg_hi:[0,0,1]
	v_pk_fma_f32 v[16:17], v[42:43], v[48:49], v[16:17] op_sel:[0,0,1] op_sel_hi:[1,0,0]
	v_mov_b32_e32 v16, v55
	v_mov_b32_e32 v19, v17
	s_waitcnt lgkmcnt(2)
	v_pk_mul_f32 v[16:17], v[4:5], v[16:17] op_sel_hi:[1,0]
	v_pk_add_f32 v[14:15], v[14:15], v[18:19]
	v_pk_fma_f32 v[18:19], v[4:5], v[54:55], v[16:17] op_sel:[0,0,1] op_sel_hi:[1,1,0] neg_lo:[0,0,1] neg_hi:[0,0,1]
	v_pk_fma_f32 v[4:5], v[4:5], v[54:55], v[16:17] op_sel:[0,0,1] op_sel_hi:[1,0,0]
	v_mov_b32_e32 v19, v5
	v_pk_add_f32 v[4:5], v[14:15], v[18:19]
	v_mov_b32_e32 v14, v53
	v_pk_mul_f32 v[14:15], v[6:7], v[14:15] op_sel_hi:[1,0]
	v_pk_fma_f32 v[16:17], v[6:7], v[52:53], v[14:15] op_sel:[0,0,1] op_sel_hi:[1,1,0] neg_lo:[0,0,1] neg_hi:[0,0,1]
	v_pk_fma_f32 v[6:7], v[6:7], v[52:53], v[14:15] op_sel:[0,0,1] op_sel_hi:[1,0,0]
	v_mov_b32_e32 v6, v51
	v_mov_b32_e32 v17, v7
	s_waitcnt lgkmcnt(1)
	v_pk_mul_f32 v[6:7], v[8:9], v[6:7] op_sel_hi:[1,0]
	v_pk_fma_f32 v[14:15], v[8:9], v[50:51], v[6:7] op_sel:[0,0,1] op_sel_hi:[1,1,0] neg_lo:[0,0,1] neg_hi:[0,0,1]
	v_pk_fma_f32 v[6:7], v[8:9], v[50:51], v[6:7] op_sel:[0,0,1] op_sel_hi:[1,0,0]
	s_waitcnt vmcnt(1)
	v_mov_b32_e32 v6, v65
	v_mov_b32_e32 v15, v7
	v_pk_mul_f32 v[6:7], v[10:11], v[6:7] op_sel_hi:[1,0]
	s_waitcnt vmcnt(0)
	v_pk_fma_f32 v[8:9], v[10:11], v[64:65], v[6:7] op_sel:[0,0,1] op_sel_hi:[1,1,0] neg_lo:[0,0,1] neg_hi:[0,0,1]
	v_pk_fma_f32 v[6:7], v[10:11], v[64:65], v[6:7] op_sel:[0,0,1] op_sel_hi:[1,0,0]
	v_pk_add_f32 v[4:5], v[4:5], v[16:17]
	v_mov_b32_e32 v6, v63
	v_pk_add_f32 v[4:5], v[4:5], v[14:15]
	v_mov_b32_e32 v9, v7
	s_waitcnt lgkmcnt(0)
	v_pk_mul_f32 v[6:7], v[12:13], v[6:7] op_sel_hi:[1,0]
	v_pk_add_f32 v[4:5], v[4:5], v[8:9]
	v_pk_fma_f32 v[8:9], v[12:13], v[62:63], v[6:7] op_sel:[0,0,1] op_sel_hi:[1,1,0] neg_lo:[0,0,1] neg_hi:[0,0,1]
	v_pk_fma_f32 v[6:7], v[12:13], v[62:63], v[6:7] op_sel:[0,0,1] op_sel_hi:[1,0,0]
	v_mov_b32_e32 v9, v7
	v_pk_add_f32 v[4:5], v[4:5], v[8:9]
	v_pk_add_f32 v[2:3], v[2:3], v[4:5] neg_lo:[0,1] neg_hi:[0,1]
	buffer_store_dword v3, off, s[0:3], 0 offset:284
	buffer_store_dword v2, off, s[0:3], 0 offset:280
	s_and_saveexec_b64 s[4:5], vcc
	s_cbranch_execz .LBB60_311
; %bb.310:
	buffer_load_dword v2, off, s[0:3], 0 offset:272
	buffer_load_dword v3, off, s[0:3], 0 offset:276
	s_waitcnt vmcnt(0)
	ds_write_b64 v199, v[2:3]
	buffer_store_dword v1, off, s[0:3], 0 offset:272
	buffer_store_dword v1, off, s[0:3], 0 offset:276
.LBB60_311:
	s_or_b64 exec, exec, s[4:5]
	s_waitcnt lgkmcnt(0)
	; wave barrier
	s_waitcnt lgkmcnt(0)
	buffer_load_dword v54, off, s[0:3], 0 offset:284
	buffer_load_dword v56, off, s[0:3], 0 offset:292
	;; [unrolled: 1-line block ×38, first 2 shown]
	ds_read2_b64 v[2:5], v1 offset0:97 offset1:98
	ds_read2_b64 v[6:9], v1 offset0:99 offset1:100
	;; [unrolled: 1-line block ×8, first 2 shown]
	buffer_load_dword v45, off, s[0:3], 0 offset:428
	buffer_load_dword v44, off, s[0:3], 0 offset:424
	;; [unrolled: 1-line block ×4, first 2 shown]
	v_cmp_lt_u32_e32 vcc, 33, v0
	s_waitcnt vmcnt(41) lgkmcnt(7)
	v_mul_f32_e32 v34, v2, v54
	s_waitcnt vmcnt(40)
	v_mul_f32_e32 v35, v4, v56
	s_waitcnt vmcnt(39) lgkmcnt(6)
	v_mul_f32_e32 v36, v6, v58
	s_waitcnt vmcnt(38)
	v_mul_f32_e32 v37, v8, v66
	;; [unrolled: 4-line block ×7, first 2 shown]
	s_waitcnt vmcnt(27) lgkmcnt(0)
	v_mul_f32_e32 v55, v30, v77
	s_waitcnt vmcnt(26)
	v_fmac_f32_e32 v34, v3, v78
	s_waitcnt vmcnt(25)
	v_fmac_f32_e32 v35, v5, v79
	v_add_f32_e32 v34, 0, v34
	s_waitcnt vmcnt(24)
	v_fmac_f32_e32 v36, v7, v80
	v_add_f32_e32 v34, v34, v35
	;; [unrolled: 3-line block ×13, first 2 shown]
	v_add_f32_e32 v34, v34, v53
	buffer_load_dword v49, off, s[0:3], 0 offset:452
	buffer_load_dword v48, off, s[0:3], 0 offset:448
	;; [unrolled: 1-line block ×6, first 2 shown]
	s_waitcnt vmcnt(18)
	v_fmac_f32_e32 v55, v31, v92
	s_waitcnt vmcnt(17)
	v_mul_f32_e32 v39, v32, v93
	v_add_f32_e32 v38, v34, v55
	s_waitcnt vmcnt(16)
	v_fmac_f32_e32 v39, v33, v94
	ds_read2_b64 v[34:37], v1 offset0:113 offset1:114
	v_add_f32_e32 v55, v38, v39
	ds_read2_b64 v[38:41], v1 offset0:115 offset1:116
	buffer_load_dword v61, off, s[0:3], 0 offset:484
	buffer_load_dword v60, off, s[0:3], 0 offset:480
	;; [unrolled: 1-line block ×6, first 2 shown]
	v_mul_f32_e32 v3, v3, v54
	v_fma_f32 v2, v2, v78, -v3
	v_mul_f32_e32 v3, v5, v56
	v_add_f32_e32 v2, 0, v2
	v_fma_f32 v3, v4, v79, -v3
	v_add_f32_e32 v2, v2, v3
	v_mul_f32_e32 v3, v7, v58
	v_fma_f32 v3, v6, v80, -v3
	v_add_f32_e32 v2, v2, v3
	v_mul_f32_e32 v3, v9, v66
	;; [unrolled: 3-line block ×14, first 2 shown]
	v_fma_f32 v3, v32, v94, -v3
	s_waitcnt vmcnt(15)
	v_mov_b32_e32 v16, v45
	s_waitcnt lgkmcnt(1)
	v_mul_f32_e32 v57, v34, v95
	v_add_f32_e32 v54, v2, v3
	v_mul_f32_e32 v2, v35, v95
	s_waitcnt lgkmcnt(0)
	v_pk_mul_f32 v[16:17], v[38:39], v[16:17] op_sel_hi:[1,0]
	v_fmac_f32_e32 v57, v35, v96
	v_mul_f32_e32 v59, v36, v97
	v_fma_f32 v56, v34, v96, -v2
	v_mul_f32_e32 v2, v37, v97
	s_waitcnt vmcnt(14)
	v_pk_fma_f32 v[18:19], v[38:39], v[44:45], v[16:17] op_sel:[0,0,1] op_sel_hi:[1,1,0] neg_lo:[0,0,1] neg_hi:[0,0,1]
	v_pk_fma_f32 v[16:17], v[38:39], v[44:45], v[16:17] op_sel:[0,0,1] op_sel_hi:[1,0,0]
	v_fmac_f32_e32 v59, v37, v98
	v_fma_f32 v58, v36, v98, -v2
	v_pk_add_f32 v[14:15], v[54:55], v[56:57]
	ds_read2_b64 v[2:5], v1 offset0:117 offset1:118
	ds_read2_b64 v[6:9], v1 offset0:119 offset1:120
	;; [unrolled: 1-line block ×3, first 2 shown]
	v_pk_add_f32 v[14:15], v[14:15], v[58:59]
	v_mov_b32_e32 v19, v17
	v_pk_add_f32 v[14:15], v[14:15], v[18:19]
	s_waitcnt vmcnt(7)
	v_mov_b32_e32 v16, v53
	v_pk_mul_f32 v[16:17], v[40:41], v[16:17] op_sel_hi:[1,0]
	s_waitcnt vmcnt(6)
	v_pk_fma_f32 v[18:19], v[40:41], v[52:53], v[16:17] op_sel:[0,0,1] op_sel_hi:[1,1,0] neg_lo:[0,0,1] neg_hi:[0,0,1]
	v_pk_fma_f32 v[16:17], v[40:41], v[52:53], v[16:17] op_sel:[0,0,1] op_sel_hi:[1,0,0]
	v_mov_b32_e32 v16, v51
	v_mov_b32_e32 v19, v17
	s_waitcnt lgkmcnt(2)
	v_pk_mul_f32 v[16:17], v[2:3], v[16:17] op_sel_hi:[1,0]
	v_pk_add_f32 v[14:15], v[14:15], v[18:19]
	v_pk_fma_f32 v[18:19], v[2:3], v[50:51], v[16:17] op_sel:[0,0,1] op_sel_hi:[1,1,0] neg_lo:[0,0,1] neg_hi:[0,0,1]
	v_pk_fma_f32 v[2:3], v[2:3], v[50:51], v[16:17] op_sel:[0,0,1] op_sel_hi:[1,0,0]
	v_mov_b32_e32 v19, v3
	v_pk_add_f32 v[2:3], v[14:15], v[18:19]
	v_mov_b32_e32 v14, v49
	v_pk_mul_f32 v[14:15], v[4:5], v[14:15] op_sel_hi:[1,0]
	v_pk_fma_f32 v[16:17], v[4:5], v[48:49], v[14:15] op_sel:[0,0,1] op_sel_hi:[1,1,0] neg_lo:[0,0,1] neg_hi:[0,0,1]
	v_pk_fma_f32 v[4:5], v[4:5], v[48:49], v[14:15] op_sel:[0,0,1] op_sel_hi:[1,0,0]
	v_mov_b32_e32 v4, v47
	v_mov_b32_e32 v17, v5
	s_waitcnt lgkmcnt(1)
	v_pk_mul_f32 v[4:5], v[6:7], v[4:5] op_sel_hi:[1,0]
	v_pk_fma_f32 v[14:15], v[6:7], v[46:47], v[4:5] op_sel:[0,0,1] op_sel_hi:[1,1,0] neg_lo:[0,0,1] neg_hi:[0,0,1]
	v_pk_fma_f32 v[4:5], v[6:7], v[46:47], v[4:5] op_sel:[0,0,1] op_sel_hi:[1,0,0]
	s_waitcnt vmcnt(1)
	v_mov_b32_e32 v4, v65
	v_mov_b32_e32 v15, v5
	v_pk_mul_f32 v[4:5], v[8:9], v[4:5] op_sel_hi:[1,0]
	s_waitcnt vmcnt(0)
	v_pk_fma_f32 v[6:7], v[8:9], v[64:65], v[4:5] op_sel:[0,0,1] op_sel_hi:[1,1,0] neg_lo:[0,0,1] neg_hi:[0,0,1]
	v_pk_fma_f32 v[4:5], v[8:9], v[64:65], v[4:5] op_sel:[0,0,1] op_sel_hi:[1,0,0]
	v_pk_add_f32 v[2:3], v[2:3], v[16:17]
	v_mov_b32_e32 v4, v63
	v_pk_add_f32 v[2:3], v[2:3], v[14:15]
	v_mov_b32_e32 v7, v5
	s_waitcnt lgkmcnt(0)
	v_pk_mul_f32 v[4:5], v[10:11], v[4:5] op_sel_hi:[1,0]
	v_pk_add_f32 v[2:3], v[2:3], v[6:7]
	v_pk_fma_f32 v[6:7], v[10:11], v[62:63], v[4:5] op_sel:[0,0,1] op_sel_hi:[1,1,0] neg_lo:[0,0,1] neg_hi:[0,0,1]
	v_pk_fma_f32 v[4:5], v[10:11], v[62:63], v[4:5] op_sel:[0,0,1] op_sel_hi:[1,0,0]
	v_mov_b32_e32 v4, v61
	v_mov_b32_e32 v7, v5
	v_pk_mul_f32 v[4:5], v[12:13], v[4:5] op_sel_hi:[1,0]
	v_pk_add_f32 v[2:3], v[2:3], v[6:7]
	v_pk_fma_f32 v[6:7], v[12:13], v[60:61], v[4:5] op_sel:[0,0,1] op_sel_hi:[1,1,0] neg_lo:[0,0,1] neg_hi:[0,0,1]
	v_pk_fma_f32 v[4:5], v[12:13], v[60:61], v[4:5] op_sel:[0,0,1] op_sel_hi:[1,0,0]
	v_mov_b32_e32 v7, v5
	v_pk_add_f32 v[2:3], v[2:3], v[6:7]
	v_pk_add_f32 v[2:3], v[42:43], v[2:3] neg_lo:[0,1] neg_hi:[0,1]
	buffer_store_dword v3, off, s[0:3], 0 offset:276
	buffer_store_dword v2, off, s[0:3], 0 offset:272
	s_and_saveexec_b64 s[4:5], vcc
	s_cbranch_execz .LBB60_313
; %bb.312:
	buffer_load_dword v2, off, s[0:3], 0 offset:264
	buffer_load_dword v3, off, s[0:3], 0 offset:268
	v_mov_b32_e32 v1, 0
	buffer_store_dword v1, off, s[0:3], 0 offset:264
	buffer_store_dword v1, off, s[0:3], 0 offset:268
	s_waitcnt vmcnt(2)
	ds_write_b64 v199, v[2:3]
.LBB60_313:
	s_or_b64 exec, exec, s[4:5]
	s_waitcnt lgkmcnt(0)
	; wave barrier
	s_waitcnt lgkmcnt(0)
	buffer_load_dword v52, off, s[0:3], 0 offset:276
	buffer_load_dword v54, off, s[0:3], 0 offset:284
	;; [unrolled: 1-line block ×40, first 2 shown]
	v_mov_b32_e32 v1, 0
	ds_read_b128 v[4:7], v1 offset:768
	ds_read_b128 v[8:11], v1 offset:784
	;; [unrolled: 1-line block ×8, first 2 shown]
	v_cmp_lt_u32_e32 vcc, 32, v0
	s_waitcnt vmcnt(39) lgkmcnt(7)
	v_mul_f32_e32 v36, v4, v52
	s_waitcnt vmcnt(38)
	v_mul_f32_e32 v37, v6, v54
	s_waitcnt vmcnt(37) lgkmcnt(6)
	v_mul_f32_e32 v38, v8, v56
	s_waitcnt vmcnt(36)
	v_mul_f32_e32 v39, v10, v66
	s_waitcnt vmcnt(35) lgkmcnt(5)
	v_mul_f32_e32 v40, v12, v67
	s_waitcnt vmcnt(34)
	v_mul_f32_e32 v41, v14, v68
	s_waitcnt vmcnt(33) lgkmcnt(4)
	v_mul_f32_e32 v42, v16, v69
	s_waitcnt vmcnt(32)
	v_mul_f32_e32 v43, v18, v70
	s_waitcnt vmcnt(31) lgkmcnt(3)
	v_mul_f32_e32 v44, v20, v71
	s_waitcnt vmcnt(30)
	v_mul_f32_e32 v45, v22, v72
	s_waitcnt vmcnt(29) lgkmcnt(2)
	v_mul_f32_e32 v46, v24, v73
	s_waitcnt vmcnt(28)
	v_mul_f32_e32 v47, v26, v74
	s_waitcnt vmcnt(27) lgkmcnt(1)
	v_mul_f32_e32 v48, v28, v75
	s_waitcnt vmcnt(26)
	v_mul_f32_e32 v49, v30, v76
	s_waitcnt vmcnt(25) lgkmcnt(0)
	v_mul_f32_e32 v50, v32, v77
	s_waitcnt vmcnt(24)
	v_mul_f32_e32 v51, v34, v78
	s_waitcnt vmcnt(23)
	v_fmac_f32_e32 v36, v5, v79
	s_waitcnt vmcnt(22)
	v_fmac_f32_e32 v37, v7, v80
	v_add_f32_e32 v36, 0, v36
	s_waitcnt vmcnt(21)
	v_fmac_f32_e32 v38, v9, v81
	v_add_f32_e32 v36, v36, v37
	;; [unrolled: 3-line block ×14, first 2 shown]
	v_add_f32_e32 v36, v36, v50
	s_waitcnt vmcnt(8)
	v_fmac_f32_e32 v51, v35, v94
	v_add_f32_e32 v53, v36, v51
	ds_read_b128 v[36:39], v1 offset:896
	buffer_load_dword v45, off, s[0:3], 0 offset:428
	buffer_load_dword v47, off, s[0:3], 0 offset:452
	buffer_load_dword v46, off, s[0:3], 0 offset:448
	buffer_load_dword v49, off, s[0:3], 0 offset:444
	buffer_load_dword v48, off, s[0:3], 0 offset:440
	buffer_load_dword v51, off, s[0:3], 0 offset:436
	buffer_load_dword v50, off, s[0:3], 0 offset:432
	buffer_load_dword v44, off, s[0:3], 0 offset:424
	ds_read_b128 v[40:43], v1 offset:912
	buffer_load_dword v59, off, s[0:3], 0 offset:484
	buffer_load_dword v58, off, s[0:3], 0 offset:480
	;; [unrolled: 1-line block ×8, first 2 shown]
	v_mul_f32_e32 v5, v5, v52
	v_fma_f32 v4, v4, v79, -v5
	v_mul_f32_e32 v5, v7, v54
	v_add_f32_e32 v4, 0, v4
	v_fma_f32 v5, v6, v80, -v5
	v_add_f32_e32 v4, v4, v5
	v_mul_f32_e32 v5, v9, v56
	v_fma_f32 v5, v8, v81, -v5
	v_add_f32_e32 v4, v4, v5
	v_mul_f32_e32 v5, v11, v66
	;; [unrolled: 3-line block ×14, first 2 shown]
	v_fma_f32 v5, v34, v94, -v5
	v_add_f32_e32 v4, v4, v5
	s_waitcnt vmcnt(23) lgkmcnt(1)
	v_mul_f32_e32 v5, v37, v95
	v_mul_f32_e32 v55, v36, v95
	s_waitcnt vmcnt(22)
	v_fma_f32 v5, v36, v96, -v5
	v_fmac_f32_e32 v55, v37, v96
	v_add_f32_e32 v52, v4, v5
	s_waitcnt vmcnt(21)
	v_mul_f32_e32 v4, v39, v97
	v_add_f32_e32 v53, v53, v55
	v_mul_f32_e32 v55, v38, v97
	s_waitcnt vmcnt(20)
	v_fma_f32 v54, v38, v98, -v4
	s_waitcnt vmcnt(19) lgkmcnt(0)
	v_mul_f32_e32 v4, v41, v99
	v_fmac_f32_e32 v55, v39, v98
	v_mul_f32_e32 v57, v40, v99
	s_waitcnt vmcnt(18)
	v_fma_f32 v56, v40, v100, -v4
	ds_read_b128 v[4:7], v1 offset:928
	ds_read_b128 v[8:11], v1 offset:944
	;; [unrolled: 1-line block ×3, first 2 shown]
	ds_read_b64 v[16:17], v1 offset:976
	v_fmac_f32_e32 v57, v41, v100
	v_pk_add_f32 v[18:19], v[52:53], v[54:55]
	v_pk_add_f32 v[18:19], v[18:19], v[56:57]
	s_waitcnt vmcnt(15)
	v_mov_b32_e32 v20, v45
	v_pk_mul_f32 v[20:21], v[42:43], v[20:21] op_sel_hi:[1,0]
	s_waitcnt vmcnt(8)
	v_pk_fma_f32 v[22:23], v[42:43], v[44:45], v[20:21] op_sel:[0,0,1] op_sel_hi:[1,1,0] neg_lo:[0,0,1] neg_hi:[0,0,1]
	v_pk_fma_f32 v[20:21], v[42:43], v[44:45], v[20:21] op_sel:[0,0,1] op_sel_hi:[1,0,0]
	v_mov_b32_e32 v20, v51
	v_mov_b32_e32 v23, v21
	s_waitcnt lgkmcnt(3)
	v_pk_mul_f32 v[20:21], v[4:5], v[20:21] op_sel_hi:[1,0]
	v_pk_add_f32 v[18:19], v[18:19], v[22:23]
	v_pk_fma_f32 v[22:23], v[4:5], v[50:51], v[20:21] op_sel:[0,0,1] op_sel_hi:[1,1,0] neg_lo:[0,0,1] neg_hi:[0,0,1]
	v_pk_fma_f32 v[4:5], v[4:5], v[50:51], v[20:21] op_sel:[0,0,1] op_sel_hi:[1,0,0]
	v_mov_b32_e32 v23, v5
	v_pk_add_f32 v[4:5], v[18:19], v[22:23]
	v_mov_b32_e32 v18, v49
	v_pk_mul_f32 v[18:19], v[6:7], v[18:19] op_sel_hi:[1,0]
	v_pk_fma_f32 v[20:21], v[6:7], v[48:49], v[18:19] op_sel:[0,0,1] op_sel_hi:[1,1,0] neg_lo:[0,0,1] neg_hi:[0,0,1]
	v_pk_fma_f32 v[6:7], v[6:7], v[48:49], v[18:19] op_sel:[0,0,1] op_sel_hi:[1,0,0]
	v_mov_b32_e32 v6, v47
	v_mov_b32_e32 v21, v7
	s_waitcnt lgkmcnt(2)
	v_pk_mul_f32 v[6:7], v[8:9], v[6:7] op_sel_hi:[1,0]
	v_pk_fma_f32 v[18:19], v[8:9], v[46:47], v[6:7] op_sel:[0,0,1] op_sel_hi:[1,1,0] neg_lo:[0,0,1] neg_hi:[0,0,1]
	v_pk_fma_f32 v[6:7], v[8:9], v[46:47], v[6:7] op_sel:[0,0,1] op_sel_hi:[1,0,0]
	s_waitcnt vmcnt(1)
	v_mov_b32_e32 v6, v65
	v_mov_b32_e32 v19, v7
	v_pk_mul_f32 v[6:7], v[10:11], v[6:7] op_sel_hi:[1,0]
	s_waitcnt vmcnt(0)
	v_pk_fma_f32 v[8:9], v[10:11], v[64:65], v[6:7] op_sel:[0,0,1] op_sel_hi:[1,1,0] neg_lo:[0,0,1] neg_hi:[0,0,1]
	v_pk_fma_f32 v[6:7], v[10:11], v[64:65], v[6:7] op_sel:[0,0,1] op_sel_hi:[1,0,0]
	v_pk_add_f32 v[4:5], v[4:5], v[20:21]
	v_mov_b32_e32 v6, v63
	v_pk_add_f32 v[4:5], v[4:5], v[18:19]
	v_mov_b32_e32 v9, v7
	s_waitcnt lgkmcnt(1)
	v_pk_mul_f32 v[6:7], v[12:13], v[6:7] op_sel_hi:[1,0]
	v_pk_add_f32 v[4:5], v[4:5], v[8:9]
	v_pk_fma_f32 v[8:9], v[12:13], v[62:63], v[6:7] op_sel:[0,0,1] op_sel_hi:[1,1,0] neg_lo:[0,0,1] neg_hi:[0,0,1]
	v_pk_fma_f32 v[6:7], v[12:13], v[62:63], v[6:7] op_sel:[0,0,1] op_sel_hi:[1,0,0]
	v_mov_b32_e32 v6, v61
	v_mov_b32_e32 v9, v7
	v_pk_mul_f32 v[6:7], v[14:15], v[6:7] op_sel_hi:[1,0]
	v_pk_add_f32 v[4:5], v[4:5], v[8:9]
	v_pk_fma_f32 v[8:9], v[14:15], v[60:61], v[6:7] op_sel:[0,0,1] op_sel_hi:[1,1,0] neg_lo:[0,0,1] neg_hi:[0,0,1]
	v_pk_fma_f32 v[6:7], v[14:15], v[60:61], v[6:7] op_sel:[0,0,1] op_sel_hi:[1,0,0]
	v_mov_b32_e32 v6, v59
	v_mov_b32_e32 v9, v7
	s_waitcnt lgkmcnt(0)
	v_pk_mul_f32 v[6:7], v[16:17], v[6:7] op_sel_hi:[1,0]
	v_pk_add_f32 v[4:5], v[4:5], v[8:9]
	v_pk_fma_f32 v[8:9], v[16:17], v[58:59], v[6:7] op_sel:[0,0,1] op_sel_hi:[1,1,0] neg_lo:[0,0,1] neg_hi:[0,0,1]
	v_pk_fma_f32 v[6:7], v[16:17], v[58:59], v[6:7] op_sel:[0,0,1] op_sel_hi:[1,0,0]
	v_mov_b32_e32 v9, v7
	v_pk_add_f32 v[4:5], v[4:5], v[8:9]
	v_pk_add_f32 v[2:3], v[2:3], v[4:5] neg_lo:[0,1] neg_hi:[0,1]
	buffer_store_dword v3, off, s[0:3], 0 offset:268
	buffer_store_dword v2, off, s[0:3], 0 offset:264
	s_and_saveexec_b64 s[4:5], vcc
	s_cbranch_execz .LBB60_315
; %bb.314:
	buffer_load_dword v2, off, s[0:3], 0 offset:256
	buffer_load_dword v3, off, s[0:3], 0 offset:260
	s_waitcnt vmcnt(0)
	ds_write_b64 v199, v[2:3]
	buffer_store_dword v1, off, s[0:3], 0 offset:256
	buffer_store_dword v1, off, s[0:3], 0 offset:260
.LBB60_315:
	s_or_b64 exec, exec, s[4:5]
	s_waitcnt lgkmcnt(0)
	; wave barrier
	s_waitcnt lgkmcnt(0)
	buffer_load_dword v44, off, s[0:3], 0 offset:268
	buffer_load_dword v46, off, s[0:3], 0 offset:276
	;; [unrolled: 1-line block ×42, first 2 shown]
	ds_read2_b64 v[4:7], v1 offset0:95 offset1:96
	ds_read2_b64 v[8:11], v1 offset0:97 offset1:98
	;; [unrolled: 1-line block ×8, first 2 shown]
	v_cmp_lt_u32_e32 vcc, 31, v0
	s_waitcnt vmcnt(41) lgkmcnt(7)
	v_mul_f32_e32 v36, v4, v44
	s_waitcnt vmcnt(40)
	v_mul_f32_e32 v37, v6, v46
	s_waitcnt vmcnt(39) lgkmcnt(6)
	v_mul_f32_e32 v38, v8, v54
	s_waitcnt vmcnt(38)
	v_mul_f32_e32 v39, v10, v66
	;; [unrolled: 4-line block ×7, first 2 shown]
	s_waitcnt vmcnt(27) lgkmcnt(0)
	v_mul_f32_e32 v52, v32, v77
	s_waitcnt vmcnt(26)
	v_fmac_f32_e32 v36, v5, v78
	s_waitcnt vmcnt(25)
	v_fmac_f32_e32 v37, v7, v79
	v_add_f32_e32 v36, 0, v36
	s_waitcnt vmcnt(24)
	v_fmac_f32_e32 v38, v9, v80
	v_add_f32_e32 v36, v36, v37
	;; [unrolled: 3-line block ×14, first 2 shown]
	s_waitcnt vmcnt(11)
	v_mul_f32_e32 v41, v34, v93
	v_add_f32_e32 v40, v36, v52
	s_waitcnt vmcnt(10)
	v_fmac_f32_e32 v41, v35, v94
	ds_read2_b64 v[36:39], v1 offset0:111 offset1:112
	v_add_f32_e32 v45, v40, v41
	ds_read2_b64 v[40:43], v1 offset0:113 offset1:114
	buffer_load_dword v49, off, s[0:3], 0 offset:428
	buffer_load_dword v51, off, s[0:3], 0 offset:444
	;; [unrolled: 1-line block ×16, first 2 shown]
	v_mul_f32_e32 v5, v5, v44
	v_fma_f32 v4, v4, v78, -v5
	v_mul_f32_e32 v5, v7, v46
	v_add_f32_e32 v4, 0, v4
	v_fma_f32 v5, v6, v79, -v5
	v_add_f32_e32 v4, v4, v5
	v_mul_f32_e32 v5, v9, v54
	v_fma_f32 v5, v8, v80, -v5
	v_add_f32_e32 v4, v4, v5
	v_mul_f32_e32 v5, v11, v66
	;; [unrolled: 3-line block ×14, first 2 shown]
	v_fma_f32 v5, v34, v94, -v5
	v_add_f32_e32 v4, v4, v5
	s_waitcnt vmcnt(25) lgkmcnt(1)
	v_mul_f32_e32 v5, v37, v95
	s_waitcnt vmcnt(24)
	v_fma_f32 v5, v36, v96, -v5
	v_add_f32_e32 v4, v4, v5
	s_waitcnt vmcnt(23)
	v_mul_f32_e32 v5, v39, v97
	v_mul_f32_e32 v47, v36, v95
	s_waitcnt vmcnt(22)
	v_fma_f32 v5, v38, v98, -v5
	v_fmac_f32_e32 v47, v37, v96
	v_add_f32_e32 v44, v4, v5
	s_waitcnt vmcnt(21) lgkmcnt(0)
	v_mul_f32_e32 v4, v41, v99
	v_add_f32_e32 v45, v45, v47
	v_mul_f32_e32 v47, v38, v97
	s_waitcnt vmcnt(20)
	v_fma_f32 v46, v40, v100, -v4
	s_waitcnt vmcnt(19)
	v_mul_f32_e32 v4, v43, v101
	v_fmac_f32_e32 v47, v39, v98
	s_waitcnt vmcnt(18)
	v_fma_f32 v54, v42, v104, -v4
	ds_read2_b64 v[4:7], v1 offset0:115 offset1:116
	ds_read2_b64 v[8:11], v1 offset0:117 offset1:118
	;; [unrolled: 1-line block ×4, first 2 shown]
	v_add_f32_e32 v45, v45, v47
	v_mul_f32_e32 v47, v40, v99
	v_fmac_f32_e32 v47, v41, v100
	v_mul_f32_e32 v55, v42, v101
	v_fmac_f32_e32 v55, v43, v104
	v_pk_add_f32 v[20:21], v[44:45], v[46:47]
	v_pk_add_f32 v[20:21], v[20:21], v[54:55]
	s_waitcnt vmcnt(15)
	v_mov_b32_e32 v22, v49
	s_waitcnt lgkmcnt(3)
	v_pk_mul_f32 v[22:23], v[4:5], v[22:23] op_sel_hi:[1,0]
	s_waitcnt vmcnt(10)
	v_pk_fma_f32 v[24:25], v[4:5], v[48:49], v[22:23] op_sel:[0,0,1] op_sel_hi:[1,1,0] neg_lo:[0,0,1] neg_hi:[0,0,1]
	v_pk_fma_f32 v[4:5], v[4:5], v[48:49], v[22:23] op_sel:[0,0,1] op_sel_hi:[1,0,0]
	v_mov_b32_e32 v25, v5
	v_pk_add_f32 v[4:5], v[20:21], v[24:25]
	v_mov_b32_e32 v20, v53
	v_pk_mul_f32 v[20:21], v[6:7], v[20:21] op_sel_hi:[1,0]
	v_pk_fma_f32 v[22:23], v[6:7], v[52:53], v[20:21] op_sel:[0,0,1] op_sel_hi:[1,1,0] neg_lo:[0,0,1] neg_hi:[0,0,1]
	v_pk_fma_f32 v[6:7], v[6:7], v[52:53], v[20:21] op_sel:[0,0,1] op_sel_hi:[1,0,0]
	v_mov_b32_e32 v6, v51
	v_mov_b32_e32 v23, v7
	s_waitcnt lgkmcnt(2)
	v_pk_mul_f32 v[6:7], v[8:9], v[6:7] op_sel_hi:[1,0]
	v_pk_fma_f32 v[20:21], v[8:9], v[50:51], v[6:7] op_sel:[0,0,1] op_sel_hi:[1,1,0] neg_lo:[0,0,1] neg_hi:[0,0,1]
	v_pk_fma_f32 v[6:7], v[8:9], v[50:51], v[6:7] op_sel:[0,0,1] op_sel_hi:[1,0,0]
	s_waitcnt vmcnt(3)
	v_mov_b32_e32 v6, v63
	v_mov_b32_e32 v21, v7
	v_pk_mul_f32 v[6:7], v[10:11], v[6:7] op_sel_hi:[1,0]
	s_waitcnt vmcnt(2)
	v_pk_fma_f32 v[8:9], v[10:11], v[62:63], v[6:7] op_sel:[0,0,1] op_sel_hi:[1,1,0] neg_lo:[0,0,1] neg_hi:[0,0,1]
	v_pk_fma_f32 v[6:7], v[10:11], v[62:63], v[6:7] op_sel:[0,0,1] op_sel_hi:[1,0,0]
	v_pk_add_f32 v[4:5], v[4:5], v[22:23]
	v_mov_b32_e32 v6, v61
	v_pk_add_f32 v[4:5], v[4:5], v[20:21]
	v_mov_b32_e32 v9, v7
	s_waitcnt lgkmcnt(1)
	v_pk_mul_f32 v[6:7], v[12:13], v[6:7] op_sel_hi:[1,0]
	v_pk_add_f32 v[4:5], v[4:5], v[8:9]
	v_pk_fma_f32 v[8:9], v[12:13], v[60:61], v[6:7] op_sel:[0,0,1] op_sel_hi:[1,1,0] neg_lo:[0,0,1] neg_hi:[0,0,1]
	v_pk_fma_f32 v[6:7], v[12:13], v[60:61], v[6:7] op_sel:[0,0,1] op_sel_hi:[1,0,0]
	v_mov_b32_e32 v6, v59
	v_mov_b32_e32 v9, v7
	v_pk_mul_f32 v[6:7], v[14:15], v[6:7] op_sel_hi:[1,0]
	v_pk_add_f32 v[4:5], v[4:5], v[8:9]
	v_pk_fma_f32 v[8:9], v[14:15], v[58:59], v[6:7] op_sel:[0,0,1] op_sel_hi:[1,1,0] neg_lo:[0,0,1] neg_hi:[0,0,1]
	v_pk_fma_f32 v[6:7], v[14:15], v[58:59], v[6:7] op_sel:[0,0,1] op_sel_hi:[1,0,0]
	v_mov_b32_e32 v6, v57
	v_mov_b32_e32 v9, v7
	s_waitcnt lgkmcnt(0)
	v_pk_mul_f32 v[6:7], v[16:17], v[6:7] op_sel_hi:[1,0]
	v_pk_add_f32 v[4:5], v[4:5], v[8:9]
	v_pk_fma_f32 v[8:9], v[16:17], v[56:57], v[6:7] op_sel:[0,0,1] op_sel_hi:[1,1,0] neg_lo:[0,0,1] neg_hi:[0,0,1]
	v_pk_fma_f32 v[6:7], v[16:17], v[56:57], v[6:7] op_sel:[0,0,1] op_sel_hi:[1,0,0]
	s_waitcnt vmcnt(1)
	v_mov_b32_e32 v6, v65
	v_mov_b32_e32 v9, v7
	v_pk_mul_f32 v[6:7], v[18:19], v[6:7] op_sel_hi:[1,0]
	v_pk_add_f32 v[4:5], v[4:5], v[8:9]
	s_waitcnt vmcnt(0)
	v_pk_fma_f32 v[8:9], v[18:19], v[64:65], v[6:7] op_sel:[0,0,1] op_sel_hi:[1,1,0] neg_lo:[0,0,1] neg_hi:[0,0,1]
	v_pk_fma_f32 v[6:7], v[18:19], v[64:65], v[6:7] op_sel:[0,0,1] op_sel_hi:[1,0,0]
	v_mov_b32_e32 v9, v7
	v_pk_add_f32 v[4:5], v[4:5], v[8:9]
	v_pk_add_f32 v[2:3], v[2:3], v[4:5] neg_lo:[0,1] neg_hi:[0,1]
	buffer_store_dword v3, off, s[0:3], 0 offset:260
	buffer_store_dword v2, off, s[0:3], 0 offset:256
	s_and_saveexec_b64 s[4:5], vcc
	s_cbranch_execz .LBB60_317
; %bb.316:
	buffer_load_dword v2, off, s[0:3], 0 offset:248
	buffer_load_dword v3, off, s[0:3], 0 offset:252
	v_mov_b32_e32 v1, 0
	buffer_store_dword v1, off, s[0:3], 0 offset:248
	buffer_store_dword v1, off, s[0:3], 0 offset:252
	s_waitcnt vmcnt(2)
	ds_write_b64 v199, v[2:3]
.LBB60_317:
	s_or_b64 exec, exec, s[4:5]
	s_waitcnt lgkmcnt(0)
	; wave barrier
	s_waitcnt lgkmcnt(0)
	buffer_load_dword v52, off, s[0:3], 0 offset:260
	buffer_load_dword v58, off, s[0:3], 0 offset:268
	;; [unrolled: 1-line block ×44, first 2 shown]
	v_mov_b32_e32 v1, 0
	ds_read_b128 v[4:7], v1 offset:752
	ds_read_b128 v[8:11], v1 offset:768
	;; [unrolled: 1-line block ×8, first 2 shown]
	v_cmp_lt_u32_e32 vcc, 30, v0
	s_waitcnt vmcnt(43) lgkmcnt(7)
	v_mul_f32_e32 v36, v4, v52
	s_waitcnt vmcnt(42)
	v_mul_f32_e32 v37, v6, v58
	s_waitcnt vmcnt(41) lgkmcnt(6)
	v_mul_f32_e32 v38, v8, v60
	s_waitcnt vmcnt(40)
	v_mul_f32_e32 v39, v10, v74
	;; [unrolled: 4-line block ×7, first 2 shown]
	s_waitcnt vmcnt(29)
	v_fmac_f32_e32 v36, v5, v85
	s_waitcnt vmcnt(28)
	v_fmac_f32_e32 v37, v7, v86
	v_add_f32_e32 v36, 0, v36
	s_waitcnt vmcnt(27)
	v_fmac_f32_e32 v38, v9, v87
	v_add_f32_e32 v36, v36, v37
	;; [unrolled: 3-line block ×12, first 2 shown]
	v_add_f32_e32 v36, v36, v48
	s_waitcnt vmcnt(16)
	v_fmac_f32_e32 v49, v31, v98
	s_waitcnt vmcnt(15) lgkmcnt(0)
	v_mul_f32_e32 v37, v32, v99
	v_add_f32_e32 v36, v36, v49
	s_waitcnt vmcnt(14)
	v_fmac_f32_e32 v37, v33, v100
	v_add_f32_e32 v40, v36, v37
	ds_read_b128 v[36:39], v1 offset:880
	s_waitcnt vmcnt(13)
	v_mul_f32_e32 v41, v34, v101
	s_waitcnt vmcnt(12)
	v_fmac_f32_e32 v41, v35, v104
	v_add_f32_e32 v44, v40, v41
	ds_read_b128 v[40:43], v1 offset:896
	s_waitcnt vmcnt(11) lgkmcnt(1)
	v_mul_f32_e32 v45, v36, v105
	s_waitcnt vmcnt(10)
	v_fmac_f32_e32 v45, v37, v106
	v_add_f32_e32 v44, v44, v45
	s_waitcnt vmcnt(9)
	v_mul_f32_e32 v45, v38, v107
	s_waitcnt vmcnt(8)
	v_fmac_f32_e32 v45, v39, v108
	v_add_f32_e32 v44, v44, v45
	s_waitcnt vmcnt(7) lgkmcnt(0)
	v_mul_f32_e32 v45, v40, v109
	s_waitcnt vmcnt(6)
	v_fmac_f32_e32 v45, v41, v110
	v_add_f32_e32 v53, v44, v45
	ds_read_b128 v[44:47], v1 offset:912
	buffer_load_dword v55, off, s[0:3], 0 offset:436
	buffer_load_dword v54, off, s[0:3], 0 offset:432
	;; [unrolled: 1-line block ×4, first 2 shown]
	ds_read_b128 v[48:51], v1 offset:928
	buffer_load_dword v63, off, s[0:3], 0 offset:468
	buffer_load_dword v62, off, s[0:3], 0 offset:464
	;; [unrolled: 1-line block ×12, first 2 shown]
	v_mul_f32_e32 v5, v5, v52
	v_fma_f32 v4, v4, v85, -v5
	v_mul_f32_e32 v5, v7, v58
	v_add_f32_e32 v4, 0, v4
	v_fma_f32 v5, v6, v86, -v5
	v_add_f32_e32 v4, v4, v5
	v_mul_f32_e32 v5, v9, v60
	v_fma_f32 v5, v8, v87, -v5
	v_add_f32_e32 v4, v4, v5
	v_mul_f32_e32 v5, v11, v74
	;; [unrolled: 3-line block ×17, first 2 shown]
	v_fma_f32 v5, v40, v110, -v5
	s_waitcnt vmcnt(21)
	v_mul_f32_e32 v59, v42, v111
	v_add_f32_e32 v52, v4, v5
	v_mul_f32_e32 v4, v43, v111
	s_waitcnt vmcnt(20)
	v_fmac_f32_e32 v59, v43, v112
	s_waitcnt vmcnt(19) lgkmcnt(1)
	v_mul_f32_e32 v61, v44, v113
	v_fma_f32 v58, v42, v112, -v4
	v_mul_f32_e32 v4, v45, v113
	s_waitcnt vmcnt(18)
	v_fmac_f32_e32 v61, v45, v114
	v_fma_f32 v60, v44, v114, -v4
	v_pk_add_f32 v[14:15], v[52:53], v[58:59]
	v_pk_add_f32 v[14:15], v[14:15], v[60:61]
	ds_read_b128 v[4:7], v1 offset:944
	ds_read_b128 v[8:11], v1 offset:960
	ds_read_b64 v[12:13], v1 offset:976
	s_waitcnt vmcnt(13)
	v_mov_b32_e32 v16, v57
	v_pk_mul_f32 v[16:17], v[46:47], v[16:17] op_sel_hi:[1,0]
	s_waitcnt vmcnt(12)
	v_pk_fma_f32 v[18:19], v[46:47], v[56:57], v[16:17] op_sel:[0,0,1] op_sel_hi:[1,1,0] neg_lo:[0,0,1] neg_hi:[0,0,1]
	v_pk_fma_f32 v[16:17], v[46:47], v[56:57], v[16:17] op_sel:[0,0,1] op_sel_hi:[1,0,0]
	v_mov_b32_e32 v16, v55
	v_mov_b32_e32 v19, v17
	s_waitcnt lgkmcnt(3)
	v_pk_mul_f32 v[16:17], v[48:49], v[16:17] op_sel_hi:[1,0]
	v_pk_add_f32 v[14:15], v[14:15], v[18:19]
	v_pk_fma_f32 v[18:19], v[48:49], v[54:55], v[16:17] op_sel:[0,0,1] op_sel_hi:[1,1,0] neg_lo:[0,0,1] neg_hi:[0,0,1]
	v_pk_fma_f32 v[16:17], v[48:49], v[54:55], v[16:17] op_sel:[0,0,1] op_sel_hi:[1,0,0]
	s_waitcnt vmcnt(5)
	v_mov_b32_e32 v16, v69
	v_mov_b32_e32 v19, v17
	v_pk_mul_f32 v[16:17], v[50:51], v[16:17] op_sel_hi:[1,0]
	v_pk_add_f32 v[14:15], v[14:15], v[18:19]
	s_waitcnt vmcnt(4)
	v_pk_fma_f32 v[18:19], v[50:51], v[68:69], v[16:17] op_sel:[0,0,1] op_sel_hi:[1,1,0] neg_lo:[0,0,1] neg_hi:[0,0,1]
	v_pk_fma_f32 v[16:17], v[50:51], v[68:69], v[16:17] op_sel:[0,0,1] op_sel_hi:[1,0,0]
	v_mov_b32_e32 v16, v67
	v_mov_b32_e32 v19, v17
	s_waitcnt lgkmcnt(2)
	v_pk_mul_f32 v[16:17], v[4:5], v[16:17] op_sel_hi:[1,0]
	v_pk_add_f32 v[14:15], v[14:15], v[18:19]
	v_pk_fma_f32 v[18:19], v[4:5], v[66:67], v[16:17] op_sel:[0,0,1] op_sel_hi:[1,1,0] neg_lo:[0,0,1] neg_hi:[0,0,1]
	v_pk_fma_f32 v[4:5], v[4:5], v[66:67], v[16:17] op_sel:[0,0,1] op_sel_hi:[1,0,0]
	v_mov_b32_e32 v19, v5
	v_pk_add_f32 v[4:5], v[14:15], v[18:19]
	v_mov_b32_e32 v14, v65
	v_pk_mul_f32 v[14:15], v[6:7], v[14:15] op_sel_hi:[1,0]
	v_pk_fma_f32 v[16:17], v[6:7], v[64:65], v[14:15] op_sel:[0,0,1] op_sel_hi:[1,1,0] neg_lo:[0,0,1] neg_hi:[0,0,1]
	v_pk_fma_f32 v[6:7], v[6:7], v[64:65], v[14:15] op_sel:[0,0,1] op_sel_hi:[1,0,0]
	v_mov_b32_e32 v6, v63
	v_mov_b32_e32 v17, v7
	s_waitcnt lgkmcnt(1)
	v_pk_mul_f32 v[6:7], v[8:9], v[6:7] op_sel_hi:[1,0]
	v_pk_fma_f32 v[14:15], v[8:9], v[62:63], v[6:7] op_sel:[0,0,1] op_sel_hi:[1,1,0] neg_lo:[0,0,1] neg_hi:[0,0,1]
	v_pk_fma_f32 v[6:7], v[8:9], v[62:63], v[6:7] op_sel:[0,0,1] op_sel_hi:[1,0,0]
	s_waitcnt vmcnt(1)
	v_mov_b32_e32 v6, v73
	v_mov_b32_e32 v15, v7
	v_pk_mul_f32 v[6:7], v[10:11], v[6:7] op_sel_hi:[1,0]
	s_waitcnt vmcnt(0)
	v_pk_fma_f32 v[8:9], v[10:11], v[72:73], v[6:7] op_sel:[0,0,1] op_sel_hi:[1,1,0] neg_lo:[0,0,1] neg_hi:[0,0,1]
	v_pk_fma_f32 v[6:7], v[10:11], v[72:73], v[6:7] op_sel:[0,0,1] op_sel_hi:[1,0,0]
	v_pk_add_f32 v[4:5], v[4:5], v[16:17]
	v_mov_b32_e32 v6, v71
	v_pk_add_f32 v[4:5], v[4:5], v[14:15]
	v_mov_b32_e32 v9, v7
	s_waitcnt lgkmcnt(0)
	v_pk_mul_f32 v[6:7], v[12:13], v[6:7] op_sel_hi:[1,0]
	v_pk_add_f32 v[4:5], v[4:5], v[8:9]
	v_pk_fma_f32 v[8:9], v[12:13], v[70:71], v[6:7] op_sel:[0,0,1] op_sel_hi:[1,1,0] neg_lo:[0,0,1] neg_hi:[0,0,1]
	v_pk_fma_f32 v[6:7], v[12:13], v[70:71], v[6:7] op_sel:[0,0,1] op_sel_hi:[1,0,0]
	v_mov_b32_e32 v9, v7
	v_pk_add_f32 v[4:5], v[4:5], v[8:9]
	v_pk_add_f32 v[2:3], v[2:3], v[4:5] neg_lo:[0,1] neg_hi:[0,1]
	buffer_store_dword v3, off, s[0:3], 0 offset:252
	buffer_store_dword v2, off, s[0:3], 0 offset:248
	s_and_saveexec_b64 s[4:5], vcc
	s_cbranch_execz .LBB60_319
; %bb.318:
	buffer_load_dword v2, off, s[0:3], 0 offset:240
	buffer_load_dword v3, off, s[0:3], 0 offset:244
	s_waitcnt vmcnt(0)
	ds_write_b64 v199, v[2:3]
	buffer_store_dword v1, off, s[0:3], 0 offset:240
	buffer_store_dword v1, off, s[0:3], 0 offset:244
.LBB60_319:
	s_or_b64 exec, exec, s[4:5]
	s_waitcnt lgkmcnt(0)
	; wave barrier
	s_waitcnt lgkmcnt(0)
	buffer_load_dword v54, off, s[0:3], 0 offset:252
	buffer_load_dword v56, off, s[0:3], 0 offset:260
	;; [unrolled: 1-line block ×46, first 2 shown]
	ds_read2_b64 v[4:7], v1 offset0:93 offset1:94
	ds_read2_b64 v[8:11], v1 offset0:95 offset1:96
	;; [unrolled: 1-line block ×8, first 2 shown]
	v_cmp_lt_u32_e32 vcc, 29, v0
	s_waitcnt vmcnt(45) lgkmcnt(7)
	v_mul_f32_e32 v36, v4, v54
	s_waitcnt vmcnt(44)
	v_mul_f32_e32 v37, v6, v56
	s_waitcnt vmcnt(43) lgkmcnt(6)
	v_mul_f32_e32 v38, v8, v58
	s_waitcnt vmcnt(42)
	v_mul_f32_e32 v39, v10, v74
	;; [unrolled: 4-line block ×6, first 2 shown]
	s_waitcnt vmcnt(33) lgkmcnt(1)
	v_mul_f32_e32 v48, v28, v83
	s_waitcnt vmcnt(32)
	v_fmac_f32_e32 v36, v5, v84
	s_waitcnt vmcnt(31)
	v_fmac_f32_e32 v37, v7, v85
	v_add_f32_e32 v36, 0, v36
	s_waitcnt vmcnt(30)
	v_fmac_f32_e32 v38, v9, v86
	v_add_f32_e32 v36, v36, v37
	;; [unrolled: 3-line block ×12, first 2 shown]
	s_waitcnt vmcnt(19)
	v_mul_f32_e32 v37, v30, v97
	v_add_f32_e32 v36, v36, v48
	s_waitcnt vmcnt(18)
	v_fmac_f32_e32 v37, v31, v98
	v_add_f32_e32 v36, v36, v37
	s_waitcnt vmcnt(17) lgkmcnt(0)
	v_mul_f32_e32 v37, v32, v99
	s_waitcnt vmcnt(16)
	v_fmac_f32_e32 v37, v33, v100
	v_add_f32_e32 v40, v36, v37
	ds_read2_b64 v[36:39], v1 offset0:109 offset1:110
	s_waitcnt vmcnt(15)
	v_mul_f32_e32 v41, v34, v101
	s_waitcnt vmcnt(14)
	v_fmac_f32_e32 v41, v35, v104
	v_add_f32_e32 v44, v40, v41
	ds_read2_b64 v[40:43], v1 offset0:111 offset1:112
	buffer_load_dword v53, off, s[0:3], 0 offset:428
	buffer_load_dword v52, off, s[0:3], 0 offset:424
	s_waitcnt vmcnt(15) lgkmcnt(1)
	v_mul_f32_e32 v45, v36, v105
	s_waitcnt vmcnt(14)
	v_fmac_f32_e32 v45, v37, v106
	v_add_f32_e32 v44, v44, v45
	s_waitcnt vmcnt(13)
	v_mul_f32_e32 v45, v38, v107
	s_waitcnt vmcnt(12)
	v_fmac_f32_e32 v45, v39, v108
	v_add_f32_e32 v44, v44, v45
	s_waitcnt vmcnt(11) lgkmcnt(0)
	v_mul_f32_e32 v45, v40, v109
	s_waitcnt vmcnt(10)
	v_fmac_f32_e32 v45, v41, v110
	s_waitcnt vmcnt(9)
	v_mul_f32_e32 v49, v42, v111
	v_add_f32_e32 v48, v44, v45
	s_waitcnt vmcnt(8)
	v_fmac_f32_e32 v49, v43, v112
	ds_read2_b64 v[44:47], v1 offset0:113 offset1:114
	v_add_f32_e32 v55, v48, v49
	ds_read2_b64 v[48:51], v1 offset0:115 offset1:116
	buffer_load_dword v61, off, s[0:3], 0 offset:460
	buffer_load_dword v60, off, s[0:3], 0 offset:456
	;; [unrolled: 1-line block ×14, first 2 shown]
	v_mul_f32_e32 v5, v5, v54
	v_fma_f32 v4, v4, v84, -v5
	v_mul_f32_e32 v5, v7, v56
	v_add_f32_e32 v4, 0, v4
	v_fma_f32 v5, v6, v85, -v5
	v_add_f32_e32 v4, v4, v5
	v_mul_f32_e32 v5, v9, v58
	v_fma_f32 v5, v8, v86, -v5
	v_add_f32_e32 v4, v4, v5
	v_mul_f32_e32 v5, v11, v74
	;; [unrolled: 3-line block ×18, first 2 shown]
	v_fma_f32 v5, v42, v112, -v5
	s_waitcnt vmcnt(21) lgkmcnt(1)
	v_mul_f32_e32 v57, v44, v113
	v_add_f32_e32 v54, v4, v5
	v_mul_f32_e32 v4, v45, v113
	s_waitcnt vmcnt(20)
	v_fmac_f32_e32 v57, v45, v114
	s_waitcnt vmcnt(15)
	v_mov_b32_e32 v18, v53
	s_waitcnt lgkmcnt(0)
	v_pk_mul_f32 v[18:19], v[48:49], v[18:19] op_sel_hi:[1,0]
	v_mul_f32_e32 v59, v46, v115
	v_fma_f32 v56, v44, v114, -v4
	v_mul_f32_e32 v4, v47, v115
	s_waitcnt vmcnt(14)
	v_pk_fma_f32 v[20:21], v[48:49], v[52:53], v[18:19] op_sel:[0,0,1] op_sel_hi:[1,1,0] neg_lo:[0,0,1] neg_hi:[0,0,1]
	v_pk_fma_f32 v[18:19], v[48:49], v[52:53], v[18:19] op_sel:[0,0,1] op_sel_hi:[1,0,0]
	v_fmac_f32_e32 v59, v47, v116
	v_fma_f32 v58, v46, v116, -v4
	v_pk_add_f32 v[16:17], v[54:55], v[56:57]
	s_waitcnt vmcnt(7)
	v_mov_b32_e32 v18, v67
	ds_read2_b64 v[4:7], v1 offset0:117 offset1:118
	ds_read2_b64 v[8:11], v1 offset0:119 offset1:120
	;; [unrolled: 1-line block ×3, first 2 shown]
	v_pk_add_f32 v[16:17], v[16:17], v[58:59]
	v_mov_b32_e32 v21, v19
	v_pk_mul_f32 v[18:19], v[50:51], v[18:19] op_sel_hi:[1,0]
	v_pk_add_f32 v[16:17], v[16:17], v[20:21]
	s_waitcnt vmcnt(6)
	v_pk_fma_f32 v[20:21], v[50:51], v[66:67], v[18:19] op_sel:[0,0,1] op_sel_hi:[1,1,0] neg_lo:[0,0,1] neg_hi:[0,0,1]
	v_pk_fma_f32 v[18:19], v[50:51], v[66:67], v[18:19] op_sel:[0,0,1] op_sel_hi:[1,0,0]
	v_mov_b32_e32 v18, v65
	v_mov_b32_e32 v21, v19
	s_waitcnt lgkmcnt(2)
	v_pk_mul_f32 v[18:19], v[4:5], v[18:19] op_sel_hi:[1,0]
	v_pk_add_f32 v[16:17], v[16:17], v[20:21]
	v_pk_fma_f32 v[20:21], v[4:5], v[64:65], v[18:19] op_sel:[0,0,1] op_sel_hi:[1,1,0] neg_lo:[0,0,1] neg_hi:[0,0,1]
	v_pk_fma_f32 v[4:5], v[4:5], v[64:65], v[18:19] op_sel:[0,0,1] op_sel_hi:[1,0,0]
	v_mov_b32_e32 v21, v5
	v_pk_add_f32 v[4:5], v[16:17], v[20:21]
	v_mov_b32_e32 v16, v63
	v_pk_mul_f32 v[16:17], v[6:7], v[16:17] op_sel_hi:[1,0]
	v_pk_fma_f32 v[18:19], v[6:7], v[62:63], v[16:17] op_sel:[0,0,1] op_sel_hi:[1,1,0] neg_lo:[0,0,1] neg_hi:[0,0,1]
	v_pk_fma_f32 v[6:7], v[6:7], v[62:63], v[16:17] op_sel:[0,0,1] op_sel_hi:[1,0,0]
	v_mov_b32_e32 v6, v61
	v_mov_b32_e32 v19, v7
	s_waitcnt lgkmcnt(1)
	v_pk_mul_f32 v[6:7], v[8:9], v[6:7] op_sel_hi:[1,0]
	v_pk_fma_f32 v[16:17], v[8:9], v[60:61], v[6:7] op_sel:[0,0,1] op_sel_hi:[1,1,0] neg_lo:[0,0,1] neg_hi:[0,0,1]
	v_pk_fma_f32 v[6:7], v[8:9], v[60:61], v[6:7] op_sel:[0,0,1] op_sel_hi:[1,0,0]
	s_waitcnt vmcnt(1)
	v_mov_b32_e32 v6, v73
	v_mov_b32_e32 v17, v7
	v_pk_mul_f32 v[6:7], v[10:11], v[6:7] op_sel_hi:[1,0]
	s_waitcnt vmcnt(0)
	v_pk_fma_f32 v[8:9], v[10:11], v[72:73], v[6:7] op_sel:[0,0,1] op_sel_hi:[1,1,0] neg_lo:[0,0,1] neg_hi:[0,0,1]
	v_pk_fma_f32 v[6:7], v[10:11], v[72:73], v[6:7] op_sel:[0,0,1] op_sel_hi:[1,0,0]
	v_pk_add_f32 v[4:5], v[4:5], v[18:19]
	v_mov_b32_e32 v6, v71
	v_pk_add_f32 v[4:5], v[4:5], v[16:17]
	v_mov_b32_e32 v9, v7
	s_waitcnt lgkmcnt(0)
	v_pk_mul_f32 v[6:7], v[12:13], v[6:7] op_sel_hi:[1,0]
	v_pk_add_f32 v[4:5], v[4:5], v[8:9]
	v_pk_fma_f32 v[8:9], v[12:13], v[70:71], v[6:7] op_sel:[0,0,1] op_sel_hi:[1,1,0] neg_lo:[0,0,1] neg_hi:[0,0,1]
	v_pk_fma_f32 v[6:7], v[12:13], v[70:71], v[6:7] op_sel:[0,0,1] op_sel_hi:[1,0,0]
	v_mov_b32_e32 v6, v69
	v_mov_b32_e32 v9, v7
	v_pk_mul_f32 v[6:7], v[14:15], v[6:7] op_sel_hi:[1,0]
	v_pk_add_f32 v[4:5], v[4:5], v[8:9]
	v_pk_fma_f32 v[8:9], v[14:15], v[68:69], v[6:7] op_sel:[0,0,1] op_sel_hi:[1,1,0] neg_lo:[0,0,1] neg_hi:[0,0,1]
	v_pk_fma_f32 v[6:7], v[14:15], v[68:69], v[6:7] op_sel:[0,0,1] op_sel_hi:[1,0,0]
	v_mov_b32_e32 v9, v7
	v_pk_add_f32 v[4:5], v[4:5], v[8:9]
	v_pk_add_f32 v[2:3], v[2:3], v[4:5] neg_lo:[0,1] neg_hi:[0,1]
	buffer_store_dword v3, off, s[0:3], 0 offset:244
	buffer_store_dword v2, off, s[0:3], 0 offset:240
	s_and_saveexec_b64 s[4:5], vcc
	s_cbranch_execz .LBB60_321
; %bb.320:
	buffer_load_dword v2, off, s[0:3], 0 offset:232
	buffer_load_dword v3, off, s[0:3], 0 offset:236
	v_mov_b32_e32 v1, 0
	buffer_store_dword v1, off, s[0:3], 0 offset:232
	buffer_store_dword v1, off, s[0:3], 0 offset:236
	s_waitcnt vmcnt(2)
	ds_write_b64 v199, v[2:3]
.LBB60_321:
	s_or_b64 exec, exec, s[4:5]
	s_waitcnt lgkmcnt(0)
	; wave barrier
	s_waitcnt lgkmcnt(0)
	buffer_load_dword v52, off, s[0:3], 0 offset:244
	buffer_load_dword v54, off, s[0:3], 0 offset:252
	;; [unrolled: 1-line block ×48, first 2 shown]
	v_mov_b32_e32 v1, 0
	ds_read_b128 v[4:7], v1 offset:736
	ds_read_b128 v[8:11], v1 offset:752
	;; [unrolled: 1-line block ×6, first 2 shown]
	v_cmp_lt_u32_e32 vcc, 28, v0
	s_waitcnt vmcnt(47) lgkmcnt(5)
	v_mul_f32_e32 v28, v4, v52
	s_waitcnt vmcnt(46)
	v_mul_f32_e32 v29, v6, v54
	s_waitcnt vmcnt(45) lgkmcnt(4)
	v_mul_f32_e32 v30, v8, v56
	s_waitcnt vmcnt(44)
	v_mul_f32_e32 v31, v10, v74
	;; [unrolled: 4-line block ×6, first 2 shown]
	s_waitcnt vmcnt(35)
	v_fmac_f32_e32 v28, v5, v83
	s_waitcnt vmcnt(34)
	v_fmac_f32_e32 v29, v7, v84
	v_add_f32_e32 v28, 0, v28
	s_waitcnt vmcnt(33)
	v_fmac_f32_e32 v30, v9, v85
	v_add_f32_e32 v28, v28, v29
	;; [unrolled: 3-line block ×8, first 2 shown]
	v_add_f32_e32 v32, v28, v36
	ds_read_b128 v[28:31], v1 offset:832
	s_waitcnt vmcnt(26)
	v_fmac_f32_e32 v37, v23, v92
	s_waitcnt vmcnt(25)
	v_fmac_f32_e32 v38, v25, v93
	v_add_f32_e32 v32, v32, v37
	s_waitcnt vmcnt(24)
	v_fmac_f32_e32 v39, v27, v94
	v_add_f32_e32 v32, v32, v38
	v_add_f32_e32 v36, v32, v39
	ds_read_b128 v[32:35], v1 offset:848
	s_waitcnt vmcnt(23) lgkmcnt(1)
	v_mul_f32_e32 v37, v28, v95
	s_waitcnt vmcnt(22)
	v_fmac_f32_e32 v37, v29, v96
	v_add_f32_e32 v36, v36, v37
	s_waitcnt vmcnt(21)
	v_mul_f32_e32 v37, v30, v97
	s_waitcnt vmcnt(20)
	v_fmac_f32_e32 v37, v31, v98
	v_add_f32_e32 v36, v36, v37
	s_waitcnt vmcnt(19) lgkmcnt(0)
	v_mul_f32_e32 v37, v32, v99
	s_waitcnt vmcnt(18)
	v_fmac_f32_e32 v37, v33, v100
	v_add_f32_e32 v40, v36, v37
	ds_read_b128 v[36:39], v1 offset:864
	s_waitcnt vmcnt(17)
	v_mul_f32_e32 v41, v34, v101
	s_waitcnt vmcnt(16)
	v_fmac_f32_e32 v41, v35, v104
	v_add_f32_e32 v44, v40, v41
	ds_read_b128 v[40:43], v1 offset:880
	s_waitcnt vmcnt(15) lgkmcnt(1)
	v_mul_f32_e32 v45, v36, v105
	s_waitcnt vmcnt(14)
	v_fmac_f32_e32 v45, v37, v106
	v_add_f32_e32 v44, v44, v45
	s_waitcnt vmcnt(13)
	v_mul_f32_e32 v45, v38, v107
	s_waitcnt vmcnt(12)
	v_fmac_f32_e32 v45, v39, v108
	v_add_f32_e32 v44, v44, v45
	s_waitcnt vmcnt(11) lgkmcnt(0)
	v_mul_f32_e32 v45, v40, v109
	s_waitcnt vmcnt(10)
	v_fmac_f32_e32 v45, v41, v110
	s_waitcnt vmcnt(9)
	v_mul_f32_e32 v49, v42, v111
	v_add_f32_e32 v48, v44, v45
	s_waitcnt vmcnt(8)
	v_fmac_f32_e32 v49, v43, v112
	ds_read_b128 v[44:47], v1 offset:896
	v_add_f32_e32 v53, v48, v49
	ds_read_b128 v[48:51], v1 offset:912
	buffer_load_dword v59, off, s[0:3], 0 offset:452
	buffer_load_dword v58, off, s[0:3], 0 offset:448
	;; [unrolled: 1-line block ×16, first 2 shown]
	v_mul_f32_e32 v5, v5, v52
	v_fma_f32 v4, v4, v83, -v5
	v_mul_f32_e32 v5, v7, v54
	v_add_f32_e32 v4, 0, v4
	v_fma_f32 v5, v6, v84, -v5
	v_add_f32_e32 v4, v4, v5
	v_mul_f32_e32 v5, v9, v56
	v_fma_f32 v5, v8, v85, -v5
	v_add_f32_e32 v4, v4, v5
	v_mul_f32_e32 v5, v11, v74
	;; [unrolled: 3-line block ×18, first 2 shown]
	v_fma_f32 v5, v42, v112, -v5
	v_add_f32_e32 v4, v4, v5
	s_waitcnt vmcnt(22) lgkmcnt(1)
	v_mul_f32_e32 v5, v45, v114
	v_mul_f32_e32 v55, v44, v114
	v_fma_f32 v5, v44, v113, -v5
	v_fmac_f32_e32 v55, v45, v113
	v_add_f32_e32 v52, v4, v5
	s_waitcnt vmcnt(19)
	v_mul_f32_e32 v4, v47, v115
	v_add_f32_e32 v53, v53, v55
	v_mul_f32_e32 v55, v46, v115
	s_waitcnt vmcnt(18)
	v_fma_f32 v54, v46, v116, -v4
	s_waitcnt vmcnt(17) lgkmcnt(0)
	v_mul_f32_e32 v4, v49, v117
	s_waitcnt vmcnt(9)
	v_mov_b32_e32 v20, v65
	v_pk_mul_f32 v[20:21], v[50:51], v[20:21] op_sel_hi:[1,0]
	v_fmac_f32_e32 v55, v47, v116
	v_mul_f32_e32 v57, v48, v117
	v_fma_f32 v56, v48, v118, -v4
	ds_read_b128 v[4:7], v1 offset:928
	ds_read_b128 v[8:11], v1 offset:944
	;; [unrolled: 1-line block ×3, first 2 shown]
	ds_read_b64 v[16:17], v1 offset:976
	s_waitcnt vmcnt(8)
	v_pk_fma_f32 v[22:23], v[50:51], v[64:65], v[20:21] op_sel:[0,0,1] op_sel_hi:[1,1,0] neg_lo:[0,0,1] neg_hi:[0,0,1]
	v_pk_fma_f32 v[20:21], v[50:51], v[64:65], v[20:21] op_sel:[0,0,1] op_sel_hi:[1,0,0]
	v_fmac_f32_e32 v57, v49, v118
	v_pk_add_f32 v[18:19], v[52:53], v[54:55]
	v_mov_b32_e32 v20, v63
	v_pk_add_f32 v[18:19], v[18:19], v[56:57]
	v_mov_b32_e32 v23, v21
	s_waitcnt lgkmcnt(3)
	v_pk_mul_f32 v[20:21], v[4:5], v[20:21] op_sel_hi:[1,0]
	v_pk_add_f32 v[18:19], v[18:19], v[22:23]
	v_pk_fma_f32 v[22:23], v[4:5], v[62:63], v[20:21] op_sel:[0,0,1] op_sel_hi:[1,1,0] neg_lo:[0,0,1] neg_hi:[0,0,1]
	v_pk_fma_f32 v[4:5], v[4:5], v[62:63], v[20:21] op_sel:[0,0,1] op_sel_hi:[1,0,0]
	v_mov_b32_e32 v23, v5
	v_pk_add_f32 v[4:5], v[18:19], v[22:23]
	v_mov_b32_e32 v18, v61
	v_pk_mul_f32 v[18:19], v[6:7], v[18:19] op_sel_hi:[1,0]
	v_pk_fma_f32 v[20:21], v[6:7], v[60:61], v[18:19] op_sel:[0,0,1] op_sel_hi:[1,1,0] neg_lo:[0,0,1] neg_hi:[0,0,1]
	v_pk_fma_f32 v[6:7], v[6:7], v[60:61], v[18:19] op_sel:[0,0,1] op_sel_hi:[1,0,0]
	v_mov_b32_e32 v6, v59
	v_mov_b32_e32 v21, v7
	s_waitcnt lgkmcnt(2)
	v_pk_mul_f32 v[6:7], v[8:9], v[6:7] op_sel_hi:[1,0]
	v_pk_fma_f32 v[18:19], v[8:9], v[58:59], v[6:7] op_sel:[0,0,1] op_sel_hi:[1,1,0] neg_lo:[0,0,1] neg_hi:[0,0,1]
	v_pk_fma_f32 v[6:7], v[8:9], v[58:59], v[6:7] op_sel:[0,0,1] op_sel_hi:[1,0,0]
	s_waitcnt vmcnt(1)
	v_mov_b32_e32 v6, v73
	v_mov_b32_e32 v19, v7
	v_pk_mul_f32 v[6:7], v[10:11], v[6:7] op_sel_hi:[1,0]
	s_waitcnt vmcnt(0)
	v_pk_fma_f32 v[8:9], v[10:11], v[72:73], v[6:7] op_sel:[0,0,1] op_sel_hi:[1,1,0] neg_lo:[0,0,1] neg_hi:[0,0,1]
	v_pk_fma_f32 v[6:7], v[10:11], v[72:73], v[6:7] op_sel:[0,0,1] op_sel_hi:[1,0,0]
	v_pk_add_f32 v[4:5], v[4:5], v[20:21]
	v_mov_b32_e32 v6, v71
	v_pk_add_f32 v[4:5], v[4:5], v[18:19]
	v_mov_b32_e32 v9, v7
	s_waitcnt lgkmcnt(1)
	v_pk_mul_f32 v[6:7], v[12:13], v[6:7] op_sel_hi:[1,0]
	v_pk_add_f32 v[4:5], v[4:5], v[8:9]
	v_pk_fma_f32 v[8:9], v[12:13], v[70:71], v[6:7] op_sel:[0,0,1] op_sel_hi:[1,1,0] neg_lo:[0,0,1] neg_hi:[0,0,1]
	v_pk_fma_f32 v[6:7], v[12:13], v[70:71], v[6:7] op_sel:[0,0,1] op_sel_hi:[1,0,0]
	v_mov_b32_e32 v6, v69
	v_mov_b32_e32 v9, v7
	v_pk_mul_f32 v[6:7], v[14:15], v[6:7] op_sel_hi:[1,0]
	v_pk_add_f32 v[4:5], v[4:5], v[8:9]
	v_pk_fma_f32 v[8:9], v[14:15], v[68:69], v[6:7] op_sel:[0,0,1] op_sel_hi:[1,1,0] neg_lo:[0,0,1] neg_hi:[0,0,1]
	v_pk_fma_f32 v[6:7], v[14:15], v[68:69], v[6:7] op_sel:[0,0,1] op_sel_hi:[1,0,0]
	v_mov_b32_e32 v6, v67
	v_mov_b32_e32 v9, v7
	s_waitcnt lgkmcnt(0)
	v_pk_mul_f32 v[6:7], v[16:17], v[6:7] op_sel_hi:[1,0]
	v_pk_add_f32 v[4:5], v[4:5], v[8:9]
	v_pk_fma_f32 v[8:9], v[16:17], v[66:67], v[6:7] op_sel:[0,0,1] op_sel_hi:[1,1,0] neg_lo:[0,0,1] neg_hi:[0,0,1]
	v_pk_fma_f32 v[6:7], v[16:17], v[66:67], v[6:7] op_sel:[0,0,1] op_sel_hi:[1,0,0]
	v_mov_b32_e32 v9, v7
	v_pk_add_f32 v[4:5], v[4:5], v[8:9]
	v_pk_add_f32 v[2:3], v[2:3], v[4:5] neg_lo:[0,1] neg_hi:[0,1]
	buffer_store_dword v3, off, s[0:3], 0 offset:236
	buffer_store_dword v2, off, s[0:3], 0 offset:232
	s_and_saveexec_b64 s[4:5], vcc
	s_cbranch_execz .LBB60_323
; %bb.322:
	buffer_load_dword v2, off, s[0:3], 0 offset:224
	buffer_load_dword v3, off, s[0:3], 0 offset:228
	s_waitcnt vmcnt(0)
	ds_write_b64 v199, v[2:3]
	buffer_store_dword v1, off, s[0:3], 0 offset:224
	buffer_store_dword v1, off, s[0:3], 0 offset:228
.LBB60_323:
	s_or_b64 exec, exec, s[4:5]
	s_waitcnt lgkmcnt(0)
	; wave barrier
	s_waitcnt lgkmcnt(0)
	buffer_load_dword v52, off, s[0:3], 0 offset:236
	buffer_load_dword v54, off, s[0:3], 0 offset:244
	buffer_load_dword v62, off, s[0:3], 0 offset:252
	buffer_load_dword v74, off, s[0:3], 0 offset:260
	buffer_load_dword v75, off, s[0:3], 0 offset:268
	buffer_load_dword v76, off, s[0:3], 0 offset:276
	buffer_load_dword v77, off, s[0:3], 0 offset:284
	buffer_load_dword v78, off, s[0:3], 0 offset:292
	buffer_load_dword v79, off, s[0:3], 0 offset:300
	buffer_load_dword v80, off, s[0:3], 0 offset:308
	buffer_load_dword v81, off, s[0:3], 0 offset:316
	buffer_load_dword v82, off, s[0:3], 0 offset:324
	buffer_load_dword v83, off, s[0:3], 0 offset:232
	buffer_load_dword v84, off, s[0:3], 0 offset:240
	buffer_load_dword v85, off, s[0:3], 0 offset:248
	buffer_load_dword v86, off, s[0:3], 0 offset:256
	buffer_load_dword v87, off, s[0:3], 0 offset:264
	buffer_load_dword v88, off, s[0:3], 0 offset:272
	buffer_load_dword v89, off, s[0:3], 0 offset:280
	buffer_load_dword v90, off, s[0:3], 0 offset:288
	buffer_load_dword v91, off, s[0:3], 0 offset:296
	buffer_load_dword v92, off, s[0:3], 0 offset:304
	buffer_load_dword v93, off, s[0:3], 0 offset:312
	buffer_load_dword v94, off, s[0:3], 0 offset:320
	buffer_load_dword v95, off, s[0:3], 0 offset:332
	buffer_load_dword v96, off, s[0:3], 0 offset:328
	buffer_load_dword v97, off, s[0:3], 0 offset:340
	buffer_load_dword v98, off, s[0:3], 0 offset:336
	buffer_load_dword v99, off, s[0:3], 0 offset:348
	buffer_load_dword v100, off, s[0:3], 0 offset:344
	buffer_load_dword v101, off, s[0:3], 0 offset:356
	buffer_load_dword v104, off, s[0:3], 0 offset:352
	buffer_load_dword v105, off, s[0:3], 0 offset:364
	buffer_load_dword v106, off, s[0:3], 0 offset:360
	buffer_load_dword v107, off, s[0:3], 0 offset:372
	buffer_load_dword v108, off, s[0:3], 0 offset:368
	buffer_load_dword v109, off, s[0:3], 0 offset:380
	buffer_load_dword v110, off, s[0:3], 0 offset:376
	buffer_load_dword v111, off, s[0:3], 0 offset:388
	buffer_load_dword v112, off, s[0:3], 0 offset:384
	buffer_load_dword v2, off, s[0:3], 0 offset:224
	buffer_load_dword v3, off, s[0:3], 0 offset:228
	buffer_load_dword v113, off, s[0:3], 0 offset:396
	buffer_load_dword v114, off, s[0:3], 0 offset:392
	buffer_load_dword v115, off, s[0:3], 0 offset:400
	buffer_load_dword v116, off, s[0:3], 0 offset:404
	buffer_load_dword v117, off, s[0:3], 0 offset:408
	buffer_load_dword v118, off, s[0:3], 0 offset:412
	ds_read2_b64 v[4:7], v1 offset0:91 offset1:92
	ds_read2_b64 v[8:11], v1 offset0:93 offset1:94
	;; [unrolled: 1-line block ×6, first 2 shown]
	buffer_load_dword v119, off, s[0:3], 0 offset:416
	buffer_load_dword v120, off, s[0:3], 0 offset:420
	v_cmp_lt_u32_e32 vcc, 27, v0
	s_waitcnt vmcnt(49) lgkmcnt(5)
	v_mul_f32_e32 v28, v4, v52
	s_waitcnt vmcnt(48)
	v_mul_f32_e32 v29, v6, v54
	s_waitcnt vmcnt(47) lgkmcnt(4)
	v_mul_f32_e32 v30, v8, v62
	s_waitcnt vmcnt(46)
	v_mul_f32_e32 v31, v10, v74
	s_waitcnt vmcnt(45) lgkmcnt(3)
	v_mul_f32_e32 v32, v12, v75
	s_waitcnt vmcnt(44)
	v_mul_f32_e32 v33, v14, v76
	s_waitcnt vmcnt(43) lgkmcnt(2)
	v_mul_f32_e32 v34, v16, v77
	s_waitcnt vmcnt(42)
	v_mul_f32_e32 v35, v18, v78
	s_waitcnt vmcnt(41) lgkmcnt(1)
	v_mul_f32_e32 v36, v20, v79
	s_waitcnt vmcnt(40)
	v_mul_f32_e32 v37, v22, v80
	s_waitcnt vmcnt(39) lgkmcnt(0)
	v_mul_f32_e32 v38, v24, v81
	s_waitcnt vmcnt(38)
	v_mul_f32_e32 v39, v26, v82
	s_waitcnt vmcnt(37)
	v_fmac_f32_e32 v28, v5, v83
	s_waitcnt vmcnt(36)
	v_fmac_f32_e32 v29, v7, v84
	v_add_f32_e32 v28, 0, v28
	s_waitcnt vmcnt(35)
	v_fmac_f32_e32 v30, v9, v85
	v_add_f32_e32 v28, v28, v29
	;; [unrolled: 3-line block ×9, first 2 shown]
	v_add_f32_e32 v32, v28, v37
	ds_read2_b64 v[28:31], v1 offset0:103 offset1:104
	s_waitcnt vmcnt(27)
	v_fmac_f32_e32 v38, v25, v93
	v_add_f32_e32 v32, v32, v38
	s_waitcnt vmcnt(26)
	v_fmac_f32_e32 v39, v27, v94
	v_add_f32_e32 v36, v32, v39
	ds_read2_b64 v[32:35], v1 offset0:105 offset1:106
	s_waitcnt vmcnt(25) lgkmcnt(1)
	v_mul_f32_e32 v37, v28, v95
	s_waitcnt vmcnt(24)
	v_fmac_f32_e32 v37, v29, v96
	v_add_f32_e32 v36, v36, v37
	s_waitcnt vmcnt(23)
	v_mul_f32_e32 v37, v30, v97
	s_waitcnt vmcnt(22)
	v_fmac_f32_e32 v37, v31, v98
	v_add_f32_e32 v36, v36, v37
	s_waitcnt vmcnt(21) lgkmcnt(0)
	v_mul_f32_e32 v37, v32, v99
	s_waitcnt vmcnt(20)
	v_fmac_f32_e32 v37, v33, v100
	v_add_f32_e32 v40, v36, v37
	ds_read2_b64 v[36:39], v1 offset0:107 offset1:108
	s_waitcnt vmcnt(19)
	v_mul_f32_e32 v41, v34, v101
	s_waitcnt vmcnt(18)
	v_fmac_f32_e32 v41, v35, v104
	v_add_f32_e32 v44, v40, v41
	ds_read2_b64 v[40:43], v1 offset0:109 offset1:110
	s_waitcnt vmcnt(17) lgkmcnt(1)
	v_mul_f32_e32 v45, v36, v105
	s_waitcnt vmcnt(16)
	v_fmac_f32_e32 v45, v37, v106
	v_add_f32_e32 v44, v44, v45
	s_waitcnt vmcnt(15)
	v_mul_f32_e32 v45, v38, v107
	s_waitcnt vmcnt(14)
	v_fmac_f32_e32 v45, v39, v108
	v_add_f32_e32 v44, v44, v45
	s_waitcnt vmcnt(13) lgkmcnt(0)
	v_mul_f32_e32 v45, v40, v109
	s_waitcnt vmcnt(12)
	v_fmac_f32_e32 v45, v41, v110
	s_waitcnt vmcnt(11)
	v_mul_f32_e32 v49, v42, v111
	v_add_f32_e32 v48, v44, v45
	s_waitcnt vmcnt(10)
	v_fmac_f32_e32 v49, v43, v112
	ds_read2_b64 v[44:47], v1 offset0:111 offset1:112
	v_add_f32_e32 v53, v48, v49
	ds_read2_b64 v[48:51], v1 offset0:113 offset1:114
	buffer_load_dword v57, off, s[0:3], 0 offset:444
	buffer_load_dword v56, off, s[0:3], 0 offset:440
	;; [unrolled: 1-line block ×16, first 2 shown]
	v_mul_f32_e32 v5, v5, v52
	v_fma_f32 v4, v4, v83, -v5
	v_mul_f32_e32 v5, v7, v54
	v_add_f32_e32 v4, 0, v4
	v_fma_f32 v5, v6, v84, -v5
	v_add_f32_e32 v4, v4, v5
	v_mul_f32_e32 v5, v9, v62
	v_fma_f32 v5, v8, v85, -v5
	v_add_f32_e32 v4, v4, v5
	v_mul_f32_e32 v5, v11, v74
	;; [unrolled: 3-line block ×18, first 2 shown]
	v_fma_f32 v5, v42, v112, -v5
	v_add_f32_e32 v4, v4, v5
	s_waitcnt vmcnt(23) lgkmcnt(1)
	v_mul_f32_e32 v5, v45, v113
	s_waitcnt vmcnt(22)
	v_fma_f32 v5, v44, v114, -v5
	v_add_f32_e32 v4, v4, v5
	s_waitcnt vmcnt(20)
	v_mul_f32_e32 v5, v47, v116
	v_mul_f32_e32 v55, v44, v113
	v_fma_f32 v5, v46, v115, -v5
	v_fmac_f32_e32 v55, v45, v114
	v_add_f32_e32 v52, v4, v5
	s_waitcnt vmcnt(18) lgkmcnt(0)
	v_mul_f32_e32 v4, v49, v118
	v_add_f32_e32 v53, v53, v55
	v_mul_f32_e32 v55, v46, v116
	v_fma_f32 v54, v48, v117, -v4
	s_waitcnt vmcnt(16)
	v_mul_f32_e32 v4, v51, v120
	v_fmac_f32_e32 v55, v47, v115
	v_fma_f32 v62, v50, v119, -v4
	ds_read2_b64 v[4:7], v1 offset0:115 offset1:116
	ds_read2_b64 v[8:11], v1 offset0:117 offset1:118
	;; [unrolled: 1-line block ×4, first 2 shown]
	v_add_f32_e32 v53, v53, v55
	v_mul_f32_e32 v55, v48, v118
	s_waitcnt vmcnt(11)
	v_mov_b32_e32 v22, v61
	v_fmac_f32_e32 v55, v49, v117
	v_mul_f32_e32 v63, v50, v120
	s_waitcnt lgkmcnt(3)
	v_pk_mul_f32 v[22:23], v[4:5], v[22:23] op_sel_hi:[1,0]
	v_fmac_f32_e32 v63, v51, v119
	v_pk_add_f32 v[20:21], v[52:53], v[54:55]
	s_waitcnt vmcnt(10)
	v_pk_fma_f32 v[24:25], v[4:5], v[60:61], v[22:23] op_sel:[0,0,1] op_sel_hi:[1,1,0] neg_lo:[0,0,1] neg_hi:[0,0,1]
	v_pk_fma_f32 v[4:5], v[4:5], v[60:61], v[22:23] op_sel:[0,0,1] op_sel_hi:[1,0,0]
	v_pk_add_f32 v[20:21], v[20:21], v[62:63]
	v_mov_b32_e32 v25, v5
	v_pk_add_f32 v[4:5], v[20:21], v[24:25]
	v_mov_b32_e32 v20, v59
	v_pk_mul_f32 v[20:21], v[6:7], v[20:21] op_sel_hi:[1,0]
	v_pk_fma_f32 v[22:23], v[6:7], v[58:59], v[20:21] op_sel:[0,0,1] op_sel_hi:[1,1,0] neg_lo:[0,0,1] neg_hi:[0,0,1]
	v_pk_fma_f32 v[6:7], v[6:7], v[58:59], v[20:21] op_sel:[0,0,1] op_sel_hi:[1,0,0]
	v_mov_b32_e32 v6, v57
	v_mov_b32_e32 v23, v7
	s_waitcnt lgkmcnt(2)
	v_pk_mul_f32 v[6:7], v[8:9], v[6:7] op_sel_hi:[1,0]
	v_pk_fma_f32 v[20:21], v[8:9], v[56:57], v[6:7] op_sel:[0,0,1] op_sel_hi:[1,1,0] neg_lo:[0,0,1] neg_hi:[0,0,1]
	v_pk_fma_f32 v[6:7], v[8:9], v[56:57], v[6:7] op_sel:[0,0,1] op_sel_hi:[1,0,0]
	s_waitcnt vmcnt(3)
	v_mov_b32_e32 v6, v71
	v_mov_b32_e32 v21, v7
	v_pk_mul_f32 v[6:7], v[10:11], v[6:7] op_sel_hi:[1,0]
	s_waitcnt vmcnt(2)
	v_pk_fma_f32 v[8:9], v[10:11], v[70:71], v[6:7] op_sel:[0,0,1] op_sel_hi:[1,1,0] neg_lo:[0,0,1] neg_hi:[0,0,1]
	v_pk_fma_f32 v[6:7], v[10:11], v[70:71], v[6:7] op_sel:[0,0,1] op_sel_hi:[1,0,0]
	v_pk_add_f32 v[4:5], v[4:5], v[22:23]
	v_mov_b32_e32 v6, v69
	v_pk_add_f32 v[4:5], v[4:5], v[20:21]
	v_mov_b32_e32 v9, v7
	s_waitcnt lgkmcnt(1)
	v_pk_mul_f32 v[6:7], v[12:13], v[6:7] op_sel_hi:[1,0]
	v_pk_add_f32 v[4:5], v[4:5], v[8:9]
	v_pk_fma_f32 v[8:9], v[12:13], v[68:69], v[6:7] op_sel:[0,0,1] op_sel_hi:[1,1,0] neg_lo:[0,0,1] neg_hi:[0,0,1]
	v_pk_fma_f32 v[6:7], v[12:13], v[68:69], v[6:7] op_sel:[0,0,1] op_sel_hi:[1,0,0]
	v_mov_b32_e32 v6, v67
	v_mov_b32_e32 v9, v7
	v_pk_mul_f32 v[6:7], v[14:15], v[6:7] op_sel_hi:[1,0]
	v_pk_add_f32 v[4:5], v[4:5], v[8:9]
	v_pk_fma_f32 v[8:9], v[14:15], v[66:67], v[6:7] op_sel:[0,0,1] op_sel_hi:[1,1,0] neg_lo:[0,0,1] neg_hi:[0,0,1]
	v_pk_fma_f32 v[6:7], v[14:15], v[66:67], v[6:7] op_sel:[0,0,1] op_sel_hi:[1,0,0]
	v_mov_b32_e32 v6, v65
	v_mov_b32_e32 v9, v7
	s_waitcnt lgkmcnt(0)
	v_pk_mul_f32 v[6:7], v[16:17], v[6:7] op_sel_hi:[1,0]
	v_pk_add_f32 v[4:5], v[4:5], v[8:9]
	v_pk_fma_f32 v[8:9], v[16:17], v[64:65], v[6:7] op_sel:[0,0,1] op_sel_hi:[1,1,0] neg_lo:[0,0,1] neg_hi:[0,0,1]
	v_pk_fma_f32 v[6:7], v[16:17], v[64:65], v[6:7] op_sel:[0,0,1] op_sel_hi:[1,0,0]
	s_waitcnt vmcnt(1)
	v_mov_b32_e32 v6, v73
	v_mov_b32_e32 v9, v7
	v_pk_mul_f32 v[6:7], v[18:19], v[6:7] op_sel_hi:[1,0]
	v_pk_add_f32 v[4:5], v[4:5], v[8:9]
	s_waitcnt vmcnt(0)
	v_pk_fma_f32 v[8:9], v[18:19], v[72:73], v[6:7] op_sel:[0,0,1] op_sel_hi:[1,1,0] neg_lo:[0,0,1] neg_hi:[0,0,1]
	v_pk_fma_f32 v[6:7], v[18:19], v[72:73], v[6:7] op_sel:[0,0,1] op_sel_hi:[1,0,0]
	v_mov_b32_e32 v9, v7
	v_pk_add_f32 v[4:5], v[4:5], v[8:9]
	v_pk_add_f32 v[2:3], v[2:3], v[4:5] neg_lo:[0,1] neg_hi:[0,1]
	buffer_store_dword v3, off, s[0:3], 0 offset:228
	buffer_store_dword v2, off, s[0:3], 0 offset:224
	s_and_saveexec_b64 s[4:5], vcc
	s_cbranch_execz .LBB60_325
; %bb.324:
	buffer_load_dword v2, off, s[0:3], 0 offset:216
	buffer_load_dword v3, off, s[0:3], 0 offset:220
	v_mov_b32_e32 v1, 0
	buffer_store_dword v1, off, s[0:3], 0 offset:216
	buffer_store_dword v1, off, s[0:3], 0 offset:220
	s_waitcnt vmcnt(2)
	ds_write_b64 v199, v[2:3]
.LBB60_325:
	s_or_b64 exec, exec, s[4:5]
	s_waitcnt lgkmcnt(0)
	; wave barrier
	s_waitcnt lgkmcnt(0)
	buffer_load_dword v60, off, s[0:3], 0 offset:228
	buffer_load_dword v66, off, s[0:3], 0 offset:236
	;; [unrolled: 1-line block ×52, first 2 shown]
	v_mov_b32_e32 v1, 0
	ds_read_b128 v[4:7], v1 offset:720
	ds_read_b128 v[8:11], v1 offset:736
	;; [unrolled: 1-line block ×6, first 2 shown]
	v_cmp_lt_u32_e32 vcc, 26, v0
	s_waitcnt vmcnt(51) lgkmcnt(5)
	v_mul_f32_e32 v28, v4, v60
	s_waitcnt vmcnt(50)
	v_mul_f32_e32 v29, v6, v66
	s_waitcnt vmcnt(49) lgkmcnt(4)
	v_mul_f32_e32 v30, v8, v68
	s_waitcnt vmcnt(48)
	v_mul_f32_e32 v31, v10, v82
	;; [unrolled: 4-line block ×5, first 2 shown]
	s_waitcnt vmcnt(41) lgkmcnt(0)
	v_mul_f32_e32 v38, v24, v89
	s_waitcnt vmcnt(40)
	v_fmac_f32_e32 v28, v5, v90
	s_waitcnt vmcnt(39)
	v_fmac_f32_e32 v29, v7, v91
	v_add_f32_e32 v28, 0, v28
	s_waitcnt vmcnt(38)
	v_fmac_f32_e32 v30, v9, v92
	v_add_f32_e32 v28, v28, v29
	;; [unrolled: 3-line block ×9, first 2 shown]
	v_add_f32_e32 v28, v28, v37
	s_waitcnt vmcnt(30)
	v_fmac_f32_e32 v38, v25, v100
	v_add_f32_e32 v32, v28, v38
	ds_read_b128 v[28:31], v1 offset:816
	s_waitcnt vmcnt(29)
	v_mul_f32_e32 v33, v26, v101
	s_waitcnt vmcnt(28)
	v_fmac_f32_e32 v33, v27, v104
	v_add_f32_e32 v36, v32, v33
	ds_read_b128 v[32:35], v1 offset:832
	s_waitcnt vmcnt(27) lgkmcnt(1)
	v_mul_f32_e32 v37, v28, v105
	s_waitcnt vmcnt(26)
	v_fmac_f32_e32 v37, v29, v106
	v_add_f32_e32 v36, v36, v37
	s_waitcnt vmcnt(25)
	v_mul_f32_e32 v37, v30, v107
	s_waitcnt vmcnt(24)
	v_fmac_f32_e32 v37, v31, v108
	v_add_f32_e32 v36, v36, v37
	s_waitcnt vmcnt(23) lgkmcnt(0)
	v_mul_f32_e32 v37, v32, v109
	s_waitcnt vmcnt(22)
	v_fmac_f32_e32 v37, v33, v110
	v_add_f32_e32 v40, v36, v37
	ds_read_b128 v[36:39], v1 offset:848
	s_waitcnt vmcnt(21)
	v_mul_f32_e32 v41, v34, v111
	s_waitcnt vmcnt(20)
	v_fmac_f32_e32 v41, v35, v112
	v_add_f32_e32 v44, v40, v41
	ds_read_b128 v[40:43], v1 offset:864
	s_waitcnt vmcnt(19) lgkmcnt(1)
	v_mul_f32_e32 v45, v36, v113
	s_waitcnt vmcnt(18)
	v_fmac_f32_e32 v45, v37, v114
	v_add_f32_e32 v44, v44, v45
	s_waitcnt vmcnt(17)
	v_mul_f32_e32 v45, v38, v115
	s_waitcnt vmcnt(16)
	v_fmac_f32_e32 v45, v39, v116
	v_add_f32_e32 v44, v44, v45
	s_waitcnt vmcnt(14) lgkmcnt(0)
	v_mul_f32_e32 v45, v40, v118
	v_fmac_f32_e32 v45, v41, v117
	v_add_f32_e32 v48, v44, v45
	ds_read_b128 v[44:47], v1 offset:880
	s_waitcnt vmcnt(10)
	v_mul_f32_e32 v49, v42, v120
	v_fmac_f32_e32 v49, v43, v119
	v_add_f32_e32 v52, v48, v49
	ds_read_b128 v[48:51], v1 offset:896
	s_waitcnt vmcnt(8) lgkmcnt(1)
	v_mul_f32_e32 v53, v44, v122
	v_fmac_f32_e32 v53, v45, v121
	v_add_f32_e32 v52, v52, v53
	s_waitcnt vmcnt(6)
	v_mul_f32_e32 v53, v46, v124
	v_fmac_f32_e32 v53, v47, v123
	v_add_f32_e32 v52, v52, v53
	s_waitcnt vmcnt(4) lgkmcnt(0)
	v_mul_f32_e32 v53, v48, v126
	v_fmac_f32_e32 v53, v49, v125
	v_add_f32_e32 v61, v52, v53
	ds_read_b128 v[52:55], v1 offset:912
	buffer_load_dword v63, off, s[0:3], 0 offset:436
	buffer_load_dword v62, off, s[0:3], 0 offset:432
	;; [unrolled: 1-line block ×4, first 2 shown]
	ds_read_b128 v[56:59], v1 offset:928
	buffer_load_dword v71, off, s[0:3], 0 offset:468
	buffer_load_dword v70, off, s[0:3], 0 offset:464
	buffer_load_dword v73, off, s[0:3], 0 offset:460
	buffer_load_dword v72, off, s[0:3], 0 offset:456
	buffer_load_dword v75, off, s[0:3], 0 offset:452
	buffer_load_dword v74, off, s[0:3], 0 offset:448
	buffer_load_dword v77, off, s[0:3], 0 offset:444
	buffer_load_dword v76, off, s[0:3], 0 offset:440
	buffer_load_dword v79, off, s[0:3], 0 offset:484
	buffer_load_dword v78, off, s[0:3], 0 offset:480
	buffer_load_dword v81, off, s[0:3], 0 offset:476
	buffer_load_dword v80, off, s[0:3], 0 offset:472
	v_mul_f32_e32 v5, v5, v60
	v_fma_f32 v4, v4, v90, -v5
	v_mul_f32_e32 v5, v7, v66
	v_add_f32_e32 v4, 0, v4
	v_fma_f32 v5, v6, v91, -v5
	v_add_f32_e32 v4, v4, v5
	v_mul_f32_e32 v5, v9, v68
	v_fma_f32 v5, v8, v92, -v5
	v_add_f32_e32 v4, v4, v5
	v_mul_f32_e32 v5, v11, v82
	;; [unrolled: 3-line block ×21, first 2 shown]
	v_fma_f32 v5, v48, v125, -v5
	s_waitcnt vmcnt(18)
	v_mul_f32_e32 v67, v50, v128
	v_add_f32_e32 v60, v4, v5
	v_mul_f32_e32 v4, v51, v128
	v_fmac_f32_e32 v67, v51, v127
	s_waitcnt vmcnt(16) lgkmcnt(1)
	v_mul_f32_e32 v69, v52, v130
	v_fma_f32 v66, v50, v127, -v4
	v_mul_f32_e32 v4, v53, v130
	v_fmac_f32_e32 v69, v53, v129
	s_waitcnt vmcnt(13)
	v_mov_b32_e32 v16, v65
	v_pk_mul_f32 v[16:17], v[54:55], v[16:17] op_sel_hi:[1,0]
	s_waitcnt vmcnt(12)
	v_pk_fma_f32 v[18:19], v[54:55], v[64:65], v[16:17] op_sel:[0,0,1] op_sel_hi:[1,1,0] neg_lo:[0,0,1] neg_hi:[0,0,1]
	v_pk_fma_f32 v[16:17], v[54:55], v[64:65], v[16:17] op_sel:[0,0,1] op_sel_hi:[1,0,0]
	v_fma_f32 v68, v52, v129, -v4
	v_pk_add_f32 v[14:15], v[60:61], v[66:67]
	v_mov_b32_e32 v16, v63
	v_pk_add_f32 v[14:15], v[14:15], v[68:69]
	v_mov_b32_e32 v19, v17
	s_waitcnt lgkmcnt(0)
	v_pk_mul_f32 v[16:17], v[56:57], v[16:17] op_sel_hi:[1,0]
	v_pk_add_f32 v[14:15], v[14:15], v[18:19]
	v_pk_fma_f32 v[18:19], v[56:57], v[62:63], v[16:17] op_sel:[0,0,1] op_sel_hi:[1,1,0] neg_lo:[0,0,1] neg_hi:[0,0,1]
	v_pk_fma_f32 v[16:17], v[56:57], v[62:63], v[16:17] op_sel:[0,0,1] op_sel_hi:[1,0,0]
	s_waitcnt vmcnt(5)
	v_mov_b32_e32 v16, v77
	ds_read_b128 v[4:7], v1 offset:944
	ds_read_b128 v[8:11], v1 offset:960
	ds_read_b64 v[12:13], v1 offset:976
	v_mov_b32_e32 v19, v17
	v_pk_mul_f32 v[16:17], v[58:59], v[16:17] op_sel_hi:[1,0]
	v_pk_add_f32 v[14:15], v[14:15], v[18:19]
	s_waitcnt vmcnt(4)
	v_pk_fma_f32 v[18:19], v[58:59], v[76:77], v[16:17] op_sel:[0,0,1] op_sel_hi:[1,1,0] neg_lo:[0,0,1] neg_hi:[0,0,1]
	v_pk_fma_f32 v[16:17], v[58:59], v[76:77], v[16:17] op_sel:[0,0,1] op_sel_hi:[1,0,0]
	v_mov_b32_e32 v16, v75
	v_mov_b32_e32 v19, v17
	s_waitcnt lgkmcnt(2)
	v_pk_mul_f32 v[16:17], v[4:5], v[16:17] op_sel_hi:[1,0]
	v_pk_add_f32 v[14:15], v[14:15], v[18:19]
	v_pk_fma_f32 v[18:19], v[4:5], v[74:75], v[16:17] op_sel:[0,0,1] op_sel_hi:[1,1,0] neg_lo:[0,0,1] neg_hi:[0,0,1]
	v_pk_fma_f32 v[4:5], v[4:5], v[74:75], v[16:17] op_sel:[0,0,1] op_sel_hi:[1,0,0]
	v_mov_b32_e32 v19, v5
	v_pk_add_f32 v[4:5], v[14:15], v[18:19]
	v_mov_b32_e32 v14, v73
	v_pk_mul_f32 v[14:15], v[6:7], v[14:15] op_sel_hi:[1,0]
	v_pk_fma_f32 v[16:17], v[6:7], v[72:73], v[14:15] op_sel:[0,0,1] op_sel_hi:[1,1,0] neg_lo:[0,0,1] neg_hi:[0,0,1]
	v_pk_fma_f32 v[6:7], v[6:7], v[72:73], v[14:15] op_sel:[0,0,1] op_sel_hi:[1,0,0]
	v_mov_b32_e32 v6, v71
	v_mov_b32_e32 v17, v7
	s_waitcnt lgkmcnt(1)
	v_pk_mul_f32 v[6:7], v[8:9], v[6:7] op_sel_hi:[1,0]
	v_pk_fma_f32 v[14:15], v[8:9], v[70:71], v[6:7] op_sel:[0,0,1] op_sel_hi:[1,1,0] neg_lo:[0,0,1] neg_hi:[0,0,1]
	v_pk_fma_f32 v[6:7], v[8:9], v[70:71], v[6:7] op_sel:[0,0,1] op_sel_hi:[1,0,0]
	s_waitcnt vmcnt(1)
	v_mov_b32_e32 v6, v81
	v_mov_b32_e32 v15, v7
	v_pk_mul_f32 v[6:7], v[10:11], v[6:7] op_sel_hi:[1,0]
	s_waitcnt vmcnt(0)
	v_pk_fma_f32 v[8:9], v[10:11], v[80:81], v[6:7] op_sel:[0,0,1] op_sel_hi:[1,1,0] neg_lo:[0,0,1] neg_hi:[0,0,1]
	v_pk_fma_f32 v[6:7], v[10:11], v[80:81], v[6:7] op_sel:[0,0,1] op_sel_hi:[1,0,0]
	v_pk_add_f32 v[4:5], v[4:5], v[16:17]
	v_mov_b32_e32 v6, v79
	v_pk_add_f32 v[4:5], v[4:5], v[14:15]
	v_mov_b32_e32 v9, v7
	s_waitcnt lgkmcnt(0)
	v_pk_mul_f32 v[6:7], v[12:13], v[6:7] op_sel_hi:[1,0]
	v_pk_add_f32 v[4:5], v[4:5], v[8:9]
	v_pk_fma_f32 v[8:9], v[12:13], v[78:79], v[6:7] op_sel:[0,0,1] op_sel_hi:[1,1,0] neg_lo:[0,0,1] neg_hi:[0,0,1]
	v_pk_fma_f32 v[6:7], v[12:13], v[78:79], v[6:7] op_sel:[0,0,1] op_sel_hi:[1,0,0]
	v_mov_b32_e32 v9, v7
	v_pk_add_f32 v[4:5], v[4:5], v[8:9]
	v_pk_add_f32 v[2:3], v[2:3], v[4:5] neg_lo:[0,1] neg_hi:[0,1]
	buffer_store_dword v3, off, s[0:3], 0 offset:220
	buffer_store_dword v2, off, s[0:3], 0 offset:216
	s_and_saveexec_b64 s[4:5], vcc
	s_cbranch_execz .LBB60_327
; %bb.326:
	buffer_load_dword v2, off, s[0:3], 0 offset:208
	buffer_load_dword v3, off, s[0:3], 0 offset:212
	s_waitcnt vmcnt(0)
	ds_write_b64 v199, v[2:3]
	buffer_store_dword v1, off, s[0:3], 0 offset:208
	buffer_store_dword v1, off, s[0:3], 0 offset:212
.LBB60_327:
	s_or_b64 exec, exec, s[4:5]
	s_waitcnt lgkmcnt(0)
	; wave barrier
	s_waitcnt lgkmcnt(0)
	buffer_load_dword v62, off, s[0:3], 0 offset:220
	buffer_load_dword v64, off, s[0:3], 0 offset:228
	;; [unrolled: 1-line block ×42, first 2 shown]
	ds_read2_b64 v[4:7], v1 offset0:89 offset1:90
	ds_read2_b64 v[8:11], v1 offset0:91 offset1:92
	buffer_load_dword v121, off, s[0:3], 0 offset:376
	buffer_load_dword v122, off, s[0:3], 0 offset:380
	ds_read2_b64 v[12:15], v1 offset0:93 offset1:94
	ds_read2_b64 v[16:19], v1 offset0:95 offset1:96
	buffer_load_dword v123, off, s[0:3], 0 offset:384
	buffer_load_dword v124, off, s[0:3], 0 offset:388
	;; [unrolled: 1-line block ×4, first 2 shown]
	ds_read2_b64 v[20:23], v1 offset0:97 offset1:98
	ds_read2_b64 v[24:27], v1 offset0:99 offset1:100
	buffer_load_dword v127, off, s[0:3], 0 offset:400
	buffer_load_dword v128, off, s[0:3], 0 offset:404
	;; [unrolled: 1-line block ×6, first 2 shown]
	v_cmp_lt_u32_e32 vcc, 25, v0
	s_waitcnt vmcnt(53) lgkmcnt(5)
	v_mul_f32_e32 v28, v4, v62
	s_waitcnt vmcnt(52)
	v_mul_f32_e32 v29, v6, v64
	s_waitcnt vmcnt(51) lgkmcnt(4)
	v_mul_f32_e32 v30, v8, v66
	s_waitcnt vmcnt(50)
	v_mul_f32_e32 v31, v10, v82
	;; [unrolled: 4-line block ×5, first 2 shown]
	s_waitcnt vmcnt(43)
	v_fmac_f32_e32 v28, v5, v89
	s_waitcnt vmcnt(42)
	v_fmac_f32_e32 v29, v7, v90
	v_add_f32_e32 v28, 0, v28
	s_waitcnt vmcnt(41)
	v_fmac_f32_e32 v30, v9, v91
	v_add_f32_e32 v28, v28, v29
	;; [unrolled: 3-line block ×9, first 2 shown]
	s_waitcnt vmcnt(33) lgkmcnt(0)
	v_mul_f32_e32 v29, v24, v99
	v_add_f32_e32 v28, v28, v37
	s_waitcnt vmcnt(32)
	v_fmac_f32_e32 v29, v25, v100
	v_add_f32_e32 v32, v28, v29
	ds_read2_b64 v[28:31], v1 offset0:101 offset1:102
	s_waitcnt vmcnt(31)
	v_mul_f32_e32 v33, v26, v101
	s_waitcnt vmcnt(30)
	v_fmac_f32_e32 v33, v27, v104
	v_add_f32_e32 v36, v32, v33
	ds_read2_b64 v[32:35], v1 offset0:103 offset1:104
	s_waitcnt vmcnt(29) lgkmcnt(1)
	v_mul_f32_e32 v37, v28, v105
	s_waitcnt vmcnt(28)
	v_fmac_f32_e32 v37, v29, v106
	v_add_f32_e32 v36, v36, v37
	s_waitcnt vmcnt(27)
	v_mul_f32_e32 v37, v30, v107
	s_waitcnt vmcnt(26)
	v_fmac_f32_e32 v37, v31, v108
	v_add_f32_e32 v36, v36, v37
	s_waitcnt vmcnt(25) lgkmcnt(0)
	v_mul_f32_e32 v37, v32, v109
	s_waitcnt vmcnt(24)
	v_fmac_f32_e32 v37, v33, v110
	v_add_f32_e32 v40, v36, v37
	ds_read2_b64 v[36:39], v1 offset0:105 offset1:106
	s_waitcnt vmcnt(23)
	v_mul_f32_e32 v41, v34, v111
	s_waitcnt vmcnt(22)
	v_fmac_f32_e32 v41, v35, v112
	v_add_f32_e32 v44, v40, v41
	ds_read2_b64 v[40:43], v1 offset0:107 offset1:108
	s_waitcnt vmcnt(21) lgkmcnt(1)
	v_mul_f32_e32 v45, v36, v113
	s_waitcnt vmcnt(20)
	v_fmac_f32_e32 v45, v37, v114
	v_add_f32_e32 v44, v44, v45
	s_waitcnt vmcnt(18)
	v_mul_f32_e32 v45, v38, v116
	v_fmac_f32_e32 v45, v39, v115
	v_add_f32_e32 v44, v44, v45
	s_waitcnt vmcnt(15) lgkmcnt(0)
	v_mul_f32_e32 v45, v40, v117
	s_waitcnt vmcnt(14)
	v_fmac_f32_e32 v45, v41, v118
	v_add_f32_e32 v48, v44, v45
	ds_read2_b64 v[44:47], v1 offset0:109 offset1:110
	s_waitcnt vmcnt(12)
	v_mul_f32_e32 v49, v42, v120
	v_fmac_f32_e32 v49, v43, v119
	v_add_f32_e32 v52, v48, v49
	ds_read2_b64 v[48:51], v1 offset0:111 offset1:112
	buffer_load_dword v61, off, s[0:3], 0 offset:428
	buffer_load_dword v60, off, s[0:3], 0 offset:424
	s_waitcnt vmcnt(12) lgkmcnt(1)
	v_mul_f32_e32 v53, v44, v122
	v_fmac_f32_e32 v53, v45, v121
	v_add_f32_e32 v52, v52, v53
	s_waitcnt vmcnt(10)
	v_mul_f32_e32 v53, v46, v124
	v_fmac_f32_e32 v53, v47, v123
	v_add_f32_e32 v52, v52, v53
	s_waitcnt vmcnt(8) lgkmcnt(0)
	v_mul_f32_e32 v53, v48, v126
	v_fmac_f32_e32 v53, v49, v125
	s_waitcnt vmcnt(6)
	v_mul_f32_e32 v57, v50, v128
	v_add_f32_e32 v56, v52, v53
	v_fmac_f32_e32 v57, v51, v127
	ds_read2_b64 v[52:55], v1 offset0:113 offset1:114
	v_add_f32_e32 v63, v56, v57
	ds_read2_b64 v[56:59], v1 offset0:115 offset1:116
	buffer_load_dword v69, off, s[0:3], 0 offset:460
	buffer_load_dword v68, off, s[0:3], 0 offset:456
	;; [unrolled: 1-line block ×14, first 2 shown]
	v_mul_f32_e32 v5, v5, v62
	v_fma_f32 v4, v4, v89, -v5
	v_mul_f32_e32 v5, v7, v64
	v_add_f32_e32 v4, 0, v4
	v_fma_f32 v5, v6, v90, -v5
	v_add_f32_e32 v4, v4, v5
	v_mul_f32_e32 v5, v9, v66
	v_fma_f32 v5, v8, v91, -v5
	v_add_f32_e32 v4, v4, v5
	v_mul_f32_e32 v5, v11, v82
	;; [unrolled: 3-line block ×22, first 2 shown]
	v_fma_f32 v5, v50, v127, -v5
	s_waitcnt vmcnt(15)
	v_mov_b32_e32 v18, v61
	s_waitcnt lgkmcnt(1)
	v_mul_f32_e32 v65, v52, v130
	v_add_f32_e32 v62, v4, v5
	v_mul_f32_e32 v4, v53, v130
	s_waitcnt lgkmcnt(0)
	v_pk_mul_f32 v[18:19], v[56:57], v[18:19] op_sel_hi:[1,0]
	v_fmac_f32_e32 v65, v53, v129
	v_mul_f32_e32 v67, v54, v132
	v_fma_f32 v64, v52, v129, -v4
	v_mul_f32_e32 v4, v55, v132
	s_waitcnt vmcnt(14)
	v_pk_fma_f32 v[20:21], v[56:57], v[60:61], v[18:19] op_sel:[0,0,1] op_sel_hi:[1,1,0] neg_lo:[0,0,1] neg_hi:[0,0,1]
	v_pk_fma_f32 v[18:19], v[56:57], v[60:61], v[18:19] op_sel:[0,0,1] op_sel_hi:[1,0,0]
	v_fmac_f32_e32 v67, v55, v131
	v_fma_f32 v66, v54, v131, -v4
	v_pk_add_f32 v[16:17], v[62:63], v[64:65]
	s_waitcnt vmcnt(7)
	v_mov_b32_e32 v18, v75
	ds_read2_b64 v[4:7], v1 offset0:117 offset1:118
	ds_read2_b64 v[8:11], v1 offset0:119 offset1:120
	;; [unrolled: 1-line block ×3, first 2 shown]
	v_pk_add_f32 v[16:17], v[16:17], v[66:67]
	v_mov_b32_e32 v21, v19
	v_pk_mul_f32 v[18:19], v[58:59], v[18:19] op_sel_hi:[1,0]
	v_pk_add_f32 v[16:17], v[16:17], v[20:21]
	s_waitcnt vmcnt(6)
	v_pk_fma_f32 v[20:21], v[58:59], v[74:75], v[18:19] op_sel:[0,0,1] op_sel_hi:[1,1,0] neg_lo:[0,0,1] neg_hi:[0,0,1]
	v_pk_fma_f32 v[18:19], v[58:59], v[74:75], v[18:19] op_sel:[0,0,1] op_sel_hi:[1,0,0]
	v_mov_b32_e32 v18, v73
	v_mov_b32_e32 v21, v19
	s_waitcnt lgkmcnt(2)
	v_pk_mul_f32 v[18:19], v[4:5], v[18:19] op_sel_hi:[1,0]
	v_pk_add_f32 v[16:17], v[16:17], v[20:21]
	v_pk_fma_f32 v[20:21], v[4:5], v[72:73], v[18:19] op_sel:[0,0,1] op_sel_hi:[1,1,0] neg_lo:[0,0,1] neg_hi:[0,0,1]
	v_pk_fma_f32 v[4:5], v[4:5], v[72:73], v[18:19] op_sel:[0,0,1] op_sel_hi:[1,0,0]
	v_mov_b32_e32 v21, v5
	v_pk_add_f32 v[4:5], v[16:17], v[20:21]
	v_mov_b32_e32 v16, v71
	v_pk_mul_f32 v[16:17], v[6:7], v[16:17] op_sel_hi:[1,0]
	v_pk_fma_f32 v[18:19], v[6:7], v[70:71], v[16:17] op_sel:[0,0,1] op_sel_hi:[1,1,0] neg_lo:[0,0,1] neg_hi:[0,0,1]
	v_pk_fma_f32 v[6:7], v[6:7], v[70:71], v[16:17] op_sel:[0,0,1] op_sel_hi:[1,0,0]
	v_mov_b32_e32 v6, v69
	v_mov_b32_e32 v19, v7
	s_waitcnt lgkmcnt(1)
	v_pk_mul_f32 v[6:7], v[8:9], v[6:7] op_sel_hi:[1,0]
	v_pk_fma_f32 v[16:17], v[8:9], v[68:69], v[6:7] op_sel:[0,0,1] op_sel_hi:[1,1,0] neg_lo:[0,0,1] neg_hi:[0,0,1]
	v_pk_fma_f32 v[6:7], v[8:9], v[68:69], v[6:7] op_sel:[0,0,1] op_sel_hi:[1,0,0]
	s_waitcnt vmcnt(1)
	v_mov_b32_e32 v6, v81
	v_mov_b32_e32 v17, v7
	v_pk_mul_f32 v[6:7], v[10:11], v[6:7] op_sel_hi:[1,0]
	s_waitcnt vmcnt(0)
	v_pk_fma_f32 v[8:9], v[10:11], v[80:81], v[6:7] op_sel:[0,0,1] op_sel_hi:[1,1,0] neg_lo:[0,0,1] neg_hi:[0,0,1]
	v_pk_fma_f32 v[6:7], v[10:11], v[80:81], v[6:7] op_sel:[0,0,1] op_sel_hi:[1,0,0]
	v_pk_add_f32 v[4:5], v[4:5], v[18:19]
	v_mov_b32_e32 v6, v79
	v_pk_add_f32 v[4:5], v[4:5], v[16:17]
	v_mov_b32_e32 v9, v7
	s_waitcnt lgkmcnt(0)
	v_pk_mul_f32 v[6:7], v[12:13], v[6:7] op_sel_hi:[1,0]
	v_pk_add_f32 v[4:5], v[4:5], v[8:9]
	v_pk_fma_f32 v[8:9], v[12:13], v[78:79], v[6:7] op_sel:[0,0,1] op_sel_hi:[1,1,0] neg_lo:[0,0,1] neg_hi:[0,0,1]
	v_pk_fma_f32 v[6:7], v[12:13], v[78:79], v[6:7] op_sel:[0,0,1] op_sel_hi:[1,0,0]
	v_mov_b32_e32 v6, v77
	v_mov_b32_e32 v9, v7
	v_pk_mul_f32 v[6:7], v[14:15], v[6:7] op_sel_hi:[1,0]
	v_pk_add_f32 v[4:5], v[4:5], v[8:9]
	v_pk_fma_f32 v[8:9], v[14:15], v[76:77], v[6:7] op_sel:[0,0,1] op_sel_hi:[1,1,0] neg_lo:[0,0,1] neg_hi:[0,0,1]
	v_pk_fma_f32 v[6:7], v[14:15], v[76:77], v[6:7] op_sel:[0,0,1] op_sel_hi:[1,0,0]
	v_mov_b32_e32 v9, v7
	v_pk_add_f32 v[4:5], v[4:5], v[8:9]
	v_pk_add_f32 v[2:3], v[2:3], v[4:5] neg_lo:[0,1] neg_hi:[0,1]
	buffer_store_dword v3, off, s[0:3], 0 offset:212
	buffer_store_dword v2, off, s[0:3], 0 offset:208
	s_and_saveexec_b64 s[4:5], vcc
	s_cbranch_execz .LBB60_329
; %bb.328:
	buffer_load_dword v2, off, s[0:3], 0 offset:200
	buffer_load_dword v3, off, s[0:3], 0 offset:204
	v_mov_b32_e32 v1, 0
	buffer_store_dword v1, off, s[0:3], 0 offset:200
	buffer_store_dword v1, off, s[0:3], 0 offset:204
	s_waitcnt vmcnt(2)
	ds_write_b64 v199, v[2:3]
.LBB60_329:
	s_or_b64 exec, exec, s[4:5]
	s_waitcnt lgkmcnt(0)
	; wave barrier
	s_waitcnt lgkmcnt(0)
	buffer_load_dword v60, off, s[0:3], 0 offset:212
	buffer_load_dword v62, off, s[0:3], 0 offset:220
	;; [unrolled: 1-line block ×56, first 2 shown]
	v_mov_b32_e32 v1, 0
	ds_read_b128 v[4:7], v1 offset:704
	ds_read_b128 v[8:11], v1 offset:720
	;; [unrolled: 1-line block ×6, first 2 shown]
	v_cmp_lt_u32_e32 vcc, 24, v0
	s_waitcnt vmcnt(55) lgkmcnt(5)
	v_mul_f32_e32 v28, v4, v60
	s_waitcnt vmcnt(54)
	v_mul_f32_e32 v29, v6, v62
	s_waitcnt vmcnt(53) lgkmcnt(4)
	v_mul_f32_e32 v31, v10, v64
	s_waitcnt vmcnt(52) lgkmcnt(3)
	v_mul_f32_e32 v32, v12, v82
	s_waitcnt vmcnt(51)
	v_mul_f32_e32 v33, v14, v83
	s_waitcnt vmcnt(50)
	v_mul_f32_e32 v30, v8, v84
	s_waitcnt vmcnt(49) lgkmcnt(2)
	v_mul_f32_e32 v34, v16, v85
	s_waitcnt vmcnt(48)
	v_mul_f32_e32 v35, v18, v86
	s_waitcnt vmcnt(47) lgkmcnt(1)
	v_mul_f32_e32 v36, v20, v87
	s_waitcnt vmcnt(46)
	v_fmac_f32_e32 v30, v9, v88
	s_waitcnt vmcnt(45)
	v_fmac_f32_e32 v29, v7, v89
	;; [unrolled: 2-line block ×3, first 2 shown]
	v_add_f32_e32 v28, 0, v28
	v_add_f32_e32 v28, v28, v29
	;; [unrolled: 1-line block ×3, first 2 shown]
	s_waitcnt vmcnt(40)
	v_fmac_f32_e32 v31, v11, v94
	v_fmac_f32_e32 v32, v13, v93
	v_add_f32_e32 v28, v28, v31
	v_fmac_f32_e32 v33, v15, v92
	v_add_f32_e32 v28, v28, v32
	;; [unrolled: 2-line block ×3, first 2 shown]
	s_waitcnt vmcnt(36)
	v_fmac_f32_e32 v35, v19, v98
	v_add_f32_e32 v28, v28, v34
	v_add_f32_e32 v28, v28, v35
	v_fmac_f32_e32 v36, v21, v97
	s_waitcnt vmcnt(35)
	v_mul_f32_e32 v29, v22, v99
	v_add_f32_e32 v28, v28, v36
	v_fmac_f32_e32 v29, v23, v96
	v_add_f32_e32 v28, v28, v29
	s_waitcnt vmcnt(34) lgkmcnt(0)
	v_mul_f32_e32 v29, v24, v100
	v_fmac_f32_e32 v29, v25, v95
	v_add_f32_e32 v32, v28, v29
	ds_read_b128 v[28:31], v1 offset:800
	s_waitcnt vmcnt(30)
	v_mul_f32_e32 v33, v26, v106
	s_waitcnt vmcnt(29)
	v_fmac_f32_e32 v33, v27, v107
	v_add_f32_e32 v36, v32, v33
	ds_read_b128 v[32:35], v1 offset:816
	s_waitcnt vmcnt(28) lgkmcnt(1)
	v_mul_f32_e32 v37, v28, v108
	v_fmac_f32_e32 v37, v29, v105
	v_add_f32_e32 v36, v36, v37
	s_waitcnt vmcnt(27)
	v_mul_f32_e32 v37, v30, v109
	v_fmac_f32_e32 v37, v31, v104
	v_add_f32_e32 v36, v36, v37
	s_waitcnt vmcnt(26) lgkmcnt(0)
	v_mul_f32_e32 v37, v32, v110
	v_fmac_f32_e32 v37, v33, v101
	v_add_f32_e32 v40, v36, v37
	ds_read_b128 v[36:39], v1 offset:832
	s_waitcnt vmcnt(24)
	v_mul_f32_e32 v41, v34, v112
	v_fmac_f32_e32 v41, v35, v111
	v_add_f32_e32 v44, v40, v41
	ds_read_b128 v[40:43], v1 offset:848
	s_waitcnt vmcnt(20) lgkmcnt(1)
	v_mul_f32_e32 v45, v36, v114
	v_fmac_f32_e32 v45, v37, v113
	v_add_f32_e32 v44, v44, v45
	s_waitcnt vmcnt(18)
	v_mul_f32_e32 v45, v38, v116
	v_fmac_f32_e32 v45, v39, v115
	v_add_f32_e32 v44, v44, v45
	s_waitcnt vmcnt(16) lgkmcnt(0)
	v_mul_f32_e32 v45, v40, v118
	v_fmac_f32_e32 v45, v41, v117
	v_add_f32_e32 v48, v44, v45
	ds_read_b128 v[44:47], v1 offset:864
	s_waitcnt vmcnt(14)
	v_mul_f32_e32 v49, v42, v120
	v_fmac_f32_e32 v49, v43, v119
	v_add_f32_e32 v52, v48, v49
	ds_read_b128 v[48:51], v1 offset:880
	s_waitcnt vmcnt(12) lgkmcnt(1)
	v_mul_f32_e32 v53, v44, v122
	v_fmac_f32_e32 v53, v45, v121
	v_add_f32_e32 v52, v52, v53
	s_waitcnt vmcnt(10)
	v_mul_f32_e32 v53, v46, v124
	v_fmac_f32_e32 v53, v47, v123
	v_add_f32_e32 v52, v52, v53
	s_waitcnt vmcnt(8) lgkmcnt(0)
	v_mul_f32_e32 v53, v48, v126
	v_fmac_f32_e32 v53, v49, v125
	s_waitcnt vmcnt(6)
	v_mul_f32_e32 v57, v50, v128
	v_add_f32_e32 v56, v52, v53
	v_fmac_f32_e32 v57, v51, v127
	ds_read_b128 v[52:55], v1 offset:896
	v_add_f32_e32 v61, v56, v57
	ds_read_b128 v[56:59], v1 offset:912
	buffer_load_dword v67, off, s[0:3], 0 offset:452
	buffer_load_dword v66, off, s[0:3], 0 offset:448
	;; [unrolled: 1-line block ×16, first 2 shown]
	v_mul_f32_e32 v5, v5, v60
	v_fma_f32 v4, v4, v90, -v5
	v_mul_f32_e32 v5, v7, v62
	v_add_f32_e32 v4, 0, v4
	v_fma_f32 v5, v6, v89, -v5
	v_add_f32_e32 v4, v4, v5
	v_mul_f32_e32 v5, v9, v84
	v_fma_f32 v5, v8, v88, -v5
	v_add_f32_e32 v4, v4, v5
	v_mul_f32_e32 v5, v11, v64
	;; [unrolled: 3-line block ×22, first 2 shown]
	v_fma_f32 v5, v50, v127, -v5
	v_add_f32_e32 v4, v4, v5
	s_waitcnt vmcnt(20) lgkmcnt(1)
	v_mul_f32_e32 v5, v53, v130
	v_mul_f32_e32 v63, v52, v130
	v_fma_f32 v5, v52, v129, -v5
	v_fmac_f32_e32 v63, v53, v129
	v_add_f32_e32 v60, v4, v5
	s_waitcnt vmcnt(18)
	v_mul_f32_e32 v4, v55, v132
	s_waitcnt vmcnt(9)
	v_mov_b32_e32 v20, v73
	v_add_f32_e32 v61, v61, v63
	v_mul_f32_e32 v63, v54, v132
	v_fma_f32 v62, v54, v131, -v4
	s_waitcnt lgkmcnt(0)
	v_mul_f32_e32 v4, v57, v134
	v_pk_mul_f32 v[20:21], v[58:59], v[20:21] op_sel_hi:[1,0]
	v_fmac_f32_e32 v63, v55, v131
	v_mul_f32_e32 v65, v56, v134
	v_fma_f32 v64, v56, v133, -v4
	ds_read_b128 v[4:7], v1 offset:928
	ds_read_b128 v[8:11], v1 offset:944
	;; [unrolled: 1-line block ×3, first 2 shown]
	ds_read_b64 v[16:17], v1 offset:976
	s_waitcnt vmcnt(8)
	v_pk_fma_f32 v[22:23], v[58:59], v[72:73], v[20:21] op_sel:[0,0,1] op_sel_hi:[1,1,0] neg_lo:[0,0,1] neg_hi:[0,0,1]
	v_pk_fma_f32 v[20:21], v[58:59], v[72:73], v[20:21] op_sel:[0,0,1] op_sel_hi:[1,0,0]
	v_fmac_f32_e32 v65, v57, v133
	v_pk_add_f32 v[18:19], v[60:61], v[62:63]
	v_mov_b32_e32 v20, v71
	v_pk_add_f32 v[18:19], v[18:19], v[64:65]
	v_mov_b32_e32 v23, v21
	s_waitcnt lgkmcnt(3)
	v_pk_mul_f32 v[20:21], v[4:5], v[20:21] op_sel_hi:[1,0]
	v_pk_add_f32 v[18:19], v[18:19], v[22:23]
	v_pk_fma_f32 v[22:23], v[4:5], v[70:71], v[20:21] op_sel:[0,0,1] op_sel_hi:[1,1,0] neg_lo:[0,0,1] neg_hi:[0,0,1]
	v_pk_fma_f32 v[4:5], v[4:5], v[70:71], v[20:21] op_sel:[0,0,1] op_sel_hi:[1,0,0]
	v_mov_b32_e32 v23, v5
	v_pk_add_f32 v[4:5], v[18:19], v[22:23]
	v_mov_b32_e32 v18, v69
	v_pk_mul_f32 v[18:19], v[6:7], v[18:19] op_sel_hi:[1,0]
	v_pk_fma_f32 v[20:21], v[6:7], v[68:69], v[18:19] op_sel:[0,0,1] op_sel_hi:[1,1,0] neg_lo:[0,0,1] neg_hi:[0,0,1]
	v_pk_fma_f32 v[6:7], v[6:7], v[68:69], v[18:19] op_sel:[0,0,1] op_sel_hi:[1,0,0]
	v_mov_b32_e32 v6, v67
	v_mov_b32_e32 v21, v7
	s_waitcnt lgkmcnt(2)
	v_pk_mul_f32 v[6:7], v[8:9], v[6:7] op_sel_hi:[1,0]
	v_pk_fma_f32 v[18:19], v[8:9], v[66:67], v[6:7] op_sel:[0,0,1] op_sel_hi:[1,1,0] neg_lo:[0,0,1] neg_hi:[0,0,1]
	v_pk_fma_f32 v[6:7], v[8:9], v[66:67], v[6:7] op_sel:[0,0,1] op_sel_hi:[1,0,0]
	s_waitcnt vmcnt(1)
	v_mov_b32_e32 v6, v81
	v_mov_b32_e32 v19, v7
	v_pk_mul_f32 v[6:7], v[10:11], v[6:7] op_sel_hi:[1,0]
	s_waitcnt vmcnt(0)
	v_pk_fma_f32 v[8:9], v[10:11], v[80:81], v[6:7] op_sel:[0,0,1] op_sel_hi:[1,1,0] neg_lo:[0,0,1] neg_hi:[0,0,1]
	v_pk_fma_f32 v[6:7], v[10:11], v[80:81], v[6:7] op_sel:[0,0,1] op_sel_hi:[1,0,0]
	v_pk_add_f32 v[4:5], v[4:5], v[20:21]
	v_mov_b32_e32 v6, v79
	v_pk_add_f32 v[4:5], v[4:5], v[18:19]
	v_mov_b32_e32 v9, v7
	s_waitcnt lgkmcnt(1)
	v_pk_mul_f32 v[6:7], v[12:13], v[6:7] op_sel_hi:[1,0]
	v_pk_add_f32 v[4:5], v[4:5], v[8:9]
	v_pk_fma_f32 v[8:9], v[12:13], v[78:79], v[6:7] op_sel:[0,0,1] op_sel_hi:[1,1,0] neg_lo:[0,0,1] neg_hi:[0,0,1]
	v_pk_fma_f32 v[6:7], v[12:13], v[78:79], v[6:7] op_sel:[0,0,1] op_sel_hi:[1,0,0]
	v_mov_b32_e32 v6, v77
	v_mov_b32_e32 v9, v7
	v_pk_mul_f32 v[6:7], v[14:15], v[6:7] op_sel_hi:[1,0]
	v_pk_add_f32 v[4:5], v[4:5], v[8:9]
	v_pk_fma_f32 v[8:9], v[14:15], v[76:77], v[6:7] op_sel:[0,0,1] op_sel_hi:[1,1,0] neg_lo:[0,0,1] neg_hi:[0,0,1]
	v_pk_fma_f32 v[6:7], v[14:15], v[76:77], v[6:7] op_sel:[0,0,1] op_sel_hi:[1,0,0]
	v_mov_b32_e32 v6, v75
	v_mov_b32_e32 v9, v7
	s_waitcnt lgkmcnt(0)
	v_pk_mul_f32 v[6:7], v[16:17], v[6:7] op_sel_hi:[1,0]
	v_pk_add_f32 v[4:5], v[4:5], v[8:9]
	v_pk_fma_f32 v[8:9], v[16:17], v[74:75], v[6:7] op_sel:[0,0,1] op_sel_hi:[1,1,0] neg_lo:[0,0,1] neg_hi:[0,0,1]
	v_pk_fma_f32 v[6:7], v[16:17], v[74:75], v[6:7] op_sel:[0,0,1] op_sel_hi:[1,0,0]
	v_mov_b32_e32 v9, v7
	v_pk_add_f32 v[4:5], v[4:5], v[8:9]
	v_pk_add_f32 v[2:3], v[2:3], v[4:5] neg_lo:[0,1] neg_hi:[0,1]
	buffer_store_dword v3, off, s[0:3], 0 offset:204
	buffer_store_dword v2, off, s[0:3], 0 offset:200
	s_and_saveexec_b64 s[4:5], vcc
	s_cbranch_execz .LBB60_331
; %bb.330:
	buffer_load_dword v2, off, s[0:3], 0 offset:192
	buffer_load_dword v3, off, s[0:3], 0 offset:196
	s_waitcnt vmcnt(0)
	ds_write_b64 v199, v[2:3]
	buffer_store_dword v1, off, s[0:3], 0 offset:192
	buffer_store_dword v1, off, s[0:3], 0 offset:196
.LBB60_331:
	s_or_b64 exec, exec, s[4:5]
	s_waitcnt lgkmcnt(0)
	; wave barrier
	s_waitcnt lgkmcnt(0)
	buffer_load_dword v60, off, s[0:3], 0 offset:204
	buffer_load_dword v62, off, s[0:3], 0 offset:212
	;; [unrolled: 1-line block ×40, first 2 shown]
	ds_read2_b64 v[4:7], v1 offset0:87 offset1:88
	ds_read2_b64 v[8:11], v1 offset0:89 offset1:90
	;; [unrolled: 1-line block ×4, first 2 shown]
	buffer_load_dword v119, off, s[0:3], 0 offset:352
	buffer_load_dword v120, off, s[0:3], 0 offset:356
	ds_read2_b64 v[20:23], v1 offset0:95 offset1:96
	ds_read2_b64 v[24:27], v1 offset0:97 offset1:98
	buffer_load_dword v121, off, s[0:3], 0 offset:360
	buffer_load_dword v122, off, s[0:3], 0 offset:364
	;; [unrolled: 1-line block ×16, first 2 shown]
	v_cmp_lt_u32_e32 vcc, 23, v0
	s_waitcnt vmcnt(57) lgkmcnt(5)
	v_mul_f32_e32 v28, v4, v60
	s_waitcnt vmcnt(56)
	v_mul_f32_e32 v29, v6, v62
	s_waitcnt vmcnt(55) lgkmcnt(4)
	v_mul_f32_e32 v31, v10, v70
	s_waitcnt vmcnt(54) lgkmcnt(3)
	v_mul_f32_e32 v32, v12, v82
	s_waitcnt vmcnt(53)
	v_mul_f32_e32 v33, v14, v83
	s_waitcnt vmcnt(52)
	v_mul_f32_e32 v30, v8, v84
	s_waitcnt vmcnt(51) lgkmcnt(2)
	v_mul_f32_e32 v34, v16, v85
	s_waitcnt vmcnt(50)
	v_mul_f32_e32 v35, v18, v86
	s_waitcnt vmcnt(49)
	v_fmac_f32_e32 v30, v9, v87
	s_waitcnt vmcnt(48)
	v_fmac_f32_e32 v29, v7, v88
	;; [unrolled: 2-line block ×3, first 2 shown]
	v_add_f32_e32 v28, 0, v28
	v_add_f32_e32 v28, v28, v29
	;; [unrolled: 1-line block ×3, first 2 shown]
	s_waitcnt vmcnt(43)
	v_fmac_f32_e32 v31, v11, v93
	v_fmac_f32_e32 v32, v13, v92
	v_add_f32_e32 v28, v28, v31
	v_fmac_f32_e32 v33, v15, v91
	v_add_f32_e32 v28, v28, v32
	;; [unrolled: 2-line block ×3, first 2 shown]
	s_waitcnt vmcnt(39)
	v_fmac_f32_e32 v35, v19, v97
	v_add_f32_e32 v28, v28, v34
	s_waitcnt vmcnt(38) lgkmcnt(1)
	v_mul_f32_e32 v29, v20, v98
	v_add_f32_e32 v28, v28, v35
	v_fmac_f32_e32 v29, v21, v96
	v_add_f32_e32 v28, v28, v29
	s_waitcnt vmcnt(37)
	v_mul_f32_e32 v29, v22, v99
	v_fmac_f32_e32 v29, v23, v95
	v_add_f32_e32 v28, v28, v29
	s_waitcnt vmcnt(36) lgkmcnt(0)
	v_mul_f32_e32 v29, v24, v100
	v_fmac_f32_e32 v29, v25, v94
	v_add_f32_e32 v32, v28, v29
	ds_read2_b64 v[28:31], v1 offset0:99 offset1:100
	s_waitcnt vmcnt(32)
	v_mul_f32_e32 v33, v26, v106
	s_waitcnt vmcnt(31)
	v_fmac_f32_e32 v33, v27, v107
	v_add_f32_e32 v36, v32, v33
	ds_read2_b64 v[32:35], v1 offset0:101 offset1:102
	s_waitcnt vmcnt(30) lgkmcnt(1)
	v_mul_f32_e32 v37, v28, v108
	v_fmac_f32_e32 v37, v29, v105
	v_add_f32_e32 v36, v36, v37
	s_waitcnt vmcnt(29)
	v_mul_f32_e32 v37, v30, v109
	v_fmac_f32_e32 v37, v31, v104
	v_add_f32_e32 v36, v36, v37
	s_waitcnt vmcnt(28) lgkmcnt(0)
	v_mul_f32_e32 v37, v32, v110
	v_fmac_f32_e32 v37, v33, v101
	v_add_f32_e32 v40, v36, v37
	ds_read2_b64 v[36:39], v1 offset0:103 offset1:104
	s_waitcnt vmcnt(21)
	v_mul_f32_e32 v41, v34, v117
	s_waitcnt vmcnt(20)
	v_fmac_f32_e32 v41, v35, v118
	v_add_f32_e32 v44, v40, v41
	ds_read2_b64 v[40:43], v1 offset0:105 offset1:106
	s_waitcnt lgkmcnt(1)
	v_mul_f32_e32 v45, v36, v112
	v_fmac_f32_e32 v45, v37, v111
	v_add_f32_e32 v44, v44, v45
	v_mul_f32_e32 v45, v38, v114
	v_fmac_f32_e32 v45, v39, v113
	v_add_f32_e32 v44, v44, v45
	s_waitcnt lgkmcnt(0)
	v_mul_f32_e32 v45, v40, v116
	v_fmac_f32_e32 v45, v41, v115
	v_add_f32_e32 v48, v44, v45
	ds_read2_b64 v[44:47], v1 offset0:107 offset1:108
	s_waitcnt vmcnt(16)
	v_mul_f32_e32 v49, v42, v120
	v_fmac_f32_e32 v49, v43, v119
	v_add_f32_e32 v52, v48, v49
	ds_read2_b64 v[48:51], v1 offset0:109 offset1:110
	s_waitcnt vmcnt(14) lgkmcnt(1)
	v_mul_f32_e32 v53, v44, v122
	v_fmac_f32_e32 v53, v45, v121
	v_add_f32_e32 v52, v52, v53
	s_waitcnt vmcnt(12)
	v_mul_f32_e32 v53, v46, v124
	v_fmac_f32_e32 v53, v47, v123
	v_add_f32_e32 v52, v52, v53
	s_waitcnt vmcnt(10) lgkmcnt(0)
	v_mul_f32_e32 v53, v48, v126
	v_fmac_f32_e32 v53, v49, v125
	s_waitcnt vmcnt(8)
	v_mul_f32_e32 v57, v50, v128
	v_add_f32_e32 v56, v52, v53
	v_fmac_f32_e32 v57, v51, v127
	ds_read2_b64 v[52:55], v1 offset0:111 offset1:112
	v_add_f32_e32 v61, v56, v57
	ds_read2_b64 v[56:59], v1 offset0:113 offset1:114
	buffer_load_dword v65, off, s[0:3], 0 offset:444
	buffer_load_dword v64, off, s[0:3], 0 offset:440
	;; [unrolled: 1-line block ×16, first 2 shown]
	v_mul_f32_e32 v5, v5, v60
	v_fma_f32 v4, v4, v89, -v5
	v_mul_f32_e32 v5, v7, v62
	v_add_f32_e32 v4, 0, v4
	v_fma_f32 v5, v6, v88, -v5
	v_add_f32_e32 v4, v4, v5
	v_mul_f32_e32 v5, v9, v84
	v_fma_f32 v5, v8, v87, -v5
	v_add_f32_e32 v4, v4, v5
	v_mul_f32_e32 v5, v11, v70
	;; [unrolled: 3-line block ×22, first 2 shown]
	v_fma_f32 v5, v50, v127, -v5
	v_add_f32_e32 v4, v4, v5
	s_waitcnt vmcnt(22) lgkmcnt(1)
	v_mul_f32_e32 v5, v53, v130
	v_fma_f32 v5, v52, v129, -v5
	v_add_f32_e32 v4, v4, v5
	s_waitcnt vmcnt(20)
	v_mul_f32_e32 v5, v55, v132
	v_mul_f32_e32 v63, v52, v130
	v_fma_f32 v5, v54, v131, -v5
	v_fmac_f32_e32 v63, v53, v129
	v_add_f32_e32 v60, v4, v5
	s_waitcnt vmcnt(18) lgkmcnt(0)
	v_mul_f32_e32 v4, v57, v134
	v_add_f32_e32 v61, v61, v63
	v_mul_f32_e32 v63, v54, v132
	v_fma_f32 v62, v56, v133, -v4
	s_waitcnt vmcnt(16)
	v_mul_f32_e32 v4, v59, v136
	v_fmac_f32_e32 v63, v55, v131
	v_fma_f32 v70, v58, v135, -v4
	ds_read2_b64 v[4:7], v1 offset0:115 offset1:116
	ds_read2_b64 v[8:11], v1 offset0:117 offset1:118
	;; [unrolled: 1-line block ×4, first 2 shown]
	v_add_f32_e32 v61, v61, v63
	v_mul_f32_e32 v63, v56, v134
	s_waitcnt vmcnt(11)
	v_mov_b32_e32 v22, v69
	v_fmac_f32_e32 v63, v57, v133
	v_mul_f32_e32 v71, v58, v136
	s_waitcnt lgkmcnt(3)
	v_pk_mul_f32 v[22:23], v[4:5], v[22:23] op_sel_hi:[1,0]
	v_fmac_f32_e32 v71, v59, v135
	v_pk_add_f32 v[20:21], v[60:61], v[62:63]
	s_waitcnt vmcnt(10)
	v_pk_fma_f32 v[24:25], v[4:5], v[68:69], v[22:23] op_sel:[0,0,1] op_sel_hi:[1,1,0] neg_lo:[0,0,1] neg_hi:[0,0,1]
	v_pk_fma_f32 v[4:5], v[4:5], v[68:69], v[22:23] op_sel:[0,0,1] op_sel_hi:[1,0,0]
	v_pk_add_f32 v[20:21], v[20:21], v[70:71]
	v_mov_b32_e32 v25, v5
	v_pk_add_f32 v[4:5], v[20:21], v[24:25]
	v_mov_b32_e32 v20, v67
	v_pk_mul_f32 v[20:21], v[6:7], v[20:21] op_sel_hi:[1,0]
	v_pk_fma_f32 v[22:23], v[6:7], v[66:67], v[20:21] op_sel:[0,0,1] op_sel_hi:[1,1,0] neg_lo:[0,0,1] neg_hi:[0,0,1]
	v_pk_fma_f32 v[6:7], v[6:7], v[66:67], v[20:21] op_sel:[0,0,1] op_sel_hi:[1,0,0]
	v_mov_b32_e32 v6, v65
	v_mov_b32_e32 v23, v7
	s_waitcnt lgkmcnt(2)
	v_pk_mul_f32 v[6:7], v[8:9], v[6:7] op_sel_hi:[1,0]
	v_pk_fma_f32 v[20:21], v[8:9], v[64:65], v[6:7] op_sel:[0,0,1] op_sel_hi:[1,1,0] neg_lo:[0,0,1] neg_hi:[0,0,1]
	v_pk_fma_f32 v[6:7], v[8:9], v[64:65], v[6:7] op_sel:[0,0,1] op_sel_hi:[1,0,0]
	s_waitcnt vmcnt(3)
	v_mov_b32_e32 v6, v79
	v_mov_b32_e32 v21, v7
	v_pk_mul_f32 v[6:7], v[10:11], v[6:7] op_sel_hi:[1,0]
	s_waitcnt vmcnt(2)
	v_pk_fma_f32 v[8:9], v[10:11], v[78:79], v[6:7] op_sel:[0,0,1] op_sel_hi:[1,1,0] neg_lo:[0,0,1] neg_hi:[0,0,1]
	v_pk_fma_f32 v[6:7], v[10:11], v[78:79], v[6:7] op_sel:[0,0,1] op_sel_hi:[1,0,0]
	v_pk_add_f32 v[4:5], v[4:5], v[22:23]
	v_mov_b32_e32 v6, v77
	v_pk_add_f32 v[4:5], v[4:5], v[20:21]
	v_mov_b32_e32 v9, v7
	s_waitcnt lgkmcnt(1)
	v_pk_mul_f32 v[6:7], v[12:13], v[6:7] op_sel_hi:[1,0]
	v_pk_add_f32 v[4:5], v[4:5], v[8:9]
	v_pk_fma_f32 v[8:9], v[12:13], v[76:77], v[6:7] op_sel:[0,0,1] op_sel_hi:[1,1,0] neg_lo:[0,0,1] neg_hi:[0,0,1]
	v_pk_fma_f32 v[6:7], v[12:13], v[76:77], v[6:7] op_sel:[0,0,1] op_sel_hi:[1,0,0]
	v_mov_b32_e32 v6, v75
	v_mov_b32_e32 v9, v7
	v_pk_mul_f32 v[6:7], v[14:15], v[6:7] op_sel_hi:[1,0]
	v_pk_add_f32 v[4:5], v[4:5], v[8:9]
	v_pk_fma_f32 v[8:9], v[14:15], v[74:75], v[6:7] op_sel:[0,0,1] op_sel_hi:[1,1,0] neg_lo:[0,0,1] neg_hi:[0,0,1]
	v_pk_fma_f32 v[6:7], v[14:15], v[74:75], v[6:7] op_sel:[0,0,1] op_sel_hi:[1,0,0]
	v_mov_b32_e32 v6, v73
	v_mov_b32_e32 v9, v7
	s_waitcnt lgkmcnt(0)
	v_pk_mul_f32 v[6:7], v[16:17], v[6:7] op_sel_hi:[1,0]
	v_pk_add_f32 v[4:5], v[4:5], v[8:9]
	v_pk_fma_f32 v[8:9], v[16:17], v[72:73], v[6:7] op_sel:[0,0,1] op_sel_hi:[1,1,0] neg_lo:[0,0,1] neg_hi:[0,0,1]
	v_pk_fma_f32 v[6:7], v[16:17], v[72:73], v[6:7] op_sel:[0,0,1] op_sel_hi:[1,0,0]
	s_waitcnt vmcnt(1)
	v_mov_b32_e32 v6, v81
	v_mov_b32_e32 v9, v7
	v_pk_mul_f32 v[6:7], v[18:19], v[6:7] op_sel_hi:[1,0]
	v_pk_add_f32 v[4:5], v[4:5], v[8:9]
	s_waitcnt vmcnt(0)
	v_pk_fma_f32 v[8:9], v[18:19], v[80:81], v[6:7] op_sel:[0,0,1] op_sel_hi:[1,1,0] neg_lo:[0,0,1] neg_hi:[0,0,1]
	v_pk_fma_f32 v[6:7], v[18:19], v[80:81], v[6:7] op_sel:[0,0,1] op_sel_hi:[1,0,0]
	v_mov_b32_e32 v9, v7
	v_pk_add_f32 v[4:5], v[4:5], v[8:9]
	v_pk_add_f32 v[2:3], v[2:3], v[4:5] neg_lo:[0,1] neg_hi:[0,1]
	buffer_store_dword v3, off, s[0:3], 0 offset:196
	buffer_store_dword v2, off, s[0:3], 0 offset:192
	s_and_saveexec_b64 s[4:5], vcc
	s_cbranch_execz .LBB60_333
; %bb.332:
	buffer_load_dword v2, off, s[0:3], 0 offset:184
	buffer_load_dword v3, off, s[0:3], 0 offset:188
	v_mov_b32_e32 v1, 0
	buffer_store_dword v1, off, s[0:3], 0 offset:184
	buffer_store_dword v1, off, s[0:3], 0 offset:188
	s_waitcnt vmcnt(2)
	ds_write_b64 v199, v[2:3]
.LBB60_333:
	s_or_b64 exec, exec, s[4:5]
	v_mov_b32_e32 v86, 0
	s_waitcnt lgkmcnt(0)
	; wave barrier
	s_waitcnt lgkmcnt(0)
	ds_read_b128 v[14:17], v86 offset:688
	ds_read_b128 v[10:13], v86 offset:704
	;; [unrolled: 1-line block ×4, first 2 shown]
	buffer_load_dword v62, off, s[0:3], 0 offset:184
	buffer_load_dword v63, off, s[0:3], 0 offset:188
	;; [unrolled: 1-line block ×18, first 2 shown]
	ds_read_b128 v[22:25], v86 offset:752
	buffer_load_dword v99, off, s[0:3], 0 offset:256
	buffer_load_dword v100, off, s[0:3], 0 offset:260
	buffer_load_dword v101, off, s[0:3], 0 offset:264
	buffer_load_dword v104, off, s[0:3], 0 offset:268
	ds_read_b128 v[26:29], v86 offset:768
	buffer_load_dword v105, off, s[0:3], 0 offset:272
	buffer_load_dword v106, off, s[0:3], 0 offset:276
	buffer_load_dword v107, off, s[0:3], 0 offset:280
	buffer_load_dword v108, off, s[0:3], 0 offset:284
	ds_read_b128 v[30:33], v86 offset:784
	buffer_load_dword v109, off, s[0:3], 0 offset:288
	buffer_load_dword v110, off, s[0:3], 0 offset:292
	buffer_load_dword v111, off, s[0:3], 0 offset:296
	buffer_load_dword v112, off, s[0:3], 0 offset:300
	ds_read_b128 v[34:37], v86 offset:800
	buffer_load_dword v113, off, s[0:3], 0 offset:304
	buffer_load_dword v114, off, s[0:3], 0 offset:308
	buffer_load_dword v115, off, s[0:3], 0 offset:312
	buffer_load_dword v116, off, s[0:3], 0 offset:316
	ds_read_b128 v[38:41], v86 offset:816
	buffer_load_dword v117, off, s[0:3], 0 offset:320
	buffer_load_dword v118, off, s[0:3], 0 offset:324
	buffer_load_dword v119, off, s[0:3], 0 offset:328
	buffer_load_dword v120, off, s[0:3], 0 offset:332
	ds_read_b128 v[42:45], v86 offset:832
	buffer_load_dword v121, off, s[0:3], 0 offset:336
	buffer_load_dword v122, off, s[0:3], 0 offset:340
	buffer_load_dword v123, off, s[0:3], 0 offset:344
	buffer_load_dword v124, off, s[0:3], 0 offset:348
	ds_read_b128 v[46:49], v86 offset:848
	buffer_load_dword v125, off, s[0:3], 0 offset:352
	buffer_load_dword v126, off, s[0:3], 0 offset:356
	buffer_load_dword v127, off, s[0:3], 0 offset:360
	buffer_load_dword v128, off, s[0:3], 0 offset:364
	ds_read_b128 v[50:53], v86 offset:864
	buffer_load_dword v129, off, s[0:3], 0 offset:368
	buffer_load_dword v130, off, s[0:3], 0 offset:372
	buffer_load_dword v131, off, s[0:3], 0 offset:376
	buffer_load_dword v132, off, s[0:3], 0 offset:380
	ds_read_b128 v[54:57], v86 offset:880
	buffer_load_dword v133, off, s[0:3], 0 offset:384
	buffer_load_dword v134, off, s[0:3], 0 offset:388
	buffer_load_dword v135, off, s[0:3], 0 offset:392
	buffer_load_dword v136, off, s[0:3], 0 offset:396
	ds_read_b128 v[58:61], v86 offset:896
	buffer_load_dword v137, off, s[0:3], 0 offset:400
	buffer_load_dword v138, off, s[0:3], 0 offset:404
	buffer_load_dword v139, off, s[0:3], 0 offset:408
	buffer_load_dword v140, off, s[0:3], 0 offset:412
	v_cmp_lt_u32_e32 vcc, 22, v0
	s_waitcnt vmcnt(54) lgkmcnt(13)
	v_mul_f32_e32 v18, v14, v70
	v_fmac_f32_e32 v18, v15, v1
	s_waitcnt vmcnt(52)
	v_mul_f32_e32 v19, v16, v88
	v_add_f32_e32 v18, 0, v18
	v_fmac_f32_e32 v19, v17, v64
	v_add_f32_e32 v18, v18, v19
	s_waitcnt vmcnt(50) lgkmcnt(12)
	v_mul_f32_e32 v19, v10, v90
	v_fmac_f32_e32 v19, v11, v66
	v_add_f32_e32 v18, v18, v19
	s_waitcnt vmcnt(48)
	v_mul_f32_e32 v19, v12, v92
	v_fmac_f32_e32 v19, v13, v87
	v_add_f32_e32 v18, v18, v19
	s_waitcnt vmcnt(46) lgkmcnt(11)
	v_mul_f32_e32 v19, v6, v94
	v_fmac_f32_e32 v19, v7, v89
	v_add_f32_e32 v18, v18, v19
	s_waitcnt vmcnt(44)
	v_mul_f32_e32 v19, v8, v95
	;; [unrolled: 8-line block ×12, first 2 shown]
	v_fmac_f32_e32 v19, v57, v135
	v_add_f32_e32 v18, v18, v19
	s_waitcnt vmcnt(2) lgkmcnt(0)
	v_mul_f32_e32 v19, v58, v138
	v_fmac_f32_e32 v19, v59, v137
	v_add_f32_e32 v65, v18, v19
	ds_read_b128 v[18:21], v86 offset:912
	buffer_load_dword v141, off, s[0:3], 0 offset:416
	buffer_load_dword v142, off, s[0:3], 0 offset:420
	;; [unrolled: 1-line block ×18, first 2 shown]
	v_mul_f32_e32 v15, v15, v70
	v_fma_f32 v1, v14, v1, -v15
	v_mul_f32_e32 v14, v17, v88
	v_add_f32_e32 v1, 0, v1
	v_fma_f32 v14, v16, v64, -v14
	v_mul_f32_e32 v11, v11, v90
	v_add_f32_e32 v1, v1, v14
	v_fma_f32 v10, v10, v66, -v11
	v_add_f32_e32 v1, v1, v10
	v_mul_f32_e32 v10, v13, v92
	v_fma_f32 v10, v12, v87, -v10
	v_mul_f32_e32 v7, v7, v94
	v_add_f32_e32 v1, v1, v10
	v_fma_f32 v6, v6, v89, -v7
	v_add_f32_e32 v1, v1, v6
	v_mul_f32_e32 v6, v9, v95
	;; [unrolled: 6-line block ×3, first 2 shown]
	v_fma_f32 v2, v4, v97, -v2
	v_add_f32_e32 v1, v1, v2
	v_mul_f32_e32 v2, v23, v100
	v_fma_f32 v2, v22, v99, -v2
	v_add_f32_e32 v1, v1, v2
	v_mul_f32_e32 v2, v25, v104
	;; [unrolled: 3-line block ×19, first 2 shown]
	v_fma_f32 v2, v58, v137, -v2
	v_add_f32_e32 v64, v1, v2
	s_waitcnt vmcnt(18)
	v_mul_f32_e32 v1, v61, v140
	v_fma_f32 v66, v60, v139, -v1
	s_waitcnt vmcnt(16) lgkmcnt(0)
	v_mul_f32_e32 v1, v19, v142
	v_mul_f32_e32 v71, v18, v142
	v_fma_f32 v70, v18, v141, -v1
	s_waitcnt vmcnt(15)
	v_mov_b32_e32 v18, v69
	v_fmac_f32_e32 v71, v19, v141
	v_pk_mul_f32 v[18:19], v[20:21], v[18:19] op_sel_hi:[1,0]
	v_mul_f32_e32 v67, v60, v140
	ds_read_b128 v[2:5], v86 offset:928
	ds_read_b128 v[6:9], v86 offset:944
	;; [unrolled: 1-line block ×3, first 2 shown]
	ds_read_b64 v[14:15], v86 offset:976
	s_waitcnt vmcnt(14)
	v_pk_fma_f32 v[22:23], v[20:21], v[68:69], v[18:19] op_sel:[0,0,1] op_sel_hi:[1,1,0] neg_lo:[0,0,1] neg_hi:[0,0,1]
	v_pk_fma_f32 v[18:19], v[20:21], v[68:69], v[18:19] op_sel:[0,0,1] op_sel_hi:[1,0,0]
	v_fmac_f32_e32 v67, v61, v139
	s_waitcnt vmcnt(13)
	v_mov_b32_e32 v18, v85
	v_pk_add_f32 v[16:17], v[64:65], v[66:67]
	v_mov_b32_e32 v23, v19
	s_waitcnt lgkmcnt(3)
	v_pk_mul_f32 v[18:19], v[2:3], v[18:19] op_sel_hi:[1,0]
	v_pk_add_f32 v[16:17], v[16:17], v[70:71]
	s_waitcnt vmcnt(12)
	v_pk_fma_f32 v[20:21], v[2:3], v[84:85], v[18:19] op_sel:[0,0,1] op_sel_hi:[1,1,0] neg_lo:[0,0,1] neg_hi:[0,0,1]
	v_pk_fma_f32 v[2:3], v[2:3], v[84:85], v[18:19] op_sel:[0,0,1] op_sel_hi:[1,0,0]
	v_pk_add_f32 v[16:17], v[16:17], v[22:23]
	v_mov_b32_e32 v21, v3
	v_pk_add_f32 v[2:3], v[16:17], v[20:21]
	s_waitcnt vmcnt(11)
	v_mov_b32_e32 v16, v83
	v_pk_mul_f32 v[16:17], v[4:5], v[16:17] op_sel_hi:[1,0]
	s_waitcnt vmcnt(10)
	v_pk_fma_f32 v[18:19], v[4:5], v[82:83], v[16:17] op_sel:[0,0,1] op_sel_hi:[1,1,0] neg_lo:[0,0,1] neg_hi:[0,0,1]
	v_pk_fma_f32 v[4:5], v[4:5], v[82:83], v[16:17] op_sel:[0,0,1] op_sel_hi:[1,0,0]
	s_waitcnt vmcnt(9)
	v_mov_b32_e32 v4, v81
	v_mov_b32_e32 v19, v5
	s_waitcnt lgkmcnt(2)
	v_pk_mul_f32 v[4:5], v[6:7], v[4:5] op_sel_hi:[1,0]
	s_waitcnt vmcnt(8)
	v_pk_fma_f32 v[16:17], v[6:7], v[80:81], v[4:5] op_sel:[0,0,1] op_sel_hi:[1,1,0] neg_lo:[0,0,1] neg_hi:[0,0,1]
	v_pk_fma_f32 v[4:5], v[6:7], v[80:81], v[4:5] op_sel:[0,0,1] op_sel_hi:[1,0,0]
	s_waitcnt vmcnt(7)
	v_mov_b32_e32 v4, v79
	v_mov_b32_e32 v17, v5
	v_pk_mul_f32 v[4:5], v[8:9], v[4:5] op_sel_hi:[1,0]
	s_waitcnt vmcnt(6)
	v_pk_fma_f32 v[6:7], v[8:9], v[78:79], v[4:5] op_sel:[0,0,1] op_sel_hi:[1,1,0] neg_lo:[0,0,1] neg_hi:[0,0,1]
	v_pk_fma_f32 v[4:5], v[8:9], v[78:79], v[4:5] op_sel:[0,0,1] op_sel_hi:[1,0,0]
	v_pk_add_f32 v[2:3], v[2:3], v[18:19]
	s_waitcnt vmcnt(5)
	v_mov_b32_e32 v4, v77
	v_pk_add_f32 v[2:3], v[2:3], v[16:17]
	v_mov_b32_e32 v7, v5
	s_waitcnt lgkmcnt(1)
	v_pk_mul_f32 v[4:5], v[10:11], v[4:5] op_sel_hi:[1,0]
	v_pk_add_f32 v[2:3], v[2:3], v[6:7]
	s_waitcnt vmcnt(4)
	v_pk_fma_f32 v[6:7], v[10:11], v[76:77], v[4:5] op_sel:[0,0,1] op_sel_hi:[1,1,0] neg_lo:[0,0,1] neg_hi:[0,0,1]
	v_pk_fma_f32 v[4:5], v[10:11], v[76:77], v[4:5] op_sel:[0,0,1] op_sel_hi:[1,0,0]
	s_waitcnt vmcnt(3)
	v_mov_b32_e32 v4, v75
	v_mov_b32_e32 v7, v5
	v_pk_mul_f32 v[4:5], v[12:13], v[4:5] op_sel_hi:[1,0]
	v_pk_add_f32 v[2:3], v[2:3], v[6:7]
	s_waitcnt vmcnt(2)
	v_pk_fma_f32 v[6:7], v[12:13], v[74:75], v[4:5] op_sel:[0,0,1] op_sel_hi:[1,1,0] neg_lo:[0,0,1] neg_hi:[0,0,1]
	v_pk_fma_f32 v[4:5], v[12:13], v[74:75], v[4:5] op_sel:[0,0,1] op_sel_hi:[1,0,0]
	s_waitcnt vmcnt(1)
	v_mov_b32_e32 v4, v73
	v_mov_b32_e32 v7, v5
	s_waitcnt lgkmcnt(0)
	v_pk_mul_f32 v[4:5], v[14:15], v[4:5] op_sel_hi:[1,0]
	v_pk_add_f32 v[2:3], v[2:3], v[6:7]
	s_waitcnt vmcnt(0)
	v_pk_fma_f32 v[6:7], v[14:15], v[72:73], v[4:5] op_sel:[0,0,1] op_sel_hi:[1,1,0] neg_lo:[0,0,1] neg_hi:[0,0,1]
	v_pk_fma_f32 v[4:5], v[14:15], v[72:73], v[4:5] op_sel:[0,0,1] op_sel_hi:[1,0,0]
	v_mov_b32_e32 v7, v5
	v_pk_add_f32 v[2:3], v[2:3], v[6:7]
	v_pk_add_f32 v[2:3], v[62:63], v[2:3] neg_lo:[0,1] neg_hi:[0,1]
	buffer_store_dword v3, off, s[0:3], 0 offset:188
	buffer_store_dword v2, off, s[0:3], 0 offset:184
	s_and_saveexec_b64 s[4:5], vcc
	s_cbranch_execz .LBB60_335
; %bb.334:
	buffer_load_dword v2, off, s[0:3], 0 offset:176
	buffer_load_dword v3, off, s[0:3], 0 offset:180
	s_waitcnt vmcnt(0)
	ds_write_b64 v199, v[2:3]
	buffer_store_dword v86, off, s[0:3], 0 offset:176
	buffer_store_dword v86, off, s[0:3], 0 offset:180
.LBB60_335:
	s_or_b64 exec, exec, s[4:5]
	s_waitcnt lgkmcnt(0)
	; wave barrier
	s_waitcnt lgkmcnt(0)
	buffer_load_dword v1, off, s[0:3], 0 offset:188
	buffer_load_dword v70, off, s[0:3], 0 offset:196
	;; [unrolled: 1-line block ×32, first 2 shown]
	ds_read2_b64 v[16:19], v86 offset0:85 offset1:86
	ds_read2_b64 v[6:9], v86 offset0:87 offset1:88
	buffer_load_dword v119, off, s[0:3], 0 offset:304
	buffer_load_dword v120, off, s[0:3], 0 offset:308
	ds_read2_b64 v[10:13], v86 offset0:89 offset1:90
	ds_read2_b64 v[2:5], v86 offset0:91 offset1:92
	buffer_load_dword v121, off, s[0:3], 0 offset:312
	buffer_load_dword v122, off, s[0:3], 0 offset:316
	;; [unrolled: 1-line block ×28, first 2 shown]
	v_cmp_lt_u32_e32 vcc, 21, v0
	s_waitcnt vmcnt(61) lgkmcnt(3)
	v_mul_f32_e32 v20, v16, v1
	s_waitcnt vmcnt(60)
	v_mul_f32_e32 v21, v18, v70
	s_waitcnt vmcnt(59) lgkmcnt(2)
	v_mul_f32_e32 v23, v8, v72
	s_waitcnt vmcnt(58) lgkmcnt(1)
	v_mul_f32_e32 v24, v10, v74
	s_waitcnt vmcnt(57)
	v_mul_f32_e32 v25, v12, v87
	s_waitcnt vmcnt(56)
	;; [unrolled: 2-line block ×3, first 2 shown]
	v_fmac_f32_e32 v22, v7, v93
	s_waitcnt vmcnt(54)
	v_fmac_f32_e32 v21, v19, v94
	s_waitcnt vmcnt(53)
	v_fmac_f32_e32 v20, v17, v95
	v_add_f32_e32 v20, 0, v20
	v_add_f32_e32 v20, v20, v21
	;; [unrolled: 1-line block ×3, first 2 shown]
	s_waitcnt vmcnt(49)
	v_fmac_f32_e32 v24, v11, v99
	s_waitcnt vmcnt(48)
	v_fmac_f32_e32 v23, v9, v100
	v_add_f32_e32 v20, v20, v23
	s_waitcnt lgkmcnt(0)
	v_mul_f32_e32 v26, v2, v96
	v_fmac_f32_e32 v25, v13, v98
	v_add_f32_e32 v20, v20, v24
	v_fmac_f32_e32 v26, v3, v97
	v_add_f32_e32 v20, v20, v25
	v_add_f32_e32 v24, v20, v26
	ds_read2_b64 v[20:23], v86 offset0:93 offset1:94
	s_waitcnt vmcnt(44)
	v_mul_f32_e32 v25, v4, v106
	s_waitcnt vmcnt(43)
	v_fmac_f32_e32 v25, v5, v107
	v_add_f32_e32 v28, v24, v25
	ds_read2_b64 v[24:27], v86 offset0:95 offset1:96
	s_waitcnt vmcnt(42) lgkmcnt(1)
	v_mul_f32_e32 v29, v20, v108
	v_fmac_f32_e32 v29, v21, v105
	v_add_f32_e32 v28, v28, v29
	s_waitcnt vmcnt(41)
	v_mul_f32_e32 v29, v22, v109
	v_fmac_f32_e32 v29, v23, v104
	v_add_f32_e32 v28, v28, v29
	s_waitcnt vmcnt(40) lgkmcnt(0)
	v_mul_f32_e32 v29, v24, v110
	v_fmac_f32_e32 v29, v25, v101
	v_add_f32_e32 v32, v28, v29
	ds_read2_b64 v[28:31], v86 offset0:97 offset1:98
	s_waitcnt vmcnt(34)
	v_mul_f32_e32 v33, v26, v116
	s_waitcnt vmcnt(33)
	v_fmac_f32_e32 v33, v27, v117
	v_add_f32_e32 v36, v32, v33
	ds_read2_b64 v[32:35], v86 offset0:99 offset1:100
	s_waitcnt vmcnt(32) lgkmcnt(1)
	v_mul_f32_e32 v37, v28, v118
	v_fmac_f32_e32 v37, v29, v115
	v_add_f32_e32 v36, v36, v37
	v_mul_f32_e32 v37, v30, v112
	v_fmac_f32_e32 v37, v31, v111
	v_add_f32_e32 v36, v36, v37
	s_waitcnt lgkmcnt(0)
	v_mul_f32_e32 v37, v32, v114
	v_fmac_f32_e32 v37, v33, v113
	v_add_f32_e32 v40, v36, v37
	ds_read2_b64 v[36:39], v86 offset0:101 offset1:102
	s_waitcnt vmcnt(28)
	v_mul_f32_e32 v41, v34, v120
	v_fmac_f32_e32 v41, v35, v119
	v_add_f32_e32 v44, v40, v41
	ds_read2_b64 v[40:43], v86 offset0:103 offset1:104
	s_waitcnt vmcnt(26) lgkmcnt(1)
	v_mul_f32_e32 v45, v36, v122
	v_fmac_f32_e32 v45, v37, v121
	v_add_f32_e32 v44, v44, v45
	s_waitcnt vmcnt(24)
	v_mul_f32_e32 v45, v38, v124
	v_fmac_f32_e32 v45, v39, v123
	v_add_f32_e32 v44, v44, v45
	s_waitcnt vmcnt(22) lgkmcnt(0)
	v_mul_f32_e32 v45, v40, v126
	v_fmac_f32_e32 v45, v41, v125
	v_add_f32_e32 v48, v44, v45
	ds_read2_b64 v[44:47], v86 offset0:105 offset1:106
	s_waitcnt vmcnt(20)
	v_mul_f32_e32 v49, v42, v128
	v_fmac_f32_e32 v49, v43, v127
	v_add_f32_e32 v52, v48, v49
	ds_read2_b64 v[48:51], v86 offset0:107 offset1:108
	s_waitcnt vmcnt(18) lgkmcnt(1)
	v_mul_f32_e32 v53, v44, v130
	v_fmac_f32_e32 v53, v45, v129
	v_add_f32_e32 v52, v52, v53
	s_waitcnt vmcnt(16)
	v_mul_f32_e32 v53, v46, v132
	v_fmac_f32_e32 v53, v47, v131
	v_add_f32_e32 v52, v52, v53
	s_waitcnt vmcnt(14) lgkmcnt(0)
	v_mul_f32_e32 v53, v48, v134
	v_fmac_f32_e32 v53, v49, v133
	v_add_f32_e32 v56, v52, v53
	ds_read2_b64 v[52:55], v86 offset0:109 offset1:110
	s_waitcnt vmcnt(12)
	v_mul_f32_e32 v57, v50, v136
	v_fmac_f32_e32 v57, v51, v135
	v_add_f32_e32 v60, v56, v57
	ds_read2_b64 v[56:59], v86 offset0:111 offset1:112
	buffer_load_dword v69, off, s[0:3], 0 offset:428
	buffer_load_dword v68, off, s[0:3], 0 offset:424
	s_waitcnt vmcnt(12) lgkmcnt(1)
	v_mul_f32_e32 v61, v52, v138
	v_fmac_f32_e32 v61, v53, v137
	v_add_f32_e32 v60, v60, v61
	s_waitcnt vmcnt(10)
	v_mul_f32_e32 v61, v54, v140
	v_fmac_f32_e32 v61, v55, v139
	v_add_f32_e32 v60, v60, v61
	s_waitcnt vmcnt(8) lgkmcnt(0)
	v_mul_f32_e32 v61, v56, v142
	v_fmac_f32_e32 v61, v57, v141
	s_waitcnt vmcnt(6)
	v_mul_f32_e32 v65, v58, v144
	v_add_f32_e32 v64, v60, v61
	v_fmac_f32_e32 v65, v59, v143
	ds_read2_b64 v[60:63], v86 offset0:113 offset1:114
	v_add_f32_e32 v71, v64, v65
	ds_read2_b64 v[64:67], v86 offset0:115 offset1:116
	buffer_load_dword v77, off, s[0:3], 0 offset:460
	buffer_load_dword v76, off, s[0:3], 0 offset:456
	;; [unrolled: 1-line block ×14, first 2 shown]
	v_mul_f32_e32 v1, v17, v1
	v_fma_f32 v1, v16, v95, -v1
	v_mul_f32_e32 v16, v19, v70
	v_add_f32_e32 v1, 0, v1
	v_fma_f32 v16, v18, v94, -v16
	v_mul_f32_e32 v7, v7, v92
	v_add_f32_e32 v1, v1, v16
	v_fma_f32 v6, v6, v93, -v7
	v_add_f32_e32 v1, v1, v6
	v_mul_f32_e32 v6, v9, v72
	v_fma_f32 v6, v8, v100, -v6
	v_add_f32_e32 v1, v1, v6
	v_mul_f32_e32 v6, v11, v74
	;; [unrolled: 3-line block ×3, first 2 shown]
	v_fma_f32 v6, v12, v98, -v6
	v_mul_f32_e32 v3, v3, v96
	v_add_f32_e32 v1, v1, v6
	v_fma_f32 v2, v2, v97, -v3
	v_add_f32_e32 v1, v1, v2
	v_mul_f32_e32 v2, v5, v106
	v_fma_f32 v2, v4, v107, -v2
	v_add_f32_e32 v1, v1, v2
	v_mul_f32_e32 v2, v21, v108
	;; [unrolled: 3-line block ×21, first 2 shown]
	v_fma_f32 v2, v58, v143, -v2
	s_waitcnt vmcnt(15)
	v_mov_b32_e32 v18, v69
	s_waitcnt lgkmcnt(1)
	v_mul_f32_e32 v73, v60, v146
	v_add_f32_e32 v70, v1, v2
	v_mul_f32_e32 v1, v61, v146
	s_waitcnt lgkmcnt(0)
	v_pk_mul_f32 v[18:19], v[64:65], v[18:19] op_sel_hi:[1,0]
	v_fmac_f32_e32 v73, v61, v145
	v_mul_f32_e32 v75, v62, v148
	v_fma_f32 v72, v60, v145, -v1
	v_mul_f32_e32 v1, v63, v148
	s_waitcnt vmcnt(14)
	v_pk_fma_f32 v[20:21], v[64:65], v[68:69], v[18:19] op_sel:[0,0,1] op_sel_hi:[1,1,0] neg_lo:[0,0,1] neg_hi:[0,0,1]
	v_pk_fma_f32 v[18:19], v[64:65], v[68:69], v[18:19] op_sel:[0,0,1] op_sel_hi:[1,0,0]
	v_fmac_f32_e32 v75, v63, v147
	v_fma_f32 v74, v62, v147, -v1
	v_pk_add_f32 v[16:17], v[70:71], v[72:73]
	s_waitcnt vmcnt(7)
	v_mov_b32_e32 v18, v83
	ds_read2_b64 v[2:5], v86 offset0:117 offset1:118
	ds_read2_b64 v[6:9], v86 offset0:119 offset1:120
	;; [unrolled: 1-line block ×3, first 2 shown]
	v_pk_add_f32 v[16:17], v[16:17], v[74:75]
	v_mov_b32_e32 v21, v19
	v_pk_mul_f32 v[18:19], v[66:67], v[18:19] op_sel_hi:[1,0]
	v_pk_add_f32 v[16:17], v[16:17], v[20:21]
	s_waitcnt vmcnt(6)
	v_pk_fma_f32 v[20:21], v[66:67], v[82:83], v[18:19] op_sel:[0,0,1] op_sel_hi:[1,1,0] neg_lo:[0,0,1] neg_hi:[0,0,1]
	v_pk_fma_f32 v[18:19], v[66:67], v[82:83], v[18:19] op_sel:[0,0,1] op_sel_hi:[1,0,0]
	v_mov_b32_e32 v18, v81
	v_mov_b32_e32 v21, v19
	s_waitcnt lgkmcnt(2)
	v_pk_mul_f32 v[18:19], v[2:3], v[18:19] op_sel_hi:[1,0]
	v_pk_add_f32 v[16:17], v[16:17], v[20:21]
	v_pk_fma_f32 v[20:21], v[2:3], v[80:81], v[18:19] op_sel:[0,0,1] op_sel_hi:[1,1,0] neg_lo:[0,0,1] neg_hi:[0,0,1]
	v_pk_fma_f32 v[2:3], v[2:3], v[80:81], v[18:19] op_sel:[0,0,1] op_sel_hi:[1,0,0]
	v_mov_b32_e32 v21, v3
	v_pk_add_f32 v[2:3], v[16:17], v[20:21]
	v_mov_b32_e32 v16, v79
	v_pk_mul_f32 v[16:17], v[4:5], v[16:17] op_sel_hi:[1,0]
	v_pk_fma_f32 v[18:19], v[4:5], v[78:79], v[16:17] op_sel:[0,0,1] op_sel_hi:[1,1,0] neg_lo:[0,0,1] neg_hi:[0,0,1]
	v_pk_fma_f32 v[4:5], v[4:5], v[78:79], v[16:17] op_sel:[0,0,1] op_sel_hi:[1,0,0]
	v_mov_b32_e32 v4, v77
	v_mov_b32_e32 v19, v5
	s_waitcnt lgkmcnt(1)
	v_pk_mul_f32 v[4:5], v[6:7], v[4:5] op_sel_hi:[1,0]
	v_pk_fma_f32 v[16:17], v[6:7], v[76:77], v[4:5] op_sel:[0,0,1] op_sel_hi:[1,1,0] neg_lo:[0,0,1] neg_hi:[0,0,1]
	v_pk_fma_f32 v[4:5], v[6:7], v[76:77], v[4:5] op_sel:[0,0,1] op_sel_hi:[1,0,0]
	s_waitcnt vmcnt(1)
	v_mov_b32_e32 v4, v91
	v_mov_b32_e32 v17, v5
	v_pk_mul_f32 v[4:5], v[8:9], v[4:5] op_sel_hi:[1,0]
	s_waitcnt vmcnt(0)
	v_pk_fma_f32 v[6:7], v[8:9], v[90:91], v[4:5] op_sel:[0,0,1] op_sel_hi:[1,1,0] neg_lo:[0,0,1] neg_hi:[0,0,1]
	v_pk_fma_f32 v[4:5], v[8:9], v[90:91], v[4:5] op_sel:[0,0,1] op_sel_hi:[1,0,0]
	v_pk_add_f32 v[2:3], v[2:3], v[18:19]
	v_mov_b32_e32 v4, v89
	v_pk_add_f32 v[2:3], v[2:3], v[16:17]
	v_mov_b32_e32 v7, v5
	s_waitcnt lgkmcnt(0)
	v_pk_mul_f32 v[4:5], v[10:11], v[4:5] op_sel_hi:[1,0]
	v_pk_add_f32 v[2:3], v[2:3], v[6:7]
	v_pk_fma_f32 v[6:7], v[10:11], v[88:89], v[4:5] op_sel:[0,0,1] op_sel_hi:[1,1,0] neg_lo:[0,0,1] neg_hi:[0,0,1]
	v_pk_fma_f32 v[4:5], v[10:11], v[88:89], v[4:5] op_sel:[0,0,1] op_sel_hi:[1,0,0]
	v_mov_b32_e32 v4, v85
	v_mov_b32_e32 v7, v5
	v_pk_mul_f32 v[4:5], v[12:13], v[4:5] op_sel_hi:[1,0]
	v_pk_add_f32 v[2:3], v[2:3], v[6:7]
	v_pk_fma_f32 v[6:7], v[12:13], v[84:85], v[4:5] op_sel:[0,0,1] op_sel_hi:[1,1,0] neg_lo:[0,0,1] neg_hi:[0,0,1]
	v_pk_fma_f32 v[4:5], v[12:13], v[84:85], v[4:5] op_sel:[0,0,1] op_sel_hi:[1,0,0]
	v_mov_b32_e32 v7, v5
	v_pk_add_f32 v[2:3], v[2:3], v[6:7]
	v_pk_add_f32 v[2:3], v[14:15], v[2:3] neg_lo:[0,1] neg_hi:[0,1]
	buffer_store_dword v3, off, s[0:3], 0 offset:180
	buffer_store_dword v2, off, s[0:3], 0 offset:176
	s_and_saveexec_b64 s[4:5], vcc
	s_cbranch_execz .LBB60_337
; %bb.336:
	buffer_load_dword v2, off, s[0:3], 0 offset:168
	buffer_load_dword v3, off, s[0:3], 0 offset:172
	v_mov_b32_e32 v1, 0
	buffer_store_dword v1, off, s[0:3], 0 offset:168
	buffer_store_dword v1, off, s[0:3], 0 offset:172
	s_waitcnt vmcnt(2)
	ds_write_b64 v199, v[2:3]
.LBB60_337:
	s_or_b64 exec, exec, s[4:5]
	s_waitcnt lgkmcnt(0)
	; wave barrier
	s_waitcnt lgkmcnt(0)
	buffer_load_dword v68, off, s[0:3], 0 offset:180
	buffer_load_dword v70, off, s[0:3], 0 offset:188
	;; [unrolled: 1-line block ×48, first 2 shown]
	v_mov_b32_e32 v1, 0
	ds_read_b128 v[2:5], v1 offset:672
	buffer_load_dword v135, off, s[0:3], 0 offset:360
	buffer_load_dword v136, off, s[0:3], 0 offset:364
	buffer_load_dword v137, off, s[0:3], 0 offset:368
	buffer_load_dword v138, off, s[0:3], 0 offset:372
	buffer_load_dword v139, off, s[0:3], 0 offset:376
	buffer_load_dword v140, off, s[0:3], 0 offset:380
	buffer_load_dword v141, off, s[0:3], 0 offset:384
	buffer_load_dword v142, off, s[0:3], 0 offset:388
	ds_read_b128 v[8:11], v1 offset:688
	ds_read_b128 v[12:15], v1 offset:704
	;; [unrolled: 1-line block ×3, first 2 shown]
	buffer_load_dword v143, off, s[0:3], 0 offset:392
	buffer_load_dword v144, off, s[0:3], 0 offset:396
	buffer_load_dword v145, off, s[0:3], 0 offset:400
	buffer_load_dword v146, off, s[0:3], 0 offset:404
	buffer_load_dword v147, off, s[0:3], 0 offset:408
	buffer_load_dword v148, off, s[0:3], 0 offset:412
	buffer_load_dword v149, off, s[0:3], 0 offset:416
	buffer_load_dword v150, off, s[0:3], 0 offset:420
	v_cmp_lt_u32_e32 vcc, 20, v0
	s_waitcnt vmcnt(62) lgkmcnt(3)
	v_mul_f32_e32 v20, v2, v68
	v_mul_f32_e32 v21, v4, v70
	s_waitcnt vmcnt(61) lgkmcnt(2)
	v_mul_f32_e32 v23, v10, v72
	s_waitcnt vmcnt(60) lgkmcnt(1)
	v_mul_f32_e32 v24, v12, v90
	s_waitcnt vmcnt(59)
	v_mul_f32_e32 v25, v14, v91
	s_waitcnt vmcnt(58)
	;; [unrolled: 2-line block ×3, first 2 shown]
	v_fmac_f32_e32 v22, v9, v93
	s_waitcnt vmcnt(56)
	v_fmac_f32_e32 v21, v5, v94
	s_waitcnt vmcnt(55)
	v_fmac_f32_e32 v20, v3, v95
	v_add_f32_e32 v20, 0, v20
	v_add_f32_e32 v20, v20, v21
	;; [unrolled: 1-line block ×3, first 2 shown]
	s_waitcnt vmcnt(51)
	v_fmac_f32_e32 v24, v13, v99
	s_waitcnt vmcnt(50)
	v_fmac_f32_e32 v23, v11, v100
	v_add_f32_e32 v20, v20, v23
	s_waitcnt lgkmcnt(0)
	v_mul_f32_e32 v26, v16, v96
	v_fmac_f32_e32 v25, v15, v98
	v_add_f32_e32 v20, v20, v24
	v_fmac_f32_e32 v26, v17, v97
	v_add_f32_e32 v20, v20, v25
	v_add_f32_e32 v24, v20, v26
	ds_read_b128 v[20:23], v1 offset:736
	s_waitcnt vmcnt(45)
	v_mul_f32_e32 v25, v18, v107
	s_waitcnt vmcnt(44)
	v_fmac_f32_e32 v25, v19, v108
	v_add_f32_e32 v28, v24, v25
	ds_read_b128 v[24:27], v1 offset:752
	s_waitcnt vmcnt(43) lgkmcnt(1)
	v_mul_f32_e32 v29, v20, v109
	v_fmac_f32_e32 v29, v21, v106
	v_add_f32_e32 v28, v28, v29
	s_waitcnt vmcnt(42)
	v_mul_f32_e32 v29, v22, v110
	v_fmac_f32_e32 v29, v23, v105
	v_add_f32_e32 v28, v28, v29
	s_waitcnt lgkmcnt(0)
	v_mul_f32_e32 v29, v24, v104
	v_fmac_f32_e32 v29, v25, v101
	v_add_f32_e32 v32, v28, v29
	ds_read_b128 v[28:31], v1 offset:768
	s_waitcnt vmcnt(38)
	v_mul_f32_e32 v33, v26, v112
	v_fmac_f32_e32 v33, v27, v111
	v_add_f32_e32 v36, v32, v33
	ds_read_b128 v[32:35], v1 offset:784
	s_waitcnt vmcnt(36) lgkmcnt(1)
	v_mul_f32_e32 v37, v28, v114
	v_fmac_f32_e32 v37, v29, v113
	v_add_f32_e32 v36, v36, v37
	s_waitcnt vmcnt(34)
	v_mul_f32_e32 v37, v30, v116
	v_fmac_f32_e32 v37, v31, v115
	v_add_f32_e32 v36, v36, v37
	s_waitcnt vmcnt(32) lgkmcnt(0)
	v_mul_f32_e32 v37, v32, v118
	v_fmac_f32_e32 v37, v33, v117
	v_add_f32_e32 v40, v36, v37
	ds_read_b128 v[36:39], v1 offset:800
	s_waitcnt vmcnt(30)
	v_mul_f32_e32 v41, v34, v120
	v_fmac_f32_e32 v41, v35, v119
	v_add_f32_e32 v44, v40, v41
	ds_read_b128 v[40:43], v1 offset:816
	s_waitcnt vmcnt(28) lgkmcnt(1)
	v_mul_f32_e32 v45, v36, v122
	v_fmac_f32_e32 v45, v37, v121
	v_add_f32_e32 v44, v44, v45
	s_waitcnt vmcnt(26)
	v_mul_f32_e32 v45, v38, v124
	v_fmac_f32_e32 v45, v39, v123
	v_add_f32_e32 v44, v44, v45
	s_waitcnt vmcnt(24) lgkmcnt(0)
	;; [unrolled: 18-line block ×4, first 2 shown]
	v_mul_f32_e32 v61, v56, v142
	v_fmac_f32_e32 v61, v57, v141
	s_waitcnt vmcnt(6)
	v_mul_f32_e32 v65, v58, v144
	v_add_f32_e32 v64, v60, v61
	v_fmac_f32_e32 v65, v59, v143
	ds_read_b128 v[60:63], v1 offset:896
	v_add_f32_e32 v69, v64, v65
	ds_read_b128 v[64:67], v1 offset:912
	buffer_load_dword v75, off, s[0:3], 0 offset:452
	buffer_load_dword v74, off, s[0:3], 0 offset:448
	;; [unrolled: 1-line block ×16, first 2 shown]
	v_mul_f32_e32 v3, v3, v68
	v_fma_f32 v2, v2, v95, -v3
	v_mul_f32_e32 v3, v5, v70
	v_add_f32_e32 v2, 0, v2
	v_fma_f32 v3, v4, v94, -v3
	v_add_f32_e32 v2, v2, v3
	v_mul_f32_e32 v3, v9, v92
	v_fma_f32 v3, v8, v93, -v3
	v_add_f32_e32 v2, v2, v3
	v_mul_f32_e32 v3, v11, v72
	;; [unrolled: 3-line block ×26, first 2 shown]
	v_fma_f32 v3, v58, v143, -v3
	v_add_f32_e32 v2, v2, v3
	s_waitcnt vmcnt(20) lgkmcnt(1)
	v_mul_f32_e32 v3, v61, v146
	v_mul_f32_e32 v71, v60, v146
	v_fma_f32 v3, v60, v145, -v3
	v_fmac_f32_e32 v71, v61, v145
	v_add_f32_e32 v68, v2, v3
	s_waitcnt vmcnt(18)
	v_mul_f32_e32 v2, v63, v148
	s_waitcnt vmcnt(9)
	v_mov_b32_e32 v20, v81
	v_add_f32_e32 v69, v69, v71
	v_mul_f32_e32 v71, v62, v148
	v_fma_f32 v70, v62, v147, -v2
	s_waitcnt lgkmcnt(0)
	v_mul_f32_e32 v2, v65, v150
	v_pk_mul_f32 v[20:21], v[66:67], v[20:21] op_sel_hi:[1,0]
	v_fmac_f32_e32 v71, v63, v147
	v_mul_f32_e32 v73, v64, v150
	v_fma_f32 v72, v64, v149, -v2
	ds_read_b128 v[2:5], v1 offset:928
	ds_read_b128 v[8:11], v1 offset:944
	;; [unrolled: 1-line block ×3, first 2 shown]
	ds_read_b64 v[16:17], v1 offset:976
	s_waitcnt vmcnt(8)
	v_pk_fma_f32 v[22:23], v[66:67], v[80:81], v[20:21] op_sel:[0,0,1] op_sel_hi:[1,1,0] neg_lo:[0,0,1] neg_hi:[0,0,1]
	v_pk_fma_f32 v[20:21], v[66:67], v[80:81], v[20:21] op_sel:[0,0,1] op_sel_hi:[1,0,0]
	v_fmac_f32_e32 v73, v65, v149
	v_pk_add_f32 v[18:19], v[68:69], v[70:71]
	v_mov_b32_e32 v20, v79
	v_pk_add_f32 v[18:19], v[18:19], v[72:73]
	v_mov_b32_e32 v23, v21
	s_waitcnt lgkmcnt(3)
	v_pk_mul_f32 v[20:21], v[2:3], v[20:21] op_sel_hi:[1,0]
	v_pk_add_f32 v[18:19], v[18:19], v[22:23]
	v_pk_fma_f32 v[22:23], v[2:3], v[78:79], v[20:21] op_sel:[0,0,1] op_sel_hi:[1,1,0] neg_lo:[0,0,1] neg_hi:[0,0,1]
	v_pk_fma_f32 v[2:3], v[2:3], v[78:79], v[20:21] op_sel:[0,0,1] op_sel_hi:[1,0,0]
	v_mov_b32_e32 v23, v3
	v_pk_add_f32 v[2:3], v[18:19], v[22:23]
	v_mov_b32_e32 v18, v77
	v_pk_mul_f32 v[18:19], v[4:5], v[18:19] op_sel_hi:[1,0]
	v_pk_fma_f32 v[20:21], v[4:5], v[76:77], v[18:19] op_sel:[0,0,1] op_sel_hi:[1,1,0] neg_lo:[0,0,1] neg_hi:[0,0,1]
	v_pk_fma_f32 v[4:5], v[4:5], v[76:77], v[18:19] op_sel:[0,0,1] op_sel_hi:[1,0,0]
	v_mov_b32_e32 v4, v75
	v_mov_b32_e32 v21, v5
	s_waitcnt lgkmcnt(2)
	v_pk_mul_f32 v[4:5], v[8:9], v[4:5] op_sel_hi:[1,0]
	v_pk_fma_f32 v[18:19], v[8:9], v[74:75], v[4:5] op_sel:[0,0,1] op_sel_hi:[1,1,0] neg_lo:[0,0,1] neg_hi:[0,0,1]
	v_pk_fma_f32 v[4:5], v[8:9], v[74:75], v[4:5] op_sel:[0,0,1] op_sel_hi:[1,0,0]
	s_waitcnt vmcnt(1)
	v_mov_b32_e32 v4, v89
	v_mov_b32_e32 v19, v5
	v_pk_mul_f32 v[4:5], v[10:11], v[4:5] op_sel_hi:[1,0]
	s_waitcnt vmcnt(0)
	v_pk_fma_f32 v[8:9], v[10:11], v[88:89], v[4:5] op_sel:[0,0,1] op_sel_hi:[1,1,0] neg_lo:[0,0,1] neg_hi:[0,0,1]
	v_pk_fma_f32 v[4:5], v[10:11], v[88:89], v[4:5] op_sel:[0,0,1] op_sel_hi:[1,0,0]
	v_pk_add_f32 v[2:3], v[2:3], v[20:21]
	v_mov_b32_e32 v4, v87
	v_pk_add_f32 v[2:3], v[2:3], v[18:19]
	v_mov_b32_e32 v9, v5
	s_waitcnt lgkmcnt(1)
	v_pk_mul_f32 v[4:5], v[12:13], v[4:5] op_sel_hi:[1,0]
	v_pk_add_f32 v[2:3], v[2:3], v[8:9]
	v_pk_fma_f32 v[8:9], v[12:13], v[86:87], v[4:5] op_sel:[0,0,1] op_sel_hi:[1,1,0] neg_lo:[0,0,1] neg_hi:[0,0,1]
	v_pk_fma_f32 v[4:5], v[12:13], v[86:87], v[4:5] op_sel:[0,0,1] op_sel_hi:[1,0,0]
	v_mov_b32_e32 v4, v85
	v_mov_b32_e32 v9, v5
	v_pk_mul_f32 v[4:5], v[14:15], v[4:5] op_sel_hi:[1,0]
	v_pk_add_f32 v[2:3], v[2:3], v[8:9]
	v_pk_fma_f32 v[8:9], v[14:15], v[84:85], v[4:5] op_sel:[0,0,1] op_sel_hi:[1,1,0] neg_lo:[0,0,1] neg_hi:[0,0,1]
	v_pk_fma_f32 v[4:5], v[14:15], v[84:85], v[4:5] op_sel:[0,0,1] op_sel_hi:[1,0,0]
	v_mov_b32_e32 v4, v83
	v_mov_b32_e32 v9, v5
	s_waitcnt lgkmcnt(0)
	v_pk_mul_f32 v[4:5], v[16:17], v[4:5] op_sel_hi:[1,0]
	v_pk_add_f32 v[2:3], v[2:3], v[8:9]
	v_pk_fma_f32 v[8:9], v[16:17], v[82:83], v[4:5] op_sel:[0,0,1] op_sel_hi:[1,1,0] neg_lo:[0,0,1] neg_hi:[0,0,1]
	v_pk_fma_f32 v[4:5], v[16:17], v[82:83], v[4:5] op_sel:[0,0,1] op_sel_hi:[1,0,0]
	v_mov_b32_e32 v9, v5
	v_pk_add_f32 v[2:3], v[2:3], v[8:9]
	v_pk_add_f32 v[2:3], v[6:7], v[2:3] neg_lo:[0,1] neg_hi:[0,1]
	buffer_store_dword v3, off, s[0:3], 0 offset:172
	buffer_store_dword v2, off, s[0:3], 0 offset:168
	s_and_saveexec_b64 s[4:5], vcc
	s_cbranch_execz .LBB60_339
; %bb.338:
	buffer_load_dword v2, off, s[0:3], 0 offset:160
	buffer_load_dword v3, off, s[0:3], 0 offset:164
	s_waitcnt vmcnt(0)
	ds_write_b64 v199, v[2:3]
	buffer_store_dword v1, off, s[0:3], 0 offset:160
	buffer_store_dword v1, off, s[0:3], 0 offset:164
.LBB60_339:
	s_or_b64 exec, exec, s[4:5]
	s_waitcnt lgkmcnt(0)
	; wave barrier
	s_waitcnt lgkmcnt(0)
	buffer_load_dword v68, off, s[0:3], 0 offset:172
	buffer_load_dword v70, off, s[0:3], 0 offset:180
	;; [unrolled: 1-line block ×26, first 2 shown]
	ds_read2_b64 v[14:17], v1 offset0:83 offset1:84
	ds_read2_b64 v[6:9], v1 offset0:85 offset1:86
	buffer_load_dword v113, off, s[0:3], 0 offset:264
	buffer_load_dword v114, off, s[0:3], 0 offset:268
	ds_read2_b64 v[10:13], v1 offset0:87 offset1:88
	ds_read2_b64 v[2:5], v1 offset0:89 offset1:90
	buffer_load_dword v115, off, s[0:3], 0 offset:272
	buffer_load_dword v116, off, s[0:3], 0 offset:276
	;; [unrolled: 1-line block ×32, first 2 shown]
	v_cmp_lt_u32_e32 vcc, 19, v0
	s_waitcnt vmcnt(59) lgkmcnt(3)
	v_mul_f32_e32 v20, v14, v68
	s_waitcnt vmcnt(58)
	v_mul_f32_e32 v21, v16, v70
	s_waitcnt vmcnt(57) lgkmcnt(2)
	v_mul_f32_e32 v23, v8, v78
	s_waitcnt vmcnt(56) lgkmcnt(1)
	v_mul_f32_e32 v24, v10, v90
	s_waitcnt vmcnt(55)
	v_mul_f32_e32 v25, v12, v91
	s_waitcnt vmcnt(54)
	v_mul_f32_e32 v22, v6, v92
	s_waitcnt vmcnt(53) lgkmcnt(0)
	v_mul_f32_e32 v26, v2, v93
	s_waitcnt vmcnt(52)
	v_mul_f32_e32 v27, v4, v94
	s_waitcnt vmcnt(51)
	v_fmac_f32_e32 v22, v7, v95
	s_waitcnt vmcnt(50)
	v_fmac_f32_e32 v21, v17, v96
	;; [unrolled: 2-line block ×3, first 2 shown]
	v_add_f32_e32 v20, 0, v20
	v_add_f32_e32 v20, v20, v21
	;; [unrolled: 1-line block ×3, first 2 shown]
	s_waitcnt vmcnt(45)
	v_fmac_f32_e32 v23, v9, v101
	v_fmac_f32_e32 v24, v11, v100
	v_add_f32_e32 v20, v20, v23
	v_fmac_f32_e32 v25, v13, v99
	v_add_f32_e32 v20, v20, v24
	;; [unrolled: 2-line block ×3, first 2 shown]
	v_add_f32_e32 v24, v20, v26
	ds_read2_b64 v[20:23], v1 offset0:91 offset1:92
	s_waitcnt vmcnt(41)
	v_fmac_f32_e32 v27, v5, v107
	buffer_load_dword v147, off, s[0:3], 0 offset:400
	buffer_load_dword v148, off, s[0:3], 0 offset:404
	v_add_f32_e32 v28, v24, v27
	buffer_load_dword v149, off, s[0:3], 0 offset:408
	buffer_load_dword v150, off, s[0:3], 0 offset:412
	ds_read2_b64 v[24:27], v1 offset0:93 offset1:94
	s_waitcnt vmcnt(44) lgkmcnt(1)
	v_mul_f32_e32 v29, v20, v108
	v_fmac_f32_e32 v29, v21, v106
	v_add_f32_e32 v28, v28, v29
	s_waitcnt vmcnt(43)
	v_mul_f32_e32 v29, v22, v109
	v_fmac_f32_e32 v29, v23, v105
	v_add_f32_e32 v28, v28, v29
	s_waitcnt vmcnt(42) lgkmcnt(0)
	v_mul_f32_e32 v29, v24, v110
	v_fmac_f32_e32 v29, v25, v104
	buffer_load_dword v151, off, s[0:3], 0 offset:416
	buffer_load_dword v152, off, s[0:3], 0 offset:420
	v_add_f32_e32 v32, v28, v29
	ds_read2_b64 v[28:31], v1 offset0:95 offset1:96
	s_waitcnt vmcnt(40)
	v_mul_f32_e32 v33, v26, v112
	v_fmac_f32_e32 v33, v27, v111
	v_add_f32_e32 v36, v32, v33
	ds_read2_b64 v[32:35], v1 offset0:97 offset1:98
	s_waitcnt vmcnt(38) lgkmcnt(1)
	v_mul_f32_e32 v37, v28, v114
	v_fmac_f32_e32 v37, v29, v113
	v_add_f32_e32 v36, v36, v37
	s_waitcnt vmcnt(36)
	v_mul_f32_e32 v37, v30, v116
	v_fmac_f32_e32 v37, v31, v115
	v_add_f32_e32 v36, v36, v37
	s_waitcnt vmcnt(34) lgkmcnt(0)
	v_mul_f32_e32 v37, v32, v118
	v_fmac_f32_e32 v37, v33, v117
	v_add_f32_e32 v40, v36, v37
	ds_read2_b64 v[36:39], v1 offset0:99 offset1:100
	s_waitcnt vmcnt(32)
	v_mul_f32_e32 v41, v34, v120
	v_fmac_f32_e32 v41, v35, v119
	v_add_f32_e32 v44, v40, v41
	ds_read2_b64 v[40:43], v1 offset0:101 offset1:102
	s_waitcnt vmcnt(30) lgkmcnt(1)
	v_mul_f32_e32 v45, v36, v122
	v_fmac_f32_e32 v45, v37, v121
	v_add_f32_e32 v44, v44, v45
	s_waitcnt vmcnt(28)
	v_mul_f32_e32 v45, v38, v124
	v_fmac_f32_e32 v45, v39, v123
	v_add_f32_e32 v44, v44, v45
	s_waitcnt vmcnt(26) lgkmcnt(0)
	v_mul_f32_e32 v45, v40, v126
	v_fmac_f32_e32 v45, v41, v125
	;; [unrolled: 18-line block ×4, first 2 shown]
	s_waitcnt vmcnt(8)
	v_mul_f32_e32 v65, v58, v144
	v_add_f32_e32 v64, v60, v61
	v_fmac_f32_e32 v65, v59, v143
	ds_read2_b64 v[60:63], v1 offset0:111 offset1:112
	v_add_f32_e32 v69, v64, v65
	ds_read2_b64 v[64:67], v1 offset0:113 offset1:114
	buffer_load_dword v73, off, s[0:3], 0 offset:444
	buffer_load_dword v72, off, s[0:3], 0 offset:440
	buffer_load_dword v75, off, s[0:3], 0 offset:436
	buffer_load_dword v74, off, s[0:3], 0 offset:432
	buffer_load_dword v77, off, s[0:3], 0 offset:428
	buffer_load_dword v76, off, s[0:3], 0 offset:424
	buffer_load_dword v81, off, s[0:3], 0 offset:476
	buffer_load_dword v80, off, s[0:3], 0 offset:472
	buffer_load_dword v83, off, s[0:3], 0 offset:468
	buffer_load_dword v82, off, s[0:3], 0 offset:464
	buffer_load_dword v85, off, s[0:3], 0 offset:460
	buffer_load_dword v84, off, s[0:3], 0 offset:456
	buffer_load_dword v87, off, s[0:3], 0 offset:452
	buffer_load_dword v86, off, s[0:3], 0 offset:448
	buffer_load_dword v89, off, s[0:3], 0 offset:484
	buffer_load_dword v88, off, s[0:3], 0 offset:480
	v_mul_f32_e32 v15, v15, v68
	v_fma_f32 v14, v14, v97, -v15
	v_mul_f32_e32 v15, v17, v70
	v_add_f32_e32 v14, 0, v14
	v_fma_f32 v15, v16, v96, -v15
	v_mul_f32_e32 v7, v7, v92
	v_add_f32_e32 v14, v14, v15
	;; [unrolled: 3-line block ×3, first 2 shown]
	v_fma_f32 v7, v8, v101, -v7
	v_add_f32_e32 v6, v6, v7
	v_mul_f32_e32 v7, v11, v90
	v_fma_f32 v7, v10, v100, -v7
	v_add_f32_e32 v6, v6, v7
	v_mul_f32_e32 v7, v13, v91
	v_fma_f32 v7, v12, v99, -v7
	v_mul_f32_e32 v3, v3, v93
	v_add_f32_e32 v6, v6, v7
	v_fma_f32 v2, v2, v98, -v3
	v_mul_f32_e32 v3, v5, v94
	v_add_f32_e32 v2, v6, v2
	v_fma_f32 v3, v4, v107, -v3
	v_add_f32_e32 v2, v2, v3
	v_mul_f32_e32 v3, v21, v108
	v_fma_f32 v3, v20, v106, -v3
	v_add_f32_e32 v2, v2, v3
	v_mul_f32_e32 v3, v23, v109
	;; [unrolled: 3-line block ×20, first 2 shown]
	v_fma_f32 v3, v58, v143, -v3
	v_add_f32_e32 v2, v2, v3
	s_waitcnt vmcnt(22) lgkmcnt(1)
	v_mul_f32_e32 v3, v61, v146
	v_fma_f32 v3, v60, v145, -v3
	v_add_f32_e32 v2, v2, v3
	s_waitcnt vmcnt(20)
	v_mul_f32_e32 v3, v63, v148
	v_mul_f32_e32 v71, v60, v146
	v_fma_f32 v3, v62, v147, -v3
	v_fmac_f32_e32 v71, v61, v145
	v_add_f32_e32 v68, v2, v3
	s_waitcnt vmcnt(18) lgkmcnt(0)
	v_mul_f32_e32 v2, v65, v150
	v_add_f32_e32 v69, v69, v71
	v_mul_f32_e32 v71, v62, v148
	v_fma_f32 v70, v64, v149, -v2
	s_waitcnt vmcnt(16)
	v_mul_f32_e32 v2, v67, v152
	v_fmac_f32_e32 v71, v63, v147
	v_fma_f32 v78, v66, v151, -v2
	ds_read2_b64 v[2:5], v1 offset0:115 offset1:116
	ds_read2_b64 v[6:9], v1 offset0:117 offset1:118
	;; [unrolled: 1-line block ×4, first 2 shown]
	v_add_f32_e32 v69, v69, v71
	v_mul_f32_e32 v71, v64, v150
	s_waitcnt vmcnt(11)
	v_mov_b32_e32 v22, v77
	v_fmac_f32_e32 v71, v65, v149
	v_mul_f32_e32 v79, v66, v152
	s_waitcnt lgkmcnt(3)
	v_pk_mul_f32 v[22:23], v[2:3], v[22:23] op_sel_hi:[1,0]
	v_fmac_f32_e32 v79, v67, v151
	v_pk_add_f32 v[20:21], v[68:69], v[70:71]
	s_waitcnt vmcnt(10)
	v_pk_fma_f32 v[24:25], v[2:3], v[76:77], v[22:23] op_sel:[0,0,1] op_sel_hi:[1,1,0] neg_lo:[0,0,1] neg_hi:[0,0,1]
	v_pk_fma_f32 v[2:3], v[2:3], v[76:77], v[22:23] op_sel:[0,0,1] op_sel_hi:[1,0,0]
	v_pk_add_f32 v[20:21], v[20:21], v[78:79]
	v_mov_b32_e32 v25, v3
	v_pk_add_f32 v[2:3], v[20:21], v[24:25]
	v_mov_b32_e32 v20, v75
	v_pk_mul_f32 v[20:21], v[4:5], v[20:21] op_sel_hi:[1,0]
	v_pk_fma_f32 v[22:23], v[4:5], v[74:75], v[20:21] op_sel:[0,0,1] op_sel_hi:[1,1,0] neg_lo:[0,0,1] neg_hi:[0,0,1]
	v_pk_fma_f32 v[4:5], v[4:5], v[74:75], v[20:21] op_sel:[0,0,1] op_sel_hi:[1,0,0]
	v_mov_b32_e32 v4, v73
	v_mov_b32_e32 v23, v5
	s_waitcnt lgkmcnt(2)
	v_pk_mul_f32 v[4:5], v[6:7], v[4:5] op_sel_hi:[1,0]
	v_pk_fma_f32 v[20:21], v[6:7], v[72:73], v[4:5] op_sel:[0,0,1] op_sel_hi:[1,1,0] neg_lo:[0,0,1] neg_hi:[0,0,1]
	v_pk_fma_f32 v[4:5], v[6:7], v[72:73], v[4:5] op_sel:[0,0,1] op_sel_hi:[1,0,0]
	s_waitcnt vmcnt(3)
	v_mov_b32_e32 v4, v87
	v_mov_b32_e32 v21, v5
	v_pk_mul_f32 v[4:5], v[8:9], v[4:5] op_sel_hi:[1,0]
	s_waitcnt vmcnt(2)
	v_pk_fma_f32 v[6:7], v[8:9], v[86:87], v[4:5] op_sel:[0,0,1] op_sel_hi:[1,1,0] neg_lo:[0,0,1] neg_hi:[0,0,1]
	v_pk_fma_f32 v[4:5], v[8:9], v[86:87], v[4:5] op_sel:[0,0,1] op_sel_hi:[1,0,0]
	v_pk_add_f32 v[2:3], v[2:3], v[22:23]
	v_mov_b32_e32 v4, v85
	v_pk_add_f32 v[2:3], v[2:3], v[20:21]
	v_mov_b32_e32 v7, v5
	s_waitcnt lgkmcnt(1)
	v_pk_mul_f32 v[4:5], v[10:11], v[4:5] op_sel_hi:[1,0]
	v_pk_add_f32 v[2:3], v[2:3], v[6:7]
	v_pk_fma_f32 v[6:7], v[10:11], v[84:85], v[4:5] op_sel:[0,0,1] op_sel_hi:[1,1,0] neg_lo:[0,0,1] neg_hi:[0,0,1]
	v_pk_fma_f32 v[4:5], v[10:11], v[84:85], v[4:5] op_sel:[0,0,1] op_sel_hi:[1,0,0]
	v_mov_b32_e32 v4, v83
	v_mov_b32_e32 v7, v5
	v_pk_mul_f32 v[4:5], v[12:13], v[4:5] op_sel_hi:[1,0]
	v_pk_add_f32 v[2:3], v[2:3], v[6:7]
	v_pk_fma_f32 v[6:7], v[12:13], v[82:83], v[4:5] op_sel:[0,0,1] op_sel_hi:[1,1,0] neg_lo:[0,0,1] neg_hi:[0,0,1]
	v_pk_fma_f32 v[4:5], v[12:13], v[82:83], v[4:5] op_sel:[0,0,1] op_sel_hi:[1,0,0]
	v_mov_b32_e32 v4, v81
	v_mov_b32_e32 v7, v5
	s_waitcnt lgkmcnt(0)
	v_pk_mul_f32 v[4:5], v[14:15], v[4:5] op_sel_hi:[1,0]
	v_pk_add_f32 v[2:3], v[2:3], v[6:7]
	v_pk_fma_f32 v[6:7], v[14:15], v[80:81], v[4:5] op_sel:[0,0,1] op_sel_hi:[1,1,0] neg_lo:[0,0,1] neg_hi:[0,0,1]
	v_pk_fma_f32 v[4:5], v[14:15], v[80:81], v[4:5] op_sel:[0,0,1] op_sel_hi:[1,0,0]
	s_waitcnt vmcnt(1)
	v_mov_b32_e32 v4, v89
	v_mov_b32_e32 v7, v5
	v_pk_mul_f32 v[4:5], v[16:17], v[4:5] op_sel_hi:[1,0]
	v_pk_add_f32 v[2:3], v[2:3], v[6:7]
	s_waitcnt vmcnt(0)
	v_pk_fma_f32 v[6:7], v[16:17], v[88:89], v[4:5] op_sel:[0,0,1] op_sel_hi:[1,1,0] neg_lo:[0,0,1] neg_hi:[0,0,1]
	v_pk_fma_f32 v[4:5], v[16:17], v[88:89], v[4:5] op_sel:[0,0,1] op_sel_hi:[1,0,0]
	v_mov_b32_e32 v7, v5
	v_pk_add_f32 v[2:3], v[2:3], v[6:7]
	v_pk_add_f32 v[2:3], v[18:19], v[2:3] neg_lo:[0,1] neg_hi:[0,1]
	buffer_store_dword v3, off, s[0:3], 0 offset:164
	buffer_store_dword v2, off, s[0:3], 0 offset:160
	s_and_saveexec_b64 s[4:5], vcc
	s_cbranch_execz .LBB60_341
; %bb.340:
	buffer_load_dword v2, off, s[0:3], 0 offset:152
	buffer_load_dword v3, off, s[0:3], 0 offset:156
	v_mov_b32_e32 v1, 0
	buffer_store_dword v1, off, s[0:3], 0 offset:152
	buffer_store_dword v1, off, s[0:3], 0 offset:156
	s_waitcnt vmcnt(2)
	ds_write_b64 v199, v[2:3]
.LBB60_341:
	s_or_b64 exec, exec, s[4:5]
	v_mov_b32_e32 v94, 0
	s_waitcnt lgkmcnt(0)
	; wave barrier
	s_waitcnt lgkmcnt(0)
	ds_read_b128 v[14:17], v94 offset:656
	ds_read_b128 v[10:13], v94 offset:672
	;; [unrolled: 1-line block ×4, first 2 shown]
	buffer_load_dword v70, off, s[0:3], 0 offset:152
	buffer_load_dword v71, off, s[0:3], 0 offset:156
	;; [unrolled: 1-line block ×18, first 2 shown]
	v_cmp_lt_u32_e32 vcc, 18, v0
	s_waitcnt vmcnt(14) lgkmcnt(3)
	v_mul_f32_e32 v18, v14, v78
	v_fmac_f32_e32 v18, v15, v1
	s_waitcnt vmcnt(12)
	v_mul_f32_e32 v19, v16, v96
	v_add_f32_e32 v18, 0, v18
	v_fmac_f32_e32 v19, v17, v72
	v_add_f32_e32 v18, v18, v19
	s_waitcnt vmcnt(10) lgkmcnt(2)
	v_mul_f32_e32 v19, v10, v98
	v_fmac_f32_e32 v19, v11, v74
	v_add_f32_e32 v18, v18, v19
	s_waitcnt vmcnt(8)
	v_mul_f32_e32 v19, v12, v100
	v_fmac_f32_e32 v19, v13, v95
	v_add_f32_e32 v18, v18, v19
	s_waitcnt vmcnt(6) lgkmcnt(1)
	v_mul_f32_e32 v19, v6, v104
	v_fmac_f32_e32 v19, v7, v97
	v_add_f32_e32 v18, v18, v19
	s_waitcnt vmcnt(4)
	v_mul_f32_e32 v19, v8, v105
	;; [unrolled: 8-line block ×3, first 2 shown]
	v_fmac_f32_e32 v19, v5, v107
	v_add_f32_e32 v22, v18, v19
	ds_read_b128 v[18:21], v94 offset:720
	buffer_load_dword v109, off, s[0:3], 0 offset:224
	buffer_load_dword v110, off, s[0:3], 0 offset:228
	buffer_load_dword v111, off, s[0:3], 0 offset:232
	buffer_load_dword v112, off, s[0:3], 0 offset:236
	ds_read_b128 v[26:29], v94 offset:736
	buffer_load_dword v113, off, s[0:3], 0 offset:240
	buffer_load_dword v114, off, s[0:3], 0 offset:244
	buffer_load_dword v115, off, s[0:3], 0 offset:248
	buffer_load_dword v116, off, s[0:3], 0 offset:252
	;; [unrolled: 5-line block ×12, first 2 shown]
	v_mul_f32_e32 v15, v15, v78
	v_fma_f32 v1, v14, v1, -v15
	v_mul_f32_e32 v14, v17, v96
	v_add_f32_e32 v1, 0, v1
	v_fma_f32 v14, v16, v72, -v14
	v_mul_f32_e32 v11, v11, v98
	v_add_f32_e32 v1, v1, v14
	v_fma_f32 v10, v10, v74, -v11
	v_add_f32_e32 v1, v1, v10
	v_mul_f32_e32 v10, v13, v100
	v_fma_f32 v10, v12, v95, -v10
	v_mul_f32_e32 v7, v7, v104
	v_add_f32_e32 v1, v1, v10
	v_fma_f32 v6, v6, v97, -v7
	v_add_f32_e32 v1, v1, v6
	v_mul_f32_e32 v6, v9, v105
	;; [unrolled: 6-line block ×3, first 2 shown]
	v_fma_f32 v2, v4, v107, -v2
	v_add_f32_e32 v1, v1, v2
	s_waitcnt vmcnt(46) lgkmcnt(11)
	v_mul_f32_e32 v23, v18, v110
	v_fmac_f32_e32 v23, v19, v109
	v_add_f32_e32 v22, v22, v23
	s_waitcnt vmcnt(44)
	v_mul_f32_e32 v23, v20, v112
	v_fmac_f32_e32 v23, v21, v111
	v_add_f32_e32 v22, v22, v23
	s_waitcnt vmcnt(42) lgkmcnt(10)
	v_mul_f32_e32 v23, v26, v114
	v_fmac_f32_e32 v23, v27, v113
	v_add_f32_e32 v22, v22, v23
	s_waitcnt vmcnt(40)
	v_mul_f32_e32 v23, v28, v116
	v_fmac_f32_e32 v23, v29, v115
	;; [unrolled: 8-line block ×11, first 2 shown]
	v_add_f32_e32 v22, v22, v23
	s_waitcnt vmcnt(2) lgkmcnt(0)
	v_mul_f32_e32 v23, v66, v154
	v_fmac_f32_e32 v23, v67, v153
	v_add_f32_e32 v73, v22, v23
	ds_read_b128 v[22:25], v94 offset:912
	buffer_load_dword v157, off, s[0:3], 0 offset:416
	buffer_load_dword v158, off, s[0:3], 0 offset:420
	;; [unrolled: 1-line block ×18, first 2 shown]
	v_mul_f32_e32 v2, v19, v110
	v_fma_f32 v2, v18, v109, -v2
	v_add_f32_e32 v1, v1, v2
	v_mul_f32_e32 v2, v21, v112
	v_fma_f32 v2, v20, v111, -v2
	v_add_f32_e32 v1, v1, v2
	;; [unrolled: 3-line block ×22, first 2 shown]
	v_mul_f32_e32 v2, v67, v154
	v_fma_f32 v2, v66, v153, -v2
	s_waitcnt vmcnt(15)
	v_mov_b32_e32 v18, v77
	v_mul_f32_e32 v75, v68, v156
	v_add_f32_e32 v72, v1, v2
	v_mul_f32_e32 v1, v69, v156
	s_waitcnt lgkmcnt(0)
	v_pk_mul_f32 v[18:19], v[24:25], v[18:19] op_sel_hi:[1,0]
	v_fmac_f32_e32 v75, v69, v155
	v_fma_f32 v74, v68, v155, -v1
	ds_read_b128 v[2:5], v94 offset:928
	ds_read_b128 v[6:9], v94 offset:944
	;; [unrolled: 1-line block ×3, first 2 shown]
	ds_read_b64 v[14:15], v94 offset:976
	s_waitcnt vmcnt(14)
	v_pk_fma_f32 v[20:21], v[24:25], v[76:77], v[18:19] op_sel:[0,0,1] op_sel_hi:[1,1,0] neg_lo:[0,0,1] neg_hi:[0,0,1]
	v_pk_fma_f32 v[18:19], v[24:25], v[76:77], v[18:19] op_sel:[0,0,1] op_sel_hi:[1,0,0]
	v_mul_f32_e32 v79, v22, v158
	v_mul_f32_e32 v1, v23, v158
	v_fmac_f32_e32 v79, v23, v157
	v_fma_f32 v78, v22, v157, -v1
	v_pk_add_f32 v[16:17], v[72:73], v[74:75]
	s_waitcnt vmcnt(13)
	v_mov_b32_e32 v18, v93
	v_pk_add_f32 v[16:17], v[16:17], v[78:79]
	v_mov_b32_e32 v21, v19
	s_waitcnt lgkmcnt(3)
	v_pk_mul_f32 v[18:19], v[2:3], v[18:19] op_sel_hi:[1,0]
	v_pk_add_f32 v[16:17], v[16:17], v[20:21]
	s_waitcnt vmcnt(12)
	v_pk_fma_f32 v[20:21], v[2:3], v[92:93], v[18:19] op_sel:[0,0,1] op_sel_hi:[1,1,0] neg_lo:[0,0,1] neg_hi:[0,0,1]
	v_pk_fma_f32 v[2:3], v[2:3], v[92:93], v[18:19] op_sel:[0,0,1] op_sel_hi:[1,0,0]
	v_mov_b32_e32 v21, v3
	v_pk_add_f32 v[2:3], v[16:17], v[20:21]
	s_waitcnt vmcnt(11)
	v_mov_b32_e32 v16, v91
	v_pk_mul_f32 v[16:17], v[4:5], v[16:17] op_sel_hi:[1,0]
	s_waitcnt vmcnt(10)
	v_pk_fma_f32 v[18:19], v[4:5], v[90:91], v[16:17] op_sel:[0,0,1] op_sel_hi:[1,1,0] neg_lo:[0,0,1] neg_hi:[0,0,1]
	v_pk_fma_f32 v[4:5], v[4:5], v[90:91], v[16:17] op_sel:[0,0,1] op_sel_hi:[1,0,0]
	s_waitcnt vmcnt(9)
	v_mov_b32_e32 v4, v89
	v_mov_b32_e32 v19, v5
	s_waitcnt lgkmcnt(2)
	v_pk_mul_f32 v[4:5], v[6:7], v[4:5] op_sel_hi:[1,0]
	s_waitcnt vmcnt(8)
	v_pk_fma_f32 v[16:17], v[6:7], v[88:89], v[4:5] op_sel:[0,0,1] op_sel_hi:[1,1,0] neg_lo:[0,0,1] neg_hi:[0,0,1]
	v_pk_fma_f32 v[4:5], v[6:7], v[88:89], v[4:5] op_sel:[0,0,1] op_sel_hi:[1,0,0]
	s_waitcnt vmcnt(7)
	v_mov_b32_e32 v4, v87
	v_mov_b32_e32 v17, v5
	v_pk_mul_f32 v[4:5], v[8:9], v[4:5] op_sel_hi:[1,0]
	s_waitcnt vmcnt(6)
	v_pk_fma_f32 v[6:7], v[8:9], v[86:87], v[4:5] op_sel:[0,0,1] op_sel_hi:[1,1,0] neg_lo:[0,0,1] neg_hi:[0,0,1]
	v_pk_fma_f32 v[4:5], v[8:9], v[86:87], v[4:5] op_sel:[0,0,1] op_sel_hi:[1,0,0]
	v_pk_add_f32 v[2:3], v[2:3], v[18:19]
	s_waitcnt vmcnt(5)
	v_mov_b32_e32 v4, v85
	v_pk_add_f32 v[2:3], v[2:3], v[16:17]
	v_mov_b32_e32 v7, v5
	s_waitcnt lgkmcnt(1)
	v_pk_mul_f32 v[4:5], v[10:11], v[4:5] op_sel_hi:[1,0]
	v_pk_add_f32 v[2:3], v[2:3], v[6:7]
	s_waitcnt vmcnt(4)
	v_pk_fma_f32 v[6:7], v[10:11], v[84:85], v[4:5] op_sel:[0,0,1] op_sel_hi:[1,1,0] neg_lo:[0,0,1] neg_hi:[0,0,1]
	v_pk_fma_f32 v[4:5], v[10:11], v[84:85], v[4:5] op_sel:[0,0,1] op_sel_hi:[1,0,0]
	s_waitcnt vmcnt(3)
	v_mov_b32_e32 v4, v83
	v_mov_b32_e32 v7, v5
	v_pk_mul_f32 v[4:5], v[12:13], v[4:5] op_sel_hi:[1,0]
	v_pk_add_f32 v[2:3], v[2:3], v[6:7]
	s_waitcnt vmcnt(2)
	v_pk_fma_f32 v[6:7], v[12:13], v[82:83], v[4:5] op_sel:[0,0,1] op_sel_hi:[1,1,0] neg_lo:[0,0,1] neg_hi:[0,0,1]
	v_pk_fma_f32 v[4:5], v[12:13], v[82:83], v[4:5] op_sel:[0,0,1] op_sel_hi:[1,0,0]
	s_waitcnt vmcnt(1)
	v_mov_b32_e32 v4, v81
	v_mov_b32_e32 v7, v5
	s_waitcnt lgkmcnt(0)
	v_pk_mul_f32 v[4:5], v[14:15], v[4:5] op_sel_hi:[1,0]
	v_pk_add_f32 v[2:3], v[2:3], v[6:7]
	s_waitcnt vmcnt(0)
	v_pk_fma_f32 v[6:7], v[14:15], v[80:81], v[4:5] op_sel:[0,0,1] op_sel_hi:[1,1,0] neg_lo:[0,0,1] neg_hi:[0,0,1]
	v_pk_fma_f32 v[4:5], v[14:15], v[80:81], v[4:5] op_sel:[0,0,1] op_sel_hi:[1,0,0]
	v_mov_b32_e32 v7, v5
	v_pk_add_f32 v[2:3], v[2:3], v[6:7]
	v_pk_add_f32 v[2:3], v[70:71], v[2:3] neg_lo:[0,1] neg_hi:[0,1]
	buffer_store_dword v3, off, s[0:3], 0 offset:156
	buffer_store_dword v2, off, s[0:3], 0 offset:152
	s_and_saveexec_b64 s[4:5], vcc
	s_cbranch_execz .LBB60_343
; %bb.342:
	buffer_load_dword v2, off, s[0:3], 0 offset:144
	buffer_load_dword v3, off, s[0:3], 0 offset:148
	s_waitcnt vmcnt(0)
	ds_write_b64 v199, v[2:3]
	buffer_store_dword v94, off, s[0:3], 0 offset:144
	buffer_store_dword v94, off, s[0:3], 0 offset:148
.LBB60_343:
	s_or_b64 exec, exec, s[4:5]
	s_waitcnt lgkmcnt(0)
	; wave barrier
	s_waitcnt lgkmcnt(0)
	buffer_load_dword v1, off, s[0:3], 0 offset:156
	buffer_load_dword v78, off, s[0:3], 0 offset:164
	;; [unrolled: 1-line block ×24, first 2 shown]
	ds_read2_b64 v[22:25], v94 offset0:81 offset1:82
	ds_read2_b64 v[18:21], v94 offset0:83 offset1:84
	;; [unrolled: 1-line block ×4, first 2 shown]
	buffer_load_dword v119, off, s[0:3], 0 offset:240
	buffer_load_dword v120, off, s[0:3], 0 offset:244
	ds_read2_b64 v[10:13], v94 offset0:89 offset1:90
	ds_read2_b64 v[2:5], v94 offset0:91 offset1:92
	buffer_load_dword v121, off, s[0:3], 0 offset:248
	buffer_load_dword v122, off, s[0:3], 0 offset:252
	buffer_load_dword v123, off, s[0:3], 0 offset:256
	buffer_load_dword v124, off, s[0:3], 0 offset:260
	buffer_load_dword v125, off, s[0:3], 0 offset:264
	buffer_load_dword v126, off, s[0:3], 0 offset:268
	buffer_load_dword v127, off, s[0:3], 0 offset:272
	buffer_load_dword v128, off, s[0:3], 0 offset:276
	buffer_load_dword v129, off, s[0:3], 0 offset:280
	buffer_load_dword v130, off, s[0:3], 0 offset:284
	buffer_load_dword v131, off, s[0:3], 0 offset:288
	buffer_load_dword v132, off, s[0:3], 0 offset:292
	buffer_load_dword v133, off, s[0:3], 0 offset:296
	buffer_load_dword v134, off, s[0:3], 0 offset:300
	buffer_load_dword v135, off, s[0:3], 0 offset:304
	buffer_load_dword v136, off, s[0:3], 0 offset:308
	buffer_load_dword v137, off, s[0:3], 0 offset:312
	buffer_load_dword v138, off, s[0:3], 0 offset:316
	buffer_load_dword v139, off, s[0:3], 0 offset:320
	buffer_load_dword v140, off, s[0:3], 0 offset:324
	buffer_load_dword v141, off, s[0:3], 0 offset:328
	buffer_load_dword v142, off, s[0:3], 0 offset:332
	buffer_load_dword v143, off, s[0:3], 0 offset:336
	buffer_load_dword v144, off, s[0:3], 0 offset:340
	buffer_load_dword v145, off, s[0:3], 0 offset:344
	buffer_load_dword v146, off, s[0:3], 0 offset:348
	buffer_load_dword v147, off, s[0:3], 0 offset:352
	buffer_load_dword v148, off, s[0:3], 0 offset:356
	buffer_load_dword v149, off, s[0:3], 0 offset:360
	buffer_load_dword v150, off, s[0:3], 0 offset:364
	buffer_load_dword v151, off, s[0:3], 0 offset:368
	buffer_load_dword v152, off, s[0:3], 0 offset:372
	buffer_load_dword v153, off, s[0:3], 0 offset:376
	buffer_load_dword v154, off, s[0:3], 0 offset:380
	buffer_load_dword v155, off, s[0:3], 0 offset:384
	buffer_load_dword v156, off, s[0:3], 0 offset:388
	buffer_load_dword v157, off, s[0:3], 0 offset:392
	buffer_load_dword v158, off, s[0:3], 0 offset:396
	buffer_load_dword v159, off, s[0:3], 0 offset:400
	buffer_load_dword v160, off, s[0:3], 0 offset:404
	buffer_load_dword v161, off, s[0:3], 0 offset:408
	buffer_load_dword v162, off, s[0:3], 0 offset:412
	buffer_load_dword v163, off, s[0:3], 0 offset:416
	buffer_load_dword v164, off, s[0:3], 0 offset:420
	v_cmp_lt_u32_e32 vcc, 17, v0
	s_waitcnt vmcnt(62) lgkmcnt(5)
	v_mul_f32_e32 v28, v22, v1
	v_mul_f32_e32 v29, v24, v78
	s_waitcnt lgkmcnt(4)
	v_mul_f32_e32 v31, v20, v80
	s_waitcnt lgkmcnt(3)
	v_mul_f32_e32 v32, v14, v82
	v_mul_f32_e32 v33, v16, v95
	;; [unrolled: 1-line block ×3, first 2 shown]
	s_waitcnt lgkmcnt(2)
	v_mul_f32_e32 v34, v6, v101
	v_mul_f32_e32 v35, v8, v104
	s_waitcnt vmcnt(61)
	v_fmac_f32_e32 v30, v19, v105
	s_waitcnt vmcnt(60)
	v_fmac_f32_e32 v29, v25, v106
	;; [unrolled: 2-line block ×3, first 2 shown]
	v_add_f32_e32 v28, 0, v28
	v_add_f32_e32 v28, v28, v29
	;; [unrolled: 1-line block ×3, first 2 shown]
	s_waitcnt vmcnt(55)
	v_fmac_f32_e32 v31, v21, v111
	v_fmac_f32_e32 v32, v15, v110
	v_add_f32_e32 v28, v28, v31
	v_fmac_f32_e32 v33, v17, v109
	v_add_f32_e32 v28, v28, v32
	;; [unrolled: 2-line block ×3, first 2 shown]
	s_waitcnt vmcnt(51)
	v_fmac_f32_e32 v35, v9, v115
	v_add_f32_e32 v28, v28, v34
	s_waitcnt vmcnt(50) lgkmcnt(1)
	v_mul_f32_e32 v29, v10, v116
	v_add_f32_e32 v28, v28, v35
	v_fmac_f32_e32 v29, v11, v114
	v_add_f32_e32 v28, v28, v29
	s_waitcnt vmcnt(49)
	v_mul_f32_e32 v29, v12, v117
	v_fmac_f32_e32 v29, v13, v113
	v_add_f32_e32 v28, v28, v29
	s_waitcnt vmcnt(48) lgkmcnt(0)
	v_mul_f32_e32 v29, v2, v118
	v_fmac_f32_e32 v29, v3, v112
	v_add_f32_e32 v32, v28, v29
	ds_read2_b64 v[28:31], v94 offset0:93 offset1:94
	s_waitcnt vmcnt(44)
	v_mul_f32_e32 v33, v4, v120
	v_fmac_f32_e32 v33, v5, v119
	v_add_f32_e32 v36, v32, v33
	ds_read2_b64 v[32:35], v94 offset0:95 offset1:96
	s_waitcnt vmcnt(42) lgkmcnt(1)
	v_mul_f32_e32 v37, v28, v122
	v_fmac_f32_e32 v37, v29, v121
	v_add_f32_e32 v36, v36, v37
	s_waitcnt vmcnt(40)
	v_mul_f32_e32 v37, v30, v124
	v_fmac_f32_e32 v37, v31, v123
	v_add_f32_e32 v36, v36, v37
	s_waitcnt vmcnt(38) lgkmcnt(0)
	v_mul_f32_e32 v37, v32, v126
	v_fmac_f32_e32 v37, v33, v125
	v_add_f32_e32 v40, v36, v37
	ds_read2_b64 v[36:39], v94 offset0:97 offset1:98
	s_waitcnt vmcnt(36)
	v_mul_f32_e32 v41, v34, v128
	v_fmac_f32_e32 v41, v35, v127
	v_add_f32_e32 v44, v40, v41
	ds_read2_b64 v[40:43], v94 offset0:99 offset1:100
	s_waitcnt vmcnt(34) lgkmcnt(1)
	v_mul_f32_e32 v45, v36, v130
	;; [unrolled: 18-line block ×4, first 2 shown]
	v_fmac_f32_e32 v61, v53, v145
	v_add_f32_e32 v60, v60, v61
	s_waitcnt vmcnt(16)
	v_mul_f32_e32 v61, v54, v148
	v_fmac_f32_e32 v61, v55, v147
	v_add_f32_e32 v60, v60, v61
	s_waitcnt vmcnt(14) lgkmcnt(0)
	v_mul_f32_e32 v61, v56, v150
	v_fmac_f32_e32 v61, v57, v149
	v_add_f32_e32 v64, v60, v61
	ds_read2_b64 v[60:63], v94 offset0:109 offset1:110
	s_waitcnt vmcnt(12)
	v_mul_f32_e32 v65, v58, v152
	v_fmac_f32_e32 v65, v59, v151
	v_add_f32_e32 v68, v64, v65
	ds_read2_b64 v[64:67], v94 offset0:111 offset1:112
	buffer_load_dword v77, off, s[0:3], 0 offset:428
	buffer_load_dword v76, off, s[0:3], 0 offset:424
	s_waitcnt vmcnt(12) lgkmcnt(1)
	v_mul_f32_e32 v69, v60, v154
	v_fmac_f32_e32 v69, v61, v153
	v_add_f32_e32 v68, v68, v69
	s_waitcnt vmcnt(10)
	v_mul_f32_e32 v69, v62, v156
	v_fmac_f32_e32 v69, v63, v155
	v_add_f32_e32 v68, v68, v69
	s_waitcnt vmcnt(8) lgkmcnt(0)
	v_mul_f32_e32 v69, v64, v158
	v_fmac_f32_e32 v69, v65, v157
	s_waitcnt vmcnt(6)
	v_mul_f32_e32 v73, v66, v160
	v_add_f32_e32 v72, v68, v69
	v_fmac_f32_e32 v73, v67, v159
	ds_read2_b64 v[68:71], v94 offset0:113 offset1:114
	v_add_f32_e32 v79, v72, v73
	ds_read2_b64 v[72:75], v94 offset0:115 offset1:116
	buffer_load_dword v85, off, s[0:3], 0 offset:460
	buffer_load_dword v84, off, s[0:3], 0 offset:456
	;; [unrolled: 1-line block ×14, first 2 shown]
	v_mul_f32_e32 v1, v23, v1
	v_fma_f32 v1, v22, v107, -v1
	v_mul_f32_e32 v22, v25, v78
	v_add_f32_e32 v1, 0, v1
	v_fma_f32 v22, v24, v106, -v22
	v_mul_f32_e32 v19, v19, v100
	v_add_f32_e32 v1, v1, v22
	v_fma_f32 v18, v18, v105, -v19
	v_add_f32_e32 v1, v1, v18
	v_mul_f32_e32 v18, v21, v80
	v_fma_f32 v18, v20, v111, -v18
	v_mul_f32_e32 v15, v15, v82
	v_add_f32_e32 v1, v1, v18
	v_fma_f32 v14, v14, v110, -v15
	v_add_f32_e32 v1, v1, v14
	v_mul_f32_e32 v14, v17, v95
	;; [unrolled: 6-line block ×3, first 2 shown]
	v_fma_f32 v6, v8, v115, -v6
	v_add_f32_e32 v1, v1, v6
	v_mul_f32_e32 v6, v11, v116
	v_fma_f32 v6, v10, v114, -v6
	v_add_f32_e32 v1, v1, v6
	v_mul_f32_e32 v6, v13, v117
	v_fma_f32 v6, v12, v113, -v6
	v_mul_f32_e32 v3, v3, v118
	v_add_f32_e32 v1, v1, v6
	v_fma_f32 v2, v2, v112, -v3
	v_add_f32_e32 v1, v1, v2
	v_mul_f32_e32 v2, v5, v120
	v_fma_f32 v2, v4, v119, -v2
	v_add_f32_e32 v1, v1, v2
	v_mul_f32_e32 v2, v29, v122
	;; [unrolled: 3-line block ×21, first 2 shown]
	v_fma_f32 v2, v66, v159, -v2
	s_waitcnt vmcnt(15)
	v_mov_b32_e32 v16, v77
	s_waitcnt lgkmcnt(1)
	v_mul_f32_e32 v81, v68, v162
	v_add_f32_e32 v78, v1, v2
	v_mul_f32_e32 v1, v69, v162
	s_waitcnt lgkmcnt(0)
	v_pk_mul_f32 v[16:17], v[72:73], v[16:17] op_sel_hi:[1,0]
	v_fmac_f32_e32 v81, v69, v161
	v_mul_f32_e32 v83, v70, v164
	v_fma_f32 v80, v68, v161, -v1
	v_mul_f32_e32 v1, v71, v164
	s_waitcnt vmcnt(14)
	v_pk_fma_f32 v[18:19], v[72:73], v[76:77], v[16:17] op_sel:[0,0,1] op_sel_hi:[1,1,0] neg_lo:[0,0,1] neg_hi:[0,0,1]
	v_pk_fma_f32 v[16:17], v[72:73], v[76:77], v[16:17] op_sel:[0,0,1] op_sel_hi:[1,0,0]
	v_fmac_f32_e32 v83, v71, v163
	v_fma_f32 v82, v70, v163, -v1
	v_pk_add_f32 v[14:15], v[78:79], v[80:81]
	s_waitcnt vmcnt(7)
	v_mov_b32_e32 v16, v91
	ds_read2_b64 v[2:5], v94 offset0:117 offset1:118
	ds_read2_b64 v[6:9], v94 offset0:119 offset1:120
	;; [unrolled: 1-line block ×3, first 2 shown]
	v_pk_add_f32 v[14:15], v[14:15], v[82:83]
	v_mov_b32_e32 v19, v17
	v_pk_mul_f32 v[16:17], v[74:75], v[16:17] op_sel_hi:[1,0]
	v_pk_add_f32 v[14:15], v[14:15], v[18:19]
	s_waitcnt vmcnt(6)
	v_pk_fma_f32 v[18:19], v[74:75], v[90:91], v[16:17] op_sel:[0,0,1] op_sel_hi:[1,1,0] neg_lo:[0,0,1] neg_hi:[0,0,1]
	v_pk_fma_f32 v[16:17], v[74:75], v[90:91], v[16:17] op_sel:[0,0,1] op_sel_hi:[1,0,0]
	v_mov_b32_e32 v16, v89
	v_mov_b32_e32 v19, v17
	s_waitcnt lgkmcnt(2)
	v_pk_mul_f32 v[16:17], v[2:3], v[16:17] op_sel_hi:[1,0]
	v_pk_add_f32 v[14:15], v[14:15], v[18:19]
	v_pk_fma_f32 v[18:19], v[2:3], v[88:89], v[16:17] op_sel:[0,0,1] op_sel_hi:[1,1,0] neg_lo:[0,0,1] neg_hi:[0,0,1]
	v_pk_fma_f32 v[2:3], v[2:3], v[88:89], v[16:17] op_sel:[0,0,1] op_sel_hi:[1,0,0]
	v_mov_b32_e32 v19, v3
	v_pk_add_f32 v[2:3], v[14:15], v[18:19]
	v_mov_b32_e32 v14, v87
	v_pk_mul_f32 v[14:15], v[4:5], v[14:15] op_sel_hi:[1,0]
	v_pk_fma_f32 v[16:17], v[4:5], v[86:87], v[14:15] op_sel:[0,0,1] op_sel_hi:[1,1,0] neg_lo:[0,0,1] neg_hi:[0,0,1]
	v_pk_fma_f32 v[4:5], v[4:5], v[86:87], v[14:15] op_sel:[0,0,1] op_sel_hi:[1,0,0]
	v_mov_b32_e32 v4, v85
	v_mov_b32_e32 v17, v5
	s_waitcnt lgkmcnt(1)
	v_pk_mul_f32 v[4:5], v[6:7], v[4:5] op_sel_hi:[1,0]
	v_pk_fma_f32 v[14:15], v[6:7], v[84:85], v[4:5] op_sel:[0,0,1] op_sel_hi:[1,1,0] neg_lo:[0,0,1] neg_hi:[0,0,1]
	v_pk_fma_f32 v[4:5], v[6:7], v[84:85], v[4:5] op_sel:[0,0,1] op_sel_hi:[1,0,0]
	s_waitcnt vmcnt(1)
	v_mov_b32_e32 v4, v99
	v_mov_b32_e32 v15, v5
	v_pk_mul_f32 v[4:5], v[8:9], v[4:5] op_sel_hi:[1,0]
	s_waitcnt vmcnt(0)
	v_pk_fma_f32 v[6:7], v[8:9], v[98:99], v[4:5] op_sel:[0,0,1] op_sel_hi:[1,1,0] neg_lo:[0,0,1] neg_hi:[0,0,1]
	v_pk_fma_f32 v[4:5], v[8:9], v[98:99], v[4:5] op_sel:[0,0,1] op_sel_hi:[1,0,0]
	v_pk_add_f32 v[2:3], v[2:3], v[16:17]
	v_mov_b32_e32 v4, v97
	v_pk_add_f32 v[2:3], v[2:3], v[14:15]
	v_mov_b32_e32 v7, v5
	s_waitcnt lgkmcnt(0)
	v_pk_mul_f32 v[4:5], v[10:11], v[4:5] op_sel_hi:[1,0]
	v_pk_add_f32 v[2:3], v[2:3], v[6:7]
	v_pk_fma_f32 v[6:7], v[10:11], v[96:97], v[4:5] op_sel:[0,0,1] op_sel_hi:[1,1,0] neg_lo:[0,0,1] neg_hi:[0,0,1]
	v_pk_fma_f32 v[4:5], v[10:11], v[96:97], v[4:5] op_sel:[0,0,1] op_sel_hi:[1,0,0]
	v_mov_b32_e32 v4, v93
	v_mov_b32_e32 v7, v5
	v_pk_mul_f32 v[4:5], v[12:13], v[4:5] op_sel_hi:[1,0]
	v_pk_add_f32 v[2:3], v[2:3], v[6:7]
	v_pk_fma_f32 v[6:7], v[12:13], v[92:93], v[4:5] op_sel:[0,0,1] op_sel_hi:[1,1,0] neg_lo:[0,0,1] neg_hi:[0,0,1]
	v_pk_fma_f32 v[4:5], v[12:13], v[92:93], v[4:5] op_sel:[0,0,1] op_sel_hi:[1,0,0]
	v_mov_b32_e32 v7, v5
	v_pk_add_f32 v[2:3], v[2:3], v[6:7]
	v_pk_add_f32 v[2:3], v[26:27], v[2:3] neg_lo:[0,1] neg_hi:[0,1]
	buffer_store_dword v3, off, s[0:3], 0 offset:148
	buffer_store_dword v2, off, s[0:3], 0 offset:144
	s_and_saveexec_b64 s[4:5], vcc
	s_cbranch_execz .LBB60_345
; %bb.344:
	buffer_load_dword v2, off, s[0:3], 0 offset:136
	buffer_load_dword v3, off, s[0:3], 0 offset:140
	v_mov_b32_e32 v1, 0
	buffer_store_dword v1, off, s[0:3], 0 offset:136
	buffer_store_dword v1, off, s[0:3], 0 offset:140
	s_waitcnt vmcnt(2)
	ds_write_b64 v199, v[2:3]
.LBB60_345:
	s_or_b64 exec, exec, s[4:5]
	s_waitcnt lgkmcnt(0)
	; wave barrier
	s_waitcnt lgkmcnt(0)
	buffer_load_dword v76, off, s[0:3], 0 offset:148
	buffer_load_dword v78, off, s[0:3], 0 offset:156
	;; [unrolled: 1-line block ×56, first 2 shown]
	v_mov_b32_e32 v1, 0
	ds_read_b128 v[4:7], v1 offset:640
	ds_read_b128 v[8:11], v1 offset:656
	;; [unrolled: 1-line block ×6, first 2 shown]
	buffer_load_dword v151, off, s[0:3], 0 offset:360
	buffer_load_dword v152, off, s[0:3], 0 offset:364
	;; [unrolled: 1-line block ×16, first 2 shown]
	v_cmp_lt_u32_e32 vcc, 16, v0
	s_waitcnt vmcnt(62) lgkmcnt(5)
	v_mul_f32_e32 v28, v4, v76
	v_mul_f32_e32 v29, v6, v78
	s_waitcnt lgkmcnt(4)
	v_mul_f32_e32 v31, v10, v80
	s_waitcnt lgkmcnt(3)
	v_mul_f32_e32 v32, v12, v98
	v_mul_f32_e32 v33, v14, v99
	;; [unrolled: 1-line block ×3, first 2 shown]
	s_waitcnt lgkmcnt(2)
	v_mul_f32_e32 v34, v16, v101
	v_mul_f32_e32 v35, v18, v104
	s_waitcnt lgkmcnt(1)
	v_mul_f32_e32 v36, v20, v105
	v_fmac_f32_e32 v30, v9, v106
	s_waitcnt vmcnt(61)
	v_fmac_f32_e32 v29, v7, v107
	s_waitcnt vmcnt(60)
	v_fmac_f32_e32 v28, v5, v108
	v_add_f32_e32 v28, 0, v28
	v_add_f32_e32 v28, v28, v29
	;; [unrolled: 1-line block ×3, first 2 shown]
	s_waitcnt vmcnt(56)
	v_fmac_f32_e32 v31, v11, v112
	v_fmac_f32_e32 v32, v13, v111
	v_add_f32_e32 v28, v28, v31
	v_fmac_f32_e32 v33, v15, v110
	v_add_f32_e32 v28, v28, v32
	;; [unrolled: 2-line block ×3, first 2 shown]
	s_waitcnt vmcnt(52)
	v_fmac_f32_e32 v35, v19, v116
	v_add_f32_e32 v28, v28, v34
	v_add_f32_e32 v28, v28, v35
	v_fmac_f32_e32 v36, v21, v115
	s_waitcnt vmcnt(51)
	v_mul_f32_e32 v29, v22, v117
	v_add_f32_e32 v28, v28, v36
	v_fmac_f32_e32 v29, v23, v114
	v_add_f32_e32 v28, v28, v29
	s_waitcnt vmcnt(50) lgkmcnt(0)
	v_mul_f32_e32 v29, v24, v118
	v_fmac_f32_e32 v29, v25, v113
	v_add_f32_e32 v32, v28, v29
	ds_read_b128 v[28:31], v1 offset:736
	s_waitcnt vmcnt(46)
	v_mul_f32_e32 v33, v26, v120
	v_fmac_f32_e32 v33, v27, v119
	v_add_f32_e32 v36, v32, v33
	ds_read_b128 v[32:35], v1 offset:752
	s_waitcnt vmcnt(44) lgkmcnt(1)
	v_mul_f32_e32 v37, v28, v122
	v_fmac_f32_e32 v37, v29, v121
	v_add_f32_e32 v36, v36, v37
	s_waitcnt vmcnt(42)
	v_mul_f32_e32 v37, v30, v124
	v_fmac_f32_e32 v37, v31, v123
	v_add_f32_e32 v36, v36, v37
	s_waitcnt vmcnt(40) lgkmcnt(0)
	v_mul_f32_e32 v37, v32, v126
	v_fmac_f32_e32 v37, v33, v125
	v_add_f32_e32 v40, v36, v37
	ds_read_b128 v[36:39], v1 offset:768
	s_waitcnt vmcnt(38)
	v_mul_f32_e32 v41, v34, v128
	v_fmac_f32_e32 v41, v35, v127
	v_add_f32_e32 v44, v40, v41
	ds_read_b128 v[40:43], v1 offset:784
	s_waitcnt vmcnt(36) lgkmcnt(1)
	v_mul_f32_e32 v45, v36, v130
	v_fmac_f32_e32 v45, v37, v129
	v_add_f32_e32 v44, v44, v45
	s_waitcnt vmcnt(34)
	v_mul_f32_e32 v45, v38, v132
	;; [unrolled: 18-line block ×5, first 2 shown]
	v_fmac_f32_e32 v69, v63, v155
	v_add_f32_e32 v68, v68, v69
	s_waitcnt vmcnt(8) lgkmcnt(0)
	v_mul_f32_e32 v69, v64, v158
	v_fmac_f32_e32 v69, v65, v157
	s_waitcnt vmcnt(6)
	v_mul_f32_e32 v73, v66, v160
	v_add_f32_e32 v72, v68, v69
	v_fmac_f32_e32 v73, v67, v159
	ds_read_b128 v[68:71], v1 offset:896
	v_add_f32_e32 v77, v72, v73
	ds_read_b128 v[72:75], v1 offset:912
	buffer_load_dword v83, off, s[0:3], 0 offset:452
	buffer_load_dword v82, off, s[0:3], 0 offset:448
	;; [unrolled: 1-line block ×16, first 2 shown]
	v_mul_f32_e32 v5, v5, v76
	v_fma_f32 v4, v4, v108, -v5
	v_mul_f32_e32 v5, v7, v78
	v_add_f32_e32 v4, 0, v4
	v_fma_f32 v5, v6, v107, -v5
	v_add_f32_e32 v4, v4, v5
	v_mul_f32_e32 v5, v9, v100
	v_fma_f32 v5, v8, v106, -v5
	v_add_f32_e32 v4, v4, v5
	v_mul_f32_e32 v5, v11, v80
	;; [unrolled: 3-line block ×30, first 2 shown]
	v_fma_f32 v5, v66, v159, -v5
	v_add_f32_e32 v4, v4, v5
	s_waitcnt vmcnt(20) lgkmcnt(1)
	v_mul_f32_e32 v5, v69, v162
	v_mul_f32_e32 v79, v68, v162
	v_fma_f32 v5, v68, v161, -v5
	v_fmac_f32_e32 v79, v69, v161
	v_add_f32_e32 v76, v4, v5
	s_waitcnt vmcnt(18)
	v_mul_f32_e32 v4, v71, v164
	s_waitcnt vmcnt(9)
	v_mov_b32_e32 v20, v89
	v_add_f32_e32 v77, v77, v79
	v_mul_f32_e32 v79, v70, v164
	v_fma_f32 v78, v70, v163, -v4
	s_waitcnt lgkmcnt(0)
	v_mul_f32_e32 v4, v73, v166
	v_pk_mul_f32 v[20:21], v[74:75], v[20:21] op_sel_hi:[1,0]
	v_fmac_f32_e32 v79, v71, v163
	v_mul_f32_e32 v81, v72, v166
	v_fma_f32 v80, v72, v165, -v4
	ds_read_b128 v[4:7], v1 offset:928
	ds_read_b128 v[8:11], v1 offset:944
	;; [unrolled: 1-line block ×3, first 2 shown]
	ds_read_b64 v[16:17], v1 offset:976
	s_waitcnt vmcnt(8)
	v_pk_fma_f32 v[22:23], v[74:75], v[88:89], v[20:21] op_sel:[0,0,1] op_sel_hi:[1,1,0] neg_lo:[0,0,1] neg_hi:[0,0,1]
	v_pk_fma_f32 v[20:21], v[74:75], v[88:89], v[20:21] op_sel:[0,0,1] op_sel_hi:[1,0,0]
	v_fmac_f32_e32 v81, v73, v165
	v_pk_add_f32 v[18:19], v[76:77], v[78:79]
	v_mov_b32_e32 v20, v87
	v_pk_add_f32 v[18:19], v[18:19], v[80:81]
	v_mov_b32_e32 v23, v21
	s_waitcnt lgkmcnt(3)
	v_pk_mul_f32 v[20:21], v[4:5], v[20:21] op_sel_hi:[1,0]
	v_pk_add_f32 v[18:19], v[18:19], v[22:23]
	v_pk_fma_f32 v[22:23], v[4:5], v[86:87], v[20:21] op_sel:[0,0,1] op_sel_hi:[1,1,0] neg_lo:[0,0,1] neg_hi:[0,0,1]
	v_pk_fma_f32 v[4:5], v[4:5], v[86:87], v[20:21] op_sel:[0,0,1] op_sel_hi:[1,0,0]
	v_mov_b32_e32 v23, v5
	v_pk_add_f32 v[4:5], v[18:19], v[22:23]
	v_mov_b32_e32 v18, v85
	v_pk_mul_f32 v[18:19], v[6:7], v[18:19] op_sel_hi:[1,0]
	v_pk_fma_f32 v[20:21], v[6:7], v[84:85], v[18:19] op_sel:[0,0,1] op_sel_hi:[1,1,0] neg_lo:[0,0,1] neg_hi:[0,0,1]
	v_pk_fma_f32 v[6:7], v[6:7], v[84:85], v[18:19] op_sel:[0,0,1] op_sel_hi:[1,0,0]
	v_mov_b32_e32 v6, v83
	v_mov_b32_e32 v21, v7
	s_waitcnt lgkmcnt(2)
	v_pk_mul_f32 v[6:7], v[8:9], v[6:7] op_sel_hi:[1,0]
	v_pk_fma_f32 v[18:19], v[8:9], v[82:83], v[6:7] op_sel:[0,0,1] op_sel_hi:[1,1,0] neg_lo:[0,0,1] neg_hi:[0,0,1]
	v_pk_fma_f32 v[6:7], v[8:9], v[82:83], v[6:7] op_sel:[0,0,1] op_sel_hi:[1,0,0]
	s_waitcnt vmcnt(1)
	v_mov_b32_e32 v6, v97
	v_mov_b32_e32 v19, v7
	v_pk_mul_f32 v[6:7], v[10:11], v[6:7] op_sel_hi:[1,0]
	s_waitcnt vmcnt(0)
	v_pk_fma_f32 v[8:9], v[10:11], v[96:97], v[6:7] op_sel:[0,0,1] op_sel_hi:[1,1,0] neg_lo:[0,0,1] neg_hi:[0,0,1]
	v_pk_fma_f32 v[6:7], v[10:11], v[96:97], v[6:7] op_sel:[0,0,1] op_sel_hi:[1,0,0]
	v_pk_add_f32 v[4:5], v[4:5], v[20:21]
	v_mov_b32_e32 v6, v95
	v_pk_add_f32 v[4:5], v[4:5], v[18:19]
	v_mov_b32_e32 v9, v7
	s_waitcnt lgkmcnt(1)
	v_pk_mul_f32 v[6:7], v[12:13], v[6:7] op_sel_hi:[1,0]
	v_pk_add_f32 v[4:5], v[4:5], v[8:9]
	v_pk_fma_f32 v[8:9], v[12:13], v[94:95], v[6:7] op_sel:[0,0,1] op_sel_hi:[1,1,0] neg_lo:[0,0,1] neg_hi:[0,0,1]
	v_pk_fma_f32 v[6:7], v[12:13], v[94:95], v[6:7] op_sel:[0,0,1] op_sel_hi:[1,0,0]
	v_mov_b32_e32 v6, v93
	v_mov_b32_e32 v9, v7
	v_pk_mul_f32 v[6:7], v[14:15], v[6:7] op_sel_hi:[1,0]
	v_pk_add_f32 v[4:5], v[4:5], v[8:9]
	v_pk_fma_f32 v[8:9], v[14:15], v[92:93], v[6:7] op_sel:[0,0,1] op_sel_hi:[1,1,0] neg_lo:[0,0,1] neg_hi:[0,0,1]
	v_pk_fma_f32 v[6:7], v[14:15], v[92:93], v[6:7] op_sel:[0,0,1] op_sel_hi:[1,0,0]
	v_mov_b32_e32 v6, v91
	v_mov_b32_e32 v9, v7
	s_waitcnt lgkmcnt(0)
	v_pk_mul_f32 v[6:7], v[16:17], v[6:7] op_sel_hi:[1,0]
	v_pk_add_f32 v[4:5], v[4:5], v[8:9]
	v_pk_fma_f32 v[8:9], v[16:17], v[90:91], v[6:7] op_sel:[0,0,1] op_sel_hi:[1,1,0] neg_lo:[0,0,1] neg_hi:[0,0,1]
	v_pk_fma_f32 v[6:7], v[16:17], v[90:91], v[6:7] op_sel:[0,0,1] op_sel_hi:[1,0,0]
	v_mov_b32_e32 v9, v7
	v_pk_add_f32 v[4:5], v[4:5], v[8:9]
	v_pk_add_f32 v[2:3], v[2:3], v[4:5] neg_lo:[0,1] neg_hi:[0,1]
	buffer_store_dword v3, off, s[0:3], 0 offset:140
	buffer_store_dword v2, off, s[0:3], 0 offset:136
	s_and_saveexec_b64 s[4:5], vcc
	s_cbranch_execz .LBB60_347
; %bb.346:
	buffer_load_dword v2, off, s[0:3], 0 offset:128
	buffer_load_dword v3, off, s[0:3], 0 offset:132
	s_waitcnt vmcnt(0)
	ds_write_b64 v199, v[2:3]
	buffer_store_dword v1, off, s[0:3], 0 offset:128
	buffer_store_dword v1, off, s[0:3], 0 offset:132
.LBB60_347:
	s_or_b64 exec, exec, s[4:5]
	s_waitcnt lgkmcnt(0)
	; wave barrier
	s_waitcnt lgkmcnt(0)
	buffer_load_dword v76, off, s[0:3], 0 offset:140
	buffer_load_dword v78, off, s[0:3], 0 offset:148
	;; [unrolled: 1-line block ×26, first 2 shown]
	ds_read2_b64 v[22:25], v1 offset0:79 offset1:80
	ds_read2_b64 v[18:21], v1 offset0:81 offset1:82
	;; [unrolled: 1-line block ×6, first 2 shown]
	buffer_load_dword v121, off, s[0:3], 0 offset:232
	buffer_load_dword v122, off, s[0:3], 0 offset:236
	;; [unrolled: 1-line block ×42, first 2 shown]
	v_cmp_lt_u32_e32 vcc, 15, v0
	s_waitcnt vmcnt(62) lgkmcnt(5)
	v_mul_f32_e32 v28, v22, v76
	v_mul_f32_e32 v29, v24, v78
	s_waitcnt lgkmcnt(4)
	v_mul_f32_e32 v31, v20, v86
	s_waitcnt lgkmcnt(3)
	v_mul_f32_e32 v32, v14, v98
	v_mul_f32_e32 v33, v16, v99
	;; [unrolled: 1-line block ×3, first 2 shown]
	s_waitcnt vmcnt(61) lgkmcnt(2)
	v_mul_f32_e32 v34, v10, v101
	s_waitcnt vmcnt(60)
	v_mul_f32_e32 v35, v12, v104
	s_waitcnt vmcnt(59) lgkmcnt(1)
	v_mul_f32_e32 v36, v6, v105
	s_waitcnt vmcnt(58)
	v_fmac_f32_e32 v30, v19, v106
	s_waitcnt vmcnt(57)
	v_fmac_f32_e32 v29, v25, v107
	;; [unrolled: 2-line block ×3, first 2 shown]
	v_add_f32_e32 v28, 0, v28
	v_add_f32_e32 v28, v28, v29
	;; [unrolled: 1-line block ×3, first 2 shown]
	s_waitcnt vmcnt(52)
	v_fmac_f32_e32 v31, v21, v112
	v_fmac_f32_e32 v32, v15, v111
	v_add_f32_e32 v28, v28, v31
	v_fmac_f32_e32 v33, v17, v110
	v_add_f32_e32 v28, v28, v32
	;; [unrolled: 2-line block ×3, first 2 shown]
	s_waitcnt vmcnt(48)
	v_fmac_f32_e32 v35, v13, v116
	v_add_f32_e32 v28, v28, v34
	v_fmac_f32_e32 v36, v7, v115
	v_add_f32_e32 v28, v28, v35
	s_waitcnt vmcnt(47)
	v_mul_f32_e32 v29, v8, v117
	v_add_f32_e32 v28, v28, v36
	v_fmac_f32_e32 v29, v9, v114
	v_add_f32_e32 v28, v28, v29
	s_waitcnt vmcnt(46) lgkmcnt(0)
	v_mul_f32_e32 v29, v2, v118
	v_fmac_f32_e32 v29, v3, v113
	v_add_f32_e32 v32, v28, v29
	ds_read2_b64 v[28:31], v1 offset0:91 offset1:92
	s_waitcnt vmcnt(42)
	v_mul_f32_e32 v33, v4, v120
	v_fmac_f32_e32 v33, v5, v119
	buffer_load_dword v163, off, s[0:3], 0 offset:400
	buffer_load_dword v164, off, s[0:3], 0 offset:404
	v_add_f32_e32 v36, v32, v33
	buffer_load_dword v165, off, s[0:3], 0 offset:408
	buffer_load_dword v166, off, s[0:3], 0 offset:412
	ds_read2_b64 v[32:35], v1 offset0:93 offset1:94
	s_waitcnt vmcnt(44) lgkmcnt(1)
	v_mul_f32_e32 v37, v28, v122
	v_fmac_f32_e32 v37, v29, v121
	v_add_f32_e32 v36, v36, v37
	s_waitcnt vmcnt(42)
	v_mul_f32_e32 v37, v30, v124
	v_fmac_f32_e32 v37, v31, v123
	v_add_f32_e32 v36, v36, v37
	s_waitcnt vmcnt(40) lgkmcnt(0)
	v_mul_f32_e32 v37, v32, v126
	v_fmac_f32_e32 v37, v33, v125
	buffer_load_dword v167, off, s[0:3], 0 offset:416
	buffer_load_dword v168, off, s[0:3], 0 offset:420
	v_add_f32_e32 v40, v36, v37
	ds_read2_b64 v[36:39], v1 offset0:95 offset1:96
	s_waitcnt vmcnt(40)
	v_mul_f32_e32 v41, v34, v128
	v_fmac_f32_e32 v41, v35, v127
	v_add_f32_e32 v44, v40, v41
	ds_read2_b64 v[40:43], v1 offset0:97 offset1:98
	s_waitcnt vmcnt(38) lgkmcnt(1)
	v_mul_f32_e32 v45, v36, v130
	v_fmac_f32_e32 v45, v37, v129
	v_add_f32_e32 v44, v44, v45
	s_waitcnt vmcnt(36)
	v_mul_f32_e32 v45, v38, v132
	v_fmac_f32_e32 v45, v39, v131
	v_add_f32_e32 v44, v44, v45
	s_waitcnt vmcnt(34) lgkmcnt(0)
	v_mul_f32_e32 v45, v40, v134
	v_fmac_f32_e32 v45, v41, v133
	v_add_f32_e32 v48, v44, v45
	ds_read2_b64 v[44:47], v1 offset0:99 offset1:100
	s_waitcnt vmcnt(32)
	v_mul_f32_e32 v49, v42, v136
	v_fmac_f32_e32 v49, v43, v135
	v_add_f32_e32 v52, v48, v49
	ds_read2_b64 v[48:51], v1 offset0:101 offset1:102
	s_waitcnt vmcnt(30) lgkmcnt(1)
	v_mul_f32_e32 v53, v44, v138
	v_fmac_f32_e32 v53, v45, v137
	v_add_f32_e32 v52, v52, v53
	s_waitcnt vmcnt(28)
	v_mul_f32_e32 v53, v46, v140
	v_fmac_f32_e32 v53, v47, v139
	v_add_f32_e32 v52, v52, v53
	s_waitcnt vmcnt(26) lgkmcnt(0)
	v_mul_f32_e32 v53, v48, v142
	v_fmac_f32_e32 v53, v49, v141
	;; [unrolled: 18-line block ×4, first 2 shown]
	s_waitcnt vmcnt(8)
	v_mul_f32_e32 v73, v66, v160
	v_add_f32_e32 v72, v68, v69
	v_fmac_f32_e32 v73, v67, v159
	ds_read2_b64 v[68:71], v1 offset0:111 offset1:112
	v_add_f32_e32 v77, v72, v73
	ds_read2_b64 v[72:75], v1 offset0:113 offset1:114
	buffer_load_dword v81, off, s[0:3], 0 offset:444
	buffer_load_dword v80, off, s[0:3], 0 offset:440
	;; [unrolled: 1-line block ×16, first 2 shown]
	v_mul_f32_e32 v23, v23, v76
	v_fma_f32 v22, v22, v108, -v23
	v_mul_f32_e32 v23, v25, v78
	v_add_f32_e32 v22, 0, v22
	v_fma_f32 v23, v24, v107, -v23
	v_mul_f32_e32 v19, v19, v100
	v_add_f32_e32 v22, v22, v23
	;; [unrolled: 3-line block ×11, first 2 shown]
	v_fma_f32 v3, v4, v119, -v3
	v_add_f32_e32 v2, v2, v3
	v_mul_f32_e32 v3, v29, v122
	v_fma_f32 v3, v28, v121, -v3
	v_add_f32_e32 v2, v2, v3
	v_mul_f32_e32 v3, v31, v124
	;; [unrolled: 3-line block ×20, first 2 shown]
	v_fma_f32 v3, v66, v159, -v3
	v_add_f32_e32 v2, v2, v3
	s_waitcnt vmcnt(22) lgkmcnt(1)
	v_mul_f32_e32 v3, v69, v162
	v_fma_f32 v3, v68, v161, -v3
	v_add_f32_e32 v2, v2, v3
	s_waitcnt vmcnt(20)
	v_mul_f32_e32 v3, v71, v164
	v_mul_f32_e32 v79, v68, v162
	v_fma_f32 v3, v70, v163, -v3
	v_fmac_f32_e32 v79, v69, v161
	v_add_f32_e32 v76, v2, v3
	s_waitcnt vmcnt(18) lgkmcnt(0)
	v_mul_f32_e32 v2, v73, v166
	v_add_f32_e32 v77, v77, v79
	v_mul_f32_e32 v79, v70, v164
	v_fma_f32 v78, v72, v165, -v2
	s_waitcnt vmcnt(16)
	v_mul_f32_e32 v2, v75, v168
	v_fmac_f32_e32 v79, v71, v163
	v_fma_f32 v86, v74, v167, -v2
	ds_read2_b64 v[2:5], v1 offset0:115 offset1:116
	ds_read2_b64 v[6:9], v1 offset0:117 offset1:118
	ds_read2_b64 v[10:13], v1 offset0:119 offset1:120
	ds_read2_b64 v[14:17], v1 offset0:121 offset1:122
	v_add_f32_e32 v77, v77, v79
	v_mul_f32_e32 v79, v72, v166
	s_waitcnt vmcnt(11)
	v_mov_b32_e32 v20, v85
	v_fmac_f32_e32 v79, v73, v165
	v_mul_f32_e32 v87, v74, v168
	s_waitcnt lgkmcnt(3)
	v_pk_mul_f32 v[20:21], v[2:3], v[20:21] op_sel_hi:[1,0]
	v_fmac_f32_e32 v87, v75, v167
	v_pk_add_f32 v[18:19], v[76:77], v[78:79]
	s_waitcnt vmcnt(10)
	v_pk_fma_f32 v[22:23], v[2:3], v[84:85], v[20:21] op_sel:[0,0,1] op_sel_hi:[1,1,0] neg_lo:[0,0,1] neg_hi:[0,0,1]
	v_pk_fma_f32 v[2:3], v[2:3], v[84:85], v[20:21] op_sel:[0,0,1] op_sel_hi:[1,0,0]
	v_pk_add_f32 v[18:19], v[18:19], v[86:87]
	v_mov_b32_e32 v23, v3
	v_pk_add_f32 v[2:3], v[18:19], v[22:23]
	v_mov_b32_e32 v18, v83
	v_pk_mul_f32 v[18:19], v[4:5], v[18:19] op_sel_hi:[1,0]
	v_pk_fma_f32 v[20:21], v[4:5], v[82:83], v[18:19] op_sel:[0,0,1] op_sel_hi:[1,1,0] neg_lo:[0,0,1] neg_hi:[0,0,1]
	v_pk_fma_f32 v[4:5], v[4:5], v[82:83], v[18:19] op_sel:[0,0,1] op_sel_hi:[1,0,0]
	v_mov_b32_e32 v4, v81
	v_mov_b32_e32 v21, v5
	s_waitcnt lgkmcnt(2)
	v_pk_mul_f32 v[4:5], v[6:7], v[4:5] op_sel_hi:[1,0]
	v_pk_fma_f32 v[18:19], v[6:7], v[80:81], v[4:5] op_sel:[0,0,1] op_sel_hi:[1,1,0] neg_lo:[0,0,1] neg_hi:[0,0,1]
	v_pk_fma_f32 v[4:5], v[6:7], v[80:81], v[4:5] op_sel:[0,0,1] op_sel_hi:[1,0,0]
	s_waitcnt vmcnt(3)
	v_mov_b32_e32 v4, v95
	v_mov_b32_e32 v19, v5
	v_pk_mul_f32 v[4:5], v[8:9], v[4:5] op_sel_hi:[1,0]
	s_waitcnt vmcnt(2)
	v_pk_fma_f32 v[6:7], v[8:9], v[94:95], v[4:5] op_sel:[0,0,1] op_sel_hi:[1,1,0] neg_lo:[0,0,1] neg_hi:[0,0,1]
	v_pk_fma_f32 v[4:5], v[8:9], v[94:95], v[4:5] op_sel:[0,0,1] op_sel_hi:[1,0,0]
	v_pk_add_f32 v[2:3], v[2:3], v[20:21]
	v_mov_b32_e32 v4, v93
	v_pk_add_f32 v[2:3], v[2:3], v[18:19]
	v_mov_b32_e32 v7, v5
	s_waitcnt lgkmcnt(1)
	v_pk_mul_f32 v[4:5], v[10:11], v[4:5] op_sel_hi:[1,0]
	v_pk_add_f32 v[2:3], v[2:3], v[6:7]
	v_pk_fma_f32 v[6:7], v[10:11], v[92:93], v[4:5] op_sel:[0,0,1] op_sel_hi:[1,1,0] neg_lo:[0,0,1] neg_hi:[0,0,1]
	v_pk_fma_f32 v[4:5], v[10:11], v[92:93], v[4:5] op_sel:[0,0,1] op_sel_hi:[1,0,0]
	v_mov_b32_e32 v4, v91
	v_mov_b32_e32 v7, v5
	v_pk_mul_f32 v[4:5], v[12:13], v[4:5] op_sel_hi:[1,0]
	v_pk_add_f32 v[2:3], v[2:3], v[6:7]
	v_pk_fma_f32 v[6:7], v[12:13], v[90:91], v[4:5] op_sel:[0,0,1] op_sel_hi:[1,1,0] neg_lo:[0,0,1] neg_hi:[0,0,1]
	v_pk_fma_f32 v[4:5], v[12:13], v[90:91], v[4:5] op_sel:[0,0,1] op_sel_hi:[1,0,0]
	v_mov_b32_e32 v4, v89
	v_mov_b32_e32 v7, v5
	s_waitcnt lgkmcnt(0)
	v_pk_mul_f32 v[4:5], v[14:15], v[4:5] op_sel_hi:[1,0]
	v_pk_add_f32 v[2:3], v[2:3], v[6:7]
	v_pk_fma_f32 v[6:7], v[14:15], v[88:89], v[4:5] op_sel:[0,0,1] op_sel_hi:[1,1,0] neg_lo:[0,0,1] neg_hi:[0,0,1]
	v_pk_fma_f32 v[4:5], v[14:15], v[88:89], v[4:5] op_sel:[0,0,1] op_sel_hi:[1,0,0]
	s_waitcnt vmcnt(1)
	v_mov_b32_e32 v4, v97
	v_mov_b32_e32 v7, v5
	v_pk_mul_f32 v[4:5], v[16:17], v[4:5] op_sel_hi:[1,0]
	v_pk_add_f32 v[2:3], v[2:3], v[6:7]
	s_waitcnt vmcnt(0)
	v_pk_fma_f32 v[6:7], v[16:17], v[96:97], v[4:5] op_sel:[0,0,1] op_sel_hi:[1,1,0] neg_lo:[0,0,1] neg_hi:[0,0,1]
	v_pk_fma_f32 v[4:5], v[16:17], v[96:97], v[4:5] op_sel:[0,0,1] op_sel_hi:[1,0,0]
	v_mov_b32_e32 v7, v5
	v_pk_add_f32 v[2:3], v[2:3], v[6:7]
	v_pk_add_f32 v[2:3], v[26:27], v[2:3] neg_lo:[0,1] neg_hi:[0,1]
	buffer_store_dword v3, off, s[0:3], 0 offset:132
	buffer_store_dword v2, off, s[0:3], 0 offset:128
	s_and_saveexec_b64 s[4:5], vcc
	s_cbranch_execz .LBB60_349
; %bb.348:
	buffer_load_dword v2, off, s[0:3], 0 offset:120
	buffer_load_dword v3, off, s[0:3], 0 offset:124
	v_mov_b32_e32 v1, 0
	buffer_store_dword v1, off, s[0:3], 0 offset:120
	buffer_store_dword v1, off, s[0:3], 0 offset:124
	s_waitcnt vmcnt(2)
	ds_write_b64 v199, v[2:3]
.LBB60_349:
	s_or_b64 exec, exec, s[4:5]
	v_mov_b32_e32 v224, 0
	s_waitcnt lgkmcnt(0)
	; wave barrier
	s_waitcnt lgkmcnt(0)
	ds_read_b128 v[14:17], v224 offset:624
	ds_read_b128 v[10:13], v224 offset:640
	;; [unrolled: 1-line block ×4, first 2 shown]
	buffer_load_dword v78, off, s[0:3], 0 offset:120
	buffer_load_dword v79, off, s[0:3], 0 offset:124
	;; [unrolled: 1-line block ×18, first 2 shown]
	v_cmp_lt_u32_e32 vcc, 14, v0
	s_waitcnt vmcnt(14) lgkmcnt(3)
	v_mul_f32_e32 v18, v14, v86
	v_fmac_f32_e32 v18, v15, v1
	s_waitcnt vmcnt(12)
	v_mul_f32_e32 v19, v16, v105
	v_add_f32_e32 v18, 0, v18
	v_fmac_f32_e32 v19, v17, v80
	v_add_f32_e32 v18, v18, v19
	s_waitcnt vmcnt(10) lgkmcnt(2)
	v_mul_f32_e32 v19, v10, v107
	v_fmac_f32_e32 v19, v11, v82
	v_add_f32_e32 v18, v18, v19
	s_waitcnt vmcnt(8)
	v_mul_f32_e32 v19, v12, v109
	v_fmac_f32_e32 v19, v13, v104
	v_add_f32_e32 v18, v18, v19
	s_waitcnt vmcnt(6) lgkmcnt(1)
	v_mul_f32_e32 v19, v6, v111
	v_fmac_f32_e32 v19, v7, v106
	v_add_f32_e32 v18, v18, v19
	s_waitcnt vmcnt(4)
	v_mul_f32_e32 v19, v8, v112
	v_fmac_f32_e32 v19, v9, v108
	v_add_f32_e32 v18, v18, v19
	s_waitcnt vmcnt(2) lgkmcnt(0)
	v_mul_f32_e32 v19, v2, v113
	v_fmac_f32_e32 v19, v3, v110
	v_add_f32_e32 v18, v18, v19
	s_waitcnt vmcnt(0)
	v_mul_f32_e32 v19, v4, v115
	v_fmac_f32_e32 v19, v5, v114
	v_add_f32_e32 v22, v18, v19
	ds_read_b128 v[18:21], v224 offset:688
	buffer_load_dword v116, off, s[0:3], 0 offset:192
	buffer_load_dword v117, off, s[0:3], 0 offset:196
	;; [unrolled: 1-line block ×4, first 2 shown]
	v_mul_f32_e32 v15, v15, v86
	v_fma_f32 v1, v14, v1, -v15
	v_mul_f32_e32 v14, v17, v105
	v_add_f32_e32 v1, 0, v1
	v_fma_f32 v14, v16, v80, -v14
	v_mul_f32_e32 v11, v11, v107
	v_add_f32_e32 v1, v1, v14
	v_fma_f32 v10, v10, v82, -v11
	v_add_f32_e32 v1, v1, v10
	v_mul_f32_e32 v10, v13, v109
	v_fma_f32 v10, v12, v104, -v10
	v_mul_f32_e32 v7, v7, v111
	v_add_f32_e32 v1, v1, v10
	v_fma_f32 v6, v6, v106, -v7
	v_add_f32_e32 v1, v1, v6
	v_mul_f32_e32 v6, v9, v112
	v_fma_f32 v6, v8, v108, -v6
	v_mul_f32_e32 v3, v3, v113
	v_add_f32_e32 v1, v1, v6
	v_fma_f32 v2, v2, v110, -v3
	v_add_f32_e32 v1, v1, v2
	v_mul_f32_e32 v2, v5, v115
	v_fma_f32 v2, v4, v114, -v2
	v_add_f32_e32 v1, v1, v2
	s_waitcnt vmcnt(2) lgkmcnt(0)
	v_mul_f32_e32 v23, v18, v117
	v_fmac_f32_e32 v23, v19, v116
	v_add_f32_e32 v22, v22, v23
	s_waitcnt vmcnt(0)
	v_mul_f32_e32 v23, v20, v119
	v_fmac_f32_e32 v23, v21, v118
	v_add_f32_e32 v26, v22, v23
	ds_read_b128 v[22:25], v224 offset:704
	buffer_load_dword v120, off, s[0:3], 0 offset:208
	buffer_load_dword v121, off, s[0:3], 0 offset:212
	buffer_load_dword v122, off, s[0:3], 0 offset:216
	buffer_load_dword v123, off, s[0:3], 0 offset:220
	ds_read_b128 v[30:33], v224 offset:720
	buffer_load_dword v124, off, s[0:3], 0 offset:224
	buffer_load_dword v125, off, s[0:3], 0 offset:228
	buffer_load_dword v126, off, s[0:3], 0 offset:232
	buffer_load_dword v127, off, s[0:3], 0 offset:236
	;; [unrolled: 5-line block ×13, first 2 shown]
	v_mul_f32_e32 v2, v19, v117
	v_fma_f32 v2, v18, v116, -v2
	v_add_f32_e32 v1, v1, v2
	v_mul_f32_e32 v2, v21, v119
	v_fma_f32 v2, v20, v118, -v2
	v_add_f32_e32 v1, v1, v2
	s_waitcnt vmcnt(50) lgkmcnt(12)
	v_mul_f32_e32 v27, v22, v121
	v_fmac_f32_e32 v27, v23, v120
	v_add_f32_e32 v26, v26, v27
	s_waitcnt vmcnt(48)
	v_mul_f32_e32 v27, v24, v123
	v_fmac_f32_e32 v27, v25, v122
	v_add_f32_e32 v26, v26, v27
	s_waitcnt vmcnt(46) lgkmcnt(11)
	v_mul_f32_e32 v27, v30, v125
	v_fmac_f32_e32 v27, v31, v124
	v_add_f32_e32 v26, v26, v27
	s_waitcnt vmcnt(44)
	v_mul_f32_e32 v27, v32, v127
	v_fmac_f32_e32 v27, v33, v126
	;; [unrolled: 8-line block ×12, first 2 shown]
	v_add_f32_e32 v26, v26, v27
	s_waitcnt vmcnt(2) lgkmcnt(0)
	v_mul_f32_e32 v27, v74, v169
	v_fmac_f32_e32 v27, v75, v168
	v_add_f32_e32 v81, v26, v27
	ds_read_b128 v[26:29], v224 offset:912
	buffer_load_dword v172, off, s[0:3], 0 offset:416
	buffer_load_dword v173, off, s[0:3], 0 offset:420
	;; [unrolled: 1-line block ×18, first 2 shown]
	v_mul_f32_e32 v2, v23, v121
	v_fma_f32 v2, v22, v120, -v2
	v_add_f32_e32 v1, v1, v2
	v_mul_f32_e32 v2, v25, v123
	v_fma_f32 v2, v24, v122, -v2
	v_add_f32_e32 v1, v1, v2
	;; [unrolled: 3-line block ×24, first 2 shown]
	v_mul_f32_e32 v2, v75, v169
	v_fma_f32 v2, v74, v168, -v2
	s_waitcnt vmcnt(15)
	v_mov_b32_e32 v18, v85
	v_mul_f32_e32 v83, v76, v171
	v_add_f32_e32 v80, v1, v2
	v_mul_f32_e32 v1, v77, v171
	s_waitcnt lgkmcnt(0)
	v_pk_mul_f32 v[18:19], v[28:29], v[18:19] op_sel_hi:[1,0]
	v_fmac_f32_e32 v83, v77, v170
	v_mul_f32_e32 v87, v26, v173
	v_fma_f32 v82, v76, v170, -v1
	v_mul_f32_e32 v1, v27, v173
	ds_read_b128 v[2:5], v224 offset:928
	ds_read_b128 v[6:9], v224 offset:944
	;; [unrolled: 1-line block ×3, first 2 shown]
	ds_read_b64 v[14:15], v224 offset:976
	s_waitcnt vmcnt(14)
	v_pk_fma_f32 v[20:21], v[28:29], v[84:85], v[18:19] op_sel:[0,0,1] op_sel_hi:[1,1,0] neg_lo:[0,0,1] neg_hi:[0,0,1]
	v_pk_fma_f32 v[18:19], v[28:29], v[84:85], v[18:19] op_sel:[0,0,1] op_sel_hi:[1,0,0]
	v_fmac_f32_e32 v87, v27, v172
	v_fma_f32 v86, v26, v172, -v1
	v_pk_add_f32 v[16:17], v[80:81], v[82:83]
	s_waitcnt vmcnt(13)
	v_mov_b32_e32 v18, v101
	v_pk_add_f32 v[16:17], v[16:17], v[86:87]
	v_mov_b32_e32 v21, v19
	s_waitcnt lgkmcnt(3)
	v_pk_mul_f32 v[18:19], v[2:3], v[18:19] op_sel_hi:[1,0]
	v_pk_add_f32 v[16:17], v[16:17], v[20:21]
	s_waitcnt vmcnt(12)
	v_pk_fma_f32 v[20:21], v[2:3], v[100:101], v[18:19] op_sel:[0,0,1] op_sel_hi:[1,1,0] neg_lo:[0,0,1] neg_hi:[0,0,1]
	v_pk_fma_f32 v[2:3], v[2:3], v[100:101], v[18:19] op_sel:[0,0,1] op_sel_hi:[1,0,0]
	v_mov_b32_e32 v21, v3
	v_pk_add_f32 v[2:3], v[16:17], v[20:21]
	s_waitcnt vmcnt(11)
	v_mov_b32_e32 v16, v99
	v_pk_mul_f32 v[16:17], v[4:5], v[16:17] op_sel_hi:[1,0]
	s_waitcnt vmcnt(10)
	v_pk_fma_f32 v[18:19], v[4:5], v[98:99], v[16:17] op_sel:[0,0,1] op_sel_hi:[1,1,0] neg_lo:[0,0,1] neg_hi:[0,0,1]
	v_pk_fma_f32 v[4:5], v[4:5], v[98:99], v[16:17] op_sel:[0,0,1] op_sel_hi:[1,0,0]
	s_waitcnt vmcnt(9)
	v_mov_b32_e32 v4, v97
	v_mov_b32_e32 v19, v5
	s_waitcnt lgkmcnt(2)
	v_pk_mul_f32 v[4:5], v[6:7], v[4:5] op_sel_hi:[1,0]
	s_waitcnt vmcnt(8)
	v_pk_fma_f32 v[16:17], v[6:7], v[96:97], v[4:5] op_sel:[0,0,1] op_sel_hi:[1,1,0] neg_lo:[0,0,1] neg_hi:[0,0,1]
	v_pk_fma_f32 v[4:5], v[6:7], v[96:97], v[4:5] op_sel:[0,0,1] op_sel_hi:[1,0,0]
	s_waitcnt vmcnt(7)
	v_mov_b32_e32 v4, v95
	v_mov_b32_e32 v17, v5
	v_pk_mul_f32 v[4:5], v[8:9], v[4:5] op_sel_hi:[1,0]
	s_waitcnt vmcnt(6)
	v_pk_fma_f32 v[6:7], v[8:9], v[94:95], v[4:5] op_sel:[0,0,1] op_sel_hi:[1,1,0] neg_lo:[0,0,1] neg_hi:[0,0,1]
	v_pk_fma_f32 v[4:5], v[8:9], v[94:95], v[4:5] op_sel:[0,0,1] op_sel_hi:[1,0,0]
	v_pk_add_f32 v[2:3], v[2:3], v[18:19]
	s_waitcnt vmcnt(5)
	v_mov_b32_e32 v4, v93
	v_pk_add_f32 v[2:3], v[2:3], v[16:17]
	v_mov_b32_e32 v7, v5
	s_waitcnt lgkmcnt(1)
	v_pk_mul_f32 v[4:5], v[10:11], v[4:5] op_sel_hi:[1,0]
	v_pk_add_f32 v[2:3], v[2:3], v[6:7]
	s_waitcnt vmcnt(4)
	v_pk_fma_f32 v[6:7], v[10:11], v[92:93], v[4:5] op_sel:[0,0,1] op_sel_hi:[1,1,0] neg_lo:[0,0,1] neg_hi:[0,0,1]
	v_pk_fma_f32 v[4:5], v[10:11], v[92:93], v[4:5] op_sel:[0,0,1] op_sel_hi:[1,0,0]
	s_waitcnt vmcnt(3)
	v_mov_b32_e32 v4, v91
	v_mov_b32_e32 v7, v5
	v_pk_mul_f32 v[4:5], v[12:13], v[4:5] op_sel_hi:[1,0]
	v_pk_add_f32 v[2:3], v[2:3], v[6:7]
	s_waitcnt vmcnt(2)
	v_pk_fma_f32 v[6:7], v[12:13], v[90:91], v[4:5] op_sel:[0,0,1] op_sel_hi:[1,1,0] neg_lo:[0,0,1] neg_hi:[0,0,1]
	v_pk_fma_f32 v[4:5], v[12:13], v[90:91], v[4:5] op_sel:[0,0,1] op_sel_hi:[1,0,0]
	s_waitcnt vmcnt(1)
	v_mov_b32_e32 v4, v89
	v_mov_b32_e32 v7, v5
	s_waitcnt lgkmcnt(0)
	v_pk_mul_f32 v[4:5], v[14:15], v[4:5] op_sel_hi:[1,0]
	v_pk_add_f32 v[2:3], v[2:3], v[6:7]
	s_waitcnt vmcnt(0)
	v_pk_fma_f32 v[6:7], v[14:15], v[88:89], v[4:5] op_sel:[0,0,1] op_sel_hi:[1,1,0] neg_lo:[0,0,1] neg_hi:[0,0,1]
	v_pk_fma_f32 v[4:5], v[14:15], v[88:89], v[4:5] op_sel:[0,0,1] op_sel_hi:[1,0,0]
	v_mov_b32_e32 v7, v5
	v_pk_add_f32 v[2:3], v[2:3], v[6:7]
	v_pk_add_f32 v[2:3], v[78:79], v[2:3] neg_lo:[0,1] neg_hi:[0,1]
	buffer_store_dword v3, off, s[0:3], 0 offset:124
	buffer_store_dword v2, off, s[0:3], 0 offset:120
	s_and_saveexec_b64 s[4:5], vcc
	s_cbranch_execz .LBB60_351
; %bb.350:
	buffer_load_dword v2, off, s[0:3], 0 offset:112
	buffer_load_dword v3, off, s[0:3], 0 offset:116
	s_waitcnt vmcnt(0)
	ds_write_b64 v199, v[2:3]
	buffer_store_dword v224, off, s[0:3], 0 offset:112
	buffer_store_dword v224, off, s[0:3], 0 offset:116
.LBB60_351:
	s_or_b64 exec, exec, s[4:5]
	s_waitcnt lgkmcnt(0)
	; wave barrier
	s_waitcnt lgkmcnt(0)
	buffer_load_dword v90, off, s[0:3], 0 offset:124
	buffer_load_dword v92, off, s[0:3], 0 offset:132
	;; [unrolled: 1-line block ×32, first 2 shown]
	ds_read2_b64 v[22:25], v224 offset0:77 offset1:78
	ds_read2_b64 v[18:21], v224 offset0:79 offset1:80
	;; [unrolled: 1-line block ×6, first 2 shown]
	buffer_load_dword v134, off, s[0:3], 0 offset:240
	buffer_load_dword v135, off, s[0:3], 0 offset:244
	;; [unrolled: 1-line block ×32, first 2 shown]
	v_cmp_lt_u32_e32 vcc, 13, v0
	s_waitcnt vmcnt(62) lgkmcnt(5)
	v_mul_f32_e32 v31, v22, v90
	v_mul_f32_e32 v32, v24, v92
	s_waitcnt vmcnt(61) lgkmcnt(4)
	v_mul_f32_e32 v34, v20, v30
	s_waitcnt vmcnt(60) lgkmcnt(3)
	v_mul_f32_e32 v35, v14, v29
	s_waitcnt vmcnt(59)
	v_mul_f32_e32 v36, v16, v1
	s_waitcnt vmcnt(58)
	v_mul_f32_e32 v33, v18, v110
	s_waitcnt vmcnt(57) lgkmcnt(2)
	v_mul_f32_e32 v37, v10, v28
	s_waitcnt vmcnt(56)
	v_mul_f32_e32 v38, v12, v111
	s_waitcnt vmcnt(55) lgkmcnt(1)
	v_mul_f32_e32 v39, v6, v112
	s_waitcnt vmcnt(54)
	v_mul_f32_e32 v40, v8, v113
	s_waitcnt vmcnt(53)
	v_fmac_f32_e32 v33, v19, v114
	s_waitcnt vmcnt(52)
	v_fmac_f32_e32 v32, v25, v115
	;; [unrolled: 2-line block ×3, first 2 shown]
	v_add_f32_e32 v31, 0, v31
	v_add_f32_e32 v31, v31, v32
	;; [unrolled: 1-line block ×3, first 2 shown]
	s_waitcnt vmcnt(47)
	v_fmac_f32_e32 v34, v21, v120
	v_fmac_f32_e32 v35, v15, v119
	v_add_f32_e32 v31, v31, v34
	v_fmac_f32_e32 v36, v17, v118
	v_add_f32_e32 v31, v31, v35
	;; [unrolled: 2-line block ×3, first 2 shown]
	s_waitcnt vmcnt(43)
	v_fmac_f32_e32 v38, v13, v124
	v_add_f32_e32 v31, v31, v37
	v_fmac_f32_e32 v39, v7, v123
	v_add_f32_e32 v31, v31, v38
	;; [unrolled: 2-line block ×3, first 2 shown]
	s_waitcnt vmcnt(42) lgkmcnt(0)
	v_mul_f32_e32 v32, v2, v125
	v_add_f32_e32 v31, v31, v40
	v_fmac_f32_e32 v32, v3, v121
	v_add_f32_e32 v31, v31, v32
	ds_read2_b64 v[32:35], v224 offset0:89 offset1:90
	buffer_load_dword v166, off, s[0:3], 0 offset:368
	buffer_load_dword v167, off, s[0:3], 0 offset:372
	s_waitcnt vmcnt(43)
	v_mul_f32_e32 v36, v4, v126
	s_waitcnt vmcnt(36)
	v_fmac_f32_e32 v36, v5, v133
	v_add_f32_e32 v31, v31, v36
	ds_read2_b64 v[36:39], v224 offset0:91 offset1:92
	buffer_load_dword v168, off, s[0:3], 0 offset:376
	buffer_load_dword v169, off, s[0:3], 0 offset:380
	;; [unrolled: 1-line block ×8, first 2 shown]
	s_waitcnt lgkmcnt(1)
	v_mul_f32_e32 v40, v32, v128
	v_fmac_f32_e32 v40, v33, v127
	v_add_f32_e32 v31, v31, v40
	v_mul_f32_e32 v40, v34, v130
	v_fmac_f32_e32 v40, v35, v129
	v_add_f32_e32 v31, v31, v40
	s_waitcnt lgkmcnt(0)
	v_mul_f32_e32 v40, v36, v132
	v_fmac_f32_e32 v40, v37, v131
	v_add_f32_e32 v31, v31, v40
	buffer_load_dword v176, off, s[0:3], 0 offset:408
	buffer_load_dword v177, off, s[0:3], 0 offset:412
	;; [unrolled: 1-line block ×4, first 2 shown]
	ds_read2_b64 v[40:43], v224 offset0:93 offset1:94
	s_waitcnt vmcnt(44)
	v_mul_f32_e32 v44, v38, v135
	v_fmac_f32_e32 v44, v39, v134
	v_add_f32_e32 v31, v31, v44
	ds_read2_b64 v[44:47], v224 offset0:95 offset1:96
	s_waitcnt vmcnt(42) lgkmcnt(1)
	v_mul_f32_e32 v48, v40, v137
	v_fmac_f32_e32 v48, v41, v136
	v_add_f32_e32 v31, v31, v48
	s_waitcnt vmcnt(40)
	v_mul_f32_e32 v48, v42, v139
	v_fmac_f32_e32 v48, v43, v138
	v_add_f32_e32 v31, v31, v48
	s_waitcnt vmcnt(38) lgkmcnt(0)
	v_mul_f32_e32 v48, v44, v141
	v_fmac_f32_e32 v48, v45, v140
	v_add_f32_e32 v31, v31, v48
	ds_read2_b64 v[48:51], v224 offset0:97 offset1:98
	s_waitcnt vmcnt(36)
	v_mul_f32_e32 v52, v46, v143
	v_fmac_f32_e32 v52, v47, v142
	v_add_f32_e32 v31, v31, v52
	ds_read2_b64 v[52:55], v224 offset0:99 offset1:100
	s_waitcnt vmcnt(34) lgkmcnt(1)
	v_mul_f32_e32 v56, v48, v145
	v_fmac_f32_e32 v56, v49, v144
	v_add_f32_e32 v31, v31, v56
	s_waitcnt vmcnt(32)
	v_mul_f32_e32 v56, v50, v147
	v_fmac_f32_e32 v56, v51, v146
	v_add_f32_e32 v31, v31, v56
	s_waitcnt vmcnt(30) lgkmcnt(0)
	v_mul_f32_e32 v56, v52, v149
	v_fmac_f32_e32 v56, v53, v148
	v_add_f32_e32 v31, v31, v56
	;; [unrolled: 18-line block ×4, first 2 shown]
	ds_read2_b64 v[72:75], v224 offset0:109 offset1:110
	v_mul_f32_e32 v23, v23, v90
	v_fma_f32 v22, v22, v116, -v23
	v_mul_f32_e32 v23, v25, v92
	v_add_f32_e32 v22, 0, v22
	s_waitcnt vmcnt(12)
	v_mul_f32_e32 v76, v70, v167
	v_fmac_f32_e32 v76, v71, v166
	v_add_f32_e32 v31, v31, v76
	ds_read2_b64 v[76:79], v224 offset0:111 offset1:112
	buffer_load_dword v89, off, s[0:3], 0 offset:428
	buffer_load_dword v88, off, s[0:3], 0 offset:424
	s_waitcnt vmcnt(12) lgkmcnt(1)
	v_mul_f32_e32 v80, v72, v169
	v_fmac_f32_e32 v80, v73, v168
	v_add_f32_e32 v31, v31, v80
	s_waitcnt vmcnt(10)
	v_mul_f32_e32 v80, v74, v171
	v_fmac_f32_e32 v80, v75, v170
	v_add_f32_e32 v31, v31, v80
	s_waitcnt vmcnt(8) lgkmcnt(0)
	v_mul_f32_e32 v80, v76, v173
	v_fmac_f32_e32 v80, v77, v172
	s_waitcnt vmcnt(6)
	v_mul_f32_e32 v84, v78, v175
	v_add_f32_e32 v31, v31, v80
	v_fmac_f32_e32 v84, v79, v174
	ds_read2_b64 v[80:83], v224 offset0:113 offset1:114
	v_add_f32_e32 v31, v31, v84
	ds_read2_b64 v[84:87], v224 offset0:115 offset1:116
	buffer_load_dword v95, off, s[0:3], 0 offset:460
	buffer_load_dword v94, off, s[0:3], 0 offset:456
	;; [unrolled: 1-line block ×14, first 2 shown]
	v_fma_f32 v23, v24, v115, -v23
	v_mul_f32_e32 v19, v19, v110
	v_add_f32_e32 v22, v22, v23
	v_fma_f32 v18, v18, v114, -v19
	v_mul_f32_e32 v19, v21, v30
	v_add_f32_e32 v18, v22, v18
	;; [unrolled: 3-line block ×5, first 2 shown]
	v_fma_f32 v10, v10, v117, -v11
	v_add_f32_e32 v1, v1, v10
	v_mul_f32_e32 v10, v13, v111
	v_fma_f32 v10, v12, v124, -v10
	v_mul_f32_e32 v7, v7, v112
	v_add_f32_e32 v1, v1, v10
	v_fma_f32 v6, v6, v123, -v7
	v_add_f32_e32 v1, v1, v6
	v_mul_f32_e32 v6, v9, v113
	v_fma_f32 v6, v8, v122, -v6
	v_mul_f32_e32 v3, v3, v125
	v_add_f32_e32 v1, v1, v6
	v_fma_f32 v2, v2, v121, -v3
	v_add_f32_e32 v1, v1, v2
	v_mul_f32_e32 v2, v5, v126
	v_fma_f32 v2, v4, v133, -v2
	v_add_f32_e32 v1, v1, v2
	v_mul_f32_e32 v2, v33, v128
	v_fma_f32 v2, v32, v127, -v2
	v_add_f32_e32 v1, v1, v2
	v_mul_f32_e32 v2, v35, v130
	v_fma_f32 v2, v34, v129, -v2
	v_add_f32_e32 v1, v1, v2
	v_mul_f32_e32 v2, v37, v132
	v_fma_f32 v2, v36, v131, -v2
	v_add_f32_e32 v1, v1, v2
	v_mul_f32_e32 v2, v39, v135
	v_fma_f32 v2, v38, v134, -v2
	v_add_f32_e32 v1, v1, v2
	v_mul_f32_e32 v2, v41, v137
	v_fma_f32 v2, v40, v136, -v2
	v_add_f32_e32 v1, v1, v2
	v_mul_f32_e32 v2, v43, v139
	v_fma_f32 v2, v42, v138, -v2
	v_add_f32_e32 v1, v1, v2
	v_mul_f32_e32 v2, v45, v141
	v_fma_f32 v2, v44, v140, -v2
	v_add_f32_e32 v1, v1, v2
	v_mul_f32_e32 v2, v47, v143
	v_fma_f32 v2, v46, v142, -v2
	v_add_f32_e32 v1, v1, v2
	v_mul_f32_e32 v2, v49, v145
	v_fma_f32 v2, v48, v144, -v2
	v_add_f32_e32 v1, v1, v2
	v_mul_f32_e32 v2, v51, v147
	v_fma_f32 v2, v50, v146, -v2
	v_add_f32_e32 v1, v1, v2
	v_mul_f32_e32 v2, v53, v149
	v_fma_f32 v2, v52, v148, -v2
	v_add_f32_e32 v1, v1, v2
	v_mul_f32_e32 v2, v55, v151
	v_fma_f32 v2, v54, v150, -v2
	v_add_f32_e32 v1, v1, v2
	v_mul_f32_e32 v2, v57, v153
	v_fma_f32 v2, v56, v152, -v2
	v_add_f32_e32 v1, v1, v2
	v_mul_f32_e32 v2, v59, v155
	v_fma_f32 v2, v58, v154, -v2
	v_add_f32_e32 v1, v1, v2
	v_mul_f32_e32 v2, v61, v157
	v_fma_f32 v2, v60, v156, -v2
	v_add_f32_e32 v1, v1, v2
	v_mul_f32_e32 v2, v63, v159
	v_fma_f32 v2, v62, v158, -v2
	v_add_f32_e32 v1, v1, v2
	v_mul_f32_e32 v2, v65, v161
	v_fma_f32 v2, v64, v160, -v2
	v_add_f32_e32 v1, v1, v2
	v_mul_f32_e32 v2, v67, v163
	v_fma_f32 v2, v66, v162, -v2
	v_add_f32_e32 v1, v1, v2
	v_mul_f32_e32 v2, v69, v165
	v_fma_f32 v2, v68, v164, -v2
	v_add_f32_e32 v1, v1, v2
	v_mul_f32_e32 v2, v71, v167
	v_fma_f32 v2, v70, v166, -v2
	v_add_f32_e32 v1, v1, v2
	v_mul_f32_e32 v2, v73, v169
	v_fma_f32 v2, v72, v168, -v2
	v_add_f32_e32 v1, v1, v2
	v_mul_f32_e32 v2, v75, v171
	v_fma_f32 v2, v74, v170, -v2
	v_add_f32_e32 v1, v1, v2
	v_mul_f32_e32 v2, v77, v173
	v_fma_f32 v2, v76, v172, -v2
	v_add_f32_e32 v1, v1, v2
	v_mul_f32_e32 v2, v79, v175
	v_fma_f32 v2, v78, v174, -v2
	s_waitcnt vmcnt(15)
	v_mov_b32_e32 v16, v89
	s_waitcnt lgkmcnt(1)
	v_mul_f32_e32 v91, v80, v177
	v_add_f32_e32 v30, v1, v2
	v_mul_f32_e32 v1, v81, v177
	s_waitcnt lgkmcnt(0)
	v_pk_mul_f32 v[16:17], v[84:85], v[16:17] op_sel_hi:[1,0]
	v_fmac_f32_e32 v91, v81, v176
	v_mul_f32_e32 v93, v82, v179
	v_fma_f32 v90, v80, v176, -v1
	v_mul_f32_e32 v1, v83, v179
	s_waitcnt vmcnt(14)
	v_pk_fma_f32 v[18:19], v[84:85], v[88:89], v[16:17] op_sel:[0,0,1] op_sel_hi:[1,1,0] neg_lo:[0,0,1] neg_hi:[0,0,1]
	v_pk_fma_f32 v[16:17], v[84:85], v[88:89], v[16:17] op_sel:[0,0,1] op_sel_hi:[1,0,0]
	v_fmac_f32_e32 v93, v83, v178
	v_fma_f32 v92, v82, v178, -v1
	v_pk_add_f32 v[14:15], v[30:31], v[90:91]
	s_waitcnt vmcnt(7)
	v_mov_b32_e32 v16, v101
	ds_read2_b64 v[2:5], v224 offset0:117 offset1:118
	ds_read2_b64 v[6:9], v224 offset0:119 offset1:120
	;; [unrolled: 1-line block ×3, first 2 shown]
	v_pk_add_f32 v[14:15], v[14:15], v[92:93]
	v_mov_b32_e32 v19, v17
	v_pk_mul_f32 v[16:17], v[86:87], v[16:17] op_sel_hi:[1,0]
	v_pk_add_f32 v[14:15], v[14:15], v[18:19]
	s_waitcnt vmcnt(6)
	v_pk_fma_f32 v[18:19], v[86:87], v[100:101], v[16:17] op_sel:[0,0,1] op_sel_hi:[1,1,0] neg_lo:[0,0,1] neg_hi:[0,0,1]
	v_pk_fma_f32 v[16:17], v[86:87], v[100:101], v[16:17] op_sel:[0,0,1] op_sel_hi:[1,0,0]
	v_mov_b32_e32 v16, v99
	v_mov_b32_e32 v19, v17
	s_waitcnt lgkmcnt(2)
	v_pk_mul_f32 v[16:17], v[2:3], v[16:17] op_sel_hi:[1,0]
	v_pk_add_f32 v[14:15], v[14:15], v[18:19]
	v_pk_fma_f32 v[18:19], v[2:3], v[98:99], v[16:17] op_sel:[0,0,1] op_sel_hi:[1,1,0] neg_lo:[0,0,1] neg_hi:[0,0,1]
	v_pk_fma_f32 v[2:3], v[2:3], v[98:99], v[16:17] op_sel:[0,0,1] op_sel_hi:[1,0,0]
	v_mov_b32_e32 v19, v3
	v_pk_add_f32 v[2:3], v[14:15], v[18:19]
	v_mov_b32_e32 v14, v97
	v_pk_mul_f32 v[14:15], v[4:5], v[14:15] op_sel_hi:[1,0]
	v_pk_fma_f32 v[16:17], v[4:5], v[96:97], v[14:15] op_sel:[0,0,1] op_sel_hi:[1,1,0] neg_lo:[0,0,1] neg_hi:[0,0,1]
	v_pk_fma_f32 v[4:5], v[4:5], v[96:97], v[14:15] op_sel:[0,0,1] op_sel_hi:[1,0,0]
	v_mov_b32_e32 v4, v95
	v_mov_b32_e32 v17, v5
	s_waitcnt lgkmcnt(1)
	v_pk_mul_f32 v[4:5], v[6:7], v[4:5] op_sel_hi:[1,0]
	v_pk_fma_f32 v[14:15], v[6:7], v[94:95], v[4:5] op_sel:[0,0,1] op_sel_hi:[1,1,0] neg_lo:[0,0,1] neg_hi:[0,0,1]
	v_pk_fma_f32 v[4:5], v[6:7], v[94:95], v[4:5] op_sel:[0,0,1] op_sel_hi:[1,0,0]
	s_waitcnt vmcnt(1)
	v_mov_b32_e32 v4, v109
	v_mov_b32_e32 v15, v5
	v_pk_mul_f32 v[4:5], v[8:9], v[4:5] op_sel_hi:[1,0]
	s_waitcnt vmcnt(0)
	v_pk_fma_f32 v[6:7], v[8:9], v[108:109], v[4:5] op_sel:[0,0,1] op_sel_hi:[1,1,0] neg_lo:[0,0,1] neg_hi:[0,0,1]
	v_pk_fma_f32 v[4:5], v[8:9], v[108:109], v[4:5] op_sel:[0,0,1] op_sel_hi:[1,0,0]
	v_pk_add_f32 v[2:3], v[2:3], v[16:17]
	v_mov_b32_e32 v4, v107
	v_pk_add_f32 v[2:3], v[2:3], v[14:15]
	v_mov_b32_e32 v7, v5
	s_waitcnt lgkmcnt(0)
	v_pk_mul_f32 v[4:5], v[10:11], v[4:5] op_sel_hi:[1,0]
	v_pk_add_f32 v[2:3], v[2:3], v[6:7]
	v_pk_fma_f32 v[6:7], v[10:11], v[106:107], v[4:5] op_sel:[0,0,1] op_sel_hi:[1,1,0] neg_lo:[0,0,1] neg_hi:[0,0,1]
	v_pk_fma_f32 v[4:5], v[10:11], v[106:107], v[4:5] op_sel:[0,0,1] op_sel_hi:[1,0,0]
	v_mov_b32_e32 v4, v105
	v_mov_b32_e32 v7, v5
	v_pk_mul_f32 v[4:5], v[12:13], v[4:5] op_sel_hi:[1,0]
	v_pk_add_f32 v[2:3], v[2:3], v[6:7]
	v_pk_fma_f32 v[6:7], v[12:13], v[104:105], v[4:5] op_sel:[0,0,1] op_sel_hi:[1,1,0] neg_lo:[0,0,1] neg_hi:[0,0,1]
	v_pk_fma_f32 v[4:5], v[12:13], v[104:105], v[4:5] op_sel:[0,0,1] op_sel_hi:[1,0,0]
	v_mov_b32_e32 v7, v5
	v_pk_add_f32 v[2:3], v[2:3], v[6:7]
	v_pk_add_f32 v[2:3], v[26:27], v[2:3] neg_lo:[0,1] neg_hi:[0,1]
	buffer_store_dword v3, off, s[0:3], 0 offset:116
	buffer_store_dword v2, off, s[0:3], 0 offset:112
	s_and_saveexec_b64 s[4:5], vcc
	s_cbranch_execz .LBB60_353
; %bb.352:
	buffer_load_dword v2, off, s[0:3], 0 offset:104
	buffer_load_dword v3, off, s[0:3], 0 offset:108
	v_mov_b32_e32 v1, 0
	buffer_store_dword v1, off, s[0:3], 0 offset:104
	buffer_store_dword v1, off, s[0:3], 0 offset:108
	s_waitcnt vmcnt(2)
	ds_write_b64 v199, v[2:3]
.LBB60_353:
	s_or_b64 exec, exec, s[4:5]
	s_waitcnt lgkmcnt(0)
	; wave barrier
	s_waitcnt lgkmcnt(0)
	buffer_load_dword v33, off, s[0:3], 0 offset:116
	buffer_load_dword v32, off, s[0:3], 0 offset:124
	buffer_load_dword v31, off, s[0:3], 0 offset:140
	buffer_load_dword v30, off, s[0:3], 0 offset:148
	buffer_load_dword v28, off, s[0:3], 0 offset:156
	buffer_load_dword v34, off, s[0:3], 0 offset:132
	buffer_load_dword v29, off, s[0:3], 0 offset:164
	buffer_load_dword v92, off, s[0:3], 0 offset:172
	buffer_load_dword v94, off, s[0:3], 0 offset:180
	buffer_load_dword v114, off, s[0:3], 0 offset:188
	buffer_load_dword v115, off, s[0:3], 0 offset:128
	buffer_load_dword v116, off, s[0:3], 0 offset:120
	buffer_load_dword v117, off, s[0:3], 0 offset:112
	buffer_load_dword v118, off, s[0:3], 0 offset:160
	buffer_load_dword v119, off, s[0:3], 0 offset:152
	buffer_load_dword v120, off, s[0:3], 0 offset:144
	buffer_load_dword v121, off, s[0:3], 0 offset:136
	buffer_load_dword v122, off, s[0:3], 0 offset:192
	buffer_load_dword v123, off, s[0:3], 0 offset:184
	buffer_load_dword v124, off, s[0:3], 0 offset:176
	buffer_load_dword v125, off, s[0:3], 0 offset:168
	buffer_load_dword v126, off, s[0:3], 0 offset:196
	buffer_load_dword v127, off, s[0:3], 0 offset:208
	buffer_load_dword v128, off, s[0:3], 0 offset:212
	buffer_load_dword v129, off, s[0:3], 0 offset:216
	buffer_load_dword v130, off, s[0:3], 0 offset:220
	buffer_load_dword v131, off, s[0:3], 0 offset:224
	buffer_load_dword v132, off, s[0:3], 0 offset:228
	buffer_load_dword v133, off, s[0:3], 0 offset:204
	buffer_load_dword v134, off, s[0:3], 0 offset:200
	buffer_load_dword v26, off, s[0:3], 0 offset:104
	buffer_load_dword v27, off, s[0:3], 0 offset:108
	buffer_load_dword v135, off, s[0:3], 0 offset:232
	buffer_load_dword v136, off, s[0:3], 0 offset:236
	buffer_load_dword v137, off, s[0:3], 0 offset:240
	buffer_load_dword v138, off, s[0:3], 0 offset:244
	buffer_load_dword v139, off, s[0:3], 0 offset:248
	buffer_load_dword v140, off, s[0:3], 0 offset:252
	buffer_load_dword v141, off, s[0:3], 0 offset:256
	buffer_load_dword v142, off, s[0:3], 0 offset:260
	buffer_load_dword v143, off, s[0:3], 0 offset:264
	buffer_load_dword v144, off, s[0:3], 0 offset:268
	buffer_load_dword v145, off, s[0:3], 0 offset:272
	buffer_load_dword v146, off, s[0:3], 0 offset:276
	buffer_load_dword v147, off, s[0:3], 0 offset:280
	buffer_load_dword v148, off, s[0:3], 0 offset:284
	buffer_load_dword v149, off, s[0:3], 0 offset:288
	buffer_load_dword v150, off, s[0:3], 0 offset:292
	v_mov_b32_e32 v1, 0
	ds_read_b128 v[22:25], v1 offset:608
	ds_read_b128 v[18:21], v1 offset:624
	;; [unrolled: 1-line block ×6, first 2 shown]
	buffer_load_dword v151, off, s[0:3], 0 offset:296
	buffer_load_dword v152, off, s[0:3], 0 offset:300
	;; [unrolled: 1-line block ×12, first 2 shown]
	v_cmp_lt_u32_e32 vcc, 12, v0
	s_waitcnt vmcnt(59) lgkmcnt(5)
	v_mul_f32_e32 v35, v22, v33
	s_waitcnt vmcnt(58)
	v_mul_f32_e32 v36, v24, v32
	s_waitcnt vmcnt(57) lgkmcnt(4)
	v_mul_f32_e32 v38, v20, v31
	s_waitcnt vmcnt(56) lgkmcnt(3)
	v_mul_f32_e32 v39, v14, v30
	s_waitcnt vmcnt(55)
	v_mul_f32_e32 v40, v16, v28
	s_waitcnt vmcnt(54)
	v_mul_f32_e32 v37, v18, v34
	s_waitcnt vmcnt(53) lgkmcnt(2)
	v_mul_f32_e32 v41, v10, v29
	s_waitcnt vmcnt(52)
	v_mul_f32_e32 v42, v12, v92
	s_waitcnt vmcnt(51) lgkmcnt(1)
	v_mul_f32_e32 v43, v6, v94
	s_waitcnt vmcnt(50)
	v_mul_f32_e32 v44, v8, v114
	s_waitcnt vmcnt(49)
	v_fmac_f32_e32 v37, v19, v115
	s_waitcnt vmcnt(48)
	v_fmac_f32_e32 v36, v25, v116
	;; [unrolled: 2-line block ×3, first 2 shown]
	v_add_f32_e32 v35, 0, v35
	v_add_f32_e32 v35, v35, v36
	v_add_f32_e32 v35, v35, v37
	s_waitcnt vmcnt(43)
	v_fmac_f32_e32 v38, v21, v121
	v_fmac_f32_e32 v39, v15, v120
	v_add_f32_e32 v35, v35, v38
	v_fmac_f32_e32 v40, v17, v119
	v_add_f32_e32 v35, v35, v39
	;; [unrolled: 2-line block ×3, first 2 shown]
	s_waitcnt vmcnt(39)
	v_fmac_f32_e32 v42, v13, v125
	v_add_f32_e32 v35, v35, v41
	v_fmac_f32_e32 v43, v7, v124
	v_add_f32_e32 v35, v35, v42
	;; [unrolled: 2-line block ×3, first 2 shown]
	s_waitcnt vmcnt(38) lgkmcnt(0)
	v_mul_f32_e32 v36, v2, v126
	v_add_f32_e32 v35, v35, v44
	v_fmac_f32_e32 v36, v3, v122
	v_add_f32_e32 v35, v35, v36
	ds_read_b128 v[36:39], v1 offset:704
	buffer_load_dword v163, off, s[0:3], 0 offset:344
	buffer_load_dword v164, off, s[0:3], 0 offset:348
	;; [unrolled: 1-line block ×4, first 2 shown]
	s_waitcnt vmcnt(35)
	v_mul_f32_e32 v40, v4, v133
	s_waitcnt vmcnt(34)
	v_fmac_f32_e32 v40, v5, v134
	v_add_f32_e32 v35, v35, v40
	ds_read_b128 v[40:43], v1 offset:720
	buffer_load_dword v167, off, s[0:3], 0 offset:360
	buffer_load_dword v168, off, s[0:3], 0 offset:364
	;; [unrolled: 1-line block ×10, first 2 shown]
	s_waitcnt lgkmcnt(1)
	v_mul_f32_e32 v44, v36, v128
	v_fmac_f32_e32 v44, v37, v127
	v_add_f32_e32 v35, v35, v44
	v_mul_f32_e32 v44, v38, v130
	v_fmac_f32_e32 v44, v39, v129
	v_add_f32_e32 v35, v35, v44
	s_waitcnt lgkmcnt(0)
	v_mul_f32_e32 v44, v40, v132
	v_fmac_f32_e32 v44, v41, v131
	v_add_f32_e32 v35, v35, v44
	buffer_load_dword v177, off, s[0:3], 0 offset:400
	buffer_load_dword v178, off, s[0:3], 0 offset:404
	;; [unrolled: 1-line block ×6, first 2 shown]
	ds_read_b128 v[44:47], v1 offset:736
	s_waitcnt vmcnt(46)
	v_mul_f32_e32 v48, v42, v136
	v_fmac_f32_e32 v48, v43, v135
	v_add_f32_e32 v35, v35, v48
	ds_read_b128 v[48:51], v1 offset:752
	s_waitcnt vmcnt(44) lgkmcnt(1)
	v_mul_f32_e32 v52, v44, v138
	v_fmac_f32_e32 v52, v45, v137
	v_add_f32_e32 v35, v35, v52
	s_waitcnt vmcnt(42)
	v_mul_f32_e32 v52, v46, v140
	v_fmac_f32_e32 v52, v47, v139
	v_add_f32_e32 v35, v35, v52
	s_waitcnt vmcnt(40) lgkmcnt(0)
	v_mul_f32_e32 v52, v48, v142
	v_fmac_f32_e32 v52, v49, v141
	v_add_f32_e32 v35, v35, v52
	ds_read_b128 v[52:55], v1 offset:768
	s_waitcnt vmcnt(38)
	v_mul_f32_e32 v56, v50, v144
	v_fmac_f32_e32 v56, v51, v143
	v_add_f32_e32 v35, v35, v56
	ds_read_b128 v[56:59], v1 offset:784
	s_waitcnt vmcnt(36) lgkmcnt(1)
	v_mul_f32_e32 v60, v52, v146
	v_fmac_f32_e32 v60, v53, v145
	v_add_f32_e32 v35, v35, v60
	s_waitcnt vmcnt(34)
	v_mul_f32_e32 v60, v54, v148
	v_fmac_f32_e32 v60, v55, v147
	v_add_f32_e32 v35, v35, v60
	s_waitcnt vmcnt(32) lgkmcnt(0)
	v_mul_f32_e32 v60, v56, v150
	v_fmac_f32_e32 v60, v57, v149
	v_add_f32_e32 v35, v35, v60
	;; [unrolled: 18-line block ×3, first 2 shown]
	ds_read_b128 v[68:71], v1 offset:832
	s_waitcnt vmcnt(22)
	v_mul_f32_e32 v72, v66, v160
	v_fmac_f32_e32 v72, v67, v159
	v_add_f32_e32 v35, v35, v72
	ds_read_b128 v[72:75], v1 offset:848
	s_waitcnt vmcnt(20) lgkmcnt(1)
	v_mul_f32_e32 v76, v68, v162
	v_fmac_f32_e32 v76, v69, v161
	v_add_f32_e32 v35, v35, v76
	v_mul_f32_e32 v23, v23, v33
	v_fma_f32 v22, v22, v117, -v23
	v_mul_f32_e32 v23, v25, v32
	v_add_f32_e32 v22, 0, v22
	v_fma_f32 v23, v24, v116, -v23
	v_mul_f32_e32 v19, v19, v34
	v_add_f32_e32 v22, v22, v23
	v_fma_f32 v18, v18, v115, -v19
	v_mul_f32_e32 v19, v21, v31
	s_waitcnt vmcnt(18)
	v_mul_f32_e32 v76, v70, v164
	v_fmac_f32_e32 v76, v71, v163
	v_add_f32_e32 v35, v35, v76
	s_waitcnt vmcnt(16) lgkmcnt(0)
	v_mul_f32_e32 v76, v72, v166
	v_fmac_f32_e32 v76, v73, v165
	v_add_f32_e32 v35, v35, v76
	ds_read_b128 v[76:79], v1 offset:864
	s_waitcnt vmcnt(14)
	v_mul_f32_e32 v80, v74, v168
	v_fmac_f32_e32 v80, v75, v167
	v_add_f32_e32 v35, v35, v80
	ds_read_b128 v[80:83], v1 offset:880
	s_waitcnt vmcnt(12) lgkmcnt(1)
	v_mul_f32_e32 v84, v76, v170
	v_fmac_f32_e32 v84, v77, v169
	v_add_f32_e32 v35, v35, v84
	s_waitcnt vmcnt(10)
	v_mul_f32_e32 v84, v78, v172
	v_fmac_f32_e32 v84, v79, v171
	v_add_f32_e32 v35, v35, v84
	s_waitcnt vmcnt(8) lgkmcnt(0)
	v_mul_f32_e32 v84, v80, v174
	v_fmac_f32_e32 v84, v81, v173
	s_waitcnt vmcnt(6)
	v_mul_f32_e32 v88, v82, v176
	v_add_f32_e32 v35, v35, v84
	v_fmac_f32_e32 v88, v83, v175
	ds_read_b128 v[84:87], v1 offset:896
	v_add_f32_e32 v35, v35, v88
	ds_read_b128 v[88:91], v1 offset:912
	buffer_load_dword v97, off, s[0:3], 0 offset:452
	buffer_load_dword v96, off, s[0:3], 0 offset:448
	;; [unrolled: 1-line block ×16, first 2 shown]
	v_add_f32_e32 v18, v22, v18
	v_fma_f32 v19, v20, v121, -v19
	v_mul_f32_e32 v15, v15, v30
	v_add_f32_e32 v18, v18, v19
	v_fma_f32 v14, v14, v120, -v15
	v_mul_f32_e32 v15, v17, v28
	;; [unrolled: 3-line block ×8, first 2 shown]
	v_add_f32_e32 v2, v6, v2
	v_fma_f32 v3, v4, v134, -v3
	v_add_f32_e32 v2, v2, v3
	v_mul_f32_e32 v3, v37, v128
	v_fma_f32 v3, v36, v127, -v3
	v_add_f32_e32 v2, v2, v3
	v_mul_f32_e32 v3, v39, v130
	;; [unrolled: 3-line block ×24, first 2 shown]
	v_fma_f32 v3, v82, v175, -v3
	v_add_f32_e32 v2, v2, v3
	s_waitcnt vmcnt(20) lgkmcnt(1)
	v_mul_f32_e32 v3, v85, v178
	v_mul_f32_e32 v93, v84, v178
	v_fma_f32 v3, v84, v177, -v3
	v_fmac_f32_e32 v93, v85, v177
	v_add_f32_e32 v34, v2, v3
	s_waitcnt vmcnt(18)
	v_mul_f32_e32 v2, v87, v224
	s_waitcnt vmcnt(9)
	v_mov_b32_e32 v18, v105
	v_add_f32_e32 v35, v35, v93
	v_mul_f32_e32 v93, v86, v224
	v_fma_f32 v92, v86, v179, -v2
	s_waitcnt lgkmcnt(0)
	v_mul_f32_e32 v2, v89, v226
	v_pk_mul_f32 v[18:19], v[90:91], v[18:19] op_sel_hi:[1,0]
	v_fmac_f32_e32 v93, v87, v179
	v_mul_f32_e32 v95, v88, v226
	v_fma_f32 v94, v88, v225, -v2
	ds_read_b128 v[2:5], v1 offset:928
	ds_read_b128 v[6:9], v1 offset:944
	;; [unrolled: 1-line block ×3, first 2 shown]
	ds_read_b64 v[14:15], v1 offset:976
	s_waitcnt vmcnt(8)
	v_pk_fma_f32 v[20:21], v[90:91], v[104:105], v[18:19] op_sel:[0,0,1] op_sel_hi:[1,1,0] neg_lo:[0,0,1] neg_hi:[0,0,1]
	v_pk_fma_f32 v[18:19], v[90:91], v[104:105], v[18:19] op_sel:[0,0,1] op_sel_hi:[1,0,0]
	v_fmac_f32_e32 v95, v89, v225
	v_pk_add_f32 v[16:17], v[34:35], v[92:93]
	v_mov_b32_e32 v18, v101
	v_pk_add_f32 v[16:17], v[16:17], v[94:95]
	v_mov_b32_e32 v21, v19
	s_waitcnt lgkmcnt(3)
	v_pk_mul_f32 v[18:19], v[2:3], v[18:19] op_sel_hi:[1,0]
	v_pk_add_f32 v[16:17], v[16:17], v[20:21]
	v_pk_fma_f32 v[20:21], v[2:3], v[100:101], v[18:19] op_sel:[0,0,1] op_sel_hi:[1,1,0] neg_lo:[0,0,1] neg_hi:[0,0,1]
	v_pk_fma_f32 v[2:3], v[2:3], v[100:101], v[18:19] op_sel:[0,0,1] op_sel_hi:[1,0,0]
	v_mov_b32_e32 v21, v3
	v_pk_add_f32 v[2:3], v[16:17], v[20:21]
	v_mov_b32_e32 v16, v99
	v_pk_mul_f32 v[16:17], v[4:5], v[16:17] op_sel_hi:[1,0]
	v_pk_fma_f32 v[18:19], v[4:5], v[98:99], v[16:17] op_sel:[0,0,1] op_sel_hi:[1,1,0] neg_lo:[0,0,1] neg_hi:[0,0,1]
	v_pk_fma_f32 v[4:5], v[4:5], v[98:99], v[16:17] op_sel:[0,0,1] op_sel_hi:[1,0,0]
	v_mov_b32_e32 v4, v97
	v_mov_b32_e32 v19, v5
	s_waitcnt lgkmcnt(2)
	v_pk_mul_f32 v[4:5], v[6:7], v[4:5] op_sel_hi:[1,0]
	v_pk_fma_f32 v[16:17], v[6:7], v[96:97], v[4:5] op_sel:[0,0,1] op_sel_hi:[1,1,0] neg_lo:[0,0,1] neg_hi:[0,0,1]
	v_pk_fma_f32 v[4:5], v[6:7], v[96:97], v[4:5] op_sel:[0,0,1] op_sel_hi:[1,0,0]
	s_waitcnt vmcnt(1)
	v_mov_b32_e32 v4, v113
	v_mov_b32_e32 v17, v5
	v_pk_mul_f32 v[4:5], v[8:9], v[4:5] op_sel_hi:[1,0]
	s_waitcnt vmcnt(0)
	v_pk_fma_f32 v[6:7], v[8:9], v[112:113], v[4:5] op_sel:[0,0,1] op_sel_hi:[1,1,0] neg_lo:[0,0,1] neg_hi:[0,0,1]
	v_pk_fma_f32 v[4:5], v[8:9], v[112:113], v[4:5] op_sel:[0,0,1] op_sel_hi:[1,0,0]
	v_pk_add_f32 v[2:3], v[2:3], v[18:19]
	v_mov_b32_e32 v4, v111
	v_pk_add_f32 v[2:3], v[2:3], v[16:17]
	v_mov_b32_e32 v7, v5
	s_waitcnt lgkmcnt(1)
	v_pk_mul_f32 v[4:5], v[10:11], v[4:5] op_sel_hi:[1,0]
	v_pk_add_f32 v[2:3], v[2:3], v[6:7]
	v_pk_fma_f32 v[6:7], v[10:11], v[110:111], v[4:5] op_sel:[0,0,1] op_sel_hi:[1,1,0] neg_lo:[0,0,1] neg_hi:[0,0,1]
	v_pk_fma_f32 v[4:5], v[10:11], v[110:111], v[4:5] op_sel:[0,0,1] op_sel_hi:[1,0,0]
	v_mov_b32_e32 v4, v109
	v_mov_b32_e32 v7, v5
	v_pk_mul_f32 v[4:5], v[12:13], v[4:5] op_sel_hi:[1,0]
	v_pk_add_f32 v[2:3], v[2:3], v[6:7]
	v_pk_fma_f32 v[6:7], v[12:13], v[108:109], v[4:5] op_sel:[0,0,1] op_sel_hi:[1,1,0] neg_lo:[0,0,1] neg_hi:[0,0,1]
	v_pk_fma_f32 v[4:5], v[12:13], v[108:109], v[4:5] op_sel:[0,0,1] op_sel_hi:[1,0,0]
	v_mov_b32_e32 v4, v107
	v_mov_b32_e32 v7, v5
	s_waitcnt lgkmcnt(0)
	v_pk_mul_f32 v[4:5], v[14:15], v[4:5] op_sel_hi:[1,0]
	v_pk_add_f32 v[2:3], v[2:3], v[6:7]
	v_pk_fma_f32 v[6:7], v[14:15], v[106:107], v[4:5] op_sel:[0,0,1] op_sel_hi:[1,1,0] neg_lo:[0,0,1] neg_hi:[0,0,1]
	v_pk_fma_f32 v[4:5], v[14:15], v[106:107], v[4:5] op_sel:[0,0,1] op_sel_hi:[1,0,0]
	v_mov_b32_e32 v7, v5
	v_pk_add_f32 v[2:3], v[2:3], v[6:7]
	v_pk_add_f32 v[2:3], v[26:27], v[2:3] neg_lo:[0,1] neg_hi:[0,1]
	buffer_store_dword v3, off, s[0:3], 0 offset:108
	buffer_store_dword v2, off, s[0:3], 0 offset:104
	s_and_saveexec_b64 s[4:5], vcc
	s_cbranch_execz .LBB60_355
; %bb.354:
	buffer_load_dword v2, off, s[0:3], 0 offset:96
	buffer_load_dword v3, off, s[0:3], 0 offset:100
	s_waitcnt vmcnt(0)
	ds_write_b64 v199, v[2:3]
	buffer_store_dword v1, off, s[0:3], 0 offset:96
	buffer_store_dword v1, off, s[0:3], 0 offset:100
.LBB60_355:
	s_or_b64 exec, exec, s[4:5]
	s_waitcnt lgkmcnt(0)
	; wave barrier
	s_waitcnt lgkmcnt(0)
	buffer_load_dword v41, off, s[0:3], 0 offset:108
	buffer_load_dword v40, off, s[0:3], 0 offset:116
	;; [unrolled: 1-line block ×32, first 2 shown]
	ds_read2_b64 v[22:25], v1 offset0:75 offset1:76
	ds_read2_b64 v[18:21], v1 offset0:77 offset1:78
	;; [unrolled: 1-line block ×6, first 2 shown]
	buffer_load_dword v135, off, s[0:3], 0 offset:224
	buffer_load_dword v136, off, s[0:3], 0 offset:228
	;; [unrolled: 1-line block ×26, first 2 shown]
	v_cmp_lt_u32_e32 vcc, 11, v0
	s_waitcnt vmcnt(57) lgkmcnt(5)
	v_mul_f32_e32 v26, v22, v41
	s_waitcnt vmcnt(56)
	v_mul_f32_e32 v27, v24, v40
	s_waitcnt vmcnt(55) lgkmcnt(4)
	v_mul_f32_e32 v29, v20, v39
	s_waitcnt vmcnt(54) lgkmcnt(3)
	v_mul_f32_e32 v30, v14, v38
	s_waitcnt vmcnt(53)
	v_mul_f32_e32 v31, v16, v36
	s_waitcnt vmcnt(52)
	v_mul_f32_e32 v28, v18, v42
	s_waitcnt vmcnt(51) lgkmcnt(2)
	v_mul_f32_e32 v32, v10, v37
	s_waitcnt vmcnt(50)
	v_mul_f32_e32 v33, v12, v43
	s_waitcnt vmcnt(49) lgkmcnt(1)
	;; [unrolled: 4-line block ×3, first 2 shown]
	v_mul_f32_e32 v46, v2, v104
	s_waitcnt vmcnt(46)
	v_fmac_f32_e32 v28, v19, v116
	s_waitcnt vmcnt(45)
	v_fmac_f32_e32 v27, v25, v117
	;; [unrolled: 2-line block ×3, first 2 shown]
	v_add_f32_e32 v26, 0, v26
	v_add_f32_e32 v26, v26, v27
	;; [unrolled: 1-line block ×3, first 2 shown]
	s_waitcnt vmcnt(40)
	v_fmac_f32_e32 v29, v21, v122
	v_fmac_f32_e32 v30, v15, v121
	v_add_f32_e32 v26, v26, v29
	v_fmac_f32_e32 v31, v17, v120
	v_add_f32_e32 v26, v26, v30
	;; [unrolled: 2-line block ×3, first 2 shown]
	s_waitcnt vmcnt(36)
	v_fmac_f32_e32 v33, v13, v126
	v_add_f32_e32 v26, v26, v32
	v_fmac_f32_e32 v44, v7, v125
	v_add_f32_e32 v26, v26, v33
	;; [unrolled: 2-line block ×4, first 2 shown]
	s_waitcnt vmcnt(30)
	v_mul_f32_e32 v27, v4, v132
	v_add_f32_e32 v26, v26, v46
	s_waitcnt vmcnt(29)
	v_fmac_f32_e32 v27, v5, v133
	v_add_f32_e32 v44, v26, v27
	ds_read2_b64 v[26:29], v1 offset0:87 offset1:88
	buffer_load_dword v161, off, s[0:3], 0 offset:328
	buffer_load_dword v162, off, s[0:3], 0 offset:332
	ds_read2_b64 v[30:33], v1 offset0:89 offset1:90
	buffer_load_dword v163, off, s[0:3], 0 offset:336
	buffer_load_dword v164, off, s[0:3], 0 offset:340
	;; [unrolled: 1-line block ×14, first 2 shown]
	s_waitcnt vmcnt(44) lgkmcnt(1)
	v_mul_f32_e32 v45, v26, v134
	v_fmac_f32_e32 v45, v27, v131
	v_add_f32_e32 v44, v44, v45
	v_mul_f32_e32 v45, v28, v128
	v_fmac_f32_e32 v45, v29, v127
	v_add_f32_e32 v44, v44, v45
	s_waitcnt lgkmcnt(0)
	v_mul_f32_e32 v45, v30, v130
	v_fmac_f32_e32 v45, v31, v129
	v_add_f32_e32 v48, v44, v45
	buffer_load_dword v177, off, s[0:3], 0 offset:392
	buffer_load_dword v178, off, s[0:3], 0 offset:396
	ds_read2_b64 v[44:47], v1 offset0:91 offset1:92
	s_waitcnt vmcnt(42)
	v_mul_f32_e32 v49, v32, v136
	v_fmac_f32_e32 v49, v33, v135
	buffer_load_dword v179, off, s[0:3], 0 offset:400
	buffer_load_dword v224, off, s[0:3], 0 offset:404
	v_add_f32_e32 v52, v48, v49
	buffer_load_dword v225, off, s[0:3], 0 offset:408
	buffer_load_dword v226, off, s[0:3], 0 offset:412
	ds_read2_b64 v[48:51], v1 offset0:93 offset1:94
	s_waitcnt vmcnt(44) lgkmcnt(1)
	v_mul_f32_e32 v53, v44, v138
	v_fmac_f32_e32 v53, v45, v137
	v_add_f32_e32 v52, v52, v53
	s_waitcnt vmcnt(42)
	v_mul_f32_e32 v53, v46, v140
	v_fmac_f32_e32 v53, v47, v139
	v_add_f32_e32 v52, v52, v53
	s_waitcnt vmcnt(40) lgkmcnt(0)
	v_mul_f32_e32 v53, v48, v142
	v_fmac_f32_e32 v53, v49, v141
	buffer_load_dword v227, off, s[0:3], 0 offset:416
	buffer_load_dword v228, off, s[0:3], 0 offset:420
	v_add_f32_e32 v56, v52, v53
	ds_read2_b64 v[52:55], v1 offset0:95 offset1:96
	s_waitcnt vmcnt(40)
	v_mul_f32_e32 v57, v50, v144
	v_fmac_f32_e32 v57, v51, v143
	v_add_f32_e32 v60, v56, v57
	ds_read2_b64 v[56:59], v1 offset0:97 offset1:98
	s_waitcnt vmcnt(38) lgkmcnt(1)
	v_mul_f32_e32 v61, v52, v146
	v_fmac_f32_e32 v61, v53, v145
	v_add_f32_e32 v60, v60, v61
	s_waitcnt vmcnt(36)
	v_mul_f32_e32 v61, v54, v148
	v_fmac_f32_e32 v61, v55, v147
	v_add_f32_e32 v60, v60, v61
	s_waitcnt vmcnt(34) lgkmcnt(0)
	v_mul_f32_e32 v61, v56, v150
	v_fmac_f32_e32 v61, v57, v149
	v_add_f32_e32 v64, v60, v61
	ds_read2_b64 v[60:63], v1 offset0:99 offset1:100
	s_waitcnt vmcnt(32)
	v_mul_f32_e32 v65, v58, v152
	v_fmac_f32_e32 v65, v59, v151
	v_add_f32_e32 v68, v64, v65
	ds_read2_b64 v[64:67], v1 offset0:101 offset1:102
	s_waitcnt vmcnt(30) lgkmcnt(1)
	v_mul_f32_e32 v69, v60, v154
	v_fmac_f32_e32 v69, v61, v153
	v_add_f32_e32 v68, v68, v69
	s_waitcnt vmcnt(28)
	v_mul_f32_e32 v69, v62, v156
	v_fmac_f32_e32 v69, v63, v155
	v_add_f32_e32 v68, v68, v69
	s_waitcnt vmcnt(26) lgkmcnt(0)
	v_mul_f32_e32 v69, v64, v158
	v_fmac_f32_e32 v69, v65, v157
	v_add_f32_e32 v72, v68, v69
	ds_read2_b64 v[68:71], v1 offset0:103 offset1:104
	s_waitcnt vmcnt(24)
	v_mul_f32_e32 v73, v66, v160
	v_fmac_f32_e32 v73, v67, v159
	v_add_f32_e32 v76, v72, v73
	ds_read2_b64 v[72:75], v1 offset0:105 offset1:106
	v_mul_f32_e32 v23, v23, v41
	v_fma_f32 v22, v22, v118, -v23
	v_mul_f32_e32 v23, v25, v40
	v_add_f32_e32 v22, 0, v22
	v_fma_f32 v23, v24, v117, -v23
	v_mul_f32_e32 v19, v19, v42
	v_add_f32_e32 v22, v22, v23
	;; [unrolled: 3-line block ×3, first 2 shown]
	v_fma_f32 v19, v20, v122, -v19
	s_waitcnt vmcnt(22) lgkmcnt(1)
	v_mul_f32_e32 v77, v68, v162
	v_fmac_f32_e32 v77, v69, v161
	v_add_f32_e32 v76, v76, v77
	s_waitcnt vmcnt(20)
	v_mul_f32_e32 v77, v70, v164
	v_fmac_f32_e32 v77, v71, v163
	v_add_f32_e32 v76, v76, v77
	s_waitcnt vmcnt(18) lgkmcnt(0)
	v_mul_f32_e32 v77, v72, v166
	v_fmac_f32_e32 v77, v73, v165
	v_add_f32_e32 v80, v76, v77
	ds_read2_b64 v[76:79], v1 offset0:107 offset1:108
	s_waitcnt vmcnt(16)
	v_mul_f32_e32 v81, v74, v168
	v_fmac_f32_e32 v81, v75, v167
	v_add_f32_e32 v84, v80, v81
	ds_read2_b64 v[80:83], v1 offset0:109 offset1:110
	s_waitcnt vmcnt(14) lgkmcnt(1)
	v_mul_f32_e32 v85, v76, v170
	v_fmac_f32_e32 v85, v77, v169
	v_add_f32_e32 v84, v84, v85
	s_waitcnt vmcnt(12)
	v_mul_f32_e32 v85, v78, v172
	v_fmac_f32_e32 v85, v79, v171
	v_add_f32_e32 v84, v84, v85
	s_waitcnt vmcnt(10) lgkmcnt(0)
	v_mul_f32_e32 v85, v80, v174
	v_fmac_f32_e32 v85, v81, v173
	s_waitcnt vmcnt(8)
	v_mul_f32_e32 v89, v82, v176
	v_add_f32_e32 v88, v84, v85
	v_fmac_f32_e32 v89, v83, v175
	ds_read2_b64 v[84:87], v1 offset0:111 offset1:112
	v_add_f32_e32 v93, v88, v89
	ds_read2_b64 v[88:91], v1 offset0:113 offset1:114
	buffer_load_dword v97, off, s[0:3], 0 offset:444
	buffer_load_dword v96, off, s[0:3], 0 offset:440
	;; [unrolled: 1-line block ×16, first 2 shown]
	v_mul_f32_e32 v15, v15, v38
	v_add_f32_e32 v18, v18, v19
	v_fma_f32 v14, v14, v121, -v15
	v_mul_f32_e32 v15, v17, v36
	v_add_f32_e32 v14, v18, v14
	v_fma_f32 v15, v16, v120, -v15
	;; [unrolled: 3-line block ×8, first 2 shown]
	v_add_f32_e32 v2, v2, v3
	v_mul_f32_e32 v3, v27, v134
	v_fma_f32 v3, v26, v131, -v3
	v_add_f32_e32 v2, v2, v3
	v_mul_f32_e32 v3, v29, v128
	v_fma_f32 v3, v28, v127, -v3
	;; [unrolled: 3-line block ×24, first 2 shown]
	v_add_f32_e32 v2, v2, v3
	s_waitcnt vmcnt(22) lgkmcnt(1)
	v_mul_f32_e32 v3, v85, v178
	v_fma_f32 v3, v84, v177, -v3
	v_add_f32_e32 v2, v2, v3
	s_waitcnt vmcnt(20)
	v_mul_f32_e32 v3, v87, v224
	v_mul_f32_e32 v95, v84, v178
	v_fma_f32 v3, v86, v179, -v3
	v_fmac_f32_e32 v95, v85, v177
	v_add_f32_e32 v92, v2, v3
	s_waitcnt vmcnt(18) lgkmcnt(0)
	v_mul_f32_e32 v2, v89, v226
	v_add_f32_e32 v93, v93, v95
	v_mul_f32_e32 v95, v86, v224
	v_fma_f32 v94, v88, v225, -v2
	s_waitcnt vmcnt(16)
	v_mul_f32_e32 v2, v91, v228
	v_fmac_f32_e32 v95, v87, v179
	v_fma_f32 v104, v90, v227, -v2
	ds_read2_b64 v[2:5], v1 offset0:115 offset1:116
	ds_read2_b64 v[6:9], v1 offset0:117 offset1:118
	;; [unrolled: 1-line block ×4, first 2 shown]
	v_add_f32_e32 v93, v93, v95
	v_mul_f32_e32 v95, v88, v226
	s_waitcnt vmcnt(11)
	v_mov_b32_e32 v20, v101
	v_fmac_f32_e32 v95, v89, v225
	v_mul_f32_e32 v105, v90, v228
	s_waitcnt lgkmcnt(3)
	v_pk_mul_f32 v[20:21], v[2:3], v[20:21] op_sel_hi:[1,0]
	v_fmac_f32_e32 v105, v91, v227
	v_pk_add_f32 v[18:19], v[92:93], v[94:95]
	s_waitcnt vmcnt(10)
	v_pk_fma_f32 v[22:23], v[2:3], v[100:101], v[20:21] op_sel:[0,0,1] op_sel_hi:[1,1,0] neg_lo:[0,0,1] neg_hi:[0,0,1]
	v_pk_fma_f32 v[2:3], v[2:3], v[100:101], v[20:21] op_sel:[0,0,1] op_sel_hi:[1,0,0]
	v_pk_add_f32 v[18:19], v[18:19], v[104:105]
	v_mov_b32_e32 v23, v3
	v_pk_add_f32 v[2:3], v[18:19], v[22:23]
	v_mov_b32_e32 v18, v99
	v_pk_mul_f32 v[18:19], v[4:5], v[18:19] op_sel_hi:[1,0]
	v_pk_fma_f32 v[20:21], v[4:5], v[98:99], v[18:19] op_sel:[0,0,1] op_sel_hi:[1,1,0] neg_lo:[0,0,1] neg_hi:[0,0,1]
	v_pk_fma_f32 v[4:5], v[4:5], v[98:99], v[18:19] op_sel:[0,0,1] op_sel_hi:[1,0,0]
	v_mov_b32_e32 v4, v97
	v_mov_b32_e32 v21, v5
	s_waitcnt lgkmcnt(2)
	v_pk_mul_f32 v[4:5], v[6:7], v[4:5] op_sel_hi:[1,0]
	v_pk_fma_f32 v[18:19], v[6:7], v[96:97], v[4:5] op_sel:[0,0,1] op_sel_hi:[1,1,0] neg_lo:[0,0,1] neg_hi:[0,0,1]
	v_pk_fma_f32 v[4:5], v[6:7], v[96:97], v[4:5] op_sel:[0,0,1] op_sel_hi:[1,0,0]
	s_waitcnt vmcnt(3)
	v_mov_b32_e32 v4, v113
	v_mov_b32_e32 v19, v5
	v_pk_mul_f32 v[4:5], v[8:9], v[4:5] op_sel_hi:[1,0]
	s_waitcnt vmcnt(2)
	v_pk_fma_f32 v[6:7], v[8:9], v[112:113], v[4:5] op_sel:[0,0,1] op_sel_hi:[1,1,0] neg_lo:[0,0,1] neg_hi:[0,0,1]
	v_pk_fma_f32 v[4:5], v[8:9], v[112:113], v[4:5] op_sel:[0,0,1] op_sel_hi:[1,0,0]
	v_pk_add_f32 v[2:3], v[2:3], v[20:21]
	v_mov_b32_e32 v4, v111
	v_pk_add_f32 v[2:3], v[2:3], v[18:19]
	v_mov_b32_e32 v7, v5
	s_waitcnt lgkmcnt(1)
	v_pk_mul_f32 v[4:5], v[10:11], v[4:5] op_sel_hi:[1,0]
	v_pk_add_f32 v[2:3], v[2:3], v[6:7]
	v_pk_fma_f32 v[6:7], v[10:11], v[110:111], v[4:5] op_sel:[0,0,1] op_sel_hi:[1,1,0] neg_lo:[0,0,1] neg_hi:[0,0,1]
	v_pk_fma_f32 v[4:5], v[10:11], v[110:111], v[4:5] op_sel:[0,0,1] op_sel_hi:[1,0,0]
	v_mov_b32_e32 v4, v109
	v_mov_b32_e32 v7, v5
	v_pk_mul_f32 v[4:5], v[12:13], v[4:5] op_sel_hi:[1,0]
	v_pk_add_f32 v[2:3], v[2:3], v[6:7]
	v_pk_fma_f32 v[6:7], v[12:13], v[108:109], v[4:5] op_sel:[0,0,1] op_sel_hi:[1,1,0] neg_lo:[0,0,1] neg_hi:[0,0,1]
	v_pk_fma_f32 v[4:5], v[12:13], v[108:109], v[4:5] op_sel:[0,0,1] op_sel_hi:[1,0,0]
	v_mov_b32_e32 v4, v107
	v_mov_b32_e32 v7, v5
	s_waitcnt lgkmcnt(0)
	v_pk_mul_f32 v[4:5], v[14:15], v[4:5] op_sel_hi:[1,0]
	v_pk_add_f32 v[2:3], v[2:3], v[6:7]
	v_pk_fma_f32 v[6:7], v[14:15], v[106:107], v[4:5] op_sel:[0,0,1] op_sel_hi:[1,1,0] neg_lo:[0,0,1] neg_hi:[0,0,1]
	v_pk_fma_f32 v[4:5], v[14:15], v[106:107], v[4:5] op_sel:[0,0,1] op_sel_hi:[1,0,0]
	s_waitcnt vmcnt(1)
	v_mov_b32_e32 v4, v115
	v_mov_b32_e32 v7, v5
	v_pk_mul_f32 v[4:5], v[16:17], v[4:5] op_sel_hi:[1,0]
	v_pk_add_f32 v[2:3], v[2:3], v[6:7]
	s_waitcnt vmcnt(0)
	v_pk_fma_f32 v[6:7], v[16:17], v[114:115], v[4:5] op_sel:[0,0,1] op_sel_hi:[1,1,0] neg_lo:[0,0,1] neg_hi:[0,0,1]
	v_pk_fma_f32 v[4:5], v[16:17], v[114:115], v[4:5] op_sel:[0,0,1] op_sel_hi:[1,0,0]
	v_mov_b32_e32 v7, v5
	v_pk_add_f32 v[2:3], v[2:3], v[6:7]
	v_pk_add_f32 v[2:3], v[34:35], v[2:3] neg_lo:[0,1] neg_hi:[0,1]
	buffer_store_dword v3, off, s[0:3], 0 offset:100
	buffer_store_dword v2, off, s[0:3], 0 offset:96
	s_and_saveexec_b64 s[4:5], vcc
	s_cbranch_execz .LBB60_357
; %bb.356:
	buffer_load_dword v2, off, s[0:3], 0 offset:88
	buffer_load_dword v3, off, s[0:3], 0 offset:92
	v_mov_b32_e32 v1, 0
	buffer_store_dword v1, off, s[0:3], 0 offset:88
	buffer_store_dword v1, off, s[0:3], 0 offset:92
	s_waitcnt vmcnt(2)
	ds_write_b64 v199, v[2:3]
.LBB60_357:
	s_or_b64 exec, exec, s[4:5]
	v_mov_b32_e32 v232, 0
	s_waitcnt lgkmcnt(0)
	; wave barrier
	s_waitcnt lgkmcnt(0)
	ds_read_b128 v[2:5], v232 offset:592
	buffer_load_dword v86, off, s[0:3], 0 offset:88
	buffer_load_dword v87, off, s[0:3], 0 offset:92
	;; [unrolled: 1-line block ×16, first 2 shown]
	v_cmp_lt_u32_e32 vcc, 10, v0
	s_waitcnt vmcnt(12) lgkmcnt(0)
	v_mul_f32_e32 v6, v2, v94
	v_fmac_f32_e32 v6, v3, v1
	s_waitcnt vmcnt(10)
	v_mul_f32_e32 v7, v4, v105
	v_add_f32_e32 v6, 0, v6
	v_fmac_f32_e32 v7, v5, v88
	v_add_f32_e32 v10, v6, v7
	ds_read_b128 v[6:9], v232 offset:608
	v_mul_f32_e32 v3, v3, v94
	v_fma_f32 v1, v2, v1, -v3
	v_mul_f32_e32 v2, v5, v105
	v_add_f32_e32 v1, 0, v1
	s_waitcnt vmcnt(8) lgkmcnt(0)
	v_mul_f32_e32 v11, v6, v107
	v_fmac_f32_e32 v11, v7, v90
	v_add_f32_e32 v10, v10, v11
	s_waitcnt vmcnt(6)
	v_mul_f32_e32 v11, v8, v109
	v_fmac_f32_e32 v11, v9, v104
	v_add_f32_e32 v14, v10, v11
	ds_read_b128 v[10:13], v232 offset:624
	v_fma_f32 v2, v4, v88, -v2
	v_add_f32_e32 v1, v1, v2
	v_mul_f32_e32 v2, v7, v107
	v_fma_f32 v2, v6, v90, -v2
	s_waitcnt vmcnt(4) lgkmcnt(0)
	v_mul_f32_e32 v15, v10, v111
	v_fmac_f32_e32 v15, v11, v106
	v_add_f32_e32 v14, v14, v15
	s_waitcnt vmcnt(2)
	v_mul_f32_e32 v15, v12, v112
	v_fmac_f32_e32 v15, v13, v108
	v_add_f32_e32 v18, v14, v15
	ds_read_b128 v[14:17], v232 offset:640
	buffer_load_dword v114, off, s[0:3], 0 offset:152
	buffer_load_dword v115, off, s[0:3], 0 offset:156
	v_add_f32_e32 v1, v1, v2
	v_mul_f32_e32 v2, v9, v109
	v_fma_f32 v2, v8, v104, -v2
	s_waitcnt vmcnt(2) lgkmcnt(0)
	v_mul_f32_e32 v19, v14, v113
	v_fmac_f32_e32 v19, v15, v110
	v_add_f32_e32 v18, v18, v19
	v_add_f32_e32 v1, v1, v2
	v_mul_f32_e32 v2, v11, v111
	v_fma_f32 v2, v10, v106, -v2
	v_add_f32_e32 v1, v1, v2
	v_mul_f32_e32 v2, v13, v112
	v_fma_f32 v2, v12, v108, -v2
	;; [unrolled: 3-line block ×3, first 2 shown]
	v_add_f32_e32 v1, v1, v2
	s_waitcnt vmcnt(0)
	v_mul_f32_e32 v19, v16, v115
	v_fmac_f32_e32 v19, v17, v114
	v_add_f32_e32 v22, v18, v19
	ds_read_b128 v[18:21], v232 offset:656
	buffer_load_dword v116, off, s[0:3], 0 offset:160
	buffer_load_dword v117, off, s[0:3], 0 offset:164
	;; [unrolled: 1-line block ×4, first 2 shown]
	v_mul_f32_e32 v2, v17, v115
	v_fma_f32 v2, v16, v114, -v2
	v_add_f32_e32 v1, v1, v2
	s_waitcnt vmcnt(2) lgkmcnt(0)
	v_mul_f32_e32 v23, v18, v117
	v_fmac_f32_e32 v23, v19, v116
	v_add_f32_e32 v22, v22, v23
	s_waitcnt vmcnt(0)
	v_mul_f32_e32 v23, v20, v119
	v_fmac_f32_e32 v23, v21, v118
	v_add_f32_e32 v26, v22, v23
	ds_read_b128 v[22:25], v232 offset:672
	buffer_load_dword v120, off, s[0:3], 0 offset:176
	buffer_load_dword v121, off, s[0:3], 0 offset:180
	;; [unrolled: 1-line block ×4, first 2 shown]
	v_mul_f32_e32 v2, v19, v117
	v_fma_f32 v2, v18, v116, -v2
	v_add_f32_e32 v1, v1, v2
	v_mul_f32_e32 v2, v21, v119
	v_fma_f32 v2, v20, v118, -v2
	v_add_f32_e32 v1, v1, v2
	s_waitcnt vmcnt(2) lgkmcnt(0)
	v_mul_f32_e32 v27, v22, v121
	v_fmac_f32_e32 v27, v23, v120
	v_add_f32_e32 v26, v26, v27
	s_waitcnt vmcnt(0)
	v_mul_f32_e32 v27, v24, v123
	v_fmac_f32_e32 v27, v25, v122
	v_add_f32_e32 v30, v26, v27
	ds_read_b128 v[26:29], v232 offset:688
	buffer_load_dword v124, off, s[0:3], 0 offset:192
	buffer_load_dword v125, off, s[0:3], 0 offset:196
	;; [unrolled: 1-line block ×4, first 2 shown]
	v_mul_f32_e32 v2, v23, v121
	v_fma_f32 v2, v22, v120, -v2
	v_add_f32_e32 v1, v1, v2
	v_mul_f32_e32 v2, v25, v123
	v_fma_f32 v2, v24, v122, -v2
	v_add_f32_e32 v1, v1, v2
	s_waitcnt vmcnt(2) lgkmcnt(0)
	v_mul_f32_e32 v31, v26, v125
	v_fmac_f32_e32 v31, v27, v124
	v_add_f32_e32 v30, v30, v31
	s_waitcnt vmcnt(0)
	v_mul_f32_e32 v31, v28, v127
	v_fmac_f32_e32 v31, v29, v126
	v_add_f32_e32 v34, v30, v31
	ds_read_b128 v[30:33], v232 offset:704
	buffer_load_dword v128, off, s[0:3], 0 offset:208
	buffer_load_dword v129, off, s[0:3], 0 offset:212
	buffer_load_dword v130, off, s[0:3], 0 offset:216
	buffer_load_dword v131, off, s[0:3], 0 offset:220
	ds_read_b128 v[38:41], v232 offset:720
	buffer_load_dword v132, off, s[0:3], 0 offset:224
	buffer_load_dword v133, off, s[0:3], 0 offset:228
	buffer_load_dword v134, off, s[0:3], 0 offset:232
	buffer_load_dword v135, off, s[0:3], 0 offset:236
	;; [unrolled: 5-line block ×13, first 2 shown]
	v_mul_f32_e32 v2, v27, v125
	v_fma_f32 v2, v26, v124, -v2
	v_add_f32_e32 v1, v1, v2
	v_mul_f32_e32 v2, v29, v127
	v_fma_f32 v2, v28, v126, -v2
	v_add_f32_e32 v1, v1, v2
	s_waitcnt vmcnt(50) lgkmcnt(12)
	v_mul_f32_e32 v35, v30, v129
	v_fmac_f32_e32 v35, v31, v128
	v_add_f32_e32 v34, v34, v35
	s_waitcnt vmcnt(48)
	v_mul_f32_e32 v35, v32, v131
	v_fmac_f32_e32 v35, v33, v130
	v_add_f32_e32 v34, v34, v35
	s_waitcnt vmcnt(46) lgkmcnt(11)
	v_mul_f32_e32 v35, v38, v133
	v_fmac_f32_e32 v35, v39, v132
	v_add_f32_e32 v34, v34, v35
	s_waitcnt vmcnt(44)
	v_mul_f32_e32 v35, v40, v135
	v_fmac_f32_e32 v35, v41, v134
	v_add_f32_e32 v34, v34, v35
	s_waitcnt vmcnt(42) lgkmcnt(10)
	v_mul_f32_e32 v35, v42, v137
	v_fmac_f32_e32 v35, v43, v136
	v_add_f32_e32 v34, v34, v35
	s_waitcnt vmcnt(40)
	v_mul_f32_e32 v35, v44, v139
	v_fmac_f32_e32 v35, v45, v138
	v_add_f32_e32 v34, v34, v35
	s_waitcnt vmcnt(38) lgkmcnt(9)
	v_mul_f32_e32 v35, v46, v141
	v_fmac_f32_e32 v35, v47, v140
	v_add_f32_e32 v34, v34, v35
	s_waitcnt vmcnt(36)
	v_mul_f32_e32 v35, v48, v143
	v_fmac_f32_e32 v35, v49, v142
	v_add_f32_e32 v34, v34, v35
	s_waitcnt vmcnt(34) lgkmcnt(8)
	v_mul_f32_e32 v35, v50, v145
	v_fmac_f32_e32 v35, v51, v144
	v_add_f32_e32 v34, v34, v35
	s_waitcnt vmcnt(32)
	v_mul_f32_e32 v35, v52, v147
	v_fmac_f32_e32 v35, v53, v146
	v_add_f32_e32 v34, v34, v35
	s_waitcnt vmcnt(30) lgkmcnt(7)
	v_mul_f32_e32 v35, v54, v149
	v_fmac_f32_e32 v35, v55, v148
	v_add_f32_e32 v34, v34, v35
	s_waitcnt vmcnt(28)
	v_mul_f32_e32 v35, v56, v151
	v_fmac_f32_e32 v35, v57, v150
	v_add_f32_e32 v34, v34, v35
	s_waitcnt vmcnt(26) lgkmcnt(6)
	v_mul_f32_e32 v35, v58, v153
	v_fmac_f32_e32 v35, v59, v152
	v_add_f32_e32 v34, v34, v35
	s_waitcnt vmcnt(24)
	v_mul_f32_e32 v35, v60, v155
	v_fmac_f32_e32 v35, v61, v154
	v_add_f32_e32 v34, v34, v35
	s_waitcnt vmcnt(22) lgkmcnt(5)
	v_mul_f32_e32 v35, v62, v157
	v_fmac_f32_e32 v35, v63, v156
	v_add_f32_e32 v34, v34, v35
	s_waitcnt vmcnt(20)
	v_mul_f32_e32 v35, v64, v159
	v_fmac_f32_e32 v35, v65, v158
	v_add_f32_e32 v34, v34, v35
	s_waitcnt vmcnt(18) lgkmcnt(4)
	v_mul_f32_e32 v35, v66, v161
	v_fmac_f32_e32 v35, v67, v160
	v_add_f32_e32 v34, v34, v35
	s_waitcnt vmcnt(16)
	v_mul_f32_e32 v35, v68, v163
	v_fmac_f32_e32 v35, v69, v162
	v_add_f32_e32 v34, v34, v35
	s_waitcnt vmcnt(14) lgkmcnt(3)
	v_mul_f32_e32 v35, v70, v165
	v_fmac_f32_e32 v35, v71, v164
	v_add_f32_e32 v34, v34, v35
	s_waitcnt vmcnt(12)
	v_mul_f32_e32 v35, v72, v167
	v_fmac_f32_e32 v35, v73, v166
	v_add_f32_e32 v34, v34, v35
	s_waitcnt vmcnt(10) lgkmcnt(2)
	v_mul_f32_e32 v35, v74, v169
	v_fmac_f32_e32 v35, v75, v168
	v_add_f32_e32 v34, v34, v35
	s_waitcnt vmcnt(8)
	v_mul_f32_e32 v35, v76, v171
	v_fmac_f32_e32 v35, v77, v170
	v_add_f32_e32 v34, v34, v35
	s_waitcnt vmcnt(6) lgkmcnt(1)
	v_mul_f32_e32 v35, v78, v173
	v_fmac_f32_e32 v35, v79, v172
	v_add_f32_e32 v34, v34, v35
	s_waitcnt vmcnt(4)
	v_mul_f32_e32 v35, v80, v175
	v_fmac_f32_e32 v35, v81, v174
	v_add_f32_e32 v34, v34, v35
	s_waitcnt vmcnt(2) lgkmcnt(0)
	v_mul_f32_e32 v35, v82, v177
	v_fmac_f32_e32 v35, v83, v176
	v_add_f32_e32 v89, v34, v35
	ds_read_b128 v[34:37], v232 offset:912
	buffer_load_dword v233, off, s[0:3], 0 offset:416
	buffer_load_dword v234, off, s[0:3], 0 offset:420
	;; [unrolled: 1-line block ×18, first 2 shown]
	v_mul_f32_e32 v2, v31, v129
	v_fma_f32 v2, v30, v128, -v2
	v_add_f32_e32 v1, v1, v2
	v_mul_f32_e32 v2, v33, v131
	v_fma_f32 v2, v32, v130, -v2
	v_add_f32_e32 v1, v1, v2
	;; [unrolled: 3-line block ×24, first 2 shown]
	v_mul_f32_e32 v2, v83, v177
	v_fma_f32 v2, v82, v176, -v2
	s_waitcnt vmcnt(15)
	v_mov_b32_e32 v18, v93
	v_mul_f32_e32 v91, v84, v179
	v_add_f32_e32 v88, v1, v2
	v_mul_f32_e32 v1, v85, v179
	s_waitcnt lgkmcnt(0)
	v_pk_mul_f32 v[18:19], v[36:37], v[18:19] op_sel_hi:[1,0]
	v_fmac_f32_e32 v91, v85, v178
	v_mul_f32_e32 v95, v34, v234
	v_fma_f32 v90, v84, v178, -v1
	v_mul_f32_e32 v1, v35, v234
	ds_read_b128 v[2:5], v232 offset:928
	ds_read_b128 v[6:9], v232 offset:944
	;; [unrolled: 1-line block ×3, first 2 shown]
	ds_read_b64 v[14:15], v232 offset:976
	s_waitcnt vmcnt(14)
	v_pk_fma_f32 v[20:21], v[36:37], v[92:93], v[18:19] op_sel:[0,0,1] op_sel_hi:[1,1,0] neg_lo:[0,0,1] neg_hi:[0,0,1]
	v_pk_fma_f32 v[18:19], v[36:37], v[92:93], v[18:19] op_sel:[0,0,1] op_sel_hi:[1,0,0]
	v_fmac_f32_e32 v95, v35, v233
	v_fma_f32 v94, v34, v233, -v1
	v_pk_add_f32 v[16:17], v[88:89], v[90:91]
	s_waitcnt vmcnt(13)
	v_mov_b32_e32 v18, v231
	v_pk_add_f32 v[16:17], v[16:17], v[94:95]
	v_mov_b32_e32 v21, v19
	s_waitcnt lgkmcnt(3)
	v_pk_mul_f32 v[18:19], v[2:3], v[18:19] op_sel_hi:[1,0]
	v_pk_add_f32 v[16:17], v[16:17], v[20:21]
	s_waitcnt vmcnt(12)
	v_pk_fma_f32 v[20:21], v[2:3], v[230:231], v[18:19] op_sel:[0,0,1] op_sel_hi:[1,1,0] neg_lo:[0,0,1] neg_hi:[0,0,1]
	v_pk_fma_f32 v[2:3], v[2:3], v[230:231], v[18:19] op_sel:[0,0,1] op_sel_hi:[1,0,0]
	v_mov_b32_e32 v21, v3
	v_pk_add_f32 v[2:3], v[16:17], v[20:21]
	s_waitcnt vmcnt(11)
	v_mov_b32_e32 v16, v229
	v_pk_mul_f32 v[16:17], v[4:5], v[16:17] op_sel_hi:[1,0]
	s_waitcnt vmcnt(10)
	v_pk_fma_f32 v[18:19], v[4:5], v[228:229], v[16:17] op_sel:[0,0,1] op_sel_hi:[1,1,0] neg_lo:[0,0,1] neg_hi:[0,0,1]
	v_pk_fma_f32 v[4:5], v[4:5], v[228:229], v[16:17] op_sel:[0,0,1] op_sel_hi:[1,0,0]
	s_waitcnt vmcnt(9)
	v_mov_b32_e32 v4, v227
	v_mov_b32_e32 v19, v5
	s_waitcnt lgkmcnt(2)
	v_pk_mul_f32 v[4:5], v[6:7], v[4:5] op_sel_hi:[1,0]
	s_waitcnt vmcnt(8)
	v_pk_fma_f32 v[16:17], v[6:7], v[226:227], v[4:5] op_sel:[0,0,1] op_sel_hi:[1,1,0] neg_lo:[0,0,1] neg_hi:[0,0,1]
	v_pk_fma_f32 v[4:5], v[6:7], v[226:227], v[4:5] op_sel:[0,0,1] op_sel_hi:[1,0,0]
	s_waitcnt vmcnt(7)
	v_mov_b32_e32 v4, v225
	v_mov_b32_e32 v17, v5
	v_pk_mul_f32 v[4:5], v[8:9], v[4:5] op_sel_hi:[1,0]
	s_waitcnt vmcnt(6)
	v_pk_fma_f32 v[6:7], v[8:9], v[224:225], v[4:5] op_sel:[0,0,1] op_sel_hi:[1,1,0] neg_lo:[0,0,1] neg_hi:[0,0,1]
	v_pk_fma_f32 v[4:5], v[8:9], v[224:225], v[4:5] op_sel:[0,0,1] op_sel_hi:[1,0,0]
	v_pk_add_f32 v[2:3], v[2:3], v[18:19]
	s_waitcnt vmcnt(5)
	v_mov_b32_e32 v4, v101
	v_pk_add_f32 v[2:3], v[2:3], v[16:17]
	v_mov_b32_e32 v7, v5
	s_waitcnt lgkmcnt(1)
	v_pk_mul_f32 v[4:5], v[10:11], v[4:5] op_sel_hi:[1,0]
	v_pk_add_f32 v[2:3], v[2:3], v[6:7]
	s_waitcnt vmcnt(4)
	v_pk_fma_f32 v[6:7], v[10:11], v[100:101], v[4:5] op_sel:[0,0,1] op_sel_hi:[1,1,0] neg_lo:[0,0,1] neg_hi:[0,0,1]
	v_pk_fma_f32 v[4:5], v[10:11], v[100:101], v[4:5] op_sel:[0,0,1] op_sel_hi:[1,0,0]
	s_waitcnt vmcnt(3)
	v_mov_b32_e32 v4, v99
	v_mov_b32_e32 v7, v5
	v_pk_mul_f32 v[4:5], v[12:13], v[4:5] op_sel_hi:[1,0]
	v_pk_add_f32 v[2:3], v[2:3], v[6:7]
	s_waitcnt vmcnt(2)
	v_pk_fma_f32 v[6:7], v[12:13], v[98:99], v[4:5] op_sel:[0,0,1] op_sel_hi:[1,1,0] neg_lo:[0,0,1] neg_hi:[0,0,1]
	v_pk_fma_f32 v[4:5], v[12:13], v[98:99], v[4:5] op_sel:[0,0,1] op_sel_hi:[1,0,0]
	s_waitcnt vmcnt(1)
	v_mov_b32_e32 v4, v97
	v_mov_b32_e32 v7, v5
	s_waitcnt lgkmcnt(0)
	v_pk_mul_f32 v[4:5], v[14:15], v[4:5] op_sel_hi:[1,0]
	v_pk_add_f32 v[2:3], v[2:3], v[6:7]
	s_waitcnt vmcnt(0)
	v_pk_fma_f32 v[6:7], v[14:15], v[96:97], v[4:5] op_sel:[0,0,1] op_sel_hi:[1,1,0] neg_lo:[0,0,1] neg_hi:[0,0,1]
	v_pk_fma_f32 v[4:5], v[14:15], v[96:97], v[4:5] op_sel:[0,0,1] op_sel_hi:[1,0,0]
	v_mov_b32_e32 v7, v5
	v_pk_add_f32 v[2:3], v[2:3], v[6:7]
	v_pk_add_f32 v[2:3], v[86:87], v[2:3] neg_lo:[0,1] neg_hi:[0,1]
	buffer_store_dword v3, off, s[0:3], 0 offset:92
	buffer_store_dword v2, off, s[0:3], 0 offset:88
	s_and_saveexec_b64 s[4:5], vcc
	s_cbranch_execz .LBB60_359
; %bb.358:
	buffer_load_dword v2, off, s[0:3], 0 offset:80
	buffer_load_dword v3, off, s[0:3], 0 offset:84
	s_waitcnt vmcnt(0)
	ds_write_b64 v199, v[2:3]
	buffer_store_dword v232, off, s[0:3], 0 offset:80
	buffer_store_dword v232, off, s[0:3], 0 offset:84
.LBB60_359:
	s_or_b64 exec, exec, s[4:5]
	s_waitcnt lgkmcnt(0)
	; wave barrier
	s_waitcnt lgkmcnt(0)
	buffer_load_dword v40, off, s[0:3], 0 offset:92
	buffer_load_dword v39, off, s[0:3], 0 offset:100
	;; [unrolled: 1-line block ×32, first 2 shown]
	ds_read2_b64 v[22:25], v232 offset0:73 offset1:74
	ds_read2_b64 v[18:21], v232 offset0:75 offset1:76
	;; [unrolled: 1-line block ×6, first 2 shown]
	buffer_load_dword v142, off, s[0:3], 0 offset:208
	buffer_load_dword v143, off, s[0:3], 0 offset:212
	;; [unrolled: 1-line block ×20, first 2 shown]
	v_cmp_lt_u32_e32 vcc, 9, v0
	s_waitcnt vmcnt(51) lgkmcnt(5)
	v_mul_f32_e32 v26, v22, v40
	s_waitcnt vmcnt(50)
	v_mul_f32_e32 v27, v24, v39
	s_waitcnt vmcnt(49) lgkmcnt(4)
	v_mul_f32_e32 v29, v20, v38
	s_waitcnt vmcnt(48) lgkmcnt(3)
	v_mul_f32_e32 v30, v14, v37
	s_waitcnt vmcnt(47)
	v_mul_f32_e32 v31, v16, v36
	s_waitcnt vmcnt(46) lgkmcnt(2)
	v_mul_f32_e32 v32, v10, v1
	s_waitcnt vmcnt(45)
	v_mul_f32_e32 v28, v18, v41
	s_waitcnt vmcnt(44)
	v_mul_f32_e32 v33, v12, v42
	s_waitcnt vmcnt(43) lgkmcnt(1)
	v_mul_f32_e32 v47, v6, v43
	s_waitcnt vmcnt(42)
	v_mul_f32_e32 v48, v8, v44
	s_waitcnt vmcnt(41) lgkmcnt(0)
	v_mul_f32_e32 v49, v2, v45
	s_waitcnt vmcnt(40)
	v_mul_f32_e32 v50, v4, v46
	s_waitcnt vmcnt(39)
	v_fmac_f32_e32 v28, v19, v108
	s_waitcnt vmcnt(38)
	v_fmac_f32_e32 v27, v25, v110
	;; [unrolled: 2-line block ×3, first 2 shown]
	v_add_f32_e32 v26, 0, v26
	v_add_f32_e32 v26, v26, v27
	;; [unrolled: 1-line block ×3, first 2 shown]
	s_waitcnt vmcnt(33)
	v_fmac_f32_e32 v29, v21, v130
	v_fmac_f32_e32 v30, v15, v129
	v_add_f32_e32 v26, v26, v29
	v_fmac_f32_e32 v31, v17, v128
	v_add_f32_e32 v26, v26, v30
	v_fmac_f32_e32 v32, v11, v127
	v_add_f32_e32 v26, v26, v31
	s_waitcnt vmcnt(29)
	v_fmac_f32_e32 v33, v13, v134
	v_add_f32_e32 v26, v26, v32
	v_fmac_f32_e32 v47, v7, v133
	v_add_f32_e32 v26, v26, v33
	;; [unrolled: 2-line block ×4, first 2 shown]
	v_add_f32_e32 v30, v26, v49
	ds_read2_b64 v[26:29], v232 offset0:85 offset1:86
	buffer_load_dword v162, off, s[0:3], 0 offset:288
	buffer_load_dword v163, off, s[0:3], 0 offset:292
	;; [unrolled: 1-line block ×4, first 2 shown]
	s_waitcnt vmcnt(28)
	v_fmac_f32_e32 v50, v5, v139
	v_add_f32_e32 v47, v30, v50
	ds_read2_b64 v[30:33], v232 offset0:87 offset1:88
	buffer_load_dword v166, off, s[0:3], 0 offset:304
	buffer_load_dword v167, off, s[0:3], 0 offset:308
	;; [unrolled: 1-line block ×12, first 2 shown]
	s_waitcnt vmcnt(39) lgkmcnt(1)
	v_mul_f32_e32 v48, v26, v140
	v_fmac_f32_e32 v48, v27, v138
	buffer_load_dword v178, off, s[0:3], 0 offset:352
	buffer_load_dword v179, off, s[0:3], 0 offset:356
	v_add_f32_e32 v47, v47, v48
	s_waitcnt vmcnt(40)
	v_mul_f32_e32 v48, v28, v141
	v_fmac_f32_e32 v48, v29, v137
	buffer_load_dword v224, off, s[0:3], 0 offset:360
	buffer_load_dword v225, off, s[0:3], 0 offset:364
	v_add_f32_e32 v47, v47, v48
	s_waitcnt lgkmcnt(0)
	v_mul_f32_e32 v48, v30, v136
	v_fmac_f32_e32 v48, v31, v135
	v_add_f32_e32 v47, v47, v48
	ds_read2_b64 v[48:51], v232 offset0:89 offset1:90
	buffer_load_dword v226, off, s[0:3], 0 offset:368
	buffer_load_dword v227, off, s[0:3], 0 offset:372
	s_waitcnt vmcnt(40)
	v_mul_f32_e32 v52, v32, v143
	v_fmac_f32_e32 v52, v33, v142
	v_add_f32_e32 v47, v47, v52
	ds_read2_b64 v[52:55], v232 offset0:91 offset1:92
	buffer_load_dword v228, off, s[0:3], 0 offset:376
	buffer_load_dword v229, off, s[0:3], 0 offset:380
	buffer_load_dword v230, off, s[0:3], 0 offset:384
	buffer_load_dword v231, off, s[0:3], 0 offset:388
	buffer_load_dword v233, off, s[0:3], 0 offset:392
	buffer_load_dword v234, off, s[0:3], 0 offset:396
	buffer_load_dword v235, off, s[0:3], 0 offset:400
	buffer_load_dword v236, off, s[0:3], 0 offset:404
	s_waitcnt vmcnt(46) lgkmcnt(1)
	v_mul_f32_e32 v56, v48, v145
	v_fmac_f32_e32 v56, v49, v144
	v_add_f32_e32 v47, v47, v56
	s_waitcnt vmcnt(44)
	v_mul_f32_e32 v56, v50, v147
	v_fmac_f32_e32 v56, v51, v146
	v_add_f32_e32 v47, v47, v56
	s_waitcnt vmcnt(42) lgkmcnt(0)
	v_mul_f32_e32 v56, v52, v149
	v_fmac_f32_e32 v56, v53, v148
	v_add_f32_e32 v47, v47, v56
	buffer_load_dword v237, off, s[0:3], 0 offset:408
	buffer_load_dword v238, off, s[0:3], 0 offset:412
	;; [unrolled: 1-line block ×4, first 2 shown]
	ds_read2_b64 v[56:59], v232 offset0:93 offset1:94
	s_waitcnt vmcnt(44)
	v_mul_f32_e32 v60, v54, v151
	v_fmac_f32_e32 v60, v55, v150
	v_add_f32_e32 v47, v47, v60
	ds_read2_b64 v[60:63], v232 offset0:95 offset1:96
	s_waitcnt vmcnt(42) lgkmcnt(1)
	v_mul_f32_e32 v64, v56, v153
	v_fmac_f32_e32 v64, v57, v152
	v_add_f32_e32 v47, v47, v64
	s_waitcnt vmcnt(40)
	v_mul_f32_e32 v64, v58, v155
	v_fmac_f32_e32 v64, v59, v154
	v_add_f32_e32 v47, v47, v64
	s_waitcnt vmcnt(38) lgkmcnt(0)
	v_mul_f32_e32 v64, v60, v157
	v_fmac_f32_e32 v64, v61, v156
	v_add_f32_e32 v47, v47, v64
	ds_read2_b64 v[64:67], v232 offset0:97 offset1:98
	s_waitcnt vmcnt(36)
	v_mul_f32_e32 v68, v62, v159
	v_fmac_f32_e32 v68, v63, v158
	v_add_f32_e32 v47, v47, v68
	ds_read2_b64 v[68:71], v232 offset0:99 offset1:100
	s_waitcnt vmcnt(34) lgkmcnt(1)
	v_mul_f32_e32 v72, v64, v161
	v_fmac_f32_e32 v72, v65, v160
	v_add_f32_e32 v47, v47, v72
	v_mul_f32_e32 v23, v23, v40
	v_fma_f32 v22, v22, v126, -v23
	v_mul_f32_e32 v23, v25, v39
	v_add_f32_e32 v22, 0, v22
	v_fma_f32 v23, v24, v110, -v23
	v_mul_f32_e32 v19, v19, v41
	v_add_f32_e32 v22, v22, v23
	;; [unrolled: 3-line block ×5, first 2 shown]
	s_waitcnt vmcnt(32)
	v_mul_f32_e32 v72, v66, v163
	v_fmac_f32_e32 v72, v67, v162
	v_add_f32_e32 v47, v47, v72
	s_waitcnt vmcnt(30) lgkmcnt(0)
	v_mul_f32_e32 v72, v68, v165
	v_fmac_f32_e32 v72, v69, v164
	v_add_f32_e32 v47, v47, v72
	ds_read2_b64 v[72:75], v232 offset0:101 offset1:102
	s_waitcnt vmcnt(28)
	v_mul_f32_e32 v76, v70, v167
	v_fmac_f32_e32 v76, v71, v166
	v_add_f32_e32 v47, v47, v76
	ds_read2_b64 v[76:79], v232 offset0:103 offset1:104
	s_waitcnt vmcnt(26) lgkmcnt(1)
	v_mul_f32_e32 v80, v72, v169
	v_fmac_f32_e32 v80, v73, v168
	v_add_f32_e32 v47, v47, v80
	s_waitcnt vmcnt(24)
	v_mul_f32_e32 v80, v74, v171
	v_fmac_f32_e32 v80, v75, v170
	v_add_f32_e32 v47, v47, v80
	s_waitcnt vmcnt(22) lgkmcnt(0)
	v_mul_f32_e32 v80, v76, v173
	v_fmac_f32_e32 v80, v77, v172
	v_add_f32_e32 v47, v47, v80
	ds_read2_b64 v[80:83], v232 offset0:105 offset1:106
	s_waitcnt vmcnt(20)
	v_mul_f32_e32 v84, v78, v175
	v_fmac_f32_e32 v84, v79, v174
	v_add_f32_e32 v47, v47, v84
	ds_read2_b64 v[84:87], v232 offset0:107 offset1:108
	s_waitcnt vmcnt(18) lgkmcnt(1)
	v_mul_f32_e32 v88, v80, v177
	v_fmac_f32_e32 v88, v81, v176
	v_add_f32_e32 v47, v47, v88
	s_waitcnt vmcnt(16)
	v_mul_f32_e32 v88, v82, v179
	v_fmac_f32_e32 v88, v83, v178
	v_add_f32_e32 v47, v47, v88
	s_waitcnt vmcnt(14) lgkmcnt(0)
	v_mul_f32_e32 v88, v84, v225
	v_fmac_f32_e32 v88, v85, v224
	v_add_f32_e32 v47, v47, v88
	ds_read2_b64 v[88:91], v232 offset0:109 offset1:110
	s_waitcnt vmcnt(12)
	v_mul_f32_e32 v92, v86, v227
	v_fmac_f32_e32 v92, v87, v226
	v_add_f32_e32 v47, v47, v92
	ds_read2_b64 v[92:95], v232 offset0:111 offset1:112
	buffer_load_dword v101, off, s[0:3], 0 offset:428
	buffer_load_dword v100, off, s[0:3], 0 offset:424
	s_waitcnt vmcnt(12) lgkmcnt(1)
	v_mul_f32_e32 v96, v88, v229
	v_fmac_f32_e32 v96, v89, v228
	v_add_f32_e32 v47, v47, v96
	s_waitcnt vmcnt(10)
	v_mul_f32_e32 v96, v90, v231
	v_fmac_f32_e32 v96, v91, v230
	v_add_f32_e32 v47, v47, v96
	s_waitcnt vmcnt(8) lgkmcnt(0)
	v_mul_f32_e32 v96, v92, v234
	v_fmac_f32_e32 v96, v93, v233
	s_waitcnt vmcnt(6)
	v_mul_f32_e32 v104, v94, v236
	v_add_f32_e32 v47, v47, v96
	v_fmac_f32_e32 v104, v95, v235
	ds_read2_b64 v[96:99], v232 offset0:113 offset1:114
	v_add_f32_e32 v47, v47, v104
	ds_read2_b64 v[104:107], v232 offset0:115 offset1:116
	buffer_load_dword v113, off, s[0:3], 0 offset:460
	buffer_load_dword v112, off, s[0:3], 0 offset:456
	;; [unrolled: 1-line block ×14, first 2 shown]
	v_fma_f32 v15, v16, v128, -v15
	v_mul_f32_e32 v1, v11, v1
	v_add_f32_e32 v14, v14, v15
	v_fma_f32 v1, v10, v127, -v1
	v_mul_f32_e32 v10, v13, v42
	v_add_f32_e32 v1, v14, v1
	;; [unrolled: 3-line block ×3, first 2 shown]
	v_fma_f32 v6, v6, v133, -v7
	v_add_f32_e32 v1, v1, v6
	v_mul_f32_e32 v6, v9, v44
	v_fma_f32 v6, v8, v132, -v6
	v_mul_f32_e32 v3, v3, v45
	v_add_f32_e32 v1, v1, v6
	v_fma_f32 v2, v2, v131, -v3
	v_add_f32_e32 v1, v1, v2
	v_mul_f32_e32 v2, v5, v46
	v_fma_f32 v2, v4, v139, -v2
	v_add_f32_e32 v1, v1, v2
	v_mul_f32_e32 v2, v27, v140
	;; [unrolled: 3-line block ×29, first 2 shown]
	v_fma_f32 v2, v94, v235, -v2
	s_waitcnt vmcnt(15)
	v_mov_b32_e32 v16, v101
	s_waitcnt lgkmcnt(1)
	v_mul_f32_e32 v109, v96, v238
	v_add_f32_e32 v46, v1, v2
	v_mul_f32_e32 v1, v97, v238
	s_waitcnt lgkmcnt(0)
	v_pk_mul_f32 v[16:17], v[104:105], v[16:17] op_sel_hi:[1,0]
	v_fmac_f32_e32 v109, v97, v237
	v_mul_f32_e32 v111, v98, v240
	v_fma_f32 v108, v96, v237, -v1
	v_mul_f32_e32 v1, v99, v240
	s_waitcnt vmcnt(14)
	v_pk_fma_f32 v[18:19], v[104:105], v[100:101], v[16:17] op_sel:[0,0,1] op_sel_hi:[1,1,0] neg_lo:[0,0,1] neg_hi:[0,0,1]
	v_pk_fma_f32 v[16:17], v[104:105], v[100:101], v[16:17] op_sel:[0,0,1] op_sel_hi:[1,0,0]
	v_fmac_f32_e32 v111, v99, v239
	v_fma_f32 v110, v98, v239, -v1
	v_pk_add_f32 v[14:15], v[46:47], v[108:109]
	s_waitcnt vmcnt(7)
	v_mov_b32_e32 v16, v119
	ds_read2_b64 v[2:5], v232 offset0:117 offset1:118
	ds_read2_b64 v[6:9], v232 offset0:119 offset1:120
	;; [unrolled: 1-line block ×3, first 2 shown]
	v_pk_add_f32 v[14:15], v[14:15], v[110:111]
	v_mov_b32_e32 v19, v17
	v_pk_mul_f32 v[16:17], v[106:107], v[16:17] op_sel_hi:[1,0]
	v_pk_add_f32 v[14:15], v[14:15], v[18:19]
	s_waitcnt vmcnt(6)
	v_pk_fma_f32 v[18:19], v[106:107], v[118:119], v[16:17] op_sel:[0,0,1] op_sel_hi:[1,1,0] neg_lo:[0,0,1] neg_hi:[0,0,1]
	v_pk_fma_f32 v[16:17], v[106:107], v[118:119], v[16:17] op_sel:[0,0,1] op_sel_hi:[1,0,0]
	v_mov_b32_e32 v16, v117
	v_mov_b32_e32 v19, v17
	s_waitcnt lgkmcnt(2)
	v_pk_mul_f32 v[16:17], v[2:3], v[16:17] op_sel_hi:[1,0]
	v_pk_add_f32 v[14:15], v[14:15], v[18:19]
	v_pk_fma_f32 v[18:19], v[2:3], v[116:117], v[16:17] op_sel:[0,0,1] op_sel_hi:[1,1,0] neg_lo:[0,0,1] neg_hi:[0,0,1]
	v_pk_fma_f32 v[2:3], v[2:3], v[116:117], v[16:17] op_sel:[0,0,1] op_sel_hi:[1,0,0]
	v_mov_b32_e32 v19, v3
	v_pk_add_f32 v[2:3], v[14:15], v[18:19]
	v_mov_b32_e32 v14, v115
	v_pk_mul_f32 v[14:15], v[4:5], v[14:15] op_sel_hi:[1,0]
	v_pk_fma_f32 v[16:17], v[4:5], v[114:115], v[14:15] op_sel:[0,0,1] op_sel_hi:[1,1,0] neg_lo:[0,0,1] neg_hi:[0,0,1]
	v_pk_fma_f32 v[4:5], v[4:5], v[114:115], v[14:15] op_sel:[0,0,1] op_sel_hi:[1,0,0]
	v_mov_b32_e32 v4, v113
	v_mov_b32_e32 v17, v5
	s_waitcnt lgkmcnt(1)
	v_pk_mul_f32 v[4:5], v[6:7], v[4:5] op_sel_hi:[1,0]
	v_pk_fma_f32 v[14:15], v[6:7], v[112:113], v[4:5] op_sel:[0,0,1] op_sel_hi:[1,1,0] neg_lo:[0,0,1] neg_hi:[0,0,1]
	v_pk_fma_f32 v[4:5], v[6:7], v[112:113], v[4:5] op_sel:[0,0,1] op_sel_hi:[1,0,0]
	s_waitcnt vmcnt(1)
	v_mov_b32_e32 v4, v125
	v_mov_b32_e32 v15, v5
	v_pk_mul_f32 v[4:5], v[8:9], v[4:5] op_sel_hi:[1,0]
	s_waitcnt vmcnt(0)
	v_pk_fma_f32 v[6:7], v[8:9], v[124:125], v[4:5] op_sel:[0,0,1] op_sel_hi:[1,1,0] neg_lo:[0,0,1] neg_hi:[0,0,1]
	v_pk_fma_f32 v[4:5], v[8:9], v[124:125], v[4:5] op_sel:[0,0,1] op_sel_hi:[1,0,0]
	v_pk_add_f32 v[2:3], v[2:3], v[16:17]
	v_mov_b32_e32 v4, v123
	v_pk_add_f32 v[2:3], v[2:3], v[14:15]
	v_mov_b32_e32 v7, v5
	s_waitcnt lgkmcnt(0)
	v_pk_mul_f32 v[4:5], v[10:11], v[4:5] op_sel_hi:[1,0]
	v_pk_add_f32 v[2:3], v[2:3], v[6:7]
	v_pk_fma_f32 v[6:7], v[10:11], v[122:123], v[4:5] op_sel:[0,0,1] op_sel_hi:[1,1,0] neg_lo:[0,0,1] neg_hi:[0,0,1]
	v_pk_fma_f32 v[4:5], v[10:11], v[122:123], v[4:5] op_sel:[0,0,1] op_sel_hi:[1,0,0]
	v_mov_b32_e32 v4, v121
	v_mov_b32_e32 v7, v5
	v_pk_mul_f32 v[4:5], v[12:13], v[4:5] op_sel_hi:[1,0]
	v_pk_add_f32 v[2:3], v[2:3], v[6:7]
	v_pk_fma_f32 v[6:7], v[12:13], v[120:121], v[4:5] op_sel:[0,0,1] op_sel_hi:[1,1,0] neg_lo:[0,0,1] neg_hi:[0,0,1]
	v_pk_fma_f32 v[4:5], v[12:13], v[120:121], v[4:5] op_sel:[0,0,1] op_sel_hi:[1,0,0]
	v_mov_b32_e32 v7, v5
	v_pk_add_f32 v[2:3], v[2:3], v[6:7]
	v_pk_add_f32 v[2:3], v[34:35], v[2:3] neg_lo:[0,1] neg_hi:[0,1]
	buffer_store_dword v3, off, s[0:3], 0 offset:84
	buffer_store_dword v2, off, s[0:3], 0 offset:80
	s_and_saveexec_b64 s[4:5], vcc
	s_cbranch_execz .LBB60_361
; %bb.360:
	buffer_load_dword v2, off, s[0:3], 0 offset:72
	buffer_load_dword v3, off, s[0:3], 0 offset:76
	v_mov_b32_e32 v1, 0
	buffer_store_dword v1, off, s[0:3], 0 offset:72
	buffer_store_dword v1, off, s[0:3], 0 offset:76
	s_waitcnt vmcnt(2)
	ds_write_b64 v199, v[2:3]
.LBB60_361:
	s_or_b64 exec, exec, s[4:5]
	s_waitcnt lgkmcnt(0)
	; wave barrier
	s_waitcnt lgkmcnt(0)
	buffer_load_dword v45, off, s[0:3], 0 offset:84
	buffer_load_dword v44, off, s[0:3], 0 offset:92
	;; [unrolled: 1-line block ×32, first 2 shown]
	v_mov_b32_e32 v1, 0
	buffer_load_dword v143, off, s[0:3], 0 offset:200
	buffer_load_dword v144, off, s[0:3], 0 offset:204
	;; [unrolled: 1-line block ×16, first 2 shown]
	ds_read_b128 v[22:25], v1 offset:576
	ds_read_b128 v[18:21], v1 offset:592
	;; [unrolled: 1-line block ×6, first 2 shown]
	buffer_load_dword v159, off, s[0:3], 0 offset:264
	buffer_load_dword v160, off, s[0:3], 0 offset:268
	v_cmp_lt_u32_e32 vcc, 8, v0
	s_waitcnt vmcnt(49) lgkmcnt(5)
	v_mul_f32_e32 v26, v22, v45
	s_waitcnt vmcnt(48)
	v_mul_f32_e32 v27, v24, v44
	s_waitcnt vmcnt(47) lgkmcnt(4)
	v_mul_f32_e32 v29, v20, v43
	s_waitcnt vmcnt(46) lgkmcnt(3)
	v_mul_f32_e32 v30, v14, v42
	s_waitcnt vmcnt(45)
	v_mul_f32_e32 v31, v16, v41
	s_waitcnt vmcnt(44) lgkmcnt(2)
	v_mul_f32_e32 v32, v10, v40
	s_waitcnt vmcnt(43)
	v_mul_f32_e32 v28, v18, v46
	s_waitcnt vmcnt(42)
	v_mul_f32_e32 v33, v12, v47
	s_waitcnt vmcnt(41) lgkmcnt(1)
	v_mul_f32_e32 v34, v6, v48
	s_waitcnt vmcnt(40)
	v_mul_f32_e32 v35, v8, v49
	s_waitcnt vmcnt(39) lgkmcnt(0)
	v_mul_f32_e32 v36, v2, v50
	s_waitcnt vmcnt(38)
	v_mul_f32_e32 v37, v4, v51
	s_waitcnt vmcnt(37)
	v_fmac_f32_e32 v28, v19, v57
	s_waitcnt vmcnt(36)
	v_fmac_f32_e32 v27, v25, v60
	;; [unrolled: 2-line block ×3, first 2 shown]
	v_add_f32_e32 v26, 0, v26
	v_add_f32_e32 v26, v26, v27
	;; [unrolled: 1-line block ×3, first 2 shown]
	s_waitcnt vmcnt(31)
	v_fmac_f32_e32 v29, v21, v62
	v_fmac_f32_e32 v30, v15, v59
	v_add_f32_e32 v26, v26, v29
	v_fmac_f32_e32 v31, v17, v56
	v_add_f32_e32 v26, v26, v30
	;; [unrolled: 2-line block ×3, first 2 shown]
	s_waitcnt vmcnt(27)
	v_fmac_f32_e32 v33, v13, v58
	v_add_f32_e32 v26, v26, v32
	v_fmac_f32_e32 v34, v7, v55
	v_add_f32_e32 v26, v26, v33
	;; [unrolled: 2-line block ×4, first 2 shown]
	s_waitcnt vmcnt(22)
	v_fmac_f32_e32 v37, v5, v140
	v_add_f32_e32 v26, v26, v36
	v_add_f32_e32 v34, v26, v37
	ds_read_b128 v[26:29], v1 offset:672
	buffer_load_dword v161, off, s[0:3], 0 offset:272
	buffer_load_dword v162, off, s[0:3], 0 offset:276
	ds_read_b128 v[30:33], v1 offset:688
	buffer_load_dword v163, off, s[0:3], 0 offset:280
	buffer_load_dword v164, off, s[0:3], 0 offset:284
	;; [unrolled: 1-line block ×14, first 2 shown]
	s_waitcnt vmcnt(37) lgkmcnt(1)
	v_mul_f32_e32 v35, v26, v141
	v_fmac_f32_e32 v35, v27, v139
	v_add_f32_e32 v34, v34, v35
	s_waitcnt vmcnt(36)
	v_mul_f32_e32 v35, v28, v142
	v_fmac_f32_e32 v35, v29, v138
	v_add_f32_e32 v34, v34, v35
	s_waitcnt lgkmcnt(0)
	v_mul_f32_e32 v35, v30, v120
	v_fmac_f32_e32 v35, v31, v61
	v_add_f32_e32 v63, v34, v35
	buffer_load_dword v177, off, s[0:3], 0 offset:336
	buffer_load_dword v178, off, s[0:3], 0 offset:340
	ds_read_b128 v[34:37], v1 offset:704
	s_waitcnt vmcnt(34)
	v_mul_f32_e32 v64, v32, v144
	v_fmac_f32_e32 v64, v33, v143
	buffer_load_dword v179, off, s[0:3], 0 offset:344
	buffer_load_dword v224, off, s[0:3], 0 offset:348
	v_add_f32_e32 v63, v63, v64
	buffer_load_dword v225, off, s[0:3], 0 offset:352
	buffer_load_dword v226, off, s[0:3], 0 offset:356
	ds_read_b128 v[64:67], v1 offset:720
	s_waitcnt vmcnt(36) lgkmcnt(1)
	v_mul_f32_e32 v68, v34, v146
	v_fmac_f32_e32 v68, v35, v145
	v_add_f32_e32 v63, v63, v68
	s_waitcnt vmcnt(34)
	v_mul_f32_e32 v68, v36, v148
	v_fmac_f32_e32 v68, v37, v147
	v_add_f32_e32 v63, v63, v68
	s_waitcnt vmcnt(32) lgkmcnt(0)
	v_mul_f32_e32 v68, v64, v150
	v_fmac_f32_e32 v68, v65, v149
	buffer_load_dword v227, off, s[0:3], 0 offset:360
	buffer_load_dword v228, off, s[0:3], 0 offset:364
	;; [unrolled: 1-line block ×10, first 2 shown]
	v_add_f32_e32 v63, v63, v68
	buffer_load_dword v237, off, s[0:3], 0 offset:400
	buffer_load_dword v238, off, s[0:3], 0 offset:404
	;; [unrolled: 1-line block ×6, first 2 shown]
	ds_read_b128 v[68:71], v1 offset:736
	s_waitcnt vmcnt(46)
	v_mul_f32_e32 v72, v66, v152
	v_fmac_f32_e32 v72, v67, v151
	v_add_f32_e32 v63, v63, v72
	ds_read_b128 v[72:75], v1 offset:752
	s_waitcnt vmcnt(44) lgkmcnt(1)
	v_mul_f32_e32 v76, v68, v154
	v_fmac_f32_e32 v76, v69, v153
	v_add_f32_e32 v63, v63, v76
	s_waitcnt vmcnt(42)
	v_mul_f32_e32 v76, v70, v156
	v_fmac_f32_e32 v76, v71, v155
	v_add_f32_e32 v63, v63, v76
	s_waitcnt vmcnt(40) lgkmcnt(0)
	v_mul_f32_e32 v76, v72, v158
	v_fmac_f32_e32 v76, v73, v157
	v_add_f32_e32 v63, v63, v76
	ds_read_b128 v[76:79], v1 offset:768
	s_waitcnt vmcnt(38)
	v_mul_f32_e32 v80, v74, v160
	v_fmac_f32_e32 v80, v75, v159
	v_add_f32_e32 v63, v63, v80
	ds_read_b128 v[80:83], v1 offset:784
	ds_read_b128 v[104:107], v1 offset:864
	;; [unrolled: 1-line block ×5, first 2 shown]
	v_mul_f32_e32 v23, v23, v45
	v_fma_f32 v22, v22, v100, -v23
	v_mul_f32_e32 v23, v25, v44
	v_add_f32_e32 v22, 0, v22
	v_fma_f32 v23, v24, v60, -v23
	v_mul_f32_e32 v19, v19, v46
	v_add_f32_e32 v22, v22, v23
	;; [unrolled: 3-line block ×5, first 2 shown]
	s_waitcnt vmcnt(36) lgkmcnt(5)
	v_mul_f32_e32 v84, v76, v162
	v_fmac_f32_e32 v84, v77, v161
	v_add_f32_e32 v63, v63, v84
	s_waitcnt vmcnt(34)
	v_mul_f32_e32 v84, v78, v164
	v_fmac_f32_e32 v84, v79, v163
	v_add_f32_e32 v63, v63, v84
	s_waitcnt vmcnt(32) lgkmcnt(4)
	v_mul_f32_e32 v84, v80, v166
	v_fmac_f32_e32 v84, v81, v165
	v_add_f32_e32 v63, v63, v84
	ds_read_b128 v[84:87], v1 offset:800
	s_waitcnt vmcnt(30)
	v_mul_f32_e32 v88, v82, v168
	v_fmac_f32_e32 v88, v83, v167
	v_add_f32_e32 v63, v63, v88
	ds_read_b128 v[88:91], v1 offset:816
	s_waitcnt vmcnt(28) lgkmcnt(1)
	v_mul_f32_e32 v92, v84, v170
	v_fmac_f32_e32 v92, v85, v169
	v_add_f32_e32 v63, v63, v92
	s_waitcnt vmcnt(26)
	v_mul_f32_e32 v92, v86, v172
	v_fmac_f32_e32 v92, v87, v171
	v_add_f32_e32 v63, v63, v92
	s_waitcnt vmcnt(24) lgkmcnt(0)
	v_mul_f32_e32 v92, v88, v174
	v_fmac_f32_e32 v92, v89, v173
	s_waitcnt vmcnt(22)
	v_mul_f32_e32 v96, v90, v176
	v_add_f32_e32 v63, v63, v92
	v_fmac_f32_e32 v96, v91, v175
	ds_read_b128 v[92:95], v1 offset:832
	v_add_f32_e32 v63, v63, v96
	ds_read_b128 v[96:99], v1 offset:848
	buffer_load_dword v123, off, s[0:3], 0 offset:452
	buffer_load_dword v122, off, s[0:3], 0 offset:448
	buffer_load_dword v125, off, s[0:3], 0 offset:444
	buffer_load_dword v124, off, s[0:3], 0 offset:440
	buffer_load_dword v127, off, s[0:3], 0 offset:436
	buffer_load_dword v126, off, s[0:3], 0 offset:432
	buffer_load_dword v129, off, s[0:3], 0 offset:428
	buffer_load_dword v128, off, s[0:3], 0 offset:424
	buffer_load_dword v131, off, s[0:3], 0 offset:484
	buffer_load_dword v130, off, s[0:3], 0 offset:480
	buffer_load_dword v133, off, s[0:3], 0 offset:476
	buffer_load_dword v132, off, s[0:3], 0 offset:472
	buffer_load_dword v135, off, s[0:3], 0 offset:468
	buffer_load_dword v134, off, s[0:3], 0 offset:464
	buffer_load_dword v137, off, s[0:3], 0 offset:460
	buffer_load_dword v136, off, s[0:3], 0 offset:456
	v_fma_f32 v15, v16, v56, -v15
	v_mul_f32_e32 v11, v11, v40
	v_add_f32_e32 v14, v14, v15
	v_fma_f32 v10, v10, v54, -v11
	v_mul_f32_e32 v11, v13, v47
	v_add_f32_e32 v10, v14, v10
	;; [unrolled: 3-line block ×6, first 2 shown]
	v_fma_f32 v3, v4, v140, -v3
	v_add_f32_e32 v2, v2, v3
	v_mul_f32_e32 v3, v27, v141
	v_fma_f32 v3, v26, v139, -v3
	v_add_f32_e32 v2, v2, v3
	v_mul_f32_e32 v3, v29, v142
	;; [unrolled: 3-line block ×20, first 2 shown]
	v_fma_f32 v3, v90, v175, -v3
	v_add_f32_e32 v2, v2, v3
	s_waitcnt vmcnt(36) lgkmcnt(1)
	v_mul_f32_e32 v3, v93, v178
	v_mul_f32_e32 v101, v92, v178
	v_fma_f32 v3, v92, v177, -v3
	v_fmac_f32_e32 v101, v93, v177
	v_add_f32_e32 v2, v2, v3
	s_waitcnt vmcnt(34)
	v_mul_f32_e32 v3, v95, v224
	v_add_f32_e32 v63, v63, v101
	v_mul_f32_e32 v101, v94, v224
	v_fma_f32 v3, v94, v179, -v3
	v_fmac_f32_e32 v101, v95, v179
	v_add_f32_e32 v2, v2, v3
	s_waitcnt vmcnt(32) lgkmcnt(0)
	v_mul_f32_e32 v3, v97, v226
	v_add_f32_e32 v63, v63, v101
	v_mul_f32_e32 v101, v96, v226
	v_fma_f32 v3, v96, v225, -v3
	v_fmac_f32_e32 v101, v97, v225
	v_add_f32_e32 v2, v2, v3
	s_waitcnt vmcnt(30)
	v_mul_f32_e32 v3, v99, v228
	v_add_f32_e32 v63, v63, v101
	v_mul_f32_e32 v101, v98, v228
	v_fma_f32 v3, v98, v227, -v3
	v_fmac_f32_e32 v101, v99, v227
	v_add_f32_e32 v2, v2, v3
	s_waitcnt vmcnt(28)
	;; [unrolled: 7-line block ×7, first 2 shown]
	v_mul_f32_e32 v2, v115, v240
	s_waitcnt vmcnt(9)
	v_mov_b32_e32 v18, v129
	v_add_f32_e32 v63, v63, v101
	v_mul_f32_e32 v101, v114, v240
	v_fma_f32 v100, v114, v239, -v2
	v_mul_f32_e32 v2, v117, v242
	v_pk_mul_f32 v[18:19], v[118:119], v[18:19] op_sel_hi:[1,0]
	v_fmac_f32_e32 v101, v115, v239
	v_mul_f32_e32 v121, v116, v242
	v_fma_f32 v120, v116, v241, -v2
	ds_read_b128 v[2:5], v1 offset:928
	ds_read_b128 v[6:9], v1 offset:944
	;; [unrolled: 1-line block ×3, first 2 shown]
	ds_read_b64 v[14:15], v1 offset:976
	s_waitcnt vmcnt(8)
	v_pk_fma_f32 v[20:21], v[118:119], v[128:129], v[18:19] op_sel:[0,0,1] op_sel_hi:[1,1,0] neg_lo:[0,0,1] neg_hi:[0,0,1]
	v_pk_fma_f32 v[18:19], v[118:119], v[128:129], v[18:19] op_sel:[0,0,1] op_sel_hi:[1,0,0]
	v_fmac_f32_e32 v121, v117, v241
	v_pk_add_f32 v[16:17], v[62:63], v[100:101]
	v_mov_b32_e32 v18, v127
	v_pk_add_f32 v[16:17], v[16:17], v[120:121]
	v_mov_b32_e32 v21, v19
	s_waitcnt lgkmcnt(3)
	v_pk_mul_f32 v[18:19], v[2:3], v[18:19] op_sel_hi:[1,0]
	v_pk_add_f32 v[16:17], v[16:17], v[20:21]
	v_pk_fma_f32 v[20:21], v[2:3], v[126:127], v[18:19] op_sel:[0,0,1] op_sel_hi:[1,1,0] neg_lo:[0,0,1] neg_hi:[0,0,1]
	v_pk_fma_f32 v[2:3], v[2:3], v[126:127], v[18:19] op_sel:[0,0,1] op_sel_hi:[1,0,0]
	v_mov_b32_e32 v21, v3
	v_pk_add_f32 v[2:3], v[16:17], v[20:21]
	v_mov_b32_e32 v16, v125
	v_pk_mul_f32 v[16:17], v[4:5], v[16:17] op_sel_hi:[1,0]
	v_pk_fma_f32 v[18:19], v[4:5], v[124:125], v[16:17] op_sel:[0,0,1] op_sel_hi:[1,1,0] neg_lo:[0,0,1] neg_hi:[0,0,1]
	v_pk_fma_f32 v[4:5], v[4:5], v[124:125], v[16:17] op_sel:[0,0,1] op_sel_hi:[1,0,0]
	v_mov_b32_e32 v4, v123
	v_mov_b32_e32 v19, v5
	s_waitcnt lgkmcnt(2)
	v_pk_mul_f32 v[4:5], v[6:7], v[4:5] op_sel_hi:[1,0]
	v_pk_fma_f32 v[16:17], v[6:7], v[122:123], v[4:5] op_sel:[0,0,1] op_sel_hi:[1,1,0] neg_lo:[0,0,1] neg_hi:[0,0,1]
	v_pk_fma_f32 v[4:5], v[6:7], v[122:123], v[4:5] op_sel:[0,0,1] op_sel_hi:[1,0,0]
	s_waitcnt vmcnt(1)
	v_mov_b32_e32 v4, v137
	v_mov_b32_e32 v17, v5
	v_pk_mul_f32 v[4:5], v[8:9], v[4:5] op_sel_hi:[1,0]
	s_waitcnt vmcnt(0)
	v_pk_fma_f32 v[6:7], v[8:9], v[136:137], v[4:5] op_sel:[0,0,1] op_sel_hi:[1,1,0] neg_lo:[0,0,1] neg_hi:[0,0,1]
	v_pk_fma_f32 v[4:5], v[8:9], v[136:137], v[4:5] op_sel:[0,0,1] op_sel_hi:[1,0,0]
	v_pk_add_f32 v[2:3], v[2:3], v[18:19]
	v_mov_b32_e32 v4, v135
	v_pk_add_f32 v[2:3], v[2:3], v[16:17]
	v_mov_b32_e32 v7, v5
	s_waitcnt lgkmcnt(1)
	v_pk_mul_f32 v[4:5], v[10:11], v[4:5] op_sel_hi:[1,0]
	v_pk_add_f32 v[2:3], v[2:3], v[6:7]
	v_pk_fma_f32 v[6:7], v[10:11], v[134:135], v[4:5] op_sel:[0,0,1] op_sel_hi:[1,1,0] neg_lo:[0,0,1] neg_hi:[0,0,1]
	v_pk_fma_f32 v[4:5], v[10:11], v[134:135], v[4:5] op_sel:[0,0,1] op_sel_hi:[1,0,0]
	v_mov_b32_e32 v4, v133
	v_mov_b32_e32 v7, v5
	v_pk_mul_f32 v[4:5], v[12:13], v[4:5] op_sel_hi:[1,0]
	v_pk_add_f32 v[2:3], v[2:3], v[6:7]
	v_pk_fma_f32 v[6:7], v[12:13], v[132:133], v[4:5] op_sel:[0,0,1] op_sel_hi:[1,1,0] neg_lo:[0,0,1] neg_hi:[0,0,1]
	v_pk_fma_f32 v[4:5], v[12:13], v[132:133], v[4:5] op_sel:[0,0,1] op_sel_hi:[1,0,0]
	v_mov_b32_e32 v4, v131
	v_mov_b32_e32 v7, v5
	s_waitcnt lgkmcnt(0)
	v_pk_mul_f32 v[4:5], v[14:15], v[4:5] op_sel_hi:[1,0]
	v_pk_add_f32 v[2:3], v[2:3], v[6:7]
	v_pk_fma_f32 v[6:7], v[14:15], v[130:131], v[4:5] op_sel:[0,0,1] op_sel_hi:[1,1,0] neg_lo:[0,0,1] neg_hi:[0,0,1]
	v_pk_fma_f32 v[4:5], v[14:15], v[130:131], v[4:5] op_sel:[0,0,1] op_sel_hi:[1,0,0]
	v_mov_b32_e32 v7, v5
	v_pk_add_f32 v[2:3], v[2:3], v[6:7]
	v_pk_add_f32 v[2:3], v[38:39], v[2:3] neg_lo:[0,1] neg_hi:[0,1]
	buffer_store_dword v3, off, s[0:3], 0 offset:76
	buffer_store_dword v2, off, s[0:3], 0 offset:72
	s_and_saveexec_b64 s[4:5], vcc
	s_cbranch_execz .LBB60_363
; %bb.362:
	buffer_load_dword v2, off, s[0:3], 0 offset:64
	buffer_load_dword v3, off, s[0:3], 0 offset:68
	s_waitcnt vmcnt(0)
	ds_write_b64 v199, v[2:3]
	buffer_store_dword v1, off, s[0:3], 0 offset:64
	buffer_store_dword v1, off, s[0:3], 0 offset:68
.LBB60_363:
	s_or_b64 exec, exec, s[4:5]
	s_waitcnt lgkmcnt(0)
	; wave barrier
	s_waitcnt lgkmcnt(0)
	buffer_load_dword v49, off, s[0:3], 0 offset:76
	buffer_load_dword v48, off, s[0:3], 0 offset:84
	;; [unrolled: 1-line block ×32, first 2 shown]
	ds_read2_b64 v[26:29], v1 offset0:71 offset1:72
	ds_read2_b64 v[22:25], v1 offset0:73 offset1:74
	;; [unrolled: 1-line block ×4, first 2 shown]
	buffer_load_dword v143, off, s[0:3], 0 offset:192
	buffer_load_dword v144, off, s[0:3], 0 offset:196
	ds_read2_b64 v[14:17], v1 offset0:79 offset1:80
	ds_read2_b64 v[6:9], v1 offset0:81 offset1:82
	;; [unrolled: 1-line block ×3, first 2 shown]
	buffer_load_dword v145, off, s[0:3], 0 offset:200
	buffer_load_dword v146, off, s[0:3], 0 offset:204
	buffer_load_dword v147, off, s[0:3], 0 offset:208
	buffer_load_dword v148, off, s[0:3], 0 offset:212
	buffer_load_dword v149, off, s[0:3], 0 offset:216
	buffer_load_dword v150, off, s[0:3], 0 offset:220
	buffer_load_dword v151, off, s[0:3], 0 offset:224
	buffer_load_dword v152, off, s[0:3], 0 offset:228
	buffer_load_dword v153, off, s[0:3], 0 offset:232
	buffer_load_dword v154, off, s[0:3], 0 offset:236
	buffer_load_dword v155, off, s[0:3], 0 offset:240
	buffer_load_dword v156, off, s[0:3], 0 offset:244
	buffer_load_dword v157, off, s[0:3], 0 offset:248
	buffer_load_dword v158, off, s[0:3], 0 offset:252
	buffer_load_dword v159, off, s[0:3], 0 offset:256
	buffer_load_dword v160, off, s[0:3], 0 offset:260
	v_cmp_lt_u32_e32 vcc, 7, v0
	s_waitcnt vmcnt(49) lgkmcnt(6)
	v_mul_f32_e32 v30, v26, v49
	s_waitcnt vmcnt(48)
	v_mul_f32_e32 v31, v28, v48
	s_waitcnt vmcnt(47) lgkmcnt(5)
	v_mul_f32_e32 v33, v24, v47
	s_waitcnt vmcnt(46) lgkmcnt(4)
	v_mul_f32_e32 v34, v18, v46
	s_waitcnt vmcnt(45)
	v_mul_f32_e32 v35, v20, v44
	s_waitcnt vmcnt(44)
	v_mul_f32_e32 v32, v22, v50
	s_waitcnt vmcnt(43) lgkmcnt(3)
	v_mul_f32_e32 v36, v10, v45
	s_waitcnt vmcnt(42)
	v_mul_f32_e32 v37, v12, v51
	s_waitcnt vmcnt(41) lgkmcnt(2)
	;; [unrolled: 4-line block ×3, first 2 shown]
	v_mul_f32_e32 v40, v6, v54
	s_waitcnt vmcnt(38)
	v_mul_f32_e32 v41, v8, v55
	s_waitcnt vmcnt(37)
	v_fmac_f32_e32 v32, v23, v61
	s_waitcnt vmcnt(36)
	v_fmac_f32_e32 v31, v29, v64
	;; [unrolled: 2-line block ×3, first 2 shown]
	v_add_f32_e32 v30, 0, v30
	v_add_f32_e32 v30, v30, v31
	;; [unrolled: 1-line block ×3, first 2 shown]
	s_waitcnt vmcnt(31)
	v_fmac_f32_e32 v33, v25, v65
	v_fmac_f32_e32 v34, v19, v63
	v_add_f32_e32 v30, v30, v33
	v_fmac_f32_e32 v35, v21, v60
	v_add_f32_e32 v30, v30, v34
	;; [unrolled: 2-line block ×3, first 2 shown]
	s_waitcnt vmcnt(27)
	v_fmac_f32_e32 v37, v13, v62
	v_add_f32_e32 v30, v30, v36
	v_fmac_f32_e32 v38, v15, v59
	v_add_f32_e32 v30, v30, v37
	;; [unrolled: 2-line block ×4, first 2 shown]
	s_waitcnt vmcnt(23)
	v_fmac_f32_e32 v41, v9, v139
	v_add_f32_e32 v30, v30, v40
	v_add_f32_e32 v34, v30, v41
	ds_read2_b64 v[30:33], v1 offset0:85 offset1:86
	buffer_load_dword v161, off, s[0:3], 0 offset:264
	buffer_load_dword v162, off, s[0:3], 0 offset:268
	;; [unrolled: 1-line block ×16, first 2 shown]
	s_waitcnt vmcnt(38) lgkmcnt(1)
	v_mul_f32_e32 v35, v2, v140
	v_fmac_f32_e32 v35, v3, v138
	v_add_f32_e32 v34, v34, v35
	s_waitcnt vmcnt(37)
	v_mul_f32_e32 v35, v4, v141
	v_fmac_f32_e32 v35, v5, v126
	v_add_f32_e32 v34, v34, v35
	s_waitcnt vmcnt(36) lgkmcnt(0)
	v_mul_f32_e32 v35, v30, v142
	v_fmac_f32_e32 v35, v31, v66
	v_add_f32_e32 v34, v34, v35
	s_waitcnt vmcnt(32)
	v_mul_f32_e32 v35, v32, v144
	v_fmac_f32_e32 v35, v33, v143
	v_add_f32_e32 v67, v34, v35
	ds_read2_b64 v[34:37], v1 offset0:87 offset1:88
	buffer_load_dword v177, off, s[0:3], 0 offset:328
	buffer_load_dword v178, off, s[0:3], 0 offset:332
	ds_read2_b64 v[38:41], v1 offset0:89 offset1:90
	buffer_load_dword v179, off, s[0:3], 0 offset:336
	buffer_load_dword v224, off, s[0:3], 0 offset:340
	;; [unrolled: 1-line block ×4, first 2 shown]
	s_waitcnt vmcnt(36) lgkmcnt(1)
	v_mul_f32_e32 v68, v34, v146
	v_fmac_f32_e32 v68, v35, v145
	v_add_f32_e32 v67, v67, v68
	s_waitcnt vmcnt(34)
	v_mul_f32_e32 v68, v36, v148
	v_fmac_f32_e32 v68, v37, v147
	v_add_f32_e32 v67, v67, v68
	s_waitcnt vmcnt(32) lgkmcnt(0)
	v_mul_f32_e32 v68, v38, v150
	v_fmac_f32_e32 v68, v39, v149
	buffer_load_dword v227, off, s[0:3], 0 offset:352
	buffer_load_dword v228, off, s[0:3], 0 offset:356
	;; [unrolled: 1-line block ×8, first 2 shown]
	v_add_f32_e32 v67, v67, v68
	buffer_load_dword v235, off, s[0:3], 0 offset:384
	buffer_load_dword v236, off, s[0:3], 0 offset:388
	;; [unrolled: 1-line block ×4, first 2 shown]
	ds_read2_b64 v[68:71], v1 offset0:91 offset1:92
	s_waitcnt vmcnt(42)
	v_mul_f32_e32 v72, v40, v152
	v_fmac_f32_e32 v72, v41, v151
	buffer_load_dword v239, off, s[0:3], 0 offset:400
	buffer_load_dword v240, off, s[0:3], 0 offset:404
	v_add_f32_e32 v67, v67, v72
	buffer_load_dword v241, off, s[0:3], 0 offset:408
	buffer_load_dword v242, off, s[0:3], 0 offset:412
	ds_read2_b64 v[72:75], v1 offset0:93 offset1:94
	s_waitcnt vmcnt(44) lgkmcnt(1)
	v_mul_f32_e32 v76, v68, v154
	v_fmac_f32_e32 v76, v69, v153
	v_add_f32_e32 v67, v67, v76
	s_waitcnt vmcnt(42)
	v_mul_f32_e32 v76, v70, v156
	v_fmac_f32_e32 v76, v71, v155
	v_add_f32_e32 v67, v67, v76
	s_waitcnt vmcnt(40) lgkmcnt(0)
	v_mul_f32_e32 v76, v72, v158
	v_fmac_f32_e32 v76, v73, v157
	buffer_load_dword v243, off, s[0:3], 0 offset:416
	buffer_load_dword v244, off, s[0:3], 0 offset:420
	v_add_f32_e32 v67, v67, v76
	ds_read2_b64 v[76:79], v1 offset0:95 offset1:96
	s_waitcnt vmcnt(40)
	v_mul_f32_e32 v80, v74, v160
	v_fmac_f32_e32 v80, v75, v159
	v_add_f32_e32 v67, v67, v80
	ds_read2_b64 v[80:83], v1 offset0:97 offset1:98
	ds_read2_b64 v[104:107], v1 offset0:107 offset1:108
	ds_read2_b64 v[108:111], v1 offset0:109 offset1:110
	ds_read2_b64 v[112:115], v1 offset0:111 offset1:112
	ds_read2_b64 v[116:119], v1 offset0:113 offset1:114
	v_mul_f32_e32 v27, v27, v49
	v_fma_f32 v26, v26, v100, -v27
	v_mul_f32_e32 v27, v29, v48
	v_add_f32_e32 v26, 0, v26
	v_fma_f32 v27, v28, v64, -v27
	v_mul_f32_e32 v23, v23, v50
	v_add_f32_e32 v26, v26, v27
	v_fma_f32 v22, v22, v61, -v23
	v_mul_f32_e32 v23, v25, v47
	v_add_f32_e32 v22, v26, v22
	v_fma_f32 v23, v24, v65, -v23
	v_mul_f32_e32 v19, v19, v46
	v_add_f32_e32 v22, v22, v23
	v_fma_f32 v18, v18, v63, -v19
	s_waitcnt vmcnt(38) lgkmcnt(5)
	v_mul_f32_e32 v84, v76, v162
	v_fmac_f32_e32 v84, v77, v161
	v_add_f32_e32 v67, v67, v84
	s_waitcnt vmcnt(36)
	v_mul_f32_e32 v84, v78, v164
	v_fmac_f32_e32 v84, v79, v163
	v_add_f32_e32 v67, v67, v84
	s_waitcnt vmcnt(34) lgkmcnt(4)
	v_mul_f32_e32 v84, v80, v166
	v_fmac_f32_e32 v84, v81, v165
	v_add_f32_e32 v67, v67, v84
	ds_read2_b64 v[84:87], v1 offset0:99 offset1:100
	s_waitcnt vmcnt(32)
	v_mul_f32_e32 v88, v82, v168
	v_fmac_f32_e32 v88, v83, v167
	v_add_f32_e32 v67, v67, v88
	ds_read2_b64 v[88:91], v1 offset0:101 offset1:102
	s_waitcnt vmcnt(30) lgkmcnt(1)
	v_mul_f32_e32 v92, v84, v170
	v_fmac_f32_e32 v92, v85, v169
	v_add_f32_e32 v67, v67, v92
	s_waitcnt vmcnt(28)
	v_mul_f32_e32 v92, v86, v172
	v_fmac_f32_e32 v92, v87, v171
	v_add_f32_e32 v67, v67, v92
	s_waitcnt vmcnt(26) lgkmcnt(0)
	v_mul_f32_e32 v92, v88, v174
	v_fmac_f32_e32 v92, v89, v173
	s_waitcnt vmcnt(24)
	v_mul_f32_e32 v96, v90, v176
	v_add_f32_e32 v67, v67, v92
	v_fmac_f32_e32 v96, v91, v175
	ds_read2_b64 v[92:95], v1 offset0:103 offset1:104
	v_add_f32_e32 v67, v67, v96
	ds_read2_b64 v[96:99], v1 offset0:105 offset1:106
	buffer_load_dword v121, off, s[0:3], 0 offset:444
	buffer_load_dword v120, off, s[0:3], 0 offset:440
	;; [unrolled: 1-line block ×6, first 2 shown]
	v_mul_f32_e32 v19, v21, v44
	v_add_f32_e32 v18, v22, v18
	v_fma_f32 v19, v20, v60, -v19
	v_mul_f32_e32 v11, v11, v45
	v_add_f32_e32 v18, v18, v19
	v_fma_f32 v10, v10, v58, -v11
	;; [unrolled: 3-line block ×3, first 2 shown]
	buffer_load_dword v129, off, s[0:3], 0 offset:476
	buffer_load_dword v128, off, s[0:3], 0 offset:472
	;; [unrolled: 1-line block ×10, first 2 shown]
	v_add_f32_e32 v10, v10, v11
	v_mul_f32_e32 v11, v15, v52
	v_fma_f32 v11, v14, v59, -v11
	v_add_f32_e32 v10, v10, v11
	v_mul_f32_e32 v11, v17, v53
	v_fma_f32 v11, v16, v57, -v11
	v_mul_f32_e32 v7, v7, v54
	v_add_f32_e32 v10, v10, v11
	v_fma_f32 v6, v6, v56, -v7
	v_mul_f32_e32 v7, v9, v55
	v_add_f32_e32 v6, v10, v6
	;; [unrolled: 3-line block ×4, first 2 shown]
	v_fma_f32 v3, v4, v126, -v3
	v_add_f32_e32 v2, v2, v3
	v_mul_f32_e32 v3, v31, v142
	v_fma_f32 v3, v30, v66, -v3
	v_add_f32_e32 v2, v2, v3
	v_mul_f32_e32 v3, v33, v144
	;; [unrolled: 3-line block ×18, first 2 shown]
	v_fma_f32 v3, v90, v175, -v3
	v_add_f32_e32 v2, v2, v3
	s_waitcnt vmcnt(38) lgkmcnt(1)
	v_mul_f32_e32 v3, v93, v178
	v_fma_f32 v3, v92, v177, -v3
	v_add_f32_e32 v2, v2, v3
	s_waitcnt vmcnt(36)
	v_mul_f32_e32 v3, v95, v224
	v_mul_f32_e32 v101, v92, v178
	v_fma_f32 v3, v94, v179, -v3
	v_fmac_f32_e32 v101, v93, v177
	v_add_f32_e32 v2, v2, v3
	s_waitcnt vmcnt(34) lgkmcnt(0)
	v_mul_f32_e32 v3, v97, v226
	v_add_f32_e32 v67, v67, v101
	v_mul_f32_e32 v101, v94, v224
	v_fma_f32 v3, v96, v225, -v3
	v_fmac_f32_e32 v101, v95, v179
	v_add_f32_e32 v2, v2, v3
	s_waitcnt vmcnt(32)
	v_mul_f32_e32 v3, v99, v228
	v_add_f32_e32 v67, v67, v101
	v_mul_f32_e32 v101, v96, v226
	v_fma_f32 v3, v98, v227, -v3
	v_fmac_f32_e32 v101, v97, v225
	v_add_f32_e32 v2, v2, v3
	s_waitcnt vmcnt(30)
	;; [unrolled: 7-line block ×8, first 2 shown]
	v_mul_f32_e32 v2, v117, v242
	v_add_f32_e32 v67, v67, v101
	v_mul_f32_e32 v101, v114, v240
	v_fma_f32 v100, v116, v241, -v2
	s_waitcnt vmcnt(16)
	v_mul_f32_e32 v2, v119, v244
	v_fmac_f32_e32 v101, v115, v239
	v_fma_f32 v126, v118, v243, -v2
	ds_read2_b64 v[2:5], v1 offset0:115 offset1:116
	ds_read2_b64 v[6:9], v1 offset0:117 offset1:118
	;; [unrolled: 1-line block ×4, first 2 shown]
	v_add_f32_e32 v67, v67, v101
	v_mul_f32_e32 v101, v116, v242
	s_waitcnt vmcnt(11)
	v_mov_b32_e32 v20, v125
	v_fmac_f32_e32 v101, v117, v241
	v_mul_f32_e32 v127, v118, v244
	s_waitcnt lgkmcnt(3)
	v_pk_mul_f32 v[20:21], v[2:3], v[20:21] op_sel_hi:[1,0]
	v_fmac_f32_e32 v127, v119, v243
	v_pk_add_f32 v[18:19], v[66:67], v[100:101]
	s_waitcnt vmcnt(10)
	v_pk_fma_f32 v[22:23], v[2:3], v[124:125], v[20:21] op_sel:[0,0,1] op_sel_hi:[1,1,0] neg_lo:[0,0,1] neg_hi:[0,0,1]
	v_pk_fma_f32 v[2:3], v[2:3], v[124:125], v[20:21] op_sel:[0,0,1] op_sel_hi:[1,0,0]
	v_pk_add_f32 v[18:19], v[18:19], v[126:127]
	v_mov_b32_e32 v23, v3
	v_pk_add_f32 v[2:3], v[18:19], v[22:23]
	v_mov_b32_e32 v18, v123
	v_pk_mul_f32 v[18:19], v[4:5], v[18:19] op_sel_hi:[1,0]
	v_pk_fma_f32 v[20:21], v[4:5], v[122:123], v[18:19] op_sel:[0,0,1] op_sel_hi:[1,1,0] neg_lo:[0,0,1] neg_hi:[0,0,1]
	v_pk_fma_f32 v[4:5], v[4:5], v[122:123], v[18:19] op_sel:[0,0,1] op_sel_hi:[1,0,0]
	v_mov_b32_e32 v4, v121
	v_mov_b32_e32 v21, v5
	s_waitcnt lgkmcnt(2)
	v_pk_mul_f32 v[4:5], v[6:7], v[4:5] op_sel_hi:[1,0]
	v_pk_fma_f32 v[18:19], v[6:7], v[120:121], v[4:5] op_sel:[0,0,1] op_sel_hi:[1,1,0] neg_lo:[0,0,1] neg_hi:[0,0,1]
	v_pk_fma_f32 v[4:5], v[6:7], v[120:121], v[4:5] op_sel:[0,0,1] op_sel_hi:[1,0,0]
	s_waitcnt vmcnt(3)
	v_mov_b32_e32 v4, v135
	v_mov_b32_e32 v19, v5
	v_pk_mul_f32 v[4:5], v[8:9], v[4:5] op_sel_hi:[1,0]
	s_waitcnt vmcnt(2)
	v_pk_fma_f32 v[6:7], v[8:9], v[134:135], v[4:5] op_sel:[0,0,1] op_sel_hi:[1,1,0] neg_lo:[0,0,1] neg_hi:[0,0,1]
	v_pk_fma_f32 v[4:5], v[8:9], v[134:135], v[4:5] op_sel:[0,0,1] op_sel_hi:[1,0,0]
	v_pk_add_f32 v[2:3], v[2:3], v[20:21]
	v_mov_b32_e32 v4, v133
	v_pk_add_f32 v[2:3], v[2:3], v[18:19]
	v_mov_b32_e32 v7, v5
	s_waitcnt lgkmcnt(1)
	v_pk_mul_f32 v[4:5], v[10:11], v[4:5] op_sel_hi:[1,0]
	v_pk_add_f32 v[2:3], v[2:3], v[6:7]
	v_pk_fma_f32 v[6:7], v[10:11], v[132:133], v[4:5] op_sel:[0,0,1] op_sel_hi:[1,1,0] neg_lo:[0,0,1] neg_hi:[0,0,1]
	v_pk_fma_f32 v[4:5], v[10:11], v[132:133], v[4:5] op_sel:[0,0,1] op_sel_hi:[1,0,0]
	v_mov_b32_e32 v4, v131
	v_mov_b32_e32 v7, v5
	v_pk_mul_f32 v[4:5], v[12:13], v[4:5] op_sel_hi:[1,0]
	v_pk_add_f32 v[2:3], v[2:3], v[6:7]
	v_pk_fma_f32 v[6:7], v[12:13], v[130:131], v[4:5] op_sel:[0,0,1] op_sel_hi:[1,1,0] neg_lo:[0,0,1] neg_hi:[0,0,1]
	v_pk_fma_f32 v[4:5], v[12:13], v[130:131], v[4:5] op_sel:[0,0,1] op_sel_hi:[1,0,0]
	v_mov_b32_e32 v4, v129
	v_mov_b32_e32 v7, v5
	s_waitcnt lgkmcnt(0)
	v_pk_mul_f32 v[4:5], v[14:15], v[4:5] op_sel_hi:[1,0]
	v_pk_add_f32 v[2:3], v[2:3], v[6:7]
	v_pk_fma_f32 v[6:7], v[14:15], v[128:129], v[4:5] op_sel:[0,0,1] op_sel_hi:[1,1,0] neg_lo:[0,0,1] neg_hi:[0,0,1]
	v_pk_fma_f32 v[4:5], v[14:15], v[128:129], v[4:5] op_sel:[0,0,1] op_sel_hi:[1,0,0]
	s_waitcnt vmcnt(1)
	v_mov_b32_e32 v4, v137
	v_mov_b32_e32 v7, v5
	v_pk_mul_f32 v[4:5], v[16:17], v[4:5] op_sel_hi:[1,0]
	v_pk_add_f32 v[2:3], v[2:3], v[6:7]
	s_waitcnt vmcnt(0)
	v_pk_fma_f32 v[6:7], v[16:17], v[136:137], v[4:5] op_sel:[0,0,1] op_sel_hi:[1,1,0] neg_lo:[0,0,1] neg_hi:[0,0,1]
	v_pk_fma_f32 v[4:5], v[16:17], v[136:137], v[4:5] op_sel:[0,0,1] op_sel_hi:[1,0,0]
	v_mov_b32_e32 v7, v5
	v_pk_add_f32 v[2:3], v[2:3], v[6:7]
	v_pk_add_f32 v[2:3], v[42:43], v[2:3] neg_lo:[0,1] neg_hi:[0,1]
	buffer_store_dword v3, off, s[0:3], 0 offset:68
	buffer_store_dword v2, off, s[0:3], 0 offset:64
	s_and_saveexec_b64 s[4:5], vcc
	s_cbranch_execz .LBB60_365
; %bb.364:
	buffer_load_dword v2, off, s[0:3], 0 offset:56
	buffer_load_dword v3, off, s[0:3], 0 offset:60
	v_mov_b32_e32 v1, 0
	buffer_store_dword v1, off, s[0:3], 0 offset:56
	buffer_store_dword v1, off, s[0:3], 0 offset:60
	s_waitcnt vmcnt(2)
	ds_write_b64 v199, v[2:3]
.LBB60_365:
	s_or_b64 exec, exec, s[4:5]
	v_mov_b32_e32 v240, 0
	s_waitcnt lgkmcnt(0)
	; wave barrier
	s_waitcnt lgkmcnt(0)
	ds_read_b128 v[2:5], v240 offset:560
	buffer_load_dword v94, off, s[0:3], 0 offset:56
	buffer_load_dword v95, off, s[0:3], 0 offset:60
	;; [unrolled: 1-line block ×16, first 2 shown]
	v_cmp_lt_u32_e32 vcc, 6, v0
	s_waitcnt vmcnt(12) lgkmcnt(0)
	v_mul_f32_e32 v6, v2, v104
	v_fmac_f32_e32 v6, v3, v1
	s_waitcnt vmcnt(10)
	v_mul_f32_e32 v7, v4, v106
	v_add_f32_e32 v6, 0, v6
	v_fmac_f32_e32 v7, v5, v96
	v_add_f32_e32 v10, v6, v7
	ds_read_b128 v[6:9], v240 offset:576
	v_mul_f32_e32 v3, v3, v104
	v_fma_f32 v1, v2, v1, -v3
	v_mul_f32_e32 v2, v5, v106
	v_add_f32_e32 v1, 0, v1
	s_waitcnt vmcnt(8) lgkmcnt(0)
	v_mul_f32_e32 v11, v6, v108
	v_fmac_f32_e32 v11, v7, v98
	v_add_f32_e32 v10, v10, v11
	s_waitcnt vmcnt(6)
	v_mul_f32_e32 v11, v8, v224
	v_fmac_f32_e32 v11, v9, v105
	v_add_f32_e32 v14, v10, v11
	ds_read_b128 v[10:13], v240 offset:592
	v_fma_f32 v2, v4, v96, -v2
	v_add_f32_e32 v1, v1, v2
	v_mul_f32_e32 v2, v7, v108
	v_fma_f32 v2, v6, v98, -v2
	s_waitcnt vmcnt(4) lgkmcnt(0)
	v_mul_f32_e32 v15, v10, v242
	v_fmac_f32_e32 v15, v11, v107
	v_add_f32_e32 v14, v14, v15
	s_waitcnt vmcnt(2)
	v_mul_f32_e32 v15, v12, v243
	v_fmac_f32_e32 v15, v13, v109
	v_add_f32_e32 v18, v14, v15
	ds_read_b128 v[14:17], v240 offset:608
	buffer_load_dword v110, off, s[0:3], 0 offset:120
	buffer_load_dword v111, off, s[0:3], 0 offset:124
	v_add_f32_e32 v1, v1, v2
	v_mul_f32_e32 v2, v9, v224
	v_fma_f32 v2, v8, v105, -v2
	s_waitcnt vmcnt(2) lgkmcnt(0)
	v_mul_f32_e32 v19, v14, v244
	v_fmac_f32_e32 v19, v15, v241
	v_add_f32_e32 v18, v18, v19
	v_add_f32_e32 v1, v1, v2
	v_mul_f32_e32 v2, v11, v242
	v_fma_f32 v2, v10, v107, -v2
	v_add_f32_e32 v1, v1, v2
	v_mul_f32_e32 v2, v13, v243
	v_fma_f32 v2, v12, v109, -v2
	;; [unrolled: 3-line block ×3, first 2 shown]
	v_add_f32_e32 v1, v1, v2
	s_waitcnt vmcnt(0)
	v_mul_f32_e32 v19, v16, v111
	v_fmac_f32_e32 v19, v17, v110
	v_add_f32_e32 v22, v18, v19
	ds_read_b128 v[18:21], v240 offset:624
	buffer_load_dword v112, off, s[0:3], 0 offset:128
	buffer_load_dword v113, off, s[0:3], 0 offset:132
	buffer_load_dword v114, off, s[0:3], 0 offset:136
	buffer_load_dword v115, off, s[0:3], 0 offset:140
	v_mul_f32_e32 v2, v17, v111
	v_fma_f32 v2, v16, v110, -v2
	v_add_f32_e32 v1, v1, v2
	s_waitcnt vmcnt(2) lgkmcnt(0)
	v_mul_f32_e32 v23, v18, v113
	v_fmac_f32_e32 v23, v19, v112
	v_add_f32_e32 v22, v22, v23
	s_waitcnt vmcnt(0)
	v_mul_f32_e32 v23, v20, v115
	v_fmac_f32_e32 v23, v21, v114
	v_add_f32_e32 v26, v22, v23
	ds_read_b128 v[22:25], v240 offset:640
	buffer_load_dword v116, off, s[0:3], 0 offset:144
	buffer_load_dword v117, off, s[0:3], 0 offset:148
	buffer_load_dword v118, off, s[0:3], 0 offset:152
	buffer_load_dword v119, off, s[0:3], 0 offset:156
	v_mul_f32_e32 v2, v19, v113
	v_fma_f32 v2, v18, v112, -v2
	v_add_f32_e32 v1, v1, v2
	v_mul_f32_e32 v2, v21, v115
	v_fma_f32 v2, v20, v114, -v2
	v_add_f32_e32 v1, v1, v2
	s_waitcnt vmcnt(2) lgkmcnt(0)
	v_mul_f32_e32 v27, v22, v117
	v_fmac_f32_e32 v27, v23, v116
	v_add_f32_e32 v26, v26, v27
	s_waitcnt vmcnt(0)
	v_mul_f32_e32 v27, v24, v119
	v_fmac_f32_e32 v27, v25, v118
	v_add_f32_e32 v30, v26, v27
	ds_read_b128 v[26:29], v240 offset:656
	buffer_load_dword v120, off, s[0:3], 0 offset:160
	buffer_load_dword v121, off, s[0:3], 0 offset:164
	buffer_load_dword v122, off, s[0:3], 0 offset:168
	buffer_load_dword v123, off, s[0:3], 0 offset:172
	v_mul_f32_e32 v2, v23, v117
	v_fma_f32 v2, v22, v116, -v2
	v_add_f32_e32 v1, v1, v2
	;; [unrolled: 19-line block ×4, first 2 shown]
	v_mul_f32_e32 v2, v33, v127
	v_fma_f32 v2, v32, v126, -v2
	v_add_f32_e32 v1, v1, v2
	s_waitcnt vmcnt(2) lgkmcnt(0)
	v_mul_f32_e32 v39, v34, v129
	v_fmac_f32_e32 v39, v35, v128
	v_add_f32_e32 v38, v38, v39
	s_waitcnt vmcnt(0)
	v_mul_f32_e32 v39, v36, v131
	v_fmac_f32_e32 v39, v37, v130
	v_add_f32_e32 v42, v38, v39
	ds_read_b128 v[38:41], v240 offset:704
	buffer_load_dword v132, off, s[0:3], 0 offset:208
	buffer_load_dword v133, off, s[0:3], 0 offset:212
	buffer_load_dword v134, off, s[0:3], 0 offset:216
	buffer_load_dword v135, off, s[0:3], 0 offset:220
	ds_read_b128 v[46:49], v240 offset:720
	buffer_load_dword v136, off, s[0:3], 0 offset:224
	buffer_load_dword v137, off, s[0:3], 0 offset:228
	buffer_load_dword v138, off, s[0:3], 0 offset:232
	buffer_load_dword v139, off, s[0:3], 0 offset:236
	;; [unrolled: 5-line block ×13, first 2 shown]
	v_mul_f32_e32 v2, v35, v129
	v_fma_f32 v2, v34, v128, -v2
	v_add_f32_e32 v1, v1, v2
	v_mul_f32_e32 v2, v37, v131
	v_fma_f32 v2, v36, v130, -v2
	v_add_f32_e32 v1, v1, v2
	s_waitcnt vmcnt(50) lgkmcnt(12)
	v_mul_f32_e32 v43, v38, v133
	v_fmac_f32_e32 v43, v39, v132
	v_add_f32_e32 v42, v42, v43
	s_waitcnt vmcnt(48)
	v_mul_f32_e32 v43, v40, v135
	v_fmac_f32_e32 v43, v41, v134
	v_add_f32_e32 v42, v42, v43
	s_waitcnt vmcnt(46) lgkmcnt(11)
	v_mul_f32_e32 v43, v46, v137
	v_fmac_f32_e32 v43, v47, v136
	v_add_f32_e32 v42, v42, v43
	s_waitcnt vmcnt(44)
	v_mul_f32_e32 v43, v48, v139
	v_fmac_f32_e32 v43, v49, v138
	;; [unrolled: 8-line block ×12, first 2 shown]
	v_add_f32_e32 v42, v42, v43
	s_waitcnt vmcnt(2) lgkmcnt(0)
	v_mul_f32_e32 v43, v90, v246
	v_fmac_f32_e32 v43, v91, v179
	v_add_f32_e32 v97, v42, v43
	ds_read_b128 v[42:45], v240 offset:912
	buffer_load_dword v249, off, s[0:3], 0 offset:416
	buffer_load_dword v250, off, s[0:3], 0 offset:420
	;; [unrolled: 1-line block ×18, first 2 shown]
	v_mul_f32_e32 v2, v39, v133
	v_fma_f32 v2, v38, v132, -v2
	v_add_f32_e32 v1, v1, v2
	v_mul_f32_e32 v2, v41, v135
	v_fma_f32 v2, v40, v134, -v2
	v_add_f32_e32 v1, v1, v2
	;; [unrolled: 3-line block ×24, first 2 shown]
	v_mul_f32_e32 v2, v91, v246
	v_fma_f32 v2, v90, v179, -v2
	s_waitcnt vmcnt(15)
	v_mov_b32_e32 v18, v101
	v_mul_f32_e32 v99, v92, v248
	v_add_f32_e32 v96, v1, v2
	v_mul_f32_e32 v1, v93, v248
	s_waitcnt lgkmcnt(0)
	v_pk_mul_f32 v[18:19], v[44:45], v[18:19] op_sel_hi:[1,0]
	v_fmac_f32_e32 v99, v93, v247
	v_mul_f32_e32 v225, v42, v250
	v_fma_f32 v98, v92, v247, -v1
	v_mul_f32_e32 v1, v43, v250
	ds_read_b128 v[2:5], v240 offset:928
	ds_read_b128 v[6:9], v240 offset:944
	ds_read_b128 v[10:13], v240 offset:960
	ds_read_b64 v[14:15], v240 offset:976
	s_waitcnt vmcnt(14)
	v_pk_fma_f32 v[20:21], v[44:45], v[100:101], v[18:19] op_sel:[0,0,1] op_sel_hi:[1,1,0] neg_lo:[0,0,1] neg_hi:[0,0,1]
	v_pk_fma_f32 v[18:19], v[44:45], v[100:101], v[18:19] op_sel:[0,0,1] op_sel_hi:[1,0,0]
	v_fmac_f32_e32 v225, v43, v249
	v_fma_f32 v224, v42, v249, -v1
	v_pk_add_f32 v[16:17], v[96:97], v[98:99]
	s_waitcnt vmcnt(13)
	v_mov_b32_e32 v18, v239
	v_pk_add_f32 v[16:17], v[16:17], v[224:225]
	v_mov_b32_e32 v21, v19
	s_waitcnt lgkmcnt(3)
	v_pk_mul_f32 v[18:19], v[2:3], v[18:19] op_sel_hi:[1,0]
	v_pk_add_f32 v[16:17], v[16:17], v[20:21]
	s_waitcnt vmcnt(12)
	v_pk_fma_f32 v[20:21], v[2:3], v[238:239], v[18:19] op_sel:[0,0,1] op_sel_hi:[1,1,0] neg_lo:[0,0,1] neg_hi:[0,0,1]
	v_pk_fma_f32 v[2:3], v[2:3], v[238:239], v[18:19] op_sel:[0,0,1] op_sel_hi:[1,0,0]
	v_mov_b32_e32 v21, v3
	v_pk_add_f32 v[2:3], v[16:17], v[20:21]
	s_waitcnt vmcnt(11)
	v_mov_b32_e32 v16, v237
	v_pk_mul_f32 v[16:17], v[4:5], v[16:17] op_sel_hi:[1,0]
	s_waitcnt vmcnt(10)
	v_pk_fma_f32 v[18:19], v[4:5], v[236:237], v[16:17] op_sel:[0,0,1] op_sel_hi:[1,1,0] neg_lo:[0,0,1] neg_hi:[0,0,1]
	v_pk_fma_f32 v[4:5], v[4:5], v[236:237], v[16:17] op_sel:[0,0,1] op_sel_hi:[1,0,0]
	s_waitcnt vmcnt(9)
	v_mov_b32_e32 v4, v235
	v_mov_b32_e32 v19, v5
	s_waitcnt lgkmcnt(2)
	v_pk_mul_f32 v[4:5], v[6:7], v[4:5] op_sel_hi:[1,0]
	s_waitcnt vmcnt(8)
	v_pk_fma_f32 v[16:17], v[6:7], v[234:235], v[4:5] op_sel:[0,0,1] op_sel_hi:[1,1,0] neg_lo:[0,0,1] neg_hi:[0,0,1]
	v_pk_fma_f32 v[4:5], v[6:7], v[234:235], v[4:5] op_sel:[0,0,1] op_sel_hi:[1,0,0]
	s_waitcnt vmcnt(7)
	v_mov_b32_e32 v4, v233
	v_mov_b32_e32 v17, v5
	v_pk_mul_f32 v[4:5], v[8:9], v[4:5] op_sel_hi:[1,0]
	s_waitcnt vmcnt(6)
	v_pk_fma_f32 v[6:7], v[8:9], v[232:233], v[4:5] op_sel:[0,0,1] op_sel_hi:[1,1,0] neg_lo:[0,0,1] neg_hi:[0,0,1]
	v_pk_fma_f32 v[4:5], v[8:9], v[232:233], v[4:5] op_sel:[0,0,1] op_sel_hi:[1,0,0]
	v_pk_add_f32 v[2:3], v[2:3], v[18:19]
	s_waitcnt vmcnt(5)
	v_mov_b32_e32 v4, v231
	v_pk_add_f32 v[2:3], v[2:3], v[16:17]
	v_mov_b32_e32 v7, v5
	s_waitcnt lgkmcnt(1)
	v_pk_mul_f32 v[4:5], v[10:11], v[4:5] op_sel_hi:[1,0]
	v_pk_add_f32 v[2:3], v[2:3], v[6:7]
	s_waitcnt vmcnt(4)
	v_pk_fma_f32 v[6:7], v[10:11], v[230:231], v[4:5] op_sel:[0,0,1] op_sel_hi:[1,1,0] neg_lo:[0,0,1] neg_hi:[0,0,1]
	v_pk_fma_f32 v[4:5], v[10:11], v[230:231], v[4:5] op_sel:[0,0,1] op_sel_hi:[1,0,0]
	s_waitcnt vmcnt(3)
	v_mov_b32_e32 v4, v229
	v_mov_b32_e32 v7, v5
	v_pk_mul_f32 v[4:5], v[12:13], v[4:5] op_sel_hi:[1,0]
	v_pk_add_f32 v[2:3], v[2:3], v[6:7]
	s_waitcnt vmcnt(2)
	v_pk_fma_f32 v[6:7], v[12:13], v[228:229], v[4:5] op_sel:[0,0,1] op_sel_hi:[1,1,0] neg_lo:[0,0,1] neg_hi:[0,0,1]
	v_pk_fma_f32 v[4:5], v[12:13], v[228:229], v[4:5] op_sel:[0,0,1] op_sel_hi:[1,0,0]
	s_waitcnt vmcnt(1)
	v_mov_b32_e32 v4, v227
	v_mov_b32_e32 v7, v5
	s_waitcnt lgkmcnt(0)
	v_pk_mul_f32 v[4:5], v[14:15], v[4:5] op_sel_hi:[1,0]
	v_pk_add_f32 v[2:3], v[2:3], v[6:7]
	s_waitcnt vmcnt(0)
	v_pk_fma_f32 v[6:7], v[14:15], v[226:227], v[4:5] op_sel:[0,0,1] op_sel_hi:[1,1,0] neg_lo:[0,0,1] neg_hi:[0,0,1]
	v_pk_fma_f32 v[4:5], v[14:15], v[226:227], v[4:5] op_sel:[0,0,1] op_sel_hi:[1,0,0]
	v_mov_b32_e32 v7, v5
	v_pk_add_f32 v[2:3], v[2:3], v[6:7]
	v_pk_add_f32 v[2:3], v[94:95], v[2:3] neg_lo:[0,1] neg_hi:[0,1]
	buffer_store_dword v3, off, s[0:3], 0 offset:60
	buffer_store_dword v2, off, s[0:3], 0 offset:56
	s_and_saveexec_b64 s[4:5], vcc
	s_cbranch_execz .LBB60_367
; %bb.366:
	buffer_load_dword v2, off, s[0:3], 0 offset:48
	buffer_load_dword v3, off, s[0:3], 0 offset:52
	s_waitcnt vmcnt(0)
	ds_write_b64 v199, v[2:3]
	buffer_store_dword v240, off, s[0:3], 0 offset:48
	buffer_store_dword v240, off, s[0:3], 0 offset:52
.LBB60_367:
	s_or_b64 exec, exec, s[4:5]
	s_waitcnt lgkmcnt(0)
	; wave barrier
	s_waitcnt lgkmcnt(0)
	buffer_load_dword v48, off, s[0:3], 0 offset:60
	buffer_load_dword v47, off, s[0:3], 0 offset:68
	;; [unrolled: 1-line block ×34, first 2 shown]
	ds_read2_b64 v[30:33], v240 offset0:69 offset1:70
	ds_read2_b64 v[26:29], v240 offset0:71 offset1:72
	;; [unrolled: 1-line block ×6, first 2 shown]
	buffer_load_dword v152, off, s[0:3], 0 offset:184
	buffer_load_dword v153, off, s[0:3], 0 offset:188
	ds_read2_b64 v[10:13], v240 offset0:81 offset1:82
	ds_read2_b64 v[2:5], v240 offset0:83 offset1:84
	buffer_load_dword v154, off, s[0:3], 0 offset:192
	buffer_load_dword v155, off, s[0:3], 0 offset:196
	;; [unrolled: 1-line block ×24, first 2 shown]
	v_cmp_lt_u32_e32 vcc, 5, v0
	s_waitcnt vmcnt(59) lgkmcnt(7)
	v_mul_f32_e32 v34, v30, v48
	s_waitcnt vmcnt(58)
	v_mul_f32_e32 v35, v32, v47
	s_waitcnt vmcnt(57) lgkmcnt(6)
	v_mul_f32_e32 v37, v28, v46
	s_waitcnt vmcnt(56) lgkmcnt(5)
	v_mul_f32_e32 v38, v22, v45
	s_waitcnt vmcnt(55)
	v_mul_f32_e32 v39, v24, v1
	s_waitcnt vmcnt(54)
	v_mul_f32_e32 v36, v26, v49
	s_waitcnt vmcnt(53) lgkmcnt(4)
	v_mul_f32_e32 v40, v18, v44
	s_waitcnt vmcnt(52)
	v_mul_f32_e32 v41, v20, v110
	s_waitcnt vmcnt(51) lgkmcnt(3)
	;; [unrolled: 4-line block ×3, first 2 shown]
	v_mul_f32_e32 v52, v6, v130
	s_waitcnt vmcnt(48)
	v_mul_f32_e32 v53, v8, v131
	s_waitcnt vmcnt(47)
	v_fmac_f32_e32 v36, v27, v132
	s_waitcnt vmcnt(46)
	v_fmac_f32_e32 v35, v33, v133
	;; [unrolled: 2-line block ×3, first 2 shown]
	v_add_f32_e32 v34, 0, v34
	v_add_f32_e32 v34, v34, v35
	v_add_f32_e32 v34, v34, v36
	s_waitcnt vmcnt(41)
	v_fmac_f32_e32 v37, v29, v138
	v_fmac_f32_e32 v38, v23, v137
	v_add_f32_e32 v34, v34, v37
	v_fmac_f32_e32 v39, v25, v136
	v_add_f32_e32 v34, v34, v38
	;; [unrolled: 2-line block ×3, first 2 shown]
	s_waitcnt vmcnt(37)
	v_fmac_f32_e32 v41, v21, v142
	v_add_f32_e32 v34, v34, v40
	v_fmac_f32_e32 v50, v15, v141
	v_add_f32_e32 v34, v34, v41
	;; [unrolled: 2-line block ×4, first 2 shown]
	s_waitcnt vmcnt(33)
	v_fmac_f32_e32 v53, v9, v146
	v_add_f32_e32 v34, v34, v52
	s_waitcnt vmcnt(32) lgkmcnt(1)
	v_mul_f32_e32 v35, v10, v147
	v_add_f32_e32 v34, v34, v53
	v_fmac_f32_e32 v35, v11, v145
	v_add_f32_e32 v34, v34, v35
	s_waitcnt vmcnt(31)
	v_mul_f32_e32 v35, v12, v148
	v_fmac_f32_e32 v35, v13, v144
	v_add_f32_e32 v34, v34, v35
	s_waitcnt vmcnt(30) lgkmcnt(0)
	v_mul_f32_e32 v35, v2, v149
	v_fmac_f32_e32 v35, v3, v143
	v_add_f32_e32 v38, v34, v35
	ds_read2_b64 v[34:37], v240 offset0:85 offset1:86
	buffer_load_dword v178, off, s[0:3], 0 offset:288
	buffer_load_dword v179, off, s[0:3], 0 offset:292
	;; [unrolled: 1-line block ×4, first 2 shown]
	s_waitcnt vmcnt(32)
	v_mul_f32_e32 v39, v4, v151
	v_fmac_f32_e32 v39, v5, v150
	v_add_f32_e32 v50, v38, v39
	ds_read2_b64 v[38:41], v240 offset0:87 offset1:88
	buffer_load_dword v226, off, s[0:3], 0 offset:304
	buffer_load_dword v227, off, s[0:3], 0 offset:308
	;; [unrolled: 1-line block ×12, first 2 shown]
	s_waitcnt vmcnt(40) lgkmcnt(1)
	v_mul_f32_e32 v51, v34, v153
	v_fmac_f32_e32 v51, v35, v152
	buffer_load_dword v238, off, s[0:3], 0 offset:352
	buffer_load_dword v239, off, s[0:3], 0 offset:356
	v_add_f32_e32 v50, v50, v51
	s_waitcnt vmcnt(40)
	v_mul_f32_e32 v51, v36, v155
	v_fmac_f32_e32 v51, v37, v154
	buffer_load_dword v241, off, s[0:3], 0 offset:360
	buffer_load_dword v242, off, s[0:3], 0 offset:364
	v_add_f32_e32 v50, v50, v51
	s_waitcnt vmcnt(40) lgkmcnt(0)
	v_mul_f32_e32 v51, v38, v157
	v_fmac_f32_e32 v51, v39, v156
	v_add_f32_e32 v54, v50, v51
	ds_read2_b64 v[50:53], v240 offset0:89 offset1:90
	buffer_load_dword v243, off, s[0:3], 0 offset:368
	buffer_load_dword v244, off, s[0:3], 0 offset:372
	s_waitcnt vmcnt(40)
	v_mul_f32_e32 v55, v40, v159
	v_fmac_f32_e32 v55, v41, v158
	v_add_f32_e32 v58, v54, v55
	ds_read2_b64 v[54:57], v240 offset0:91 offset1:92
	buffer_load_dword v245, off, s[0:3], 0 offset:376
	buffer_load_dword v246, off, s[0:3], 0 offset:380
	;; [unrolled: 1-line block ×8, first 2 shown]
	s_waitcnt vmcnt(46) lgkmcnt(1)
	v_mul_f32_e32 v59, v50, v161
	v_fmac_f32_e32 v59, v51, v160
	v_add_f32_e32 v58, v58, v59
	s_waitcnt vmcnt(44)
	v_mul_f32_e32 v59, v52, v163
	v_fmac_f32_e32 v59, v53, v162
	v_add_f32_e32 v58, v58, v59
	s_waitcnt vmcnt(42) lgkmcnt(0)
	v_mul_f32_e32 v59, v54, v165
	v_fmac_f32_e32 v59, v55, v164
	v_add_f32_e32 v62, v58, v59
	buffer_load_dword v253, off, s[0:3], 0 offset:408
	buffer_load_dword v254, off, s[0:3], 0 offset:412
	;; [unrolled: 1-line block ×4, first 2 shown]
	ds_read2_b64 v[58:61], v240 offset0:93 offset1:94
	s_waitcnt vmcnt(44)
	v_mul_f32_e32 v63, v56, v167
	v_fmac_f32_e32 v63, v57, v166
	v_add_f32_e32 v66, v62, v63
	ds_read2_b64 v[62:65], v240 offset0:95 offset1:96
	s_waitcnt vmcnt(42) lgkmcnt(1)
	v_mul_f32_e32 v67, v58, v169
	v_fmac_f32_e32 v67, v59, v168
	v_add_f32_e32 v66, v66, v67
	s_waitcnt vmcnt(40)
	v_mul_f32_e32 v67, v60, v171
	v_fmac_f32_e32 v67, v61, v170
	v_add_f32_e32 v66, v66, v67
	s_waitcnt vmcnt(38) lgkmcnt(0)
	v_mul_f32_e32 v67, v62, v173
	v_fmac_f32_e32 v67, v63, v172
	v_add_f32_e32 v70, v66, v67
	ds_read2_b64 v[66:69], v240 offset0:97 offset1:98
	s_waitcnt vmcnt(36)
	v_mul_f32_e32 v71, v64, v175
	v_fmac_f32_e32 v71, v65, v174
	v_add_f32_e32 v74, v70, v71
	ds_read2_b64 v[70:73], v240 offset0:99 offset1:100
	s_waitcnt vmcnt(34) lgkmcnt(1)
	v_mul_f32_e32 v75, v66, v177
	v_fmac_f32_e32 v75, v67, v176
	v_add_f32_e32 v74, v74, v75
	v_mul_f32_e32 v31, v31, v48
	v_fma_f32 v30, v30, v134, -v31
	v_mul_f32_e32 v31, v33, v47
	v_add_f32_e32 v30, 0, v30
	v_fma_f32 v31, v32, v133, -v31
	v_mul_f32_e32 v27, v27, v49
	v_add_f32_e32 v30, v30, v31
	;; [unrolled: 3-line block ×4, first 2 shown]
	v_fma_f32 v22, v22, v137, -v23
	v_mul_f32_e32 v1, v25, v1
	s_waitcnt vmcnt(32)
	v_mul_f32_e32 v75, v68, v179
	v_fmac_f32_e32 v75, v69, v178
	v_add_f32_e32 v74, v74, v75
	s_waitcnt vmcnt(30) lgkmcnt(0)
	v_mul_f32_e32 v75, v70, v225
	v_fmac_f32_e32 v75, v71, v224
	v_add_f32_e32 v78, v74, v75
	ds_read2_b64 v[74:77], v240 offset0:101 offset1:102
	s_waitcnt vmcnt(28)
	v_mul_f32_e32 v79, v72, v227
	v_fmac_f32_e32 v79, v73, v226
	v_add_f32_e32 v82, v78, v79
	ds_read2_b64 v[78:81], v240 offset0:103 offset1:104
	s_waitcnt vmcnt(26) lgkmcnt(1)
	v_mul_f32_e32 v83, v74, v229
	v_fmac_f32_e32 v83, v75, v228
	v_add_f32_e32 v82, v82, v83
	s_waitcnt vmcnt(24)
	v_mul_f32_e32 v83, v76, v231
	v_fmac_f32_e32 v83, v77, v230
	v_add_f32_e32 v82, v82, v83
	s_waitcnt vmcnt(22) lgkmcnt(0)
	v_mul_f32_e32 v83, v78, v233
	v_fmac_f32_e32 v83, v79, v232
	v_add_f32_e32 v86, v82, v83
	ds_read2_b64 v[82:85], v240 offset0:105 offset1:106
	s_waitcnt vmcnt(20)
	v_mul_f32_e32 v87, v80, v235
	v_fmac_f32_e32 v87, v81, v234
	v_add_f32_e32 v90, v86, v87
	ds_read2_b64 v[86:89], v240 offset0:107 offset1:108
	s_waitcnt vmcnt(18) lgkmcnt(1)
	v_mul_f32_e32 v91, v82, v237
	v_fmac_f32_e32 v91, v83, v236
	v_add_f32_e32 v90, v90, v91
	s_waitcnt vmcnt(16)
	v_mul_f32_e32 v91, v84, v239
	v_fmac_f32_e32 v91, v85, v238
	v_add_f32_e32 v90, v90, v91
	s_waitcnt vmcnt(14) lgkmcnt(0)
	v_mul_f32_e32 v91, v86, v242
	v_fmac_f32_e32 v91, v87, v241
	v_add_f32_e32 v94, v90, v91
	ds_read2_b64 v[90:93], v240 offset0:109 offset1:110
	s_waitcnt vmcnt(12)
	v_mul_f32_e32 v95, v88, v244
	v_fmac_f32_e32 v95, v89, v243
	v_add_f32_e32 v98, v94, v95
	ds_read2_b64 v[94:97], v240 offset0:111 offset1:112
	buffer_load_dword v109, off, s[0:3], 0 offset:428
	buffer_load_dword v108, off, s[0:3], 0 offset:424
	s_waitcnt vmcnt(12) lgkmcnt(1)
	v_mul_f32_e32 v99, v90, v246
	v_fmac_f32_e32 v99, v91, v245
	v_add_f32_e32 v98, v98, v99
	s_waitcnt vmcnt(10)
	v_mul_f32_e32 v99, v92, v248
	v_fmac_f32_e32 v99, v93, v247
	v_add_f32_e32 v98, v98, v99
	s_waitcnt vmcnt(8) lgkmcnt(0)
	v_mul_f32_e32 v99, v94, v250
	v_fmac_f32_e32 v99, v95, v249
	s_waitcnt vmcnt(6)
	v_mul_f32_e32 v105, v96, v252
	v_add_f32_e32 v22, v26, v22
	v_fma_f32 v1, v24, v136, -v1
	v_mul_f32_e32 v19, v19, v44
	v_add_f32_e32 v104, v98, v99
	v_fmac_f32_e32 v105, v97, v251
	v_add_f32_e32 v1, v22, v1
	v_fma_f32 v18, v18, v135, -v19
	ds_read2_b64 v[98:101], v240 offset0:113 offset1:114
	v_add_f32_e32 v111, v104, v105
	ds_read2_b64 v[104:107], v240 offset0:115 offset1:116
	buffer_load_dword v117, off, s[0:3], 0 offset:460
	buffer_load_dword v116, off, s[0:3], 0 offset:456
	;; [unrolled: 1-line block ×14, first 2 shown]
	v_add_f32_e32 v1, v1, v18
	v_mul_f32_e32 v18, v21, v110
	v_fma_f32 v18, v20, v142, -v18
	v_mul_f32_e32 v15, v15, v112
	v_add_f32_e32 v1, v1, v18
	v_fma_f32 v14, v14, v141, -v15
	v_add_f32_e32 v1, v1, v14
	v_mul_f32_e32 v14, v17, v114
	v_fma_f32 v14, v16, v140, -v14
	v_mul_f32_e32 v7, v7, v130
	v_add_f32_e32 v1, v1, v14
	v_fma_f32 v6, v6, v139, -v7
	v_add_f32_e32 v1, v1, v6
	v_mul_f32_e32 v6, v9, v131
	v_fma_f32 v6, v8, v146, -v6
	v_add_f32_e32 v1, v1, v6
	v_mul_f32_e32 v6, v11, v147
	;; [unrolled: 3-line block ×3, first 2 shown]
	v_fma_f32 v6, v12, v144, -v6
	v_mul_f32_e32 v3, v3, v149
	v_add_f32_e32 v1, v1, v6
	v_fma_f32 v2, v2, v143, -v3
	v_add_f32_e32 v1, v1, v2
	v_mul_f32_e32 v2, v5, v151
	v_fma_f32 v2, v4, v150, -v2
	v_add_f32_e32 v1, v1, v2
	v_mul_f32_e32 v2, v35, v153
	v_fma_f32 v2, v34, v152, -v2
	v_add_f32_e32 v1, v1, v2
	v_mul_f32_e32 v2, v37, v155
	v_fma_f32 v2, v36, v154, -v2
	v_add_f32_e32 v1, v1, v2
	v_mul_f32_e32 v2, v39, v157
	v_fma_f32 v2, v38, v156, -v2
	v_add_f32_e32 v1, v1, v2
	v_mul_f32_e32 v2, v41, v159
	v_fma_f32 v2, v40, v158, -v2
	v_add_f32_e32 v1, v1, v2
	v_mul_f32_e32 v2, v51, v161
	v_fma_f32 v2, v50, v160, -v2
	v_add_f32_e32 v1, v1, v2
	v_mul_f32_e32 v2, v53, v163
	v_fma_f32 v2, v52, v162, -v2
	v_add_f32_e32 v1, v1, v2
	v_mul_f32_e32 v2, v55, v165
	v_fma_f32 v2, v54, v164, -v2
	v_add_f32_e32 v1, v1, v2
	v_mul_f32_e32 v2, v57, v167
	v_fma_f32 v2, v56, v166, -v2
	v_add_f32_e32 v1, v1, v2
	v_mul_f32_e32 v2, v59, v169
	v_fma_f32 v2, v58, v168, -v2
	v_add_f32_e32 v1, v1, v2
	v_mul_f32_e32 v2, v61, v171
	v_fma_f32 v2, v60, v170, -v2
	v_add_f32_e32 v1, v1, v2
	v_mul_f32_e32 v2, v63, v173
	v_fma_f32 v2, v62, v172, -v2
	v_add_f32_e32 v1, v1, v2
	v_mul_f32_e32 v2, v65, v175
	v_fma_f32 v2, v64, v174, -v2
	v_add_f32_e32 v1, v1, v2
	v_mul_f32_e32 v2, v67, v177
	v_fma_f32 v2, v66, v176, -v2
	v_add_f32_e32 v1, v1, v2
	v_mul_f32_e32 v2, v69, v179
	v_fma_f32 v2, v68, v178, -v2
	v_add_f32_e32 v1, v1, v2
	v_mul_f32_e32 v2, v71, v225
	v_fma_f32 v2, v70, v224, -v2
	v_add_f32_e32 v1, v1, v2
	v_mul_f32_e32 v2, v73, v227
	v_fma_f32 v2, v72, v226, -v2
	v_add_f32_e32 v1, v1, v2
	v_mul_f32_e32 v2, v75, v229
	v_fma_f32 v2, v74, v228, -v2
	v_add_f32_e32 v1, v1, v2
	v_mul_f32_e32 v2, v77, v231
	v_fma_f32 v2, v76, v230, -v2
	v_add_f32_e32 v1, v1, v2
	v_mul_f32_e32 v2, v79, v233
	v_fma_f32 v2, v78, v232, -v2
	v_add_f32_e32 v1, v1, v2
	v_mul_f32_e32 v2, v81, v235
	v_fma_f32 v2, v80, v234, -v2
	v_add_f32_e32 v1, v1, v2
	v_mul_f32_e32 v2, v83, v237
	v_fma_f32 v2, v82, v236, -v2
	v_add_f32_e32 v1, v1, v2
	v_mul_f32_e32 v2, v85, v239
	v_fma_f32 v2, v84, v238, -v2
	v_add_f32_e32 v1, v1, v2
	v_mul_f32_e32 v2, v87, v242
	v_fma_f32 v2, v86, v241, -v2
	v_add_f32_e32 v1, v1, v2
	v_mul_f32_e32 v2, v89, v244
	v_fma_f32 v2, v88, v243, -v2
	v_add_f32_e32 v1, v1, v2
	v_mul_f32_e32 v2, v91, v246
	v_fma_f32 v2, v90, v245, -v2
	v_add_f32_e32 v1, v1, v2
	v_mul_f32_e32 v2, v93, v248
	v_fma_f32 v2, v92, v247, -v2
	v_add_f32_e32 v1, v1, v2
	v_mul_f32_e32 v2, v95, v250
	v_fma_f32 v2, v94, v249, -v2
	v_add_f32_e32 v1, v1, v2
	v_mul_f32_e32 v2, v97, v252
	v_fma_f32 v2, v96, v251, -v2
	s_waitcnt vmcnt(15)
	v_mov_b32_e32 v16, v109
	s_waitcnt lgkmcnt(1)
	v_mul_f32_e32 v113, v98, v254
	v_add_f32_e32 v110, v1, v2
	v_mul_f32_e32 v1, v99, v254
	s_waitcnt lgkmcnt(0)
	v_pk_mul_f32 v[16:17], v[104:105], v[16:17] op_sel_hi:[1,0]
	v_fmac_f32_e32 v113, v99, v253
	v_mul_f32_e32 v115, v100, v180
	v_fma_f32 v112, v98, v253, -v1
	v_mul_f32_e32 v1, v101, v180
	s_waitcnt vmcnt(14)
	v_pk_fma_f32 v[18:19], v[104:105], v[108:109], v[16:17] op_sel:[0,0,1] op_sel_hi:[1,1,0] neg_lo:[0,0,1] neg_hi:[0,0,1]
	v_pk_fma_f32 v[16:17], v[104:105], v[108:109], v[16:17] op_sel:[0,0,1] op_sel_hi:[1,0,0]
	v_fmac_f32_e32 v115, v101, v255
	v_fma_f32 v114, v100, v255, -v1
	v_pk_add_f32 v[14:15], v[110:111], v[112:113]
	s_waitcnt vmcnt(7)
	v_mov_b32_e32 v16, v123
	ds_read2_b64 v[2:5], v240 offset0:117 offset1:118
	ds_read2_b64 v[6:9], v240 offset0:119 offset1:120
	;; [unrolled: 1-line block ×3, first 2 shown]
	v_pk_add_f32 v[14:15], v[14:15], v[114:115]
	v_mov_b32_e32 v19, v17
	v_pk_mul_f32 v[16:17], v[106:107], v[16:17] op_sel_hi:[1,0]
	v_pk_add_f32 v[14:15], v[14:15], v[18:19]
	s_waitcnt vmcnt(6)
	v_pk_fma_f32 v[18:19], v[106:107], v[122:123], v[16:17] op_sel:[0,0,1] op_sel_hi:[1,1,0] neg_lo:[0,0,1] neg_hi:[0,0,1]
	v_pk_fma_f32 v[16:17], v[106:107], v[122:123], v[16:17] op_sel:[0,0,1] op_sel_hi:[1,0,0]
	v_mov_b32_e32 v16, v121
	v_mov_b32_e32 v19, v17
	s_waitcnt lgkmcnt(2)
	v_pk_mul_f32 v[16:17], v[2:3], v[16:17] op_sel_hi:[1,0]
	v_pk_add_f32 v[14:15], v[14:15], v[18:19]
	v_pk_fma_f32 v[18:19], v[2:3], v[120:121], v[16:17] op_sel:[0,0,1] op_sel_hi:[1,1,0] neg_lo:[0,0,1] neg_hi:[0,0,1]
	v_pk_fma_f32 v[2:3], v[2:3], v[120:121], v[16:17] op_sel:[0,0,1] op_sel_hi:[1,0,0]
	v_mov_b32_e32 v19, v3
	v_pk_add_f32 v[2:3], v[14:15], v[18:19]
	v_mov_b32_e32 v14, v119
	v_pk_mul_f32 v[14:15], v[4:5], v[14:15] op_sel_hi:[1,0]
	v_pk_fma_f32 v[16:17], v[4:5], v[118:119], v[14:15] op_sel:[0,0,1] op_sel_hi:[1,1,0] neg_lo:[0,0,1] neg_hi:[0,0,1]
	v_pk_fma_f32 v[4:5], v[4:5], v[118:119], v[14:15] op_sel:[0,0,1] op_sel_hi:[1,0,0]
	v_mov_b32_e32 v4, v117
	v_mov_b32_e32 v17, v5
	s_waitcnt lgkmcnt(1)
	v_pk_mul_f32 v[4:5], v[6:7], v[4:5] op_sel_hi:[1,0]
	v_pk_fma_f32 v[14:15], v[6:7], v[116:117], v[4:5] op_sel:[0,0,1] op_sel_hi:[1,1,0] neg_lo:[0,0,1] neg_hi:[0,0,1]
	v_pk_fma_f32 v[4:5], v[6:7], v[116:117], v[4:5] op_sel:[0,0,1] op_sel_hi:[1,0,0]
	s_waitcnt vmcnt(1)
	v_mov_b32_e32 v4, v129
	v_mov_b32_e32 v15, v5
	v_pk_mul_f32 v[4:5], v[8:9], v[4:5] op_sel_hi:[1,0]
	s_waitcnt vmcnt(0)
	v_pk_fma_f32 v[6:7], v[8:9], v[128:129], v[4:5] op_sel:[0,0,1] op_sel_hi:[1,1,0] neg_lo:[0,0,1] neg_hi:[0,0,1]
	v_pk_fma_f32 v[4:5], v[8:9], v[128:129], v[4:5] op_sel:[0,0,1] op_sel_hi:[1,0,0]
	v_pk_add_f32 v[2:3], v[2:3], v[16:17]
	v_mov_b32_e32 v4, v127
	v_pk_add_f32 v[2:3], v[2:3], v[14:15]
	v_mov_b32_e32 v7, v5
	s_waitcnt lgkmcnt(0)
	v_pk_mul_f32 v[4:5], v[10:11], v[4:5] op_sel_hi:[1,0]
	v_pk_add_f32 v[2:3], v[2:3], v[6:7]
	v_pk_fma_f32 v[6:7], v[10:11], v[126:127], v[4:5] op_sel:[0,0,1] op_sel_hi:[1,1,0] neg_lo:[0,0,1] neg_hi:[0,0,1]
	v_pk_fma_f32 v[4:5], v[10:11], v[126:127], v[4:5] op_sel:[0,0,1] op_sel_hi:[1,0,0]
	v_mov_b32_e32 v4, v125
	v_mov_b32_e32 v7, v5
	v_pk_mul_f32 v[4:5], v[12:13], v[4:5] op_sel_hi:[1,0]
	v_pk_add_f32 v[2:3], v[2:3], v[6:7]
	v_pk_fma_f32 v[6:7], v[12:13], v[124:125], v[4:5] op_sel:[0,0,1] op_sel_hi:[1,1,0] neg_lo:[0,0,1] neg_hi:[0,0,1]
	v_pk_fma_f32 v[4:5], v[12:13], v[124:125], v[4:5] op_sel:[0,0,1] op_sel_hi:[1,0,0]
	v_mov_b32_e32 v7, v5
	v_pk_add_f32 v[2:3], v[2:3], v[6:7]
	v_pk_add_f32 v[2:3], v[42:43], v[2:3] neg_lo:[0,1] neg_hi:[0,1]
	buffer_store_dword v3, off, s[0:3], 0 offset:52
	buffer_store_dword v2, off, s[0:3], 0 offset:48
	s_and_saveexec_b64 s[4:5], vcc
	s_cbranch_execz .LBB60_369
; %bb.368:
	buffer_load_dword v2, off, s[0:3], 0 offset:40
	buffer_load_dword v3, off, s[0:3], 0 offset:44
	v_mov_b32_e32 v1, 0
	buffer_store_dword v1, off, s[0:3], 0 offset:40
	buffer_store_dword v1, off, s[0:3], 0 offset:44
	s_waitcnt vmcnt(2)
	ds_write_b64 v199, v[2:3]
.LBB60_369:
	s_or_b64 exec, exec, s[4:5]
	s_waitcnt lgkmcnt(0)
	; wave barrier
	s_waitcnt lgkmcnt(0)
	buffer_load_dword v57, off, s[0:3], 0 offset:52
	buffer_load_dword v56, off, s[0:3], 0 offset:60
	;; [unrolled: 1-line block ×48, first 2 shown]
	v_mov_b32_e32 v52, 0
	ds_read_b128 v[22:25], v52 offset:544
	ds_read_b128 v[18:21], v52 offset:560
	;; [unrolled: 1-line block ×6, first 2 shown]
	v_cmp_lt_u32_e32 vcc, 4, v0
	s_waitcnt vmcnt(47) lgkmcnt(5)
	v_mul_f32_e32 v26, v22, v57
	s_waitcnt vmcnt(46)
	v_mul_f32_e32 v27, v24, v56
	s_waitcnt vmcnt(45) lgkmcnt(4)
	v_mul_f32_e32 v29, v20, v55
	s_waitcnt vmcnt(44) lgkmcnt(3)
	v_mul_f32_e32 v30, v14, v54
	s_waitcnt vmcnt(43)
	v_mul_f32_e32 v31, v16, v1
	s_waitcnt vmcnt(42)
	v_mul_f32_e32 v28, v18, v58
	s_waitcnt vmcnt(41) lgkmcnt(2)
	v_mul_f32_e32 v32, v10, v53
	s_waitcnt vmcnt(40)
	v_mul_f32_e32 v33, v12, v59
	s_waitcnt vmcnt(39) lgkmcnt(1)
	;; [unrolled: 4-line block ×3, first 2 shown]
	v_mul_f32_e32 v36, v2, v62
	s_waitcnt vmcnt(36)
	v_mul_f32_e32 v37, v4, v63
	s_waitcnt vmcnt(35)
	v_fmac_f32_e32 v28, v19, v69
	s_waitcnt vmcnt(34)
	v_fmac_f32_e32 v27, v25, v72
	;; [unrolled: 2-line block ×3, first 2 shown]
	v_add_f32_e32 v26, 0, v26
	v_add_f32_e32 v26, v26, v27
	;; [unrolled: 1-line block ×3, first 2 shown]
	s_waitcnt vmcnt(29)
	v_fmac_f32_e32 v29, v21, v74
	v_fmac_f32_e32 v30, v15, v71
	v_add_f32_e32 v26, v26, v29
	v_fmac_f32_e32 v31, v17, v68
	v_add_f32_e32 v26, v26, v30
	;; [unrolled: 2-line block ×3, first 2 shown]
	s_waitcnt vmcnt(25)
	v_fmac_f32_e32 v33, v13, v70
	v_add_f32_e32 v26, v26, v32
	v_fmac_f32_e32 v34, v7, v67
	v_add_f32_e32 v26, v26, v33
	;; [unrolled: 2-line block ×4, first 2 shown]
	s_waitcnt vmcnt(21)
	v_fmac_f32_e32 v37, v5, v81
	v_add_f32_e32 v30, v30, v36
	ds_read_b128 v[26:29], v52 offset:640
	v_add_f32_e32 v34, v30, v37
	ds_read_b128 v[30:33], v52 offset:656
	buffer_load_dword v167, off, s[0:3], 0 offset:232
	buffer_load_dword v168, off, s[0:3], 0 offset:236
	;; [unrolled: 1-line block ×6, first 2 shown]
	s_waitcnt vmcnt(26) lgkmcnt(1)
	v_mul_f32_e32 v35, v26, v80
	v_fmac_f32_e32 v35, v27, v78
	buffer_load_dword v173, off, s[0:3], 0 offset:256
	buffer_load_dword v174, off, s[0:3], 0 offset:260
	v_add_f32_e32 v34, v34, v35
	s_waitcnt vmcnt(27)
	v_mul_f32_e32 v35, v28, v79
	v_fmac_f32_e32 v35, v29, v76
	v_add_f32_e32 v34, v34, v35
	s_waitcnt vmcnt(26) lgkmcnt(0)
	v_mul_f32_e32 v35, v30, v77
	v_fmac_f32_e32 v35, v31, v73
	buffer_load_dword v175, off, s[0:3], 0 offset:264
	buffer_load_dword v176, off, s[0:3], 0 offset:268
	v_add_f32_e32 v34, v34, v35
	s_waitcnt vmcnt(21)
	v_mul_f32_e32 v35, v32, v140
	s_waitcnt vmcnt(20)
	v_fmac_f32_e32 v35, v33, v142
	v_add_f32_e32 v42, v34, v35
	ds_read_b128 v[34:37], v52 offset:672
	buffer_load_dword v177, off, s[0:3], 0 offset:272
	buffer_load_dword v178, off, s[0:3], 0 offset:276
	ds_read_b128 v[38:41], v52 offset:688
	buffer_load_dword v179, off, s[0:3], 0 offset:280
	buffer_load_dword v180, off, s[0:3], 0 offset:284
	;; [unrolled: 1-line block ×12, first 2 shown]
	s_waitcnt lgkmcnt(1)
	v_mul_f32_e32 v43, v34, v83
	v_fmac_f32_e32 v43, v35, v82
	buffer_load_dword v233, off, s[0:3], 0 offset:328
	buffer_load_dword v234, off, s[0:3], 0 offset:332
	v_add_f32_e32 v42, v42, v43
	v_mul_f32_e32 v43, v36, v85
	v_fmac_f32_e32 v43, v37, v84
	v_add_f32_e32 v42, v42, v43
	s_waitcnt lgkmcnt(0)
	v_mul_f32_e32 v43, v38, v87
	buffer_load_dword v235, off, s[0:3], 0 offset:336
	buffer_load_dword v236, off, s[0:3], 0 offset:340
	v_fmac_f32_e32 v43, v39, v86
	v_add_f32_e32 v46, v42, v43
	ds_read_b128 v[42:45], v52 offset:704
	buffer_load_dword v237, off, s[0:3], 0 offset:344
	buffer_load_dword v238, off, s[0:3], 0 offset:348
	;; [unrolled: 1-line block ×4, first 2 shown]
	s_waitcnt vmcnt(38)
	v_mul_f32_e32 v47, v40, v160
	v_fmac_f32_e32 v47, v41, v88
	v_add_f32_e32 v89, v46, v47
	ds_read_b128 v[46:49], v52 offset:720
	buffer_load_dword v241, off, s[0:3], 0 offset:360
	buffer_load_dword v242, off, s[0:3], 0 offset:364
	;; [unrolled: 1-line block ×10, first 2 shown]
	s_waitcnt vmcnt(46) lgkmcnt(1)
	v_mul_f32_e32 v90, v42, v162
	v_fmac_f32_e32 v90, v43, v161
	v_add_f32_e32 v89, v89, v90
	s_waitcnt vmcnt(44)
	v_mul_f32_e32 v90, v44, v164
	v_fmac_f32_e32 v90, v45, v163
	v_add_f32_e32 v89, v89, v90
	s_waitcnt vmcnt(42) lgkmcnt(0)
	v_mul_f32_e32 v90, v46, v166
	v_fmac_f32_e32 v90, v47, v165
	v_add_f32_e32 v89, v89, v90
	buffer_load_dword v251, off, s[0:3], 0 offset:400
	buffer_load_dword v252, off, s[0:3], 0 offset:404
	;; [unrolled: 1-line block ×6, first 2 shown]
	ds_read_b128 v[90:93], v52 offset:736
	v_mul_f32_e32 v23, v23, v57
	v_fma_f32 v22, v22, v75, -v23
	v_mul_f32_e32 v23, v25, v56
	v_add_f32_e32 v22, 0, v22
	v_fma_f32 v23, v24, v72, -v23
	v_mul_f32_e32 v19, v19, v58
	v_add_f32_e32 v22, v22, v23
	;; [unrolled: 3-line block ×6, first 2 shown]
	v_fma_f32 v10, v10, v66, -v11
	s_waitcnt vmcnt(46)
	v_mul_f32_e32 v94, v48, v168
	v_fmac_f32_e32 v94, v49, v167
	v_add_f32_e32 v89, v89, v94
	ds_read_b128 v[94:97], v52 offset:752
	s_waitcnt vmcnt(44) lgkmcnt(1)
	v_mul_f32_e32 v98, v90, v170
	v_fmac_f32_e32 v98, v91, v169
	v_add_f32_e32 v89, v89, v98
	s_waitcnt vmcnt(42)
	v_mul_f32_e32 v98, v92, v172
	v_fmac_f32_e32 v98, v93, v171
	v_add_f32_e32 v89, v89, v98
	s_waitcnt vmcnt(40) lgkmcnt(0)
	v_mul_f32_e32 v98, v94, v174
	v_fmac_f32_e32 v98, v95, v173
	v_add_f32_e32 v89, v89, v98
	ds_read_b128 v[98:101], v52 offset:768
	s_waitcnt vmcnt(38)
	v_mul_f32_e32 v104, v96, v176
	v_fmac_f32_e32 v104, v97, v175
	v_add_f32_e32 v89, v89, v104
	ds_read_b128 v[104:107], v52 offset:784
	s_waitcnt vmcnt(36) lgkmcnt(1)
	v_mul_f32_e32 v108, v98, v178
	v_fmac_f32_e32 v108, v99, v177
	v_add_f32_e32 v89, v89, v108
	s_waitcnt vmcnt(34)
	v_mul_f32_e32 v108, v100, v180
	v_fmac_f32_e32 v108, v101, v179
	v_add_f32_e32 v89, v89, v108
	s_waitcnt vmcnt(32) lgkmcnt(0)
	v_mul_f32_e32 v108, v104, v224
	v_fmac_f32_e32 v108, v105, v181
	v_add_f32_e32 v89, v89, v108
	ds_read_b128 v[108:111], v52 offset:800
	;; [unrolled: 18-line block ×4, first 2 shown]
	s_waitcnt vmcnt(14)
	v_mul_f32_e32 v128, v122, v242
	v_fmac_f32_e32 v128, v123, v241
	v_add_f32_e32 v89, v89, v128
	ds_read_b128 v[128:131], v52 offset:880
	s_waitcnt vmcnt(12) lgkmcnt(1)
	v_mul_f32_e32 v132, v124, v244
	v_fmac_f32_e32 v132, v125, v243
	v_add_f32_e32 v89, v89, v132
	s_waitcnt vmcnt(10)
	v_mul_f32_e32 v132, v126, v246
	v_fmac_f32_e32 v132, v127, v245
	v_add_f32_e32 v89, v89, v132
	s_waitcnt vmcnt(8) lgkmcnt(0)
	v_mul_f32_e32 v132, v128, v248
	v_fmac_f32_e32 v132, v129, v247
	s_waitcnt vmcnt(6)
	v_mul_f32_e32 v136, v130, v250
	v_add_f32_e32 v1, v1, v10
	v_mul_f32_e32 v10, v13, v59
	v_add_f32_e32 v89, v89, v132
	v_fmac_f32_e32 v136, v131, v249
	v_fma_f32 v10, v12, v70, -v10
	v_mul_f32_e32 v7, v7, v60
	ds_read_b128 v[132:135], v52 offset:896
	v_add_f32_e32 v89, v89, v136
	ds_read_b128 v[136:139], v52 offset:912
	buffer_load_dword v145, off, s[0:3], 0 offset:452
	buffer_load_dword v144, off, s[0:3], 0 offset:448
	;; [unrolled: 1-line block ×16, first 2 shown]
	v_add_f32_e32 v1, v1, v10
	v_fma_f32 v6, v6, v67, -v7
	v_add_f32_e32 v1, v1, v6
	v_mul_f32_e32 v6, v9, v61
	v_fma_f32 v6, v8, v65, -v6
	v_mul_f32_e32 v3, v3, v62
	v_add_f32_e32 v1, v1, v6
	v_fma_f32 v2, v2, v64, -v3
	v_add_f32_e32 v1, v1, v2
	v_mul_f32_e32 v2, v5, v63
	v_fma_f32 v2, v4, v81, -v2
	v_add_f32_e32 v1, v1, v2
	v_mul_f32_e32 v2, v27, v80
	;; [unrolled: 3-line block ×33, first 2 shown]
	v_fma_f32 v2, v130, v249, -v2
	s_waitcnt vmcnt(20) lgkmcnt(1)
	v_mul_f32_e32 v141, v132, v252
	v_add_f32_e32 v1, v1, v2
	v_mul_f32_e32 v2, v133, v252
	v_fmac_f32_e32 v141, v133, v251
	v_fma_f32 v2, v132, v251, -v2
	s_waitcnt vmcnt(9)
	v_mov_b32_e32 v18, v151
	v_add_f32_e32 v89, v89, v141
	v_mul_f32_e32 v141, v134, v254
	v_add_f32_e32 v88, v1, v2
	v_mul_f32_e32 v1, v135, v254
	s_waitcnt lgkmcnt(0)
	v_pk_mul_f32 v[18:19], v[138:139], v[18:19] op_sel_hi:[1,0]
	v_fmac_f32_e32 v141, v135, v253
	v_mul_f32_e32 v143, v136, v182
	v_fma_f32 v140, v134, v253, -v1
	v_mul_f32_e32 v1, v137, v182
	ds_read_b128 v[2:5], v52 offset:928
	ds_read_b128 v[6:9], v52 offset:944
	;; [unrolled: 1-line block ×3, first 2 shown]
	ds_read_b64 v[14:15], v52 offset:976
	s_waitcnt vmcnt(8)
	v_pk_fma_f32 v[20:21], v[138:139], v[150:151], v[18:19] op_sel:[0,0,1] op_sel_hi:[1,1,0] neg_lo:[0,0,1] neg_hi:[0,0,1]
	v_pk_fma_f32 v[18:19], v[138:139], v[150:151], v[18:19] op_sel:[0,0,1] op_sel_hi:[1,0,0]
	v_fmac_f32_e32 v143, v137, v255
	v_fma_f32 v142, v136, v255, -v1
	v_pk_add_f32 v[16:17], v[88:89], v[140:141]
	v_mov_b32_e32 v18, v149
	v_pk_add_f32 v[16:17], v[16:17], v[142:143]
	v_mov_b32_e32 v21, v19
	s_waitcnt lgkmcnt(3)
	v_pk_mul_f32 v[18:19], v[2:3], v[18:19] op_sel_hi:[1,0]
	v_pk_add_f32 v[16:17], v[16:17], v[20:21]
	v_pk_fma_f32 v[20:21], v[2:3], v[148:149], v[18:19] op_sel:[0,0,1] op_sel_hi:[1,1,0] neg_lo:[0,0,1] neg_hi:[0,0,1]
	v_pk_fma_f32 v[2:3], v[2:3], v[148:149], v[18:19] op_sel:[0,0,1] op_sel_hi:[1,0,0]
	v_mov_b32_e32 v21, v3
	v_pk_add_f32 v[2:3], v[16:17], v[20:21]
	v_mov_b32_e32 v16, v147
	v_pk_mul_f32 v[16:17], v[4:5], v[16:17] op_sel_hi:[1,0]
	v_pk_fma_f32 v[18:19], v[4:5], v[146:147], v[16:17] op_sel:[0,0,1] op_sel_hi:[1,1,0] neg_lo:[0,0,1] neg_hi:[0,0,1]
	v_pk_fma_f32 v[4:5], v[4:5], v[146:147], v[16:17] op_sel:[0,0,1] op_sel_hi:[1,0,0]
	v_mov_b32_e32 v4, v145
	v_mov_b32_e32 v19, v5
	s_waitcnt lgkmcnt(2)
	v_pk_mul_f32 v[4:5], v[6:7], v[4:5] op_sel_hi:[1,0]
	v_pk_fma_f32 v[16:17], v[6:7], v[144:145], v[4:5] op_sel:[0,0,1] op_sel_hi:[1,1,0] neg_lo:[0,0,1] neg_hi:[0,0,1]
	v_pk_fma_f32 v[4:5], v[6:7], v[144:145], v[4:5] op_sel:[0,0,1] op_sel_hi:[1,0,0]
	s_waitcnt vmcnt(1)
	v_mov_b32_e32 v4, v159
	v_mov_b32_e32 v17, v5
	v_pk_mul_f32 v[4:5], v[8:9], v[4:5] op_sel_hi:[1,0]
	s_waitcnt vmcnt(0)
	v_pk_fma_f32 v[6:7], v[8:9], v[158:159], v[4:5] op_sel:[0,0,1] op_sel_hi:[1,1,0] neg_lo:[0,0,1] neg_hi:[0,0,1]
	v_pk_fma_f32 v[4:5], v[8:9], v[158:159], v[4:5] op_sel:[0,0,1] op_sel_hi:[1,0,0]
	v_pk_add_f32 v[2:3], v[2:3], v[18:19]
	v_mov_b32_e32 v4, v157
	v_pk_add_f32 v[2:3], v[2:3], v[16:17]
	v_mov_b32_e32 v7, v5
	s_waitcnt lgkmcnt(1)
	v_pk_mul_f32 v[4:5], v[10:11], v[4:5] op_sel_hi:[1,0]
	v_pk_add_f32 v[2:3], v[2:3], v[6:7]
	v_pk_fma_f32 v[6:7], v[10:11], v[156:157], v[4:5] op_sel:[0,0,1] op_sel_hi:[1,1,0] neg_lo:[0,0,1] neg_hi:[0,0,1]
	v_pk_fma_f32 v[4:5], v[10:11], v[156:157], v[4:5] op_sel:[0,0,1] op_sel_hi:[1,0,0]
	v_mov_b32_e32 v4, v155
	v_mov_b32_e32 v7, v5
	v_pk_mul_f32 v[4:5], v[12:13], v[4:5] op_sel_hi:[1,0]
	v_pk_add_f32 v[2:3], v[2:3], v[6:7]
	v_pk_fma_f32 v[6:7], v[12:13], v[154:155], v[4:5] op_sel:[0,0,1] op_sel_hi:[1,1,0] neg_lo:[0,0,1] neg_hi:[0,0,1]
	v_pk_fma_f32 v[4:5], v[12:13], v[154:155], v[4:5] op_sel:[0,0,1] op_sel_hi:[1,0,0]
	v_mov_b32_e32 v4, v153
	v_mov_b32_e32 v7, v5
	s_waitcnt lgkmcnt(0)
	v_pk_mul_f32 v[4:5], v[14:15], v[4:5] op_sel_hi:[1,0]
	v_pk_add_f32 v[2:3], v[2:3], v[6:7]
	v_pk_fma_f32 v[6:7], v[14:15], v[152:153], v[4:5] op_sel:[0,0,1] op_sel_hi:[1,1,0] neg_lo:[0,0,1] neg_hi:[0,0,1]
	v_pk_fma_f32 v[4:5], v[14:15], v[152:153], v[4:5] op_sel:[0,0,1] op_sel_hi:[1,0,0]
	v_mov_b32_e32 v7, v5
	v_pk_add_f32 v[2:3], v[2:3], v[6:7]
	v_pk_add_f32 v[2:3], v[50:51], v[2:3] neg_lo:[0,1] neg_hi:[0,1]
	buffer_store_dword v3, off, s[0:3], 0 offset:44
	buffer_store_dword v2, off, s[0:3], 0 offset:40
	s_and_saveexec_b64 s[4:5], vcc
	s_cbranch_execz .LBB60_371
; %bb.370:
	buffer_load_dword v2, off, s[0:3], 0 offset:32
	buffer_load_dword v3, off, s[0:3], 0 offset:36
	s_waitcnt vmcnt(0)
	ds_write_b64 v199, v[2:3]
	buffer_store_dword v52, off, s[0:3], 0 offset:32
	buffer_store_dword v52, off, s[0:3], 0 offset:36
.LBB60_371:
	s_or_b64 exec, exec, s[4:5]
	s_waitcnt lgkmcnt(0)
	; wave barrier
	s_waitcnt lgkmcnt(0)
	buffer_load_dword v57, off, s[0:3], 0 offset:44
	buffer_load_dword v56, off, s[0:3], 0 offset:52
	;; [unrolled: 1-line block ×40, first 2 shown]
	ds_read2_b64 v[26:29], v52 offset0:67 offset1:68
	ds_read2_b64 v[22:25], v52 offset0:69 offset1:70
	;; [unrolled: 1-line block ×7, first 2 shown]
	buffer_load_dword v90, off, s[0:3], 0 offset:192
	buffer_load_dword v91, off, s[0:3], 0 offset:196
	;; [unrolled: 1-line block ×10, first 2 shown]
	v_cmp_lt_u32_e32 vcc, 3, v0
	s_waitcnt vmcnt(49) lgkmcnt(6)
	v_mul_f32_e32 v30, v26, v57
	s_waitcnt vmcnt(48)
	v_mul_f32_e32 v31, v28, v56
	s_waitcnt vmcnt(47) lgkmcnt(5)
	v_mul_f32_e32 v33, v24, v55
	s_waitcnt vmcnt(46) lgkmcnt(4)
	v_mul_f32_e32 v34, v18, v54
	s_waitcnt vmcnt(45)
	v_mul_f32_e32 v35, v20, v1
	s_waitcnt vmcnt(44)
	v_mul_f32_e32 v32, v22, v58
	s_waitcnt vmcnt(43) lgkmcnt(3)
	v_mul_f32_e32 v36, v14, v53
	s_waitcnt vmcnt(42)
	v_mul_f32_e32 v37, v16, v59
	s_waitcnt vmcnt(41) lgkmcnt(2)
	;; [unrolled: 4-line block ×3, first 2 shown]
	v_mul_f32_e32 v40, v6, v62
	s_waitcnt vmcnt(38)
	v_mul_f32_e32 v41, v8, v63
	s_waitcnt vmcnt(37)
	v_fmac_f32_e32 v32, v23, v69
	s_waitcnt vmcnt(36)
	v_fmac_f32_e32 v31, v29, v72
	;; [unrolled: 2-line block ×3, first 2 shown]
	v_add_f32_e32 v30, 0, v30
	v_add_f32_e32 v30, v30, v31
	;; [unrolled: 1-line block ×3, first 2 shown]
	s_waitcnt vmcnt(31)
	v_fmac_f32_e32 v33, v25, v74
	v_fmac_f32_e32 v34, v19, v71
	v_add_f32_e32 v30, v30, v33
	v_fmac_f32_e32 v35, v21, v68
	v_add_f32_e32 v30, v30, v34
	;; [unrolled: 2-line block ×3, first 2 shown]
	s_waitcnt vmcnt(27)
	v_fmac_f32_e32 v37, v17, v70
	v_add_f32_e32 v30, v30, v36
	v_fmac_f32_e32 v38, v11, v67
	v_add_f32_e32 v30, v30, v37
	;; [unrolled: 2-line block ×4, first 2 shown]
	s_waitcnt vmcnt(23)
	v_fmac_f32_e32 v41, v9, v81
	v_add_f32_e32 v30, v30, v40
	v_add_f32_e32 v34, v30, v41
	ds_read2_b64 v[30:33], v52 offset0:81 offset1:82
	s_waitcnt vmcnt(22) lgkmcnt(1)
	v_mul_f32_e32 v35, v2, v80
	buffer_load_dword v169, off, s[0:3], 0 offset:232
	buffer_load_dword v170, off, s[0:3], 0 offset:236
	v_fmac_f32_e32 v35, v3, v78
	v_add_f32_e32 v34, v34, v35
	s_waitcnt vmcnt(23)
	v_mul_f32_e32 v35, v4, v79
	buffer_load_dword v171, off, s[0:3], 0 offset:240
	buffer_load_dword v172, off, s[0:3], 0 offset:244
	v_fmac_f32_e32 v35, v5, v76
	v_add_f32_e32 v34, v34, v35
	s_waitcnt vmcnt(24) lgkmcnt(0)
	v_mul_f32_e32 v35, v30, v77
	buffer_load_dword v173, off, s[0:3], 0 offset:248
	buffer_load_dword v174, off, s[0:3], 0 offset:252
	v_fmac_f32_e32 v35, v31, v73
	v_add_f32_e32 v38, v34, v35
	s_waitcnt vmcnt(19)
	v_mul_f32_e32 v39, v32, v89
	ds_read2_b64 v[34:37], v52 offset0:83 offset1:84
	buffer_load_dword v175, off, s[0:3], 0 offset:256
	buffer_load_dword v176, off, s[0:3], 0 offset:260
	s_waitcnt vmcnt(20)
	v_fmac_f32_e32 v39, v33, v88
	v_add_f32_e32 v42, v38, v39
	ds_read2_b64 v[38:41], v52 offset0:85 offset1:86
	buffer_load_dword v177, off, s[0:3], 0 offset:264
	buffer_load_dword v178, off, s[0:3], 0 offset:268
	;; [unrolled: 1-line block ×8, first 2 shown]
	s_waitcnt lgkmcnt(1)
	v_mul_f32_e32 v43, v34, v83
	buffer_load_dword v225, off, s[0:3], 0 offset:296
	buffer_load_dword v226, off, s[0:3], 0 offset:300
	v_fmac_f32_e32 v43, v35, v82
	v_add_f32_e32 v42, v42, v43
	v_mul_f32_e32 v43, v36, v85
	buffer_load_dword v227, off, s[0:3], 0 offset:304
	buffer_load_dword v228, off, s[0:3], 0 offset:308
	v_fmac_f32_e32 v43, v37, v84
	v_add_f32_e32 v42, v42, v43
	s_waitcnt lgkmcnt(0)
	v_mul_f32_e32 v43, v38, v87
	buffer_load_dword v229, off, s[0:3], 0 offset:312
	buffer_load_dword v230, off, s[0:3], 0 offset:316
	v_fmac_f32_e32 v43, v39, v86
	v_add_f32_e32 v42, v42, v43
	s_waitcnt vmcnt(30)
	v_mul_f32_e32 v43, v40, v91
	buffer_load_dword v231, off, s[0:3], 0 offset:320
	buffer_load_dword v232, off, s[0:3], 0 offset:324
	v_fmac_f32_e32 v43, v41, v90
	v_add_f32_e32 v95, v42, v43
	ds_read2_b64 v[42:45], v52 offset0:87 offset1:88
	buffer_load_dword v233, off, s[0:3], 0 offset:328
	buffer_load_dword v234, off, s[0:3], 0 offset:332
	ds_read2_b64 v[46:49], v52 offset0:89 offset1:90
	buffer_load_dword v235, off, s[0:3], 0 offset:336
	buffer_load_dword v236, off, s[0:3], 0 offset:340
	;; [unrolled: 1-line block ×10, first 2 shown]
	s_waitcnt vmcnt(42) lgkmcnt(1)
	v_mul_f32_e32 v96, v42, v93
	buffer_load_dword v245, off, s[0:3], 0 offset:376
	buffer_load_dword v246, off, s[0:3], 0 offset:380
	v_fmac_f32_e32 v96, v43, v92
	v_add_f32_e32 v95, v95, v96
	s_waitcnt vmcnt(42)
	v_mul_f32_e32 v96, v44, v100
	buffer_load_dword v247, off, s[0:3], 0 offset:384
	buffer_load_dword v248, off, s[0:3], 0 offset:388
	v_fmac_f32_e32 v96, v45, v94
	v_add_f32_e32 v95, v95, v96
	s_waitcnt vmcnt(42) lgkmcnt(0)
	v_mul_f32_e32 v96, v46, v166
	buffer_load_dword v249, off, s[0:3], 0 offset:392
	buffer_load_dword v250, off, s[0:3], 0 offset:396
	v_fmac_f32_e32 v96, v47, v154
	v_mul_f32_e32 v27, v27, v57
	v_add_f32_e32 v95, v95, v96
	ds_read2_b64 v[96:99], v52 offset0:91 offset1:92
	buffer_load_dword v251, off, s[0:3], 0 offset:400
	buffer_load_dword v252, off, s[0:3], 0 offset:404
	v_fma_f32 v26, v26, v75, -v27
	v_mul_f32_e32 v27, v29, v56
	v_add_f32_e32 v26, 0, v26
	v_fma_f32 v27, v28, v72, -v27
	v_mul_f32_e32 v23, v23, v58
	v_add_f32_e32 v26, v26, v27
	v_fma_f32 v22, v22, v69, -v23
	v_mul_f32_e32 v23, v25, v55
	buffer_load_dword v253, off, s[0:3], 0 offset:408
	buffer_load_dword v254, off, s[0:3], 0 offset:412
	v_add_f32_e32 v22, v26, v22
	v_fma_f32 v23, v24, v74, -v23
	v_mul_f32_e32 v19, v19, v54
	ds_read2_b64 v[104:107], v52 offset0:93 offset1:94
	buffer_load_dword v255, off, s[0:3], 0 offset:416
	buffer_load_dword v184, off, s[0:3], 0 offset:420
	ds_read2_b64 v[108:111], v52 offset0:95 offset1:96
	ds_read2_b64 v[112:115], v52 offset0:97 offset1:98
	;; [unrolled: 1-line block ×10, first 2 shown]
	buffer_load_dword v149, off, s[0:3], 0 offset:444
	buffer_load_dword v148, off, s[0:3], 0 offset:440
	;; [unrolled: 1-line block ×6, first 2 shown]
	v_add_f32_e32 v22, v22, v23
	v_fma_f32 v18, v18, v71, -v19
	v_mul_f32_e32 v1, v21, v1
	v_add_f32_e32 v18, v22, v18
	v_fma_f32 v1, v20, v68, -v1
	v_mul_f32_e32 v15, v15, v53
	v_add_f32_e32 v1, v18, v1
	v_fma_f32 v14, v14, v66, -v15
	v_add_f32_e32 v1, v1, v14
	v_mul_f32_e32 v14, v17, v59
	v_fma_f32 v14, v16, v70, -v14
	v_mul_f32_e32 v11, v11, v60
	v_add_f32_e32 v1, v1, v14
	v_fma_f32 v10, v10, v67, -v11
	v_add_f32_e32 v1, v1, v10
	v_mul_f32_e32 v10, v13, v61
	;; [unrolled: 6-line block ×3, first 2 shown]
	v_fma_f32 v6, v8, v81, -v6
	v_mul_f32_e32 v3, v3, v80
	v_add_f32_e32 v1, v1, v6
	v_fma_f32 v2, v2, v78, -v3
	buffer_load_dword v157, off, s[0:3], 0 offset:476
	buffer_load_dword v156, off, s[0:3], 0 offset:472
	buffer_load_dword v159, off, s[0:3], 0 offset:468
	buffer_load_dword v158, off, s[0:3], 0 offset:464
	buffer_load_dword v161, off, s[0:3], 0 offset:460
	buffer_load_dword v160, off, s[0:3], 0 offset:456
	buffer_load_dword v163, off, s[0:3], 0 offset:452
	buffer_load_dword v162, off, s[0:3], 0 offset:448
	buffer_load_dword v165, off, s[0:3], 0 offset:484
	buffer_load_dword v164, off, s[0:3], 0 offset:480
	v_add_f32_e32 v1, v1, v2
	v_mul_f32_e32 v2, v5, v79
	v_fma_f32 v2, v4, v76, -v2
	v_add_f32_e32 v1, v1, v2
	v_mul_f32_e32 v2, v31, v77
	v_fma_f32 v2, v30, v73, -v2
	;; [unrolled: 3-line block ×10, first 2 shown]
	v_add_f32_e32 v1, v1, v2
	s_waitcnt vmcnt(62)
	v_mul_f32_e32 v2, v49, v168
	v_mul_f32_e32 v101, v48, v168
	v_fma_f32 v2, v48, v167, -v2
	v_fmac_f32_e32 v101, v49, v167
	v_add_f32_e32 v1, v1, v2
	s_waitcnt lgkmcnt(11)
	v_mul_f32_e32 v2, v97, v170
	v_add_f32_e32 v95, v95, v101
	v_mul_f32_e32 v101, v96, v170
	v_fma_f32 v2, v96, v169, -v2
	v_fmac_f32_e32 v101, v97, v169
	v_add_f32_e32 v1, v1, v2
	s_waitcnt vmcnt(60)
	v_mul_f32_e32 v2, v99, v172
	v_add_f32_e32 v95, v95, v101
	v_mul_f32_e32 v101, v98, v172
	v_fma_f32 v2, v98, v171, -v2
	v_fmac_f32_e32 v101, v99, v171
	v_add_f32_e32 v1, v1, v2
	s_waitcnt vmcnt(58) lgkmcnt(10)
	v_mul_f32_e32 v2, v105, v174
	v_add_f32_e32 v95, v95, v101
	v_mul_f32_e32 v101, v104, v174
	v_fma_f32 v2, v104, v173, -v2
	v_fmac_f32_e32 v101, v105, v173
	v_add_f32_e32 v1, v1, v2
	s_waitcnt vmcnt(56)
	v_mul_f32_e32 v2, v107, v176
	v_add_f32_e32 v95, v95, v101
	v_mul_f32_e32 v101, v106, v176
	v_fma_f32 v2, v106, v175, -v2
	v_fmac_f32_e32 v101, v107, v175
	v_add_f32_e32 v1, v1, v2
	s_waitcnt vmcnt(54) lgkmcnt(9)
	v_mul_f32_e32 v2, v109, v178
	v_add_f32_e32 v95, v95, v101
	v_mul_f32_e32 v101, v108, v178
	v_fma_f32 v2, v108, v177, -v2
	v_fmac_f32_e32 v101, v109, v177
	v_add_f32_e32 v1, v1, v2
	s_waitcnt vmcnt(52)
	v_mul_f32_e32 v2, v111, v180
	v_add_f32_e32 v95, v95, v101
	v_mul_f32_e32 v101, v110, v180
	v_fma_f32 v2, v110, v179, -v2
	v_fmac_f32_e32 v101, v111, v179
	v_add_f32_e32 v1, v1, v2
	s_waitcnt vmcnt(50) lgkmcnt(8)
	v_mul_f32_e32 v2, v113, v182
	v_add_f32_e32 v95, v95, v101
	v_mul_f32_e32 v101, v112, v182
	v_fma_f32 v2, v112, v181, -v2
	v_fmac_f32_e32 v101, v113, v181
	v_add_f32_e32 v1, v1, v2
	s_waitcnt vmcnt(48)
	v_mul_f32_e32 v2, v115, v224
	v_add_f32_e32 v95, v95, v101
	v_mul_f32_e32 v101, v114, v224
	v_fma_f32 v2, v114, v183, -v2
	v_fmac_f32_e32 v101, v115, v183
	v_add_f32_e32 v1, v1, v2
	s_waitcnt vmcnt(46) lgkmcnt(7)
	v_mul_f32_e32 v2, v117, v226
	v_add_f32_e32 v95, v95, v101
	v_mul_f32_e32 v101, v116, v226
	v_fma_f32 v2, v116, v225, -v2
	v_fmac_f32_e32 v101, v117, v225
	v_add_f32_e32 v1, v1, v2
	s_waitcnt vmcnt(44)
	v_mul_f32_e32 v2, v119, v228
	v_add_f32_e32 v95, v95, v101
	v_mul_f32_e32 v101, v118, v228
	v_fma_f32 v2, v118, v227, -v2
	v_fmac_f32_e32 v101, v119, v227
	v_add_f32_e32 v1, v1, v2
	s_waitcnt vmcnt(42) lgkmcnt(6)
	v_mul_f32_e32 v2, v121, v230
	v_add_f32_e32 v95, v95, v101
	v_mul_f32_e32 v101, v120, v230
	v_fma_f32 v2, v120, v229, -v2
	v_fmac_f32_e32 v101, v121, v229
	v_add_f32_e32 v1, v1, v2
	s_waitcnt vmcnt(40)
	v_mul_f32_e32 v2, v123, v232
	v_add_f32_e32 v95, v95, v101
	v_mul_f32_e32 v101, v122, v232
	v_fma_f32 v2, v122, v231, -v2
	v_fmac_f32_e32 v101, v123, v231
	v_add_f32_e32 v1, v1, v2
	s_waitcnt vmcnt(38) lgkmcnt(5)
	v_mul_f32_e32 v2, v125, v234
	v_add_f32_e32 v95, v95, v101
	v_mul_f32_e32 v101, v124, v234
	v_fma_f32 v2, v124, v233, -v2
	v_fmac_f32_e32 v101, v125, v233
	v_add_f32_e32 v1, v1, v2
	s_waitcnt vmcnt(36)
	v_mul_f32_e32 v2, v127, v236
	v_add_f32_e32 v95, v95, v101
	v_mul_f32_e32 v101, v126, v236
	v_fma_f32 v2, v126, v235, -v2
	v_fmac_f32_e32 v101, v127, v235
	v_add_f32_e32 v1, v1, v2
	s_waitcnt vmcnt(34) lgkmcnt(4)
	v_mul_f32_e32 v2, v129, v238
	v_add_f32_e32 v95, v95, v101
	v_mul_f32_e32 v101, v128, v238
	v_fma_f32 v2, v128, v237, -v2
	v_fmac_f32_e32 v101, v129, v237
	v_add_f32_e32 v1, v1, v2
	s_waitcnt vmcnt(32)
	v_mul_f32_e32 v2, v131, v240
	v_add_f32_e32 v95, v95, v101
	v_mul_f32_e32 v101, v130, v240
	v_fma_f32 v2, v130, v239, -v2
	v_fmac_f32_e32 v101, v131, v239
	v_add_f32_e32 v1, v1, v2
	s_waitcnt vmcnt(30) lgkmcnt(3)
	v_mul_f32_e32 v2, v133, v242
	v_add_f32_e32 v95, v95, v101
	v_mul_f32_e32 v101, v132, v242
	v_fma_f32 v2, v132, v241, -v2
	v_fmac_f32_e32 v101, v133, v241
	v_add_f32_e32 v1, v1, v2
	s_waitcnt vmcnt(28)
	v_mul_f32_e32 v2, v135, v244
	v_add_f32_e32 v95, v95, v101
	v_mul_f32_e32 v101, v134, v244
	v_fma_f32 v2, v134, v243, -v2
	v_fmac_f32_e32 v101, v135, v243
	v_add_f32_e32 v1, v1, v2
	s_waitcnt vmcnt(26) lgkmcnt(2)
	v_mul_f32_e32 v2, v137, v246
	v_add_f32_e32 v95, v95, v101
	v_mul_f32_e32 v101, v136, v246
	v_fma_f32 v2, v136, v245, -v2
	v_fmac_f32_e32 v101, v137, v245
	v_add_f32_e32 v1, v1, v2
	s_waitcnt vmcnt(24)
	v_mul_f32_e32 v2, v139, v248
	v_add_f32_e32 v95, v95, v101
	v_mul_f32_e32 v101, v138, v248
	v_fma_f32 v2, v138, v247, -v2
	v_fmac_f32_e32 v101, v139, v247
	v_add_f32_e32 v1, v1, v2
	s_waitcnt vmcnt(22) lgkmcnt(1)
	v_mul_f32_e32 v2, v141, v250
	v_add_f32_e32 v95, v95, v101
	v_mul_f32_e32 v101, v140, v250
	v_fma_f32 v2, v140, v249, -v2
	v_fmac_f32_e32 v101, v141, v249
	v_add_f32_e32 v1, v1, v2
	s_waitcnt vmcnt(20)
	v_mul_f32_e32 v2, v143, v252
	v_add_f32_e32 v95, v95, v101
	v_mul_f32_e32 v101, v142, v252
	v_fma_f32 v2, v142, v251, -v2
	v_fmac_f32_e32 v101, v143, v251
	v_add_f32_e32 v94, v1, v2
	ds_read2_b64 v[2:5], v52 offset0:115 offset1:116
	ds_read2_b64 v[6:9], v52 offset0:117 offset1:118
	ds_read2_b64 v[10:13], v52 offset0:119 offset1:120
	ds_read2_b64 v[14:17], v52 offset0:121 offset1:122
	v_add_f32_e32 v95, v95, v101
	s_waitcnt vmcnt(18) lgkmcnt(4)
	v_mul_f32_e32 v101, v144, v254
	v_mul_f32_e32 v1, v145, v254
	s_waitcnt vmcnt(11)
	v_mov_b32_e32 v20, v153
	v_fmac_f32_e32 v101, v145, v253
	v_mul_f32_e32 v155, v146, v184
	v_fma_f32 v100, v144, v253, -v1
	v_mul_f32_e32 v1, v147, v184
	s_waitcnt lgkmcnt(3)
	v_pk_mul_f32 v[20:21], v[2:3], v[20:21] op_sel_hi:[1,0]
	v_fmac_f32_e32 v155, v147, v255
	v_fma_f32 v154, v146, v255, -v1
	v_pk_add_f32 v[18:19], v[94:95], v[100:101]
	s_waitcnt vmcnt(10)
	v_pk_fma_f32 v[22:23], v[2:3], v[152:153], v[20:21] op_sel:[0,0,1] op_sel_hi:[1,1,0] neg_lo:[0,0,1] neg_hi:[0,0,1]
	v_pk_fma_f32 v[2:3], v[2:3], v[152:153], v[20:21] op_sel:[0,0,1] op_sel_hi:[1,0,0]
	v_pk_add_f32 v[18:19], v[18:19], v[154:155]
	v_mov_b32_e32 v23, v3
	v_pk_add_f32 v[2:3], v[18:19], v[22:23]
	v_mov_b32_e32 v18, v151
	v_pk_mul_f32 v[18:19], v[4:5], v[18:19] op_sel_hi:[1,0]
	v_pk_fma_f32 v[20:21], v[4:5], v[150:151], v[18:19] op_sel:[0,0,1] op_sel_hi:[1,1,0] neg_lo:[0,0,1] neg_hi:[0,0,1]
	v_pk_fma_f32 v[4:5], v[4:5], v[150:151], v[18:19] op_sel:[0,0,1] op_sel_hi:[1,0,0]
	v_mov_b32_e32 v4, v149
	v_mov_b32_e32 v21, v5
	s_waitcnt lgkmcnt(2)
	v_pk_mul_f32 v[4:5], v[6:7], v[4:5] op_sel_hi:[1,0]
	v_pk_fma_f32 v[18:19], v[6:7], v[148:149], v[4:5] op_sel:[0,0,1] op_sel_hi:[1,1,0] neg_lo:[0,0,1] neg_hi:[0,0,1]
	v_pk_fma_f32 v[4:5], v[6:7], v[148:149], v[4:5] op_sel:[0,0,1] op_sel_hi:[1,0,0]
	s_waitcnt vmcnt(3)
	v_mov_b32_e32 v4, v163
	v_mov_b32_e32 v19, v5
	v_pk_mul_f32 v[4:5], v[8:9], v[4:5] op_sel_hi:[1,0]
	s_waitcnt vmcnt(2)
	v_pk_fma_f32 v[6:7], v[8:9], v[162:163], v[4:5] op_sel:[0,0,1] op_sel_hi:[1,1,0] neg_lo:[0,0,1] neg_hi:[0,0,1]
	v_pk_fma_f32 v[4:5], v[8:9], v[162:163], v[4:5] op_sel:[0,0,1] op_sel_hi:[1,0,0]
	v_pk_add_f32 v[2:3], v[2:3], v[20:21]
	v_mov_b32_e32 v4, v161
	v_pk_add_f32 v[2:3], v[2:3], v[18:19]
	v_mov_b32_e32 v7, v5
	s_waitcnt lgkmcnt(1)
	v_pk_mul_f32 v[4:5], v[10:11], v[4:5] op_sel_hi:[1,0]
	v_pk_add_f32 v[2:3], v[2:3], v[6:7]
	v_pk_fma_f32 v[6:7], v[10:11], v[160:161], v[4:5] op_sel:[0,0,1] op_sel_hi:[1,1,0] neg_lo:[0,0,1] neg_hi:[0,0,1]
	v_pk_fma_f32 v[4:5], v[10:11], v[160:161], v[4:5] op_sel:[0,0,1] op_sel_hi:[1,0,0]
	v_mov_b32_e32 v4, v159
	v_mov_b32_e32 v7, v5
	v_pk_mul_f32 v[4:5], v[12:13], v[4:5] op_sel_hi:[1,0]
	v_pk_add_f32 v[2:3], v[2:3], v[6:7]
	v_pk_fma_f32 v[6:7], v[12:13], v[158:159], v[4:5] op_sel:[0,0,1] op_sel_hi:[1,1,0] neg_lo:[0,0,1] neg_hi:[0,0,1]
	v_pk_fma_f32 v[4:5], v[12:13], v[158:159], v[4:5] op_sel:[0,0,1] op_sel_hi:[1,0,0]
	v_mov_b32_e32 v4, v157
	v_mov_b32_e32 v7, v5
	s_waitcnt lgkmcnt(0)
	v_pk_mul_f32 v[4:5], v[14:15], v[4:5] op_sel_hi:[1,0]
	v_pk_add_f32 v[2:3], v[2:3], v[6:7]
	v_pk_fma_f32 v[6:7], v[14:15], v[156:157], v[4:5] op_sel:[0,0,1] op_sel_hi:[1,1,0] neg_lo:[0,0,1] neg_hi:[0,0,1]
	v_pk_fma_f32 v[4:5], v[14:15], v[156:157], v[4:5] op_sel:[0,0,1] op_sel_hi:[1,0,0]
	s_waitcnt vmcnt(1)
	v_mov_b32_e32 v4, v165
	v_mov_b32_e32 v7, v5
	v_pk_mul_f32 v[4:5], v[16:17], v[4:5] op_sel_hi:[1,0]
	v_pk_add_f32 v[2:3], v[2:3], v[6:7]
	s_waitcnt vmcnt(0)
	v_pk_fma_f32 v[6:7], v[16:17], v[164:165], v[4:5] op_sel:[0,0,1] op_sel_hi:[1,1,0] neg_lo:[0,0,1] neg_hi:[0,0,1]
	v_pk_fma_f32 v[4:5], v[16:17], v[164:165], v[4:5] op_sel:[0,0,1] op_sel_hi:[1,0,0]
	v_mov_b32_e32 v7, v5
	v_pk_add_f32 v[2:3], v[2:3], v[6:7]
	v_pk_add_f32 v[2:3], v[50:51], v[2:3] neg_lo:[0,1] neg_hi:[0,1]
	buffer_store_dword v3, off, s[0:3], 0 offset:36
	buffer_store_dword v2, off, s[0:3], 0 offset:32
	s_and_saveexec_b64 s[4:5], vcc
	s_cbranch_execz .LBB60_373
; %bb.372:
	buffer_load_dword v2, off, s[0:3], 0 offset:24
	buffer_load_dword v3, off, s[0:3], 0 offset:28
	v_mov_b32_e32 v1, 0
	buffer_store_dword v1, off, s[0:3], 0 offset:24
	buffer_store_dword v1, off, s[0:3], 0 offset:28
	s_waitcnt vmcnt(2)
	ds_write_b64 v199, v[2:3]
.LBB60_373:
	s_or_b64 exec, exec, s[4:5]
	v_mov_b32_e32 v248, 0
	s_waitcnt lgkmcnt(0)
	; wave barrier
	s_waitcnt lgkmcnt(0)
	ds_read_b128 v[2:5], v248 offset:528
	buffer_load_dword v224, off, s[0:3], 0 offset:24
	buffer_load_dword v225, off, s[0:3], 0 offset:28
	;; [unrolled: 1-line block ×16, first 2 shown]
	v_cmp_lt_u32_e32 vcc, 2, v0
	s_waitcnt vmcnt(12) lgkmcnt(0)
	v_mul_f32_e32 v6, v2, v249
	v_fmac_f32_e32 v6, v3, v226
	s_waitcnt vmcnt(10)
	v_mul_f32_e32 v7, v4, v251
	v_add_f32_e32 v6, 0, v6
	v_fmac_f32_e32 v7, v5, v228
	v_add_f32_e32 v10, v6, v7
	ds_read_b128 v[6:9], v248 offset:544
	v_mul_f32_e32 v3, v3, v249
	v_fma_f32 v2, v2, v226, -v3
	v_mul_f32_e32 v3, v5, v251
	v_add_f32_e32 v2, 0, v2
	s_waitcnt vmcnt(8) lgkmcnt(0)
	v_mul_f32_e32 v11, v6, v253
	v_fmac_f32_e32 v11, v7, v232
	v_add_f32_e32 v10, v10, v11
	s_waitcnt vmcnt(6)
	v_mul_f32_e32 v11, v8, v255
	v_fmac_f32_e32 v11, v9, v250
	v_add_f32_e32 v14, v10, v11
	ds_read_b128 v[10:13], v248 offset:560
	v_fma_f32 v3, v4, v228, -v3
	v_add_f32_e32 v2, v2, v3
	v_mul_f32_e32 v3, v7, v253
	v_fma_f32 v3, v6, v232, -v3
	s_waitcnt vmcnt(4) lgkmcnt(0)
	v_mul_f32_e32 v15, v10, v104
	v_fmac_f32_e32 v15, v11, v252
	v_add_f32_e32 v14, v14, v15
	s_waitcnt vmcnt(2)
	v_mul_f32_e32 v15, v12, v105
	v_fmac_f32_e32 v15, v13, v254
	v_add_f32_e32 v18, v14, v15
	ds_read_b128 v[14:17], v248 offset:576
	buffer_load_dword v107, off, s[0:3], 0 offset:88
	buffer_load_dword v108, off, s[0:3], 0 offset:92
	v_add_f32_e32 v2, v2, v3
	v_mul_f32_e32 v3, v9, v255
	v_fma_f32 v3, v8, v250, -v3
	s_waitcnt vmcnt(2) lgkmcnt(0)
	v_mul_f32_e32 v19, v14, v106
	v_fmac_f32_e32 v19, v15, v1
	v_add_f32_e32 v18, v18, v19
	v_add_f32_e32 v2, v2, v3
	v_mul_f32_e32 v3, v11, v104
	v_fma_f32 v3, v10, v252, -v3
	v_add_f32_e32 v2, v2, v3
	v_mul_f32_e32 v3, v13, v105
	v_fma_f32 v3, v12, v254, -v3
	;; [unrolled: 3-line block ×3, first 2 shown]
	v_add_f32_e32 v1, v2, v1
	s_waitcnt vmcnt(0)
	v_mul_f32_e32 v19, v16, v108
	v_fmac_f32_e32 v19, v17, v107
	v_add_f32_e32 v22, v18, v19
	ds_read_b128 v[18:21], v248 offset:592
	buffer_load_dword v109, off, s[0:3], 0 offset:96
	buffer_load_dword v110, off, s[0:3], 0 offset:100
	;; [unrolled: 1-line block ×4, first 2 shown]
	v_mul_f32_e32 v2, v17, v108
	v_fma_f32 v2, v16, v107, -v2
	v_add_f32_e32 v1, v1, v2
	s_waitcnt vmcnt(2) lgkmcnt(0)
	v_mul_f32_e32 v23, v18, v110
	v_fmac_f32_e32 v23, v19, v109
	v_add_f32_e32 v22, v22, v23
	s_waitcnt vmcnt(0)
	v_mul_f32_e32 v23, v20, v112
	v_fmac_f32_e32 v23, v21, v111
	v_add_f32_e32 v26, v22, v23
	ds_read_b128 v[22:25], v248 offset:608
	buffer_load_dword v113, off, s[0:3], 0 offset:112
	buffer_load_dword v114, off, s[0:3], 0 offset:116
	buffer_load_dword v115, off, s[0:3], 0 offset:120
	buffer_load_dword v116, off, s[0:3], 0 offset:124
	v_mul_f32_e32 v2, v19, v110
	v_fma_f32 v2, v18, v109, -v2
	v_add_f32_e32 v1, v1, v2
	v_mul_f32_e32 v2, v21, v112
	v_fma_f32 v2, v20, v111, -v2
	v_add_f32_e32 v1, v1, v2
	s_waitcnt vmcnt(2) lgkmcnt(0)
	v_mul_f32_e32 v27, v22, v114
	v_fmac_f32_e32 v27, v23, v113
	v_add_f32_e32 v26, v26, v27
	s_waitcnt vmcnt(0)
	v_mul_f32_e32 v27, v24, v116
	v_fmac_f32_e32 v27, v25, v115
	v_add_f32_e32 v30, v26, v27
	ds_read_b128 v[26:29], v248 offset:624
	buffer_load_dword v117, off, s[0:3], 0 offset:128
	buffer_load_dword v118, off, s[0:3], 0 offset:132
	buffer_load_dword v119, off, s[0:3], 0 offset:136
	buffer_load_dword v120, off, s[0:3], 0 offset:140
	v_mul_f32_e32 v2, v23, v114
	v_fma_f32 v2, v22, v113, -v2
	v_add_f32_e32 v1, v1, v2
	;; [unrolled: 19-line block ×6, first 2 shown]
	v_mul_f32_e32 v2, v41, v132
	v_fma_f32 v2, v40, v131, -v2
	v_add_f32_e32 v1, v1, v2
	s_waitcnt vmcnt(2) lgkmcnt(0)
	v_mul_f32_e32 v47, v42, v134
	v_fmac_f32_e32 v47, v43, v133
	v_add_f32_e32 v46, v46, v47
	s_waitcnt vmcnt(0)
	v_mul_f32_e32 v47, v44, v136
	v_fmac_f32_e32 v47, v45, v135
	v_add_f32_e32 v50, v46, v47
	ds_read_b128 v[46:49], v248 offset:704
	buffer_load_dword v137, off, s[0:3], 0 offset:208
	buffer_load_dword v138, off, s[0:3], 0 offset:212
	buffer_load_dword v139, off, s[0:3], 0 offset:216
	buffer_load_dword v140, off, s[0:3], 0 offset:220
	ds_read_b128 v[54:57], v248 offset:720
	buffer_load_dword v141, off, s[0:3], 0 offset:224
	buffer_load_dword v142, off, s[0:3], 0 offset:228
	buffer_load_dword v143, off, s[0:3], 0 offset:232
	buffer_load_dword v144, off, s[0:3], 0 offset:236
	;; [unrolled: 5-line block ×13, first 2 shown]
	v_mul_f32_e32 v2, v43, v134
	v_fma_f32 v2, v42, v133, -v2
	v_add_f32_e32 v1, v1, v2
	v_mul_f32_e32 v2, v45, v136
	v_fma_f32 v2, v44, v135, -v2
	v_add_f32_e32 v1, v1, v2
	s_waitcnt vmcnt(50) lgkmcnt(12)
	v_mul_f32_e32 v51, v46, v138
	v_fmac_f32_e32 v51, v47, v137
	v_add_f32_e32 v50, v50, v51
	s_waitcnt vmcnt(48)
	v_mul_f32_e32 v51, v48, v140
	v_fmac_f32_e32 v51, v49, v139
	v_add_f32_e32 v50, v50, v51
	s_waitcnt vmcnt(46) lgkmcnt(11)
	v_mul_f32_e32 v51, v54, v142
	v_fmac_f32_e32 v51, v55, v141
	v_add_f32_e32 v50, v50, v51
	s_waitcnt vmcnt(44)
	v_mul_f32_e32 v51, v56, v144
	v_fmac_f32_e32 v51, v57, v143
	;; [unrolled: 8-line block ×12, first 2 shown]
	v_add_f32_e32 v50, v50, v51
	s_waitcnt vmcnt(2) lgkmcnt(0)
	v_mul_f32_e32 v51, v98, v186
	v_fmac_f32_e32 v51, v99, v185
	v_add_f32_e32 v227, v50, v51
	ds_read_b128 v[50:53], v248 offset:912
	buffer_load_dword v189, off, s[0:3], 0 offset:416
	buffer_load_dword v190, off, s[0:3], 0 offset:420
	;; [unrolled: 1-line block ×18, first 2 shown]
	v_mul_f32_e32 v2, v47, v138
	v_fma_f32 v2, v46, v137, -v2
	v_add_f32_e32 v1, v1, v2
	v_mul_f32_e32 v2, v49, v140
	v_fma_f32 v2, v48, v139, -v2
	v_add_f32_e32 v1, v1, v2
	;; [unrolled: 3-line block ×24, first 2 shown]
	v_mul_f32_e32 v2, v99, v186
	v_fma_f32 v2, v98, v185, -v2
	s_waitcnt vmcnt(15)
	v_mov_b32_e32 v18, v231
	v_mul_f32_e32 v229, v100, v188
	v_add_f32_e32 v226, v1, v2
	v_mul_f32_e32 v1, v101, v188
	s_waitcnt lgkmcnt(0)
	v_pk_mul_f32 v[18:19], v[52:53], v[18:19] op_sel_hi:[1,0]
	v_fmac_f32_e32 v229, v101, v187
	v_mul_f32_e32 v233, v50, v190
	v_fma_f32 v228, v100, v187, -v1
	v_mul_f32_e32 v1, v51, v190
	ds_read_b128 v[2:5], v248 offset:928
	ds_read_b128 v[6:9], v248 offset:944
	;; [unrolled: 1-line block ×3, first 2 shown]
	ds_read_b64 v[14:15], v248 offset:976
	s_waitcnt vmcnt(14)
	v_pk_fma_f32 v[20:21], v[52:53], v[230:231], v[18:19] op_sel:[0,0,1] op_sel_hi:[1,1,0] neg_lo:[0,0,1] neg_hi:[0,0,1]
	v_pk_fma_f32 v[18:19], v[52:53], v[230:231], v[18:19] op_sel:[0,0,1] op_sel_hi:[1,0,0]
	v_fmac_f32_e32 v233, v51, v189
	v_fma_f32 v232, v50, v189, -v1
	v_pk_add_f32 v[16:17], v[226:227], v[228:229]
	s_waitcnt vmcnt(13)
	v_mov_b32_e32 v18, v247
	v_pk_add_f32 v[16:17], v[16:17], v[232:233]
	v_mov_b32_e32 v21, v19
	s_waitcnt lgkmcnt(3)
	v_pk_mul_f32 v[18:19], v[2:3], v[18:19] op_sel_hi:[1,0]
	v_pk_add_f32 v[16:17], v[16:17], v[20:21]
	s_waitcnt vmcnt(12)
	v_pk_fma_f32 v[20:21], v[2:3], v[246:247], v[18:19] op_sel:[0,0,1] op_sel_hi:[1,1,0] neg_lo:[0,0,1] neg_hi:[0,0,1]
	v_pk_fma_f32 v[2:3], v[2:3], v[246:247], v[18:19] op_sel:[0,0,1] op_sel_hi:[1,0,0]
	v_mov_b32_e32 v21, v3
	v_pk_add_f32 v[2:3], v[16:17], v[20:21]
	s_waitcnt vmcnt(11)
	v_mov_b32_e32 v16, v245
	v_pk_mul_f32 v[16:17], v[4:5], v[16:17] op_sel_hi:[1,0]
	s_waitcnt vmcnt(10)
	v_pk_fma_f32 v[18:19], v[4:5], v[244:245], v[16:17] op_sel:[0,0,1] op_sel_hi:[1,1,0] neg_lo:[0,0,1] neg_hi:[0,0,1]
	v_pk_fma_f32 v[4:5], v[4:5], v[244:245], v[16:17] op_sel:[0,0,1] op_sel_hi:[1,0,0]
	s_waitcnt vmcnt(9)
	v_mov_b32_e32 v4, v243
	v_mov_b32_e32 v19, v5
	s_waitcnt lgkmcnt(2)
	v_pk_mul_f32 v[4:5], v[6:7], v[4:5] op_sel_hi:[1,0]
	s_waitcnt vmcnt(8)
	v_pk_fma_f32 v[16:17], v[6:7], v[242:243], v[4:5] op_sel:[0,0,1] op_sel_hi:[1,1,0] neg_lo:[0,0,1] neg_hi:[0,0,1]
	v_pk_fma_f32 v[4:5], v[6:7], v[242:243], v[4:5] op_sel:[0,0,1] op_sel_hi:[1,0,0]
	s_waitcnt vmcnt(7)
	v_mov_b32_e32 v4, v241
	v_mov_b32_e32 v17, v5
	v_pk_mul_f32 v[4:5], v[8:9], v[4:5] op_sel_hi:[1,0]
	s_waitcnt vmcnt(6)
	v_pk_fma_f32 v[6:7], v[8:9], v[240:241], v[4:5] op_sel:[0,0,1] op_sel_hi:[1,1,0] neg_lo:[0,0,1] neg_hi:[0,0,1]
	v_pk_fma_f32 v[4:5], v[8:9], v[240:241], v[4:5] op_sel:[0,0,1] op_sel_hi:[1,0,0]
	v_pk_add_f32 v[2:3], v[2:3], v[18:19]
	s_waitcnt vmcnt(5)
	v_mov_b32_e32 v4, v239
	v_pk_add_f32 v[2:3], v[2:3], v[16:17]
	v_mov_b32_e32 v7, v5
	s_waitcnt lgkmcnt(1)
	v_pk_mul_f32 v[4:5], v[10:11], v[4:5] op_sel_hi:[1,0]
	v_pk_add_f32 v[2:3], v[2:3], v[6:7]
	s_waitcnt vmcnt(4)
	v_pk_fma_f32 v[6:7], v[10:11], v[238:239], v[4:5] op_sel:[0,0,1] op_sel_hi:[1,1,0] neg_lo:[0,0,1] neg_hi:[0,0,1]
	v_pk_fma_f32 v[4:5], v[10:11], v[238:239], v[4:5] op_sel:[0,0,1] op_sel_hi:[1,0,0]
	s_waitcnt vmcnt(3)
	v_mov_b32_e32 v4, v237
	v_mov_b32_e32 v7, v5
	v_pk_mul_f32 v[4:5], v[12:13], v[4:5] op_sel_hi:[1,0]
	v_pk_add_f32 v[2:3], v[2:3], v[6:7]
	s_waitcnt vmcnt(2)
	v_pk_fma_f32 v[6:7], v[12:13], v[236:237], v[4:5] op_sel:[0,0,1] op_sel_hi:[1,1,0] neg_lo:[0,0,1] neg_hi:[0,0,1]
	v_pk_fma_f32 v[4:5], v[12:13], v[236:237], v[4:5] op_sel:[0,0,1] op_sel_hi:[1,0,0]
	s_waitcnt vmcnt(1)
	v_mov_b32_e32 v4, v235
	v_mov_b32_e32 v7, v5
	s_waitcnt lgkmcnt(0)
	v_pk_mul_f32 v[4:5], v[14:15], v[4:5] op_sel_hi:[1,0]
	v_pk_add_f32 v[2:3], v[2:3], v[6:7]
	s_waitcnt vmcnt(0)
	v_pk_fma_f32 v[6:7], v[14:15], v[234:235], v[4:5] op_sel:[0,0,1] op_sel_hi:[1,1,0] neg_lo:[0,0,1] neg_hi:[0,0,1]
	v_pk_fma_f32 v[4:5], v[14:15], v[234:235], v[4:5] op_sel:[0,0,1] op_sel_hi:[1,0,0]
	v_mov_b32_e32 v7, v5
	v_pk_add_f32 v[2:3], v[2:3], v[6:7]
	v_pk_add_f32 v[2:3], v[224:225], v[2:3] neg_lo:[0,1] neg_hi:[0,1]
	buffer_store_dword v3, off, s[0:3], 0 offset:28
	buffer_store_dword v2, off, s[0:3], 0 offset:24
	s_and_saveexec_b64 s[4:5], vcc
	s_cbranch_execz .LBB60_375
; %bb.374:
	buffer_load_dword v2, off, s[0:3], 0 offset:16
	buffer_load_dword v3, off, s[0:3], 0 offset:20
	s_waitcnt vmcnt(0)
	ds_write_b64 v199, v[2:3]
	buffer_store_dword v248, off, s[0:3], 0 offset:16
	buffer_store_dword v248, off, s[0:3], 0 offset:20
.LBB60_375:
	s_or_b64 exec, exec, s[4:5]
	s_waitcnt lgkmcnt(0)
	; wave barrier
	s_waitcnt lgkmcnt(0)
	buffer_load_dword v64, off, s[0:3], 0 offset:28
	buffer_load_dword v63, off, s[0:3], 0 offset:36
	;; [unrolled: 1-line block ×40, first 2 shown]
	ds_read2_b64 v[22:25], v248 offset0:65 offset1:66
	ds_read2_b64 v[18:21], v248 offset0:67 offset1:68
	;; [unrolled: 1-line block ×6, first 2 shown]
	buffer_load_dword v97, off, s[0:3], 0 offset:176
	buffer_load_dword v98, off, s[0:3], 0 offset:180
	;; [unrolled: 1-line block ×10, first 2 shown]
	v_cmp_lt_u32_e32 vcc, 1, v0
	s_waitcnt vmcnt(49) lgkmcnt(5)
	v_mul_f32_e32 v26, v22, v64
	s_waitcnt vmcnt(48)
	v_mul_f32_e32 v27, v24, v63
	s_waitcnt vmcnt(47) lgkmcnt(4)
	v_mul_f32_e32 v29, v20, v62
	s_waitcnt vmcnt(46) lgkmcnt(3)
	v_mul_f32_e32 v30, v14, v61
	s_waitcnt vmcnt(45)
	v_mul_f32_e32 v31, v16, v1
	s_waitcnt vmcnt(44)
	v_mul_f32_e32 v28, v18, v65
	s_waitcnt vmcnt(43) lgkmcnt(2)
	v_mul_f32_e32 v32, v10, v60
	s_waitcnt vmcnt(42)
	v_mul_f32_e32 v33, v12, v66
	s_waitcnt vmcnt(41) lgkmcnt(1)
	;; [unrolled: 4-line block ×3, first 2 shown]
	v_mul_f32_e32 v36, v2, v69
	s_waitcnt vmcnt(38)
	v_mul_f32_e32 v37, v4, v70
	s_waitcnt vmcnt(37)
	v_fmac_f32_e32 v28, v19, v76
	s_waitcnt vmcnt(36)
	v_fmac_f32_e32 v27, v25, v79
	;; [unrolled: 2-line block ×3, first 2 shown]
	v_add_f32_e32 v26, 0, v26
	v_add_f32_e32 v26, v26, v27
	;; [unrolled: 1-line block ×3, first 2 shown]
	s_waitcnt vmcnt(31)
	v_fmac_f32_e32 v29, v21, v81
	v_fmac_f32_e32 v30, v15, v78
	v_add_f32_e32 v26, v26, v29
	v_fmac_f32_e32 v31, v17, v75
	v_add_f32_e32 v26, v26, v30
	;; [unrolled: 2-line block ×3, first 2 shown]
	s_waitcnt vmcnt(27)
	v_fmac_f32_e32 v33, v13, v77
	v_add_f32_e32 v26, v26, v32
	v_fmac_f32_e32 v34, v7, v74
	v_add_f32_e32 v26, v26, v33
	v_fmac_f32_e32 v35, v9, v72
	v_add_f32_e32 v26, v26, v34
	v_add_f32_e32 v30, v26, v35
	ds_read2_b64 v[26:29], v248 offset0:77 offset1:78
	v_fmac_f32_e32 v36, v3, v71
	v_add_f32_e32 v30, v30, v36
	s_waitcnt vmcnt(23)
	v_fmac_f32_e32 v37, v5, v88
	v_add_f32_e32 v34, v30, v37
	ds_read2_b64 v[30:33], v248 offset0:79 offset1:80
	s_waitcnt vmcnt(22) lgkmcnt(1)
	v_mul_f32_e32 v35, v26, v87
	buffer_load_dword v160, off, s[0:3], 0 offset:216
	buffer_load_dword v162, off, s[0:3], 0 offset:220
	v_fmac_f32_e32 v35, v27, v85
	v_add_f32_e32 v34, v34, v35
	s_waitcnt vmcnt(23)
	v_mul_f32_e32 v35, v28, v86
	buffer_load_dword v178, off, s[0:3], 0 offset:224
	buffer_load_dword v179, off, s[0:3], 0 offset:228
	v_fmac_f32_e32 v35, v29, v83
	v_add_f32_e32 v34, v34, v35
	s_waitcnt vmcnt(24) lgkmcnt(0)
	v_mul_f32_e32 v35, v30, v84
	buffer_load_dword v180, off, s[0:3], 0 offset:232
	buffer_load_dword v181, off, s[0:3], 0 offset:236
	v_fmac_f32_e32 v35, v31, v80
	v_add_f32_e32 v34, v34, v35
	s_waitcnt vmcnt(20)
	v_mul_f32_e32 v35, v32, v96
	s_waitcnt vmcnt(19)
	v_fmac_f32_e32 v35, v33, v95
	ds_read2_b64 v[38:41], v248 offset0:81 offset1:82
	v_add_f32_e32 v42, v34, v35
	ds_read2_b64 v[34:37], v248 offset0:83 offset1:84
	buffer_load_dword v182, off, s[0:3], 0 offset:240
	buffer_load_dword v183, off, s[0:3], 0 offset:244
	;; [unrolled: 1-line block ×8, first 2 shown]
	s_waitcnt vmcnt(26) lgkmcnt(1)
	v_mul_f32_e32 v43, v38, v94
	v_fmac_f32_e32 v43, v39, v93
	buffer_load_dword v190, off, s[0:3], 0 offset:272
	buffer_load_dword v191, off, s[0:3], 0 offset:276
	v_add_f32_e32 v42, v42, v43
	v_mul_f32_e32 v43, v40, v90
	v_fmac_f32_e32 v43, v41, v89
	v_add_f32_e32 v42, v42, v43
	s_waitcnt lgkmcnt(0)
	v_mul_f32_e32 v43, v34, v92
	buffer_load_dword v224, off, s[0:3], 0 offset:280
	buffer_load_dword v225, off, s[0:3], 0 offset:284
	v_fmac_f32_e32 v43, v35, v91
	v_add_f32_e32 v46, v42, v43
	ds_read2_b64 v[42:45], v248 offset0:85 offset1:86
	buffer_load_dword v226, off, s[0:3], 0 offset:288
	buffer_load_dword v227, off, s[0:3], 0 offset:292
	;; [unrolled: 1-line block ×4, first 2 shown]
	s_waitcnt vmcnt(30)
	v_mul_f32_e32 v47, v36, v98
	v_fmac_f32_e32 v47, v37, v97
	v_add_f32_e32 v50, v46, v47
	ds_read2_b64 v[46:49], v248 offset0:87 offset1:88
	buffer_load_dword v230, off, s[0:3], 0 offset:304
	buffer_load_dword v231, off, s[0:3], 0 offset:308
	;; [unrolled: 1-line block ×12, first 2 shown]
	s_waitcnt vmcnt(40) lgkmcnt(1)
	v_mul_f32_e32 v51, v42, v100
	v_fmac_f32_e32 v51, v43, v99
	buffer_load_dword v242, off, s[0:3], 0 offset:352
	buffer_load_dword v243, off, s[0:3], 0 offset:356
	v_add_f32_e32 v50, v50, v51
	s_waitcnt vmcnt(40)
	v_mul_f32_e32 v51, v44, v104
	v_fmac_f32_e32 v51, v45, v101
	buffer_load_dword v244, off, s[0:3], 0 offset:360
	buffer_load_dword v245, off, s[0:3], 0 offset:364
	v_add_f32_e32 v50, v50, v51
	s_waitcnt vmcnt(40) lgkmcnt(0)
	v_mul_f32_e32 v51, v46, v106
	v_fmac_f32_e32 v51, v47, v105
	v_add_f32_e32 v54, v50, v51
	ds_read2_b64 v[50:53], v248 offset0:89 offset1:90
	buffer_load_dword v246, off, s[0:3], 0 offset:368
	buffer_load_dword v247, off, s[0:3], 0 offset:372
	s_waitcnt vmcnt(40)
	v_mul_f32_e32 v55, v48, v108
	v_fmac_f32_e32 v55, v49, v107
	v_add_f32_e32 v109, v54, v55
	ds_read2_b64 v[54:57], v248 offset0:91 offset1:92
	buffer_load_dword v249, off, s[0:3], 0 offset:376
	buffer_load_dword v250, off, s[0:3], 0 offset:380
	buffer_load_dword v251, off, s[0:3], 0 offset:384
	buffer_load_dword v252, off, s[0:3], 0 offset:388
	buffer_load_dword v253, off, s[0:3], 0 offset:392
	buffer_load_dword v254, off, s[0:3], 0 offset:396
	buffer_load_dword v255, off, s[0:3], 0 offset:400
	buffer_load_dword v192, off, s[0:3], 0 offset:404
	buffer_load_dword v193, off, s[0:3], 0 offset:408
	buffer_load_dword v194, off, s[0:3], 0 offset:412
	buffer_load_dword v195, off, s[0:3], 0 offset:416
	buffer_load_dword v196, off, s[0:3], 0 offset:420
	v_mul_f32_e32 v23, v23, v64
	v_fma_f32 v22, v22, v82, -v23
	v_mul_f32_e32 v23, v25, v63
	v_add_f32_e32 v22, 0, v22
	v_fma_f32 v23, v24, v79, -v23
	v_mul_f32_e32 v19, v19, v65
	v_add_f32_e32 v22, v22, v23
	v_fma_f32 v18, v18, v76, -v19
	v_mul_f32_e32 v19, v21, v62
	v_add_f32_e32 v18, v22, v18
	v_fma_f32 v19, v20, v81, -v19
	v_mul_f32_e32 v15, v15, v61
	v_add_f32_e32 v18, v18, v19
	v_fma_f32 v14, v14, v78, -v15
	s_waitcnt vmcnt(50) lgkmcnt(1)
	v_mul_f32_e32 v110, v50, v162
	v_fmac_f32_e32 v110, v51, v160
	v_add_f32_e32 v109, v109, v110
	v_mul_f32_e32 v1, v17, v1
	s_waitcnt vmcnt(48)
	v_mul_f32_e32 v110, v52, v179
	v_fmac_f32_e32 v110, v53, v178
	v_add_f32_e32 v109, v109, v110
	v_add_f32_e32 v14, v18, v14
	s_waitcnt vmcnt(46) lgkmcnt(0)
	v_mul_f32_e32 v110, v54, v181
	v_fmac_f32_e32 v110, v55, v180
	v_add_f32_e32 v109, v109, v110
	ds_read2_b64 v[110:113], v248 offset0:93 offset1:94
	v_fma_f32 v1, v16, v75, -v1
	v_mul_f32_e32 v11, v11, v60
	v_add_f32_e32 v1, v14, v1
	v_fma_f32 v10, v10, v73, -v11
	s_waitcnt vmcnt(44)
	v_mul_f32_e32 v114, v56, v183
	v_fmac_f32_e32 v114, v57, v182
	v_add_f32_e32 v109, v109, v114
	ds_read2_b64 v[114:117], v248 offset0:95 offset1:96
	s_waitcnt vmcnt(42) lgkmcnt(1)
	v_mul_f32_e32 v118, v110, v185
	v_fmac_f32_e32 v118, v111, v184
	v_add_f32_e32 v109, v109, v118
	s_waitcnt vmcnt(40)
	v_mul_f32_e32 v118, v112, v187
	v_fmac_f32_e32 v118, v113, v186
	v_add_f32_e32 v109, v109, v118
	s_waitcnt vmcnt(38) lgkmcnt(0)
	v_mul_f32_e32 v118, v114, v189
	v_fmac_f32_e32 v118, v115, v188
	v_add_f32_e32 v109, v109, v118
	ds_read2_b64 v[118:121], v248 offset0:97 offset1:98
	s_waitcnt vmcnt(36)
	v_mul_f32_e32 v122, v116, v191
	v_fmac_f32_e32 v122, v117, v190
	v_add_f32_e32 v109, v109, v122
	ds_read2_b64 v[122:125], v248 offset0:99 offset1:100
	s_waitcnt vmcnt(34) lgkmcnt(1)
	v_mul_f32_e32 v126, v118, v225
	v_fmac_f32_e32 v126, v119, v224
	v_add_f32_e32 v109, v109, v126
	s_waitcnt vmcnt(32)
	v_mul_f32_e32 v126, v120, v227
	v_fmac_f32_e32 v126, v121, v226
	v_add_f32_e32 v109, v109, v126
	s_waitcnt vmcnt(30) lgkmcnt(0)
	v_mul_f32_e32 v126, v122, v229
	v_fmac_f32_e32 v126, v123, v228
	v_add_f32_e32 v109, v109, v126
	ds_read2_b64 v[126:129], v248 offset0:101 offset1:102
	;; [unrolled: 18-line block ×4, first 2 shown]
	s_waitcnt vmcnt(12)
	v_mul_f32_e32 v146, v140, v247
	v_fmac_f32_e32 v146, v141, v246
	v_add_f32_e32 v109, v109, v146
	ds_read2_b64 v[146:149], v248 offset0:111 offset1:112
	buffer_load_dword v159, off, s[0:3], 0 offset:428
	buffer_load_dword v158, off, s[0:3], 0 offset:424
	v_add_f32_e32 v1, v1, v10
	v_mul_f32_e32 v10, v13, v66
	v_fma_f32 v10, v12, v77, -v10
	v_mul_f32_e32 v7, v7, v67
	s_waitcnt vmcnt(12) lgkmcnt(1)
	v_mul_f32_e32 v150, v142, v250
	v_add_f32_e32 v1, v1, v10
	v_fma_f32 v6, v6, v74, -v7
	v_fmac_f32_e32 v150, v143, v249
	v_add_f32_e32 v1, v1, v6
	v_mul_f32_e32 v6, v9, v68
	v_add_f32_e32 v109, v109, v150
	s_waitcnt vmcnt(10)
	v_mul_f32_e32 v150, v144, v252
	v_fma_f32 v6, v8, v72, -v6
	v_mul_f32_e32 v3, v3, v69
	v_fmac_f32_e32 v150, v145, v251
	v_add_f32_e32 v1, v1, v6
	v_fma_f32 v2, v2, v71, -v3
	v_add_f32_e32 v109, v109, v150
	s_waitcnt vmcnt(8) lgkmcnt(0)
	v_mul_f32_e32 v150, v146, v254
	v_add_f32_e32 v1, v1, v2
	v_mul_f32_e32 v2, v5, v70
	v_fmac_f32_e32 v150, v147, v253
	s_waitcnt vmcnt(6)
	v_mul_f32_e32 v154, v148, v192
	v_fma_f32 v2, v4, v88, -v2
	v_add_f32_e32 v109, v109, v150
	v_fmac_f32_e32 v154, v149, v255
	v_add_f32_e32 v1, v1, v2
	v_mul_f32_e32 v2, v27, v87
	ds_read2_b64 v[150:153], v248 offset0:113 offset1:114
	v_add_f32_e32 v109, v109, v154
	ds_read2_b64 v[154:157], v248 offset0:115 offset1:116
	buffer_load_dword v165, off, s[0:3], 0 offset:460
	buffer_load_dword v164, off, s[0:3], 0 offset:456
	;; [unrolled: 1-line block ×14, first 2 shown]
	v_fma_f32 v2, v26, v85, -v2
	v_add_f32_e32 v1, v1, v2
	v_mul_f32_e32 v2, v29, v86
	v_fma_f32 v2, v28, v83, -v2
	v_add_f32_e32 v1, v1, v2
	v_mul_f32_e32 v2, v31, v84
	;; [unrolled: 3-line block ×35, first 2 shown]
	v_fma_f32 v2, v148, v255, -v2
	s_waitcnt vmcnt(15)
	v_mov_b32_e32 v16, v159
	s_waitcnt lgkmcnt(1)
	v_mul_f32_e32 v161, v150, v194
	v_add_f32_e32 v108, v1, v2
	v_mul_f32_e32 v1, v151, v194
	s_waitcnt lgkmcnt(0)
	v_pk_mul_f32 v[16:17], v[154:155], v[16:17] op_sel_hi:[1,0]
	v_fmac_f32_e32 v161, v151, v193
	v_mul_f32_e32 v163, v152, v196
	v_fma_f32 v160, v150, v193, -v1
	v_mul_f32_e32 v1, v153, v196
	s_waitcnt vmcnt(14)
	v_pk_fma_f32 v[18:19], v[154:155], v[158:159], v[16:17] op_sel:[0,0,1] op_sel_hi:[1,1,0] neg_lo:[0,0,1] neg_hi:[0,0,1]
	v_pk_fma_f32 v[16:17], v[154:155], v[158:159], v[16:17] op_sel:[0,0,1] op_sel_hi:[1,0,0]
	v_fmac_f32_e32 v163, v153, v195
	v_fma_f32 v162, v152, v195, -v1
	v_pk_add_f32 v[14:15], v[108:109], v[160:161]
	s_waitcnt vmcnt(7)
	v_mov_b32_e32 v16, v171
	ds_read2_b64 v[2:5], v248 offset0:117 offset1:118
	ds_read2_b64 v[6:9], v248 offset0:119 offset1:120
	;; [unrolled: 1-line block ×3, first 2 shown]
	v_pk_add_f32 v[14:15], v[14:15], v[162:163]
	v_mov_b32_e32 v19, v17
	v_pk_mul_f32 v[16:17], v[156:157], v[16:17] op_sel_hi:[1,0]
	v_pk_add_f32 v[14:15], v[14:15], v[18:19]
	s_waitcnt vmcnt(6)
	v_pk_fma_f32 v[18:19], v[156:157], v[170:171], v[16:17] op_sel:[0,0,1] op_sel_hi:[1,1,0] neg_lo:[0,0,1] neg_hi:[0,0,1]
	v_pk_fma_f32 v[16:17], v[156:157], v[170:171], v[16:17] op_sel:[0,0,1] op_sel_hi:[1,0,0]
	v_mov_b32_e32 v16, v169
	v_mov_b32_e32 v19, v17
	s_waitcnt lgkmcnt(2)
	v_pk_mul_f32 v[16:17], v[2:3], v[16:17] op_sel_hi:[1,0]
	v_pk_add_f32 v[14:15], v[14:15], v[18:19]
	v_pk_fma_f32 v[18:19], v[2:3], v[168:169], v[16:17] op_sel:[0,0,1] op_sel_hi:[1,1,0] neg_lo:[0,0,1] neg_hi:[0,0,1]
	v_pk_fma_f32 v[2:3], v[2:3], v[168:169], v[16:17] op_sel:[0,0,1] op_sel_hi:[1,0,0]
	v_mov_b32_e32 v19, v3
	v_pk_add_f32 v[2:3], v[14:15], v[18:19]
	v_mov_b32_e32 v14, v167
	v_pk_mul_f32 v[14:15], v[4:5], v[14:15] op_sel_hi:[1,0]
	v_pk_fma_f32 v[16:17], v[4:5], v[166:167], v[14:15] op_sel:[0,0,1] op_sel_hi:[1,1,0] neg_lo:[0,0,1] neg_hi:[0,0,1]
	v_pk_fma_f32 v[4:5], v[4:5], v[166:167], v[14:15] op_sel:[0,0,1] op_sel_hi:[1,0,0]
	v_mov_b32_e32 v4, v165
	v_mov_b32_e32 v17, v5
	s_waitcnt lgkmcnt(1)
	v_pk_mul_f32 v[4:5], v[6:7], v[4:5] op_sel_hi:[1,0]
	v_pk_fma_f32 v[14:15], v[6:7], v[164:165], v[4:5] op_sel:[0,0,1] op_sel_hi:[1,1,0] neg_lo:[0,0,1] neg_hi:[0,0,1]
	v_pk_fma_f32 v[4:5], v[6:7], v[164:165], v[4:5] op_sel:[0,0,1] op_sel_hi:[1,0,0]
	s_waitcnt vmcnt(1)
	v_mov_b32_e32 v4, v177
	v_mov_b32_e32 v15, v5
	v_pk_mul_f32 v[4:5], v[8:9], v[4:5] op_sel_hi:[1,0]
	s_waitcnt vmcnt(0)
	v_pk_fma_f32 v[6:7], v[8:9], v[176:177], v[4:5] op_sel:[0,0,1] op_sel_hi:[1,1,0] neg_lo:[0,0,1] neg_hi:[0,0,1]
	v_pk_fma_f32 v[4:5], v[8:9], v[176:177], v[4:5] op_sel:[0,0,1] op_sel_hi:[1,0,0]
	v_pk_add_f32 v[2:3], v[2:3], v[16:17]
	v_mov_b32_e32 v4, v175
	v_pk_add_f32 v[2:3], v[2:3], v[14:15]
	v_mov_b32_e32 v7, v5
	s_waitcnt lgkmcnt(0)
	v_pk_mul_f32 v[4:5], v[10:11], v[4:5] op_sel_hi:[1,0]
	v_pk_add_f32 v[2:3], v[2:3], v[6:7]
	v_pk_fma_f32 v[6:7], v[10:11], v[174:175], v[4:5] op_sel:[0,0,1] op_sel_hi:[1,1,0] neg_lo:[0,0,1] neg_hi:[0,0,1]
	v_pk_fma_f32 v[4:5], v[10:11], v[174:175], v[4:5] op_sel:[0,0,1] op_sel_hi:[1,0,0]
	v_mov_b32_e32 v4, v173
	v_mov_b32_e32 v7, v5
	v_pk_mul_f32 v[4:5], v[12:13], v[4:5] op_sel_hi:[1,0]
	v_pk_add_f32 v[2:3], v[2:3], v[6:7]
	v_pk_fma_f32 v[6:7], v[12:13], v[172:173], v[4:5] op_sel:[0,0,1] op_sel_hi:[1,1,0] neg_lo:[0,0,1] neg_hi:[0,0,1]
	v_pk_fma_f32 v[4:5], v[12:13], v[172:173], v[4:5] op_sel:[0,0,1] op_sel_hi:[1,0,0]
	v_mov_b32_e32 v7, v5
	v_pk_add_f32 v[2:3], v[2:3], v[6:7]
	v_pk_add_f32 v[2:3], v[58:59], v[2:3] neg_lo:[0,1] neg_hi:[0,1]
	buffer_store_dword v3, off, s[0:3], 0 offset:20
	buffer_store_dword v2, off, s[0:3], 0 offset:16
	s_and_saveexec_b64 s[4:5], vcc
	s_cbranch_execz .LBB60_377
; %bb.376:
	buffer_load_dword v2, off, s[0:3], 0 offset:8
	buffer_load_dword v3, off, s[0:3], 0 offset:12
	v_mov_b32_e32 v1, 0
	buffer_store_dword v1, off, s[0:3], 0 offset:8
	buffer_store_dword v1, off, s[0:3], 0 offset:12
	s_waitcnt vmcnt(2)
	ds_write_b64 v199, v[2:3]
.LBB60_377:
	s_or_b64 exec, exec, s[4:5]
	s_waitcnt lgkmcnt(0)
	; wave barrier
	s_waitcnt lgkmcnt(0)
	buffer_load_dword v65, off, s[0:3], 0 offset:20
	buffer_load_dword v64, off, s[0:3], 0 offset:28
	;; [unrolled: 1-line block ×48, first 2 shown]
	v_mov_b32_e32 v60, 0
	ds_read_b128 v[22:25], v60 offset:512
	ds_read_b128 v[18:21], v60 offset:528
	;; [unrolled: 1-line block ×6, first 2 shown]
	buffer_load_dword v156, off, s[0:3], 0 offset:200
	buffer_load_dword v158, off, s[0:3], 0 offset:204
	v_cmp_ne_u32_e32 vcc, 0, v0
	s_waitcnt vmcnt(49) lgkmcnt(5)
	v_mul_f32_e32 v26, v22, v65
	s_waitcnt vmcnt(48)
	v_mul_f32_e32 v27, v24, v64
	s_waitcnt vmcnt(47) lgkmcnt(4)
	v_mul_f32_e32 v29, v20, v63
	s_waitcnt vmcnt(46) lgkmcnt(3)
	v_mul_f32_e32 v30, v14, v62
	s_waitcnt vmcnt(45)
	v_mul_f32_e32 v31, v16, v1
	s_waitcnt vmcnt(44)
	v_mul_f32_e32 v28, v18, v66
	s_waitcnt vmcnt(43) lgkmcnt(2)
	v_mul_f32_e32 v32, v10, v61
	s_waitcnt vmcnt(42)
	v_mul_f32_e32 v33, v12, v67
	s_waitcnt vmcnt(41) lgkmcnt(1)
	;; [unrolled: 4-line block ×3, first 2 shown]
	v_mul_f32_e32 v36, v2, v70
	s_waitcnt vmcnt(38)
	v_mul_f32_e32 v37, v4, v71
	s_waitcnt vmcnt(37)
	v_fmac_f32_e32 v28, v19, v77
	s_waitcnt vmcnt(36)
	v_fmac_f32_e32 v27, v25, v80
	;; [unrolled: 2-line block ×3, first 2 shown]
	v_add_f32_e32 v26, 0, v26
	v_add_f32_e32 v26, v26, v27
	;; [unrolled: 1-line block ×3, first 2 shown]
	s_waitcnt vmcnt(31)
	v_fmac_f32_e32 v29, v21, v82
	v_fmac_f32_e32 v30, v15, v79
	v_add_f32_e32 v26, v26, v29
	v_fmac_f32_e32 v31, v17, v76
	v_add_f32_e32 v26, v26, v30
	;; [unrolled: 2-line block ×3, first 2 shown]
	s_waitcnt vmcnt(27)
	v_fmac_f32_e32 v33, v13, v78
	v_add_f32_e32 v26, v26, v32
	v_fmac_f32_e32 v34, v7, v75
	v_add_f32_e32 v26, v26, v33
	;; [unrolled: 2-line block ×4, first 2 shown]
	v_add_f32_e32 v30, v26, v36
	ds_read_b128 v[26:29], v60 offset:608
	s_waitcnt vmcnt(23)
	v_fmac_f32_e32 v37, v5, v91
	v_add_f32_e32 v34, v30, v37
	buffer_load_dword v160, off, s[0:3], 0 offset:208
	buffer_load_dword v178, off, s[0:3], 0 offset:212
	ds_read_b128 v[30:33], v60 offset:624
	s_waitcnt vmcnt(24) lgkmcnt(1)
	v_mul_f32_e32 v35, v26, v90
	v_fmac_f32_e32 v35, v27, v86
	v_add_f32_e32 v34, v34, v35
	s_waitcnt vmcnt(23)
	v_mul_f32_e32 v35, v28, v88
	buffer_load_dword v179, off, s[0:3], 0 offset:216
	buffer_load_dword v180, off, s[0:3], 0 offset:220
	v_fmac_f32_e32 v35, v29, v84
	v_add_f32_e32 v34, v34, v35
	s_waitcnt vmcnt(24) lgkmcnt(0)
	v_mul_f32_e32 v35, v30, v85
	buffer_load_dword v181, off, s[0:3], 0 offset:224
	buffer_load_dword v182, off, s[0:3], 0 offset:228
	v_fmac_f32_e32 v35, v31, v81
	v_add_f32_e32 v34, v34, v35
	s_waitcnt vmcnt(24)
	v_mul_f32_e32 v35, v32, v89
	v_fmac_f32_e32 v35, v33, v87
	ds_read_b128 v[38:41], v60 offset:640
	v_add_f32_e32 v42, v34, v35
	ds_read_b128 v[34:37], v60 offset:656
	buffer_load_dword v183, off, s[0:3], 0 offset:232
	buffer_load_dword v184, off, s[0:3], 0 offset:236
	;; [unrolled: 1-line block ×6, first 2 shown]
	s_waitcnt vmcnt(26) lgkmcnt(1)
	v_mul_f32_e32 v43, v38, v93
	v_fmac_f32_e32 v43, v39, v92
	buffer_load_dword v189, off, s[0:3], 0 offset:256
	buffer_load_dword v190, off, s[0:3], 0 offset:260
	v_add_f32_e32 v42, v42, v43
	s_waitcnt vmcnt(26)
	v_mul_f32_e32 v43, v40, v95
	v_fmac_f32_e32 v43, v41, v94
	v_add_f32_e32 v42, v42, v43
	s_waitcnt vmcnt(24) lgkmcnt(0)
	v_mul_f32_e32 v43, v34, v97
	v_fmac_f32_e32 v43, v35, v96
	buffer_load_dword v191, off, s[0:3], 0 offset:264
	buffer_load_dword v192, off, s[0:3], 0 offset:268
	v_add_f32_e32 v42, v42, v43
	s_waitcnt vmcnt(24)
	v_mul_f32_e32 v43, v36, v99
	v_fmac_f32_e32 v43, v37, v98
	v_add_f32_e32 v50, v42, v43
	ds_read_b128 v[42:45], v60 offset:672
	buffer_load_dword v193, off, s[0:3], 0 offset:272
	buffer_load_dword v194, off, s[0:3], 0 offset:276
	ds_read_b128 v[46:49], v60 offset:688
	buffer_load_dword v195, off, s[0:3], 0 offset:280
	buffer_load_dword v196, off, s[0:3], 0 offset:284
	;; [unrolled: 1-line block ×12, first 2 shown]
	s_waitcnt vmcnt(36) lgkmcnt(1)
	v_mul_f32_e32 v51, v42, v101
	v_fmac_f32_e32 v51, v43, v100
	buffer_load_dword v233, off, s[0:3], 0 offset:328
	buffer_load_dword v234, off, s[0:3], 0 offset:332
	v_add_f32_e32 v50, v50, v51
	s_waitcnt vmcnt(36)
	v_mul_f32_e32 v51, v44, v105
	v_fmac_f32_e32 v51, v45, v104
	v_add_f32_e32 v50, v50, v51
	s_waitcnt vmcnt(34) lgkmcnt(0)
	v_mul_f32_e32 v51, v46, v107
	buffer_load_dword v235, off, s[0:3], 0 offset:336
	buffer_load_dword v236, off, s[0:3], 0 offset:340
	v_fmac_f32_e32 v51, v47, v106
	v_add_f32_e32 v54, v50, v51
	ds_read_b128 v[50:53], v60 offset:704
	buffer_load_dword v237, off, s[0:3], 0 offset:344
	buffer_load_dword v238, off, s[0:3], 0 offset:348
	;; [unrolled: 1-line block ×4, first 2 shown]
	s_waitcnt vmcnt(38)
	v_mul_f32_e32 v55, v48, v158
	v_fmac_f32_e32 v55, v49, v156
	v_add_f32_e32 v108, v54, v55
	ds_read_b128 v[54:57], v60 offset:720
	buffer_load_dword v241, off, s[0:3], 0 offset:360
	buffer_load_dword v242, off, s[0:3], 0 offset:364
	;; [unrolled: 1-line block ×16, first 2 shown]
	v_mul_f32_e32 v23, v23, v65
	v_fma_f32 v22, v22, v83, -v23
	v_mul_f32_e32 v23, v25, v64
	v_add_f32_e32 v22, 0, v22
	v_fma_f32 v23, v24, v80, -v23
	v_mul_f32_e32 v19, v19, v66
	v_add_f32_e32 v22, v22, v23
	;; [unrolled: 3-line block ×3, first 2 shown]
	v_fma_f32 v19, v20, v82, -v19
	v_mul_f32_e32 v15, v15, v62
	s_waitcnt vmcnt(52) lgkmcnt(1)
	v_mul_f32_e32 v109, v50, v178
	v_fmac_f32_e32 v109, v51, v160
	v_add_f32_e32 v108, v108, v109
	v_add_f32_e32 v18, v18, v19
	v_fma_f32 v14, v14, v79, -v15
	v_mul_f32_e32 v1, v17, v1
	s_waitcnt vmcnt(50)
	v_mul_f32_e32 v109, v52, v180
	v_fmac_f32_e32 v109, v53, v179
	v_add_f32_e32 v108, v108, v109
	v_add_f32_e32 v14, v18, v14
	s_waitcnt vmcnt(48) lgkmcnt(0)
	v_mul_f32_e32 v109, v54, v182
	v_fmac_f32_e32 v109, v55, v181
	v_add_f32_e32 v112, v108, v109
	ds_read_b128 v[108:111], v60 offset:736
	v_fma_f32 v1, v16, v76, -v1
	v_mul_f32_e32 v11, v11, v61
	v_add_f32_e32 v1, v14, v1
	v_fma_f32 v10, v10, v74, -v11
	s_waitcnt vmcnt(46)
	v_mul_f32_e32 v113, v56, v184
	v_fmac_f32_e32 v113, v57, v183
	v_add_f32_e32 v116, v112, v113
	ds_read_b128 v[112:115], v60 offset:752
	s_waitcnt vmcnt(44) lgkmcnt(1)
	v_mul_f32_e32 v117, v108, v186
	v_fmac_f32_e32 v117, v109, v185
	v_add_f32_e32 v116, v116, v117
	s_waitcnt vmcnt(42)
	v_mul_f32_e32 v117, v110, v188
	v_fmac_f32_e32 v117, v111, v187
	v_add_f32_e32 v116, v116, v117
	s_waitcnt vmcnt(40) lgkmcnt(0)
	v_mul_f32_e32 v117, v112, v190
	v_fmac_f32_e32 v117, v113, v189
	v_add_f32_e32 v120, v116, v117
	ds_read_b128 v[116:119], v60 offset:768
	s_waitcnt vmcnt(38)
	v_mul_f32_e32 v121, v114, v192
	v_fmac_f32_e32 v121, v115, v191
	v_add_f32_e32 v124, v120, v121
	ds_read_b128 v[120:123], v60 offset:784
	s_waitcnt vmcnt(36) lgkmcnt(1)
	v_mul_f32_e32 v125, v116, v194
	v_fmac_f32_e32 v125, v117, v193
	v_add_f32_e32 v124, v124, v125
	s_waitcnt vmcnt(34)
	v_mul_f32_e32 v125, v118, v196
	v_fmac_f32_e32 v125, v119, v195
	v_add_f32_e32 v124, v124, v125
	s_waitcnt vmcnt(32) lgkmcnt(0)
	v_mul_f32_e32 v125, v120, v224
	v_fmac_f32_e32 v125, v121, v197
	v_add_f32_e32 v128, v124, v125
	ds_read_b128 v[124:127], v60 offset:800
	;; [unrolled: 18-line block ×4, first 2 shown]
	s_waitcnt vmcnt(14)
	v_mul_f32_e32 v145, v138, v242
	v_add_f32_e32 v1, v1, v10
	v_mul_f32_e32 v10, v13, v67
	v_fmac_f32_e32 v145, v139, v241
	v_fma_f32 v10, v12, v78, -v10
	v_mul_f32_e32 v7, v7, v68
	v_add_f32_e32 v148, v144, v145
	ds_read_b128 v[144:147], v60 offset:880
	v_add_f32_e32 v1, v1, v10
	v_fma_f32 v6, v6, v75, -v7
	s_waitcnt vmcnt(12) lgkmcnt(1)
	v_mul_f32_e32 v149, v140, v244
	v_add_f32_e32 v1, v1, v6
	v_mul_f32_e32 v6, v9, v69
	v_fmac_f32_e32 v149, v141, v243
	v_fma_f32 v6, v8, v73, -v6
	v_mul_f32_e32 v3, v3, v70
	v_add_f32_e32 v148, v148, v149
	s_waitcnt vmcnt(10)
	v_mul_f32_e32 v149, v142, v246
	v_add_f32_e32 v1, v1, v6
	v_fma_f32 v2, v2, v72, -v3
	v_fmac_f32_e32 v149, v143, v245
	v_add_f32_e32 v1, v1, v2
	v_mul_f32_e32 v2, v5, v71
	v_add_f32_e32 v148, v148, v149
	s_waitcnt vmcnt(8) lgkmcnt(0)
	v_mul_f32_e32 v149, v144, v248
	v_fma_f32 v2, v4, v91, -v2
	v_fmac_f32_e32 v149, v145, v247
	s_waitcnt vmcnt(6)
	v_mul_f32_e32 v153, v146, v250
	v_add_f32_e32 v1, v1, v2
	v_mul_f32_e32 v2, v27, v90
	v_add_f32_e32 v152, v148, v149
	v_fmac_f32_e32 v153, v147, v249
	v_fma_f32 v2, v26, v86, -v2
	ds_read_b128 v[148:151], v60 offset:896
	v_add_f32_e32 v157, v152, v153
	ds_read_b128 v[152:155], v60 offset:912
	buffer_load_dword v163, off, s[0:3], 0 offset:452
	buffer_load_dword v162, off, s[0:3], 0 offset:448
	;; [unrolled: 1-line block ×16, first 2 shown]
	v_add_f32_e32 v1, v1, v2
	v_mul_f32_e32 v2, v29, v88
	v_fma_f32 v2, v28, v84, -v2
	v_add_f32_e32 v1, v1, v2
	v_mul_f32_e32 v2, v31, v85
	v_fma_f32 v2, v30, v81, -v2
	v_add_f32_e32 v1, v1, v2
	v_mul_f32_e32 v2, v33, v89
	v_fma_f32 v2, v32, v87, -v2
	v_add_f32_e32 v1, v1, v2
	v_mul_f32_e32 v2, v39, v93
	v_fma_f32 v2, v38, v92, -v2
	v_add_f32_e32 v1, v1, v2
	v_mul_f32_e32 v2, v41, v95
	v_fma_f32 v2, v40, v94, -v2
	v_add_f32_e32 v1, v1, v2
	v_mul_f32_e32 v2, v35, v97
	v_fma_f32 v2, v34, v96, -v2
	v_add_f32_e32 v1, v1, v2
	v_mul_f32_e32 v2, v37, v99
	v_fma_f32 v2, v36, v98, -v2
	v_add_f32_e32 v1, v1, v2
	v_mul_f32_e32 v2, v43, v101
	v_fma_f32 v2, v42, v100, -v2
	v_add_f32_e32 v1, v1, v2
	v_mul_f32_e32 v2, v45, v105
	v_fma_f32 v2, v44, v104, -v2
	v_add_f32_e32 v1, v1, v2
	v_mul_f32_e32 v2, v47, v107
	v_fma_f32 v2, v46, v106, -v2
	v_add_f32_e32 v1, v1, v2
	v_mul_f32_e32 v2, v49, v158
	v_fma_f32 v2, v48, v156, -v2
	v_add_f32_e32 v1, v1, v2
	v_mul_f32_e32 v2, v51, v178
	v_fma_f32 v2, v50, v160, -v2
	v_add_f32_e32 v1, v1, v2
	v_mul_f32_e32 v2, v53, v180
	v_fma_f32 v2, v52, v179, -v2
	v_add_f32_e32 v1, v1, v2
	v_mul_f32_e32 v2, v55, v182
	v_fma_f32 v2, v54, v181, -v2
	v_add_f32_e32 v1, v1, v2
	v_mul_f32_e32 v2, v57, v184
	v_fma_f32 v2, v56, v183, -v2
	v_add_f32_e32 v1, v1, v2
	v_mul_f32_e32 v2, v109, v186
	v_fma_f32 v2, v108, v185, -v2
	v_add_f32_e32 v1, v1, v2
	v_mul_f32_e32 v2, v111, v188
	v_fma_f32 v2, v110, v187, -v2
	v_add_f32_e32 v1, v1, v2
	v_mul_f32_e32 v2, v113, v190
	v_fma_f32 v2, v112, v189, -v2
	v_add_f32_e32 v1, v1, v2
	v_mul_f32_e32 v2, v115, v192
	v_fma_f32 v2, v114, v191, -v2
	v_add_f32_e32 v1, v1, v2
	v_mul_f32_e32 v2, v117, v194
	v_fma_f32 v2, v116, v193, -v2
	v_add_f32_e32 v1, v1, v2
	v_mul_f32_e32 v2, v119, v196
	v_fma_f32 v2, v118, v195, -v2
	v_add_f32_e32 v1, v1, v2
	v_mul_f32_e32 v2, v121, v224
	v_fma_f32 v2, v120, v197, -v2
	v_add_f32_e32 v1, v1, v2
	v_mul_f32_e32 v2, v123, v226
	v_fma_f32 v2, v122, v225, -v2
	v_add_f32_e32 v1, v1, v2
	v_mul_f32_e32 v2, v125, v228
	v_fma_f32 v2, v124, v227, -v2
	v_add_f32_e32 v1, v1, v2
	v_mul_f32_e32 v2, v127, v230
	v_fma_f32 v2, v126, v229, -v2
	v_add_f32_e32 v1, v1, v2
	v_mul_f32_e32 v2, v129, v232
	v_fma_f32 v2, v128, v231, -v2
	v_add_f32_e32 v1, v1, v2
	v_mul_f32_e32 v2, v131, v234
	v_fma_f32 v2, v130, v233, -v2
	v_add_f32_e32 v1, v1, v2
	v_mul_f32_e32 v2, v133, v236
	v_fma_f32 v2, v132, v235, -v2
	v_add_f32_e32 v1, v1, v2
	v_mul_f32_e32 v2, v135, v238
	v_fma_f32 v2, v134, v237, -v2
	v_add_f32_e32 v1, v1, v2
	v_mul_f32_e32 v2, v137, v240
	v_fma_f32 v2, v136, v239, -v2
	v_add_f32_e32 v1, v1, v2
	v_mul_f32_e32 v2, v139, v242
	v_fma_f32 v2, v138, v241, -v2
	v_add_f32_e32 v1, v1, v2
	v_mul_f32_e32 v2, v141, v244
	v_fma_f32 v2, v140, v243, -v2
	v_add_f32_e32 v1, v1, v2
	v_mul_f32_e32 v2, v143, v246
	v_fma_f32 v2, v142, v245, -v2
	v_add_f32_e32 v1, v1, v2
	v_mul_f32_e32 v2, v145, v248
	v_fma_f32 v2, v144, v247, -v2
	v_add_f32_e32 v1, v1, v2
	v_mul_f32_e32 v2, v147, v250
	v_fma_f32 v2, v146, v249, -v2
	s_waitcnt vmcnt(20) lgkmcnt(1)
	v_mul_f32_e32 v159, v148, v252
	v_add_f32_e32 v1, v1, v2
	v_mul_f32_e32 v2, v149, v252
	v_fmac_f32_e32 v159, v149, v251
	v_fma_f32 v2, v148, v251, -v2
	s_waitcnt vmcnt(9)
	v_mov_b32_e32 v18, v169
	v_add_f32_e32 v157, v157, v159
	v_mul_f32_e32 v159, v150, v254
	v_add_f32_e32 v156, v1, v2
	v_mul_f32_e32 v1, v151, v254
	s_waitcnt lgkmcnt(0)
	v_pk_mul_f32 v[18:19], v[154:155], v[18:19] op_sel_hi:[1,0]
	v_fmac_f32_e32 v159, v151, v253
	v_mul_f32_e32 v161, v152, v198
	v_fma_f32 v158, v150, v253, -v1
	v_mul_f32_e32 v1, v153, v198
	ds_read_b128 v[2:5], v60 offset:928
	ds_read_b128 v[6:9], v60 offset:944
	;; [unrolled: 1-line block ×3, first 2 shown]
	ds_read_b64 v[14:15], v60 offset:976
	s_waitcnt vmcnt(8)
	v_pk_fma_f32 v[20:21], v[154:155], v[168:169], v[18:19] op_sel:[0,0,1] op_sel_hi:[1,1,0] neg_lo:[0,0,1] neg_hi:[0,0,1]
	v_pk_fma_f32 v[18:19], v[154:155], v[168:169], v[18:19] op_sel:[0,0,1] op_sel_hi:[1,0,0]
	v_fmac_f32_e32 v161, v153, v255
	v_fma_f32 v160, v152, v255, -v1
	v_pk_add_f32 v[16:17], v[156:157], v[158:159]
	v_mov_b32_e32 v18, v167
	v_pk_add_f32 v[16:17], v[16:17], v[160:161]
	v_mov_b32_e32 v21, v19
	s_waitcnt lgkmcnt(3)
	v_pk_mul_f32 v[18:19], v[2:3], v[18:19] op_sel_hi:[1,0]
	v_pk_add_f32 v[16:17], v[16:17], v[20:21]
	v_pk_fma_f32 v[20:21], v[2:3], v[166:167], v[18:19] op_sel:[0,0,1] op_sel_hi:[1,1,0] neg_lo:[0,0,1] neg_hi:[0,0,1]
	v_pk_fma_f32 v[2:3], v[2:3], v[166:167], v[18:19] op_sel:[0,0,1] op_sel_hi:[1,0,0]
	v_mov_b32_e32 v21, v3
	v_pk_add_f32 v[2:3], v[16:17], v[20:21]
	v_mov_b32_e32 v16, v165
	v_pk_mul_f32 v[16:17], v[4:5], v[16:17] op_sel_hi:[1,0]
	v_pk_fma_f32 v[18:19], v[4:5], v[164:165], v[16:17] op_sel:[0,0,1] op_sel_hi:[1,1,0] neg_lo:[0,0,1] neg_hi:[0,0,1]
	v_pk_fma_f32 v[4:5], v[4:5], v[164:165], v[16:17] op_sel:[0,0,1] op_sel_hi:[1,0,0]
	v_mov_b32_e32 v4, v163
	v_mov_b32_e32 v19, v5
	s_waitcnt lgkmcnt(2)
	v_pk_mul_f32 v[4:5], v[6:7], v[4:5] op_sel_hi:[1,0]
	v_pk_fma_f32 v[16:17], v[6:7], v[162:163], v[4:5] op_sel:[0,0,1] op_sel_hi:[1,1,0] neg_lo:[0,0,1] neg_hi:[0,0,1]
	v_pk_fma_f32 v[4:5], v[6:7], v[162:163], v[4:5] op_sel:[0,0,1] op_sel_hi:[1,0,0]
	s_waitcnt vmcnt(1)
	v_mov_b32_e32 v4, v177
	v_mov_b32_e32 v17, v5
	v_pk_mul_f32 v[4:5], v[8:9], v[4:5] op_sel_hi:[1,0]
	s_waitcnt vmcnt(0)
	v_pk_fma_f32 v[6:7], v[8:9], v[176:177], v[4:5] op_sel:[0,0,1] op_sel_hi:[1,1,0] neg_lo:[0,0,1] neg_hi:[0,0,1]
	v_pk_fma_f32 v[4:5], v[8:9], v[176:177], v[4:5] op_sel:[0,0,1] op_sel_hi:[1,0,0]
	v_pk_add_f32 v[2:3], v[2:3], v[18:19]
	v_mov_b32_e32 v4, v175
	v_pk_add_f32 v[2:3], v[2:3], v[16:17]
	v_mov_b32_e32 v7, v5
	s_waitcnt lgkmcnt(1)
	v_pk_mul_f32 v[4:5], v[10:11], v[4:5] op_sel_hi:[1,0]
	v_pk_add_f32 v[2:3], v[2:3], v[6:7]
	v_pk_fma_f32 v[6:7], v[10:11], v[174:175], v[4:5] op_sel:[0,0,1] op_sel_hi:[1,1,0] neg_lo:[0,0,1] neg_hi:[0,0,1]
	v_pk_fma_f32 v[4:5], v[10:11], v[174:175], v[4:5] op_sel:[0,0,1] op_sel_hi:[1,0,0]
	v_mov_b32_e32 v4, v173
	v_mov_b32_e32 v7, v5
	v_pk_mul_f32 v[4:5], v[12:13], v[4:5] op_sel_hi:[1,0]
	v_pk_add_f32 v[2:3], v[2:3], v[6:7]
	v_pk_fma_f32 v[6:7], v[12:13], v[172:173], v[4:5] op_sel:[0,0,1] op_sel_hi:[1,1,0] neg_lo:[0,0,1] neg_hi:[0,0,1]
	v_pk_fma_f32 v[4:5], v[12:13], v[172:173], v[4:5] op_sel:[0,0,1] op_sel_hi:[1,0,0]
	v_mov_b32_e32 v4, v171
	v_mov_b32_e32 v7, v5
	s_waitcnt lgkmcnt(0)
	v_pk_mul_f32 v[4:5], v[14:15], v[4:5] op_sel_hi:[1,0]
	v_pk_add_f32 v[2:3], v[2:3], v[6:7]
	v_pk_fma_f32 v[6:7], v[14:15], v[170:171], v[4:5] op_sel:[0,0,1] op_sel_hi:[1,1,0] neg_lo:[0,0,1] neg_hi:[0,0,1]
	v_pk_fma_f32 v[4:5], v[14:15], v[170:171], v[4:5] op_sel:[0,0,1] op_sel_hi:[1,0,0]
	v_mov_b32_e32 v7, v5
	v_pk_add_f32 v[2:3], v[2:3], v[6:7]
	v_pk_add_f32 v[2:3], v[58:59], v[2:3] neg_lo:[0,1] neg_hi:[0,1]
	buffer_store_dword v3, off, s[0:3], 0 offset:12
	buffer_store_dword v2, off, s[0:3], 0 offset:8
	s_and_saveexec_b64 s[4:5], vcc
	s_cbranch_execz .LBB60_379
; %bb.378:
	buffer_load_dword v0, off, s[0:3], 0
	buffer_load_dword v1, off, s[0:3], 0 offset:4
	s_waitcnt vmcnt(0)
	ds_write_b64 v199, v[0:1]
	buffer_store_dword v60, off, s[0:3], 0
	buffer_store_dword v60, off, s[0:3], 0 offset:4
.LBB60_379:
	s_or_b64 exec, exec, s[4:5]
	s_waitcnt lgkmcnt(0)
	; wave barrier
	s_waitcnt lgkmcnt(0)
	buffer_load_dword v64, off, s[0:3], 0 offset:12
	buffer_load_dword v63, off, s[0:3], 0 offset:20
	;; [unrolled: 1-line block ×38, first 2 shown]
	buffer_load_dword v56, off, s[0:3], 0
	buffer_load_dword v57, off, s[0:3], 0 offset:4
	ds_read2_b64 v[24:27], v60 offset0:63 offset1:64
	ds_read2_b64 v[20:23], v60 offset0:65 offset1:66
	;; [unrolled: 1-line block ×7, first 2 shown]
	buffer_load_dword v97, off, s[0:3], 0 offset:160
	buffer_load_dword v98, off, s[0:3], 0 offset:164
	;; [unrolled: 1-line block ×12, first 2 shown]
	s_and_b64 vcc, exec, s[20:21]
	s_waitcnt vmcnt(51) lgkmcnt(6)
	v_mul_f32_e32 v28, v24, v64
	s_waitcnt vmcnt(50)
	v_mul_f32_e32 v29, v26, v63
	s_waitcnt vmcnt(49) lgkmcnt(5)
	v_mul_f32_e32 v31, v22, v62
	s_waitcnt vmcnt(48) lgkmcnt(4)
	v_mul_f32_e32 v32, v16, v61
	s_waitcnt vmcnt(47)
	v_mul_f32_e32 v33, v18, v58
	s_waitcnt vmcnt(46)
	v_mul_f32_e32 v30, v20, v65
	s_waitcnt vmcnt(45) lgkmcnt(3)
	v_mul_f32_e32 v34, v12, v59
	s_waitcnt vmcnt(44)
	v_mul_f32_e32 v35, v14, v66
	s_waitcnt vmcnt(43) lgkmcnt(2)
	v_mul_f32_e32 v36, v8, v67
	s_waitcnt vmcnt(42)
	v_mul_f32_e32 v37, v10, v68
	s_waitcnt vmcnt(41) lgkmcnt(1)
	v_mul_f32_e32 v38, v4, v69
	s_waitcnt vmcnt(40)
	v_mul_f32_e32 v39, v6, v70
	s_waitcnt vmcnt(39)
	v_fmac_f32_e32 v30, v21, v76
	s_waitcnt vmcnt(38)
	v_fmac_f32_e32 v29, v27, v79
	;; [unrolled: 2-line block ×3, first 2 shown]
	v_add_f32_e32 v28, 0, v28
	v_add_f32_e32 v28, v28, v29
	;; [unrolled: 1-line block ×3, first 2 shown]
	s_waitcnt vmcnt(33)
	v_fmac_f32_e32 v31, v23, v81
	v_fmac_f32_e32 v32, v17, v78
	v_add_f32_e32 v28, v28, v31
	v_fmac_f32_e32 v33, v19, v75
	v_add_f32_e32 v28, v28, v32
	v_fmac_f32_e32 v34, v13, v73
	v_add_f32_e32 v28, v28, v33
	s_waitcnt vmcnt(29)
	v_fmac_f32_e32 v35, v15, v77
	v_add_f32_e32 v28, v28, v34
	v_fmac_f32_e32 v36, v9, v74
	v_add_f32_e32 v28, v28, v35
	v_fmac_f32_e32 v37, v11, v72
	v_add_f32_e32 v28, v28, v36
	v_fmac_f32_e32 v38, v5, v71
	v_add_f32_e32 v28, v28, v37
	v_add_f32_e32 v28, v28, v38
	s_waitcnt vmcnt(25)
	v_fmac_f32_e32 v39, v7, v88
	v_add_f32_e32 v32, v28, v39
	ds_read2_b64 v[28:31], v60 offset0:77 offset1:78
	s_waitcnt vmcnt(24) lgkmcnt(1)
	v_mul_f32_e32 v33, v0, v87
	buffer_load_dword v178, off, s[0:3], 0 offset:208
	buffer_load_dword v179, off, s[0:3], 0 offset:212
	v_fmac_f32_e32 v33, v1, v85
	v_add_f32_e32 v32, v32, v33
	s_waitcnt vmcnt(25)
	v_mul_f32_e32 v33, v2, v86
	buffer_load_dword v180, off, s[0:3], 0 offset:216
	buffer_load_dword v181, off, s[0:3], 0 offset:220
	v_fmac_f32_e32 v33, v3, v83
	v_add_f32_e32 v32, v32, v33
	s_waitcnt vmcnt(26) lgkmcnt(0)
	v_mul_f32_e32 v33, v28, v84
	v_fmac_f32_e32 v33, v29, v80
	v_add_f32_e32 v36, v32, v33
	ds_read2_b64 v[32:35], v60 offset0:79 offset1:80
	buffer_load_dword v182, off, s[0:3], 0 offset:224
	buffer_load_dword v183, off, s[0:3], 0 offset:228
	s_waitcnt vmcnt(21)
	v_mul_f32_e32 v37, v30, v96
	s_waitcnt vmcnt(20)
	v_fmac_f32_e32 v37, v31, v95
	v_add_f32_e32 v40, v36, v37
	ds_read2_b64 v[36:39], v60 offset0:81 offset1:82
	buffer_load_dword v184, off, s[0:3], 0 offset:232
	buffer_load_dword v185, off, s[0:3], 0 offset:236
	s_waitcnt lgkmcnt(1)
	v_mul_f32_e32 v41, v32, v90
	buffer_load_dword v186, off, s[0:3], 0 offset:240
	buffer_load_dword v187, off, s[0:3], 0 offset:244
	v_fmac_f32_e32 v41, v33, v89
	v_add_f32_e32 v40, v40, v41
	v_mul_f32_e32 v41, v34, v92
	buffer_load_dword v188, off, s[0:3], 0 offset:248
	buffer_load_dword v189, off, s[0:3], 0 offset:252
	v_fmac_f32_e32 v41, v35, v91
	v_add_f32_e32 v40, v40, v41
	s_waitcnt lgkmcnt(0)
	v_mul_f32_e32 v41, v36, v94
	v_fmac_f32_e32 v41, v37, v93
	v_add_f32_e32 v44, v40, v41
	ds_read2_b64 v[40:43], v60 offset0:83 offset1:84
	buffer_load_dword v190, off, s[0:3], 0 offset:256
	buffer_load_dword v191, off, s[0:3], 0 offset:260
	s_waitcnt vmcnt(24)
	v_mul_f32_e32 v45, v38, v98
	v_fmac_f32_e32 v45, v39, v97
	v_add_f32_e32 v48, v44, v45
	ds_read2_b64 v[44:47], v60 offset0:85 offset1:86
	buffer_load_dword v192, off, s[0:3], 0 offset:264
	buffer_load_dword v193, off, s[0:3], 0 offset:268
	buffer_load_dword v194, off, s[0:3], 0 offset:272
	buffer_load_dword v195, off, s[0:3], 0 offset:276
	buffer_load_dword v196, off, s[0:3], 0 offset:280
	buffer_load_dword v197, off, s[0:3], 0 offset:284
	buffer_load_dword v198, off, s[0:3], 0 offset:288
	buffer_load_dword v199, off, s[0:3], 0 offset:292
	buffer_load_dword v224, off, s[0:3], 0 offset:296
	buffer_load_dword v225, off, s[0:3], 0 offset:300
	buffer_load_dword v226, off, s[0:3], 0 offset:304
	buffer_load_dword v227, off, s[0:3], 0 offset:308
	s_waitcnt vmcnt(34) lgkmcnt(1)
	v_mul_f32_e32 v49, v40, v100
	v_fmac_f32_e32 v49, v41, v99
	buffer_load_dword v228, off, s[0:3], 0 offset:312
	buffer_load_dword v229, off, s[0:3], 0 offset:316
	v_add_f32_e32 v48, v48, v49
	s_waitcnt vmcnt(34)
	v_mul_f32_e32 v49, v42, v104
	v_fmac_f32_e32 v49, v43, v101
	v_add_f32_e32 v48, v48, v49
	s_waitcnt vmcnt(32) lgkmcnt(0)
	v_mul_f32_e32 v49, v44, v106
	v_fmac_f32_e32 v49, v45, v105
	buffer_load_dword v230, off, s[0:3], 0 offset:320
	buffer_load_dword v231, off, s[0:3], 0 offset:324
	v_add_f32_e32 v48, v48, v49
	s_waitcnt vmcnt(32)
	v_mul_f32_e32 v49, v46, v164
	v_fmac_f32_e32 v49, v47, v156
	v_add_f32_e32 v107, v48, v49
	ds_read2_b64 v[48:51], v60 offset0:87 offset1:88
	buffer_load_dword v232, off, s[0:3], 0 offset:328
	buffer_load_dword v233, off, s[0:3], 0 offset:332
	ds_read2_b64 v[52:55], v60 offset0:89 offset1:90
	buffer_load_dword v234, off, s[0:3], 0 offset:336
	buffer_load_dword v235, off, s[0:3], 0 offset:340
	;; [unrolled: 1-line block ×14, first 2 shown]
	s_waitcnt vmcnt(46) lgkmcnt(1)
	v_mul_f32_e32 v108, v48, v177
	v_fmac_f32_e32 v108, v49, v176
	v_add_f32_e32 v107, v107, v108
	buffer_load_dword v248, off, s[0:3], 0 offset:392
	buffer_load_dword v249, off, s[0:3], 0 offset:396
	v_mul_f32_e32 v25, v25, v64
	v_fma_f32 v24, v24, v82, -v25
	v_mul_f32_e32 v25, v27, v63
	v_add_f32_e32 v24, 0, v24
	v_fma_f32 v25, v26, v79, -v25
	v_mul_f32_e32 v21, v21, v65
	v_add_f32_e32 v24, v24, v25
	;; [unrolled: 3-line block ×3, first 2 shown]
	v_fma_f32 v21, v22, v81, -v21
	v_mul_f32_e32 v17, v17, v61
	s_waitcnt vmcnt(46)
	v_mul_f32_e32 v108, v50, v179
	v_fmac_f32_e32 v108, v51, v178
	v_add_f32_e32 v107, v107, v108
	v_add_f32_e32 v20, v20, v21
	s_waitcnt vmcnt(44) lgkmcnt(0)
	v_mul_f32_e32 v108, v52, v181
	v_fmac_f32_e32 v108, v53, v180
	v_add_f32_e32 v107, v107, v108
	ds_read2_b64 v[108:111], v60 offset0:91 offset1:92
	buffer_load_dword v250, off, s[0:3], 0 offset:400
	buffer_load_dword v251, off, s[0:3], 0 offset:404
	;; [unrolled: 1-line block ×4, first 2 shown]
	v_fma_f32 v16, v16, v78, -v17
	s_waitcnt vmcnt(46)
	v_mul_f32_e32 v112, v54, v183
	v_fmac_f32_e32 v112, v55, v182
	v_add_f32_e32 v107, v107, v112
	ds_read2_b64 v[112:115], v60 offset0:93 offset1:94
	buffer_load_dword v254, off, s[0:3], 0 offset:416
	buffer_load_dword v255, off, s[0:3], 0 offset:420
	s_waitcnt vmcnt(46) lgkmcnt(1)
	v_mul_f32_e32 v116, v108, v185
	v_fmac_f32_e32 v116, v109, v184
	v_add_f32_e32 v107, v107, v116
	s_waitcnt vmcnt(44)
	v_mul_f32_e32 v116, v110, v187
	v_fmac_f32_e32 v116, v111, v186
	v_add_f32_e32 v107, v107, v116
	s_waitcnt vmcnt(42) lgkmcnt(0)
	v_mul_f32_e32 v116, v112, v189
	v_fmac_f32_e32 v116, v113, v188
	v_add_f32_e32 v107, v107, v116
	ds_read2_b64 v[116:119], v60 offset0:95 offset1:96
	v_mul_f32_e32 v17, v19, v58
	v_add_f32_e32 v16, v20, v16
	v_fma_f32 v17, v18, v75, -v17
	s_waitcnt vmcnt(40)
	v_mul_f32_e32 v120, v114, v191
	v_fmac_f32_e32 v120, v115, v190
	v_add_f32_e32 v107, v107, v120
	ds_read2_b64 v[120:123], v60 offset0:97 offset1:98
	v_mul_f32_e32 v13, v13, v59
	s_waitcnt vmcnt(38) lgkmcnt(1)
	v_mul_f32_e32 v124, v116, v193
	v_fmac_f32_e32 v124, v117, v192
	v_add_f32_e32 v107, v107, v124
	s_waitcnt vmcnt(36)
	v_mul_f32_e32 v124, v118, v195
	v_fmac_f32_e32 v124, v119, v194
	v_add_f32_e32 v107, v107, v124
	s_waitcnt vmcnt(34) lgkmcnt(0)
	v_mul_f32_e32 v124, v120, v197
	v_fmac_f32_e32 v124, v121, v196
	v_add_f32_e32 v107, v107, v124
	ds_read2_b64 v[124:127], v60 offset0:99 offset1:100
	s_waitcnt vmcnt(32)
	v_mul_f32_e32 v128, v122, v199
	v_fmac_f32_e32 v128, v123, v198
	v_add_f32_e32 v107, v107, v128
	ds_read2_b64 v[128:131], v60 offset0:101 offset1:102
	s_waitcnt vmcnt(30) lgkmcnt(1)
	v_mul_f32_e32 v132, v124, v225
	v_fmac_f32_e32 v132, v125, v224
	v_add_f32_e32 v107, v107, v132
	s_waitcnt vmcnt(28)
	v_mul_f32_e32 v132, v126, v227
	v_fmac_f32_e32 v132, v127, v226
	v_add_f32_e32 v107, v107, v132
	s_waitcnt vmcnt(26) lgkmcnt(0)
	v_mul_f32_e32 v132, v128, v229
	v_fmac_f32_e32 v132, v129, v228
	v_add_f32_e32 v107, v107, v132
	ds_read2_b64 v[132:135], v60 offset0:103 offset1:104
	s_waitcnt vmcnt(24)
	v_mul_f32_e32 v136, v130, v231
	v_fmac_f32_e32 v136, v131, v230
	v_add_f32_e32 v107, v107, v136
	ds_read2_b64 v[136:139], v60 offset0:105 offset1:106
	s_waitcnt vmcnt(22) lgkmcnt(1)
	v_mul_f32_e32 v140, v132, v233
	v_fmac_f32_e32 v140, v133, v232
	v_add_f32_e32 v107, v107, v140
	s_waitcnt vmcnt(20)
	v_mul_f32_e32 v140, v134, v235
	v_fmac_f32_e32 v140, v135, v234
	v_add_f32_e32 v107, v107, v140
	s_waitcnt vmcnt(18) lgkmcnt(0)
	v_mul_f32_e32 v140, v136, v237
	v_fmac_f32_e32 v140, v137, v236
	v_add_f32_e32 v107, v107, v140
	ds_read2_b64 v[140:143], v60 offset0:107 offset1:108
	s_waitcnt vmcnt(16)
	v_mul_f32_e32 v144, v138, v239
	v_fmac_f32_e32 v144, v139, v238
	v_add_f32_e32 v107, v107, v144
	ds_read2_b64 v[144:147], v60 offset0:109 offset1:110
	s_waitcnt vmcnt(14) lgkmcnt(1)
	v_mul_f32_e32 v148, v140, v241
	v_fmac_f32_e32 v148, v141, v240
	v_add_f32_e32 v107, v107, v148
	s_waitcnt vmcnt(12)
	v_mul_f32_e32 v148, v142, v243
	v_fmac_f32_e32 v148, v143, v242
	v_add_f32_e32 v16, v16, v17
	v_fma_f32 v12, v12, v73, -v13
	v_mul_f32_e32 v13, v15, v66
	v_add_f32_e32 v107, v107, v148
	s_waitcnt vmcnt(10) lgkmcnt(0)
	v_mul_f32_e32 v148, v144, v245
	v_add_f32_e32 v12, v16, v12
	v_fma_f32 v13, v14, v77, -v13
	v_mul_f32_e32 v9, v9, v67
	v_fmac_f32_e32 v148, v145, v244
	s_waitcnt vmcnt(8)
	v_mul_f32_e32 v152, v146, v247
	v_add_f32_e32 v12, v12, v13
	v_fma_f32 v8, v8, v74, -v9
	v_mul_f32_e32 v9, v11, v68
	v_add_f32_e32 v107, v107, v148
	v_fmac_f32_e32 v152, v147, v246
	v_add_f32_e32 v8, v12, v8
	v_fma_f32 v9, v10, v72, -v9
	v_mul_f32_e32 v5, v5, v69
	ds_read2_b64 v[148:151], v60 offset0:111 offset1:112
	v_add_f32_e32 v107, v107, v152
	ds_read2_b64 v[152:155], v60 offset0:113 offset1:114
	buffer_load_dword v159, off, s[0:3], 0 offset:444
	buffer_load_dword v158, off, s[0:3], 0 offset:440
	buffer_load_dword v161, off, s[0:3], 0 offset:436
	buffer_load_dword v160, off, s[0:3], 0 offset:432
	buffer_load_dword v163, off, s[0:3], 0 offset:428
	buffer_load_dword v162, off, s[0:3], 0 offset:424
	v_add_f32_e32 v8, v8, v9
	v_fma_f32 v4, v4, v71, -v5
	v_mul_f32_e32 v5, v7, v70
	v_add_f32_e32 v4, v8, v4
	v_fma_f32 v5, v6, v88, -v5
	v_mul_f32_e32 v1, v1, v87
	;; [unrolled: 3-line block ×3, first 2 shown]
	v_add_f32_e32 v0, v4, v0
	v_fma_f32 v1, v2, v83, -v1
	v_add_f32_e32 v0, v0, v1
	v_mul_f32_e32 v1, v29, v84
	v_fma_f32 v1, v28, v80, -v1
	v_add_f32_e32 v0, v0, v1
	v_mul_f32_e32 v1, v31, v96
	;; [unrolled: 3-line block ×4, first 2 shown]
	v_fma_f32 v1, v34, v91, -v1
	buffer_load_dword v167, off, s[0:3], 0 offset:476
	buffer_load_dword v166, off, s[0:3], 0 offset:472
	;; [unrolled: 1-line block ×10, first 2 shown]
	v_add_f32_e32 v0, v0, v1
	v_mul_f32_e32 v1, v37, v94
	v_fma_f32 v1, v36, v93, -v1
	v_add_f32_e32 v0, v0, v1
	v_mul_f32_e32 v1, v39, v98
	v_fma_f32 v1, v38, v97, -v1
	;; [unrolled: 3-line block ×30, first 2 shown]
	v_add_f32_e32 v0, v0, v1
	s_waitcnt vmcnt(22) lgkmcnt(1)
	v_mul_f32_e32 v1, v149, v249
	v_fma_f32 v1, v148, v248, -v1
	v_add_f32_e32 v0, v0, v1
	s_waitcnt vmcnt(20)
	v_mul_f32_e32 v1, v151, v251
	v_mul_f32_e32 v157, v148, v249
	v_fma_f32 v1, v150, v250, -v1
	v_fmac_f32_e32 v157, v149, v248
	v_add_f32_e32 v106, v0, v1
	s_waitcnt vmcnt(18) lgkmcnt(0)
	v_mul_f32_e32 v0, v153, v253
	v_add_f32_e32 v107, v107, v157
	v_mul_f32_e32 v157, v150, v251
	v_fma_f32 v156, v152, v252, -v0
	s_waitcnt vmcnt(16)
	v_mul_f32_e32 v0, v155, v255
	v_fmac_f32_e32 v157, v151, v250
	v_fma_f32 v164, v154, v254, -v0
	ds_read2_b64 v[0:3], v60 offset0:115 offset1:116
	ds_read2_b64 v[4:7], v60 offset0:117 offset1:118
	;; [unrolled: 1-line block ×4, first 2 shown]
	v_add_f32_e32 v107, v107, v157
	v_mul_f32_e32 v157, v152, v253
	s_waitcnt vmcnt(11)
	v_mov_b32_e32 v18, v163
	v_fmac_f32_e32 v157, v153, v252
	v_mul_f32_e32 v165, v154, v255
	s_waitcnt lgkmcnt(3)
	v_pk_mul_f32 v[18:19], v[0:1], v[18:19] op_sel_hi:[1,0]
	v_fmac_f32_e32 v165, v155, v254
	v_pk_add_f32 v[16:17], v[106:107], v[156:157]
	s_waitcnt vmcnt(10)
	v_pk_fma_f32 v[20:21], v[0:1], v[162:163], v[18:19] op_sel:[0,0,1] op_sel_hi:[1,1,0] neg_lo:[0,0,1] neg_hi:[0,0,1]
	v_pk_fma_f32 v[0:1], v[0:1], v[162:163], v[18:19] op_sel:[0,0,1] op_sel_hi:[1,0,0]
	v_pk_add_f32 v[16:17], v[16:17], v[164:165]
	v_mov_b32_e32 v21, v1
	v_pk_add_f32 v[0:1], v[16:17], v[20:21]
	v_mov_b32_e32 v16, v161
	v_pk_mul_f32 v[16:17], v[2:3], v[16:17] op_sel_hi:[1,0]
	v_pk_fma_f32 v[18:19], v[2:3], v[160:161], v[16:17] op_sel:[0,0,1] op_sel_hi:[1,1,0] neg_lo:[0,0,1] neg_hi:[0,0,1]
	v_pk_fma_f32 v[2:3], v[2:3], v[160:161], v[16:17] op_sel:[0,0,1] op_sel_hi:[1,0,0]
	v_mov_b32_e32 v2, v159
	v_mov_b32_e32 v19, v3
	s_waitcnt lgkmcnt(2)
	v_pk_mul_f32 v[2:3], v[4:5], v[2:3] op_sel_hi:[1,0]
	v_pk_fma_f32 v[16:17], v[4:5], v[158:159], v[2:3] op_sel:[0,0,1] op_sel_hi:[1,1,0] neg_lo:[0,0,1] neg_hi:[0,0,1]
	v_pk_fma_f32 v[2:3], v[4:5], v[158:159], v[2:3] op_sel:[0,0,1] op_sel_hi:[1,0,0]
	s_waitcnt vmcnt(3)
	v_mov_b32_e32 v2, v173
	v_mov_b32_e32 v17, v3
	v_pk_mul_f32 v[2:3], v[6:7], v[2:3] op_sel_hi:[1,0]
	s_waitcnt vmcnt(2)
	v_pk_fma_f32 v[4:5], v[6:7], v[172:173], v[2:3] op_sel:[0,0,1] op_sel_hi:[1,1,0] neg_lo:[0,0,1] neg_hi:[0,0,1]
	v_pk_fma_f32 v[2:3], v[6:7], v[172:173], v[2:3] op_sel:[0,0,1] op_sel_hi:[1,0,0]
	v_pk_add_f32 v[0:1], v[0:1], v[18:19]
	v_mov_b32_e32 v2, v171
	v_pk_add_f32 v[0:1], v[0:1], v[16:17]
	v_mov_b32_e32 v5, v3
	s_waitcnt lgkmcnt(1)
	v_pk_mul_f32 v[2:3], v[8:9], v[2:3] op_sel_hi:[1,0]
	v_pk_add_f32 v[0:1], v[0:1], v[4:5]
	v_pk_fma_f32 v[4:5], v[8:9], v[170:171], v[2:3] op_sel:[0,0,1] op_sel_hi:[1,1,0] neg_lo:[0,0,1] neg_hi:[0,0,1]
	v_pk_fma_f32 v[2:3], v[8:9], v[170:171], v[2:3] op_sel:[0,0,1] op_sel_hi:[1,0,0]
	v_mov_b32_e32 v2, v169
	v_mov_b32_e32 v5, v3
	v_pk_mul_f32 v[2:3], v[10:11], v[2:3] op_sel_hi:[1,0]
	v_pk_add_f32 v[0:1], v[0:1], v[4:5]
	v_pk_fma_f32 v[4:5], v[10:11], v[168:169], v[2:3] op_sel:[0,0,1] op_sel_hi:[1,1,0] neg_lo:[0,0,1] neg_hi:[0,0,1]
	v_pk_fma_f32 v[2:3], v[10:11], v[168:169], v[2:3] op_sel:[0,0,1] op_sel_hi:[1,0,0]
	v_mov_b32_e32 v2, v167
	v_mov_b32_e32 v5, v3
	s_waitcnt lgkmcnt(0)
	v_pk_mul_f32 v[2:3], v[12:13], v[2:3] op_sel_hi:[1,0]
	v_pk_add_f32 v[0:1], v[0:1], v[4:5]
	v_pk_fma_f32 v[4:5], v[12:13], v[166:167], v[2:3] op_sel:[0,0,1] op_sel_hi:[1,1,0] neg_lo:[0,0,1] neg_hi:[0,0,1]
	v_pk_fma_f32 v[2:3], v[12:13], v[166:167], v[2:3] op_sel:[0,0,1] op_sel_hi:[1,0,0]
	s_waitcnt vmcnt(1)
	v_mov_b32_e32 v2, v175
	v_mov_b32_e32 v5, v3
	v_pk_mul_f32 v[2:3], v[14:15], v[2:3] op_sel_hi:[1,0]
	v_pk_add_f32 v[0:1], v[0:1], v[4:5]
	s_waitcnt vmcnt(0)
	v_pk_fma_f32 v[4:5], v[14:15], v[174:175], v[2:3] op_sel:[0,0,1] op_sel_hi:[1,1,0] neg_lo:[0,0,1] neg_hi:[0,0,1]
	v_pk_fma_f32 v[2:3], v[14:15], v[174:175], v[2:3] op_sel:[0,0,1] op_sel_hi:[1,0,0]
	v_mov_b32_e32 v5, v3
	v_pk_add_f32 v[0:1], v[0:1], v[4:5]
	v_pk_add_f32 v[0:1], v[56:57], v[0:1] neg_lo:[0,1] neg_hi:[0,1]
	buffer_store_dword v1, off, s[0:3], 0 offset:4
	buffer_store_dword v0, off, s[0:3], 0
	s_cbranch_vccz .LBB60_501
; %bb.380:
	v_pk_mov_b32 v[0:1], s[10:11], s[10:11] op_sel:[0,1]
	flat_load_dword v0, v[0:1] offset:236
	s_waitcnt vmcnt(0) lgkmcnt(0)
	v_add_u32_e32 v0, -1, v0
	v_cmp_ne_u32_e32 vcc, 59, v0
	s_and_saveexec_b64 s[4:5], vcc
	s_cbranch_execz .LBB60_382
; %bb.381:
	v_mov_b32_e32 v1, 0
	v_lshl_add_u32 v0, v0, 3, v1
	buffer_load_dword v1, v0, s[0:3], 0 offen
	buffer_load_dword v2, v0, s[0:3], 0 offen offset:4
	buffer_load_dword v3, off, s[0:3], 0 offset:472
	buffer_load_dword v4, off, s[0:3], 0 offset:476
	s_waitcnt vmcnt(3)
	buffer_store_dword v1, off, s[0:3], 0 offset:472
	s_waitcnt vmcnt(3)
	buffer_store_dword v2, off, s[0:3], 0 offset:476
	s_waitcnt vmcnt(3)
	buffer_store_dword v3, v0, s[0:3], 0 offen
	s_waitcnt vmcnt(3)
	buffer_store_dword v4, v0, s[0:3], 0 offen offset:4
.LBB60_382:
	s_or_b64 exec, exec, s[4:5]
	v_pk_mov_b32 v[0:1], s[10:11], s[10:11] op_sel:[0,1]
	flat_load_dword v0, v[0:1] offset:232
	s_waitcnt vmcnt(0) lgkmcnt(0)
	v_add_u32_e32 v0, -1, v0
	v_cmp_ne_u32_e32 vcc, 58, v0
	s_and_saveexec_b64 s[4:5], vcc
	s_cbranch_execz .LBB60_384
; %bb.383:
	v_mov_b32_e32 v1, 0
	v_lshl_add_u32 v0, v0, 3, v1
	buffer_load_dword v1, v0, s[0:3], 0 offen
	buffer_load_dword v2, v0, s[0:3], 0 offen offset:4
	buffer_load_dword v3, off, s[0:3], 0 offset:468
	buffer_load_dword v4, off, s[0:3], 0 offset:464
	s_waitcnt vmcnt(3)
	buffer_store_dword v1, off, s[0:3], 0 offset:464
	s_waitcnt vmcnt(3)
	buffer_store_dword v2, off, s[0:3], 0 offset:468
	s_waitcnt vmcnt(3)
	buffer_store_dword v3, v0, s[0:3], 0 offen offset:4
	s_waitcnt vmcnt(3)
	buffer_store_dword v4, v0, s[0:3], 0 offen
.LBB60_384:
	s_or_b64 exec, exec, s[4:5]
	v_pk_mov_b32 v[0:1], s[10:11], s[10:11] op_sel:[0,1]
	flat_load_dword v0, v[0:1] offset:228
	s_waitcnt vmcnt(0) lgkmcnt(0)
	v_add_u32_e32 v0, -1, v0
	v_cmp_ne_u32_e32 vcc, 57, v0
	s_and_saveexec_b64 s[4:5], vcc
	s_cbranch_execz .LBB60_386
; %bb.385:
	v_mov_b32_e32 v1, 0
	v_lshl_add_u32 v0, v0, 3, v1
	buffer_load_dword v1, v0, s[0:3], 0 offen
	buffer_load_dword v2, v0, s[0:3], 0 offen offset:4
	buffer_load_dword v3, off, s[0:3], 0 offset:456
	buffer_load_dword v4, off, s[0:3], 0 offset:460
	s_waitcnt vmcnt(3)
	buffer_store_dword v1, off, s[0:3], 0 offset:456
	s_waitcnt vmcnt(3)
	buffer_store_dword v2, off, s[0:3], 0 offset:460
	s_waitcnt vmcnt(3)
	buffer_store_dword v3, v0, s[0:3], 0 offen
	s_waitcnt vmcnt(3)
	buffer_store_dword v4, v0, s[0:3], 0 offen offset:4
.LBB60_386:
	s_or_b64 exec, exec, s[4:5]
	v_pk_mov_b32 v[0:1], s[10:11], s[10:11] op_sel:[0,1]
	flat_load_dword v0, v[0:1] offset:224
	s_waitcnt vmcnt(0) lgkmcnt(0)
	v_add_u32_e32 v0, -1, v0
	v_cmp_ne_u32_e32 vcc, 56, v0
	s_and_saveexec_b64 s[4:5], vcc
	s_cbranch_execz .LBB60_388
; %bb.387:
	v_mov_b32_e32 v1, 0
	v_lshl_add_u32 v0, v0, 3, v1
	buffer_load_dword v1, v0, s[0:3], 0 offen
	buffer_load_dword v2, v0, s[0:3], 0 offen offset:4
	buffer_load_dword v3, off, s[0:3], 0 offset:452
	buffer_load_dword v4, off, s[0:3], 0 offset:448
	s_waitcnt vmcnt(3)
	buffer_store_dword v1, off, s[0:3], 0 offset:448
	s_waitcnt vmcnt(3)
	buffer_store_dword v2, off, s[0:3], 0 offset:452
	s_waitcnt vmcnt(3)
	buffer_store_dword v3, v0, s[0:3], 0 offen offset:4
	s_waitcnt vmcnt(3)
	buffer_store_dword v4, v0, s[0:3], 0 offen
.LBB60_388:
	s_or_b64 exec, exec, s[4:5]
	;; [unrolled: 48-line block ×29, first 2 shown]
	v_pk_mov_b32 v[0:1], s[10:11], s[10:11] op_sel:[0,1]
	flat_load_dword v0, v[0:1] offset:4
	s_waitcnt vmcnt(0) lgkmcnt(0)
	v_add_u32_e32 v0, -1, v0
	v_cmp_ne_u32_e32 vcc, 1, v0
	s_and_saveexec_b64 s[4:5], vcc
	s_cbranch_execz .LBB60_498
; %bb.497:
	v_mov_b32_e32 v1, 0
	v_lshl_add_u32 v0, v0, 3, v1
	buffer_load_dword v1, v0, s[0:3], 0 offen
	buffer_load_dword v2, v0, s[0:3], 0 offen offset:4
	buffer_load_dword v3, off, s[0:3], 0 offset:8
	buffer_load_dword v4, off, s[0:3], 0 offset:12
	s_waitcnt vmcnt(3)
	buffer_store_dword v1, off, s[0:3], 0 offset:8
	s_waitcnt vmcnt(3)
	buffer_store_dword v2, off, s[0:3], 0 offset:12
	s_waitcnt vmcnt(3)
	buffer_store_dword v3, v0, s[0:3], 0 offen
	s_waitcnt vmcnt(3)
	buffer_store_dword v4, v0, s[0:3], 0 offen offset:4
.LBB60_498:
	s_or_b64 exec, exec, s[4:5]
	v_pk_mov_b32 v[0:1], s[10:11], s[10:11] op_sel:[0,1]
	flat_load_dword v2, v[0:1]
	s_nop 0
	buffer_load_dword v0, off, s[0:3], 0
	buffer_load_dword v1, off, s[0:3], 0 offset:4
	s_waitcnt vmcnt(0) lgkmcnt(0)
	v_add_u32_e32 v2, -1, v2
	v_cmp_ne_u32_e32 vcc, 0, v2
	s_and_saveexec_b64 s[4:5], vcc
	s_cbranch_execz .LBB60_500
; %bb.499:
	v_mov_b32_e32 v3, 0
	v_lshl_add_u32 v2, v2, 3, v3
	buffer_load_dword v3, v2, s[0:3], 0 offen offset:4
	buffer_load_dword v4, v2, s[0:3], 0 offen
	s_waitcnt vmcnt(1)
	buffer_store_dword v3, off, s[0:3], 0 offset:4
	s_waitcnt vmcnt(1)
	buffer_store_dword v4, off, s[0:3], 0
	buffer_store_dword v1, v2, s[0:3], 0 offen offset:4
	buffer_store_dword v0, v2, s[0:3], 0 offen
	buffer_load_dword v0, off, s[0:3], 0
	s_nop 0
	buffer_load_dword v1, off, s[0:3], 0 offset:4
.LBB60_500:
	s_or_b64 exec, exec, s[4:5]
.LBB60_501:
	buffer_load_dword v2, off, s[0:3], 0 offset:8
	buffer_load_dword v3, off, s[0:3], 0 offset:12
	;; [unrolled: 1-line block ×120, first 2 shown]
	s_waitcnt vmcnt(62)
	global_store_dwordx2 v[102:103], v[0:1], off
	v_accvgpr_read_b32 v0, a0
	v_accvgpr_read_b32 v1, a1
	global_store_dwordx2 v[0:1], v[2:3], off
	v_accvgpr_read_b32 v0, a2
	v_accvgpr_read_b32 v1, a3
	;; [unrolled: 3-line block ×30, first 2 shown]
	s_waitcnt vmcnt(62)
	global_store_dwordx2 v[0:1], v[60:61], off
	v_accvgpr_read_b32 v0, a60
	v_accvgpr_read_b32 v1, a61
	global_store_dwordx2 v[0:1], v[62:63], off
	v_accvgpr_read_b32 v0, a62
	v_accvgpr_read_b32 v1, a63
	;; [unrolled: 3-line block ×15, first 2 shown]
	s_waitcnt vmcnt(62)
	global_store_dwordx2 v[0:1], v[90:91], off
	v_accvgpr_read_b32 v0, a90
	v_accvgpr_read_b32 v1, a91
	global_store_dwordx2 v[0:1], v[92:93], off
	v_accvgpr_read_b32 v0, a92
	v_accvgpr_read_b32 v1, a93
	;; [unrolled: 3-line block ×3, first 2 shown]
	global_store_dwordx2 v[0:1], v[96:97], off
	global_store_dwordx2 v[200:201], v[98:99], off
	;; [unrolled: 1-line block ×4, first 2 shown]
	s_waitcnt vmcnt(62)
	global_store_dwordx2 v[206:207], v[106:107], off
	global_store_dwordx2 v[208:209], v[108:109], off
	;; [unrolled: 1-line block ×4, first 2 shown]
	s_waitcnt vmcnt(62)
	global_store_dwordx2 v[214:215], v[114:115], off
	global_store_dwordx2 v[216:217], v[116:117], off
	s_waitcnt vmcnt(62)
	global_store_dwordx2 v[218:219], v[118:119], off
	s_waitcnt vmcnt(61)
	;; [unrolled: 2-line block ×3, first 2 shown]
	global_store_dwordx2 v[222:223], v[122:123], off
	s_endpgm
	.section	.rodata,"a",@progbits
	.p2align	6, 0x0
	.amdhsa_kernel _ZN9rocsolver6v33100L18getri_kernel_smallILi61E19rocblas_complex_numIfEPS3_EEvT1_iilPiilS6_bb
		.amdhsa_group_segment_fixed_size 984
		.amdhsa_private_segment_fixed_size 496
		.amdhsa_kernarg_size 60
		.amdhsa_user_sgpr_count 8
		.amdhsa_user_sgpr_private_segment_buffer 1
		.amdhsa_user_sgpr_dispatch_ptr 0
		.amdhsa_user_sgpr_queue_ptr 0
		.amdhsa_user_sgpr_kernarg_segment_ptr 1
		.amdhsa_user_sgpr_dispatch_id 0
		.amdhsa_user_sgpr_flat_scratch_init 1
		.amdhsa_user_sgpr_kernarg_preload_length 0
		.amdhsa_user_sgpr_kernarg_preload_offset 0
		.amdhsa_user_sgpr_private_segment_size 0
		.amdhsa_uses_dynamic_stack 0
		.amdhsa_system_sgpr_private_segment_wavefront_offset 1
		.amdhsa_system_sgpr_workgroup_id_x 1
		.amdhsa_system_sgpr_workgroup_id_y 0
		.amdhsa_system_sgpr_workgroup_id_z 0
		.amdhsa_system_sgpr_workgroup_info 0
		.amdhsa_system_vgpr_workitem_id 0
		.amdhsa_next_free_vgpr 352
		.amdhsa_next_free_sgpr 23
		.amdhsa_accum_offset 256
		.amdhsa_reserve_vcc 1
		.amdhsa_reserve_flat_scratch 1
		.amdhsa_float_round_mode_32 0
		.amdhsa_float_round_mode_16_64 0
		.amdhsa_float_denorm_mode_32 3
		.amdhsa_float_denorm_mode_16_64 3
		.amdhsa_dx10_clamp 1
		.amdhsa_ieee_mode 1
		.amdhsa_fp16_overflow 0
		.amdhsa_tg_split 0
		.amdhsa_exception_fp_ieee_invalid_op 0
		.amdhsa_exception_fp_denorm_src 0
		.amdhsa_exception_fp_ieee_div_zero 0
		.amdhsa_exception_fp_ieee_overflow 0
		.amdhsa_exception_fp_ieee_underflow 0
		.amdhsa_exception_fp_ieee_inexact 0
		.amdhsa_exception_int_div_zero 0
	.end_amdhsa_kernel
	.section	.text._ZN9rocsolver6v33100L18getri_kernel_smallILi61E19rocblas_complex_numIfEPS3_EEvT1_iilPiilS6_bb,"axG",@progbits,_ZN9rocsolver6v33100L18getri_kernel_smallILi61E19rocblas_complex_numIfEPS3_EEvT1_iilPiilS6_bb,comdat
.Lfunc_end60:
	.size	_ZN9rocsolver6v33100L18getri_kernel_smallILi61E19rocblas_complex_numIfEPS3_EEvT1_iilPiilS6_bb, .Lfunc_end60-_ZN9rocsolver6v33100L18getri_kernel_smallILi61E19rocblas_complex_numIfEPS3_EEvT1_iilPiilS6_bb
                                        ; -- End function
	.section	.AMDGPU.csdata,"",@progbits
; Kernel info:
; codeLenInByte = 138396
; NumSgprs: 29
; NumVgprs: 256
; NumAgprs: 96
; TotalNumVgprs: 352
; ScratchSize: 496
; MemoryBound: 0
; FloatMode: 240
; IeeeMode: 1
; LDSByteSize: 984 bytes/workgroup (compile time only)
; SGPRBlocks: 3
; VGPRBlocks: 43
; NumSGPRsForWavesPerEU: 29
; NumVGPRsForWavesPerEU: 352
; AccumOffset: 256
; Occupancy: 1
; WaveLimiterHint : 1
; COMPUTE_PGM_RSRC2:SCRATCH_EN: 1
; COMPUTE_PGM_RSRC2:USER_SGPR: 8
; COMPUTE_PGM_RSRC2:TRAP_HANDLER: 0
; COMPUTE_PGM_RSRC2:TGID_X_EN: 1
; COMPUTE_PGM_RSRC2:TGID_Y_EN: 0
; COMPUTE_PGM_RSRC2:TGID_Z_EN: 0
; COMPUTE_PGM_RSRC2:TIDIG_COMP_CNT: 0
; COMPUTE_PGM_RSRC3_GFX90A:ACCUM_OFFSET: 63
; COMPUTE_PGM_RSRC3_GFX90A:TG_SPLIT: 0
	.section	.text._ZN9rocsolver6v33100L18getri_kernel_smallILi62E19rocblas_complex_numIfEPS3_EEvT1_iilPiilS6_bb,"axG",@progbits,_ZN9rocsolver6v33100L18getri_kernel_smallILi62E19rocblas_complex_numIfEPS3_EEvT1_iilPiilS6_bb,comdat
	.globl	_ZN9rocsolver6v33100L18getri_kernel_smallILi62E19rocblas_complex_numIfEPS3_EEvT1_iilPiilS6_bb ; -- Begin function _ZN9rocsolver6v33100L18getri_kernel_smallILi62E19rocblas_complex_numIfEPS3_EEvT1_iilPiilS6_bb
	.p2align	8
	.type	_ZN9rocsolver6v33100L18getri_kernel_smallILi62E19rocblas_complex_numIfEPS3_EEvT1_iilPiilS6_bb,@function
_ZN9rocsolver6v33100L18getri_kernel_smallILi62E19rocblas_complex_numIfEPS3_EEvT1_iilPiilS6_bb: ; @_ZN9rocsolver6v33100L18getri_kernel_smallILi62E19rocblas_complex_numIfEPS3_EEvT1_iilPiilS6_bb
; %bb.0:
	s_add_u32 flat_scratch_lo, s6, s9
	s_addc_u32 flat_scratch_hi, s7, 0
	s_add_u32 s0, s0, s9
	s_addc_u32 s1, s1, 0
	v_cmp_gt_u32_e32 vcc, 62, v0
	s_and_saveexec_b64 s[6:7], vcc
	s_cbranch_execz .LBB61_262
; %bb.1:
	s_load_dword s22, s[4:5], 0x38
	s_load_dwordx4 s[16:19], s[4:5], 0x10
	s_load_dwordx4 s[12:15], s[4:5], 0x28
                                        ; implicit-def: $sgpr10_sgpr11
	s_waitcnt lgkmcnt(0)
	s_bitcmp1_b32 s22, 8
	s_cselect_b64 s[20:21], -1, 0
	s_ashr_i32 s9, s8, 31
	s_bfe_u32 s6, s22, 0x10008
	s_cmp_eq_u32 s6, 0
	s_cbranch_scc1 .LBB61_3
; %bb.2:
	s_load_dword s6, s[4:5], 0x20
	s_mul_i32 s7, s8, s13
	s_mul_hi_u32 s10, s8, s12
	s_mul_i32 s11, s9, s12
	s_add_i32 s10, s10, s7
	s_add_i32 s11, s10, s11
	s_mul_i32 s10, s8, s12
	s_waitcnt lgkmcnt(0)
	s_ashr_i32 s7, s6, 31
	s_lshl_b64 s[10:11], s[10:11], 2
	s_add_u32 s10, s18, s10
	s_addc_u32 s11, s19, s11
	s_lshl_b64 s[6:7], s[6:7], 2
	s_add_u32 s10, s10, s6
	s_addc_u32 s11, s11, s7
.LBB61_3:
	s_load_dwordx4 s[4:7], s[4:5], 0x0
	s_mul_i32 s12, s8, s17
	s_mul_hi_u32 s13, s8, s16
	s_add_i32 s17, s13, s12
	v_lshlrev_b32_e32 v232, 3, v0
	s_waitcnt lgkmcnt(0)
	s_ashr_i32 s13, s6, 31
	s_mov_b32 s12, s6
	s_mul_i32 s6, s9, s16
	s_add_i32 s17, s17, s6
	s_mul_i32 s16, s8, s16
	s_lshl_b64 s[16:17], s[16:17], 3
	s_add_u32 s6, s4, s16
	s_addc_u32 s16, s5, s17
	s_lshl_b64 s[4:5], s[12:13], 3
	s_add_u32 s4, s6, s4
	s_addc_u32 s5, s16, s5
	v_mov_b32_e32 v1, s5
	v_add_co_u32_e32 v108, vcc, s4, v232
	s_ashr_i32 s13, s7, 31
	s_mov_b32 s12, s7
	s_add_i32 s6, s7, s7
	v_addc_co_u32_e32 v109, vcc, 0, v1, vcc
	s_lshl_b64 s[12:13], s[12:13], 3
	v_add_u32_e32 v4, s6, v0
	v_mov_b32_e32 v1, s13
	v_add_co_u32_e32 v8, vcc, s12, v108
	v_ashrrev_i32_e32 v5, 31, v4
	v_addc_co_u32_e32 v9, vcc, v109, v1, vcc
	v_lshlrev_b64 v[6:7], 3, v[4:5]
	v_add_u32_e32 v4, s7, v4
	v_mov_b32_e32 v1, s5
	v_add_co_u32_e32 v14, vcc, s4, v6
	v_ashrrev_i32_e32 v5, 31, v4
	v_addc_co_u32_e32 v15, vcc, v1, v7, vcc
	v_lshlrev_b64 v[6:7], 3, v[4:5]
	v_add_u32_e32 v12, s7, v4
	v_add_co_u32_e32 v6, vcc, s4, v6
	v_ashrrev_i32_e32 v13, 31, v12
	global_load_dwordx2 v[2:3], v232, s[4:5]
	v_addc_co_u32_e32 v7, vcc, v1, v7, vcc
	v_lshlrev_b64 v[4:5], 3, v[12:13]
	v_add_u32_e32 v12, s7, v12
	v_add_co_u32_e32 v4, vcc, s4, v4
	v_accvgpr_write_b32 a0, v8
	v_accvgpr_write_b32 a2, v14
	;; [unrolled: 1-line block ×3, first 2 shown]
	v_ashrrev_i32_e32 v13, 31, v12
	v_addc_co_u32_e32 v5, vcc, v1, v5, vcc
	v_accvgpr_write_b32 a1, v9
	global_load_dwordx2 v[10:11], v[8:9], off
	v_accvgpr_write_b32 a3, v15
	v_accvgpr_write_b32 a5, v7
	global_load_dwordx2 v[6:7], v[6:7], off
	v_accvgpr_write_b32 a7, v5
	global_load_dwordx2 v[8:9], v[14:15], off
	v_lshlrev_b64 v[14:15], 3, v[12:13]
	v_add_u32_e32 v12, s7, v12
	v_add_co_u32_e32 v16, vcc, s4, v14
	v_ashrrev_i32_e32 v13, 31, v12
	v_addc_co_u32_e32 v17, vcc, v1, v15, vcc
	v_lshlrev_b64 v[14:15], 3, v[12:13]
	v_add_u32_e32 v12, s7, v12
	v_add_co_u32_e32 v18, vcc, s4, v14
	v_ashrrev_i32_e32 v13, 31, v12
	v_addc_co_u32_e32 v19, vcc, v1, v15, vcc
	v_lshlrev_b64 v[14:15], 3, v[12:13]
	v_add_u32_e32 v12, s7, v12
	v_add_co_u32_e32 v22, vcc, s4, v14
	v_ashrrev_i32_e32 v13, 31, v12
	v_accvgpr_write_b32 a6, v4
	global_load_dwordx2 v[4:5], v[4:5], off
	v_addc_co_u32_e32 v23, vcc, v1, v15, vcc
	v_lshlrev_b64 v[14:15], 3, v[12:13]
	v_add_co_u32_e32 v14, vcc, s4, v14
	v_add_u32_e32 v12, s7, v12
	v_addc_co_u32_e32 v15, vcc, v1, v15, vcc
	v_accvgpr_write_b32 a8, v16
	global_load_dwordx2 v[20:21], v[16:17], off
	v_accvgpr_write_b32 a10, v18
	v_accvgpr_write_b32 a12, v22
	;; [unrolled: 1-line block ×3, first 2 shown]
	v_ashrrev_i32_e32 v13, 31, v12
	v_accvgpr_write_b32 a9, v17
	v_accvgpr_write_b32 a11, v19
	global_load_dwordx2 v[18:19], v[18:19], off
	v_accvgpr_write_b32 a13, v23
	v_accvgpr_write_b32 a15, v15
	global_load_dwordx2 v[14:15], v[14:15], off
	s_bitcmp0_b32 s22, 0
	global_load_dwordx2 v[16:17], v[22:23], off
	v_lshlrev_b64 v[22:23], 3, v[12:13]
	v_add_u32_e32 v12, s7, v12
	v_add_co_u32_e32 v24, vcc, s4, v22
	v_ashrrev_i32_e32 v13, 31, v12
	v_addc_co_u32_e32 v25, vcc, v1, v23, vcc
	v_lshlrev_b64 v[22:23], 3, v[12:13]
	v_add_u32_e32 v12, s7, v12
	v_add_co_u32_e32 v26, vcc, s4, v22
	v_ashrrev_i32_e32 v13, 31, v12
	v_addc_co_u32_e32 v27, vcc, v1, v23, vcc
	;; [unrolled: 5-line block ×3, first 2 shown]
	v_lshlrev_b64 v[22:23], 3, v[12:13]
	v_add_co_u32_e32 v22, vcc, s4, v22
	global_load_dwordx2 v[28:29], v[24:25], off
	v_add_u32_e32 v12, s7, v12
	v_addc_co_u32_e32 v23, vcc, v1, v23, vcc
	v_accvgpr_write_b32 a16, v24
	v_accvgpr_write_b32 a18, v26
	;; [unrolled: 1-line block ×4, first 2 shown]
	v_ashrrev_i32_e32 v13, 31, v12
	v_accvgpr_write_b32 a17, v25
	v_accvgpr_write_b32 a19, v27
	global_load_dwordx2 v[26:27], v[26:27], off
	v_accvgpr_write_b32 a21, v31
	v_accvgpr_write_b32 a23, v23
	global_load_dwordx2 v[22:23], v[22:23], off
	s_nop 0
	global_load_dwordx2 v[24:25], v[30:31], off
	v_lshlrev_b64 v[30:31], 3, v[12:13]
	v_add_u32_e32 v12, s7, v12
	v_add_co_u32_e32 v32, vcc, s4, v30
	v_ashrrev_i32_e32 v13, 31, v12
	v_addc_co_u32_e32 v33, vcc, v1, v31, vcc
	v_lshlrev_b64 v[30:31], 3, v[12:13]
	v_add_u32_e32 v12, s7, v12
	v_add_co_u32_e32 v34, vcc, s4, v30
	v_ashrrev_i32_e32 v13, 31, v12
	v_addc_co_u32_e32 v35, vcc, v1, v31, vcc
	;; [unrolled: 5-line block ×3, first 2 shown]
	v_lshlrev_b64 v[30:31], 3, v[12:13]
	global_load_dwordx2 v[36:37], v[32:33], off
	v_add_co_u32_e32 v30, vcc, s4, v30
	v_accvgpr_write_b32 a26, v34
	v_add_u32_e32 v12, s7, v12
	v_addc_co_u32_e32 v31, vcc, v1, v31, vcc
	v_accvgpr_write_b32 a24, v32
	v_accvgpr_write_b32 a27, v35
	global_load_dwordx2 v[34:35], v[34:35], off
	v_accvgpr_write_b32 a28, v38
	v_accvgpr_write_b32 a30, v30
	v_ashrrev_i32_e32 v13, 31, v12
	v_accvgpr_write_b32 a25, v33
	v_accvgpr_write_b32 a29, v39
	;; [unrolled: 1-line block ×3, first 2 shown]
	global_load_dwordx2 v[30:31], v[30:31], off
	s_nop 0
	global_load_dwordx2 v[32:33], v[38:39], off
	v_lshlrev_b64 v[38:39], 3, v[12:13]
	v_add_u32_e32 v12, s7, v12
	v_add_co_u32_e32 v40, vcc, s4, v38
	v_ashrrev_i32_e32 v13, 31, v12
	v_addc_co_u32_e32 v41, vcc, v1, v39, vcc
	v_lshlrev_b64 v[38:39], 3, v[12:13]
	v_add_u32_e32 v12, s7, v12
	v_add_co_u32_e32 v46, vcc, s4, v38
	v_ashrrev_i32_e32 v13, 31, v12
	v_addc_co_u32_e32 v47, vcc, v1, v39, vcc
	v_lshlrev_b64 v[38:39], 3, v[12:13]
	v_add_u32_e32 v44, s7, v12
	v_add_co_u32_e32 v38, vcc, s4, v38
	v_ashrrev_i32_e32 v45, 31, v44
	global_load_dwordx2 v[42:43], v[40:41], off
	v_addc_co_u32_e32 v39, vcc, v1, v39, vcc
	v_lshlrev_b64 v[12:13], 3, v[44:45]
	v_accvgpr_write_b32 a32, v40
	v_accvgpr_write_b32 a34, v46
	;; [unrolled: 1-line block ×3, first 2 shown]
	v_add_u32_e32 v44, s7, v44
	v_accvgpr_write_b32 a33, v41
	v_accvgpr_write_b32 a35, v47
	;; [unrolled: 1-line block ×3, first 2 shown]
	global_load_dwordx2 v[38:39], v[38:39], off
	v_add_co_u32_e32 v12, vcc, s4, v12
	global_load_dwordx2 v[40:41], v[46:47], off
	v_add_u32_e32 v46, s7, v44
	v_add_u32_e32 v48, s7, v46
	v_addc_co_u32_e32 v13, vcc, v1, v13, vcc
	v_add_u32_e32 v50, s7, v48
	v_accvgpr_write_b32 a39, v13
	v_add_u32_e32 v52, s7, v50
	v_accvgpr_write_b32 a38, v12
	global_load_dwordx2 v[12:13], v[12:13], off
	v_add_u32_e32 v54, s7, v52
	v_add_u32_e32 v56, s7, v54
	;; [unrolled: 1-line block ×36, first 2 shown]
	v_ashrrev_i32_e32 v89, 31, v88
	v_lshlrev_b64 v[88:89], 3, v[88:89]
	v_add_co_u32_e32 v88, vcc, s4, v88
	v_addc_co_u32_e32 v89, vcc, v1, v89, vcc
	v_accvgpr_write_b32 a40, v88
	v_ashrrev_i32_e32 v45, 31, v44
	v_accvgpr_write_b32 a41, v89
	global_load_dwordx2 v[88:89], v[88:89], off
	s_waitcnt vmcnt(21)
	buffer_store_dword v3, off, s[0:3], 0 offset:4
	buffer_store_dword v2, off, s[0:3], 0
	s_waitcnt vmcnt(22)
	buffer_store_dword v11, off, s[0:3], 0 offset:12
	buffer_store_dword v10, off, s[0:3], 0 offset:8
	s_waitcnt vmcnt(22)
	buffer_store_dword v9, off, s[0:3], 0 offset:20
	buffer_store_dword v8, off, s[0:3], 0 offset:16
	;; [unrolled: 1-line block ×4, first 2 shown]
	s_waitcnt vmcnt(25)
	buffer_store_dword v5, off, s[0:3], 0 offset:36
	buffer_store_dword v4, off, s[0:3], 0 offset:32
	s_waitcnt vmcnt(26)
	buffer_store_dword v21, off, s[0:3], 0 offset:44
	buffer_store_dword v20, off, s[0:3], 0 offset:40
	;; [unrolled: 3-line block ×4, first 2 shown]
	buffer_store_dword v15, off, s[0:3], 0 offset:68
	buffer_store_dword v14, off, s[0:3], 0 offset:64
	s_waitcnt vmcnt(30)
	buffer_store_dword v28, off, s[0:3], 0 offset:72
	buffer_store_dword v29, off, s[0:3], 0 offset:76
	s_waitcnt vmcnt(31)
	;; [unrolled: 3-line block ×3, first 2 shown]
	buffer_store_dword v24, off, s[0:3], 0 offset:88
	buffer_store_dword v25, off, s[0:3], 0 offset:92
	;; [unrolled: 1-line block ×4, first 2 shown]
	s_waitcnt vmcnt(34)
	buffer_store_dword v36, off, s[0:3], 0 offset:104
	buffer_store_dword v37, off, s[0:3], 0 offset:108
	s_waitcnt vmcnt(35)
	buffer_store_dword v35, off, s[0:3], 0 offset:116
	buffer_store_dword v34, off, s[0:3], 0 offset:112
	;; [unrolled: 3-line block ×3, first 2 shown]
	buffer_store_dword v30, off, s[0:3], 0 offset:128
	buffer_store_dword v31, off, s[0:3], 0 offset:132
	s_waitcnt vmcnt(38)
	buffer_store_dword v42, off, s[0:3], 0 offset:136
	buffer_store_dword v43, off, s[0:3], 0 offset:140
	s_waitcnt vmcnt(38)
	buffer_store_dword v40, off, s[0:3], 0 offset:144
	buffer_store_dword v41, off, s[0:3], 0 offset:148
	;; [unrolled: 1-line block ×4, first 2 shown]
	s_waitcnt vmcnt(41)
	buffer_store_dword v13, off, s[0:3], 0 offset:164
	v_lshlrev_b64 v[2:3], 3, v[44:45]
	v_add_co_u32_e32 v4, vcc, s4, v2
	v_ashrrev_i32_e32 v47, 31, v46
	v_addc_co_u32_e32 v5, vcc, v1, v3, vcc
	v_lshlrev_b64 v[2:3], 3, v[46:47]
	v_add_co_u32_e32 v6, vcc, s4, v2
	v_ashrrev_i32_e32 v49, 31, v48
	v_addc_co_u32_e32 v7, vcc, v1, v3, vcc
	v_lshlrev_b64 v[2:3], 3, v[48:49]
	v_add_co_u32_e32 v8, vcc, s4, v2
	v_ashrrev_i32_e32 v51, 31, v50
	v_addc_co_u32_e32 v9, vcc, v1, v3, vcc
	v_lshlrev_b64 v[2:3], 3, v[50:51]
	v_add_co_u32_e32 v10, vcc, s4, v2
	v_addc_co_u32_e32 v11, vcc, v1, v3, vcc
	v_accvgpr_write_b32 a43, v5
	v_accvgpr_write_b32 a45, v7
	v_accvgpr_write_b32 a47, v9
	v_accvgpr_write_b32 a49, v11
	v_ashrrev_i32_e32 v53, 31, v52
	v_accvgpr_write_b32 a42, v4
	global_load_dwordx2 v[2:3], v[4:5], off
	v_accvgpr_write_b32 a44, v6
	global_load_dwordx2 v[4:5], v[6:7], off
	v_accvgpr_write_b32 a46, v8
	global_load_dwordx2 v[6:7], v[8:9], off
	v_accvgpr_write_b32 a48, v10
	global_load_dwordx2 v[8:9], v[10:11], off
	v_lshlrev_b64 v[10:11], 3, v[52:53]
	v_add_co_u32_e32 v14, vcc, s4, v10
	v_ashrrev_i32_e32 v55, 31, v54
	v_addc_co_u32_e32 v15, vcc, v1, v11, vcc
	v_lshlrev_b64 v[10:11], 3, v[54:55]
	v_add_co_u32_e32 v16, vcc, s4, v10
	v_ashrrev_i32_e32 v57, 31, v56
	v_addc_co_u32_e32 v17, vcc, v1, v11, vcc
	v_lshlrev_b64 v[10:11], 3, v[56:57]
	v_add_co_u32_e32 v18, vcc, s4, v10
	v_ashrrev_i32_e32 v59, 31, v58
	v_addc_co_u32_e32 v19, vcc, v1, v11, vcc
	v_lshlrev_b64 v[10:11], 3, v[58:59]
	v_add_co_u32_e32 v20, vcc, s4, v10
	v_addc_co_u32_e32 v21, vcc, v1, v11, vcc
	v_accvgpr_write_b32 a51, v15
	v_accvgpr_write_b32 a53, v17
	v_accvgpr_write_b32 a55, v19
	v_accvgpr_write_b32 a57, v21
	v_ashrrev_i32_e32 v61, 31, v60
	v_accvgpr_write_b32 a50, v14
	global_load_dwordx2 v[10:11], v[14:15], off
	v_accvgpr_write_b32 a52, v16
	global_load_dwordx2 v[14:15], v[16:17], off
	v_accvgpr_write_b32 a54, v18
	global_load_dwordx2 v[16:17], v[18:19], off
	v_accvgpr_write_b32 a56, v20
	global_load_dwordx2 v[18:19], v[20:21], off
	;; [unrolled: 28-line block ×7, first 2 shown]
	v_lshlrev_b64 v[60:61], 3, v[102:103]
	v_add_co_u32_e32 v62, vcc, s4, v60
	v_ashrrev_i32_e32 v105, 31, v104
	v_addc_co_u32_e32 v63, vcc, v1, v61, vcc
	v_lshlrev_b64 v[60:61], 3, v[104:105]
	v_add_co_u32_e32 v64, vcc, s4, v60
	v_ashrrev_i32_e32 v107, 31, v106
	v_addc_co_u32_e32 v65, vcc, v1, v61, vcc
	;; [unrolled: 4-line block ×10, first 2 shown]
	v_lshlrev_b64 v[76:77], 3, v[228:229]
	v_accvgpr_write_b32 a99, v63
	v_accvgpr_write_b32 a101, v65
	;; [unrolled: 1-line block ×3, first 2 shown]
	v_add_co_u32_e32 v228, vcc, s4, v76
	v_accvgpr_write_b32 a98, v62
	global_load_dwordx2 v[60:61], v[62:63], off
	v_accvgpr_write_b32 a100, v64
	global_load_dwordx2 v[62:63], v[64:65], off
	;; [unrolled: 2-line block ×3, first 2 shown]
	s_nop 0
	global_load_dwordx2 v[66:67], v[214:215], off
	global_load_dwordx2 v[68:69], v[216:217], off
	;; [unrolled: 1-line block ×5, first 2 shown]
	v_addc_co_u32_e32 v229, vcc, v1, v77, vcc
	global_load_dwordx2 v[76:77], v[224:225], off
	global_load_dwordx2 v[78:79], v[226:227], off
	global_load_dwordx2 v[80:81], v[228:229], off
	v_ashrrev_i32_e32 v231, 31, v230
	v_lshlrev_b64 v[82:83], 3, v[230:231]
	v_add_co_u32_e32 v230, vcc, s4, v82
	v_addc_co_u32_e32 v231, vcc, v1, v83, vcc
	global_load_dwordx2 v[82:83], v[230:231], off
	s_mov_b64 s[6:7], -1
	buffer_store_dword v12, off, s[0:3], 0 offset:160
	s_waitcnt vmcnt(40)
	buffer_store_dword v2, off, s[0:3], 0 offset:168
	buffer_store_dword v3, off, s[0:3], 0 offset:172
	s_waitcnt vmcnt(41)
	buffer_store_dword v4, off, s[0:3], 0 offset:176
	;; [unrolled: 3-line block ×24, first 2 shown]
	buffer_store_dword v50, off, s[0:3], 0 offset:352
	buffer_store_dword v52, off, s[0:3], 0 offset:360
	;; [unrolled: 1-line block ×3, first 2 shown]
	s_waitcnt vmcnt(62)
	buffer_store_dword v54, off, s[0:3], 0 offset:368
	buffer_store_dword v55, off, s[0:3], 0 offset:372
	;; [unrolled: 1-line block ×8, first 2 shown]
	s_waitcnt vmcnt(62)
	buffer_store_dword v63, off, s[0:3], 0 offset:404
	buffer_store_dword v62, off, s[0:3], 0 offset:400
	buffer_store_dword v64, off, s[0:3], 0 offset:408
	buffer_store_dword v65, off, s[0:3], 0 offset:412
	buffer_store_dword v66, off, s[0:3], 0 offset:416
	buffer_store_dword v67, off, s[0:3], 0 offset:420
	buffer_store_dword v68, off, s[0:3], 0 offset:424
	buffer_store_dword v69, off, s[0:3], 0 offset:428
	buffer_store_dword v70, off, s[0:3], 0 offset:432
	buffer_store_dword v71, off, s[0:3], 0 offset:436
	buffer_store_dword v73, off, s[0:3], 0 offset:444
	buffer_store_dword v72, off, s[0:3], 0 offset:440
	buffer_store_dword v75, off, s[0:3], 0 offset:452
	buffer_store_dword v74, off, s[0:3], 0 offset:448
	buffer_store_dword v76, off, s[0:3], 0 offset:456
	buffer_store_dword v77, off, s[0:3], 0 offset:460
	s_waitcnt vmcnt(62)
	buffer_store_dword v78, off, s[0:3], 0 offset:464
	buffer_store_dword v79, off, s[0:3], 0 offset:468
	;; [unrolled: 1-line block ×8, first 2 shown]
	s_cbranch_scc1 .LBB61_260
; %bb.4:
	v_cmp_eq_u32_e64 s[4:5], 0, v0
	s_and_saveexec_b64 s[6:7], s[4:5]
	s_cbranch_execz .LBB61_6
; %bb.5:
	v_mov_b32_e32 v1, 0
	ds_write_b32 v1, v1 offset:992
.LBB61_6:
	s_or_b64 exec, exec, s[6:7]
	v_mov_b32_e32 v1, 0
	v_lshl_add_u32 v6, v0, 3, v1
	s_waitcnt lgkmcnt(0)
	; wave barrier
	s_waitcnt lgkmcnt(0)
	buffer_load_dword v1, v6, s[0:3], 0 offen
	buffer_load_dword v2, v6, s[0:3], 0 offen offset:4
	s_waitcnt vmcnt(1)
	v_cmp_eq_f32_e32 vcc, 0, v1
	s_waitcnt vmcnt(0)
	v_cmp_eq_f32_e64 s[6:7], 0, v2
	s_and_b64 s[6:7], vcc, s[6:7]
	s_and_saveexec_b64 s[12:13], s[6:7]
	s_cbranch_execz .LBB61_10
; %bb.7:
	v_mov_b32_e32 v1, 0
	ds_read_b32 v3, v1 offset:992
	v_add_u32_e32 v2, 1, v0
	s_waitcnt lgkmcnt(0)
	v_readfirstlane_b32 s6, v3
	s_cmp_eq_u32 s6, 0
	s_cselect_b64 s[16:17], -1, 0
	v_cmp_gt_i32_e32 vcc, s6, v2
	s_or_b64 s[16:17], s[16:17], vcc
	s_and_b64 exec, exec, s[16:17]
	s_cbranch_execz .LBB61_10
; %bb.8:
	s_mov_b64 s[16:17], 0
	v_mov_b32_e32 v3, s6
.LBB61_9:                               ; =>This Inner Loop Header: Depth=1
	ds_cmpst_rtn_b32 v3, v1, v3, v2 offset:992
	s_waitcnt lgkmcnt(0)
	v_cmp_ne_u32_e32 vcc, 0, v3
	v_cmp_le_i32_e64 s[6:7], v3, v2
	s_and_b64 s[6:7], vcc, s[6:7]
	s_and_b64 s[6:7], exec, s[6:7]
	s_or_b64 s[16:17], s[6:7], s[16:17]
	s_andn2_b64 exec, exec, s[16:17]
	s_cbranch_execnz .LBB61_9
.LBB61_10:
	s_or_b64 exec, exec, s[12:13]
	v_mov_b32_e32 v2, 0
	s_waitcnt lgkmcnt(0)
	; wave barrier
	ds_read_b32 v1, v2 offset:992
	s_and_saveexec_b64 s[6:7], s[4:5]
	s_cbranch_execz .LBB61_12
; %bb.11:
	s_lshl_b64 s[12:13], s[8:9], 2
	s_add_u32 s12, s14, s12
	s_addc_u32 s13, s15, s13
	s_waitcnt lgkmcnt(0)
	global_store_dword v2, v1, s[12:13]
.LBB61_12:
	s_or_b64 exec, exec, s[6:7]
	s_waitcnt lgkmcnt(0)
	v_cmp_ne_u32_e32 vcc, 0, v1
	s_mov_b64 s[6:7], 0
	s_cbranch_vccnz .LBB61_260
; %bb.13:
	buffer_load_dword v7, v6, s[0:3], 0 offen offset:4
	buffer_load_dword v3, v6, s[0:3], 0 offen
	s_waitcnt vmcnt(1)
	v_cmp_gt_f32_e32 vcc, 0, v7
	v_cndmask_b32_e64 v1, v7, -v7, vcc
	s_waitcnt vmcnt(0)
	v_cmp_gt_f32_e32 vcc, 0, v3
	v_cndmask_b32_e64 v2, v3, -v3, vcc
	v_cmp_ngt_f32_e32 vcc, v2, v1
                                        ; implicit-def: $vgpr1
                                        ; implicit-def: $vgpr2
	s_and_saveexec_b64 s[6:7], vcc
	s_xor_b64 s[6:7], exec, s[6:7]
                                        ; implicit-def: $vgpr4_vgpr5
	s_cbranch_execz .LBB61_15
; %bb.14:
	v_div_scale_f32 v1, s[12:13], v7, v7, v3
	v_rcp_f32_e32 v2, v1
	v_div_scale_f32 v4, vcc, v3, v7, v3
	v_fma_f32 v5, -v1, v2, 1.0
	v_fmac_f32_e32 v2, v5, v2
	v_mul_f32_e32 v5, v4, v2
	v_fma_f32 v8, -v1, v5, v4
	v_fmac_f32_e32 v5, v8, v2
	v_fma_f32 v1, -v1, v5, v4
	v_div_fmas_f32 v1, v1, v2, v5
	v_div_fixup_f32 v2, v1, v7, v3
	v_fmac_f32_e32 v7, v3, v2
	v_div_scale_f32 v1, s[12:13], v7, v7, -1.0
	v_rcp_f32_e32 v3, v1
	v_fma_f32 v4, -v1, v3, 1.0
	v_fmac_f32_e32 v3, v4, v3
	v_div_scale_f32 v4, vcc, -1.0, v7, -1.0
	v_mul_f32_e32 v5, v4, v3
	v_fma_f32 v8, -v1, v5, v4
	v_fmac_f32_e32 v5, v8, v3
	v_fma_f32 v1, -v1, v5, v4
	v_div_fmas_f32 v1, v1, v3, v5
	v_div_fixup_f32 v1, v1, v7, -1.0
	v_mul_f32_e32 v2, v2, v1
	v_xor_b32_e32 v4, 0x80000000, v2
                                        ; implicit-def: $vgpr3
                                        ; implicit-def: $vgpr7
.LBB61_15:
	s_andn2_saveexec_b64 s[6:7], s[6:7]
	s_cbranch_execz .LBB61_17
; %bb.16:
	v_div_scale_f32 v1, s[12:13], v3, v3, v7
	v_rcp_f32_e32 v2, v1
	v_div_scale_f32 v4, vcc, v7, v3, v7
	v_fma_f32 v5, -v1, v2, 1.0
	v_fmac_f32_e32 v2, v5, v2
	v_mul_f32_e32 v5, v4, v2
	v_fma_f32 v8, -v1, v5, v4
	v_fmac_f32_e32 v5, v8, v2
	v_fma_f32 v1, -v1, v5, v4
	v_div_fmas_f32 v1, v1, v2, v5
	v_div_fixup_f32 v1, v1, v3, v7
	v_fmac_f32_e32 v3, v7, v1
	v_div_scale_f32 v2, s[12:13], v3, v3, 1.0
	v_rcp_f32_e32 v4, v2
	v_fma_f32 v5, -v2, v4, 1.0
	v_fmac_f32_e32 v4, v5, v4
	v_div_scale_f32 v5, vcc, 1.0, v3, 1.0
	v_mul_f32_e32 v7, v5, v4
	v_fma_f32 v8, -v2, v7, v5
	v_fmac_f32_e32 v7, v8, v4
	v_fma_f32 v2, -v2, v7, v5
	v_div_fmas_f32 v2, v2, v4, v7
	v_div_fixup_f32 v4, v2, v3, 1.0
	v_xor_b32_e32 v2, 0x80000000, v4
	v_mul_f32_e64 v1, v1, -v4
.LBB61_17:
	s_or_b64 exec, exec, s[6:7]
	buffer_store_dword v1, v6, s[0:3], 0 offen offset:4
	buffer_store_dword v4, v6, s[0:3], 0 offen
	buffer_load_dword v5, off, s[0:3], 0 offset:12
	s_nop 0
	buffer_load_dword v4, off, s[0:3], 0 offset:8
	v_xor_b32_e32 v3, 0x80000000, v1
	v_add_u32_e32 v1, 0x1f0, v232
	s_waitcnt vmcnt(0)
	ds_write2_b64 v232, v[2:3], v[4:5] offset1:62
	s_waitcnt lgkmcnt(0)
	; wave barrier
	s_waitcnt lgkmcnt(0)
	s_and_saveexec_b64 s[6:7], s[4:5]
	s_cbranch_execz .LBB61_19
; %bb.18:
	buffer_load_dword v7, v6, s[0:3], 0 offen offset:4
	buffer_load_dword v8, v6, s[0:3], 0 offen
	ds_read_b64 v[2:3], v1
	v_mov_b32_e32 v4, 0
	ds_read_b64 v[4:5], v4 offset:8
	s_waitcnt vmcnt(1) lgkmcnt(1)
	v_mul_f32_e32 v9, v3, v7
	v_mul_f32_e32 v7, v2, v7
	s_waitcnt vmcnt(0)
	v_fmac_f32_e32 v7, v3, v8
	v_fma_f32 v2, v2, v8, -v9
	v_add_f32_e32 v3, 0, v7
	v_add_f32_e32 v2, 0, v2
	s_waitcnt lgkmcnt(0)
	v_mul_f32_e32 v7, v3, v5
	v_mul_f32_e32 v5, v2, v5
	v_fma_f32 v2, v2, v4, -v7
	v_fmac_f32_e32 v5, v3, v4
	buffer_store_dword v2, off, s[0:3], 0 offset:8
	buffer_store_dword v5, off, s[0:3], 0 offset:12
.LBB61_19:
	s_or_b64 exec, exec, s[6:7]
	s_waitcnt lgkmcnt(0)
	; wave barrier
	buffer_load_dword v2, off, s[0:3], 0 offset:16
	buffer_load_dword v3, off, s[0:3], 0 offset:20
	v_cmp_gt_u32_e32 vcc, 2, v0
	s_waitcnt vmcnt(0)
	ds_write_b64 v1, v[2:3]
	s_waitcnt lgkmcnt(0)
	; wave barrier
	s_waitcnt lgkmcnt(0)
	s_and_saveexec_b64 s[6:7], vcc
	s_cbranch_execz .LBB61_23
; %bb.20:
	buffer_load_dword v4, v6, s[0:3], 0 offen offset:4
	buffer_load_dword v5, v6, s[0:3], 0 offen
	ds_read_b64 v[2:3], v1
	s_waitcnt vmcnt(1) lgkmcnt(0)
	v_mul_f32_e32 v6, v3, v4
	v_mul_f32_e32 v4, v2, v4
	s_waitcnt vmcnt(0)
	v_fma_f32 v2, v2, v5, -v6
	v_fmac_f32_e32 v4, v3, v5
	v_add_f32_e32 v3, 0, v2
	v_add_f32_e32 v2, 0, v4
	s_and_saveexec_b64 s[12:13], s[4:5]
	s_cbranch_execz .LBB61_22
; %bb.21:
	buffer_load_dword v6, off, s[0:3], 0 offset:12
	buffer_load_dword v7, off, s[0:3], 0 offset:8
	v_mov_b32_e32 v4, 0
	ds_read_b64 v[4:5], v4 offset:504
	s_waitcnt vmcnt(1) lgkmcnt(0)
	v_mul_f32_e32 v8, v4, v6
	v_mul_f32_e32 v6, v5, v6
	s_waitcnt vmcnt(0)
	v_fmac_f32_e32 v8, v5, v7
	v_fma_f32 v4, v4, v7, -v6
	v_add_f32_e32 v2, v2, v8
	v_add_f32_e32 v3, v3, v4
.LBB61_22:
	s_or_b64 exec, exec, s[12:13]
	v_mov_b32_e32 v4, 0
	ds_read_b64 v[4:5], v4 offset:16
	s_waitcnt lgkmcnt(0)
	v_mul_f32_e32 v6, v2, v5
	v_mul_f32_e32 v5, v3, v5
	v_fma_f32 v3, v3, v4, -v6
	v_fmac_f32_e32 v5, v2, v4
	buffer_store_dword v3, off, s[0:3], 0 offset:16
	buffer_store_dword v5, off, s[0:3], 0 offset:20
.LBB61_23:
	s_or_b64 exec, exec, s[6:7]
	s_waitcnt lgkmcnt(0)
	; wave barrier
	buffer_load_dword v2, off, s[0:3], 0 offset:24
	buffer_load_dword v3, off, s[0:3], 0 offset:28
	v_cmp_gt_u32_e32 vcc, 3, v0
	s_waitcnt vmcnt(0)
	ds_write_b64 v1, v[2:3]
	v_add_u32_e32 v2, -1, v0
	s_waitcnt lgkmcnt(0)
	; wave barrier
	s_waitcnt lgkmcnt(0)
	s_and_saveexec_b64 s[4:5], vcc
	s_cbranch_execz .LBB61_27
; %bb.24:
	v_add_u32_e32 v4, -1, v0
	v_add_u32_e32 v5, 0x1f0, v232
	v_add_u32_e32 v6, 0, v232
	s_mov_b64 s[6:7], 0
	v_mov_b32_e32 v3, 0
	v_mov_b32_e32 v7, 0
.LBB61_25:                              ; =>This Inner Loop Header: Depth=1
	buffer_load_dword v10, v6, s[0:3], 0 offen offset:4
	buffer_load_dword v11, v6, s[0:3], 0 offen
	ds_read_b64 v[8:9], v5
	v_add_u32_e32 v4, 1, v4
	v_cmp_lt_u32_e32 vcc, 1, v4
	v_add_u32_e32 v5, 8, v5
	v_add_u32_e32 v6, 8, v6
	s_or_b64 s[6:7], vcc, s[6:7]
	s_waitcnt vmcnt(1) lgkmcnt(0)
	v_mul_f32_e32 v12, v9, v10
	v_mul_f32_e32 v10, v8, v10
	s_waitcnt vmcnt(0)
	v_fma_f32 v8, v8, v11, -v12
	v_fmac_f32_e32 v10, v9, v11
	v_add_f32_e32 v7, v7, v8
	v_add_f32_e32 v3, v3, v10
	s_andn2_b64 exec, exec, s[6:7]
	s_cbranch_execnz .LBB61_25
; %bb.26:
	s_or_b64 exec, exec, s[6:7]
	v_mov_b32_e32 v4, 0
	ds_read_b64 v[4:5], v4 offset:24
	s_waitcnt lgkmcnt(0)
	v_mul_f32_e32 v6, v3, v5
	v_mul_f32_e32 v5, v7, v5
	v_fma_f32 v6, v7, v4, -v6
	v_fmac_f32_e32 v5, v3, v4
	buffer_store_dword v6, off, s[0:3], 0 offset:24
	buffer_store_dword v5, off, s[0:3], 0 offset:28
.LBB61_27:
	s_or_b64 exec, exec, s[4:5]
	s_waitcnt lgkmcnt(0)
	; wave barrier
	buffer_load_dword v4, off, s[0:3], 0 offset:32
	buffer_load_dword v5, off, s[0:3], 0 offset:36
	v_cmp_gt_u32_e32 vcc, 4, v0
	s_waitcnt vmcnt(0)
	ds_write_b64 v1, v[4:5]
	s_waitcnt lgkmcnt(0)
	; wave barrier
	s_waitcnt lgkmcnt(0)
	s_and_saveexec_b64 s[4:5], vcc
	s_cbranch_execz .LBB61_31
; %bb.28:
	v_add_u32_e32 v4, -1, v0
	v_add_u32_e32 v5, 0x1f0, v232
	v_add_u32_e32 v6, 0, v232
	s_mov_b64 s[6:7], 0
	v_mov_b32_e32 v3, 0
	v_mov_b32_e32 v7, 0
.LBB61_29:                              ; =>This Inner Loop Header: Depth=1
	buffer_load_dword v10, v6, s[0:3], 0 offen offset:4
	buffer_load_dword v11, v6, s[0:3], 0 offen
	ds_read_b64 v[8:9], v5
	v_add_u32_e32 v4, 1, v4
	v_cmp_lt_u32_e32 vcc, 2, v4
	v_add_u32_e32 v5, 8, v5
	v_add_u32_e32 v6, 8, v6
	s_or_b64 s[6:7], vcc, s[6:7]
	s_waitcnt vmcnt(1) lgkmcnt(0)
	v_mul_f32_e32 v12, v9, v10
	v_mul_f32_e32 v10, v8, v10
	s_waitcnt vmcnt(0)
	v_fma_f32 v8, v8, v11, -v12
	v_fmac_f32_e32 v10, v9, v11
	v_add_f32_e32 v7, v7, v8
	v_add_f32_e32 v3, v3, v10
	s_andn2_b64 exec, exec, s[6:7]
	s_cbranch_execnz .LBB61_29
; %bb.30:
	s_or_b64 exec, exec, s[6:7]
	v_mov_b32_e32 v4, 0
	ds_read_b64 v[4:5], v4 offset:32
	s_waitcnt lgkmcnt(0)
	v_mul_f32_e32 v6, v3, v5
	v_mul_f32_e32 v5, v7, v5
	v_fma_f32 v6, v7, v4, -v6
	v_fmac_f32_e32 v5, v3, v4
	buffer_store_dword v6, off, s[0:3], 0 offset:32
	buffer_store_dword v5, off, s[0:3], 0 offset:36
.LBB61_31:
	s_or_b64 exec, exec, s[4:5]
	s_waitcnt lgkmcnt(0)
	; wave barrier
	buffer_load_dword v4, off, s[0:3], 0 offset:40
	buffer_load_dword v5, off, s[0:3], 0 offset:44
	v_cmp_gt_u32_e32 vcc, 5, v0
	s_waitcnt vmcnt(0)
	ds_write_b64 v1, v[4:5]
	;; [unrolled: 51-line block ×19, first 2 shown]
	s_waitcnt lgkmcnt(0)
	; wave barrier
	s_waitcnt lgkmcnt(0)
	s_and_saveexec_b64 s[4:5], vcc
	s_cbranch_execz .LBB61_103
; %bb.100:
	v_add_u32_e32 v4, -1, v0
	v_add_u32_e32 v5, 0x1f0, v232
	v_add_u32_e32 v6, 0, v232
	s_mov_b64 s[6:7], 0
	v_mov_b32_e32 v3, 0
	v_mov_b32_e32 v7, 0
.LBB61_101:                             ; =>This Inner Loop Header: Depth=1
	buffer_load_dword v10, v6, s[0:3], 0 offen offset:4
	buffer_load_dword v11, v6, s[0:3], 0 offen
	ds_read_b64 v[8:9], v5
	v_add_u32_e32 v4, 1, v4
	v_cmp_lt_u32_e32 vcc, 20, v4
	v_add_u32_e32 v5, 8, v5
	v_add_u32_e32 v6, 8, v6
	s_or_b64 s[6:7], vcc, s[6:7]
	s_waitcnt vmcnt(1) lgkmcnt(0)
	v_mul_f32_e32 v12, v9, v10
	v_mul_f32_e32 v10, v8, v10
	s_waitcnt vmcnt(0)
	v_fma_f32 v8, v8, v11, -v12
	v_fmac_f32_e32 v10, v9, v11
	v_add_f32_e32 v7, v7, v8
	v_add_f32_e32 v3, v3, v10
	s_andn2_b64 exec, exec, s[6:7]
	s_cbranch_execnz .LBB61_101
; %bb.102:
	s_or_b64 exec, exec, s[6:7]
	v_mov_b32_e32 v4, 0
	ds_read_b64 v[4:5], v4 offset:176
	s_waitcnt lgkmcnt(0)
	v_mul_f32_e32 v6, v3, v5
	v_mul_f32_e32 v5, v7, v5
	v_fma_f32 v6, v7, v4, -v6
	v_fmac_f32_e32 v5, v3, v4
	buffer_store_dword v6, off, s[0:3], 0 offset:176
	buffer_store_dword v5, off, s[0:3], 0 offset:180
.LBB61_103:
	s_or_b64 exec, exec, s[4:5]
	s_waitcnt lgkmcnt(0)
	; wave barrier
	buffer_load_dword v4, off, s[0:3], 0 offset:184
	buffer_load_dword v5, off, s[0:3], 0 offset:188
	v_cmp_gt_u32_e32 vcc, 23, v0
	s_waitcnt vmcnt(0)
	ds_write_b64 v1, v[4:5]
	s_waitcnt lgkmcnt(0)
	; wave barrier
	s_waitcnt lgkmcnt(0)
	s_and_saveexec_b64 s[4:5], vcc
	s_cbranch_execz .LBB61_107
; %bb.104:
	v_add_u32_e32 v4, -1, v0
	v_add_u32_e32 v5, 0x1f0, v232
	v_add_u32_e32 v6, 0, v232
	s_mov_b64 s[6:7], 0
	v_mov_b32_e32 v3, 0
	v_mov_b32_e32 v7, 0
.LBB61_105:                             ; =>This Inner Loop Header: Depth=1
	buffer_load_dword v10, v6, s[0:3], 0 offen offset:4
	buffer_load_dword v11, v6, s[0:3], 0 offen
	ds_read_b64 v[8:9], v5
	v_add_u32_e32 v4, 1, v4
	v_cmp_lt_u32_e32 vcc, 21, v4
	v_add_u32_e32 v5, 8, v5
	v_add_u32_e32 v6, 8, v6
	s_or_b64 s[6:7], vcc, s[6:7]
	s_waitcnt vmcnt(1) lgkmcnt(0)
	v_mul_f32_e32 v12, v9, v10
	v_mul_f32_e32 v10, v8, v10
	s_waitcnt vmcnt(0)
	v_fma_f32 v8, v8, v11, -v12
	v_fmac_f32_e32 v10, v9, v11
	v_add_f32_e32 v7, v7, v8
	v_add_f32_e32 v3, v3, v10
	s_andn2_b64 exec, exec, s[6:7]
	s_cbranch_execnz .LBB61_105
; %bb.106:
	s_or_b64 exec, exec, s[6:7]
	v_mov_b32_e32 v4, 0
	ds_read_b64 v[4:5], v4 offset:184
	s_waitcnt lgkmcnt(0)
	v_mul_f32_e32 v6, v3, v5
	v_mul_f32_e32 v5, v7, v5
	v_fma_f32 v6, v7, v4, -v6
	v_fmac_f32_e32 v5, v3, v4
	buffer_store_dword v6, off, s[0:3], 0 offset:184
	buffer_store_dword v5, off, s[0:3], 0 offset:188
.LBB61_107:
	s_or_b64 exec, exec, s[4:5]
	s_waitcnt lgkmcnt(0)
	; wave barrier
	buffer_load_dword v4, off, s[0:3], 0 offset:192
	buffer_load_dword v5, off, s[0:3], 0 offset:196
	v_cmp_gt_u32_e32 vcc, 24, v0
	s_waitcnt vmcnt(0)
	ds_write_b64 v1, v[4:5]
	;; [unrolled: 51-line block ×38, first 2 shown]
	s_waitcnt lgkmcnt(0)
	; wave barrier
	s_waitcnt lgkmcnt(0)
	s_and_saveexec_b64 s[4:5], vcc
	s_cbranch_execz .LBB61_255
; %bb.252:
	v_add_u32_e32 v4, -1, v0
	v_add_u32_e32 v5, 0x1f0, v232
	v_add_u32_e32 v6, 0, v232
	s_mov_b64 s[6:7], 0
	v_mov_b32_e32 v3, 0
	v_mov_b32_e32 v7, 0
.LBB61_253:                             ; =>This Inner Loop Header: Depth=1
	buffer_load_dword v10, v6, s[0:3], 0 offen offset:4
	buffer_load_dword v11, v6, s[0:3], 0 offen
	ds_read_b64 v[8:9], v5
	v_add_u32_e32 v4, 1, v4
	v_cmp_lt_u32_e32 vcc, 58, v4
	v_add_u32_e32 v5, 8, v5
	v_add_u32_e32 v6, 8, v6
	s_or_b64 s[6:7], vcc, s[6:7]
	s_waitcnt vmcnt(1) lgkmcnt(0)
	v_mul_f32_e32 v12, v9, v10
	v_mul_f32_e32 v10, v8, v10
	s_waitcnt vmcnt(0)
	v_fma_f32 v8, v8, v11, -v12
	v_fmac_f32_e32 v10, v9, v11
	v_add_f32_e32 v7, v7, v8
	v_add_f32_e32 v3, v3, v10
	s_andn2_b64 exec, exec, s[6:7]
	s_cbranch_execnz .LBB61_253
; %bb.254:
	s_or_b64 exec, exec, s[6:7]
	v_mov_b32_e32 v4, 0
	ds_read_b64 v[4:5], v4 offset:480
	s_waitcnt lgkmcnt(0)
	v_mul_f32_e32 v6, v3, v5
	v_mul_f32_e32 v5, v7, v5
	v_fma_f32 v6, v7, v4, -v6
	v_fmac_f32_e32 v5, v3, v4
	buffer_store_dword v6, off, s[0:3], 0 offset:480
	buffer_store_dword v5, off, s[0:3], 0 offset:484
.LBB61_255:
	s_or_b64 exec, exec, s[4:5]
	s_waitcnt lgkmcnt(0)
	; wave barrier
	buffer_load_dword v4, off, s[0:3], 0 offset:488
	buffer_load_dword v5, off, s[0:3], 0 offset:492
	v_cmp_ne_u32_e32 vcc, 61, v0
	s_waitcnt vmcnt(0)
	ds_write_b64 v1, v[4:5]
	s_waitcnt lgkmcnt(0)
	; wave barrier
	s_waitcnt lgkmcnt(0)
	s_and_saveexec_b64 s[4:5], vcc
	s_cbranch_execz .LBB61_259
; %bb.256:
	v_add_u32_e32 v3, 0x1f0, v232
	v_add_u32_e32 v4, 0, v232
	s_mov_b64 s[6:7], 0
	v_mov_b32_e32 v1, 0
	v_mov_b32_e32 v5, 0
.LBB61_257:                             ; =>This Inner Loop Header: Depth=1
	buffer_load_dword v8, v4, s[0:3], 0 offen offset:4
	buffer_load_dword v9, v4, s[0:3], 0 offen
	ds_read_b64 v[6:7], v3
	v_add_u32_e32 v2, 1, v2
	v_cmp_lt_u32_e32 vcc, 59, v2
	v_add_u32_e32 v3, 8, v3
	v_add_u32_e32 v4, 8, v4
	s_or_b64 s[6:7], vcc, s[6:7]
	s_waitcnt vmcnt(1) lgkmcnt(0)
	v_mul_f32_e32 v10, v7, v8
	v_mul_f32_e32 v8, v6, v8
	s_waitcnt vmcnt(0)
	v_fma_f32 v6, v6, v9, -v10
	v_fmac_f32_e32 v8, v7, v9
	v_add_f32_e32 v5, v5, v6
	v_add_f32_e32 v1, v1, v8
	s_andn2_b64 exec, exec, s[6:7]
	s_cbranch_execnz .LBB61_257
; %bb.258:
	s_or_b64 exec, exec, s[6:7]
	v_mov_b32_e32 v2, 0
	ds_read_b64 v[2:3], v2 offset:488
	s_waitcnt lgkmcnt(0)
	v_mul_f32_e32 v4, v1, v3
	v_mul_f32_e32 v3, v5, v3
	v_fma_f32 v4, v5, v2, -v4
	v_fmac_f32_e32 v3, v1, v2
	buffer_store_dword v4, off, s[0:3], 0 offset:488
	buffer_store_dword v3, off, s[0:3], 0 offset:492
.LBB61_259:
	s_or_b64 exec, exec, s[4:5]
	s_mov_b64 s[6:7], -1
	s_waitcnt lgkmcnt(0)
	; wave barrier
.LBB61_260:
	s_and_b64 vcc, exec, s[6:7]
	s_cbranch_vccz .LBB61_262
; %bb.261:
	s_lshl_b64 s[4:5], s[8:9], 2
	s_add_u32 s4, s14, s4
	s_addc_u32 s5, s15, s5
	v_mov_b32_e32 v1, 0
	global_load_dword v1, v1, s[4:5]
	s_waitcnt vmcnt(0)
	v_cmp_ne_u32_e32 vcc, 0, v1
	s_cbranch_vccz .LBB61_263
.LBB61_262:
	s_endpgm
.LBB61_263:
	v_mov_b32_e32 v1, 0x1f0
	v_lshl_add_u32 v210, v0, 3, v1
	v_cmp_eq_u32_e32 vcc, 61, v0
	s_and_saveexec_b64 s[4:5], vcc
	s_cbranch_execz .LBB61_265
; %bb.264:
	buffer_load_dword v2, off, s[0:3], 0 offset:480
	buffer_load_dword v3, off, s[0:3], 0 offset:484
	v_mov_b32_e32 v4, 0
	buffer_store_dword v4, off, s[0:3], 0 offset:480
	buffer_store_dword v4, off, s[0:3], 0 offset:484
	s_waitcnt vmcnt(2)
	ds_write_b64 v210, v[2:3]
.LBB61_265:
	s_or_b64 exec, exec, s[4:5]
	s_waitcnt lgkmcnt(0)
	; wave barrier
	s_waitcnt lgkmcnt(0)
	buffer_load_dword v5, off, s[0:3], 0 offset:492
	buffer_load_dword v4, off, s[0:3], 0 offset:488
	;; [unrolled: 1-line block ×4, first 2 shown]
	v_mov_b32_e32 v2, 0
	ds_read_b64 v[8:9], v2 offset:984
	v_cmp_lt_u32_e32 vcc, 59, v0
	s_waitcnt vmcnt(3)
	v_mov_b32_e32 v10, v5
	s_waitcnt lgkmcnt(0)
	v_pk_mul_f32 v[10:11], v[8:9], v[10:11] op_sel_hi:[1,0]
	s_waitcnt vmcnt(2)
	v_pk_fma_f32 v[12:13], v[8:9], v[4:5], v[10:11] op_sel:[0,0,1] op_sel_hi:[1,1,0] neg_lo:[0,0,1] neg_hi:[0,0,1]
	v_pk_fma_f32 v[4:5], v[8:9], v[4:5], v[10:11] op_sel:[0,0,1] op_sel_hi:[1,0,0]
	v_mov_b32_e32 v13, v5
	v_pk_add_f32 v[4:5], v[12:13], 0 op_sel_hi:[1,0]
	s_waitcnt vmcnt(0)
	v_pk_add_f32 v[4:5], v[6:7], v[4:5] neg_lo:[0,1] neg_hi:[0,1]
	buffer_store_dword v4, off, s[0:3], 0 offset:480
	buffer_store_dword v5, off, s[0:3], 0 offset:484
	s_and_saveexec_b64 s[4:5], vcc
	s_cbranch_execz .LBB61_267
; %bb.266:
	buffer_load_dword v4, off, s[0:3], 0 offset:472
	buffer_load_dword v5, off, s[0:3], 0 offset:476
	s_waitcnt vmcnt(0)
	ds_write_b64 v210, v[4:5]
	buffer_store_dword v2, off, s[0:3], 0 offset:472
	buffer_store_dword v2, off, s[0:3], 0 offset:476
.LBB61_267:
	s_or_b64 exec, exec, s[4:5]
	s_waitcnt lgkmcnt(0)
	; wave barrier
	s_waitcnt lgkmcnt(0)
	buffer_load_dword v7, off, s[0:3], 0 offset:484
	buffer_load_dword v9, off, s[0:3], 0 offset:492
	;; [unrolled: 1-line block ×6, first 2 shown]
	ds_read_b128 v[2:5], v2 offset:976
	v_cmp_lt_u32_e32 vcc, 58, v0
	s_waitcnt vmcnt(5)
	v_mov_b32_e32 v12, v7
	s_waitcnt vmcnt(4)
	v_mov_b32_e32 v14, v9
	s_waitcnt lgkmcnt(0)
	v_pk_mul_f32 v[12:13], v[2:3], v[12:13] op_sel_hi:[1,0]
	v_pk_mul_f32 v[14:15], v[4:5], v[14:15] op_sel_hi:[1,0]
	s_waitcnt vmcnt(3)
	v_pk_fma_f32 v[16:17], v[2:3], v[6:7], v[12:13] op_sel:[0,0,1] op_sel_hi:[1,1,0] neg_lo:[0,0,1] neg_hi:[0,0,1]
	v_pk_fma_f32 v[2:3], v[2:3], v[6:7], v[12:13] op_sel:[0,0,1] op_sel_hi:[1,0,0]
	s_waitcnt vmcnt(2)
	v_pk_fma_f32 v[6:7], v[4:5], v[8:9], v[14:15] op_sel:[0,0,1] op_sel_hi:[1,1,0] neg_lo:[0,0,1] neg_hi:[0,0,1]
	v_pk_fma_f32 v[4:5], v[4:5], v[8:9], v[14:15] op_sel:[0,0,1] op_sel_hi:[1,0,0]
	v_mov_b32_e32 v17, v3
	v_mov_b32_e32 v7, v5
	v_pk_add_f32 v[2:3], v[16:17], 0 op_sel_hi:[1,0]
	v_pk_add_f32 v[2:3], v[2:3], v[6:7]
	s_waitcnt vmcnt(0)
	v_pk_add_f32 v[2:3], v[10:11], v[2:3] neg_lo:[0,1] neg_hi:[0,1]
	buffer_store_dword v2, off, s[0:3], 0 offset:472
	buffer_store_dword v3, off, s[0:3], 0 offset:476
	s_and_saveexec_b64 s[4:5], vcc
	s_cbranch_execz .LBB61_269
; %bb.268:
	buffer_load_dword v2, off, s[0:3], 0 offset:464
	buffer_load_dword v3, off, s[0:3], 0 offset:468
	v_mov_b32_e32 v4, 0
	buffer_store_dword v4, off, s[0:3], 0 offset:464
	buffer_store_dword v4, off, s[0:3], 0 offset:468
	s_waitcnt vmcnt(2)
	ds_write_b64 v210, v[2:3]
.LBB61_269:
	s_or_b64 exec, exec, s[4:5]
	s_waitcnt lgkmcnt(0)
	; wave barrier
	s_waitcnt lgkmcnt(0)
	buffer_load_dword v9, off, s[0:3], 0 offset:476
	buffer_load_dword v11, off, s[0:3], 0 offset:484
	;; [unrolled: 1-line block ×8, first 2 shown]
	v_mov_b32_e32 v2, 0
	ds_read2_b64 v[4:7], v2 offset0:121 offset1:122
	ds_read_b64 v[16:17], v2 offset:984
	v_cmp_lt_u32_e32 vcc, 57, v0
	s_waitcnt vmcnt(7)
	v_mov_b32_e32 v18, v9
	s_waitcnt vmcnt(6)
	v_mov_b32_e32 v20, v11
	s_waitcnt lgkmcnt(1)
	v_pk_mul_f32 v[18:19], v[4:5], v[18:19] op_sel_hi:[1,0]
	s_waitcnt vmcnt(5)
	v_mov_b32_e32 v22, v13
	v_pk_mul_f32 v[20:21], v[6:7], v[20:21] op_sel_hi:[1,0]
	s_waitcnt vmcnt(4)
	v_pk_fma_f32 v[24:25], v[4:5], v[8:9], v[18:19] op_sel:[0,0,1] op_sel_hi:[1,1,0] neg_lo:[0,0,1] neg_hi:[0,0,1]
	v_pk_fma_f32 v[4:5], v[4:5], v[8:9], v[18:19] op_sel:[0,0,1] op_sel_hi:[1,0,0]
	s_waitcnt lgkmcnt(0)
	v_pk_mul_f32 v[22:23], v[16:17], v[22:23] op_sel_hi:[1,0]
	s_waitcnt vmcnt(3)
	v_pk_fma_f32 v[8:9], v[6:7], v[10:11], v[20:21] op_sel:[0,0,1] op_sel_hi:[1,1,0] neg_lo:[0,0,1] neg_hi:[0,0,1]
	v_pk_fma_f32 v[6:7], v[6:7], v[10:11], v[20:21] op_sel:[0,0,1] op_sel_hi:[1,0,0]
	v_mov_b32_e32 v25, v5
	s_waitcnt vmcnt(2)
	v_pk_fma_f32 v[10:11], v[16:17], v[12:13], v[22:23] op_sel:[0,0,1] op_sel_hi:[1,1,0] neg_lo:[0,0,1] neg_hi:[0,0,1]
	v_pk_fma_f32 v[12:13], v[16:17], v[12:13], v[22:23] op_sel:[0,0,1] op_sel_hi:[1,0,0]
	v_mov_b32_e32 v9, v7
	v_pk_add_f32 v[4:5], v[24:25], 0 op_sel_hi:[1,0]
	v_mov_b32_e32 v11, v13
	v_pk_add_f32 v[4:5], v[4:5], v[8:9]
	v_pk_add_f32 v[4:5], v[4:5], v[10:11]
	s_waitcnt vmcnt(0)
	v_pk_add_f32 v[4:5], v[14:15], v[4:5] neg_lo:[0,1] neg_hi:[0,1]
	buffer_store_dword v4, off, s[0:3], 0 offset:464
	buffer_store_dword v5, off, s[0:3], 0 offset:468
	s_and_saveexec_b64 s[4:5], vcc
	s_cbranch_execz .LBB61_271
; %bb.270:
	buffer_load_dword v4, off, s[0:3], 0 offset:456
	buffer_load_dword v5, off, s[0:3], 0 offset:460
	s_waitcnt vmcnt(0)
	ds_write_b64 v210, v[4:5]
	buffer_store_dword v2, off, s[0:3], 0 offset:456
	buffer_store_dword v2, off, s[0:3], 0 offset:460
.LBB61_271:
	s_or_b64 exec, exec, s[4:5]
	s_waitcnt lgkmcnt(0)
	; wave barrier
	s_waitcnt lgkmcnt(0)
	buffer_load_dword v13, off, s[0:3], 0 offset:468
	buffer_load_dword v15, off, s[0:3], 0 offset:476
	;; [unrolled: 1-line block ×10, first 2 shown]
	ds_read_b128 v[4:7], v2 offset:960
	ds_read_b128 v[8:11], v2 offset:976
	v_cmp_lt_u32_e32 vcc, 56, v0
	s_waitcnt vmcnt(9)
	v_mov_b32_e32 v2, v13
	s_waitcnt vmcnt(8)
	v_mov_b32_e32 v22, v15
	s_waitcnt lgkmcnt(1)
	v_pk_mul_f32 v[2:3], v[4:5], v[2:3] op_sel_hi:[1,0]
	s_waitcnt vmcnt(7)
	v_mov_b32_e32 v24, v17
	v_pk_mul_f32 v[22:23], v[6:7], v[22:23] op_sel_hi:[1,0]
	s_waitcnt vmcnt(5)
	v_pk_fma_f32 v[28:29], v[4:5], v[12:13], v[2:3] op_sel:[0,0,1] op_sel_hi:[1,1,0] neg_lo:[0,0,1] neg_hi:[0,0,1]
	v_pk_fma_f32 v[2:3], v[4:5], v[12:13], v[2:3] op_sel:[0,0,1] op_sel_hi:[1,0,0]
	v_mov_b32_e32 v26, v19
	s_waitcnt lgkmcnt(0)
	v_pk_mul_f32 v[24:25], v[8:9], v[24:25] op_sel_hi:[1,0]
	s_waitcnt vmcnt(4)
	v_pk_fma_f32 v[4:5], v[6:7], v[14:15], v[22:23] op_sel:[0,0,1] op_sel_hi:[1,1,0] neg_lo:[0,0,1] neg_hi:[0,0,1]
	v_pk_fma_f32 v[6:7], v[6:7], v[14:15], v[22:23] op_sel:[0,0,1] op_sel_hi:[1,0,0]
	v_mov_b32_e32 v29, v3
	v_pk_mul_f32 v[26:27], v[10:11], v[26:27] op_sel_hi:[1,0]
	s_waitcnt vmcnt(3)
	v_pk_fma_f32 v[12:13], v[8:9], v[16:17], v[24:25] op_sel:[0,0,1] op_sel_hi:[1,1,0] neg_lo:[0,0,1] neg_hi:[0,0,1]
	v_pk_fma_f32 v[8:9], v[8:9], v[16:17], v[24:25] op_sel:[0,0,1] op_sel_hi:[1,0,0]
	v_mov_b32_e32 v5, v7
	v_pk_add_f32 v[2:3], v[28:29], 0 op_sel_hi:[1,0]
	s_waitcnt vmcnt(2)
	v_pk_fma_f32 v[14:15], v[10:11], v[18:19], v[26:27] op_sel:[0,0,1] op_sel_hi:[1,1,0] neg_lo:[0,0,1] neg_hi:[0,0,1]
	v_pk_fma_f32 v[10:11], v[10:11], v[18:19], v[26:27] op_sel:[0,0,1] op_sel_hi:[1,0,0]
	v_mov_b32_e32 v13, v9
	v_pk_add_f32 v[2:3], v[2:3], v[4:5]
	v_mov_b32_e32 v15, v11
	v_pk_add_f32 v[2:3], v[2:3], v[12:13]
	v_pk_add_f32 v[2:3], v[2:3], v[14:15]
	s_waitcnt vmcnt(0)
	v_pk_add_f32 v[2:3], v[20:21], v[2:3] neg_lo:[0,1] neg_hi:[0,1]
	buffer_store_dword v2, off, s[0:3], 0 offset:456
	buffer_store_dword v3, off, s[0:3], 0 offset:460
	s_and_saveexec_b64 s[4:5], vcc
	s_cbranch_execz .LBB61_273
; %bb.272:
	buffer_load_dword v2, off, s[0:3], 0 offset:448
	buffer_load_dword v3, off, s[0:3], 0 offset:452
	v_mov_b32_e32 v4, 0
	buffer_store_dword v4, off, s[0:3], 0 offset:448
	buffer_store_dword v4, off, s[0:3], 0 offset:452
	s_waitcnt vmcnt(2)
	ds_write_b64 v210, v[2:3]
.LBB61_273:
	s_or_b64 exec, exec, s[4:5]
	s_waitcnt lgkmcnt(0)
	; wave barrier
	s_waitcnt lgkmcnt(0)
	buffer_load_dword v13, off, s[0:3], 0 offset:460
	buffer_load_dword v15, off, s[0:3], 0 offset:468
	;; [unrolled: 1-line block ×12, first 2 shown]
	v_mov_b32_e32 v2, 0
	ds_read2_b64 v[4:7], v2 offset0:119 offset1:120
	ds_read2_b64 v[8:11], v2 offset0:121 offset1:122
	ds_read_b64 v[24:25], v2 offset:984
	v_cmp_lt_u32_e32 vcc, 55, v0
	s_waitcnt vmcnt(11)
	v_mov_b32_e32 v26, v13
	s_waitcnt vmcnt(10)
	v_mov_b32_e32 v28, v15
	s_waitcnt lgkmcnt(2)
	v_pk_mul_f32 v[26:27], v[4:5], v[26:27] op_sel_hi:[1,0]
	s_waitcnt vmcnt(9)
	v_mov_b32_e32 v30, v17
	v_pk_mul_f32 v[28:29], v[6:7], v[28:29] op_sel_hi:[1,0]
	s_waitcnt vmcnt(6)
	v_pk_fma_f32 v[36:37], v[4:5], v[12:13], v[26:27] op_sel:[0,0,1] op_sel_hi:[1,1,0] neg_lo:[0,0,1] neg_hi:[0,0,1]
	v_pk_fma_f32 v[4:5], v[4:5], v[12:13], v[26:27] op_sel:[0,0,1] op_sel_hi:[1,0,0]
	v_mov_b32_e32 v32, v19
	s_waitcnt lgkmcnt(1)
	v_pk_mul_f32 v[30:31], v[8:9], v[30:31] op_sel_hi:[1,0]
	s_waitcnt vmcnt(5)
	v_pk_fma_f32 v[12:13], v[6:7], v[14:15], v[28:29] op_sel:[0,0,1] op_sel_hi:[1,1,0] neg_lo:[0,0,1] neg_hi:[0,0,1]
	v_pk_fma_f32 v[6:7], v[6:7], v[14:15], v[28:29] op_sel:[0,0,1] op_sel_hi:[1,0,0]
	v_mov_b32_e32 v37, v5
	v_mov_b32_e32 v34, v21
	v_pk_mul_f32 v[32:33], v[10:11], v[32:33] op_sel_hi:[1,0]
	s_waitcnt vmcnt(4)
	v_pk_fma_f32 v[14:15], v[8:9], v[16:17], v[30:31] op_sel:[0,0,1] op_sel_hi:[1,1,0] neg_lo:[0,0,1] neg_hi:[0,0,1]
	v_pk_fma_f32 v[8:9], v[8:9], v[16:17], v[30:31] op_sel:[0,0,1] op_sel_hi:[1,0,0]
	v_mov_b32_e32 v13, v7
	v_pk_add_f32 v[4:5], v[36:37], 0 op_sel_hi:[1,0]
	s_waitcnt lgkmcnt(0)
	v_pk_mul_f32 v[34:35], v[24:25], v[34:35] op_sel_hi:[1,0]
	s_waitcnt vmcnt(3)
	v_pk_fma_f32 v[16:17], v[10:11], v[18:19], v[32:33] op_sel:[0,0,1] op_sel_hi:[1,1,0] neg_lo:[0,0,1] neg_hi:[0,0,1]
	v_pk_fma_f32 v[10:11], v[10:11], v[18:19], v[32:33] op_sel:[0,0,1] op_sel_hi:[1,0,0]
	v_mov_b32_e32 v15, v9
	v_pk_add_f32 v[4:5], v[4:5], v[12:13]
	s_waitcnt vmcnt(2)
	v_pk_fma_f32 v[18:19], v[24:25], v[20:21], v[34:35] op_sel:[0,0,1] op_sel_hi:[1,1,0] neg_lo:[0,0,1] neg_hi:[0,0,1]
	v_pk_fma_f32 v[20:21], v[24:25], v[20:21], v[34:35] op_sel:[0,0,1] op_sel_hi:[1,0,0]
	v_mov_b32_e32 v17, v11
	v_pk_add_f32 v[4:5], v[4:5], v[14:15]
	v_mov_b32_e32 v19, v21
	v_pk_add_f32 v[4:5], v[4:5], v[16:17]
	v_pk_add_f32 v[4:5], v[4:5], v[18:19]
	s_waitcnt vmcnt(0)
	v_pk_add_f32 v[4:5], v[22:23], v[4:5] neg_lo:[0,1] neg_hi:[0,1]
	buffer_store_dword v4, off, s[0:3], 0 offset:448
	buffer_store_dword v5, off, s[0:3], 0 offset:452
	s_and_saveexec_b64 s[4:5], vcc
	s_cbranch_execz .LBB61_275
; %bb.274:
	buffer_load_dword v4, off, s[0:3], 0 offset:440
	buffer_load_dword v5, off, s[0:3], 0 offset:444
	s_waitcnt vmcnt(0)
	ds_write_b64 v210, v[4:5]
	buffer_store_dword v2, off, s[0:3], 0 offset:440
	buffer_store_dword v2, off, s[0:3], 0 offset:444
.LBB61_275:
	s_or_b64 exec, exec, s[4:5]
	s_waitcnt lgkmcnt(0)
	; wave barrier
	s_waitcnt lgkmcnt(0)
	buffer_load_dword v17, off, s[0:3], 0 offset:452
	buffer_load_dword v19, off, s[0:3], 0 offset:460
	buffer_load_dword v21, off, s[0:3], 0 offset:468
	buffer_load_dword v23, off, s[0:3], 0 offset:476
	buffer_load_dword v25, off, s[0:3], 0 offset:484
	buffer_load_dword v27, off, s[0:3], 0 offset:492
	buffer_load_dword v16, off, s[0:3], 0 offset:448
	buffer_load_dword v18, off, s[0:3], 0 offset:456
	buffer_load_dword v20, off, s[0:3], 0 offset:464
	buffer_load_dword v22, off, s[0:3], 0 offset:472
	buffer_load_dword v24, off, s[0:3], 0 offset:480
	buffer_load_dword v26, off, s[0:3], 0 offset:488
	buffer_load_dword v28, off, s[0:3], 0 offset:440
	buffer_load_dword v29, off, s[0:3], 0 offset:444
	ds_read_b128 v[4:7], v2 offset:944
	ds_read_b128 v[8:11], v2 offset:960
	;; [unrolled: 1-line block ×3, first 2 shown]
	v_cmp_lt_u32_e32 vcc, 54, v0
	s_waitcnt vmcnt(13)
	v_mov_b32_e32 v2, v17
	s_waitcnt vmcnt(12)
	v_mov_b32_e32 v30, v19
	s_waitcnt lgkmcnt(2)
	v_pk_mul_f32 v[2:3], v[4:5], v[2:3] op_sel_hi:[1,0]
	s_waitcnt vmcnt(11)
	v_mov_b32_e32 v32, v21
	v_pk_mul_f32 v[30:31], v[6:7], v[30:31] op_sel_hi:[1,0]
	s_waitcnt vmcnt(10)
	v_mov_b32_e32 v34, v23
	s_waitcnt vmcnt(7)
	v_pk_fma_f32 v[40:41], v[4:5], v[16:17], v[2:3] op_sel:[0,0,1] op_sel_hi:[1,1,0] neg_lo:[0,0,1] neg_hi:[0,0,1]
	v_pk_fma_f32 v[2:3], v[4:5], v[16:17], v[2:3] op_sel:[0,0,1] op_sel_hi:[1,0,0]
	s_waitcnt lgkmcnt(1)
	v_pk_mul_f32 v[32:33], v[8:9], v[32:33] op_sel_hi:[1,0]
	s_waitcnt vmcnt(6)
	v_pk_fma_f32 v[4:5], v[6:7], v[18:19], v[30:31] op_sel:[0,0,1] op_sel_hi:[1,1,0] neg_lo:[0,0,1] neg_hi:[0,0,1]
	v_pk_fma_f32 v[6:7], v[6:7], v[18:19], v[30:31] op_sel:[0,0,1] op_sel_hi:[1,0,0]
	v_mov_b32_e32 v41, v3
	v_mov_b32_e32 v36, v25
	v_pk_mul_f32 v[34:35], v[10:11], v[34:35] op_sel_hi:[1,0]
	s_waitcnt vmcnt(5)
	v_pk_fma_f32 v[16:17], v[8:9], v[20:21], v[32:33] op_sel:[0,0,1] op_sel_hi:[1,1,0] neg_lo:[0,0,1] neg_hi:[0,0,1]
	v_pk_fma_f32 v[8:9], v[8:9], v[20:21], v[32:33] op_sel:[0,0,1] op_sel_hi:[1,0,0]
	v_mov_b32_e32 v5, v7
	v_pk_add_f32 v[2:3], v[40:41], 0 op_sel_hi:[1,0]
	v_mov_b32_e32 v38, v27
	s_waitcnt lgkmcnt(0)
	v_pk_mul_f32 v[36:37], v[12:13], v[36:37] op_sel_hi:[1,0]
	s_waitcnt vmcnt(4)
	v_pk_fma_f32 v[18:19], v[10:11], v[22:23], v[34:35] op_sel:[0,0,1] op_sel_hi:[1,1,0] neg_lo:[0,0,1] neg_hi:[0,0,1]
	v_pk_fma_f32 v[10:11], v[10:11], v[22:23], v[34:35] op_sel:[0,0,1] op_sel_hi:[1,0,0]
	v_mov_b32_e32 v17, v9
	v_pk_add_f32 v[2:3], v[2:3], v[4:5]
	v_pk_mul_f32 v[38:39], v[14:15], v[38:39] op_sel_hi:[1,0]
	s_waitcnt vmcnt(3)
	v_pk_fma_f32 v[20:21], v[12:13], v[24:25], v[36:37] op_sel:[0,0,1] op_sel_hi:[1,1,0] neg_lo:[0,0,1] neg_hi:[0,0,1]
	v_pk_fma_f32 v[12:13], v[12:13], v[24:25], v[36:37] op_sel:[0,0,1] op_sel_hi:[1,0,0]
	v_mov_b32_e32 v19, v11
	v_pk_add_f32 v[2:3], v[2:3], v[16:17]
	s_waitcnt vmcnt(2)
	v_pk_fma_f32 v[22:23], v[14:15], v[26:27], v[38:39] op_sel:[0,0,1] op_sel_hi:[1,1,0] neg_lo:[0,0,1] neg_hi:[0,0,1]
	v_pk_fma_f32 v[14:15], v[14:15], v[26:27], v[38:39] op_sel:[0,0,1] op_sel_hi:[1,0,0]
	v_mov_b32_e32 v21, v13
	v_pk_add_f32 v[2:3], v[2:3], v[18:19]
	v_mov_b32_e32 v23, v15
	v_pk_add_f32 v[2:3], v[2:3], v[20:21]
	v_pk_add_f32 v[2:3], v[2:3], v[22:23]
	s_waitcnt vmcnt(0)
	v_pk_add_f32 v[2:3], v[28:29], v[2:3] neg_lo:[0,1] neg_hi:[0,1]
	buffer_store_dword v2, off, s[0:3], 0 offset:440
	buffer_store_dword v3, off, s[0:3], 0 offset:444
	s_and_saveexec_b64 s[4:5], vcc
	s_cbranch_execz .LBB61_277
; %bb.276:
	buffer_load_dword v2, off, s[0:3], 0 offset:432
	buffer_load_dword v3, off, s[0:3], 0 offset:436
	v_mov_b32_e32 v4, 0
	buffer_store_dword v4, off, s[0:3], 0 offset:432
	buffer_store_dword v4, off, s[0:3], 0 offset:436
	s_waitcnt vmcnt(2)
	ds_write_b64 v210, v[2:3]
.LBB61_277:
	s_or_b64 exec, exec, s[4:5]
	s_waitcnt lgkmcnt(0)
	; wave barrier
	s_waitcnt lgkmcnt(0)
	buffer_load_dword v16, off, s[0:3], 0 offset:432
	buffer_load_dword v17, off, s[0:3], 0 offset:436
	;; [unrolled: 1-line block ×16, first 2 shown]
	v_mov_b32_e32 v2, 0
	ds_read2_b64 v[4:7], v2 offset0:117 offset1:118
	ds_read2_b64 v[8:11], v2 offset0:119 offset1:120
	;; [unrolled: 1-line block ×3, first 2 shown]
	ds_read_b64 v[32:33], v2 offset:984
	v_cmp_lt_u32_e32 vcc, 53, v0
	s_waitcnt vmcnt(12)
	v_mov_b32_e32 v34, v19
	s_waitcnt lgkmcnt(3)
	v_pk_mul_f32 v[34:35], v[4:5], v[34:35] op_sel_hi:[1,0]
	v_pk_fma_f32 v[36:37], v[4:5], v[18:19], v[34:35] op_sel:[0,0,1] op_sel_hi:[1,1,0] neg_lo:[0,0,1] neg_hi:[0,0,1]
	v_pk_fma_f32 v[4:5], v[4:5], v[18:19], v[34:35] op_sel:[0,0,1] op_sel_hi:[1,0,0]
	s_waitcnt vmcnt(10)
	v_mov_b32_e32 v18, v21
	v_pk_mul_f32 v[18:19], v[6:7], v[18:19] op_sel_hi:[1,0]
	v_pk_fma_f32 v[34:35], v[6:7], v[20:21], v[18:19] op_sel:[0,0,1] op_sel_hi:[1,1,0] neg_lo:[0,0,1] neg_hi:[0,0,1]
	v_pk_fma_f32 v[6:7], v[6:7], v[20:21], v[18:19] op_sel:[0,0,1] op_sel_hi:[1,0,0]
	s_waitcnt vmcnt(8)
	v_mov_b32_e32 v6, v23
	v_mov_b32_e32 v35, v7
	s_waitcnt lgkmcnt(2)
	v_pk_mul_f32 v[6:7], v[8:9], v[6:7] op_sel_hi:[1,0]
	v_pk_fma_f32 v[18:19], v[8:9], v[22:23], v[6:7] op_sel:[0,0,1] op_sel_hi:[1,1,0] neg_lo:[0,0,1] neg_hi:[0,0,1]
	v_pk_fma_f32 v[6:7], v[8:9], v[22:23], v[6:7] op_sel:[0,0,1] op_sel_hi:[1,0,0]
	s_waitcnt vmcnt(6)
	v_mov_b32_e32 v6, v25
	v_mov_b32_e32 v37, v5
	;; [unrolled: 1-line block ×3, first 2 shown]
	v_pk_mul_f32 v[6:7], v[10:11], v[6:7] op_sel_hi:[1,0]
	v_pk_add_f32 v[4:5], v[36:37], 0 op_sel_hi:[1,0]
	v_pk_fma_f32 v[8:9], v[10:11], v[24:25], v[6:7] op_sel:[0,0,1] op_sel_hi:[1,1,0] neg_lo:[0,0,1] neg_hi:[0,0,1]
	v_pk_fma_f32 v[6:7], v[10:11], v[24:25], v[6:7] op_sel:[0,0,1] op_sel_hi:[1,0,0]
	v_pk_add_f32 v[4:5], v[4:5], v[34:35]
	s_waitcnt vmcnt(4)
	v_mov_b32_e32 v6, v27
	v_pk_add_f32 v[4:5], v[4:5], v[18:19]
	v_mov_b32_e32 v9, v7
	s_waitcnt lgkmcnt(1)
	v_pk_mul_f32 v[6:7], v[12:13], v[6:7] op_sel_hi:[1,0]
	v_pk_add_f32 v[4:5], v[4:5], v[8:9]
	v_pk_fma_f32 v[8:9], v[12:13], v[26:27], v[6:7] op_sel:[0,0,1] op_sel_hi:[1,1,0] neg_lo:[0,0,1] neg_hi:[0,0,1]
	v_pk_fma_f32 v[6:7], v[12:13], v[26:27], v[6:7] op_sel:[0,0,1] op_sel_hi:[1,0,0]
	s_waitcnt vmcnt(2)
	v_mov_b32_e32 v6, v29
	v_mov_b32_e32 v9, v7
	v_pk_mul_f32 v[6:7], v[14:15], v[6:7] op_sel_hi:[1,0]
	v_pk_add_f32 v[4:5], v[4:5], v[8:9]
	v_pk_fma_f32 v[8:9], v[14:15], v[28:29], v[6:7] op_sel:[0,0,1] op_sel_hi:[1,1,0] neg_lo:[0,0,1] neg_hi:[0,0,1]
	v_pk_fma_f32 v[6:7], v[14:15], v[28:29], v[6:7] op_sel:[0,0,1] op_sel_hi:[1,0,0]
	s_waitcnt vmcnt(0)
	v_mov_b32_e32 v6, v31
	v_mov_b32_e32 v9, v7
	s_waitcnt lgkmcnt(0)
	v_pk_mul_f32 v[6:7], v[32:33], v[6:7] op_sel_hi:[1,0]
	v_pk_add_f32 v[4:5], v[4:5], v[8:9]
	v_pk_fma_f32 v[8:9], v[32:33], v[30:31], v[6:7] op_sel:[0,0,1] op_sel_hi:[1,1,0] neg_lo:[0,0,1] neg_hi:[0,0,1]
	v_pk_fma_f32 v[6:7], v[32:33], v[30:31], v[6:7] op_sel:[0,0,1] op_sel_hi:[1,0,0]
	v_mov_b32_e32 v9, v7
	v_pk_add_f32 v[4:5], v[4:5], v[8:9]
	v_pk_add_f32 v[4:5], v[16:17], v[4:5] neg_lo:[0,1] neg_hi:[0,1]
	buffer_store_dword v4, off, s[0:3], 0 offset:432
	buffer_store_dword v5, off, s[0:3], 0 offset:436
	s_and_saveexec_b64 s[4:5], vcc
	s_cbranch_execz .LBB61_279
; %bb.278:
	buffer_load_dword v4, off, s[0:3], 0 offset:424
	buffer_load_dword v5, off, s[0:3], 0 offset:428
	s_waitcnt vmcnt(0)
	ds_write_b64 v210, v[4:5]
	buffer_store_dword v2, off, s[0:3], 0 offset:424
	buffer_store_dword v2, off, s[0:3], 0 offset:428
.LBB61_279:
	s_or_b64 exec, exec, s[4:5]
	s_waitcnt lgkmcnt(0)
	; wave barrier
	s_waitcnt lgkmcnt(0)
	buffer_load_dword v20, off, s[0:3], 0 offset:424
	buffer_load_dword v21, off, s[0:3], 0 offset:428
	;; [unrolled: 1-line block ×16, first 2 shown]
	ds_read_b128 v[4:7], v2 offset:928
	ds_read_b128 v[8:11], v2 offset:944
	;; [unrolled: 1-line block ×4, first 2 shown]
	buffer_load_dword v3, off, s[0:3], 0 offset:492
	buffer_load_dword v2, off, s[0:3], 0 offset:488
	v_cmp_lt_u32_e32 vcc, 52, v0
	s_waitcnt vmcnt(14)
	v_mov_b32_e32 v36, v23
	s_waitcnt lgkmcnt(3)
	v_pk_mul_f32 v[36:37], v[4:5], v[36:37] op_sel_hi:[1,0]
	v_pk_fma_f32 v[38:39], v[4:5], v[22:23], v[36:37] op_sel:[0,0,1] op_sel_hi:[1,1,0] neg_lo:[0,0,1] neg_hi:[0,0,1]
	v_pk_fma_f32 v[4:5], v[4:5], v[22:23], v[36:37] op_sel:[0,0,1] op_sel_hi:[1,0,0]
	s_waitcnt vmcnt(12)
	v_mov_b32_e32 v22, v25
	v_pk_mul_f32 v[22:23], v[6:7], v[22:23] op_sel_hi:[1,0]
	v_pk_fma_f32 v[36:37], v[6:7], v[24:25], v[22:23] op_sel:[0,0,1] op_sel_hi:[1,1,0] neg_lo:[0,0,1] neg_hi:[0,0,1]
	v_pk_fma_f32 v[6:7], v[6:7], v[24:25], v[22:23] op_sel:[0,0,1] op_sel_hi:[1,0,0]
	s_waitcnt vmcnt(10)
	v_mov_b32_e32 v6, v27
	v_mov_b32_e32 v37, v7
	s_waitcnt lgkmcnt(2)
	v_pk_mul_f32 v[6:7], v[8:9], v[6:7] op_sel_hi:[1,0]
	v_pk_fma_f32 v[22:23], v[8:9], v[26:27], v[6:7] op_sel:[0,0,1] op_sel_hi:[1,1,0] neg_lo:[0,0,1] neg_hi:[0,0,1]
	v_pk_fma_f32 v[6:7], v[8:9], v[26:27], v[6:7] op_sel:[0,0,1] op_sel_hi:[1,0,0]
	s_waitcnt vmcnt(8)
	v_mov_b32_e32 v6, v29
	v_mov_b32_e32 v39, v5
	;; [unrolled: 1-line block ×3, first 2 shown]
	v_pk_mul_f32 v[6:7], v[10:11], v[6:7] op_sel_hi:[1,0]
	v_pk_add_f32 v[4:5], v[38:39], 0 op_sel_hi:[1,0]
	v_pk_fma_f32 v[8:9], v[10:11], v[28:29], v[6:7] op_sel:[0,0,1] op_sel_hi:[1,1,0] neg_lo:[0,0,1] neg_hi:[0,0,1]
	v_pk_fma_f32 v[6:7], v[10:11], v[28:29], v[6:7] op_sel:[0,0,1] op_sel_hi:[1,0,0]
	v_pk_add_f32 v[4:5], v[4:5], v[36:37]
	s_waitcnt vmcnt(6)
	v_mov_b32_e32 v6, v31
	v_pk_add_f32 v[4:5], v[4:5], v[22:23]
	v_mov_b32_e32 v9, v7
	s_waitcnt lgkmcnt(1)
	v_pk_mul_f32 v[6:7], v[12:13], v[6:7] op_sel_hi:[1,0]
	v_pk_add_f32 v[4:5], v[4:5], v[8:9]
	v_pk_fma_f32 v[8:9], v[12:13], v[30:31], v[6:7] op_sel:[0,0,1] op_sel_hi:[1,1,0] neg_lo:[0,0,1] neg_hi:[0,0,1]
	v_pk_fma_f32 v[6:7], v[12:13], v[30:31], v[6:7] op_sel:[0,0,1] op_sel_hi:[1,0,0]
	s_waitcnt vmcnt(4)
	v_mov_b32_e32 v6, v33
	v_mov_b32_e32 v9, v7
	v_pk_mul_f32 v[6:7], v[14:15], v[6:7] op_sel_hi:[1,0]
	v_pk_add_f32 v[4:5], v[4:5], v[8:9]
	v_pk_fma_f32 v[8:9], v[14:15], v[32:33], v[6:7] op_sel:[0,0,1] op_sel_hi:[1,1,0] neg_lo:[0,0,1] neg_hi:[0,0,1]
	v_pk_fma_f32 v[6:7], v[14:15], v[32:33], v[6:7] op_sel:[0,0,1] op_sel_hi:[1,0,0]
	s_waitcnt vmcnt(2)
	v_mov_b32_e32 v6, v35
	v_mov_b32_e32 v9, v7
	s_waitcnt lgkmcnt(0)
	v_pk_mul_f32 v[6:7], v[16:17], v[6:7] op_sel_hi:[1,0]
	v_pk_add_f32 v[4:5], v[4:5], v[8:9]
	v_pk_fma_f32 v[8:9], v[16:17], v[34:35], v[6:7] op_sel:[0,0,1] op_sel_hi:[1,1,0] neg_lo:[0,0,1] neg_hi:[0,0,1]
	v_pk_fma_f32 v[6:7], v[16:17], v[34:35], v[6:7] op_sel:[0,0,1] op_sel_hi:[1,0,0]
	s_waitcnt vmcnt(1)
	v_mov_b32_e32 v6, v3
	v_mov_b32_e32 v9, v7
	v_pk_mul_f32 v[6:7], v[18:19], v[6:7] op_sel_hi:[1,0]
	v_pk_add_f32 v[4:5], v[4:5], v[8:9]
	s_waitcnt vmcnt(0)
	v_pk_fma_f32 v[8:9], v[18:19], v[2:3], v[6:7] op_sel:[0,0,1] op_sel_hi:[1,1,0] neg_lo:[0,0,1] neg_hi:[0,0,1]
	v_pk_fma_f32 v[2:3], v[18:19], v[2:3], v[6:7] op_sel:[0,0,1] op_sel_hi:[1,0,0]
	v_mov_b32_e32 v9, v3
	v_pk_add_f32 v[2:3], v[4:5], v[8:9]
	v_pk_add_f32 v[2:3], v[20:21], v[2:3] neg_lo:[0,1] neg_hi:[0,1]
	buffer_store_dword v2, off, s[0:3], 0 offset:424
	buffer_store_dword v3, off, s[0:3], 0 offset:428
	s_and_saveexec_b64 s[4:5], vcc
	s_cbranch_execz .LBB61_281
; %bb.280:
	buffer_load_dword v2, off, s[0:3], 0 offset:416
	buffer_load_dword v3, off, s[0:3], 0 offset:420
	v_mov_b32_e32 v4, 0
	buffer_store_dword v4, off, s[0:3], 0 offset:416
	buffer_store_dword v4, off, s[0:3], 0 offset:420
	s_waitcnt vmcnt(2)
	ds_write_b64 v210, v[2:3]
.LBB61_281:
	s_or_b64 exec, exec, s[4:5]
	v_mov_b32_e32 v4, 0
	s_waitcnt lgkmcnt(0)
	; wave barrier
	s_waitcnt lgkmcnt(0)
	ds_read2_b64 v[6:9], v4 offset0:115 offset1:116
	buffer_load_dword v2, off, s[0:3], 0 offset:416
	buffer_load_dword v3, off, s[0:3], 0 offset:420
	;; [unrolled: 1-line block ×20, first 2 shown]
	v_cmp_lt_u32_e32 vcc, 51, v0
	s_waitcnt vmcnt(16) lgkmcnt(0)
	v_mul_f32_e32 v35, v6, v10
	v_fmac_f32_e32 v35, v7, v5
	v_mul_f32_e32 v7, v7, v10
	s_waitcnt vmcnt(14)
	v_mov_b32_e32 v40, v23
	v_fma_f32 v34, v6, v5, -v7
	ds_read2_b64 v[10:13], v4 offset0:117 offset1:118
	ds_read2_b64 v[14:17], v4 offset0:119 offset1:120
	;; [unrolled: 1-line block ×3, first 2 shown]
	ds_read_b64 v[6:7], v4 offset:984
	v_pk_mul_f32 v[40:41], v[8:9], v[40:41] op_sel_hi:[1,0]
	v_pk_fma_f32 v[42:43], v[8:9], v[22:23], v[40:41] op_sel:[0,0,1] op_sel_hi:[1,1,0] neg_lo:[0,0,1] neg_hi:[0,0,1]
	v_pk_fma_f32 v[8:9], v[8:9], v[22:23], v[40:41] op_sel:[0,0,1] op_sel_hi:[1,0,0]
	s_waitcnt vmcnt(12)
	v_mov_b32_e32 v22, v25
	v_pk_add_f32 v[34:35], v[34:35], 0 op_sel_hi:[1,0]
	v_mov_b32_e32 v43, v9
	s_waitcnt lgkmcnt(3)
	v_pk_mul_f32 v[22:23], v[10:11], v[22:23] op_sel_hi:[1,0]
	v_pk_add_f32 v[8:9], v[34:35], v[42:43]
	v_pk_fma_f32 v[34:35], v[10:11], v[24:25], v[22:23] op_sel:[0,0,1] op_sel_hi:[1,1,0] neg_lo:[0,0,1] neg_hi:[0,0,1]
	v_pk_fma_f32 v[10:11], v[10:11], v[24:25], v[22:23] op_sel:[0,0,1] op_sel_hi:[1,0,0]
	s_waitcnt vmcnt(10)
	v_mov_b32_e32 v10, v27
	v_mov_b32_e32 v35, v11
	v_pk_mul_f32 v[10:11], v[12:13], v[10:11] op_sel_hi:[1,0]
	v_pk_fma_f32 v[22:23], v[12:13], v[26:27], v[10:11] op_sel:[0,0,1] op_sel_hi:[1,1,0] neg_lo:[0,0,1] neg_hi:[0,0,1]
	v_pk_fma_f32 v[10:11], v[12:13], v[26:27], v[10:11] op_sel:[0,0,1] op_sel_hi:[1,0,0]
	s_waitcnt vmcnt(8)
	v_mov_b32_e32 v10, v29
	v_mov_b32_e32 v23, v11
	s_waitcnt lgkmcnt(2)
	v_pk_mul_f32 v[10:11], v[14:15], v[10:11] op_sel_hi:[1,0]
	v_pk_fma_f32 v[12:13], v[14:15], v[28:29], v[10:11] op_sel:[0,0,1] op_sel_hi:[1,1,0] neg_lo:[0,0,1] neg_hi:[0,0,1]
	v_pk_fma_f32 v[10:11], v[14:15], v[28:29], v[10:11] op_sel:[0,0,1] op_sel_hi:[1,0,0]
	v_pk_add_f32 v[8:9], v[8:9], v[34:35]
	s_waitcnt vmcnt(6)
	v_mov_b32_e32 v10, v31
	v_pk_add_f32 v[8:9], v[8:9], v[22:23]
	v_mov_b32_e32 v13, v11
	v_pk_mul_f32 v[10:11], v[16:17], v[10:11] op_sel_hi:[1,0]
	v_pk_add_f32 v[8:9], v[8:9], v[12:13]
	v_pk_fma_f32 v[12:13], v[16:17], v[30:31], v[10:11] op_sel:[0,0,1] op_sel_hi:[1,1,0] neg_lo:[0,0,1] neg_hi:[0,0,1]
	v_pk_fma_f32 v[10:11], v[16:17], v[30:31], v[10:11] op_sel:[0,0,1] op_sel_hi:[1,0,0]
	s_waitcnt vmcnt(4)
	v_mov_b32_e32 v10, v33
	v_mov_b32_e32 v13, v11
	s_waitcnt lgkmcnt(1)
	v_pk_mul_f32 v[10:11], v[18:19], v[10:11] op_sel_hi:[1,0]
	v_pk_add_f32 v[8:9], v[8:9], v[12:13]
	v_pk_fma_f32 v[12:13], v[18:19], v[32:33], v[10:11] op_sel:[0,0,1] op_sel_hi:[1,1,0] neg_lo:[0,0,1] neg_hi:[0,0,1]
	v_pk_fma_f32 v[10:11], v[18:19], v[32:33], v[10:11] op_sel:[0,0,1] op_sel_hi:[1,0,0]
	s_waitcnt vmcnt(3)
	v_mov_b32_e32 v10, v37
	v_mov_b32_e32 v13, v11
	v_pk_mul_f32 v[10:11], v[20:21], v[10:11] op_sel_hi:[1,0]
	v_pk_add_f32 v[8:9], v[8:9], v[12:13]
	s_waitcnt vmcnt(2)
	v_pk_fma_f32 v[12:13], v[20:21], v[36:37], v[10:11] op_sel:[0,0,1] op_sel_hi:[1,1,0] neg_lo:[0,0,1] neg_hi:[0,0,1]
	v_pk_fma_f32 v[10:11], v[20:21], v[36:37], v[10:11] op_sel:[0,0,1] op_sel_hi:[1,0,0]
	s_waitcnt vmcnt(1)
	v_mov_b32_e32 v10, v39
	v_mov_b32_e32 v13, v11
	s_waitcnt lgkmcnt(0)
	v_pk_mul_f32 v[10:11], v[6:7], v[10:11] op_sel_hi:[1,0]
	v_pk_add_f32 v[8:9], v[8:9], v[12:13]
	s_waitcnt vmcnt(0)
	v_pk_fma_f32 v[12:13], v[6:7], v[38:39], v[10:11] op_sel:[0,0,1] op_sel_hi:[1,1,0] neg_lo:[0,0,1] neg_hi:[0,0,1]
	v_pk_fma_f32 v[6:7], v[6:7], v[38:39], v[10:11] op_sel:[0,0,1] op_sel_hi:[1,0,0]
	v_mov_b32_e32 v13, v7
	v_pk_add_f32 v[6:7], v[8:9], v[12:13]
	v_pk_add_f32 v[2:3], v[2:3], v[6:7] neg_lo:[0,1] neg_hi:[0,1]
	buffer_store_dword v2, off, s[0:3], 0 offset:416
	buffer_store_dword v3, off, s[0:3], 0 offset:420
	s_and_saveexec_b64 s[4:5], vcc
	s_cbranch_execz .LBB61_283
; %bb.282:
	buffer_load_dword v2, off, s[0:3], 0 offset:408
	buffer_load_dword v3, off, s[0:3], 0 offset:412
	s_waitcnt vmcnt(0)
	ds_write_b64 v210, v[2:3]
	buffer_store_dword v4, off, s[0:3], 0 offset:408
	buffer_store_dword v4, off, s[0:3], 0 offset:412
.LBB61_283:
	s_or_b64 exec, exec, s[4:5]
	s_waitcnt lgkmcnt(0)
	; wave barrier
	s_waitcnt lgkmcnt(0)
	ds_read_b128 v[6:9], v4 offset:912
	ds_read_b128 v[10:13], v4 offset:928
	ds_read_b128 v[14:17], v4 offset:944
	ds_read_b128 v[18:21], v4 offset:960
	buffer_load_dword v2, off, s[0:3], 0 offset:408
	buffer_load_dword v3, off, s[0:3], 0 offset:412
	;; [unrolled: 1-line block ×22, first 2 shown]
	v_cmp_lt_u32_e32 vcc, 50, v0
	s_waitcnt vmcnt(18) lgkmcnt(3)
	v_mul_f32_e32 v33, v6, v32
	v_fmac_f32_e32 v33, v7, v5
	v_mul_f32_e32 v7, v7, v32
	s_waitcnt vmcnt(16)
	v_mul_f32_e32 v35, v8, v42
	v_fma_f32 v32, v6, v5, -v7
	v_mul_f32_e32 v5, v9, v42
	v_fmac_f32_e32 v35, v9, v34
	v_fma_f32 v34, v8, v34, -v5
	v_pk_add_f32 v[8:9], v[32:33], 0 op_sel_hi:[1,0]
	s_waitcnt vmcnt(14)
	v_mov_b32_e32 v32, v23
	s_waitcnt lgkmcnt(2)
	v_pk_mul_f32 v[32:33], v[10:11], v[32:33] op_sel_hi:[1,0]
	v_pk_add_f32 v[8:9], v[8:9], v[34:35]
	v_pk_fma_f32 v[34:35], v[10:11], v[22:23], v[32:33] op_sel:[0,0,1] op_sel_hi:[1,1,0] neg_lo:[0,0,1] neg_hi:[0,0,1]
	v_pk_fma_f32 v[10:11], v[10:11], v[22:23], v[32:33] op_sel:[0,0,1] op_sel_hi:[1,0,0]
	s_waitcnt vmcnt(12)
	v_mov_b32_e32 v10, v25
	v_mov_b32_e32 v35, v11
	v_pk_mul_f32 v[10:11], v[12:13], v[10:11] op_sel_hi:[1,0]
	v_pk_fma_f32 v[22:23], v[12:13], v[24:25], v[10:11] op_sel:[0,0,1] op_sel_hi:[1,1,0] neg_lo:[0,0,1] neg_hi:[0,0,1]
	v_pk_fma_f32 v[10:11], v[12:13], v[24:25], v[10:11] op_sel:[0,0,1] op_sel_hi:[1,0,0]
	s_waitcnt vmcnt(10)
	v_mov_b32_e32 v10, v27
	v_mov_b32_e32 v23, v11
	s_waitcnt lgkmcnt(1)
	v_pk_mul_f32 v[10:11], v[14:15], v[10:11] op_sel_hi:[1,0]
	v_pk_fma_f32 v[12:13], v[14:15], v[26:27], v[10:11] op_sel:[0,0,1] op_sel_hi:[1,1,0] neg_lo:[0,0,1] neg_hi:[0,0,1]
	v_pk_fma_f32 v[10:11], v[14:15], v[26:27], v[10:11] op_sel:[0,0,1] op_sel_hi:[1,0,0]
	v_pk_add_f32 v[8:9], v[8:9], v[34:35]
	s_waitcnt vmcnt(8)
	v_mov_b32_e32 v10, v29
	v_pk_add_f32 v[8:9], v[8:9], v[22:23]
	v_mov_b32_e32 v13, v11
	v_pk_mul_f32 v[10:11], v[16:17], v[10:11] op_sel_hi:[1,0]
	v_pk_add_f32 v[8:9], v[8:9], v[12:13]
	v_pk_fma_f32 v[12:13], v[16:17], v[28:29], v[10:11] op_sel:[0,0,1] op_sel_hi:[1,1,0] neg_lo:[0,0,1] neg_hi:[0,0,1]
	v_pk_fma_f32 v[10:11], v[16:17], v[28:29], v[10:11] op_sel:[0,0,1] op_sel_hi:[1,0,0]
	s_waitcnt vmcnt(6)
	v_mov_b32_e32 v10, v31
	v_mov_b32_e32 v13, v11
	s_waitcnt lgkmcnt(0)
	v_pk_mul_f32 v[10:11], v[18:19], v[10:11] op_sel_hi:[1,0]
	ds_read_b128 v[4:7], v4 offset:976
	v_pk_add_f32 v[8:9], v[8:9], v[12:13]
	v_pk_fma_f32 v[12:13], v[18:19], v[30:31], v[10:11] op_sel:[0,0,1] op_sel_hi:[1,1,0] neg_lo:[0,0,1] neg_hi:[0,0,1]
	v_pk_fma_f32 v[10:11], v[18:19], v[30:31], v[10:11] op_sel:[0,0,1] op_sel_hi:[1,0,0]
	s_waitcnt vmcnt(5)
	v_mov_b32_e32 v10, v37
	v_mov_b32_e32 v13, v11
	v_pk_mul_f32 v[10:11], v[20:21], v[10:11] op_sel_hi:[1,0]
	v_pk_add_f32 v[8:9], v[8:9], v[12:13]
	s_waitcnt vmcnt(4)
	v_pk_fma_f32 v[12:13], v[20:21], v[36:37], v[10:11] op_sel:[0,0,1] op_sel_hi:[1,1,0] neg_lo:[0,0,1] neg_hi:[0,0,1]
	v_pk_fma_f32 v[10:11], v[20:21], v[36:37], v[10:11] op_sel:[0,0,1] op_sel_hi:[1,0,0]
	s_waitcnt vmcnt(3)
	v_mov_b32_e32 v10, v39
	v_mov_b32_e32 v13, v11
	s_waitcnt lgkmcnt(0)
	v_pk_mul_f32 v[10:11], v[4:5], v[10:11] op_sel_hi:[1,0]
	v_pk_add_f32 v[8:9], v[8:9], v[12:13]
	s_waitcnt vmcnt(2)
	v_pk_fma_f32 v[12:13], v[4:5], v[38:39], v[10:11] op_sel:[0,0,1] op_sel_hi:[1,1,0] neg_lo:[0,0,1] neg_hi:[0,0,1]
	v_pk_fma_f32 v[4:5], v[4:5], v[38:39], v[10:11] op_sel:[0,0,1] op_sel_hi:[1,0,0]
	v_mov_b32_e32 v13, v5
	v_pk_add_f32 v[4:5], v[8:9], v[12:13]
	s_waitcnt vmcnt(1)
	v_mov_b32_e32 v8, v41
	v_pk_mul_f32 v[8:9], v[6:7], v[8:9] op_sel_hi:[1,0]
	s_waitcnt vmcnt(0)
	v_pk_fma_f32 v[10:11], v[6:7], v[40:41], v[8:9] op_sel:[0,0,1] op_sel_hi:[1,1,0] neg_lo:[0,0,1] neg_hi:[0,0,1]
	v_pk_fma_f32 v[6:7], v[6:7], v[40:41], v[8:9] op_sel:[0,0,1] op_sel_hi:[1,0,0]
	v_mov_b32_e32 v11, v7
	v_pk_add_f32 v[4:5], v[4:5], v[10:11]
	v_pk_add_f32 v[2:3], v[2:3], v[4:5] neg_lo:[0,1] neg_hi:[0,1]
	buffer_store_dword v2, off, s[0:3], 0 offset:408
	buffer_store_dword v3, off, s[0:3], 0 offset:412
	s_and_saveexec_b64 s[4:5], vcc
	s_cbranch_execz .LBB61_285
; %bb.284:
	buffer_load_dword v2, off, s[0:3], 0 offset:400
	buffer_load_dword v3, off, s[0:3], 0 offset:404
	v_mov_b32_e32 v4, 0
	buffer_store_dword v4, off, s[0:3], 0 offset:400
	buffer_store_dword v4, off, s[0:3], 0 offset:404
	s_waitcnt vmcnt(2)
	ds_write_b64 v210, v[2:3]
.LBB61_285:
	s_or_b64 exec, exec, s[4:5]
	s_waitcnt lgkmcnt(0)
	; wave barrier
	s_waitcnt lgkmcnt(0)
	buffer_load_dword v3, off, s[0:3], 0 offset:412
	buffer_load_dword v44, off, s[0:3], 0 offset:420
	;; [unrolled: 1-line block ×24, first 2 shown]
	v_mov_b32_e32 v2, 0
	ds_read2_b64 v[4:7], v2 offset0:113 offset1:114
	ds_read2_b64 v[8:11], v2 offset0:115 offset1:116
	ds_read2_b64 v[12:15], v2 offset0:117 offset1:118
	ds_read2_b64 v[16:19], v2 offset0:119 offset1:120
	ds_read2_b64 v[20:23], v2 offset0:121 offset1:122
	ds_read_b64 v[42:43], v2 offset:984
	v_cmp_lt_u32_e32 vcc, 49, v0
	s_waitcnt vmcnt(23) lgkmcnt(5)
	v_mul_f32_e32 v57, v4, v3
	v_mul_f32_e32 v3, v5, v3
	s_waitcnt vmcnt(22)
	v_mul_f32_e32 v45, v6, v44
	s_waitcnt vmcnt(21) lgkmcnt(4)
	v_mul_f32_e32 v47, v8, v46
	v_mul_f32_e32 v44, v7, v44
	;; [unrolled: 1-line block ×3, first 2 shown]
	s_waitcnt vmcnt(20)
	v_mov_b32_e32 v48, v25
	s_waitcnt vmcnt(19)
	v_mov_b32_e32 v50, v27
	;; [unrolled: 2-line block ×5, first 2 shown]
	s_waitcnt vmcnt(12)
	v_fmac_f32_e32 v57, v5, v49
	v_fma_f32 v3, v4, v49, -v3
	v_mov_b32_e32 v58, v35
	s_waitcnt vmcnt(11)
	v_fmac_f32_e32 v45, v7, v51
	s_waitcnt vmcnt(10)
	v_fmac_f32_e32 v47, v9, v53
	v_fma_f32 v44, v6, v51, -v44
	v_fma_f32 v46, v8, v53, -v46
	v_pk_mul_f32 v[4:5], v[10:11], v[48:49] op_sel_hi:[1,0]
	s_waitcnt lgkmcnt(3)
	v_pk_mul_f32 v[6:7], v[12:13], v[50:51] op_sel_hi:[1,0]
	v_pk_mul_f32 v[8:9], v[14:15], v[52:53] op_sel_hi:[1,0]
	s_waitcnt lgkmcnt(2)
	v_pk_mul_f32 v[48:49], v[16:17], v[54:55] op_sel_hi:[1,0]
	v_pk_mul_f32 v[50:51], v[18:19], v[56:57] op_sel_hi:[1,0]
	v_add_f32_e32 v57, 0, v57
	v_add_f32_e32 v56, 0, v3
	s_waitcnt lgkmcnt(1)
	v_pk_mul_f32 v[52:53], v[20:21], v[58:59] op_sel_hi:[1,0]
	s_waitcnt vmcnt(9)
	v_pk_fma_f32 v[58:59], v[10:11], v[24:25], v[4:5] op_sel:[0,0,1] op_sel_hi:[1,1,0] neg_lo:[0,0,1] neg_hi:[0,0,1]
	v_pk_fma_f32 v[4:5], v[10:11], v[24:25], v[4:5] op_sel:[0,0,1] op_sel_hi:[1,0,0]
	s_waitcnt vmcnt(8)
	v_pk_fma_f32 v[10:11], v[12:13], v[26:27], v[6:7] op_sel:[0,0,1] op_sel_hi:[1,1,0] neg_lo:[0,0,1] neg_hi:[0,0,1]
	v_pk_fma_f32 v[6:7], v[12:13], v[26:27], v[6:7] op_sel:[0,0,1] op_sel_hi:[1,0,0]
	;; [unrolled: 3-line block ×4, first 2 shown]
	v_pk_add_f32 v[30:31], v[56:57], v[44:45]
	v_mov_b32_e32 v59, v5
	v_pk_add_f32 v[4:5], v[30:31], v[46:47]
	v_mov_b32_e32 v11, v7
	;; [unrolled: 2-line block ×4, first 2 shown]
	s_waitcnt vmcnt(2)
	v_pk_fma_f32 v[24:25], v[18:19], v[32:33], v[50:51] op_sel:[0,0,1] op_sel_hi:[1,1,0] neg_lo:[0,0,1] neg_hi:[0,0,1]
	v_pk_fma_f32 v[18:19], v[18:19], v[32:33], v[50:51] op_sel:[0,0,1] op_sel_hi:[1,0,0]
	v_mov_b32_e32 v15, v17
	v_pk_add_f32 v[4:5], v[4:5], v[12:13]
	v_mov_b32_e32 v62, v39
	v_pk_mul_f32 v[54:55], v[22:23], v[60:61] op_sel_hi:[1,0]
	v_pk_fma_f32 v[26:27], v[20:21], v[34:35], v[52:53] op_sel:[0,0,1] op_sel_hi:[1,1,0] neg_lo:[0,0,1] neg_hi:[0,0,1]
	v_pk_fma_f32 v[20:21], v[20:21], v[34:35], v[52:53] op_sel:[0,0,1] op_sel_hi:[1,0,0]
	v_mov_b32_e32 v25, v19
	v_pk_add_f32 v[4:5], v[4:5], v[14:15]
	v_pk_fma_f32 v[28:29], v[22:23], v[36:37], v[54:55] op_sel:[0,0,1] op_sel_hi:[1,1,0] neg_lo:[0,0,1] neg_hi:[0,0,1]
	v_pk_fma_f32 v[22:23], v[22:23], v[36:37], v[54:55] op_sel:[0,0,1] op_sel_hi:[1,0,0]
	v_mov_b32_e32 v27, v21
	v_pk_add_f32 v[4:5], v[4:5], v[24:25]
	s_waitcnt lgkmcnt(0)
	v_pk_mul_f32 v[6:7], v[42:43], v[62:63] op_sel_hi:[1,0]
	v_mov_b32_e32 v29, v23
	v_pk_add_f32 v[4:5], v[4:5], v[26:27]
	v_pk_fma_f32 v[8:9], v[42:43], v[38:39], v[6:7] op_sel:[0,0,1] op_sel_hi:[1,1,0] neg_lo:[0,0,1] neg_hi:[0,0,1]
	v_pk_fma_f32 v[6:7], v[42:43], v[38:39], v[6:7] op_sel:[0,0,1] op_sel_hi:[1,0,0]
	v_pk_add_f32 v[4:5], v[4:5], v[28:29]
	v_mov_b32_e32 v9, v7
	v_pk_add_f32 v[4:5], v[4:5], v[8:9]
	s_waitcnt vmcnt(0)
	v_pk_add_f32 v[4:5], v[40:41], v[4:5] neg_lo:[0,1] neg_hi:[0,1]
	buffer_store_dword v5, off, s[0:3], 0 offset:404
	buffer_store_dword v4, off, s[0:3], 0 offset:400
	s_and_saveexec_b64 s[4:5], vcc
	s_cbranch_execz .LBB61_287
; %bb.286:
	buffer_load_dword v4, off, s[0:3], 0 offset:392
	buffer_load_dword v5, off, s[0:3], 0 offset:396
	s_waitcnt vmcnt(0)
	ds_write_b64 v210, v[4:5]
	buffer_store_dword v2, off, s[0:3], 0 offset:392
	buffer_store_dword v2, off, s[0:3], 0 offset:396
.LBB61_287:
	s_or_b64 exec, exec, s[4:5]
	s_waitcnt lgkmcnt(0)
	; wave barrier
	s_waitcnt lgkmcnt(0)
	buffer_load_dword v46, off, s[0:3], 0 offset:404
	buffer_load_dword v48, off, s[0:3], 0 offset:412
	buffer_load_dword v49, off, s[0:3], 0 offset:420
	buffer_load_dword v50, off, s[0:3], 0 offset:428
	buffer_load_dword v29, off, s[0:3], 0 offset:436
	buffer_load_dword v31, off, s[0:3], 0 offset:444
	buffer_load_dword v33, off, s[0:3], 0 offset:452
	buffer_load_dword v35, off, s[0:3], 0 offset:460
	buffer_load_dword v37, off, s[0:3], 0 offset:468
	buffer_load_dword v39, off, s[0:3], 0 offset:476
	buffer_load_dword v51, off, s[0:3], 0 offset:400
	buffer_load_dword v53, off, s[0:3], 0 offset:408
	buffer_load_dword v55, off, s[0:3], 0 offset:416
	buffer_load_dword v57, off, s[0:3], 0 offset:424
	buffer_load_dword v28, off, s[0:3], 0 offset:432
	buffer_load_dword v30, off, s[0:3], 0 offset:440
	buffer_load_dword v32, off, s[0:3], 0 offset:448
	buffer_load_dword v40, off, s[0:3], 0 offset:480
	buffer_load_dword v38, off, s[0:3], 0 offset:472
	buffer_load_dword v36, off, s[0:3], 0 offset:464
	buffer_load_dword v34, off, s[0:3], 0 offset:456
	buffer_load_dword v41, off, s[0:3], 0 offset:484
	buffer_load_dword v43, off, s[0:3], 0 offset:492
	buffer_load_dword v42, off, s[0:3], 0 offset:488
	buffer_load_dword v44, off, s[0:3], 0 offset:392
	buffer_load_dword v45, off, s[0:3], 0 offset:396
	ds_read_b128 v[4:7], v2 offset:896
	ds_read_b128 v[8:11], v2 offset:912
	;; [unrolled: 1-line block ×6, first 2 shown]
	v_cmp_lt_u32_e32 vcc, 48, v0
	s_waitcnt vmcnt(25) lgkmcnt(5)
	v_mul_f32_e32 v59, v4, v46
	v_mul_f32_e32 v2, v5, v46
	s_waitcnt vmcnt(24)
	v_mul_f32_e32 v60, v6, v48
	s_waitcnt vmcnt(23) lgkmcnt(4)
	v_mul_f32_e32 v3, v8, v49
	s_waitcnt vmcnt(22)
	v_mul_f32_e32 v47, v10, v50
	v_mul_f32_e32 v46, v7, v48
	;; [unrolled: 1-line block ×4, first 2 shown]
	s_waitcnt vmcnt(21)
	v_mov_b32_e32 v48, v29
	s_waitcnt vmcnt(20)
	v_mov_b32_e32 v50, v31
	s_waitcnt vmcnt(18)
	v_mov_b32_e32 v54, v35
	s_waitcnt vmcnt(15)
	v_fmac_f32_e32 v59, v5, v51
	v_fma_f32 v62, v4, v51, -v2
	v_mov_b32_e32 v52, v33
	s_waitcnt vmcnt(14)
	v_fmac_f32_e32 v60, v7, v53
	s_waitcnt vmcnt(13)
	v_fmac_f32_e32 v3, v9, v55
	;; [unrolled: 2-line block ×3, first 2 shown]
	v_fma_f32 v63, v6, v53, -v46
	v_fma_f32 v2, v8, v55, -v49
	;; [unrolled: 1-line block ×3, first 2 shown]
	s_waitcnt lgkmcnt(3)
	v_pk_mul_f32 v[4:5], v[12:13], v[48:49] op_sel_hi:[1,0]
	v_pk_mul_f32 v[6:7], v[14:15], v[50:51] op_sel_hi:[1,0]
	s_waitcnt lgkmcnt(2)
	v_pk_mul_f32 v[10:11], v[18:19], v[54:55] op_sel_hi:[1,0]
	v_add_f32_e32 v54, 0, v59
	v_add_f32_e32 v55, 0, v62
	v_pk_mul_f32 v[8:9], v[16:17], v[52:53] op_sel_hi:[1,0]
	s_waitcnt vmcnt(11)
	v_pk_fma_f32 v[52:53], v[12:13], v[28:29], v[4:5] op_sel:[0,0,1] op_sel_hi:[1,1,0] neg_lo:[0,0,1] neg_hi:[0,0,1]
	v_pk_fma_f32 v[4:5], v[12:13], v[28:29], v[4:5] op_sel:[0,0,1] op_sel_hi:[1,0,0]
	s_waitcnt vmcnt(10)
	v_pk_fma_f32 v[12:13], v[14:15], v[30:31], v[6:7] op_sel:[0,0,1] op_sel_hi:[1,1,0] neg_lo:[0,0,1] neg_hi:[0,0,1]
	v_pk_fma_f32 v[6:7], v[14:15], v[30:31], v[6:7] op_sel:[0,0,1] op_sel_hi:[1,0,0]
	v_add_f32_e32 v31, v54, v60
	v_add_f32_e32 v30, v55, v63
	v_pk_add_f32 v[2:3], v[30:31], v[2:3]
	v_mov_b32_e32 v53, v5
	v_pk_add_f32 v[2:3], v[2:3], v[46:47]
	v_mov_b32_e32 v56, v37
	s_waitcnt vmcnt(9)
	v_pk_fma_f32 v[14:15], v[16:17], v[32:33], v[8:9] op_sel:[0,0,1] op_sel_hi:[1,1,0] neg_lo:[0,0,1] neg_hi:[0,0,1]
	v_pk_fma_f32 v[8:9], v[16:17], v[32:33], v[8:9] op_sel:[0,0,1] op_sel_hi:[1,0,0]
	v_mov_b32_e32 v13, v7
	v_pk_add_f32 v[2:3], v[2:3], v[52:53]
	v_mov_b32_e32 v58, v39
	s_waitcnt lgkmcnt(1)
	v_pk_mul_f32 v[48:49], v[20:21], v[56:57] op_sel_hi:[1,0]
	s_waitcnt vmcnt(5)
	v_pk_fma_f32 v[16:17], v[18:19], v[34:35], v[10:11] op_sel:[0,0,1] op_sel_hi:[1,1,0] neg_lo:[0,0,1] neg_hi:[0,0,1]
	v_pk_fma_f32 v[10:11], v[18:19], v[34:35], v[10:11] op_sel:[0,0,1] op_sel_hi:[1,0,0]
	v_mov_b32_e32 v15, v9
	v_pk_add_f32 v[2:3], v[2:3], v[12:13]
	s_waitcnt vmcnt(4)
	v_mov_b32_e32 v4, v41
	v_pk_mul_f32 v[50:51], v[22:23], v[58:59] op_sel_hi:[1,0]
	v_pk_fma_f32 v[18:19], v[20:21], v[36:37], v[48:49] op_sel:[0,0,1] op_sel_hi:[1,1,0] neg_lo:[0,0,1] neg_hi:[0,0,1]
	v_pk_fma_f32 v[20:21], v[20:21], v[36:37], v[48:49] op_sel:[0,0,1] op_sel_hi:[1,0,0]
	v_mov_b32_e32 v17, v11
	v_pk_add_f32 v[2:3], v[2:3], v[14:15]
	s_waitcnt lgkmcnt(0)
	v_pk_mul_f32 v[4:5], v[24:25], v[4:5] op_sel_hi:[1,0]
	v_pk_fma_f32 v[28:29], v[22:23], v[38:39], v[50:51] op_sel:[0,0,1] op_sel_hi:[1,1,0] neg_lo:[0,0,1] neg_hi:[0,0,1]
	v_pk_fma_f32 v[22:23], v[22:23], v[38:39], v[50:51] op_sel:[0,0,1] op_sel_hi:[1,0,0]
	v_mov_b32_e32 v19, v21
	v_pk_add_f32 v[2:3], v[2:3], v[16:17]
	v_pk_fma_f32 v[6:7], v[24:25], v[40:41], v[4:5] op_sel:[0,0,1] op_sel_hi:[1,1,0] neg_lo:[0,0,1] neg_hi:[0,0,1]
	v_pk_fma_f32 v[4:5], v[24:25], v[40:41], v[4:5] op_sel:[0,0,1] op_sel_hi:[1,0,0]
	v_mov_b32_e32 v29, v23
	v_pk_add_f32 v[2:3], v[2:3], v[18:19]
	s_waitcnt vmcnt(3)
	v_mov_b32_e32 v4, v43
	v_pk_add_f32 v[2:3], v[2:3], v[28:29]
	v_mov_b32_e32 v7, v5
	v_pk_mul_f32 v[4:5], v[26:27], v[4:5] op_sel_hi:[1,0]
	v_pk_add_f32 v[2:3], v[2:3], v[6:7]
	s_waitcnt vmcnt(2)
	v_pk_fma_f32 v[6:7], v[26:27], v[42:43], v[4:5] op_sel:[0,0,1] op_sel_hi:[1,1,0] neg_lo:[0,0,1] neg_hi:[0,0,1]
	v_pk_fma_f32 v[4:5], v[26:27], v[42:43], v[4:5] op_sel:[0,0,1] op_sel_hi:[1,0,0]
	v_mov_b32_e32 v7, v5
	v_pk_add_f32 v[2:3], v[2:3], v[6:7]
	s_waitcnt vmcnt(0)
	v_pk_add_f32 v[2:3], v[44:45], v[2:3] neg_lo:[0,1] neg_hi:[0,1]
	buffer_store_dword v3, off, s[0:3], 0 offset:396
	buffer_store_dword v2, off, s[0:3], 0 offset:392
	s_and_saveexec_b64 s[4:5], vcc
	s_cbranch_execz .LBB61_289
; %bb.288:
	buffer_load_dword v2, off, s[0:3], 0 offset:384
	buffer_load_dword v3, off, s[0:3], 0 offset:388
	v_mov_b32_e32 v4, 0
	buffer_store_dword v4, off, s[0:3], 0 offset:384
	buffer_store_dword v4, off, s[0:3], 0 offset:388
	s_waitcnt vmcnt(2)
	ds_write_b64 v210, v[2:3]
.LBB61_289:
	s_or_b64 exec, exec, s[4:5]
	s_waitcnt lgkmcnt(0)
	; wave barrier
	s_waitcnt lgkmcnt(0)
	buffer_load_dword v3, off, s[0:3], 0 offset:396
	buffer_load_dword v48, off, s[0:3], 0 offset:404
	;; [unrolled: 1-line block ×28, first 2 shown]
	v_mov_b32_e32 v2, 0
	ds_read2_b64 v[4:7], v2 offset0:111 offset1:112
	ds_read2_b64 v[8:11], v2 offset0:113 offset1:114
	;; [unrolled: 1-line block ×6, first 2 shown]
	ds_read_b64 v[46:47], v2 offset:984
	v_cmp_lt_u32_e32 vcc, 47, v0
	s_waitcnt vmcnt(27) lgkmcnt(6)
	v_mul_f32_e32 v63, v4, v3
	v_mul_f32_e32 v3, v5, v3
	s_waitcnt vmcnt(26)
	v_mul_f32_e32 v64, v6, v48
	s_waitcnt vmcnt(24) lgkmcnt(5)
	v_mul_f32_e32 v49, v10, v52
	s_waitcnt vmcnt(23) lgkmcnt(4)
	v_mul_f32_e32 v51, v12, v53
	v_mul_f32_e32 v66, v11, v52
	;; [unrolled: 1-line block ×3, first 2 shown]
	s_waitcnt vmcnt(22)
	v_mov_b32_e32 v52, v29
	v_mul_f32_e32 v65, v8, v50
	v_mul_f32_e32 v48, v7, v48
	;; [unrolled: 1-line block ×3, first 2 shown]
	s_waitcnt vmcnt(17)
	v_fmac_f32_e32 v63, v5, v55
	v_fma_f32 v3, v4, v55, -v3
	v_pk_mul_f32 v[4:5], v[14:15], v[52:53] op_sel_hi:[1,0]
	s_waitcnt vmcnt(16)
	v_fmac_f32_e32 v64, v7, v57
	s_waitcnt vmcnt(13)
	v_fmac_f32_e32 v51, v13, v62
	v_fma_f32 v55, v6, v57, -v48
	v_fma_f32 v57, v8, v59, -v50
	;; [unrolled: 1-line block ×3, first 2 shown]
	v_add_f32_e32 v52, 0, v63
	v_add_f32_e32 v3, 0, v3
	s_waitcnt vmcnt(12)
	v_pk_fma_f32 v[12:13], v[14:15], v[28:29], v[4:5] op_sel:[0,0,1] op_sel_hi:[1,1,0] neg_lo:[0,0,1] neg_hi:[0,0,1]
	v_pk_fma_f32 v[4:5], v[14:15], v[28:29], v[4:5] op_sel:[0,0,1] op_sel_hi:[1,0,0]
	v_fmac_f32_e32 v65, v9, v59
	v_add_f32_e32 v4, v52, v64
	v_add_f32_e32 v3, v3, v55
	v_mov_b32_e32 v54, v31
	v_fmac_f32_e32 v49, v11, v61
	v_fma_f32 v48, v10, v61, -v66
	v_mov_b32_e32 v13, v5
	v_add_f32_e32 v5, v4, v65
	v_add_f32_e32 v4, v3, v57
	v_mov_b32_e32 v56, v33
	s_waitcnt lgkmcnt(3)
	v_pk_mul_f32 v[6:7], v[16:17], v[54:55] op_sel_hi:[1,0]
	v_pk_add_f32 v[4:5], v[4:5], v[48:49]
	v_mov_b32_e32 v58, v35
	v_mov_b32_e32 v60, v37
	v_pk_mul_f32 v[8:9], v[18:19], v[56:57] op_sel_hi:[1,0]
	s_waitcnt vmcnt(11)
	v_pk_fma_f32 v[14:15], v[16:17], v[30:31], v[6:7] op_sel:[0,0,1] op_sel_hi:[1,1,0] neg_lo:[0,0,1] neg_hi:[0,0,1]
	v_pk_fma_f32 v[6:7], v[16:17], v[30:31], v[6:7] op_sel:[0,0,1] op_sel_hi:[1,0,0]
	v_pk_add_f32 v[4:5], v[4:5], v[50:51]
	s_waitcnt lgkmcnt(2)
	v_pk_mul_f32 v[10:11], v[20:21], v[58:59] op_sel_hi:[1,0]
	s_waitcnt vmcnt(7)
	v_pk_fma_f32 v[16:17], v[18:19], v[32:33], v[8:9] op_sel:[0,0,1] op_sel_hi:[1,1,0] neg_lo:[0,0,1] neg_hi:[0,0,1]
	v_pk_fma_f32 v[8:9], v[18:19], v[32:33], v[8:9] op_sel:[0,0,1] op_sel_hi:[1,0,0]
	v_mov_b32_e32 v15, v7
	v_pk_add_f32 v[4:5], v[4:5], v[12:13]
	v_pk_mul_f32 v[6:7], v[22:23], v[60:61] op_sel_hi:[1,0]
	v_pk_fma_f32 v[18:19], v[20:21], v[34:35], v[10:11] op_sel:[0,0,1] op_sel_hi:[1,1,0] neg_lo:[0,0,1] neg_hi:[0,0,1]
	v_pk_fma_f32 v[10:11], v[20:21], v[34:35], v[10:11] op_sel:[0,0,1] op_sel_hi:[1,0,0]
	v_mov_b32_e32 v17, v9
	v_pk_add_f32 v[4:5], v[4:5], v[14:15]
	v_pk_fma_f32 v[8:9], v[22:23], v[36:37], v[6:7] op_sel:[0,0,1] op_sel_hi:[1,1,0] neg_lo:[0,0,1] neg_hi:[0,0,1]
	v_pk_fma_f32 v[6:7], v[22:23], v[36:37], v[6:7] op_sel:[0,0,1] op_sel_hi:[1,0,0]
	v_mov_b32_e32 v19, v11
	v_pk_add_f32 v[4:5], v[4:5], v[16:17]
	s_waitcnt vmcnt(6)
	v_mov_b32_e32 v6, v39
	v_pk_add_f32 v[4:5], v[4:5], v[18:19]
	v_mov_b32_e32 v9, v7
	s_waitcnt lgkmcnt(1)
	v_pk_mul_f32 v[6:7], v[24:25], v[6:7] op_sel_hi:[1,0]
	v_pk_add_f32 v[4:5], v[4:5], v[8:9]
	v_pk_fma_f32 v[8:9], v[24:25], v[38:39], v[6:7] op_sel:[0,0,1] op_sel_hi:[1,1,0] neg_lo:[0,0,1] neg_hi:[0,0,1]
	v_pk_fma_f32 v[6:7], v[24:25], v[38:39], v[6:7] op_sel:[0,0,1] op_sel_hi:[1,0,0]
	s_waitcnt vmcnt(5)
	v_mov_b32_e32 v6, v41
	v_mov_b32_e32 v9, v7
	v_pk_mul_f32 v[6:7], v[26:27], v[6:7] op_sel_hi:[1,0]
	v_pk_add_f32 v[4:5], v[4:5], v[8:9]
	s_waitcnt vmcnt(3)
	v_pk_fma_f32 v[8:9], v[26:27], v[40:41], v[6:7] op_sel:[0,0,1] op_sel_hi:[1,1,0] neg_lo:[0,0,1] neg_hi:[0,0,1]
	v_pk_fma_f32 v[6:7], v[26:27], v[40:41], v[6:7] op_sel:[0,0,1] op_sel_hi:[1,0,0]
	s_waitcnt vmcnt(2)
	v_mov_b32_e32 v6, v43
	v_mov_b32_e32 v9, v7
	s_waitcnt lgkmcnt(0)
	v_pk_mul_f32 v[6:7], v[46:47], v[6:7] op_sel_hi:[1,0]
	v_pk_add_f32 v[4:5], v[4:5], v[8:9]
	v_pk_fma_f32 v[8:9], v[46:47], v[42:43], v[6:7] op_sel:[0,0,1] op_sel_hi:[1,1,0] neg_lo:[0,0,1] neg_hi:[0,0,1]
	v_pk_fma_f32 v[6:7], v[46:47], v[42:43], v[6:7] op_sel:[0,0,1] op_sel_hi:[1,0,0]
	v_mov_b32_e32 v9, v7
	v_pk_add_f32 v[4:5], v[4:5], v[8:9]
	s_waitcnt vmcnt(0)
	v_pk_add_f32 v[4:5], v[44:45], v[4:5] neg_lo:[0,1] neg_hi:[0,1]
	buffer_store_dword v5, off, s[0:3], 0 offset:388
	buffer_store_dword v4, off, s[0:3], 0 offset:384
	s_and_saveexec_b64 s[4:5], vcc
	s_cbranch_execz .LBB61_291
; %bb.290:
	buffer_load_dword v4, off, s[0:3], 0 offset:376
	buffer_load_dword v5, off, s[0:3], 0 offset:380
	s_waitcnt vmcnt(0)
	ds_write_b64 v210, v[4:5]
	buffer_store_dword v2, off, s[0:3], 0 offset:376
	buffer_store_dword v2, off, s[0:3], 0 offset:380
.LBB61_291:
	s_or_b64 exec, exec, s[4:5]
	s_waitcnt lgkmcnt(0)
	; wave barrier
	s_waitcnt lgkmcnt(0)
	buffer_load_dword v50, off, s[0:3], 0 offset:388
	buffer_load_dword v52, off, s[0:3], 0 offset:396
	;; [unrolled: 1-line block ×30, first 2 shown]
	ds_read_b128 v[4:7], v2 offset:880
	ds_read_b128 v[8:11], v2 offset:896
	;; [unrolled: 1-line block ×7, first 2 shown]
	v_cmp_lt_u32_e32 vcc, 46, v0
	s_waitcnt vmcnt(29) lgkmcnt(6)
	v_mul_f32_e32 v63, v4, v50
	s_waitcnt vmcnt(28)
	v_mul_f32_e32 v64, v6, v52
	s_waitcnt vmcnt(27) lgkmcnt(5)
	v_mul_f32_e32 v65, v8, v53
	v_mul_f32_e32 v53, v9, v53
	s_waitcnt vmcnt(26)
	v_mul_f32_e32 v66, v10, v54
	s_waitcnt vmcnt(25) lgkmcnt(4)
	v_mul_f32_e32 v3, v12, v55
	v_mul_f32_e32 v2, v5, v50
	v_mul_f32_e32 v50, v7, v52
	v_mul_f32_e32 v67, v11, v54
	v_mul_f32_e32 v55, v13, v55
	s_waitcnt vmcnt(23)
	v_mov_b32_e32 v52, v33
	s_waitcnt vmcnt(22)
	v_mov_b32_e32 v54, v35
	s_waitcnt vmcnt(18)
	v_fma_f32 v53, v8, v59, -v53
	v_fmac_f32_e32 v63, v5, v57
	v_fmac_f32_e32 v64, v7, v58
	s_waitcnt vmcnt(17)
	v_fmac_f32_e32 v66, v11, v60
	v_fma_f32 v11, v4, v57, -v2
	v_fma_f32 v57, v6, v58, -v50
	s_waitcnt lgkmcnt(3)
	v_pk_mul_f32 v[4:5], v[16:17], v[52:53] op_sel_hi:[1,0]
	v_pk_mul_f32 v[6:7], v[18:19], v[54:55] op_sel_hi:[1,0]
	s_waitcnt vmcnt(16)
	v_fmac_f32_e32 v3, v13, v61
	v_fma_f32 v58, v10, v60, -v67
	v_fma_f32 v2, v12, v61, -v55
	v_add_f32_e32 v52, 0, v63
	v_add_f32_e32 v54, 0, v11
	s_waitcnt vmcnt(14)
	v_pk_fma_f32 v[10:11], v[16:17], v[32:33], v[4:5] op_sel:[0,0,1] op_sel_hi:[1,1,0] neg_lo:[0,0,1] neg_hi:[0,0,1]
	v_pk_fma_f32 v[4:5], v[16:17], v[32:33], v[4:5] op_sel:[0,0,1] op_sel_hi:[1,0,0]
	s_waitcnt vmcnt(10)
	v_pk_fma_f32 v[12:13], v[18:19], v[34:35], v[6:7] op_sel:[0,0,1] op_sel_hi:[1,1,0] neg_lo:[0,0,1] neg_hi:[0,0,1]
	v_pk_fma_f32 v[6:7], v[18:19], v[34:35], v[6:7] op_sel:[0,0,1] op_sel_hi:[1,0,0]
	v_fmac_f32_e32 v65, v9, v59
	v_add_f32_e32 v4, v52, v64
	v_add_f32_e32 v6, v54, v57
	;; [unrolled: 1-line block ×4, first 2 shown]
	v_mul_f32_e32 v51, v14, v56
	v_mul_f32_e32 v68, v15, v56
	v_mov_b32_e32 v11, v5
	v_add_f32_e32 v5, v4, v66
	v_add_f32_e32 v4, v6, v58
	v_mov_b32_e32 v56, v37
	v_fmac_f32_e32 v51, v15, v62
	v_fma_f32 v50, v14, v62, -v68
	v_pk_add_f32 v[2:3], v[4:5], v[2:3]
	s_waitcnt vmcnt(9)
	v_mov_b32_e32 v4, v41
	s_waitcnt lgkmcnt(2)
	v_pk_mul_f32 v[8:9], v[20:21], v[56:57] op_sel_hi:[1,0]
	v_pk_add_f32 v[2:3], v[2:3], v[50:51]
	v_pk_mul_f32 v[4:5], v[22:23], v[4:5] op_sel_hi:[1,0]
	v_pk_fma_f32 v[14:15], v[20:21], v[36:37], v[8:9] op_sel:[0,0,1] op_sel_hi:[1,1,0] neg_lo:[0,0,1] neg_hi:[0,0,1]
	v_pk_fma_f32 v[8:9], v[20:21], v[36:37], v[8:9] op_sel:[0,0,1] op_sel_hi:[1,0,0]
	v_mov_b32_e32 v13, v7
	v_pk_add_f32 v[2:3], v[2:3], v[10:11]
	v_pk_fma_f32 v[6:7], v[22:23], v[40:41], v[4:5] op_sel:[0,0,1] op_sel_hi:[1,1,0] neg_lo:[0,0,1] neg_hi:[0,0,1]
	v_pk_fma_f32 v[4:5], v[22:23], v[40:41], v[4:5] op_sel:[0,0,1] op_sel_hi:[1,0,0]
	v_mov_b32_e32 v15, v9
	v_pk_add_f32 v[2:3], v[2:3], v[12:13]
	s_waitcnt vmcnt(8)
	v_mov_b32_e32 v4, v39
	v_pk_add_f32 v[2:3], v[2:3], v[14:15]
	v_mov_b32_e32 v7, v5
	s_waitcnt lgkmcnt(1)
	v_pk_mul_f32 v[4:5], v[24:25], v[4:5] op_sel_hi:[1,0]
	v_pk_add_f32 v[2:3], v[2:3], v[6:7]
	v_pk_fma_f32 v[6:7], v[24:25], v[38:39], v[4:5] op_sel:[0,0,1] op_sel_hi:[1,1,0] neg_lo:[0,0,1] neg_hi:[0,0,1]
	v_pk_fma_f32 v[4:5], v[24:25], v[38:39], v[4:5] op_sel:[0,0,1] op_sel_hi:[1,0,0]
	s_waitcnt vmcnt(7)
	v_mov_b32_e32 v4, v43
	v_mov_b32_e32 v7, v5
	v_pk_mul_f32 v[4:5], v[26:27], v[4:5] op_sel_hi:[1,0]
	v_pk_add_f32 v[2:3], v[2:3], v[6:7]
	s_waitcnt vmcnt(4)
	v_pk_fma_f32 v[6:7], v[26:27], v[42:43], v[4:5] op_sel:[0,0,1] op_sel_hi:[1,1,0] neg_lo:[0,0,1] neg_hi:[0,0,1]
	v_pk_fma_f32 v[4:5], v[26:27], v[42:43], v[4:5] op_sel:[0,0,1] op_sel_hi:[1,0,0]
	s_waitcnt vmcnt(3)
	v_mov_b32_e32 v4, v47
	v_mov_b32_e32 v7, v5
	s_waitcnt lgkmcnt(0)
	v_pk_mul_f32 v[4:5], v[28:29], v[4:5] op_sel_hi:[1,0]
	v_pk_add_f32 v[2:3], v[2:3], v[6:7]
	v_pk_fma_f32 v[6:7], v[28:29], v[46:47], v[4:5] op_sel:[0,0,1] op_sel_hi:[1,1,0] neg_lo:[0,0,1] neg_hi:[0,0,1]
	v_pk_fma_f32 v[4:5], v[28:29], v[46:47], v[4:5] op_sel:[0,0,1] op_sel_hi:[1,0,0]
	s_waitcnt vmcnt(0)
	v_mov_b32_e32 v4, v45
	v_mov_b32_e32 v7, v5
	v_pk_mul_f32 v[4:5], v[30:31], v[4:5] op_sel_hi:[1,0]
	v_pk_add_f32 v[2:3], v[2:3], v[6:7]
	v_pk_fma_f32 v[6:7], v[30:31], v[44:45], v[4:5] op_sel:[0,0,1] op_sel_hi:[1,1,0] neg_lo:[0,0,1] neg_hi:[0,0,1]
	v_pk_fma_f32 v[4:5], v[30:31], v[44:45], v[4:5] op_sel:[0,0,1] op_sel_hi:[1,0,0]
	v_mov_b32_e32 v7, v5
	v_pk_add_f32 v[2:3], v[2:3], v[6:7]
	v_pk_add_f32 v[2:3], v[48:49], v[2:3] neg_lo:[0,1] neg_hi:[0,1]
	buffer_store_dword v3, off, s[0:3], 0 offset:380
	buffer_store_dword v2, off, s[0:3], 0 offset:376
	s_and_saveexec_b64 s[4:5], vcc
	s_cbranch_execz .LBB61_293
; %bb.292:
	buffer_load_dword v2, off, s[0:3], 0 offset:368
	buffer_load_dword v3, off, s[0:3], 0 offset:372
	v_mov_b32_e32 v4, 0
	buffer_store_dword v4, off, s[0:3], 0 offset:368
	buffer_store_dword v4, off, s[0:3], 0 offset:372
	s_waitcnt vmcnt(2)
	ds_write_b64 v210, v[2:3]
.LBB61_293:
	s_or_b64 exec, exec, s[4:5]
	s_waitcnt lgkmcnt(0)
	; wave barrier
	s_waitcnt lgkmcnt(0)
	buffer_load_dword v3, off, s[0:3], 0 offset:380
	buffer_load_dword v52, off, s[0:3], 0 offset:388
	;; [unrolled: 1-line block ×32, first 2 shown]
	v_mov_b32_e32 v2, 0
	ds_read2_b64 v[4:7], v2 offset0:109 offset1:110
	ds_read2_b64 v[8:11], v2 offset0:111 offset1:112
	;; [unrolled: 1-line block ×7, first 2 shown]
	ds_read_b64 v[50:51], v2 offset:984
	v_cmp_lt_u32_e32 vcc, 45, v0
	s_waitcnt vmcnt(31) lgkmcnt(7)
	v_mul_f32_e32 v67, v4, v3
	v_mul_f32_e32 v3, v5, v3
	s_waitcnt vmcnt(30)
	v_mul_f32_e32 v68, v6, v52
	s_waitcnt vmcnt(28) lgkmcnt(6)
	v_mul_f32_e32 v70, v10, v56
	s_waitcnt vmcnt(27) lgkmcnt(5)
	v_mul_f32_e32 v71, v12, v57
	v_mul_f32_e32 v72, v11, v56
	;; [unrolled: 1-line block ×3, first 2 shown]
	s_waitcnt vmcnt(24)
	v_mov_b32_e32 v56, v33
	v_mul_f32_e32 v69, v8, v54
	v_mul_f32_e32 v52, v7, v52
	s_waitcnt vmcnt(22)
	v_fmac_f32_e32 v67, v5, v60
	v_fma_f32 v3, v4, v60, -v3
	s_waitcnt lgkmcnt(4)
	v_pk_mul_f32 v[4:5], v[18:19], v[56:57] op_sel_hi:[1,0]
	v_mul_f32_e32 v54, v9, v54
	s_waitcnt vmcnt(21)
	v_fmac_f32_e32 v68, v7, v61
	s_waitcnt vmcnt(20)
	v_fmac_f32_e32 v69, v9, v62
	;; [unrolled: 2-line block ×3, first 2 shown]
	v_fma_f32 v9, v6, v61, -v52
	s_waitcnt vmcnt(18)
	v_fma_f32 v11, v12, v64, -v57
	v_add_f32_e32 v12, 0, v67
	v_add_f32_e32 v3, 0, v3
	s_waitcnt vmcnt(12)
	v_pk_fma_f32 v[6:7], v[18:19], v[32:33], v[4:5] op_sel:[0,0,1] op_sel_hi:[1,1,0] neg_lo:[0,0,1] neg_hi:[0,0,1]
	v_pk_fma_f32 v[4:5], v[18:19], v[32:33], v[4:5] op_sel:[0,0,1] op_sel_hi:[1,0,0]
	v_fma_f32 v8, v8, v62, -v54
	v_add_f32_e32 v4, v12, v68
	v_add_f32_e32 v3, v3, v9
	v_fma_f32 v10, v10, v63, -v72
	v_add_f32_e32 v4, v4, v69
	v_add_f32_e32 v3, v3, v8
	v_mul_f32_e32 v53, v14, v58
	v_mul_f32_e32 v73, v15, v58
	v_fmac_f32_e32 v71, v13, v64
	v_add_f32_e32 v4, v4, v70
	v_add_f32_e32 v3, v3, v10
	v_mul_f32_e32 v55, v16, v59
	v_mul_f32_e32 v59, v17, v59
	v_fmac_f32_e32 v53, v15, v65
	v_fma_f32 v52, v14, v65, -v73
	v_mov_b32_e32 v7, v5
	v_add_f32_e32 v5, v4, v71
	v_add_f32_e32 v4, v3, v11
	v_fmac_f32_e32 v55, v17, v66
	v_fma_f32 v54, v16, v66, -v59
	v_pk_add_f32 v[4:5], v[4:5], v[52:53]
	v_mov_b32_e32 v58, v35
	v_pk_add_f32 v[4:5], v[4:5], v[54:55]
	v_pk_add_f32 v[4:5], v[4:5], v[6:7]
	s_waitcnt lgkmcnt(3)
	v_pk_mul_f32 v[6:7], v[20:21], v[58:59] op_sel_hi:[1,0]
	v_pk_fma_f32 v[8:9], v[20:21], v[34:35], v[6:7] op_sel:[0,0,1] op_sel_hi:[1,1,0] neg_lo:[0,0,1] neg_hi:[0,0,1]
	v_pk_fma_f32 v[6:7], v[20:21], v[34:35], v[6:7] op_sel:[0,0,1] op_sel_hi:[1,0,0]
	s_waitcnt vmcnt(11)
	v_mov_b32_e32 v6, v39
	v_mov_b32_e32 v9, v7
	v_pk_mul_f32 v[6:7], v[22:23], v[6:7] op_sel_hi:[1,0]
	v_pk_add_f32 v[4:5], v[4:5], v[8:9]
	v_pk_fma_f32 v[8:9], v[22:23], v[38:39], v[6:7] op_sel:[0,0,1] op_sel_hi:[1,1,0] neg_lo:[0,0,1] neg_hi:[0,0,1]
	v_pk_fma_f32 v[6:7], v[22:23], v[38:39], v[6:7] op_sel:[0,0,1] op_sel_hi:[1,0,0]
	s_waitcnt vmcnt(10)
	v_mov_b32_e32 v6, v37
	v_mov_b32_e32 v9, v7
	s_waitcnt lgkmcnt(2)
	v_pk_mul_f32 v[6:7], v[24:25], v[6:7] op_sel_hi:[1,0]
	v_pk_add_f32 v[4:5], v[4:5], v[8:9]
	v_pk_fma_f32 v[8:9], v[24:25], v[36:37], v[6:7] op_sel:[0,0,1] op_sel_hi:[1,1,0] neg_lo:[0,0,1] neg_hi:[0,0,1]
	v_pk_fma_f32 v[6:7], v[24:25], v[36:37], v[6:7] op_sel:[0,0,1] op_sel_hi:[1,0,0]
	s_waitcnt vmcnt(9)
	v_mov_b32_e32 v6, v41
	v_mov_b32_e32 v9, v7
	v_pk_mul_f32 v[6:7], v[26:27], v[6:7] op_sel_hi:[1,0]
	v_pk_add_f32 v[4:5], v[4:5], v[8:9]
	s_waitcnt vmcnt(4)
	v_pk_fma_f32 v[8:9], v[26:27], v[40:41], v[6:7] op_sel:[0,0,1] op_sel_hi:[1,1,0] neg_lo:[0,0,1] neg_hi:[0,0,1]
	v_pk_fma_f32 v[6:7], v[26:27], v[40:41], v[6:7] op_sel:[0,0,1] op_sel_hi:[1,0,0]
	v_mov_b32_e32 v6, v47
	v_mov_b32_e32 v9, v7
	s_waitcnt lgkmcnt(1)
	v_pk_mul_f32 v[6:7], v[28:29], v[6:7] op_sel_hi:[1,0]
	v_pk_add_f32 v[4:5], v[4:5], v[8:9]
	v_pk_fma_f32 v[8:9], v[28:29], v[46:47], v[6:7] op_sel:[0,0,1] op_sel_hi:[1,1,0] neg_lo:[0,0,1] neg_hi:[0,0,1]
	v_pk_fma_f32 v[6:7], v[28:29], v[46:47], v[6:7] op_sel:[0,0,1] op_sel_hi:[1,0,0]
	s_waitcnt vmcnt(3)
	v_mov_b32_e32 v6, v45
	v_mov_b32_e32 v9, v7
	v_pk_mul_f32 v[6:7], v[30:31], v[6:7] op_sel_hi:[1,0]
	v_pk_add_f32 v[4:5], v[4:5], v[8:9]
	v_pk_fma_f32 v[8:9], v[30:31], v[44:45], v[6:7] op_sel:[0,0,1] op_sel_hi:[1,1,0] neg_lo:[0,0,1] neg_hi:[0,0,1]
	v_pk_fma_f32 v[6:7], v[30:31], v[44:45], v[6:7] op_sel:[0,0,1] op_sel_hi:[1,0,0]
	s_waitcnt vmcnt(0)
	v_mov_b32_e32 v6, v43
	v_mov_b32_e32 v9, v7
	s_waitcnt lgkmcnt(0)
	v_pk_mul_f32 v[6:7], v[50:51], v[6:7] op_sel_hi:[1,0]
	v_pk_add_f32 v[4:5], v[4:5], v[8:9]
	v_pk_fma_f32 v[8:9], v[50:51], v[42:43], v[6:7] op_sel:[0,0,1] op_sel_hi:[1,1,0] neg_lo:[0,0,1] neg_hi:[0,0,1]
	v_pk_fma_f32 v[6:7], v[50:51], v[42:43], v[6:7] op_sel:[0,0,1] op_sel_hi:[1,0,0]
	v_mov_b32_e32 v9, v7
	v_pk_add_f32 v[4:5], v[4:5], v[8:9]
	v_pk_add_f32 v[4:5], v[48:49], v[4:5] neg_lo:[0,1] neg_hi:[0,1]
	buffer_store_dword v5, off, s[0:3], 0 offset:372
	buffer_store_dword v4, off, s[0:3], 0 offset:368
	s_and_saveexec_b64 s[4:5], vcc
	s_cbranch_execz .LBB61_295
; %bb.294:
	buffer_load_dword v4, off, s[0:3], 0 offset:360
	buffer_load_dword v5, off, s[0:3], 0 offset:364
	s_waitcnt vmcnt(0)
	ds_write_b64 v210, v[4:5]
	buffer_store_dword v2, off, s[0:3], 0 offset:360
	buffer_store_dword v2, off, s[0:3], 0 offset:364
.LBB61_295:
	s_or_b64 exec, exec, s[4:5]
	s_waitcnt lgkmcnt(0)
	; wave barrier
	s_waitcnt lgkmcnt(0)
	buffer_load_dword v54, off, s[0:3], 0 offset:372
	buffer_load_dword v56, off, s[0:3], 0 offset:380
	;; [unrolled: 1-line block ×32, first 2 shown]
	ds_read_b128 v[4:7], v2 offset:864
	ds_read_b128 v[8:11], v2 offset:880
	;; [unrolled: 1-line block ×4, first 2 shown]
	buffer_load_dword v53, off, s[0:3], 0 offset:492
	buffer_load_dword v52, off, s[0:3], 0 offset:488
	ds_read_b128 v[20:23], v2 offset:928
	ds_read_b128 v[24:27], v2 offset:944
	ds_read_b128 v[28:31], v2 offset:960
	ds_read_b128 v[32:35], v2 offset:976
	v_cmp_lt_u32_e32 vcc, 44, v0
	s_waitcnt vmcnt(33) lgkmcnt(7)
	v_mul_f32_e32 v71, v4, v54
	v_mul_f32_e32 v2, v5, v54
	s_waitcnt vmcnt(32)
	v_mul_f32_e32 v72, v6, v56
	s_waitcnt vmcnt(31) lgkmcnt(6)
	v_mul_f32_e32 v73, v8, v57
	v_mul_f32_e32 v54, v7, v56
	;; [unrolled: 1-line block ×3, first 2 shown]
	s_waitcnt vmcnt(30)
	v_mul_f32_e32 v57, v11, v58
	v_mul_f32_e32 v74, v10, v58
	s_waitcnt vmcnt(25)
	v_fmac_f32_e32 v71, v5, v63
	v_fma_f32 v4, v4, v63, -v2
	s_waitcnt vmcnt(24)
	v_fmac_f32_e32 v72, v7, v64
	v_fma_f32 v5, v6, v64, -v54
	s_waitcnt vmcnt(22)
	v_fma_f32 v7, v10, v66, -v57
	v_add_f32_e32 v10, 0, v71
	v_add_f32_e32 v4, 0, v4
	v_fmac_f32_e32 v73, v9, v65
	v_fma_f32 v6, v8, v65, -v56
	v_add_f32_e32 v10, v10, v72
	v_add_f32_e32 v4, v4, v5
	s_waitcnt lgkmcnt(5)
	v_mul_f32_e32 v75, v12, v59
	v_mul_f32_e32 v58, v13, v59
	v_fmac_f32_e32 v74, v11, v66
	v_add_f32_e32 v5, v10, v73
	v_add_f32_e32 v4, v4, v6
	v_mul_f32_e32 v76, v14, v60
	v_mul_f32_e32 v59, v15, v60
	s_waitcnt vmcnt(21)
	v_fmac_f32_e32 v75, v13, v67
	v_fma_f32 v8, v12, v67, -v58
	v_add_f32_e32 v5, v5, v74
	v_add_f32_e32 v4, v4, v7
	s_waitcnt lgkmcnt(4)
	v_mul_f32_e32 v3, v16, v61
	v_mul_f32_e32 v60, v17, v61
	s_waitcnt vmcnt(20)
	v_fmac_f32_e32 v76, v15, v68
	v_fma_f32 v9, v14, v68, -v59
	v_add_f32_e32 v5, v5, v75
	v_add_f32_e32 v4, v4, v8
	s_waitcnt vmcnt(19)
	v_fmac_f32_e32 v3, v17, v69
	v_fma_f32 v2, v16, v69, -v60
	v_add_f32_e32 v5, v5, v76
	v_add_f32_e32 v4, v4, v9
	v_pk_add_f32 v[2:3], v[4:5], v[2:3]
	s_waitcnt vmcnt(17)
	v_mov_b32_e32 v4, v37
	s_waitcnt lgkmcnt(3)
	v_pk_mul_f32 v[4:5], v[20:21], v[4:5] op_sel_hi:[1,0]
	v_mul_f32_e32 v55, v18, v62
	v_mul_f32_e32 v61, v19, v62
	s_waitcnt vmcnt(14)
	v_pk_fma_f32 v[6:7], v[20:21], v[36:37], v[4:5] op_sel:[0,0,1] op_sel_hi:[1,1,0] neg_lo:[0,0,1] neg_hi:[0,0,1]
	v_pk_fma_f32 v[4:5], v[20:21], v[36:37], v[4:5] op_sel:[0,0,1] op_sel_hi:[1,0,0]
	v_fmac_f32_e32 v55, v19, v70
	v_fma_f32 v54, v18, v70, -v61
	s_waitcnt vmcnt(13)
	v_mov_b32_e32 v4, v41
	v_pk_add_f32 v[2:3], v[2:3], v[54:55]
	v_mov_b32_e32 v7, v5
	v_pk_mul_f32 v[4:5], v[22:23], v[4:5] op_sel_hi:[1,0]
	v_pk_add_f32 v[2:3], v[2:3], v[6:7]
	v_pk_fma_f32 v[6:7], v[22:23], v[40:41], v[4:5] op_sel:[0,0,1] op_sel_hi:[1,1,0] neg_lo:[0,0,1] neg_hi:[0,0,1]
	v_pk_fma_f32 v[4:5], v[22:23], v[40:41], v[4:5] op_sel:[0,0,1] op_sel_hi:[1,0,0]
	s_waitcnt vmcnt(12)
	v_mov_b32_e32 v4, v39
	v_mov_b32_e32 v7, v5
	s_waitcnt lgkmcnt(2)
	v_pk_mul_f32 v[4:5], v[24:25], v[4:5] op_sel_hi:[1,0]
	v_pk_add_f32 v[2:3], v[2:3], v[6:7]
	v_pk_fma_f32 v[6:7], v[24:25], v[38:39], v[4:5] op_sel:[0,0,1] op_sel_hi:[1,1,0] neg_lo:[0,0,1] neg_hi:[0,0,1]
	v_pk_fma_f32 v[4:5], v[24:25], v[38:39], v[4:5] op_sel:[0,0,1] op_sel_hi:[1,0,0]
	s_waitcnt vmcnt(11)
	v_mov_b32_e32 v4, v43
	v_mov_b32_e32 v7, v5
	v_pk_mul_f32 v[4:5], v[26:27], v[4:5] op_sel_hi:[1,0]
	v_pk_add_f32 v[2:3], v[2:3], v[6:7]
	s_waitcnt vmcnt(5)
	v_pk_fma_f32 v[6:7], v[26:27], v[42:43], v[4:5] op_sel:[0,0,1] op_sel_hi:[1,1,0] neg_lo:[0,0,1] neg_hi:[0,0,1]
	v_pk_fma_f32 v[4:5], v[26:27], v[42:43], v[4:5] op_sel:[0,0,1] op_sel_hi:[1,0,0]
	v_mov_b32_e32 v4, v49
	v_mov_b32_e32 v7, v5
	s_waitcnt lgkmcnt(1)
	v_pk_mul_f32 v[4:5], v[28:29], v[4:5] op_sel_hi:[1,0]
	v_pk_add_f32 v[2:3], v[2:3], v[6:7]
	v_pk_fma_f32 v[6:7], v[28:29], v[48:49], v[4:5] op_sel:[0,0,1] op_sel_hi:[1,1,0] neg_lo:[0,0,1] neg_hi:[0,0,1]
	v_pk_fma_f32 v[4:5], v[28:29], v[48:49], v[4:5] op_sel:[0,0,1] op_sel_hi:[1,0,0]
	v_mov_b32_e32 v4, v47
	v_mov_b32_e32 v7, v5
	v_pk_mul_f32 v[4:5], v[30:31], v[4:5] op_sel_hi:[1,0]
	v_pk_add_f32 v[2:3], v[2:3], v[6:7]
	v_pk_fma_f32 v[6:7], v[30:31], v[46:47], v[4:5] op_sel:[0,0,1] op_sel_hi:[1,1,0] neg_lo:[0,0,1] neg_hi:[0,0,1]
	v_pk_fma_f32 v[4:5], v[30:31], v[46:47], v[4:5] op_sel:[0,0,1] op_sel_hi:[1,0,0]
	s_waitcnt vmcnt(2)
	v_mov_b32_e32 v4, v45
	v_mov_b32_e32 v7, v5
	s_waitcnt lgkmcnt(0)
	v_pk_mul_f32 v[4:5], v[32:33], v[4:5] op_sel_hi:[1,0]
	v_pk_add_f32 v[2:3], v[2:3], v[6:7]
	v_pk_fma_f32 v[6:7], v[32:33], v[44:45], v[4:5] op_sel:[0,0,1] op_sel_hi:[1,1,0] neg_lo:[0,0,1] neg_hi:[0,0,1]
	v_pk_fma_f32 v[4:5], v[32:33], v[44:45], v[4:5] op_sel:[0,0,1] op_sel_hi:[1,0,0]
	s_waitcnt vmcnt(1)
	v_mov_b32_e32 v4, v53
	v_mov_b32_e32 v7, v5
	v_pk_mul_f32 v[4:5], v[34:35], v[4:5] op_sel_hi:[1,0]
	v_pk_add_f32 v[2:3], v[2:3], v[6:7]
	s_waitcnt vmcnt(0)
	v_pk_fma_f32 v[6:7], v[34:35], v[52:53], v[4:5] op_sel:[0,0,1] op_sel_hi:[1,1,0] neg_lo:[0,0,1] neg_hi:[0,0,1]
	v_pk_fma_f32 v[4:5], v[34:35], v[52:53], v[4:5] op_sel:[0,0,1] op_sel_hi:[1,0,0]
	v_mov_b32_e32 v7, v5
	v_pk_add_f32 v[2:3], v[2:3], v[6:7]
	v_pk_add_f32 v[2:3], v[50:51], v[2:3] neg_lo:[0,1] neg_hi:[0,1]
	buffer_store_dword v3, off, s[0:3], 0 offset:364
	buffer_store_dword v2, off, s[0:3], 0 offset:360
	s_and_saveexec_b64 s[4:5], vcc
	s_cbranch_execz .LBB61_297
; %bb.296:
	buffer_load_dword v2, off, s[0:3], 0 offset:352
	buffer_load_dword v3, off, s[0:3], 0 offset:356
	v_mov_b32_e32 v4, 0
	buffer_store_dword v4, off, s[0:3], 0 offset:352
	buffer_store_dword v4, off, s[0:3], 0 offset:356
	s_waitcnt vmcnt(2)
	ds_write_b64 v210, v[2:3]
.LBB61_297:
	s_or_b64 exec, exec, s[4:5]
	s_waitcnt lgkmcnt(0)
	; wave barrier
	s_waitcnt lgkmcnt(0)
	buffer_load_dword v3, off, s[0:3], 0 offset:364
	buffer_load_dword v46, off, s[0:3], 0 offset:372
	buffer_load_dword v48, off, s[0:3], 0 offset:380
	buffer_load_dword v50, off, s[0:3], 0 offset:388
	buffer_load_dword v51, off, s[0:3], 0 offset:396
	buffer_load_dword v52, off, s[0:3], 0 offset:404
	buffer_load_dword v53, off, s[0:3], 0 offset:412
	buffer_load_dword v54, off, s[0:3], 0 offset:420
	buffer_load_dword v55, off, s[0:3], 0 offset:428
	buffer_load_dword v56, off, s[0:3], 0 offset:360
	buffer_load_dword v57, off, s[0:3], 0 offset:368
	buffer_load_dword v58, off, s[0:3], 0 offset:376
	buffer_load_dword v59, off, s[0:3], 0 offset:384
	buffer_load_dword v60, off, s[0:3], 0 offset:392
	buffer_load_dword v61, off, s[0:3], 0 offset:400
	buffer_load_dword v62, off, s[0:3], 0 offset:408
	buffer_load_dword v63, off, s[0:3], 0 offset:416
	buffer_load_dword v64, off, s[0:3], 0 offset:424
	buffer_load_dword v29, off, s[0:3], 0 offset:436
	buffer_load_dword v30, off, s[0:3], 0 offset:440
	buffer_load_dword v28, off, s[0:3], 0 offset:432
	buffer_load_dword v32, off, s[0:3], 0 offset:352
	buffer_load_dword v33, off, s[0:3], 0 offset:356
	buffer_load_dword v31, off, s[0:3], 0 offset:444
	buffer_load_dword v35, off, s[0:3], 0 offset:452
	buffer_load_dword v37, off, s[0:3], 0 offset:476
	buffer_load_dword v36, off, s[0:3], 0 offset:472
	buffer_load_dword v39, off, s[0:3], 0 offset:468
	buffer_load_dword v38, off, s[0:3], 0 offset:464
	buffer_load_dword v41, off, s[0:3], 0 offset:460
	buffer_load_dword v40, off, s[0:3], 0 offset:456
	buffer_load_dword v34, off, s[0:3], 0 offset:448
	buffer_load_dword v43, off, s[0:3], 0 offset:492
	buffer_load_dword v42, off, s[0:3], 0 offset:488
	buffer_load_dword v45, off, s[0:3], 0 offset:484
	buffer_load_dword v44, off, s[0:3], 0 offset:480
	v_mov_b32_e32 v2, 0
	ds_read2_b64 v[4:7], v2 offset0:107 offset1:108
	ds_read2_b64 v[8:11], v2 offset0:109 offset1:110
	;; [unrolled: 1-line block ×6, first 2 shown]
	v_cmp_lt_u32_e32 vcc, 43, v0
	s_waitcnt vmcnt(35) lgkmcnt(5)
	v_mul_f32_e32 v65, v4, v3
	s_waitcnt vmcnt(34)
	v_mul_f32_e32 v66, v6, v46
	s_waitcnt vmcnt(33) lgkmcnt(4)
	v_mul_f32_e32 v67, v8, v48
	v_mul_f32_e32 v3, v5, v3
	v_mul_f32_e32 v46, v7, v46
	v_mul_f32_e32 v48, v9, v48
	s_waitcnt vmcnt(32)
	v_mul_f32_e32 v68, v10, v50
	s_waitcnt vmcnt(31) lgkmcnt(3)
	v_mul_f32_e32 v69, v12, v51
	v_mul_f32_e32 v50, v11, v50
	s_waitcnt vmcnt(26)
	v_fmac_f32_e32 v65, v5, v56
	s_waitcnt vmcnt(25)
	v_fmac_f32_e32 v66, v7, v57
	;; [unrolled: 2-line block ×3, first 2 shown]
	v_fma_f32 v3, v4, v56, -v3
	v_add_f32_e32 v9, 0, v65
	v_fma_f32 v4, v6, v57, -v46
	v_add_f32_e32 v3, 0, v3
	v_add_f32_e32 v9, v9, v66
	s_waitcnt vmcnt(23)
	v_fmac_f32_e32 v68, v11, v59
	v_fma_f32 v5, v8, v58, -v48
	v_add_f32_e32 v3, v3, v4
	v_add_f32_e32 v4, v9, v67
	v_mul_f32_e32 v70, v14, v52
	v_mul_f32_e32 v51, v13, v51
	s_waitcnt vmcnt(22)
	v_fmac_f32_e32 v69, v13, v60
	v_fma_f32 v6, v10, v59, -v50
	v_add_f32_e32 v3, v3, v5
	v_add_f32_e32 v4, v4, v68
	s_waitcnt lgkmcnt(2)
	v_mul_f32_e32 v71, v16, v53
	v_mul_f32_e32 v52, v15, v52
	s_waitcnt vmcnt(21)
	v_fmac_f32_e32 v70, v15, v61
	v_fma_f32 v7, v12, v60, -v51
	v_add_f32_e32 v3, v3, v6
	v_add_f32_e32 v4, v4, v69
	v_mul_f32_e32 v53, v17, v53
	s_waitcnt vmcnt(20)
	v_fmac_f32_e32 v71, v17, v62
	v_fma_f32 v8, v14, v61, -v52
	v_add_f32_e32 v3, v3, v7
	v_add_f32_e32 v4, v4, v70
	;; [unrolled: 1-line block ×4, first 2 shown]
	v_fma_f32 v4, v16, v62, -v53
	s_waitcnt vmcnt(17)
	v_mov_b32_e32 v16, v29
	v_mul_f32_e32 v47, v18, v54
	v_add_f32_e32 v12, v3, v4
	v_mul_f32_e32 v3, v19, v54
	s_waitcnt lgkmcnt(1)
	v_pk_mul_f32 v[16:17], v[22:23], v[16:17] op_sel_hi:[1,0]
	v_mul_f32_e32 v49, v20, v55
	v_fmac_f32_e32 v47, v19, v63
	v_fma_f32 v46, v18, v63, -v3
	v_mul_f32_e32 v3, v21, v55
	s_waitcnt vmcnt(15)
	v_pk_fma_f32 v[18:19], v[22:23], v[28:29], v[16:17] op_sel:[0,0,1] op_sel_hi:[1,1,0] neg_lo:[0,0,1] neg_hi:[0,0,1]
	v_pk_fma_f32 v[16:17], v[22:23], v[28:29], v[16:17] op_sel:[0,0,1] op_sel_hi:[1,0,0]
	v_fmac_f32_e32 v49, v21, v64
	v_fma_f32 v48, v20, v64, -v3
	v_pk_add_f32 v[12:13], v[12:13], v[46:47]
	s_waitcnt vmcnt(12)
	v_mov_b32_e32 v16, v31
	v_pk_add_f32 v[12:13], v[12:13], v[48:49]
	v_mov_b32_e32 v19, v17
	s_waitcnt lgkmcnt(0)
	v_pk_mul_f32 v[16:17], v[24:25], v[16:17] op_sel_hi:[1,0]
	v_pk_add_f32 v[12:13], v[12:13], v[18:19]
	v_pk_fma_f32 v[18:19], v[24:25], v[30:31], v[16:17] op_sel:[0,0,1] op_sel_hi:[1,1,0] neg_lo:[0,0,1] neg_hi:[0,0,1]
	v_pk_fma_f32 v[16:17], v[24:25], v[30:31], v[16:17] op_sel:[0,0,1] op_sel_hi:[1,0,0]
	s_waitcnt vmcnt(11)
	v_mov_b32_e32 v16, v35
	ds_read2_b64 v[4:7], v2 offset0:119 offset1:120
	ds_read2_b64 v[8:11], v2 offset0:121 offset1:122
	ds_read_b64 v[14:15], v2 offset:984
	v_mov_b32_e32 v19, v17
	v_pk_mul_f32 v[16:17], v[26:27], v[16:17] op_sel_hi:[1,0]
	v_pk_add_f32 v[12:13], v[12:13], v[18:19]
	s_waitcnt vmcnt(4)
	v_pk_fma_f32 v[18:19], v[26:27], v[34:35], v[16:17] op_sel:[0,0,1] op_sel_hi:[1,1,0] neg_lo:[0,0,1] neg_hi:[0,0,1]
	v_pk_fma_f32 v[16:17], v[26:27], v[34:35], v[16:17] op_sel:[0,0,1] op_sel_hi:[1,0,0]
	v_mov_b32_e32 v16, v41
	v_mov_b32_e32 v19, v17
	s_waitcnt lgkmcnt(2)
	v_pk_mul_f32 v[16:17], v[4:5], v[16:17] op_sel_hi:[1,0]
	v_pk_add_f32 v[12:13], v[12:13], v[18:19]
	v_pk_fma_f32 v[18:19], v[4:5], v[40:41], v[16:17] op_sel:[0,0,1] op_sel_hi:[1,1,0] neg_lo:[0,0,1] neg_hi:[0,0,1]
	v_pk_fma_f32 v[4:5], v[4:5], v[40:41], v[16:17] op_sel:[0,0,1] op_sel_hi:[1,0,0]
	v_mov_b32_e32 v19, v5
	v_pk_add_f32 v[4:5], v[12:13], v[18:19]
	v_mov_b32_e32 v12, v39
	v_pk_mul_f32 v[12:13], v[6:7], v[12:13] op_sel_hi:[1,0]
	v_pk_fma_f32 v[16:17], v[6:7], v[38:39], v[12:13] op_sel:[0,0,1] op_sel_hi:[1,1,0] neg_lo:[0,0,1] neg_hi:[0,0,1]
	v_pk_fma_f32 v[6:7], v[6:7], v[38:39], v[12:13] op_sel:[0,0,1] op_sel_hi:[1,0,0]
	v_mov_b32_e32 v6, v37
	v_mov_b32_e32 v17, v7
	s_waitcnt lgkmcnt(1)
	v_pk_mul_f32 v[6:7], v[8:9], v[6:7] op_sel_hi:[1,0]
	v_pk_fma_f32 v[12:13], v[8:9], v[36:37], v[6:7] op_sel:[0,0,1] op_sel_hi:[1,1,0] neg_lo:[0,0,1] neg_hi:[0,0,1]
	v_pk_fma_f32 v[6:7], v[8:9], v[36:37], v[6:7] op_sel:[0,0,1] op_sel_hi:[1,0,0]
	s_waitcnt vmcnt(1)
	v_mov_b32_e32 v6, v45
	v_mov_b32_e32 v13, v7
	v_pk_mul_f32 v[6:7], v[10:11], v[6:7] op_sel_hi:[1,0]
	s_waitcnt vmcnt(0)
	v_pk_fma_f32 v[8:9], v[10:11], v[44:45], v[6:7] op_sel:[0,0,1] op_sel_hi:[1,1,0] neg_lo:[0,0,1] neg_hi:[0,0,1]
	v_pk_fma_f32 v[6:7], v[10:11], v[44:45], v[6:7] op_sel:[0,0,1] op_sel_hi:[1,0,0]
	v_pk_add_f32 v[4:5], v[4:5], v[16:17]
	v_mov_b32_e32 v6, v43
	v_pk_add_f32 v[4:5], v[4:5], v[12:13]
	v_mov_b32_e32 v9, v7
	s_waitcnt lgkmcnt(0)
	v_pk_mul_f32 v[6:7], v[14:15], v[6:7] op_sel_hi:[1,0]
	v_pk_add_f32 v[4:5], v[4:5], v[8:9]
	v_pk_fma_f32 v[8:9], v[14:15], v[42:43], v[6:7] op_sel:[0,0,1] op_sel_hi:[1,1,0] neg_lo:[0,0,1] neg_hi:[0,0,1]
	v_pk_fma_f32 v[6:7], v[14:15], v[42:43], v[6:7] op_sel:[0,0,1] op_sel_hi:[1,0,0]
	v_mov_b32_e32 v9, v7
	v_pk_add_f32 v[4:5], v[4:5], v[8:9]
	v_pk_add_f32 v[4:5], v[32:33], v[4:5] neg_lo:[0,1] neg_hi:[0,1]
	buffer_store_dword v5, off, s[0:3], 0 offset:356
	buffer_store_dword v4, off, s[0:3], 0 offset:352
	s_and_saveexec_b64 s[4:5], vcc
	s_cbranch_execz .LBB61_299
; %bb.298:
	buffer_load_dword v4, off, s[0:3], 0 offset:344
	buffer_load_dword v5, off, s[0:3], 0 offset:348
	s_waitcnt vmcnt(0)
	ds_write_b64 v210, v[4:5]
	buffer_store_dword v2, off, s[0:3], 0 offset:344
	buffer_store_dword v2, off, s[0:3], 0 offset:348
.LBB61_299:
	s_or_b64 exec, exec, s[4:5]
	s_waitcnt lgkmcnt(0)
	; wave barrier
	s_waitcnt lgkmcnt(0)
	buffer_load_dword v3, off, s[0:3], 0 offset:356
	buffer_load_dword v46, off, s[0:3], 0 offset:364
	;; [unrolled: 1-line block ×22, first 2 shown]
	ds_read_b128 v[4:7], v2 offset:848
	ds_read_b128 v[8:11], v2 offset:864
	buffer_load_dword v31, off, s[0:3], 0 offset:436
	buffer_load_dword v30, off, s[0:3], 0 offset:432
	;; [unrolled: 1-line block ×10, first 2 shown]
	ds_read_b128 v[12:15], v2 offset:880
	ds_read_b128 v[16:19], v2 offset:896
	;; [unrolled: 1-line block ×4, first 2 shown]
	buffer_load_dword v41, off, s[0:3], 0 offset:492
	buffer_load_dword v40, off, s[0:3], 0 offset:488
	;; [unrolled: 1-line block ×6, first 2 shown]
	v_cmp_lt_u32_e32 vcc, 42, v0
	s_waitcnt vmcnt(37) lgkmcnt(5)
	v_mul_f32_e32 v67, v4, v3
	s_waitcnt vmcnt(36)
	v_mul_f32_e32 v68, v6, v46
	s_waitcnt vmcnt(35) lgkmcnt(4)
	v_mul_f32_e32 v69, v8, v48
	v_mul_f32_e32 v3, v5, v3
	;; [unrolled: 1-line block ×4, first 2 shown]
	s_waitcnt vmcnt(34)
	v_mul_f32_e32 v70, v10, v50
	s_waitcnt vmcnt(33) lgkmcnt(3)
	v_mul_f32_e32 v71, v12, v51
	s_waitcnt vmcnt(32)
	v_mul_f32_e32 v72, v14, v52
	s_waitcnt vmcnt(31) lgkmcnt(2)
	v_mul_f32_e32 v73, v16, v53
	s_waitcnt vmcnt(27)
	v_fmac_f32_e32 v67, v5, v57
	s_waitcnt vmcnt(26)
	v_fmac_f32_e32 v68, v7, v58
	v_fma_f32 v3, v4, v57, -v3
	s_waitcnt vmcnt(25)
	v_fma_f32 v5, v8, v59, -v48
	v_add_f32_e32 v8, 0, v67
	v_fmac_f32_e32 v69, v9, v59
	v_fma_f32 v4, v6, v58, -v46
	v_add_f32_e32 v3, 0, v3
	v_add_f32_e32 v8, v8, v68
	s_waitcnt vmcnt(24)
	v_fmac_f32_e32 v70, v11, v60
	v_add_f32_e32 v3, v3, v4
	v_add_f32_e32 v4, v8, v69
	s_waitcnt vmcnt(23)
	v_fmac_f32_e32 v71, v13, v61
	v_add_f32_e32 v4, v4, v70
	v_mul_f32_e32 v50, v11, v50
	s_waitcnt vmcnt(22)
	v_fmac_f32_e32 v72, v15, v62
	v_add_f32_e32 v4, v4, v71
	v_mul_f32_e32 v74, v18, v54
	v_mul_f32_e32 v51, v13, v51
	s_waitcnt vmcnt(21)
	v_fmac_f32_e32 v73, v17, v63
	v_fma_f32 v6, v10, v60, -v50
	v_add_f32_e32 v3, v3, v5
	v_add_f32_e32 v4, v4, v72
	v_mul_f32_e32 v52, v15, v52
	s_waitcnt vmcnt(20)
	v_fmac_f32_e32 v74, v19, v64
	v_fma_f32 v7, v12, v61, -v51
	v_add_f32_e32 v3, v3, v6
	v_add_f32_e32 v4, v4, v73
	;; [unrolled: 1-line block ×4, first 2 shown]
	v_fma_f32 v4, v14, v62, -v52
	v_add_f32_e32 v3, v3, v4
	v_mul_f32_e32 v4, v17, v53
	v_fma_f32 v4, v16, v63, -v4
	v_add_f32_e32 v3, v3, v4
	v_mul_f32_e32 v4, v19, v54
	v_fma_f32 v4, v18, v64, -v4
	s_waitcnt vmcnt(15)
	v_mov_b32_e32 v16, v31
	s_waitcnt lgkmcnt(1)
	v_mul_f32_e32 v47, v20, v55
	v_add_f32_e32 v50, v3, v4
	v_mul_f32_e32 v3, v21, v55
	s_waitcnt lgkmcnt(0)
	v_pk_mul_f32 v[16:17], v[24:25], v[16:17] op_sel_hi:[1,0]
	v_mul_f32_e32 v49, v22, v56
	v_fmac_f32_e32 v47, v21, v65
	v_fma_f32 v46, v20, v65, -v3
	v_mul_f32_e32 v3, v23, v56
	s_waitcnt vmcnt(14)
	v_pk_fma_f32 v[18:19], v[24:25], v[30:31], v[16:17] op_sel:[0,0,1] op_sel_hi:[1,1,0] neg_lo:[0,0,1] neg_hi:[0,0,1]
	v_pk_fma_f32 v[16:17], v[24:25], v[30:31], v[16:17] op_sel:[0,0,1] op_sel_hi:[1,0,0]
	v_fmac_f32_e32 v49, v23, v66
	v_fma_f32 v48, v22, v66, -v3
	ds_read_b128 v[4:7], v2 offset:944
	ds_read_b128 v[8:11], v2 offset:960
	;; [unrolled: 1-line block ×3, first 2 shown]
	v_pk_add_f32 v[2:3], v[50:51], v[46:47]
	s_waitcnt vmcnt(13)
	v_mov_b32_e32 v16, v33
	v_pk_add_f32 v[2:3], v[2:3], v[48:49]
	v_mov_b32_e32 v19, v17
	v_pk_mul_f32 v[16:17], v[26:27], v[16:17] op_sel_hi:[1,0]
	v_pk_add_f32 v[2:3], v[2:3], v[18:19]
	s_waitcnt vmcnt(6)
	v_pk_fma_f32 v[18:19], v[26:27], v[32:33], v[16:17] op_sel:[0,0,1] op_sel_hi:[1,1,0] neg_lo:[0,0,1] neg_hi:[0,0,1]
	v_pk_fma_f32 v[16:17], v[26:27], v[32:33], v[16:17] op_sel:[0,0,1] op_sel_hi:[1,0,0]
	v_mov_b32_e32 v16, v39
	v_mov_b32_e32 v19, v17
	s_waitcnt lgkmcnt(2)
	v_pk_mul_f32 v[16:17], v[4:5], v[16:17] op_sel_hi:[1,0]
	v_pk_add_f32 v[2:3], v[2:3], v[18:19]
	v_pk_fma_f32 v[18:19], v[4:5], v[38:39], v[16:17] op_sel:[0,0,1] op_sel_hi:[1,1,0] neg_lo:[0,0,1] neg_hi:[0,0,1]
	v_pk_fma_f32 v[4:5], v[4:5], v[38:39], v[16:17] op_sel:[0,0,1] op_sel_hi:[1,0,0]
	v_mov_b32_e32 v4, v37
	v_mov_b32_e32 v19, v5
	v_pk_mul_f32 v[4:5], v[6:7], v[4:5] op_sel_hi:[1,0]
	v_pk_fma_f32 v[16:17], v[6:7], v[36:37], v[4:5] op_sel:[0,0,1] op_sel_hi:[1,1,0] neg_lo:[0,0,1] neg_hi:[0,0,1]
	v_pk_fma_f32 v[4:5], v[6:7], v[36:37], v[4:5] op_sel:[0,0,1] op_sel_hi:[1,0,0]
	v_mov_b32_e32 v4, v35
	v_mov_b32_e32 v17, v5
	s_waitcnt lgkmcnt(1)
	v_pk_mul_f32 v[4:5], v[8:9], v[4:5] op_sel_hi:[1,0]
	v_pk_fma_f32 v[6:7], v[8:9], v[34:35], v[4:5] op_sel:[0,0,1] op_sel_hi:[1,1,0] neg_lo:[0,0,1] neg_hi:[0,0,1]
	v_pk_fma_f32 v[4:5], v[8:9], v[34:35], v[4:5] op_sel:[0,0,1] op_sel_hi:[1,0,0]
	v_pk_add_f32 v[2:3], v[2:3], v[18:19]
	s_waitcnt vmcnt(1)
	v_mov_b32_e32 v4, v45
	v_pk_add_f32 v[2:3], v[2:3], v[16:17]
	v_mov_b32_e32 v7, v5
	v_pk_mul_f32 v[4:5], v[10:11], v[4:5] op_sel_hi:[1,0]
	v_pk_add_f32 v[2:3], v[2:3], v[6:7]
	s_waitcnt vmcnt(0)
	v_pk_fma_f32 v[6:7], v[10:11], v[44:45], v[4:5] op_sel:[0,0,1] op_sel_hi:[1,1,0] neg_lo:[0,0,1] neg_hi:[0,0,1]
	v_pk_fma_f32 v[4:5], v[10:11], v[44:45], v[4:5] op_sel:[0,0,1] op_sel_hi:[1,0,0]
	v_mov_b32_e32 v4, v43
	v_mov_b32_e32 v7, v5
	s_waitcnt lgkmcnt(0)
	v_pk_mul_f32 v[4:5], v[12:13], v[4:5] op_sel_hi:[1,0]
	v_pk_add_f32 v[2:3], v[2:3], v[6:7]
	v_pk_fma_f32 v[6:7], v[12:13], v[42:43], v[4:5] op_sel:[0,0,1] op_sel_hi:[1,1,0] neg_lo:[0,0,1] neg_hi:[0,0,1]
	v_pk_fma_f32 v[4:5], v[12:13], v[42:43], v[4:5] op_sel:[0,0,1] op_sel_hi:[1,0,0]
	v_mov_b32_e32 v4, v41
	v_mov_b32_e32 v7, v5
	v_pk_mul_f32 v[4:5], v[14:15], v[4:5] op_sel_hi:[1,0]
	v_pk_add_f32 v[2:3], v[2:3], v[6:7]
	v_pk_fma_f32 v[6:7], v[14:15], v[40:41], v[4:5] op_sel:[0,0,1] op_sel_hi:[1,1,0] neg_lo:[0,0,1] neg_hi:[0,0,1]
	v_pk_fma_f32 v[4:5], v[14:15], v[40:41], v[4:5] op_sel:[0,0,1] op_sel_hi:[1,0,0]
	v_mov_b32_e32 v7, v5
	v_pk_add_f32 v[2:3], v[2:3], v[6:7]
	v_pk_add_f32 v[2:3], v[28:29], v[2:3] neg_lo:[0,1] neg_hi:[0,1]
	buffer_store_dword v3, off, s[0:3], 0 offset:348
	buffer_store_dword v2, off, s[0:3], 0 offset:344
	s_and_saveexec_b64 s[4:5], vcc
	s_cbranch_execz .LBB61_301
; %bb.300:
	buffer_load_dword v2, off, s[0:3], 0 offset:336
	buffer_load_dword v3, off, s[0:3], 0 offset:340
	v_mov_b32_e32 v4, 0
	buffer_store_dword v4, off, s[0:3], 0 offset:336
	buffer_store_dword v4, off, s[0:3], 0 offset:340
	s_waitcnt vmcnt(2)
	ds_write_b64 v210, v[2:3]
.LBB61_301:
	s_or_b64 exec, exec, s[4:5]
	s_waitcnt lgkmcnt(0)
	; wave barrier
	s_waitcnt lgkmcnt(0)
	buffer_load_dword v3, off, s[0:3], 0 offset:348
	buffer_load_dword v46, off, s[0:3], 0 offset:356
	;; [unrolled: 1-line block ×40, first 2 shown]
	v_mov_b32_e32 v2, 0
	ds_read2_b64 v[4:7], v2 offset0:105 offset1:106
	ds_read2_b64 v[8:11], v2 offset0:107 offset1:108
	ds_read2_b64 v[12:15], v2 offset0:109 offset1:110
	ds_read2_b64 v[16:19], v2 offset0:111 offset1:112
	ds_read2_b64 v[20:23], v2 offset0:113 offset1:114
	ds_read2_b64 v[24:27], v2 offset0:115 offset1:116
	v_cmp_lt_u32_e32 vcc, 41, v0
	s_waitcnt vmcnt(39) lgkmcnt(5)
	v_mul_f32_e32 v69, v4, v3
	s_waitcnt vmcnt(38)
	v_mul_f32_e32 v70, v6, v46
	v_mul_f32_e32 v3, v5, v3
	s_waitcnt vmcnt(37) lgkmcnt(4)
	v_mul_f32_e32 v71, v8, v48
	v_mul_f32_e32 v46, v7, v46
	s_waitcnt vmcnt(36)
	v_mul_f32_e32 v72, v10, v50
	s_waitcnt vmcnt(35) lgkmcnt(3)
	v_mul_f32_e32 v73, v12, v52
	s_waitcnt vmcnt(34)
	v_mul_f32_e32 v74, v14, v53
	s_waitcnt vmcnt(33) lgkmcnt(2)
	;; [unrolled: 4-line block ×3, first 2 shown]
	v_mul_f32_e32 v77, v20, v56
	s_waitcnt vmcnt(28)
	v_fmac_f32_e32 v69, v5, v51
	s_waitcnt vmcnt(27)
	v_fmac_f32_e32 v70, v7, v59
	v_fma_f32 v3, v4, v51, -v3
	v_add_f32_e32 v7, 0, v69
	s_waitcnt vmcnt(26)
	v_fmac_f32_e32 v71, v9, v60
	v_fma_f32 v4, v6, v59, -v46
	v_add_f32_e32 v3, 0, v3
	v_add_f32_e32 v7, v7, v70
	s_waitcnt vmcnt(25)
	v_fmac_f32_e32 v72, v11, v61
	v_add_f32_e32 v3, v3, v4
	v_add_f32_e32 v4, v7, v71
	s_waitcnt vmcnt(24)
	v_fmac_f32_e32 v73, v13, v62
	v_add_f32_e32 v4, v4, v72
	s_waitcnt vmcnt(23)
	v_fmac_f32_e32 v74, v15, v63
	;; [unrolled: 3-line block ×3, first 2 shown]
	v_add_f32_e32 v4, v4, v74
	v_mul_f32_e32 v48, v9, v48
	s_waitcnt vmcnt(21)
	v_fmac_f32_e32 v76, v19, v65
	v_add_f32_e32 v4, v4, v75
	v_mul_f32_e32 v50, v11, v50
	s_waitcnt vmcnt(20)
	v_fmac_f32_e32 v77, v21, v66
	v_fma_f32 v5, v8, v60, -v48
	v_add_f32_e32 v4, v4, v76
	v_fma_f32 v6, v10, v61, -v50
	v_add_f32_e32 v3, v3, v5
	v_add_f32_e32 v51, v4, v77
	v_mul_f32_e32 v4, v13, v52
	v_add_f32_e32 v3, v3, v6
	v_fma_f32 v4, v12, v62, -v4
	v_add_f32_e32 v3, v3, v4
	v_mul_f32_e32 v4, v15, v53
	v_fma_f32 v4, v14, v63, -v4
	v_add_f32_e32 v3, v3, v4
	v_mul_f32_e32 v4, v17, v54
	;; [unrolled: 3-line block ×4, first 2 shown]
	v_fma_f32 v4, v20, v66, -v4
	s_waitcnt vmcnt(9)
	v_mov_b32_e32 v20, v37
	v_mul_f32_e32 v47, v22, v57
	v_add_f32_e32 v50, v3, v4
	v_mul_f32_e32 v3, v23, v57
	s_waitcnt lgkmcnt(0)
	v_pk_mul_f32 v[20:21], v[26:27], v[20:21] op_sel_hi:[1,0]
	v_mul_f32_e32 v49, v24, v58
	v_fmac_f32_e32 v47, v23, v67
	v_fma_f32 v46, v22, v67, -v3
	v_mul_f32_e32 v3, v25, v58
	ds_read2_b64 v[4:7], v2 offset0:117 offset1:118
	ds_read2_b64 v[8:11], v2 offset0:119 offset1:120
	;; [unrolled: 1-line block ×3, first 2 shown]
	ds_read_b64 v[16:17], v2 offset:984
	s_waitcnt vmcnt(8)
	v_pk_fma_f32 v[22:23], v[26:27], v[36:37], v[20:21] op_sel:[0,0,1] op_sel_hi:[1,1,0] neg_lo:[0,0,1] neg_hi:[0,0,1]
	v_pk_fma_f32 v[20:21], v[26:27], v[36:37], v[20:21] op_sel:[0,0,1] op_sel_hi:[1,0,0]
	v_fmac_f32_e32 v49, v25, v68
	v_fma_f32 v48, v24, v68, -v3
	v_pk_add_f32 v[18:19], v[50:51], v[46:47]
	v_mov_b32_e32 v20, v35
	v_pk_add_f32 v[18:19], v[18:19], v[48:49]
	v_mov_b32_e32 v23, v21
	s_waitcnt lgkmcnt(3)
	v_pk_mul_f32 v[20:21], v[4:5], v[20:21] op_sel_hi:[1,0]
	v_pk_add_f32 v[18:19], v[18:19], v[22:23]
	v_pk_fma_f32 v[22:23], v[4:5], v[34:35], v[20:21] op_sel:[0,0,1] op_sel_hi:[1,1,0] neg_lo:[0,0,1] neg_hi:[0,0,1]
	v_pk_fma_f32 v[4:5], v[4:5], v[34:35], v[20:21] op_sel:[0,0,1] op_sel_hi:[1,0,0]
	v_mov_b32_e32 v23, v5
	v_pk_add_f32 v[4:5], v[18:19], v[22:23]
	v_mov_b32_e32 v18, v33
	v_pk_mul_f32 v[18:19], v[6:7], v[18:19] op_sel_hi:[1,0]
	v_pk_fma_f32 v[20:21], v[6:7], v[32:33], v[18:19] op_sel:[0,0,1] op_sel_hi:[1,1,0] neg_lo:[0,0,1] neg_hi:[0,0,1]
	v_pk_fma_f32 v[6:7], v[6:7], v[32:33], v[18:19] op_sel:[0,0,1] op_sel_hi:[1,0,0]
	v_mov_b32_e32 v6, v31
	v_mov_b32_e32 v21, v7
	s_waitcnt lgkmcnt(2)
	v_pk_mul_f32 v[6:7], v[8:9], v[6:7] op_sel_hi:[1,0]
	v_pk_fma_f32 v[18:19], v[8:9], v[30:31], v[6:7] op_sel:[0,0,1] op_sel_hi:[1,1,0] neg_lo:[0,0,1] neg_hi:[0,0,1]
	v_pk_fma_f32 v[6:7], v[8:9], v[30:31], v[6:7] op_sel:[0,0,1] op_sel_hi:[1,0,0]
	s_waitcnt vmcnt(1)
	v_mov_b32_e32 v6, v45
	v_mov_b32_e32 v19, v7
	v_pk_mul_f32 v[6:7], v[10:11], v[6:7] op_sel_hi:[1,0]
	s_waitcnt vmcnt(0)
	v_pk_fma_f32 v[8:9], v[10:11], v[44:45], v[6:7] op_sel:[0,0,1] op_sel_hi:[1,1,0] neg_lo:[0,0,1] neg_hi:[0,0,1]
	v_pk_fma_f32 v[6:7], v[10:11], v[44:45], v[6:7] op_sel:[0,0,1] op_sel_hi:[1,0,0]
	v_pk_add_f32 v[4:5], v[4:5], v[20:21]
	v_mov_b32_e32 v6, v43
	v_pk_add_f32 v[4:5], v[4:5], v[18:19]
	v_mov_b32_e32 v9, v7
	s_waitcnt lgkmcnt(1)
	v_pk_mul_f32 v[6:7], v[12:13], v[6:7] op_sel_hi:[1,0]
	v_pk_add_f32 v[4:5], v[4:5], v[8:9]
	v_pk_fma_f32 v[8:9], v[12:13], v[42:43], v[6:7] op_sel:[0,0,1] op_sel_hi:[1,1,0] neg_lo:[0,0,1] neg_hi:[0,0,1]
	v_pk_fma_f32 v[6:7], v[12:13], v[42:43], v[6:7] op_sel:[0,0,1] op_sel_hi:[1,0,0]
	v_mov_b32_e32 v6, v41
	v_mov_b32_e32 v9, v7
	v_pk_mul_f32 v[6:7], v[14:15], v[6:7] op_sel_hi:[1,0]
	v_pk_add_f32 v[4:5], v[4:5], v[8:9]
	v_pk_fma_f32 v[8:9], v[14:15], v[40:41], v[6:7] op_sel:[0,0,1] op_sel_hi:[1,1,0] neg_lo:[0,0,1] neg_hi:[0,0,1]
	v_pk_fma_f32 v[6:7], v[14:15], v[40:41], v[6:7] op_sel:[0,0,1] op_sel_hi:[1,0,0]
	v_mov_b32_e32 v6, v39
	v_mov_b32_e32 v9, v7
	s_waitcnt lgkmcnt(0)
	v_pk_mul_f32 v[6:7], v[16:17], v[6:7] op_sel_hi:[1,0]
	v_pk_add_f32 v[4:5], v[4:5], v[8:9]
	v_pk_fma_f32 v[8:9], v[16:17], v[38:39], v[6:7] op_sel:[0,0,1] op_sel_hi:[1,1,0] neg_lo:[0,0,1] neg_hi:[0,0,1]
	v_pk_fma_f32 v[6:7], v[16:17], v[38:39], v[6:7] op_sel:[0,0,1] op_sel_hi:[1,0,0]
	v_mov_b32_e32 v9, v7
	v_pk_add_f32 v[4:5], v[4:5], v[8:9]
	v_pk_add_f32 v[4:5], v[28:29], v[4:5] neg_lo:[0,1] neg_hi:[0,1]
	buffer_store_dword v5, off, s[0:3], 0 offset:340
	buffer_store_dword v4, off, s[0:3], 0 offset:336
	s_and_saveexec_b64 s[4:5], vcc
	s_cbranch_execz .LBB61_303
; %bb.302:
	buffer_load_dword v4, off, s[0:3], 0 offset:328
	buffer_load_dword v5, off, s[0:3], 0 offset:332
	s_waitcnt vmcnt(0)
	ds_write_b64 v210, v[4:5]
	buffer_store_dword v2, off, s[0:3], 0 offset:328
	buffer_store_dword v2, off, s[0:3], 0 offset:332
.LBB61_303:
	s_or_b64 exec, exec, s[4:5]
	s_waitcnt lgkmcnt(0)
	; wave barrier
	s_waitcnt lgkmcnt(0)
	buffer_load_dword v3, off, s[0:3], 0 offset:340
	buffer_load_dword v46, off, s[0:3], 0 offset:348
	;; [unrolled: 1-line block ×26, first 2 shown]
	ds_read_b128 v[4:7], v2 offset:832
	ds_read_b128 v[8:11], v2 offset:848
	;; [unrolled: 1-line block ×6, first 2 shown]
	buffer_load_dword v31, off, s[0:3], 0 offset:452
	buffer_load_dword v30, off, s[0:3], 0 offset:448
	;; [unrolled: 1-line block ×16, first 2 shown]
	v_cmp_lt_u32_e32 vcc, 40, v0
	s_waitcnt vmcnt(41) lgkmcnt(5)
	v_mul_f32_e32 v71, v4, v3
	s_waitcnt vmcnt(40)
	v_mul_f32_e32 v72, v6, v46
	v_mul_f32_e32 v3, v5, v3
	;; [unrolled: 1-line block ×3, first 2 shown]
	s_waitcnt vmcnt(39) lgkmcnt(4)
	v_mul_f32_e32 v73, v8, v48
	s_waitcnt vmcnt(38)
	v_mul_f32_e32 v74, v10, v50
	s_waitcnt vmcnt(37) lgkmcnt(3)
	v_mul_f32_e32 v75, v12, v52
	s_waitcnt vmcnt(36)
	v_mul_f32_e32 v76, v14, v53
	;; [unrolled: 4-line block ×4, first 2 shown]
	s_waitcnt vmcnt(29)
	v_fmac_f32_e32 v71, v5, v51
	s_waitcnt vmcnt(28)
	v_fmac_f32_e32 v72, v7, v60
	v_fma_f32 v3, v4, v51, -v3
	v_fma_f32 v4, v6, v60, -v46
	v_add_f32_e32 v6, 0, v71
	s_waitcnt vmcnt(27)
	v_fmac_f32_e32 v73, v9, v61
	v_add_f32_e32 v3, 0, v3
	v_add_f32_e32 v6, v6, v72
	s_waitcnt vmcnt(26)
	v_fmac_f32_e32 v74, v11, v62
	v_add_f32_e32 v3, v3, v4
	;; [unrolled: 4-line block ×3, first 2 shown]
	s_waitcnt vmcnt(24)
	v_fmac_f32_e32 v76, v15, v64
	v_add_f32_e32 v4, v4, v75
	s_waitcnt vmcnt(23)
	v_fmac_f32_e32 v77, v17, v65
	v_add_f32_e32 v4, v4, v76
	;; [unrolled: 3-line block ×4, first 2 shown]
	v_mul_f32_e32 v48, v9, v48
	s_waitcnt vmcnt(20)
	v_fmac_f32_e32 v80, v23, v68
	v_add_f32_e32 v4, v4, v79
	v_fma_f32 v5, v8, v61, -v48
	v_add_f32_e32 v51, v4, v80
	v_mul_f32_e32 v4, v11, v50
	v_add_f32_e32 v3, v3, v5
	v_fma_f32 v4, v10, v62, -v4
	v_add_f32_e32 v3, v3, v4
	v_mul_f32_e32 v4, v13, v52
	v_fma_f32 v4, v12, v63, -v4
	v_add_f32_e32 v3, v3, v4
	v_mul_f32_e32 v4, v15, v53
	;; [unrolled: 3-line block ×6, first 2 shown]
	v_fma_f32 v4, v22, v68, -v4
	v_add_f32_e32 v50, v3, v4
	ds_read_b128 v[4:7], v2 offset:928
	ds_read_b128 v[8:11], v2 offset:944
	;; [unrolled: 1-line block ×4, first 2 shown]
	s_waitcnt vmcnt(11)
	v_mov_b32_e32 v20, v35
	s_waitcnt lgkmcnt(3)
	v_pk_mul_f32 v[20:21], v[4:5], v[20:21] op_sel_hi:[1,0]
	s_waitcnt vmcnt(10)
	v_pk_fma_f32 v[22:23], v[4:5], v[34:35], v[20:21] op_sel:[0,0,1] op_sel_hi:[1,1,0] neg_lo:[0,0,1] neg_hi:[0,0,1]
	v_pk_fma_f32 v[4:5], v[4:5], v[34:35], v[20:21] op_sel:[0,0,1] op_sel_hi:[1,0,0]
	v_mov_b32_e32 v4, v33
	v_mov_b32_e32 v23, v5
	v_pk_mul_f32 v[4:5], v[6:7], v[4:5] op_sel_hi:[1,0]
	v_mul_f32_e32 v47, v24, v58
	v_mul_f32_e32 v3, v25, v58
	v_pk_fma_f32 v[20:21], v[6:7], v[32:33], v[4:5] op_sel:[0,0,1] op_sel_hi:[1,1,0] neg_lo:[0,0,1] neg_hi:[0,0,1]
	v_pk_fma_f32 v[4:5], v[6:7], v[32:33], v[4:5] op_sel:[0,0,1] op_sel_hi:[1,0,0]
	v_mul_f32_e32 v49, v26, v59
	v_fmac_f32_e32 v47, v25, v69
	v_fma_f32 v46, v24, v69, -v3
	v_mul_f32_e32 v3, v27, v59
	v_mov_b32_e32 v4, v31
	v_fmac_f32_e32 v49, v27, v70
	v_fma_f32 v48, v26, v70, -v3
	v_pk_add_f32 v[2:3], v[50:51], v[46:47]
	v_mov_b32_e32 v21, v5
	s_waitcnt lgkmcnt(2)
	v_pk_mul_f32 v[4:5], v[8:9], v[4:5] op_sel_hi:[1,0]
	v_pk_add_f32 v[2:3], v[2:3], v[48:49]
	v_pk_fma_f32 v[6:7], v[8:9], v[30:31], v[4:5] op_sel:[0,0,1] op_sel_hi:[1,1,0] neg_lo:[0,0,1] neg_hi:[0,0,1]
	v_pk_fma_f32 v[4:5], v[8:9], v[30:31], v[4:5] op_sel:[0,0,1] op_sel_hi:[1,0,0]
	v_pk_add_f32 v[2:3], v[2:3], v[22:23]
	s_waitcnt vmcnt(3)
	v_mov_b32_e32 v4, v43
	v_pk_add_f32 v[2:3], v[2:3], v[20:21]
	v_mov_b32_e32 v7, v5
	v_pk_mul_f32 v[4:5], v[10:11], v[4:5] op_sel_hi:[1,0]
	v_pk_add_f32 v[2:3], v[2:3], v[6:7]
	s_waitcnt vmcnt(2)
	v_pk_fma_f32 v[6:7], v[10:11], v[42:43], v[4:5] op_sel:[0,0,1] op_sel_hi:[1,1,0] neg_lo:[0,0,1] neg_hi:[0,0,1]
	v_pk_fma_f32 v[4:5], v[10:11], v[42:43], v[4:5] op_sel:[0,0,1] op_sel_hi:[1,0,0]
	v_mov_b32_e32 v4, v41
	v_mov_b32_e32 v7, v5
	s_waitcnt lgkmcnt(1)
	v_pk_mul_f32 v[4:5], v[12:13], v[4:5] op_sel_hi:[1,0]
	v_pk_add_f32 v[2:3], v[2:3], v[6:7]
	v_pk_fma_f32 v[6:7], v[12:13], v[40:41], v[4:5] op_sel:[0,0,1] op_sel_hi:[1,1,0] neg_lo:[0,0,1] neg_hi:[0,0,1]
	v_pk_fma_f32 v[4:5], v[12:13], v[40:41], v[4:5] op_sel:[0,0,1] op_sel_hi:[1,0,0]
	v_mov_b32_e32 v4, v39
	v_mov_b32_e32 v7, v5
	v_pk_mul_f32 v[4:5], v[14:15], v[4:5] op_sel_hi:[1,0]
	v_pk_add_f32 v[2:3], v[2:3], v[6:7]
	v_pk_fma_f32 v[6:7], v[14:15], v[38:39], v[4:5] op_sel:[0,0,1] op_sel_hi:[1,1,0] neg_lo:[0,0,1] neg_hi:[0,0,1]
	v_pk_fma_f32 v[4:5], v[14:15], v[38:39], v[4:5] op_sel:[0,0,1] op_sel_hi:[1,0,0]
	v_mov_b32_e32 v4, v37
	v_mov_b32_e32 v7, v5
	s_waitcnt lgkmcnt(0)
	v_pk_mul_f32 v[4:5], v[16:17], v[4:5] op_sel_hi:[1,0]
	v_pk_add_f32 v[2:3], v[2:3], v[6:7]
	v_pk_fma_f32 v[6:7], v[16:17], v[36:37], v[4:5] op_sel:[0,0,1] op_sel_hi:[1,1,0] neg_lo:[0,0,1] neg_hi:[0,0,1]
	v_pk_fma_f32 v[4:5], v[16:17], v[36:37], v[4:5] op_sel:[0,0,1] op_sel_hi:[1,0,0]
	s_waitcnt vmcnt(1)
	v_mov_b32_e32 v4, v45
	v_mov_b32_e32 v7, v5
	v_pk_mul_f32 v[4:5], v[18:19], v[4:5] op_sel_hi:[1,0]
	v_pk_add_f32 v[2:3], v[2:3], v[6:7]
	s_waitcnt vmcnt(0)
	v_pk_fma_f32 v[6:7], v[18:19], v[44:45], v[4:5] op_sel:[0,0,1] op_sel_hi:[1,1,0] neg_lo:[0,0,1] neg_hi:[0,0,1]
	v_pk_fma_f32 v[4:5], v[18:19], v[44:45], v[4:5] op_sel:[0,0,1] op_sel_hi:[1,0,0]
	v_mov_b32_e32 v7, v5
	v_pk_add_f32 v[2:3], v[2:3], v[6:7]
	v_pk_add_f32 v[2:3], v[28:29], v[2:3] neg_lo:[0,1] neg_hi:[0,1]
	buffer_store_dword v3, off, s[0:3], 0 offset:332
	buffer_store_dword v2, off, s[0:3], 0 offset:328
	s_and_saveexec_b64 s[4:5], vcc
	s_cbranch_execz .LBB61_305
; %bb.304:
	buffer_load_dword v2, off, s[0:3], 0 offset:320
	buffer_load_dword v3, off, s[0:3], 0 offset:324
	v_mov_b32_e32 v4, 0
	buffer_store_dword v4, off, s[0:3], 0 offset:320
	buffer_store_dword v4, off, s[0:3], 0 offset:324
	s_waitcnt vmcnt(2)
	ds_write_b64 v210, v[2:3]
.LBB61_305:
	s_or_b64 exec, exec, s[4:5]
	s_waitcnt lgkmcnt(0)
	; wave barrier
	s_waitcnt lgkmcnt(0)
	buffer_load_dword v3, off, s[0:3], 0 offset:332
	buffer_load_dword v54, off, s[0:3], 0 offset:340
	;; [unrolled: 1-line block ×44, first 2 shown]
	v_mov_b32_e32 v2, 0
	ds_read2_b64 v[4:7], v2 offset0:103 offset1:104
	ds_read2_b64 v[8:11], v2 offset0:105 offset1:106
	;; [unrolled: 1-line block ×8, first 2 shown]
	v_cmp_lt_u32_e32 vcc, 39, v0
	s_waitcnt vmcnt(43) lgkmcnt(7)
	v_mul_f32_e32 v59, v4, v3
	v_mul_f32_e32 v3, v5, v3
	s_waitcnt vmcnt(42)
	v_mul_f32_e32 v82, v6, v54
	s_waitcnt vmcnt(41) lgkmcnt(6)
	v_mul_f32_e32 v83, v8, v56
	s_waitcnt vmcnt(40)
	v_mul_f32_e32 v84, v10, v58
	s_waitcnt vmcnt(39) lgkmcnt(5)
	;; [unrolled: 4-line block ×5, first 2 shown]
	v_mul_f32_e32 v91, v24, v66
	s_waitcnt vmcnt(32)
	v_mul_f32_e32 v55, v26, v67
	s_waitcnt vmcnt(30)
	v_fma_f32 v3, v4, v69, -v3
	v_mul_f32_e32 v4, v7, v54
	v_add_f32_e32 v3, 0, v3
	s_waitcnt vmcnt(29)
	v_fma_f32 v4, v6, v70, -v4
	v_add_f32_e32 v3, v3, v4
	v_mul_f32_e32 v4, v9, v56
	s_waitcnt vmcnt(28)
	v_fma_f32 v4, v8, v71, -v4
	v_add_f32_e32 v3, v3, v4
	v_mul_f32_e32 v4, v11, v58
	;; [unrolled: 4-line block ×4, first 2 shown]
	s_waitcnt vmcnt(25)
	v_fma_f32 v4, v14, v74, -v4
	v_fmac_f32_e32 v59, v5, v69
	v_add_f32_e32 v3, v3, v4
	v_mul_f32_e32 v4, v17, v62
	v_fmac_f32_e32 v82, v7, v70
	v_add_f32_e32 v5, 0, v59
	s_waitcnt vmcnt(24)
	v_fma_f32 v4, v16, v75, -v4
	v_fmac_f32_e32 v83, v9, v71
	v_add_f32_e32 v5, v5, v82
	v_add_f32_e32 v3, v3, v4
	v_mul_f32_e32 v4, v19, v63
	v_fmac_f32_e32 v84, v11, v72
	v_add_f32_e32 v5, v5, v83
	s_waitcnt vmcnt(23)
	v_fma_f32 v4, v18, v76, -v4
	v_fmac_f32_e32 v85, v13, v73
	v_add_f32_e32 v5, v5, v84
	;; [unrolled: 8-line block ×4, first 2 shown]
	v_add_f32_e32 v3, v3, v4
	v_mul_f32_e32 v4, v25, v66
	v_fmac_f32_e32 v90, v23, v78
	v_add_f32_e32 v5, v5, v89
	s_waitcnt vmcnt(20)
	v_fma_f32 v4, v24, v79, -v4
	s_waitcnt vmcnt(13)
	v_mov_b32_e32 v16, v41
	v_fmac_f32_e32 v91, v25, v79
	v_add_f32_e32 v5, v5, v90
	v_add_f32_e32 v58, v3, v4
	v_mul_f32_e32 v3, v27, v67
	s_waitcnt lgkmcnt(1)
	v_pk_mul_f32 v[16:17], v[30:31], v[16:17] op_sel_hi:[1,0]
	v_mul_f32_e32 v57, v28, v68
	v_fmac_f32_e32 v55, v27, v80
	v_add_f32_e32 v59, v5, v91
	v_fma_f32 v54, v26, v80, -v3
	v_mul_f32_e32 v3, v29, v68
	s_waitcnt vmcnt(12)
	v_pk_fma_f32 v[18:19], v[30:31], v[40:41], v[16:17] op_sel:[0,0,1] op_sel_hi:[1,1,0] neg_lo:[0,0,1] neg_hi:[0,0,1]
	v_pk_fma_f32 v[16:17], v[30:31], v[40:41], v[16:17] op_sel:[0,0,1] op_sel_hi:[1,0,0]
	v_fmac_f32_e32 v57, v29, v81
	v_fma_f32 v56, v28, v81, -v3
	v_pk_add_f32 v[14:15], v[58:59], v[54:55]
	v_mov_b32_e32 v16, v39
	v_pk_add_f32 v[14:15], v[14:15], v[56:57]
	v_mov_b32_e32 v19, v17
	s_waitcnt lgkmcnt(0)
	v_pk_mul_f32 v[16:17], v[32:33], v[16:17] op_sel_hi:[1,0]
	v_pk_add_f32 v[14:15], v[14:15], v[18:19]
	v_pk_fma_f32 v[18:19], v[32:33], v[38:39], v[16:17] op_sel:[0,0,1] op_sel_hi:[1,1,0] neg_lo:[0,0,1] neg_hi:[0,0,1]
	v_pk_fma_f32 v[16:17], v[32:33], v[38:39], v[16:17] op_sel:[0,0,1] op_sel_hi:[1,0,0]
	s_waitcnt vmcnt(5)
	v_mov_b32_e32 v16, v49
	ds_read2_b64 v[4:7], v2 offset0:119 offset1:120
	ds_read2_b64 v[8:11], v2 offset0:121 offset1:122
	ds_read_b64 v[12:13], v2 offset:984
	v_mov_b32_e32 v19, v17
	v_pk_mul_f32 v[16:17], v[34:35], v[16:17] op_sel_hi:[1,0]
	v_pk_add_f32 v[14:15], v[14:15], v[18:19]
	s_waitcnt vmcnt(4)
	v_pk_fma_f32 v[18:19], v[34:35], v[48:49], v[16:17] op_sel:[0,0,1] op_sel_hi:[1,1,0] neg_lo:[0,0,1] neg_hi:[0,0,1]
	v_pk_fma_f32 v[16:17], v[34:35], v[48:49], v[16:17] op_sel:[0,0,1] op_sel_hi:[1,0,0]
	v_mov_b32_e32 v16, v47
	v_mov_b32_e32 v19, v17
	s_waitcnt lgkmcnt(2)
	v_pk_mul_f32 v[16:17], v[4:5], v[16:17] op_sel_hi:[1,0]
	v_pk_add_f32 v[14:15], v[14:15], v[18:19]
	v_pk_fma_f32 v[18:19], v[4:5], v[46:47], v[16:17] op_sel:[0,0,1] op_sel_hi:[1,1,0] neg_lo:[0,0,1] neg_hi:[0,0,1]
	v_pk_fma_f32 v[4:5], v[4:5], v[46:47], v[16:17] op_sel:[0,0,1] op_sel_hi:[1,0,0]
	v_mov_b32_e32 v19, v5
	v_pk_add_f32 v[4:5], v[14:15], v[18:19]
	v_mov_b32_e32 v14, v45
	v_pk_mul_f32 v[14:15], v[6:7], v[14:15] op_sel_hi:[1,0]
	v_pk_fma_f32 v[16:17], v[6:7], v[44:45], v[14:15] op_sel:[0,0,1] op_sel_hi:[1,1,0] neg_lo:[0,0,1] neg_hi:[0,0,1]
	v_pk_fma_f32 v[6:7], v[6:7], v[44:45], v[14:15] op_sel:[0,0,1] op_sel_hi:[1,0,0]
	v_mov_b32_e32 v6, v43
	v_mov_b32_e32 v17, v7
	s_waitcnt lgkmcnt(1)
	v_pk_mul_f32 v[6:7], v[8:9], v[6:7] op_sel_hi:[1,0]
	v_pk_fma_f32 v[14:15], v[8:9], v[42:43], v[6:7] op_sel:[0,0,1] op_sel_hi:[1,1,0] neg_lo:[0,0,1] neg_hi:[0,0,1]
	v_pk_fma_f32 v[6:7], v[8:9], v[42:43], v[6:7] op_sel:[0,0,1] op_sel_hi:[1,0,0]
	s_waitcnt vmcnt(1)
	v_mov_b32_e32 v6, v53
	v_mov_b32_e32 v15, v7
	v_pk_mul_f32 v[6:7], v[10:11], v[6:7] op_sel_hi:[1,0]
	s_waitcnt vmcnt(0)
	v_pk_fma_f32 v[8:9], v[10:11], v[52:53], v[6:7] op_sel:[0,0,1] op_sel_hi:[1,1,0] neg_lo:[0,0,1] neg_hi:[0,0,1]
	v_pk_fma_f32 v[6:7], v[10:11], v[52:53], v[6:7] op_sel:[0,0,1] op_sel_hi:[1,0,0]
	v_pk_add_f32 v[4:5], v[4:5], v[16:17]
	v_mov_b32_e32 v6, v51
	v_pk_add_f32 v[4:5], v[4:5], v[14:15]
	v_mov_b32_e32 v9, v7
	s_waitcnt lgkmcnt(0)
	v_pk_mul_f32 v[6:7], v[12:13], v[6:7] op_sel_hi:[1,0]
	v_pk_add_f32 v[4:5], v[4:5], v[8:9]
	v_pk_fma_f32 v[8:9], v[12:13], v[50:51], v[6:7] op_sel:[0,0,1] op_sel_hi:[1,1,0] neg_lo:[0,0,1] neg_hi:[0,0,1]
	v_pk_fma_f32 v[6:7], v[12:13], v[50:51], v[6:7] op_sel:[0,0,1] op_sel_hi:[1,0,0]
	v_mov_b32_e32 v9, v7
	v_pk_add_f32 v[4:5], v[4:5], v[8:9]
	v_pk_add_f32 v[4:5], v[36:37], v[4:5] neg_lo:[0,1] neg_hi:[0,1]
	buffer_store_dword v5, off, s[0:3], 0 offset:324
	buffer_store_dword v4, off, s[0:3], 0 offset:320
	s_and_saveexec_b64 s[4:5], vcc
	s_cbranch_execz .LBB61_307
; %bb.306:
	buffer_load_dword v4, off, s[0:3], 0 offset:312
	buffer_load_dword v5, off, s[0:3], 0 offset:316
	s_waitcnt vmcnt(0)
	ds_write_b64 v210, v[4:5]
	buffer_store_dword v2, off, s[0:3], 0 offset:312
	buffer_store_dword v2, off, s[0:3], 0 offset:316
.LBB61_307:
	s_or_b64 exec, exec, s[4:5]
	s_waitcnt lgkmcnt(0)
	; wave barrier
	s_waitcnt lgkmcnt(0)
	buffer_load_dword v3, off, s[0:3], 0 offset:324
	buffer_load_dword v54, off, s[0:3], 0 offset:332
	;; [unrolled: 1-line block ×30, first 2 shown]
	ds_read_b128 v[4:7], v2 offset:816
	ds_read_b128 v[8:11], v2 offset:832
	;; [unrolled: 1-line block ×6, first 2 shown]
	buffer_load_dword v39, off, s[0:3], 0 offset:436
	buffer_load_dword v38, off, s[0:3], 0 offset:432
	ds_read_b128 v[28:31], v2 offset:912
	ds_read_b128 v[32:35], v2 offset:928
	buffer_load_dword v41, off, s[0:3], 0 offset:468
	buffer_load_dword v40, off, s[0:3], 0 offset:464
	buffer_load_dword v43, off, s[0:3], 0 offset:460
	buffer_load_dword v42, off, s[0:3], 0 offset:456
	buffer_load_dword v45, off, s[0:3], 0 offset:452
	buffer_load_dword v44, off, s[0:3], 0 offset:448
	buffer_load_dword v47, off, s[0:3], 0 offset:444
	buffer_load_dword v46, off, s[0:3], 0 offset:440
	buffer_load_dword v49, off, s[0:3], 0 offset:492
	buffer_load_dword v48, off, s[0:3], 0 offset:488
	buffer_load_dword v51, off, s[0:3], 0 offset:484
	buffer_load_dword v50, off, s[0:3], 0 offset:480
	buffer_load_dword v53, off, s[0:3], 0 offset:476
	buffer_load_dword v52, off, s[0:3], 0 offset:472
	v_cmp_lt_u32_e32 vcc, 38, v0
	s_waitcnt vmcnt(45) lgkmcnt(7)
	v_mul_f32_e32 v57, v4, v3
	v_mul_f32_e32 v3, v5, v3
	s_waitcnt vmcnt(44)
	v_mul_f32_e32 v59, v6, v54
	s_waitcnt vmcnt(43) lgkmcnt(6)
	v_mul_f32_e32 v84, v8, v56
	s_waitcnt vmcnt(42)
	v_mul_f32_e32 v85, v10, v58
	s_waitcnt vmcnt(41) lgkmcnt(5)
	;; [unrolled: 4-line block ×5, first 2 shown]
	v_mul_f32_e32 v92, v24, v66
	s_waitcnt vmcnt(34)
	v_mul_f32_e32 v93, v26, v67
	s_waitcnt vmcnt(32)
	v_fma_f32 v3, v4, v69, -v3
	v_mul_f32_e32 v4, v7, v54
	v_add_f32_e32 v3, 0, v3
	s_waitcnt vmcnt(31)
	v_fma_f32 v4, v6, v70, -v4
	v_add_f32_e32 v3, v3, v4
	v_mul_f32_e32 v4, v9, v56
	s_waitcnt vmcnt(30)
	v_fma_f32 v4, v8, v71, -v4
	v_add_f32_e32 v3, v3, v4
	v_mul_f32_e32 v4, v11, v58
	;; [unrolled: 4-line block ×5, first 2 shown]
	v_fmac_f32_e32 v57, v5, v69
	s_waitcnt vmcnt(26)
	v_fma_f32 v4, v16, v75, -v4
	v_fmac_f32_e32 v59, v7, v70
	v_add_f32_e32 v57, 0, v57
	v_add_f32_e32 v3, v3, v4
	v_mul_f32_e32 v4, v19, v63
	v_fmac_f32_e32 v84, v9, v71
	v_add_f32_e32 v57, v57, v59
	s_waitcnt vmcnt(25)
	v_fma_f32 v4, v18, v76, -v4
	v_fmac_f32_e32 v85, v11, v72
	v_add_f32_e32 v57, v57, v84
	v_add_f32_e32 v3, v3, v4
	v_mul_f32_e32 v4, v21, v64
	v_fmac_f32_e32 v86, v13, v73
	v_add_f32_e32 v57, v57, v85
	;; [unrolled: 8-line block ×5, first 2 shown]
	s_waitcnt vmcnt(21)
	v_fma_f32 v4, v26, v80, -v4
	s_waitcnt vmcnt(15)
	v_mov_b32_e32 v16, v39
	s_waitcnt lgkmcnt(1)
	v_mul_f32_e32 v55, v28, v68
	v_fmac_f32_e32 v93, v27, v80
	v_add_f32_e32 v57, v57, v92
	v_add_f32_e32 v56, v3, v4
	v_mul_f32_e32 v3, v29, v68
	s_waitcnt lgkmcnt(0)
	v_pk_mul_f32 v[16:17], v[32:33], v[16:17] op_sel_hi:[1,0]
	v_fmac_f32_e32 v55, v29, v81
	v_add_f32_e32 v57, v57, v93
	v_mul_f32_e32 v59, v30, v82
	v_fma_f32 v54, v28, v81, -v3
	v_mul_f32_e32 v3, v31, v82
	s_waitcnt vmcnt(14)
	v_pk_fma_f32 v[18:19], v[32:33], v[38:39], v[16:17] op_sel:[0,0,1] op_sel_hi:[1,1,0] neg_lo:[0,0,1] neg_hi:[0,0,1]
	v_pk_fma_f32 v[16:17], v[32:33], v[38:39], v[16:17] op_sel:[0,0,1] op_sel_hi:[1,0,0]
	v_fmac_f32_e32 v59, v31, v83
	v_fma_f32 v58, v30, v83, -v3
	ds_read_b128 v[4:7], v2 offset:944
	ds_read_b128 v[8:11], v2 offset:960
	;; [unrolled: 1-line block ×3, first 2 shown]
	v_pk_add_f32 v[2:3], v[56:57], v[54:55]
	s_waitcnt vmcnt(7)
	v_mov_b32_e32 v16, v47
	v_pk_add_f32 v[2:3], v[2:3], v[58:59]
	v_mov_b32_e32 v19, v17
	v_pk_mul_f32 v[16:17], v[34:35], v[16:17] op_sel_hi:[1,0]
	v_pk_add_f32 v[2:3], v[2:3], v[18:19]
	s_waitcnt vmcnt(6)
	v_pk_fma_f32 v[18:19], v[34:35], v[46:47], v[16:17] op_sel:[0,0,1] op_sel_hi:[1,1,0] neg_lo:[0,0,1] neg_hi:[0,0,1]
	v_pk_fma_f32 v[16:17], v[34:35], v[46:47], v[16:17] op_sel:[0,0,1] op_sel_hi:[1,0,0]
	v_mov_b32_e32 v16, v45
	v_mov_b32_e32 v19, v17
	s_waitcnt lgkmcnt(2)
	v_pk_mul_f32 v[16:17], v[4:5], v[16:17] op_sel_hi:[1,0]
	v_pk_add_f32 v[2:3], v[2:3], v[18:19]
	v_pk_fma_f32 v[18:19], v[4:5], v[44:45], v[16:17] op_sel:[0,0,1] op_sel_hi:[1,1,0] neg_lo:[0,0,1] neg_hi:[0,0,1]
	v_pk_fma_f32 v[4:5], v[4:5], v[44:45], v[16:17] op_sel:[0,0,1] op_sel_hi:[1,0,0]
	v_mov_b32_e32 v4, v43
	v_mov_b32_e32 v19, v5
	v_pk_mul_f32 v[4:5], v[6:7], v[4:5] op_sel_hi:[1,0]
	v_pk_fma_f32 v[16:17], v[6:7], v[42:43], v[4:5] op_sel:[0,0,1] op_sel_hi:[1,1,0] neg_lo:[0,0,1] neg_hi:[0,0,1]
	v_pk_fma_f32 v[4:5], v[6:7], v[42:43], v[4:5] op_sel:[0,0,1] op_sel_hi:[1,0,0]
	v_mov_b32_e32 v4, v41
	v_mov_b32_e32 v17, v5
	s_waitcnt lgkmcnt(1)
	v_pk_mul_f32 v[4:5], v[8:9], v[4:5] op_sel_hi:[1,0]
	v_pk_fma_f32 v[6:7], v[8:9], v[40:41], v[4:5] op_sel:[0,0,1] op_sel_hi:[1,1,0] neg_lo:[0,0,1] neg_hi:[0,0,1]
	v_pk_fma_f32 v[4:5], v[8:9], v[40:41], v[4:5] op_sel:[0,0,1] op_sel_hi:[1,0,0]
	v_pk_add_f32 v[2:3], v[2:3], v[18:19]
	s_waitcnt vmcnt(1)
	v_mov_b32_e32 v4, v53
	v_pk_add_f32 v[2:3], v[2:3], v[16:17]
	v_mov_b32_e32 v7, v5
	v_pk_mul_f32 v[4:5], v[10:11], v[4:5] op_sel_hi:[1,0]
	v_pk_add_f32 v[2:3], v[2:3], v[6:7]
	s_waitcnt vmcnt(0)
	v_pk_fma_f32 v[6:7], v[10:11], v[52:53], v[4:5] op_sel:[0,0,1] op_sel_hi:[1,1,0] neg_lo:[0,0,1] neg_hi:[0,0,1]
	v_pk_fma_f32 v[4:5], v[10:11], v[52:53], v[4:5] op_sel:[0,0,1] op_sel_hi:[1,0,0]
	v_mov_b32_e32 v4, v51
	v_mov_b32_e32 v7, v5
	s_waitcnt lgkmcnt(0)
	v_pk_mul_f32 v[4:5], v[12:13], v[4:5] op_sel_hi:[1,0]
	v_pk_add_f32 v[2:3], v[2:3], v[6:7]
	v_pk_fma_f32 v[6:7], v[12:13], v[50:51], v[4:5] op_sel:[0,0,1] op_sel_hi:[1,1,0] neg_lo:[0,0,1] neg_hi:[0,0,1]
	v_pk_fma_f32 v[4:5], v[12:13], v[50:51], v[4:5] op_sel:[0,0,1] op_sel_hi:[1,0,0]
	v_mov_b32_e32 v4, v49
	v_mov_b32_e32 v7, v5
	v_pk_mul_f32 v[4:5], v[14:15], v[4:5] op_sel_hi:[1,0]
	v_pk_add_f32 v[2:3], v[2:3], v[6:7]
	v_pk_fma_f32 v[6:7], v[14:15], v[48:49], v[4:5] op_sel:[0,0,1] op_sel_hi:[1,1,0] neg_lo:[0,0,1] neg_hi:[0,0,1]
	v_pk_fma_f32 v[4:5], v[14:15], v[48:49], v[4:5] op_sel:[0,0,1] op_sel_hi:[1,0,0]
	v_mov_b32_e32 v7, v5
	v_pk_add_f32 v[2:3], v[2:3], v[6:7]
	v_pk_add_f32 v[2:3], v[36:37], v[2:3] neg_lo:[0,1] neg_hi:[0,1]
	buffer_store_dword v3, off, s[0:3], 0 offset:316
	buffer_store_dword v2, off, s[0:3], 0 offset:312
	s_and_saveexec_b64 s[4:5], vcc
	s_cbranch_execz .LBB61_309
; %bb.308:
	buffer_load_dword v2, off, s[0:3], 0 offset:304
	buffer_load_dword v3, off, s[0:3], 0 offset:308
	v_mov_b32_e32 v4, 0
	buffer_store_dword v4, off, s[0:3], 0 offset:304
	buffer_store_dword v4, off, s[0:3], 0 offset:308
	s_waitcnt vmcnt(2)
	ds_write_b64 v210, v[2:3]
.LBB61_309:
	s_or_b64 exec, exec, s[4:5]
	s_waitcnt lgkmcnt(0)
	; wave barrier
	s_waitcnt lgkmcnt(0)
	buffer_load_dword v3, off, s[0:3], 0 offset:316
	buffer_load_dword v52, off, s[0:3], 0 offset:324
	;; [unrolled: 1-line block ×32, first 2 shown]
	v_mov_b32_e32 v2, 0
	buffer_load_dword v39, off, s[0:3], 0 offset:460
	buffer_load_dword v38, off, s[0:3], 0 offset:456
	;; [unrolled: 1-line block ×13, first 2 shown]
	ds_read2_b64 v[4:7], v2 offset0:101 offset1:102
	ds_read2_b64 v[8:11], v2 offset0:103 offset1:104
	ds_read2_b64 v[12:15], v2 offset0:105 offset1:106
	ds_read2_b64 v[16:19], v2 offset0:107 offset1:108
	ds_read2_b64 v[20:23], v2 offset0:109 offset1:110
	ds_read2_b64 v[24:27], v2 offset0:111 offset1:112
	ds_read2_b64 v[28:31], v2 offset0:113 offset1:114
	ds_read2_b64 v[32:35], v2 offset0:115 offset1:116
	v_cmp_lt_u32_e32 vcc, 37, v0
	s_waitcnt vmcnt(44) lgkmcnt(7)
	v_mul_f32_e32 v46, v4, v3
	s_waitcnt vmcnt(43)
	v_mul_f32_e32 v53, v6, v52
	s_waitcnt vmcnt(42) lgkmcnt(6)
	v_mul_f32_e32 v54, v8, v56
	s_waitcnt vmcnt(41)
	v_mul_f32_e32 v55, v10, v58
	;; [unrolled: 4-line block ×6, first 2 shown]
	s_waitcnt vmcnt(32) lgkmcnt(1)
	v_mul_f32_e32 v92, v28, v68
	s_waitcnt vmcnt(31)
	v_fmac_f32_e32 v46, v5, v69
	s_waitcnt vmcnt(30)
	v_fmac_f32_e32 v53, v7, v70
	v_add_f32_e32 v46, 0, v46
	s_waitcnt vmcnt(29)
	v_fmac_f32_e32 v54, v9, v71
	v_add_f32_e32 v46, v46, v53
	s_waitcnt vmcnt(28)
	v_fmac_f32_e32 v55, v11, v72
	v_add_f32_e32 v46, v46, v54
	s_waitcnt vmcnt(27)
	v_fmac_f32_e32 v57, v13, v73
	v_add_f32_e32 v46, v46, v55
	s_waitcnt vmcnt(26)
	v_fmac_f32_e32 v59, v15, v74
	v_add_f32_e32 v46, v46, v57
	s_waitcnt vmcnt(25)
	v_fmac_f32_e32 v86, v17, v75
	v_add_f32_e32 v46, v46, v59
	s_waitcnt vmcnt(24)
	v_fmac_f32_e32 v87, v19, v76
	v_add_f32_e32 v46, v46, v86
	s_waitcnt vmcnt(23)
	v_fmac_f32_e32 v88, v21, v77
	v_add_f32_e32 v46, v46, v87
	s_waitcnt vmcnt(22)
	v_fmac_f32_e32 v89, v23, v78
	v_add_f32_e32 v46, v46, v88
	s_waitcnt vmcnt(21)
	v_fmac_f32_e32 v90, v25, v79
	v_add_f32_e32 v46, v46, v89
	s_waitcnt vmcnt(20)
	v_fmac_f32_e32 v91, v27, v80
	v_add_f32_e32 v46, v46, v90
	s_waitcnt vmcnt(19)
	v_fmac_f32_e32 v92, v29, v81
	v_add_f32_e32 v46, v46, v91
	v_add_f32_e32 v53, v46, v92
	buffer_load_dword v55, off, s[0:3], 0 offset:476
	buffer_load_dword v54, off, s[0:3], 0 offset:472
	;; [unrolled: 1-line block ×3, first 2 shown]
	v_mul_f32_e32 v3, v5, v3
	v_fma_f32 v3, v4, v69, -v3
	v_mul_f32_e32 v4, v7, v52
	v_add_f32_e32 v3, 0, v3
	v_fma_f32 v4, v6, v70, -v4
	v_add_f32_e32 v3, v3, v4
	v_mul_f32_e32 v4, v9, v56
	v_fma_f32 v4, v8, v71, -v4
	v_add_f32_e32 v3, v3, v4
	v_mul_f32_e32 v4, v11, v58
	;; [unrolled: 3-line block ×11, first 2 shown]
	v_fma_f32 v4, v28, v81, -v4
	s_waitcnt vmcnt(9)
	v_mov_b32_e32 v20, v45
	v_mul_f32_e32 v57, v30, v82
	v_add_f32_e32 v52, v3, v4
	v_mul_f32_e32 v3, v31, v82
	s_waitcnt lgkmcnt(0)
	v_pk_mul_f32 v[20:21], v[34:35], v[20:21] op_sel_hi:[1,0]
	v_fmac_f32_e32 v57, v31, v83
	v_mul_f32_e32 v59, v32, v84
	v_fma_f32 v56, v30, v83, -v3
	v_mul_f32_e32 v3, v33, v84
	ds_read2_b64 v[4:7], v2 offset0:117 offset1:118
	ds_read2_b64 v[8:11], v2 offset0:119 offset1:120
	;; [unrolled: 1-line block ×3, first 2 shown]
	ds_read_b64 v[16:17], v2 offset:984
	s_waitcnt vmcnt(8)
	v_pk_fma_f32 v[22:23], v[34:35], v[44:45], v[20:21] op_sel:[0,0,1] op_sel_hi:[1,1,0] neg_lo:[0,0,1] neg_hi:[0,0,1]
	v_pk_fma_f32 v[20:21], v[34:35], v[44:45], v[20:21] op_sel:[0,0,1] op_sel_hi:[1,0,0]
	v_fmac_f32_e32 v59, v33, v85
	v_fma_f32 v58, v32, v85, -v3
	v_pk_add_f32 v[18:19], v[52:53], v[56:57]
	v_mov_b32_e32 v20, v43
	v_pk_add_f32 v[18:19], v[18:19], v[58:59]
	v_mov_b32_e32 v23, v21
	s_waitcnt lgkmcnt(3)
	v_pk_mul_f32 v[20:21], v[4:5], v[20:21] op_sel_hi:[1,0]
	v_pk_add_f32 v[18:19], v[18:19], v[22:23]
	v_pk_fma_f32 v[22:23], v[4:5], v[42:43], v[20:21] op_sel:[0,0,1] op_sel_hi:[1,1,0] neg_lo:[0,0,1] neg_hi:[0,0,1]
	v_pk_fma_f32 v[4:5], v[4:5], v[42:43], v[20:21] op_sel:[0,0,1] op_sel_hi:[1,0,0]
	v_mov_b32_e32 v23, v5
	v_pk_add_f32 v[4:5], v[18:19], v[22:23]
	v_mov_b32_e32 v18, v41
	v_pk_mul_f32 v[18:19], v[6:7], v[18:19] op_sel_hi:[1,0]
	v_pk_fma_f32 v[20:21], v[6:7], v[40:41], v[18:19] op_sel:[0,0,1] op_sel_hi:[1,1,0] neg_lo:[0,0,1] neg_hi:[0,0,1]
	v_pk_fma_f32 v[6:7], v[6:7], v[40:41], v[18:19] op_sel:[0,0,1] op_sel_hi:[1,0,0]
	v_mov_b32_e32 v6, v39
	v_mov_b32_e32 v21, v7
	s_waitcnt lgkmcnt(2)
	v_pk_mul_f32 v[6:7], v[8:9], v[6:7] op_sel_hi:[1,0]
	v_pk_fma_f32 v[18:19], v[8:9], v[38:39], v[6:7] op_sel:[0,0,1] op_sel_hi:[1,1,0] neg_lo:[0,0,1] neg_hi:[0,0,1]
	v_pk_fma_f32 v[6:7], v[8:9], v[38:39], v[6:7] op_sel:[0,0,1] op_sel_hi:[1,0,0]
	s_waitcnt vmcnt(7)
	v_mov_b32_e32 v6, v47
	v_mov_b32_e32 v19, v7
	v_pk_mul_f32 v[6:7], v[10:11], v[6:7] op_sel_hi:[1,0]
	v_pk_add_f32 v[4:5], v[4:5], v[20:21]
	v_pk_add_f32 v[4:5], v[4:5], v[18:19]
	s_waitcnt vmcnt(0)
	v_pk_fma_f32 v[8:9], v[10:11], v[46:47], v[6:7] op_sel:[0,0,1] op_sel_hi:[1,1,0] neg_lo:[0,0,1] neg_hi:[0,0,1]
	v_pk_fma_f32 v[6:7], v[10:11], v[46:47], v[6:7] op_sel:[0,0,1] op_sel_hi:[1,0,0]
	v_mov_b32_e32 v6, v55
	v_mov_b32_e32 v9, v7
	s_waitcnt lgkmcnt(1)
	v_pk_mul_f32 v[6:7], v[12:13], v[6:7] op_sel_hi:[1,0]
	v_pk_add_f32 v[4:5], v[4:5], v[8:9]
	v_pk_fma_f32 v[8:9], v[12:13], v[54:55], v[6:7] op_sel:[0,0,1] op_sel_hi:[1,1,0] neg_lo:[0,0,1] neg_hi:[0,0,1]
	v_pk_fma_f32 v[6:7], v[12:13], v[54:55], v[6:7] op_sel:[0,0,1] op_sel_hi:[1,0,0]
	v_mov_b32_e32 v6, v51
	v_mov_b32_e32 v9, v7
	v_pk_mul_f32 v[6:7], v[14:15], v[6:7] op_sel_hi:[1,0]
	v_pk_add_f32 v[4:5], v[4:5], v[8:9]
	v_pk_fma_f32 v[8:9], v[14:15], v[50:51], v[6:7] op_sel:[0,0,1] op_sel_hi:[1,1,0] neg_lo:[0,0,1] neg_hi:[0,0,1]
	v_pk_fma_f32 v[6:7], v[14:15], v[50:51], v[6:7] op_sel:[0,0,1] op_sel_hi:[1,0,0]
	v_mov_b32_e32 v6, v49
	v_mov_b32_e32 v9, v7
	s_waitcnt lgkmcnt(0)
	v_pk_mul_f32 v[6:7], v[16:17], v[6:7] op_sel_hi:[1,0]
	v_pk_add_f32 v[4:5], v[4:5], v[8:9]
	v_pk_fma_f32 v[8:9], v[16:17], v[48:49], v[6:7] op_sel:[0,0,1] op_sel_hi:[1,1,0] neg_lo:[0,0,1] neg_hi:[0,0,1]
	v_pk_fma_f32 v[6:7], v[16:17], v[48:49], v[6:7] op_sel:[0,0,1] op_sel_hi:[1,0,0]
	v_mov_b32_e32 v9, v7
	v_pk_add_f32 v[4:5], v[4:5], v[8:9]
	v_pk_add_f32 v[4:5], v[36:37], v[4:5] neg_lo:[0,1] neg_hi:[0,1]
	buffer_store_dword v5, off, s[0:3], 0 offset:308
	buffer_store_dword v4, off, s[0:3], 0 offset:304
	s_and_saveexec_b64 s[4:5], vcc
	s_cbranch_execz .LBB61_311
; %bb.310:
	buffer_load_dword v4, off, s[0:3], 0 offset:296
	buffer_load_dword v5, off, s[0:3], 0 offset:300
	s_waitcnt vmcnt(0)
	ds_write_b64 v210, v[4:5]
	buffer_store_dword v2, off, s[0:3], 0 offset:296
	buffer_store_dword v2, off, s[0:3], 0 offset:300
.LBB61_311:
	s_or_b64 exec, exec, s[4:5]
	s_waitcnt lgkmcnt(0)
	; wave barrier
	s_waitcnt lgkmcnt(0)
	buffer_load_dword v3, off, s[0:3], 0 offset:308
	buffer_load_dword v52, off, s[0:3], 0 offset:316
	;; [unrolled: 1-line block ×34, first 2 shown]
	ds_read_b128 v[4:7], v2 offset:800
	ds_read_b128 v[8:11], v2 offset:816
	;; [unrolled: 1-line block ×8, first 2 shown]
	buffer_load_dword v39, off, s[0:3], 0 offset:452
	buffer_load_dword v38, off, s[0:3], 0 offset:448
	;; [unrolled: 1-line block ×9, first 2 shown]
	v_cmp_lt_u32_e32 vcc, 36, v0
	s_waitcnt vmcnt(42) lgkmcnt(7)
	v_mul_f32_e32 v44, v4, v3
	s_waitcnt vmcnt(41)
	v_mul_f32_e32 v48, v6, v52
	s_waitcnt vmcnt(40) lgkmcnt(6)
	v_mul_f32_e32 v49, v8, v54
	s_waitcnt vmcnt(39)
	v_mul_f32_e32 v50, v10, v56
	;; [unrolled: 4-line block ×6, first 2 shown]
	s_waitcnt vmcnt(30) lgkmcnt(1)
	v_mul_f32_e32 v90, v28, v68
	v_mul_f32_e32 v3, v5, v3
	s_waitcnt vmcnt(28)
	v_fmac_f32_e32 v44, v5, v70
	s_waitcnt vmcnt(27)
	v_fmac_f32_e32 v48, v7, v71
	v_add_f32_e32 v44, 0, v44
	s_waitcnt vmcnt(26)
	v_fmac_f32_e32 v49, v9, v72
	v_add_f32_e32 v44, v44, v48
	;; [unrolled: 3-line block ×12, first 2 shown]
	v_add_f32_e32 v53, v44, v90
	buffer_load_dword v49, off, s[0:3], 0 offset:476
	buffer_load_dword v48, off, s[0:3], 0 offset:472
	;; [unrolled: 1-line block ×7, first 2 shown]
	v_fma_f32 v3, v4, v70, -v3
	v_mul_f32_e32 v4, v7, v52
	v_add_f32_e32 v3, 0, v3
	v_fma_f32 v4, v6, v71, -v4
	v_add_f32_e32 v3, v3, v4
	v_mul_f32_e32 v4, v9, v54
	v_fma_f32 v4, v8, v72, -v4
	v_add_f32_e32 v3, v3, v4
	v_mul_f32_e32 v4, v11, v56
	;; [unrolled: 3-line block ×12, first 2 shown]
	s_waitcnt vmcnt(22)
	v_fma_f32 v4, v30, v83, -v4
	v_add_f32_e32 v52, v3, v4
	ds_read_b128 v[4:7], v2 offset:928
	ds_read_b128 v[8:11], v2 offset:944
	;; [unrolled: 1-line block ×4, first 2 shown]
	s_waitcnt vmcnt(11)
	v_mov_b32_e32 v20, v43
	s_waitcnt lgkmcnt(3)
	v_pk_mul_f32 v[20:21], v[4:5], v[20:21] op_sel_hi:[1,0]
	s_waitcnt vmcnt(10)
	v_pk_fma_f32 v[22:23], v[4:5], v[42:43], v[20:21] op_sel:[0,0,1] op_sel_hi:[1,1,0] neg_lo:[0,0,1] neg_hi:[0,0,1]
	v_pk_fma_f32 v[4:5], v[4:5], v[42:43], v[20:21] op_sel:[0,0,1] op_sel_hi:[1,0,0]
	v_mov_b32_e32 v4, v41
	v_mul_f32_e32 v91, v30, v69
	v_mov_b32_e32 v23, v5
	v_pk_mul_f32 v[4:5], v[6:7], v[4:5] op_sel_hi:[1,0]
	v_fmac_f32_e32 v91, v31, v83
	v_mul_f32_e32 v55, v32, v84
	v_mul_f32_e32 v3, v33, v84
	v_pk_fma_f32 v[20:21], v[6:7], v[40:41], v[4:5] op_sel:[0,0,1] op_sel_hi:[1,1,0] neg_lo:[0,0,1] neg_hi:[0,0,1]
	v_pk_fma_f32 v[4:5], v[6:7], v[40:41], v[4:5] op_sel:[0,0,1] op_sel_hi:[1,0,0]
	v_add_f32_e32 v53, v53, v91
	v_fmac_f32_e32 v55, v33, v85
	v_mul_f32_e32 v57, v34, v86
	v_fma_f32 v54, v32, v85, -v3
	v_mul_f32_e32 v3, v35, v86
	v_mov_b32_e32 v4, v39
	v_fmac_f32_e32 v57, v35, v87
	v_fma_f32 v56, v34, v87, -v3
	v_pk_add_f32 v[2:3], v[52:53], v[54:55]
	v_mov_b32_e32 v21, v5
	s_waitcnt lgkmcnt(2)
	v_pk_mul_f32 v[4:5], v[8:9], v[4:5] op_sel_hi:[1,0]
	v_pk_add_f32 v[2:3], v[2:3], v[56:57]
	v_pk_fma_f32 v[6:7], v[8:9], v[38:39], v[4:5] op_sel:[0,0,1] op_sel_hi:[1,1,0] neg_lo:[0,0,1] neg_hi:[0,0,1]
	v_pk_fma_f32 v[4:5], v[8:9], v[38:39], v[4:5] op_sel:[0,0,1] op_sel_hi:[1,0,0]
	v_pk_add_f32 v[2:3], v[2:3], v[22:23]
	s_waitcnt vmcnt(9)
	v_mov_b32_e32 v4, v45
	v_pk_add_f32 v[2:3], v[2:3], v[20:21]
	v_mov_b32_e32 v7, v5
	v_pk_mul_f32 v[4:5], v[10:11], v[4:5] op_sel_hi:[1,0]
	v_pk_add_f32 v[2:3], v[2:3], v[6:7]
	s_waitcnt vmcnt(2)
	v_pk_fma_f32 v[6:7], v[10:11], v[44:45], v[4:5] op_sel:[0,0,1] op_sel_hi:[1,1,0] neg_lo:[0,0,1] neg_hi:[0,0,1]
	v_pk_fma_f32 v[4:5], v[10:11], v[44:45], v[4:5] op_sel:[0,0,1] op_sel_hi:[1,0,0]
	v_mov_b32_e32 v4, v51
	v_mov_b32_e32 v7, v5
	s_waitcnt lgkmcnt(1)
	v_pk_mul_f32 v[4:5], v[12:13], v[4:5] op_sel_hi:[1,0]
	v_pk_add_f32 v[2:3], v[2:3], v[6:7]
	v_pk_fma_f32 v[6:7], v[12:13], v[50:51], v[4:5] op_sel:[0,0,1] op_sel_hi:[1,1,0] neg_lo:[0,0,1] neg_hi:[0,0,1]
	v_pk_fma_f32 v[4:5], v[12:13], v[50:51], v[4:5] op_sel:[0,0,1] op_sel_hi:[1,0,0]
	v_mov_b32_e32 v4, v49
	v_mov_b32_e32 v7, v5
	v_pk_mul_f32 v[4:5], v[14:15], v[4:5] op_sel_hi:[1,0]
	v_pk_add_f32 v[2:3], v[2:3], v[6:7]
	v_pk_fma_f32 v[6:7], v[14:15], v[48:49], v[4:5] op_sel:[0,0,1] op_sel_hi:[1,1,0] neg_lo:[0,0,1] neg_hi:[0,0,1]
	v_pk_fma_f32 v[4:5], v[14:15], v[48:49], v[4:5] op_sel:[0,0,1] op_sel_hi:[1,0,0]
	v_mov_b32_e32 v4, v47
	v_mov_b32_e32 v7, v5
	s_waitcnt lgkmcnt(0)
	v_pk_mul_f32 v[4:5], v[16:17], v[4:5] op_sel_hi:[1,0]
	v_pk_add_f32 v[2:3], v[2:3], v[6:7]
	v_pk_fma_f32 v[6:7], v[16:17], v[46:47], v[4:5] op_sel:[0,0,1] op_sel_hi:[1,1,0] neg_lo:[0,0,1] neg_hi:[0,0,1]
	v_pk_fma_f32 v[4:5], v[16:17], v[46:47], v[4:5] op_sel:[0,0,1] op_sel_hi:[1,0,0]
	s_waitcnt vmcnt(1)
	v_mov_b32_e32 v4, v59
	v_mov_b32_e32 v7, v5
	v_pk_mul_f32 v[4:5], v[18:19], v[4:5] op_sel_hi:[1,0]
	v_pk_add_f32 v[2:3], v[2:3], v[6:7]
	s_waitcnt vmcnt(0)
	v_pk_fma_f32 v[6:7], v[18:19], v[58:59], v[4:5] op_sel:[0,0,1] op_sel_hi:[1,1,0] neg_lo:[0,0,1] neg_hi:[0,0,1]
	v_pk_fma_f32 v[4:5], v[18:19], v[58:59], v[4:5] op_sel:[0,0,1] op_sel_hi:[1,0,0]
	v_mov_b32_e32 v7, v5
	v_pk_add_f32 v[2:3], v[2:3], v[6:7]
	v_pk_add_f32 v[2:3], v[36:37], v[2:3] neg_lo:[0,1] neg_hi:[0,1]
	buffer_store_dword v3, off, s[0:3], 0 offset:300
	buffer_store_dword v2, off, s[0:3], 0 offset:296
	s_and_saveexec_b64 s[4:5], vcc
	s_cbranch_execz .LBB61_313
; %bb.312:
	buffer_load_dword v2, off, s[0:3], 0 offset:288
	buffer_load_dword v3, off, s[0:3], 0 offset:292
	v_mov_b32_e32 v4, 0
	buffer_store_dword v4, off, s[0:3], 0 offset:288
	buffer_store_dword v4, off, s[0:3], 0 offset:292
	s_waitcnt vmcnt(2)
	ds_write_b64 v210, v[2:3]
.LBB61_313:
	s_or_b64 exec, exec, s[4:5]
	s_waitcnt lgkmcnt(0)
	; wave barrier
	s_waitcnt lgkmcnt(0)
	buffer_load_dword v5, off, s[0:3], 0 offset:300
	buffer_load_dword v58, off, s[0:3], 0 offset:308
	buffer_load_dword v60, off, s[0:3], 0 offset:316
	buffer_load_dword v62, off, s[0:3], 0 offset:324
	buffer_load_dword v68, off, s[0:3], 0 offset:332
	buffer_load_dword v69, off, s[0:3], 0 offset:340
	buffer_load_dword v70, off, s[0:3], 0 offset:348
	buffer_load_dword v71, off, s[0:3], 0 offset:356
	buffer_load_dword v72, off, s[0:3], 0 offset:364
	buffer_load_dword v73, off, s[0:3], 0 offset:372
	buffer_load_dword v74, off, s[0:3], 0 offset:380
	buffer_load_dword v75, off, s[0:3], 0 offset:388
	buffer_load_dword v76, off, s[0:3], 0 offset:396
	buffer_load_dword v77, off, s[0:3], 0 offset:404
	buffer_load_dword v78, off, s[0:3], 0 offset:412
	buffer_load_dword v79, off, s[0:3], 0 offset:296
	buffer_load_dword v80, off, s[0:3], 0 offset:304
	buffer_load_dword v81, off, s[0:3], 0 offset:312
	buffer_load_dword v82, off, s[0:3], 0 offset:320
	buffer_load_dword v83, off, s[0:3], 0 offset:328
	buffer_load_dword v84, off, s[0:3], 0 offset:336
	buffer_load_dword v85, off, s[0:3], 0 offset:344
	buffer_load_dword v86, off, s[0:3], 0 offset:352
	buffer_load_dword v87, off, s[0:3], 0 offset:360
	buffer_load_dword v88, off, s[0:3], 0 offset:368
	buffer_load_dword v89, off, s[0:3], 0 offset:376
	buffer_load_dword v90, off, s[0:3], 0 offset:384
	buffer_load_dword v91, off, s[0:3], 0 offset:392
	buffer_load_dword v92, off, s[0:3], 0 offset:400
	buffer_load_dword v93, off, s[0:3], 0 offset:408
	buffer_load_dword v94, off, s[0:3], 0 offset:420
	buffer_load_dword v95, off, s[0:3], 0 offset:416
	buffer_load_dword v96, off, s[0:3], 0 offset:428
	buffer_load_dword v97, off, s[0:3], 0 offset:424
	buffer_load_dword v2, off, s[0:3], 0 offset:288
	buffer_load_dword v3, off, s[0:3], 0 offset:292
	v_mov_b32_e32 v4, 0
	buffer_load_dword v47, off, s[0:3], 0 offset:444
	buffer_load_dword v46, off, s[0:3], 0 offset:440
	;; [unrolled: 1-line block ×5, first 2 shown]
	ds_read2_b64 v[6:9], v4 offset0:99 offset1:100
	ds_read2_b64 v[10:13], v4 offset0:101 offset1:102
	ds_read2_b64 v[14:17], v4 offset0:103 offset1:104
	ds_read2_b64 v[18:21], v4 offset0:105 offset1:106
	ds_read2_b64 v[22:25], v4 offset0:107 offset1:108
	ds_read2_b64 v[26:29], v4 offset0:109 offset1:110
	ds_read2_b64 v[30:33], v4 offset0:111 offset1:112
	ds_read2_b64 v[34:37], v4 offset0:113 offset1:114
	v_cmp_lt_u32_e32 vcc, 35, v0
	s_waitcnt vmcnt(40) lgkmcnt(7)
	v_mul_f32_e32 v38, v6, v5
	s_waitcnt vmcnt(39)
	v_mul_f32_e32 v39, v8, v58
	s_waitcnt vmcnt(38) lgkmcnt(6)
	v_mul_f32_e32 v40, v10, v60
	s_waitcnt vmcnt(37)
	v_mul_f32_e32 v41, v12, v62
	;; [unrolled: 4-line block ×7, first 2 shown]
	s_waitcnt vmcnt(26) lgkmcnt(0)
	v_mul_f32_e32 v59, v34, v78
	s_waitcnt vmcnt(25)
	v_fmac_f32_e32 v38, v7, v79
	s_waitcnt vmcnt(24)
	v_fmac_f32_e32 v39, v9, v80
	v_add_f32_e32 v38, 0, v38
	s_waitcnt vmcnt(23)
	v_fmac_f32_e32 v40, v11, v81
	v_add_f32_e32 v38, v38, v39
	;; [unrolled: 3-line block ×13, first 2 shown]
	v_add_f32_e32 v42, v38, v56
	buffer_load_dword v53, off, s[0:3], 0 offset:476
	buffer_load_dword v52, off, s[0:3], 0 offset:472
	;; [unrolled: 1-line block ×7, first 2 shown]
	s_waitcnt vmcnt(18)
	v_fmac_f32_e32 v59, v35, v93
	ds_read2_b64 v[38:41], v4 offset0:115 offset1:116
	v_add_f32_e32 v59, v42, v59
	ds_read2_b64 v[42:45], v4 offset0:117 offset1:118
	buffer_load_dword v65, off, s[0:3], 0 offset:492
	buffer_load_dword v64, off, s[0:3], 0 offset:488
	;; [unrolled: 1-line block ×4, first 2 shown]
	v_mul_f32_e32 v5, v7, v5
	v_fma_f32 v5, v6, v79, -v5
	v_mul_f32_e32 v6, v9, v58
	v_add_f32_e32 v5, 0, v5
	v_fma_f32 v6, v8, v80, -v6
	v_add_f32_e32 v5, v5, v6
	v_mul_f32_e32 v6, v11, v60
	v_fma_f32 v6, v10, v81, -v6
	v_add_f32_e32 v5, v5, v6
	v_mul_f32_e32 v6, v13, v62
	;; [unrolled: 3-line block ×13, first 2 shown]
	v_fma_f32 v6, v34, v93, -v6
	s_waitcnt vmcnt(13)
	v_mov_b32_e32 v18, v49
	v_mul_f32_e32 v61, v36, v94
	v_add_f32_e32 v58, v5, v6
	v_mul_f32_e32 v5, v37, v94
	s_waitcnt lgkmcnt(1)
	v_pk_mul_f32 v[18:19], v[40:41], v[18:19] op_sel_hi:[1,0]
	v_fmac_f32_e32 v61, v37, v95
	v_mul_f32_e32 v63, v38, v96
	v_fma_f32 v60, v36, v95, -v5
	v_mul_f32_e32 v5, v39, v96
	s_waitcnt vmcnt(12)
	v_pk_fma_f32 v[20:21], v[40:41], v[48:49], v[18:19] op_sel:[0,0,1] op_sel_hi:[1,1,0] neg_lo:[0,0,1] neg_hi:[0,0,1]
	v_pk_fma_f32 v[18:19], v[40:41], v[48:49], v[18:19] op_sel:[0,0,1] op_sel_hi:[1,0,0]
	v_fmac_f32_e32 v63, v39, v97
	v_fma_f32 v62, v38, v97, -v5
	v_pk_add_f32 v[16:17], v[58:59], v[60:61]
	v_mov_b32_e32 v18, v47
	v_pk_add_f32 v[16:17], v[16:17], v[62:63]
	v_mov_b32_e32 v21, v19
	s_waitcnt lgkmcnt(0)
	v_pk_mul_f32 v[18:19], v[42:43], v[18:19] op_sel_hi:[1,0]
	v_pk_add_f32 v[16:17], v[16:17], v[20:21]
	v_pk_fma_f32 v[20:21], v[42:43], v[46:47], v[18:19] op_sel:[0,0,1] op_sel_hi:[1,1,0] neg_lo:[0,0,1] neg_hi:[0,0,1]
	v_pk_fma_f32 v[18:19], v[42:43], v[46:47], v[18:19] op_sel:[0,0,1] op_sel_hi:[1,0,0]
	s_waitcnt vmcnt(11)
	v_mov_b32_e32 v18, v51
	ds_read2_b64 v[6:9], v4 offset0:119 offset1:120
	ds_read2_b64 v[10:13], v4 offset0:121 offset1:122
	ds_read_b64 v[14:15], v4 offset:984
	v_mov_b32_e32 v21, v19
	v_pk_mul_f32 v[18:19], v[44:45], v[18:19] op_sel_hi:[1,0]
	v_pk_add_f32 v[16:17], v[16:17], v[20:21]
	s_waitcnt vmcnt(4)
	v_pk_fma_f32 v[20:21], v[44:45], v[50:51], v[18:19] op_sel:[0,0,1] op_sel_hi:[1,1,0] neg_lo:[0,0,1] neg_hi:[0,0,1]
	v_pk_fma_f32 v[18:19], v[44:45], v[50:51], v[18:19] op_sel:[0,0,1] op_sel_hi:[1,0,0]
	v_mov_b32_e32 v18, v57
	v_mov_b32_e32 v21, v19
	s_waitcnt lgkmcnt(2)
	v_pk_mul_f32 v[18:19], v[6:7], v[18:19] op_sel_hi:[1,0]
	v_pk_add_f32 v[16:17], v[16:17], v[20:21]
	v_pk_fma_f32 v[20:21], v[6:7], v[56:57], v[18:19] op_sel:[0,0,1] op_sel_hi:[1,1,0] neg_lo:[0,0,1] neg_hi:[0,0,1]
	v_pk_fma_f32 v[6:7], v[6:7], v[56:57], v[18:19] op_sel:[0,0,1] op_sel_hi:[1,0,0]
	v_mov_b32_e32 v21, v7
	v_pk_add_f32 v[6:7], v[16:17], v[20:21]
	v_mov_b32_e32 v16, v55
	v_pk_mul_f32 v[16:17], v[8:9], v[16:17] op_sel_hi:[1,0]
	v_pk_fma_f32 v[18:19], v[8:9], v[54:55], v[16:17] op_sel:[0,0,1] op_sel_hi:[1,1,0] neg_lo:[0,0,1] neg_hi:[0,0,1]
	v_pk_fma_f32 v[8:9], v[8:9], v[54:55], v[16:17] op_sel:[0,0,1] op_sel_hi:[1,0,0]
	v_mov_b32_e32 v8, v53
	v_mov_b32_e32 v19, v9
	s_waitcnt lgkmcnt(1)
	v_pk_mul_f32 v[8:9], v[10:11], v[8:9] op_sel_hi:[1,0]
	v_pk_fma_f32 v[16:17], v[10:11], v[52:53], v[8:9] op_sel:[0,0,1] op_sel_hi:[1,1,0] neg_lo:[0,0,1] neg_hi:[0,0,1]
	v_pk_fma_f32 v[8:9], v[10:11], v[52:53], v[8:9] op_sel:[0,0,1] op_sel_hi:[1,0,0]
	s_waitcnt vmcnt(1)
	v_mov_b32_e32 v8, v67
	v_mov_b32_e32 v17, v9
	v_pk_mul_f32 v[8:9], v[12:13], v[8:9] op_sel_hi:[1,0]
	s_waitcnt vmcnt(0)
	v_pk_fma_f32 v[10:11], v[12:13], v[66:67], v[8:9] op_sel:[0,0,1] op_sel_hi:[1,1,0] neg_lo:[0,0,1] neg_hi:[0,0,1]
	v_pk_fma_f32 v[8:9], v[12:13], v[66:67], v[8:9] op_sel:[0,0,1] op_sel_hi:[1,0,0]
	v_pk_add_f32 v[6:7], v[6:7], v[18:19]
	v_mov_b32_e32 v8, v65
	v_pk_add_f32 v[6:7], v[6:7], v[16:17]
	v_mov_b32_e32 v11, v9
	s_waitcnt lgkmcnt(0)
	v_pk_mul_f32 v[8:9], v[14:15], v[8:9] op_sel_hi:[1,0]
	v_pk_add_f32 v[6:7], v[6:7], v[10:11]
	v_pk_fma_f32 v[10:11], v[14:15], v[64:65], v[8:9] op_sel:[0,0,1] op_sel_hi:[1,1,0] neg_lo:[0,0,1] neg_hi:[0,0,1]
	v_pk_fma_f32 v[8:9], v[14:15], v[64:65], v[8:9] op_sel:[0,0,1] op_sel_hi:[1,0,0]
	v_mov_b32_e32 v11, v9
	v_pk_add_f32 v[6:7], v[6:7], v[10:11]
	v_pk_add_f32 v[2:3], v[2:3], v[6:7] neg_lo:[0,1] neg_hi:[0,1]
	buffer_store_dword v3, off, s[0:3], 0 offset:292
	buffer_store_dword v2, off, s[0:3], 0 offset:288
	s_and_saveexec_b64 s[4:5], vcc
	s_cbranch_execz .LBB61_315
; %bb.314:
	buffer_load_dword v2, off, s[0:3], 0 offset:280
	buffer_load_dword v3, off, s[0:3], 0 offset:284
	s_waitcnt vmcnt(0)
	ds_write_b64 v210, v[2:3]
	buffer_store_dword v4, off, s[0:3], 0 offset:280
	buffer_store_dword v4, off, s[0:3], 0 offset:284
.LBB61_315:
	s_or_b64 exec, exec, s[4:5]
	s_waitcnt lgkmcnt(0)
	; wave barrier
	s_waitcnt lgkmcnt(0)
	buffer_load_dword v2, off, s[0:3], 0 offset:292
	buffer_load_dword v3, off, s[0:3], 0 offset:300
	;; [unrolled: 1-line block ×38, first 2 shown]
	ds_read_b128 v[6:9], v4 offset:784
	ds_read_b128 v[10:13], v4 offset:800
	;; [unrolled: 1-line block ×8, first 2 shown]
	buffer_load_dword v49, off, s[0:3], 0 offset:436
	buffer_load_dword v48, off, s[0:3], 0 offset:432
	;; [unrolled: 1-line block ×4, first 2 shown]
	v_cmp_lt_u32_e32 vcc, 34, v0
	s_waitcnt vmcnt(41) lgkmcnt(7)
	v_mul_f32_e32 v38, v6, v2
	s_waitcnt vmcnt(40)
	v_mul_f32_e32 v39, v8, v3
	s_waitcnt vmcnt(39) lgkmcnt(6)
	v_mul_f32_e32 v40, v10, v5
	s_waitcnt vmcnt(38)
	v_mul_f32_e32 v41, v12, v58
	;; [unrolled: 4-line block ×7, first 2 shown]
	s_waitcnt vmcnt(27) lgkmcnt(0)
	v_mul_f32_e32 v59, v34, v78
	s_waitcnt vmcnt(26)
	v_fmac_f32_e32 v38, v7, v79
	s_waitcnt vmcnt(25)
	v_fmac_f32_e32 v39, v9, v80
	v_add_f32_e32 v38, 0, v38
	s_waitcnt vmcnt(24)
	v_fmac_f32_e32 v40, v11, v81
	v_add_f32_e32 v38, v38, v39
	;; [unrolled: 3-line block ×13, first 2 shown]
	v_add_f32_e32 v38, v38, v57
	buffer_load_dword v53, off, s[0:3], 0 offset:460
	buffer_load_dword v52, off, s[0:3], 0 offset:456
	;; [unrolled: 1-line block ×6, first 2 shown]
	s_waitcnt vmcnt(18)
	v_fmac_f32_e32 v59, v35, v93
	s_waitcnt vmcnt(17)
	v_mul_f32_e32 v43, v36, v94
	v_add_f32_e32 v42, v38, v59
	s_waitcnt vmcnt(16)
	v_fmac_f32_e32 v43, v37, v95
	ds_read_b128 v[38:41], v4 offset:912
	v_add_f32_e32 v59, v42, v43
	ds_read_b128 v[42:45], v4 offset:928
	buffer_load_dword v65, off, s[0:3], 0 offset:492
	buffer_load_dword v64, off, s[0:3], 0 offset:488
	;; [unrolled: 1-line block ×6, first 2 shown]
	v_mul_f32_e32 v2, v7, v2
	v_fma_f32 v2, v6, v79, -v2
	v_mul_f32_e32 v3, v9, v3
	v_add_f32_e32 v2, 0, v2
	v_fma_f32 v3, v8, v80, -v3
	v_add_f32_e32 v2, v2, v3
	v_mul_f32_e32 v3, v11, v5
	v_fma_f32 v3, v10, v81, -v3
	v_add_f32_e32 v2, v2, v3
	v_mul_f32_e32 v3, v13, v58
	;; [unrolled: 3-line block ×14, first 2 shown]
	v_fma_f32 v3, v36, v95, -v3
	s_waitcnt vmcnt(15)
	v_mov_b32_e32 v16, v49
	s_waitcnt lgkmcnt(1)
	v_mul_f32_e32 v61, v38, v96
	v_add_f32_e32 v58, v2, v3
	v_mul_f32_e32 v2, v39, v96
	s_waitcnt lgkmcnt(0)
	v_pk_mul_f32 v[16:17], v[42:43], v[16:17] op_sel_hi:[1,0]
	v_fmac_f32_e32 v61, v39, v97
	v_mul_f32_e32 v63, v40, v98
	v_fma_f32 v60, v38, v97, -v2
	v_mul_f32_e32 v2, v41, v98
	s_waitcnt vmcnt(14)
	v_pk_fma_f32 v[18:19], v[42:43], v[48:49], v[16:17] op_sel:[0,0,1] op_sel_hi:[1,1,0] neg_lo:[0,0,1] neg_hi:[0,0,1]
	v_pk_fma_f32 v[16:17], v[42:43], v[48:49], v[16:17] op_sel:[0,0,1] op_sel_hi:[1,0,0]
	v_fmac_f32_e32 v63, v41, v99
	v_fma_f32 v62, v40, v99, -v2
	v_pk_add_f32 v[14:15], v[58:59], v[60:61]
	ds_read_b128 v[6:9], v4 offset:944
	ds_read_b128 v[10:13], v4 offset:960
	;; [unrolled: 1-line block ×3, first 2 shown]
	v_pk_add_f32 v[14:15], v[14:15], v[62:63]
	v_mov_b32_e32 v19, v17
	v_pk_add_f32 v[14:15], v[14:15], v[18:19]
	s_waitcnt vmcnt(7)
	v_mov_b32_e32 v16, v57
	v_pk_mul_f32 v[16:17], v[44:45], v[16:17] op_sel_hi:[1,0]
	s_waitcnt vmcnt(6)
	v_pk_fma_f32 v[18:19], v[44:45], v[56:57], v[16:17] op_sel:[0,0,1] op_sel_hi:[1,1,0] neg_lo:[0,0,1] neg_hi:[0,0,1]
	v_pk_fma_f32 v[16:17], v[44:45], v[56:57], v[16:17] op_sel:[0,0,1] op_sel_hi:[1,0,0]
	v_mov_b32_e32 v16, v55
	v_mov_b32_e32 v19, v17
	s_waitcnt lgkmcnt(2)
	v_pk_mul_f32 v[16:17], v[6:7], v[16:17] op_sel_hi:[1,0]
	v_pk_add_f32 v[14:15], v[14:15], v[18:19]
	v_pk_fma_f32 v[18:19], v[6:7], v[54:55], v[16:17] op_sel:[0,0,1] op_sel_hi:[1,1,0] neg_lo:[0,0,1] neg_hi:[0,0,1]
	v_pk_fma_f32 v[6:7], v[6:7], v[54:55], v[16:17] op_sel:[0,0,1] op_sel_hi:[1,0,0]
	v_mov_b32_e32 v19, v7
	v_pk_add_f32 v[6:7], v[14:15], v[18:19]
	v_mov_b32_e32 v14, v53
	v_pk_mul_f32 v[14:15], v[8:9], v[14:15] op_sel_hi:[1,0]
	v_pk_fma_f32 v[16:17], v[8:9], v[52:53], v[14:15] op_sel:[0,0,1] op_sel_hi:[1,1,0] neg_lo:[0,0,1] neg_hi:[0,0,1]
	v_pk_fma_f32 v[8:9], v[8:9], v[52:53], v[14:15] op_sel:[0,0,1] op_sel_hi:[1,0,0]
	v_mov_b32_e32 v8, v51
	v_mov_b32_e32 v17, v9
	s_waitcnt lgkmcnt(1)
	v_pk_mul_f32 v[8:9], v[10:11], v[8:9] op_sel_hi:[1,0]
	v_pk_fma_f32 v[14:15], v[10:11], v[50:51], v[8:9] op_sel:[0,0,1] op_sel_hi:[1,1,0] neg_lo:[0,0,1] neg_hi:[0,0,1]
	v_pk_fma_f32 v[8:9], v[10:11], v[50:51], v[8:9] op_sel:[0,0,1] op_sel_hi:[1,0,0]
	s_waitcnt vmcnt(1)
	v_mov_b32_e32 v8, v69
	v_mov_b32_e32 v15, v9
	v_pk_mul_f32 v[8:9], v[12:13], v[8:9] op_sel_hi:[1,0]
	s_waitcnt vmcnt(0)
	v_pk_fma_f32 v[10:11], v[12:13], v[68:69], v[8:9] op_sel:[0,0,1] op_sel_hi:[1,1,0] neg_lo:[0,0,1] neg_hi:[0,0,1]
	v_pk_fma_f32 v[8:9], v[12:13], v[68:69], v[8:9] op_sel:[0,0,1] op_sel_hi:[1,0,0]
	v_pk_add_f32 v[6:7], v[6:7], v[16:17]
	v_mov_b32_e32 v8, v67
	v_pk_add_f32 v[6:7], v[6:7], v[14:15]
	v_mov_b32_e32 v11, v9
	s_waitcnt lgkmcnt(0)
	v_pk_mul_f32 v[8:9], v[2:3], v[8:9] op_sel_hi:[1,0]
	v_pk_add_f32 v[6:7], v[6:7], v[10:11]
	v_pk_fma_f32 v[10:11], v[2:3], v[66:67], v[8:9] op_sel:[0,0,1] op_sel_hi:[1,1,0] neg_lo:[0,0,1] neg_hi:[0,0,1]
	v_pk_fma_f32 v[2:3], v[2:3], v[66:67], v[8:9] op_sel:[0,0,1] op_sel_hi:[1,0,0]
	v_mov_b32_e32 v11, v3
	v_pk_add_f32 v[2:3], v[6:7], v[10:11]
	v_mov_b32_e32 v6, v65
	v_pk_mul_f32 v[6:7], v[4:5], v[6:7] op_sel_hi:[1,0]
	v_pk_fma_f32 v[8:9], v[4:5], v[64:65], v[6:7] op_sel:[0,0,1] op_sel_hi:[1,1,0] neg_lo:[0,0,1] neg_hi:[0,0,1]
	v_pk_fma_f32 v[4:5], v[4:5], v[64:65], v[6:7] op_sel:[0,0,1] op_sel_hi:[1,0,0]
	v_mov_b32_e32 v9, v5
	v_pk_add_f32 v[2:3], v[2:3], v[8:9]
	v_pk_add_f32 v[2:3], v[46:47], v[2:3] neg_lo:[0,1] neg_hi:[0,1]
	buffer_store_dword v3, off, s[0:3], 0 offset:284
	buffer_store_dword v2, off, s[0:3], 0 offset:280
	s_and_saveexec_b64 s[4:5], vcc
	s_cbranch_execz .LBB61_317
; %bb.316:
	buffer_load_dword v2, off, s[0:3], 0 offset:272
	buffer_load_dword v3, off, s[0:3], 0 offset:276
	v_mov_b32_e32 v4, 0
	buffer_store_dword v4, off, s[0:3], 0 offset:272
	buffer_store_dword v4, off, s[0:3], 0 offset:276
	s_waitcnt vmcnt(2)
	ds_write_b64 v210, v[2:3]
.LBB61_317:
	s_or_b64 exec, exec, s[4:5]
	s_waitcnt lgkmcnt(0)
	; wave barrier
	s_waitcnt lgkmcnt(0)
	buffer_load_dword v5, off, s[0:3], 0 offset:284
	buffer_load_dword v54, off, s[0:3], 0 offset:292
	;; [unrolled: 1-line block ×40, first 2 shown]
	v_mov_b32_e32 v4, 0
	ds_read2_b64 v[6:9], v4 offset0:97 offset1:98
	ds_read2_b64 v[10:13], v4 offset0:99 offset1:100
	;; [unrolled: 1-line block ×8, first 2 shown]
	v_cmp_lt_u32_e32 vcc, 33, v0
	s_waitcnt vmcnt(39) lgkmcnt(7)
	v_mul_f32_e32 v38, v6, v5
	s_waitcnt vmcnt(38)
	v_mul_f32_e32 v39, v8, v54
	s_waitcnt vmcnt(37) lgkmcnt(6)
	v_mul_f32_e32 v40, v10, v56
	s_waitcnt vmcnt(36)
	v_mul_f32_e32 v41, v12, v58
	;; [unrolled: 4-line block ×8, first 2 shown]
	s_waitcnt vmcnt(23)
	v_fmac_f32_e32 v38, v7, v80
	s_waitcnt vmcnt(22)
	v_fmac_f32_e32 v39, v9, v81
	v_add_f32_e32 v38, 0, v38
	s_waitcnt vmcnt(21)
	v_fmac_f32_e32 v40, v11, v82
	v_add_f32_e32 v38, v38, v39
	;; [unrolled: 3-line block ×14, first 2 shown]
	v_add_f32_e32 v38, v38, v52
	s_waitcnt vmcnt(8)
	v_fmac_f32_e32 v53, v37, v95
	v_add_f32_e32 v55, v38, v53
	ds_read2_b64 v[38:41], v4 offset0:113 offset1:114
	buffer_load_dword v47, off, s[0:3], 0 offset:436
	buffer_load_dword v49, off, s[0:3], 0 offset:460
	;; [unrolled: 1-line block ×8, first 2 shown]
	ds_read2_b64 v[42:45], v4 offset0:115 offset1:116
	buffer_load_dword v61, off, s[0:3], 0 offset:492
	buffer_load_dword v60, off, s[0:3], 0 offset:488
	;; [unrolled: 1-line block ×8, first 2 shown]
	v_mul_f32_e32 v5, v7, v5
	v_fma_f32 v5, v6, v80, -v5
	v_mul_f32_e32 v6, v9, v54
	v_add_f32_e32 v5, 0, v5
	v_fma_f32 v6, v8, v81, -v6
	v_add_f32_e32 v5, v5, v6
	v_mul_f32_e32 v6, v11, v56
	v_fma_f32 v6, v10, v82, -v6
	v_add_f32_e32 v5, v5, v6
	v_mul_f32_e32 v6, v13, v58
	;; [unrolled: 3-line block ×14, first 2 shown]
	v_fma_f32 v6, v36, v95, -v6
	s_waitcnt vmcnt(23) lgkmcnt(1)
	v_mul_f32_e32 v57, v38, v96
	v_add_f32_e32 v5, v5, v6
	v_mul_f32_e32 v6, v39, v96
	s_waitcnt vmcnt(22)
	v_fmac_f32_e32 v57, v39, v97
	v_fma_f32 v6, v38, v97, -v6
	v_add_f32_e32 v55, v55, v57
	s_waitcnt vmcnt(21)
	v_mul_f32_e32 v57, v40, v98
	v_add_f32_e32 v54, v5, v6
	v_mul_f32_e32 v5, v41, v98
	s_waitcnt vmcnt(20)
	v_fmac_f32_e32 v57, v41, v99
	s_waitcnt vmcnt(19) lgkmcnt(0)
	v_mul_f32_e32 v59, v42, v100
	v_fma_f32 v56, v40, v99, -v5
	v_mul_f32_e32 v5, v43, v100
	ds_read2_b64 v[6:9], v4 offset0:117 offset1:118
	ds_read2_b64 v[10:13], v4 offset0:119 offset1:120
	;; [unrolled: 1-line block ×3, first 2 shown]
	ds_read_b64 v[18:19], v4 offset:984
	s_waitcnt vmcnt(18)
	v_fmac_f32_e32 v59, v43, v101
	v_fma_f32 v58, v42, v101, -v5
	v_pk_add_f32 v[20:21], v[54:55], v[56:57]
	v_pk_add_f32 v[20:21], v[20:21], v[58:59]
	s_waitcnt vmcnt(15)
	v_mov_b32_e32 v22, v47
	v_pk_mul_f32 v[22:23], v[44:45], v[22:23] op_sel_hi:[1,0]
	s_waitcnt vmcnt(8)
	v_pk_fma_f32 v[24:25], v[44:45], v[46:47], v[22:23] op_sel:[0,0,1] op_sel_hi:[1,1,0] neg_lo:[0,0,1] neg_hi:[0,0,1]
	v_pk_fma_f32 v[22:23], v[44:45], v[46:47], v[22:23] op_sel:[0,0,1] op_sel_hi:[1,0,0]
	v_mov_b32_e32 v22, v53
	v_mov_b32_e32 v25, v23
	s_waitcnt lgkmcnt(3)
	v_pk_mul_f32 v[22:23], v[6:7], v[22:23] op_sel_hi:[1,0]
	v_pk_add_f32 v[20:21], v[20:21], v[24:25]
	v_pk_fma_f32 v[24:25], v[6:7], v[52:53], v[22:23] op_sel:[0,0,1] op_sel_hi:[1,1,0] neg_lo:[0,0,1] neg_hi:[0,0,1]
	v_pk_fma_f32 v[6:7], v[6:7], v[52:53], v[22:23] op_sel:[0,0,1] op_sel_hi:[1,0,0]
	v_mov_b32_e32 v25, v7
	v_pk_add_f32 v[6:7], v[20:21], v[24:25]
	v_mov_b32_e32 v20, v51
	v_pk_mul_f32 v[20:21], v[8:9], v[20:21] op_sel_hi:[1,0]
	v_pk_fma_f32 v[22:23], v[8:9], v[50:51], v[20:21] op_sel:[0,0,1] op_sel_hi:[1,1,0] neg_lo:[0,0,1] neg_hi:[0,0,1]
	v_pk_fma_f32 v[8:9], v[8:9], v[50:51], v[20:21] op_sel:[0,0,1] op_sel_hi:[1,0,0]
	v_mov_b32_e32 v8, v49
	v_mov_b32_e32 v23, v9
	s_waitcnt lgkmcnt(2)
	v_pk_mul_f32 v[8:9], v[10:11], v[8:9] op_sel_hi:[1,0]
	v_pk_fma_f32 v[20:21], v[10:11], v[48:49], v[8:9] op_sel:[0,0,1] op_sel_hi:[1,1,0] neg_lo:[0,0,1] neg_hi:[0,0,1]
	v_pk_fma_f32 v[8:9], v[10:11], v[48:49], v[8:9] op_sel:[0,0,1] op_sel_hi:[1,0,0]
	s_waitcnt vmcnt(1)
	v_mov_b32_e32 v8, v67
	v_mov_b32_e32 v21, v9
	v_pk_mul_f32 v[8:9], v[12:13], v[8:9] op_sel_hi:[1,0]
	s_waitcnt vmcnt(0)
	v_pk_fma_f32 v[10:11], v[12:13], v[66:67], v[8:9] op_sel:[0,0,1] op_sel_hi:[1,1,0] neg_lo:[0,0,1] neg_hi:[0,0,1]
	v_pk_fma_f32 v[8:9], v[12:13], v[66:67], v[8:9] op_sel:[0,0,1] op_sel_hi:[1,0,0]
	v_pk_add_f32 v[6:7], v[6:7], v[22:23]
	v_mov_b32_e32 v8, v65
	v_pk_add_f32 v[6:7], v[6:7], v[20:21]
	v_mov_b32_e32 v11, v9
	s_waitcnt lgkmcnt(1)
	v_pk_mul_f32 v[8:9], v[14:15], v[8:9] op_sel_hi:[1,0]
	v_pk_add_f32 v[6:7], v[6:7], v[10:11]
	v_pk_fma_f32 v[10:11], v[14:15], v[64:65], v[8:9] op_sel:[0,0,1] op_sel_hi:[1,1,0] neg_lo:[0,0,1] neg_hi:[0,0,1]
	v_pk_fma_f32 v[8:9], v[14:15], v[64:65], v[8:9] op_sel:[0,0,1] op_sel_hi:[1,0,0]
	v_mov_b32_e32 v8, v63
	v_mov_b32_e32 v11, v9
	v_pk_mul_f32 v[8:9], v[16:17], v[8:9] op_sel_hi:[1,0]
	v_pk_add_f32 v[6:7], v[6:7], v[10:11]
	v_pk_fma_f32 v[10:11], v[16:17], v[62:63], v[8:9] op_sel:[0,0,1] op_sel_hi:[1,1,0] neg_lo:[0,0,1] neg_hi:[0,0,1]
	v_pk_fma_f32 v[8:9], v[16:17], v[62:63], v[8:9] op_sel:[0,0,1] op_sel_hi:[1,0,0]
	v_mov_b32_e32 v8, v61
	v_mov_b32_e32 v11, v9
	s_waitcnt lgkmcnt(0)
	v_pk_mul_f32 v[8:9], v[18:19], v[8:9] op_sel_hi:[1,0]
	v_pk_add_f32 v[6:7], v[6:7], v[10:11]
	v_pk_fma_f32 v[10:11], v[18:19], v[60:61], v[8:9] op_sel:[0,0,1] op_sel_hi:[1,1,0] neg_lo:[0,0,1] neg_hi:[0,0,1]
	v_pk_fma_f32 v[8:9], v[18:19], v[60:61], v[8:9] op_sel:[0,0,1] op_sel_hi:[1,0,0]
	v_mov_b32_e32 v11, v9
	v_pk_add_f32 v[6:7], v[6:7], v[10:11]
	v_pk_add_f32 v[2:3], v[2:3], v[6:7] neg_lo:[0,1] neg_hi:[0,1]
	buffer_store_dword v3, off, s[0:3], 0 offset:276
	buffer_store_dword v2, off, s[0:3], 0 offset:272
	s_and_saveexec_b64 s[4:5], vcc
	s_cbranch_execz .LBB61_319
; %bb.318:
	buffer_load_dword v2, off, s[0:3], 0 offset:264
	buffer_load_dword v3, off, s[0:3], 0 offset:268
	s_waitcnt vmcnt(0)
	ds_write_b64 v210, v[2:3]
	buffer_store_dword v4, off, s[0:3], 0 offset:264
	buffer_store_dword v4, off, s[0:3], 0 offset:268
.LBB61_319:
	s_or_b64 exec, exec, s[4:5]
	s_waitcnt lgkmcnt(0)
	; wave barrier
	s_waitcnt lgkmcnt(0)
	buffer_load_dword v5, off, s[0:3], 0 offset:276
	buffer_load_dword v46, off, s[0:3], 0 offset:284
	;; [unrolled: 1-line block ×42, first 2 shown]
	ds_read_b128 v[6:9], v4 offset:768
	ds_read_b128 v[10:13], v4 offset:784
	ds_read_b128 v[14:17], v4 offset:800
	ds_read_b128 v[18:21], v4 offset:816
	ds_read_b128 v[22:25], v4 offset:832
	ds_read_b128 v[26:29], v4 offset:848
	ds_read_b128 v[30:33], v4 offset:864
	ds_read_b128 v[34:37], v4 offset:880
	v_cmp_lt_u32_e32 vcc, 32, v0
	s_waitcnt vmcnt(41) lgkmcnt(7)
	v_mul_f32_e32 v38, v6, v5
	s_waitcnt vmcnt(40)
	v_mul_f32_e32 v39, v8, v46
	s_waitcnt vmcnt(39) lgkmcnt(6)
	v_mul_f32_e32 v40, v10, v48
	s_waitcnt vmcnt(38)
	v_mul_f32_e32 v41, v12, v56
	s_waitcnt vmcnt(37) lgkmcnt(5)
	v_mul_f32_e32 v42, v14, v68
	s_waitcnt vmcnt(36)
	v_mul_f32_e32 v43, v16, v69
	s_waitcnt vmcnt(35) lgkmcnt(4)
	v_mul_f32_e32 v44, v18, v70
	s_waitcnt vmcnt(34)
	v_mul_f32_e32 v45, v20, v71
	s_waitcnt vmcnt(33) lgkmcnt(3)
	v_mul_f32_e32 v47, v22, v72
	s_waitcnt vmcnt(32)
	v_mul_f32_e32 v49, v24, v73
	s_waitcnt vmcnt(31) lgkmcnt(2)
	v_mul_f32_e32 v50, v26, v74
	s_waitcnt vmcnt(30)
	v_mul_f32_e32 v51, v28, v75
	s_waitcnt vmcnt(29) lgkmcnt(1)
	v_mul_f32_e32 v52, v30, v76
	s_waitcnt vmcnt(28)
	v_mul_f32_e32 v53, v32, v77
	s_waitcnt vmcnt(27) lgkmcnt(0)
	v_mul_f32_e32 v54, v34, v78
	s_waitcnt vmcnt(26)
	v_fmac_f32_e32 v38, v7, v79
	s_waitcnt vmcnt(25)
	v_fmac_f32_e32 v39, v9, v80
	v_add_f32_e32 v38, 0, v38
	s_waitcnt vmcnt(24)
	v_fmac_f32_e32 v40, v11, v81
	v_add_f32_e32 v38, v38, v39
	;; [unrolled: 3-line block ×14, first 2 shown]
	s_waitcnt vmcnt(11)
	v_mul_f32_e32 v43, v36, v94
	v_add_f32_e32 v42, v38, v54
	s_waitcnt vmcnt(10)
	v_fmac_f32_e32 v43, v37, v95
	ds_read_b128 v[38:41], v4 offset:896
	v_add_f32_e32 v47, v42, v43
	ds_read_b128 v[42:45], v4 offset:912
	buffer_load_dword v51, off, s[0:3], 0 offset:436
	buffer_load_dword v53, off, s[0:3], 0 offset:452
	;; [unrolled: 1-line block ×16, first 2 shown]
	v_mul_f32_e32 v5, v7, v5
	v_fma_f32 v5, v6, v79, -v5
	v_mul_f32_e32 v6, v9, v46
	v_add_f32_e32 v5, 0, v5
	v_fma_f32 v6, v8, v80, -v6
	v_add_f32_e32 v5, v5, v6
	v_mul_f32_e32 v6, v11, v48
	v_fma_f32 v6, v10, v81, -v6
	v_add_f32_e32 v5, v5, v6
	v_mul_f32_e32 v6, v13, v56
	;; [unrolled: 3-line block ×14, first 2 shown]
	v_fma_f32 v6, v36, v95, -v6
	v_add_f32_e32 v5, v5, v6
	s_waitcnt vmcnt(25) lgkmcnt(1)
	v_mul_f32_e32 v6, v39, v96
	s_waitcnt vmcnt(24)
	v_fma_f32 v6, v38, v97, -v6
	v_add_f32_e32 v5, v5, v6
	s_waitcnt vmcnt(23)
	v_mul_f32_e32 v6, v41, v98
	s_waitcnt vmcnt(22)
	v_fma_f32 v6, v40, v99, -v6
	v_add_f32_e32 v46, v5, v6
	ds_read_b128 v[6:9], v4 offset:928
	ds_read_b128 v[10:13], v4 offset:944
	;; [unrolled: 1-line block ×4, first 2 shown]
	v_mul_f32_e32 v49, v38, v96
	v_fmac_f32_e32 v49, v39, v97
	v_add_f32_e32 v47, v47, v49
	v_mul_f32_e32 v49, v40, v98
	v_fmac_f32_e32 v49, v41, v99
	v_add_f32_e32 v47, v47, v49
	s_waitcnt vmcnt(21) lgkmcnt(4)
	v_mul_f32_e32 v49, v42, v100
	v_mul_f32_e32 v5, v43, v100
	s_waitcnt vmcnt(20)
	v_fmac_f32_e32 v49, v43, v101
	s_waitcnt vmcnt(19)
	v_mul_f32_e32 v57, v44, v102
	v_fma_f32 v48, v42, v101, -v5
	v_mul_f32_e32 v5, v45, v102
	s_waitcnt vmcnt(18)
	v_fmac_f32_e32 v57, v45, v103
	v_fma_f32 v56, v44, v103, -v5
	v_pk_add_f32 v[4:5], v[46:47], v[48:49]
	v_pk_add_f32 v[4:5], v[4:5], v[56:57]
	s_waitcnt vmcnt(15)
	v_mov_b32_e32 v22, v51
	s_waitcnt lgkmcnt(3)
	v_pk_mul_f32 v[22:23], v[6:7], v[22:23] op_sel_hi:[1,0]
	s_waitcnt vmcnt(10)
	v_pk_fma_f32 v[24:25], v[6:7], v[50:51], v[22:23] op_sel:[0,0,1] op_sel_hi:[1,1,0] neg_lo:[0,0,1] neg_hi:[0,0,1]
	v_pk_fma_f32 v[6:7], v[6:7], v[50:51], v[22:23] op_sel:[0,0,1] op_sel_hi:[1,0,0]
	v_mov_b32_e32 v6, v55
	v_mov_b32_e32 v25, v7
	v_pk_mul_f32 v[6:7], v[8:9], v[6:7] op_sel_hi:[1,0]
	v_pk_fma_f32 v[22:23], v[8:9], v[54:55], v[6:7] op_sel:[0,0,1] op_sel_hi:[1,1,0] neg_lo:[0,0,1] neg_hi:[0,0,1]
	v_pk_fma_f32 v[6:7], v[8:9], v[54:55], v[6:7] op_sel:[0,0,1] op_sel_hi:[1,0,0]
	v_mov_b32_e32 v6, v53
	v_mov_b32_e32 v23, v7
	s_waitcnt lgkmcnt(2)
	v_pk_mul_f32 v[6:7], v[10:11], v[6:7] op_sel_hi:[1,0]
	v_pk_fma_f32 v[8:9], v[10:11], v[52:53], v[6:7] op_sel:[0,0,1] op_sel_hi:[1,1,0] neg_lo:[0,0,1] neg_hi:[0,0,1]
	v_pk_fma_f32 v[6:7], v[10:11], v[52:53], v[6:7] op_sel:[0,0,1] op_sel_hi:[1,0,0]
	v_pk_add_f32 v[4:5], v[4:5], v[24:25]
	s_waitcnt vmcnt(3)
	v_mov_b32_e32 v6, v65
	v_pk_add_f32 v[4:5], v[4:5], v[22:23]
	v_mov_b32_e32 v9, v7
	v_pk_mul_f32 v[6:7], v[12:13], v[6:7] op_sel_hi:[1,0]
	v_pk_add_f32 v[4:5], v[4:5], v[8:9]
	s_waitcnt vmcnt(2)
	v_pk_fma_f32 v[8:9], v[12:13], v[64:65], v[6:7] op_sel:[0,0,1] op_sel_hi:[1,1,0] neg_lo:[0,0,1] neg_hi:[0,0,1]
	v_pk_fma_f32 v[6:7], v[12:13], v[64:65], v[6:7] op_sel:[0,0,1] op_sel_hi:[1,0,0]
	v_mov_b32_e32 v6, v63
	v_mov_b32_e32 v9, v7
	s_waitcnt lgkmcnt(1)
	v_pk_mul_f32 v[6:7], v[14:15], v[6:7] op_sel_hi:[1,0]
	v_pk_add_f32 v[4:5], v[4:5], v[8:9]
	v_pk_fma_f32 v[8:9], v[14:15], v[62:63], v[6:7] op_sel:[0,0,1] op_sel_hi:[1,1,0] neg_lo:[0,0,1] neg_hi:[0,0,1]
	v_pk_fma_f32 v[6:7], v[14:15], v[62:63], v[6:7] op_sel:[0,0,1] op_sel_hi:[1,0,0]
	v_mov_b32_e32 v6, v61
	v_mov_b32_e32 v9, v7
	v_pk_mul_f32 v[6:7], v[16:17], v[6:7] op_sel_hi:[1,0]
	v_pk_add_f32 v[4:5], v[4:5], v[8:9]
	v_pk_fma_f32 v[8:9], v[16:17], v[60:61], v[6:7] op_sel:[0,0,1] op_sel_hi:[1,1,0] neg_lo:[0,0,1] neg_hi:[0,0,1]
	v_pk_fma_f32 v[6:7], v[16:17], v[60:61], v[6:7] op_sel:[0,0,1] op_sel_hi:[1,0,0]
	v_mov_b32_e32 v6, v59
	v_mov_b32_e32 v9, v7
	s_waitcnt lgkmcnt(0)
	v_pk_mul_f32 v[6:7], v[18:19], v[6:7] op_sel_hi:[1,0]
	v_pk_add_f32 v[4:5], v[4:5], v[8:9]
	v_pk_fma_f32 v[8:9], v[18:19], v[58:59], v[6:7] op_sel:[0,0,1] op_sel_hi:[1,1,0] neg_lo:[0,0,1] neg_hi:[0,0,1]
	v_pk_fma_f32 v[6:7], v[18:19], v[58:59], v[6:7] op_sel:[0,0,1] op_sel_hi:[1,0,0]
	s_waitcnt vmcnt(1)
	v_mov_b32_e32 v6, v67
	v_mov_b32_e32 v9, v7
	v_pk_mul_f32 v[6:7], v[20:21], v[6:7] op_sel_hi:[1,0]
	v_pk_add_f32 v[4:5], v[4:5], v[8:9]
	s_waitcnt vmcnt(0)
	v_pk_fma_f32 v[8:9], v[20:21], v[66:67], v[6:7] op_sel:[0,0,1] op_sel_hi:[1,1,0] neg_lo:[0,0,1] neg_hi:[0,0,1]
	v_pk_fma_f32 v[6:7], v[20:21], v[66:67], v[6:7] op_sel:[0,0,1] op_sel_hi:[1,0,0]
	v_mov_b32_e32 v9, v7
	v_pk_add_f32 v[4:5], v[4:5], v[8:9]
	v_pk_add_f32 v[2:3], v[2:3], v[4:5] neg_lo:[0,1] neg_hi:[0,1]
	buffer_store_dword v3, off, s[0:3], 0 offset:268
	buffer_store_dword v2, off, s[0:3], 0 offset:264
	s_and_saveexec_b64 s[4:5], vcc
	s_cbranch_execz .LBB61_321
; %bb.320:
	buffer_load_dword v2, off, s[0:3], 0 offset:256
	buffer_load_dword v3, off, s[0:3], 0 offset:260
	v_mov_b32_e32 v4, 0
	buffer_store_dword v4, off, s[0:3], 0 offset:256
	buffer_store_dword v4, off, s[0:3], 0 offset:260
	s_waitcnt vmcnt(2)
	ds_write_b64 v210, v[2:3]
.LBB61_321:
	s_or_b64 exec, exec, s[4:5]
	s_waitcnt lgkmcnt(0)
	; wave barrier
	s_waitcnt lgkmcnt(0)
	buffer_load_dword v5, off, s[0:3], 0 offset:268
	buffer_load_dword v54, off, s[0:3], 0 offset:276
	;; [unrolled: 1-line block ×44, first 2 shown]
	v_mov_b32_e32 v4, 0
	ds_read2_b64 v[6:9], v4 offset0:95 offset1:96
	ds_read2_b64 v[10:13], v4 offset0:97 offset1:98
	;; [unrolled: 1-line block ×8, first 2 shown]
	v_cmp_lt_u32_e32 vcc, 31, v0
	s_waitcnt vmcnt(43) lgkmcnt(7)
	v_mul_f32_e32 v38, v6, v5
	s_waitcnt vmcnt(42)
	v_mul_f32_e32 v39, v8, v54
	s_waitcnt vmcnt(41) lgkmcnt(6)
	v_mul_f32_e32 v40, v10, v60
	s_waitcnt vmcnt(40)
	v_mul_f32_e32 v41, v12, v62
	;; [unrolled: 4-line block ×7, first 2 shown]
	s_waitcnt vmcnt(29)
	v_fmac_f32_e32 v38, v7, v86
	s_waitcnt vmcnt(28)
	v_fmac_f32_e32 v39, v9, v87
	v_add_f32_e32 v38, 0, v38
	s_waitcnt vmcnt(27)
	v_fmac_f32_e32 v40, v11, v88
	v_add_f32_e32 v38, v38, v39
	;; [unrolled: 3-line block ×12, first 2 shown]
	v_add_f32_e32 v38, v38, v50
	s_waitcnt vmcnt(16)
	v_fmac_f32_e32 v51, v33, v99
	s_waitcnt vmcnt(15) lgkmcnt(0)
	v_mul_f32_e32 v39, v34, v100
	v_add_f32_e32 v38, v38, v51
	s_waitcnt vmcnt(14)
	v_fmac_f32_e32 v39, v35, v101
	v_add_f32_e32 v42, v38, v39
	ds_read2_b64 v[38:41], v4 offset0:111 offset1:112
	s_waitcnt vmcnt(13)
	v_mul_f32_e32 v43, v36, v102
	s_waitcnt vmcnt(12)
	v_fmac_f32_e32 v43, v37, v103
	v_add_f32_e32 v46, v42, v43
	ds_read2_b64 v[42:45], v4 offset0:113 offset1:114
	s_waitcnt vmcnt(11) lgkmcnt(1)
	v_mul_f32_e32 v47, v38, v104
	s_waitcnt vmcnt(10)
	v_fmac_f32_e32 v47, v39, v105
	v_add_f32_e32 v46, v46, v47
	s_waitcnt vmcnt(9)
	v_mul_f32_e32 v47, v40, v106
	s_waitcnt vmcnt(8)
	v_fmac_f32_e32 v47, v41, v107
	v_add_f32_e32 v46, v46, v47
	s_waitcnt vmcnt(7) lgkmcnt(0)
	v_mul_f32_e32 v47, v42, v110
	s_waitcnt vmcnt(6)
	v_fmac_f32_e32 v47, v43, v111
	v_add_f32_e32 v55, v46, v47
	ds_read2_b64 v[46:49], v4 offset0:115 offset1:116
	buffer_load_dword v57, off, s[0:3], 0 offset:444
	buffer_load_dword v56, off, s[0:3], 0 offset:440
	;; [unrolled: 1-line block ×4, first 2 shown]
	ds_read2_b64 v[50:53], v4 offset0:117 offset1:118
	buffer_load_dword v65, off, s[0:3], 0 offset:476
	buffer_load_dword v64, off, s[0:3], 0 offset:472
	buffer_load_dword v67, off, s[0:3], 0 offset:468
	buffer_load_dword v66, off, s[0:3], 0 offset:464
	buffer_load_dword v69, off, s[0:3], 0 offset:460
	buffer_load_dword v68, off, s[0:3], 0 offset:456
	buffer_load_dword v71, off, s[0:3], 0 offset:452
	buffer_load_dword v70, off, s[0:3], 0 offset:448
	buffer_load_dword v73, off, s[0:3], 0 offset:492
	buffer_load_dword v72, off, s[0:3], 0 offset:488
	buffer_load_dword v75, off, s[0:3], 0 offset:484
	buffer_load_dword v74, off, s[0:3], 0 offset:480
	v_mul_f32_e32 v5, v7, v5
	v_fma_f32 v5, v6, v86, -v5
	v_mul_f32_e32 v6, v9, v54
	v_add_f32_e32 v5, 0, v5
	v_fma_f32 v6, v8, v87, -v6
	v_add_f32_e32 v5, v5, v6
	v_mul_f32_e32 v6, v11, v60
	v_fma_f32 v6, v10, v88, -v6
	v_add_f32_e32 v5, v5, v6
	v_mul_f32_e32 v6, v13, v62
	;; [unrolled: 3-line block ×17, first 2 shown]
	v_fma_f32 v6, v42, v111, -v6
	s_waitcnt vmcnt(21)
	v_mul_f32_e32 v61, v44, v112
	v_add_f32_e32 v54, v5, v6
	v_mul_f32_e32 v5, v45, v112
	s_waitcnt vmcnt(20)
	v_fmac_f32_e32 v61, v45, v113
	s_waitcnt vmcnt(19) lgkmcnt(1)
	v_mul_f32_e32 v63, v46, v114
	v_fma_f32 v60, v44, v113, -v5
	v_mul_f32_e32 v5, v47, v114
	s_waitcnt vmcnt(18)
	v_fmac_f32_e32 v63, v47, v115
	v_fma_f32 v62, v46, v115, -v5
	v_pk_add_f32 v[16:17], v[54:55], v[60:61]
	v_pk_add_f32 v[16:17], v[16:17], v[62:63]
	ds_read2_b64 v[6:9], v4 offset0:119 offset1:120
	ds_read2_b64 v[10:13], v4 offset0:121 offset1:122
	ds_read_b64 v[14:15], v4 offset:984
	s_waitcnt vmcnt(13)
	v_mov_b32_e32 v18, v59
	v_pk_mul_f32 v[18:19], v[48:49], v[18:19] op_sel_hi:[1,0]
	s_waitcnt vmcnt(12)
	v_pk_fma_f32 v[20:21], v[48:49], v[58:59], v[18:19] op_sel:[0,0,1] op_sel_hi:[1,1,0] neg_lo:[0,0,1] neg_hi:[0,0,1]
	v_pk_fma_f32 v[18:19], v[48:49], v[58:59], v[18:19] op_sel:[0,0,1] op_sel_hi:[1,0,0]
	v_mov_b32_e32 v18, v57
	v_mov_b32_e32 v21, v19
	s_waitcnt lgkmcnt(3)
	v_pk_mul_f32 v[18:19], v[50:51], v[18:19] op_sel_hi:[1,0]
	v_pk_add_f32 v[16:17], v[16:17], v[20:21]
	v_pk_fma_f32 v[20:21], v[50:51], v[56:57], v[18:19] op_sel:[0,0,1] op_sel_hi:[1,1,0] neg_lo:[0,0,1] neg_hi:[0,0,1]
	v_pk_fma_f32 v[18:19], v[50:51], v[56:57], v[18:19] op_sel:[0,0,1] op_sel_hi:[1,0,0]
	s_waitcnt vmcnt(5)
	v_mov_b32_e32 v18, v71
	v_mov_b32_e32 v21, v19
	v_pk_mul_f32 v[18:19], v[52:53], v[18:19] op_sel_hi:[1,0]
	v_pk_add_f32 v[16:17], v[16:17], v[20:21]
	s_waitcnt vmcnt(4)
	v_pk_fma_f32 v[20:21], v[52:53], v[70:71], v[18:19] op_sel:[0,0,1] op_sel_hi:[1,1,0] neg_lo:[0,0,1] neg_hi:[0,0,1]
	v_pk_fma_f32 v[18:19], v[52:53], v[70:71], v[18:19] op_sel:[0,0,1] op_sel_hi:[1,0,0]
	v_mov_b32_e32 v18, v69
	v_mov_b32_e32 v21, v19
	s_waitcnt lgkmcnt(2)
	v_pk_mul_f32 v[18:19], v[6:7], v[18:19] op_sel_hi:[1,0]
	v_pk_add_f32 v[16:17], v[16:17], v[20:21]
	v_pk_fma_f32 v[20:21], v[6:7], v[68:69], v[18:19] op_sel:[0,0,1] op_sel_hi:[1,1,0] neg_lo:[0,0,1] neg_hi:[0,0,1]
	v_pk_fma_f32 v[6:7], v[6:7], v[68:69], v[18:19] op_sel:[0,0,1] op_sel_hi:[1,0,0]
	v_mov_b32_e32 v21, v7
	v_pk_add_f32 v[6:7], v[16:17], v[20:21]
	v_mov_b32_e32 v16, v67
	v_pk_mul_f32 v[16:17], v[8:9], v[16:17] op_sel_hi:[1,0]
	v_pk_fma_f32 v[18:19], v[8:9], v[66:67], v[16:17] op_sel:[0,0,1] op_sel_hi:[1,1,0] neg_lo:[0,0,1] neg_hi:[0,0,1]
	v_pk_fma_f32 v[8:9], v[8:9], v[66:67], v[16:17] op_sel:[0,0,1] op_sel_hi:[1,0,0]
	v_mov_b32_e32 v8, v65
	v_mov_b32_e32 v19, v9
	s_waitcnt lgkmcnt(1)
	v_pk_mul_f32 v[8:9], v[10:11], v[8:9] op_sel_hi:[1,0]
	v_pk_fma_f32 v[16:17], v[10:11], v[64:65], v[8:9] op_sel:[0,0,1] op_sel_hi:[1,1,0] neg_lo:[0,0,1] neg_hi:[0,0,1]
	v_pk_fma_f32 v[8:9], v[10:11], v[64:65], v[8:9] op_sel:[0,0,1] op_sel_hi:[1,0,0]
	s_waitcnt vmcnt(1)
	v_mov_b32_e32 v8, v75
	v_mov_b32_e32 v17, v9
	v_pk_mul_f32 v[8:9], v[12:13], v[8:9] op_sel_hi:[1,0]
	s_waitcnt vmcnt(0)
	v_pk_fma_f32 v[10:11], v[12:13], v[74:75], v[8:9] op_sel:[0,0,1] op_sel_hi:[1,1,0] neg_lo:[0,0,1] neg_hi:[0,0,1]
	v_pk_fma_f32 v[8:9], v[12:13], v[74:75], v[8:9] op_sel:[0,0,1] op_sel_hi:[1,0,0]
	v_pk_add_f32 v[6:7], v[6:7], v[18:19]
	v_mov_b32_e32 v8, v73
	v_pk_add_f32 v[6:7], v[6:7], v[16:17]
	v_mov_b32_e32 v11, v9
	s_waitcnt lgkmcnt(0)
	v_pk_mul_f32 v[8:9], v[14:15], v[8:9] op_sel_hi:[1,0]
	v_pk_add_f32 v[6:7], v[6:7], v[10:11]
	v_pk_fma_f32 v[10:11], v[14:15], v[72:73], v[8:9] op_sel:[0,0,1] op_sel_hi:[1,1,0] neg_lo:[0,0,1] neg_hi:[0,0,1]
	v_pk_fma_f32 v[8:9], v[14:15], v[72:73], v[8:9] op_sel:[0,0,1] op_sel_hi:[1,0,0]
	v_mov_b32_e32 v11, v9
	v_pk_add_f32 v[6:7], v[6:7], v[10:11]
	v_pk_add_f32 v[2:3], v[2:3], v[6:7] neg_lo:[0,1] neg_hi:[0,1]
	buffer_store_dword v3, off, s[0:3], 0 offset:260
	buffer_store_dword v2, off, s[0:3], 0 offset:256
	s_and_saveexec_b64 s[4:5], vcc
	s_cbranch_execz .LBB61_323
; %bb.322:
	buffer_load_dword v2, off, s[0:3], 0 offset:248
	buffer_load_dword v3, off, s[0:3], 0 offset:252
	s_waitcnt vmcnt(0)
	ds_write_b64 v210, v[2:3]
	buffer_store_dword v4, off, s[0:3], 0 offset:248
	buffer_store_dword v4, off, s[0:3], 0 offset:252
.LBB61_323:
	s_or_b64 exec, exec, s[4:5]
	s_waitcnt lgkmcnt(0)
	; wave barrier
	s_waitcnt lgkmcnt(0)
	buffer_load_dword v5, off, s[0:3], 0 offset:260
	buffer_load_dword v56, off, s[0:3], 0 offset:268
	;; [unrolled: 1-line block ×46, first 2 shown]
	ds_read_b128 v[6:9], v4 offset:752
	ds_read_b128 v[10:13], v4 offset:768
	;; [unrolled: 1-line block ×8, first 2 shown]
	v_cmp_lt_u32_e32 vcc, 30, v0
	s_waitcnt vmcnt(45) lgkmcnt(7)
	v_mul_f32_e32 v38, v6, v5
	s_waitcnt vmcnt(44)
	v_mul_f32_e32 v39, v8, v56
	s_waitcnt vmcnt(43) lgkmcnt(6)
	v_mul_f32_e32 v40, v10, v58
	s_waitcnt vmcnt(42)
	v_mul_f32_e32 v41, v12, v60
	;; [unrolled: 4-line block ×6, first 2 shown]
	s_waitcnt vmcnt(33) lgkmcnt(1)
	v_mul_f32_e32 v50, v30, v84
	s_waitcnt vmcnt(32)
	v_fmac_f32_e32 v38, v7, v85
	s_waitcnt vmcnt(31)
	v_fmac_f32_e32 v39, v9, v86
	v_add_f32_e32 v38, 0, v38
	s_waitcnt vmcnt(30)
	v_fmac_f32_e32 v40, v11, v87
	v_add_f32_e32 v38, v38, v39
	;; [unrolled: 3-line block ×12, first 2 shown]
	s_waitcnt vmcnt(19)
	v_mul_f32_e32 v39, v32, v98
	v_add_f32_e32 v38, v38, v50
	s_waitcnt vmcnt(18)
	v_fmac_f32_e32 v39, v33, v99
	v_add_f32_e32 v38, v38, v39
	s_waitcnt vmcnt(17) lgkmcnt(0)
	v_mul_f32_e32 v39, v34, v100
	s_waitcnt vmcnt(16)
	v_fmac_f32_e32 v39, v35, v101
	v_add_f32_e32 v42, v38, v39
	ds_read_b128 v[38:41], v4 offset:880
	s_waitcnt vmcnt(15)
	v_mul_f32_e32 v43, v36, v102
	s_waitcnt vmcnt(14)
	v_fmac_f32_e32 v43, v37, v103
	v_add_f32_e32 v46, v42, v43
	ds_read_b128 v[42:45], v4 offset:896
	buffer_load_dword v55, off, s[0:3], 0 offset:436
	buffer_load_dword v54, off, s[0:3], 0 offset:432
	s_waitcnt vmcnt(15) lgkmcnt(1)
	v_mul_f32_e32 v47, v38, v104
	s_waitcnt vmcnt(14)
	v_fmac_f32_e32 v47, v39, v105
	v_add_f32_e32 v46, v46, v47
	s_waitcnt vmcnt(13)
	v_mul_f32_e32 v47, v40, v106
	s_waitcnt vmcnt(12)
	v_fmac_f32_e32 v47, v41, v107
	v_add_f32_e32 v46, v46, v47
	s_waitcnt vmcnt(11) lgkmcnt(0)
	v_mul_f32_e32 v47, v42, v110
	s_waitcnt vmcnt(10)
	v_fmac_f32_e32 v47, v43, v111
	s_waitcnt vmcnt(9)
	v_mul_f32_e32 v51, v44, v112
	v_add_f32_e32 v50, v46, v47
	s_waitcnt vmcnt(8)
	v_fmac_f32_e32 v51, v45, v113
	ds_read_b128 v[46:49], v4 offset:912
	v_add_f32_e32 v57, v50, v51
	ds_read_b128 v[50:53], v4 offset:928
	buffer_load_dword v63, off, s[0:3], 0 offset:468
	buffer_load_dword v62, off, s[0:3], 0 offset:464
	;; [unrolled: 1-line block ×14, first 2 shown]
	v_mul_f32_e32 v5, v7, v5
	v_fma_f32 v5, v6, v85, -v5
	v_mul_f32_e32 v6, v9, v56
	v_add_f32_e32 v5, 0, v5
	v_fma_f32 v6, v8, v86, -v6
	v_add_f32_e32 v5, v5, v6
	v_mul_f32_e32 v6, v11, v58
	v_fma_f32 v6, v10, v87, -v6
	v_add_f32_e32 v5, v5, v6
	v_mul_f32_e32 v6, v13, v60
	;; [unrolled: 3-line block ×18, first 2 shown]
	v_fma_f32 v6, v44, v113, -v6
	s_waitcnt vmcnt(21) lgkmcnt(1)
	v_mul_f32_e32 v59, v46, v114
	v_add_f32_e32 v56, v5, v6
	v_mul_f32_e32 v5, v47, v114
	s_waitcnt vmcnt(20)
	v_fmac_f32_e32 v59, v47, v115
	s_waitcnt vmcnt(15)
	v_mov_b32_e32 v18, v55
	s_waitcnt lgkmcnt(0)
	v_pk_mul_f32 v[18:19], v[50:51], v[18:19] op_sel_hi:[1,0]
	v_mul_f32_e32 v61, v48, v116
	v_fma_f32 v58, v46, v115, -v5
	v_mul_f32_e32 v5, v49, v116
	s_waitcnt vmcnt(14)
	v_pk_fma_f32 v[20:21], v[50:51], v[54:55], v[18:19] op_sel:[0,0,1] op_sel_hi:[1,1,0] neg_lo:[0,0,1] neg_hi:[0,0,1]
	v_pk_fma_f32 v[18:19], v[50:51], v[54:55], v[18:19] op_sel:[0,0,1] op_sel_hi:[1,0,0]
	v_fmac_f32_e32 v61, v49, v117
	v_fma_f32 v60, v48, v117, -v5
	ds_read_b128 v[6:9], v4 offset:944
	ds_read_b128 v[10:13], v4 offset:960
	;; [unrolled: 1-line block ×3, first 2 shown]
	v_pk_add_f32 v[4:5], v[56:57], v[58:59]
	s_waitcnt vmcnt(7)
	v_mov_b32_e32 v18, v69
	v_pk_add_f32 v[4:5], v[4:5], v[60:61]
	v_mov_b32_e32 v21, v19
	v_pk_mul_f32 v[18:19], v[52:53], v[18:19] op_sel_hi:[1,0]
	v_pk_add_f32 v[4:5], v[4:5], v[20:21]
	s_waitcnt vmcnt(6)
	v_pk_fma_f32 v[20:21], v[52:53], v[68:69], v[18:19] op_sel:[0,0,1] op_sel_hi:[1,1,0] neg_lo:[0,0,1] neg_hi:[0,0,1]
	v_pk_fma_f32 v[18:19], v[52:53], v[68:69], v[18:19] op_sel:[0,0,1] op_sel_hi:[1,0,0]
	v_mov_b32_e32 v18, v67
	v_mov_b32_e32 v21, v19
	s_waitcnt lgkmcnt(2)
	v_pk_mul_f32 v[18:19], v[6:7], v[18:19] op_sel_hi:[1,0]
	v_pk_add_f32 v[4:5], v[4:5], v[20:21]
	v_pk_fma_f32 v[20:21], v[6:7], v[66:67], v[18:19] op_sel:[0,0,1] op_sel_hi:[1,1,0] neg_lo:[0,0,1] neg_hi:[0,0,1]
	v_pk_fma_f32 v[6:7], v[6:7], v[66:67], v[18:19] op_sel:[0,0,1] op_sel_hi:[1,0,0]
	v_mov_b32_e32 v6, v65
	v_mov_b32_e32 v21, v7
	v_pk_mul_f32 v[6:7], v[8:9], v[6:7] op_sel_hi:[1,0]
	v_pk_fma_f32 v[18:19], v[8:9], v[64:65], v[6:7] op_sel:[0,0,1] op_sel_hi:[1,1,0] neg_lo:[0,0,1] neg_hi:[0,0,1]
	v_pk_fma_f32 v[6:7], v[8:9], v[64:65], v[6:7] op_sel:[0,0,1] op_sel_hi:[1,0,0]
	v_mov_b32_e32 v6, v63
	v_mov_b32_e32 v19, v7
	s_waitcnt lgkmcnt(1)
	v_pk_mul_f32 v[6:7], v[10:11], v[6:7] op_sel_hi:[1,0]
	v_pk_fma_f32 v[8:9], v[10:11], v[62:63], v[6:7] op_sel:[0,0,1] op_sel_hi:[1,1,0] neg_lo:[0,0,1] neg_hi:[0,0,1]
	v_pk_fma_f32 v[6:7], v[10:11], v[62:63], v[6:7] op_sel:[0,0,1] op_sel_hi:[1,0,0]
	v_pk_add_f32 v[4:5], v[4:5], v[20:21]
	s_waitcnt vmcnt(1)
	v_mov_b32_e32 v6, v75
	v_pk_add_f32 v[4:5], v[4:5], v[18:19]
	v_mov_b32_e32 v9, v7
	v_pk_mul_f32 v[6:7], v[12:13], v[6:7] op_sel_hi:[1,0]
	v_pk_add_f32 v[4:5], v[4:5], v[8:9]
	s_waitcnt vmcnt(0)
	v_pk_fma_f32 v[8:9], v[12:13], v[74:75], v[6:7] op_sel:[0,0,1] op_sel_hi:[1,1,0] neg_lo:[0,0,1] neg_hi:[0,0,1]
	v_pk_fma_f32 v[6:7], v[12:13], v[74:75], v[6:7] op_sel:[0,0,1] op_sel_hi:[1,0,0]
	v_mov_b32_e32 v6, v73
	v_mov_b32_e32 v9, v7
	s_waitcnt lgkmcnt(0)
	v_pk_mul_f32 v[6:7], v[14:15], v[6:7] op_sel_hi:[1,0]
	v_pk_add_f32 v[4:5], v[4:5], v[8:9]
	v_pk_fma_f32 v[8:9], v[14:15], v[72:73], v[6:7] op_sel:[0,0,1] op_sel_hi:[1,1,0] neg_lo:[0,0,1] neg_hi:[0,0,1]
	v_pk_fma_f32 v[6:7], v[14:15], v[72:73], v[6:7] op_sel:[0,0,1] op_sel_hi:[1,0,0]
	v_mov_b32_e32 v6, v71
	v_mov_b32_e32 v9, v7
	v_pk_mul_f32 v[6:7], v[16:17], v[6:7] op_sel_hi:[1,0]
	v_pk_add_f32 v[4:5], v[4:5], v[8:9]
	v_pk_fma_f32 v[8:9], v[16:17], v[70:71], v[6:7] op_sel:[0,0,1] op_sel_hi:[1,1,0] neg_lo:[0,0,1] neg_hi:[0,0,1]
	v_pk_fma_f32 v[6:7], v[16:17], v[70:71], v[6:7] op_sel:[0,0,1] op_sel_hi:[1,0,0]
	v_mov_b32_e32 v9, v7
	v_pk_add_f32 v[4:5], v[4:5], v[8:9]
	v_pk_add_f32 v[2:3], v[2:3], v[4:5] neg_lo:[0,1] neg_hi:[0,1]
	buffer_store_dword v3, off, s[0:3], 0 offset:252
	buffer_store_dword v2, off, s[0:3], 0 offset:248
	s_and_saveexec_b64 s[4:5], vcc
	s_cbranch_execz .LBB61_325
; %bb.324:
	buffer_load_dword v2, off, s[0:3], 0 offset:240
	buffer_load_dword v3, off, s[0:3], 0 offset:244
	v_mov_b32_e32 v4, 0
	buffer_store_dword v4, off, s[0:3], 0 offset:240
	buffer_store_dword v4, off, s[0:3], 0 offset:244
	s_waitcnt vmcnt(2)
	ds_write_b64 v210, v[2:3]
.LBB61_325:
	s_or_b64 exec, exec, s[4:5]
	s_waitcnt lgkmcnt(0)
	; wave barrier
	s_waitcnt lgkmcnt(0)
	buffer_load_dword v5, off, s[0:3], 0 offset:252
	buffer_load_dword v54, off, s[0:3], 0 offset:260
	buffer_load_dword v56, off, s[0:3], 0 offset:268
	buffer_load_dword v58, off, s[0:3], 0 offset:276
	buffer_load_dword v76, off, s[0:3], 0 offset:284
	buffer_load_dword v77, off, s[0:3], 0 offset:292
	buffer_load_dword v78, off, s[0:3], 0 offset:300
	buffer_load_dword v79, off, s[0:3], 0 offset:308
	buffer_load_dword v80, off, s[0:3], 0 offset:316
	buffer_load_dword v81, off, s[0:3], 0 offset:324
	buffer_load_dword v82, off, s[0:3], 0 offset:332
	buffer_load_dword v83, off, s[0:3], 0 offset:340
	buffer_load_dword v84, off, s[0:3], 0 offset:248
	buffer_load_dword v85, off, s[0:3], 0 offset:256
	buffer_load_dword v86, off, s[0:3], 0 offset:264
	buffer_load_dword v87, off, s[0:3], 0 offset:272
	buffer_load_dword v88, off, s[0:3], 0 offset:280
	buffer_load_dword v89, off, s[0:3], 0 offset:288
	buffer_load_dword v90, off, s[0:3], 0 offset:296
	buffer_load_dword v91, off, s[0:3], 0 offset:304
	buffer_load_dword v92, off, s[0:3], 0 offset:312
	buffer_load_dword v93, off, s[0:3], 0 offset:320
	buffer_load_dword v94, off, s[0:3], 0 offset:328
	buffer_load_dword v95, off, s[0:3], 0 offset:336
	buffer_load_dword v96, off, s[0:3], 0 offset:348
	buffer_load_dword v97, off, s[0:3], 0 offset:344
	buffer_load_dword v98, off, s[0:3], 0 offset:356
	buffer_load_dword v99, off, s[0:3], 0 offset:352
	buffer_load_dword v100, off, s[0:3], 0 offset:364
	buffer_load_dword v101, off, s[0:3], 0 offset:360
	buffer_load_dword v102, off, s[0:3], 0 offset:372
	buffer_load_dword v103, off, s[0:3], 0 offset:368
	buffer_load_dword v104, off, s[0:3], 0 offset:380
	buffer_load_dword v105, off, s[0:3], 0 offset:376
	buffer_load_dword v106, off, s[0:3], 0 offset:388
	buffer_load_dword v107, off, s[0:3], 0 offset:384
	buffer_load_dword v110, off, s[0:3], 0 offset:396
	buffer_load_dword v111, off, s[0:3], 0 offset:392
	buffer_load_dword v112, off, s[0:3], 0 offset:404
	buffer_load_dword v113, off, s[0:3], 0 offset:400
	buffer_load_dword v114, off, s[0:3], 0 offset:408
	buffer_load_dword v115, off, s[0:3], 0 offset:412
	buffer_load_dword v2, off, s[0:3], 0 offset:240
	buffer_load_dword v3, off, s[0:3], 0 offset:244
	buffer_load_dword v116, off, s[0:3], 0 offset:420
	buffer_load_dword v117, off, s[0:3], 0 offset:416
	buffer_load_dword v118, off, s[0:3], 0 offset:428
	buffer_load_dword v119, off, s[0:3], 0 offset:424
	v_mov_b32_e32 v4, 0
	ds_read2_b64 v[6:9], v4 offset0:93 offset1:94
	ds_read2_b64 v[10:13], v4 offset0:95 offset1:96
	;; [unrolled: 1-line block ×6, first 2 shown]
	v_cmp_lt_u32_e32 vcc, 29, v0
	s_waitcnt vmcnt(47) lgkmcnt(5)
	v_mul_f32_e32 v30, v6, v5
	s_waitcnt vmcnt(46)
	v_mul_f32_e32 v31, v8, v54
	s_waitcnt vmcnt(45) lgkmcnt(4)
	v_mul_f32_e32 v32, v10, v56
	s_waitcnt vmcnt(44)
	v_mul_f32_e32 v33, v12, v58
	;; [unrolled: 4-line block ×6, first 2 shown]
	s_waitcnt vmcnt(35)
	v_fmac_f32_e32 v30, v7, v84
	s_waitcnt vmcnt(34)
	v_fmac_f32_e32 v31, v9, v85
	v_add_f32_e32 v30, 0, v30
	s_waitcnt vmcnt(33)
	v_fmac_f32_e32 v32, v11, v86
	v_add_f32_e32 v30, v30, v31
	s_waitcnt vmcnt(32)
	v_fmac_f32_e32 v33, v13, v87
	v_add_f32_e32 v30, v30, v32
	s_waitcnt vmcnt(31)
	v_fmac_f32_e32 v34, v15, v88
	v_add_f32_e32 v30, v30, v33
	s_waitcnt vmcnt(30)
	v_fmac_f32_e32 v35, v17, v89
	v_add_f32_e32 v30, v30, v34
	s_waitcnt vmcnt(29)
	v_fmac_f32_e32 v36, v19, v90
	v_add_f32_e32 v30, v30, v35
	s_waitcnt vmcnt(28)
	v_fmac_f32_e32 v37, v21, v91
	v_add_f32_e32 v30, v30, v36
	s_waitcnt vmcnt(27)
	v_fmac_f32_e32 v38, v23, v92
	v_add_f32_e32 v30, v30, v37
	v_add_f32_e32 v34, v30, v38
	ds_read2_b64 v[30:33], v4 offset0:105 offset1:106
	s_waitcnt vmcnt(26)
	v_fmac_f32_e32 v39, v25, v93
	s_waitcnt vmcnt(25)
	v_fmac_f32_e32 v40, v27, v94
	v_add_f32_e32 v34, v34, v39
	s_waitcnt vmcnt(24)
	v_fmac_f32_e32 v41, v29, v95
	v_add_f32_e32 v34, v34, v40
	v_add_f32_e32 v38, v34, v41
	ds_read2_b64 v[34:37], v4 offset0:107 offset1:108
	s_waitcnt vmcnt(23) lgkmcnt(1)
	v_mul_f32_e32 v39, v30, v96
	s_waitcnt vmcnt(22)
	v_fmac_f32_e32 v39, v31, v97
	v_add_f32_e32 v38, v38, v39
	s_waitcnt vmcnt(21)
	v_mul_f32_e32 v39, v32, v98
	s_waitcnt vmcnt(20)
	v_fmac_f32_e32 v39, v33, v99
	v_add_f32_e32 v38, v38, v39
	s_waitcnt vmcnt(19) lgkmcnt(0)
	v_mul_f32_e32 v39, v34, v100
	s_waitcnt vmcnt(18)
	v_fmac_f32_e32 v39, v35, v101
	v_add_f32_e32 v42, v38, v39
	ds_read2_b64 v[38:41], v4 offset0:109 offset1:110
	s_waitcnt vmcnt(17)
	v_mul_f32_e32 v43, v36, v102
	s_waitcnt vmcnt(16)
	v_fmac_f32_e32 v43, v37, v103
	v_add_f32_e32 v46, v42, v43
	ds_read2_b64 v[42:45], v4 offset0:111 offset1:112
	s_waitcnt vmcnt(15) lgkmcnt(1)
	v_mul_f32_e32 v47, v38, v104
	s_waitcnt vmcnt(14)
	v_fmac_f32_e32 v47, v39, v105
	v_add_f32_e32 v46, v46, v47
	s_waitcnt vmcnt(13)
	v_mul_f32_e32 v47, v40, v106
	s_waitcnt vmcnt(12)
	v_fmac_f32_e32 v47, v41, v107
	v_add_f32_e32 v46, v46, v47
	s_waitcnt vmcnt(11) lgkmcnt(0)
	v_mul_f32_e32 v47, v42, v110
	s_waitcnt vmcnt(10)
	v_fmac_f32_e32 v47, v43, v111
	s_waitcnt vmcnt(9)
	v_mul_f32_e32 v51, v44, v112
	v_add_f32_e32 v50, v46, v47
	s_waitcnt vmcnt(8)
	v_fmac_f32_e32 v51, v45, v113
	ds_read2_b64 v[46:49], v4 offset0:113 offset1:114
	v_add_f32_e32 v55, v50, v51
	ds_read2_b64 v[50:53], v4 offset0:115 offset1:116
	buffer_load_dword v61, off, s[0:3], 0 offset:460
	buffer_load_dword v60, off, s[0:3], 0 offset:456
	;; [unrolled: 1-line block ×16, first 2 shown]
	v_mul_f32_e32 v5, v7, v5
	v_fma_f32 v5, v6, v84, -v5
	v_mul_f32_e32 v6, v9, v54
	v_add_f32_e32 v5, 0, v5
	v_fma_f32 v6, v8, v85, -v6
	v_add_f32_e32 v5, v5, v6
	v_mul_f32_e32 v6, v11, v56
	v_fma_f32 v6, v10, v86, -v6
	v_add_f32_e32 v5, v5, v6
	v_mul_f32_e32 v6, v13, v58
	;; [unrolled: 3-line block ×18, first 2 shown]
	v_fma_f32 v6, v44, v113, -v6
	s_waitcnt vmcnt(22) lgkmcnt(1)
	v_mul_f32_e32 v57, v46, v115
	v_add_f32_e32 v5, v5, v6
	v_mul_f32_e32 v6, v47, v115
	v_fmac_f32_e32 v57, v47, v114
	v_fma_f32 v6, v46, v114, -v6
	v_add_f32_e32 v55, v55, v57
	s_waitcnt vmcnt(19)
	v_mul_f32_e32 v57, v48, v116
	v_add_f32_e32 v54, v5, v6
	v_mul_f32_e32 v5, v49, v116
	s_waitcnt vmcnt(18)
	v_fmac_f32_e32 v57, v49, v117
	s_waitcnt vmcnt(17) lgkmcnt(0)
	v_mul_f32_e32 v59, v50, v118
	s_waitcnt vmcnt(9)
	v_mov_b32_e32 v22, v67
	v_pk_mul_f32 v[22:23], v[52:53], v[22:23] op_sel_hi:[1,0]
	v_fma_f32 v56, v48, v117, -v5
	v_mul_f32_e32 v5, v51, v118
	ds_read2_b64 v[6:9], v4 offset0:117 offset1:118
	ds_read2_b64 v[10:13], v4 offset0:119 offset1:120
	;; [unrolled: 1-line block ×3, first 2 shown]
	ds_read_b64 v[18:19], v4 offset:984
	s_waitcnt vmcnt(8)
	v_pk_fma_f32 v[24:25], v[52:53], v[66:67], v[22:23] op_sel:[0,0,1] op_sel_hi:[1,1,0] neg_lo:[0,0,1] neg_hi:[0,0,1]
	v_pk_fma_f32 v[22:23], v[52:53], v[66:67], v[22:23] op_sel:[0,0,1] op_sel_hi:[1,0,0]
	v_fmac_f32_e32 v59, v51, v119
	v_fma_f32 v58, v50, v119, -v5
	v_pk_add_f32 v[20:21], v[54:55], v[56:57]
	v_mov_b32_e32 v22, v65
	v_pk_add_f32 v[20:21], v[20:21], v[58:59]
	v_mov_b32_e32 v25, v23
	s_waitcnt lgkmcnt(3)
	v_pk_mul_f32 v[22:23], v[6:7], v[22:23] op_sel_hi:[1,0]
	v_pk_add_f32 v[20:21], v[20:21], v[24:25]
	v_pk_fma_f32 v[24:25], v[6:7], v[64:65], v[22:23] op_sel:[0,0,1] op_sel_hi:[1,1,0] neg_lo:[0,0,1] neg_hi:[0,0,1]
	v_pk_fma_f32 v[6:7], v[6:7], v[64:65], v[22:23] op_sel:[0,0,1] op_sel_hi:[1,0,0]
	v_mov_b32_e32 v25, v7
	v_pk_add_f32 v[6:7], v[20:21], v[24:25]
	v_mov_b32_e32 v20, v63
	v_pk_mul_f32 v[20:21], v[8:9], v[20:21] op_sel_hi:[1,0]
	v_pk_fma_f32 v[22:23], v[8:9], v[62:63], v[20:21] op_sel:[0,0,1] op_sel_hi:[1,1,0] neg_lo:[0,0,1] neg_hi:[0,0,1]
	v_pk_fma_f32 v[8:9], v[8:9], v[62:63], v[20:21] op_sel:[0,0,1] op_sel_hi:[1,0,0]
	v_mov_b32_e32 v8, v61
	v_mov_b32_e32 v23, v9
	s_waitcnt lgkmcnt(2)
	v_pk_mul_f32 v[8:9], v[10:11], v[8:9] op_sel_hi:[1,0]
	v_pk_fma_f32 v[20:21], v[10:11], v[60:61], v[8:9] op_sel:[0,0,1] op_sel_hi:[1,1,0] neg_lo:[0,0,1] neg_hi:[0,0,1]
	v_pk_fma_f32 v[8:9], v[10:11], v[60:61], v[8:9] op_sel:[0,0,1] op_sel_hi:[1,0,0]
	s_waitcnt vmcnt(1)
	v_mov_b32_e32 v8, v75
	v_mov_b32_e32 v21, v9
	v_pk_mul_f32 v[8:9], v[12:13], v[8:9] op_sel_hi:[1,0]
	s_waitcnt vmcnt(0)
	v_pk_fma_f32 v[10:11], v[12:13], v[74:75], v[8:9] op_sel:[0,0,1] op_sel_hi:[1,1,0] neg_lo:[0,0,1] neg_hi:[0,0,1]
	v_pk_fma_f32 v[8:9], v[12:13], v[74:75], v[8:9] op_sel:[0,0,1] op_sel_hi:[1,0,0]
	v_pk_add_f32 v[6:7], v[6:7], v[22:23]
	v_mov_b32_e32 v8, v73
	v_pk_add_f32 v[6:7], v[6:7], v[20:21]
	v_mov_b32_e32 v11, v9
	s_waitcnt lgkmcnt(1)
	v_pk_mul_f32 v[8:9], v[14:15], v[8:9] op_sel_hi:[1,0]
	v_pk_add_f32 v[6:7], v[6:7], v[10:11]
	v_pk_fma_f32 v[10:11], v[14:15], v[72:73], v[8:9] op_sel:[0,0,1] op_sel_hi:[1,1,0] neg_lo:[0,0,1] neg_hi:[0,0,1]
	v_pk_fma_f32 v[8:9], v[14:15], v[72:73], v[8:9] op_sel:[0,0,1] op_sel_hi:[1,0,0]
	v_mov_b32_e32 v8, v71
	v_mov_b32_e32 v11, v9
	v_pk_mul_f32 v[8:9], v[16:17], v[8:9] op_sel_hi:[1,0]
	v_pk_add_f32 v[6:7], v[6:7], v[10:11]
	v_pk_fma_f32 v[10:11], v[16:17], v[70:71], v[8:9] op_sel:[0,0,1] op_sel_hi:[1,1,0] neg_lo:[0,0,1] neg_hi:[0,0,1]
	v_pk_fma_f32 v[8:9], v[16:17], v[70:71], v[8:9] op_sel:[0,0,1] op_sel_hi:[1,0,0]
	v_mov_b32_e32 v8, v69
	v_mov_b32_e32 v11, v9
	s_waitcnt lgkmcnt(0)
	v_pk_mul_f32 v[8:9], v[18:19], v[8:9] op_sel_hi:[1,0]
	v_pk_add_f32 v[6:7], v[6:7], v[10:11]
	v_pk_fma_f32 v[10:11], v[18:19], v[68:69], v[8:9] op_sel:[0,0,1] op_sel_hi:[1,1,0] neg_lo:[0,0,1] neg_hi:[0,0,1]
	v_pk_fma_f32 v[8:9], v[18:19], v[68:69], v[8:9] op_sel:[0,0,1] op_sel_hi:[1,0,0]
	v_mov_b32_e32 v11, v9
	v_pk_add_f32 v[6:7], v[6:7], v[10:11]
	v_pk_add_f32 v[2:3], v[2:3], v[6:7] neg_lo:[0,1] neg_hi:[0,1]
	buffer_store_dword v3, off, s[0:3], 0 offset:244
	buffer_store_dword v2, off, s[0:3], 0 offset:240
	s_and_saveexec_b64 s[4:5], vcc
	s_cbranch_execz .LBB61_327
; %bb.326:
	buffer_load_dword v2, off, s[0:3], 0 offset:232
	buffer_load_dword v3, off, s[0:3], 0 offset:236
	s_waitcnt vmcnt(0)
	ds_write_b64 v210, v[2:3]
	buffer_store_dword v4, off, s[0:3], 0 offset:232
	buffer_store_dword v4, off, s[0:3], 0 offset:236
.LBB61_327:
	s_or_b64 exec, exec, s[4:5]
	s_waitcnt lgkmcnt(0)
	; wave barrier
	s_waitcnt lgkmcnt(0)
	buffer_load_dword v5, off, s[0:3], 0 offset:244
	buffer_load_dword v54, off, s[0:3], 0 offset:252
	;; [unrolled: 1-line block ×48, first 2 shown]
	ds_read_b128 v[6:9], v4 offset:736
	ds_read_b128 v[10:13], v4 offset:752
	;; [unrolled: 1-line block ×6, first 2 shown]
	buffer_load_dword v120, off, s[0:3], 0 offset:424
	buffer_load_dword v121, off, s[0:3], 0 offset:428
	v_cmp_lt_u32_e32 vcc, 28, v0
	s_waitcnt vmcnt(49) lgkmcnt(5)
	v_mul_f32_e32 v30, v6, v5
	s_waitcnt vmcnt(48)
	v_mul_f32_e32 v31, v8, v54
	s_waitcnt vmcnt(47) lgkmcnt(4)
	v_mul_f32_e32 v32, v10, v56
	s_waitcnt vmcnt(46)
	v_mul_f32_e32 v33, v12, v64
	;; [unrolled: 4-line block ×6, first 2 shown]
	s_waitcnt vmcnt(37)
	v_fmac_f32_e32 v30, v7, v84
	s_waitcnt vmcnt(36)
	v_fmac_f32_e32 v31, v9, v85
	v_add_f32_e32 v30, 0, v30
	s_waitcnt vmcnt(35)
	v_fmac_f32_e32 v32, v11, v86
	v_add_f32_e32 v30, v30, v31
	;; [unrolled: 3-line block ×9, first 2 shown]
	v_add_f32_e32 v34, v30, v39
	ds_read_b128 v[30:33], v4 offset:832
	s_waitcnt vmcnt(27)
	v_fmac_f32_e32 v40, v27, v94
	v_add_f32_e32 v34, v34, v40
	s_waitcnt vmcnt(26)
	v_fmac_f32_e32 v41, v29, v95
	v_add_f32_e32 v38, v34, v41
	ds_read_b128 v[34:37], v4 offset:848
	s_waitcnt vmcnt(25) lgkmcnt(1)
	v_mul_f32_e32 v39, v30, v96
	s_waitcnt vmcnt(24)
	v_fmac_f32_e32 v39, v31, v97
	v_add_f32_e32 v38, v38, v39
	s_waitcnt vmcnt(23)
	v_mul_f32_e32 v39, v32, v98
	s_waitcnt vmcnt(22)
	v_fmac_f32_e32 v39, v33, v99
	v_add_f32_e32 v38, v38, v39
	s_waitcnt vmcnt(21) lgkmcnt(0)
	v_mul_f32_e32 v39, v34, v100
	s_waitcnt vmcnt(20)
	v_fmac_f32_e32 v39, v35, v101
	v_add_f32_e32 v42, v38, v39
	ds_read_b128 v[38:41], v4 offset:864
	s_waitcnt vmcnt(19)
	v_mul_f32_e32 v43, v36, v102
	s_waitcnt vmcnt(18)
	v_fmac_f32_e32 v43, v37, v103
	v_add_f32_e32 v46, v42, v43
	ds_read_b128 v[42:45], v4 offset:880
	s_waitcnt vmcnt(17) lgkmcnt(1)
	v_mul_f32_e32 v47, v38, v104
	s_waitcnt vmcnt(16)
	v_fmac_f32_e32 v47, v39, v105
	v_add_f32_e32 v46, v46, v47
	s_waitcnt vmcnt(15)
	v_mul_f32_e32 v47, v40, v106
	s_waitcnt vmcnt(14)
	v_fmac_f32_e32 v47, v41, v107
	v_add_f32_e32 v46, v46, v47
	s_waitcnt vmcnt(13) lgkmcnt(0)
	v_mul_f32_e32 v47, v42, v110
	s_waitcnt vmcnt(12)
	v_fmac_f32_e32 v47, v43, v111
	s_waitcnt vmcnt(11)
	v_mul_f32_e32 v51, v44, v112
	v_add_f32_e32 v50, v46, v47
	s_waitcnt vmcnt(10)
	v_fmac_f32_e32 v51, v45, v113
	ds_read_b128 v[46:49], v4 offset:896
	v_add_f32_e32 v55, v50, v51
	ds_read_b128 v[50:53], v4 offset:912
	buffer_load_dword v59, off, s[0:3], 0 offset:452
	buffer_load_dword v58, off, s[0:3], 0 offset:448
	;; [unrolled: 1-line block ×16, first 2 shown]
	v_mul_f32_e32 v5, v7, v5
	v_fma_f32 v5, v6, v84, -v5
	v_mul_f32_e32 v6, v9, v54
	v_add_f32_e32 v5, 0, v5
	v_fma_f32 v6, v8, v85, -v6
	v_add_f32_e32 v5, v5, v6
	v_mul_f32_e32 v6, v11, v56
	v_fma_f32 v6, v10, v86, -v6
	v_add_f32_e32 v5, v5, v6
	v_mul_f32_e32 v6, v13, v64
	;; [unrolled: 3-line block ×18, first 2 shown]
	v_fma_f32 v6, v44, v113, -v6
	v_add_f32_e32 v5, v5, v6
	s_waitcnt vmcnt(23) lgkmcnt(1)
	v_mul_f32_e32 v6, v47, v114
	s_waitcnt vmcnt(22)
	v_fma_f32 v6, v46, v115, -v6
	v_add_f32_e32 v5, v5, v6
	s_waitcnt vmcnt(20)
	v_mul_f32_e32 v6, v49, v117
	v_fma_f32 v6, v48, v116, -v6
	v_add_f32_e32 v54, v5, v6
	ds_read_b128 v[6:9], v4 offset:928
	ds_read_b128 v[10:13], v4 offset:944
	;; [unrolled: 1-line block ×4, first 2 shown]
	v_mul_f32_e32 v57, v46, v114
	v_fmac_f32_e32 v57, v47, v115
	v_add_f32_e32 v55, v55, v57
	v_mul_f32_e32 v57, v48, v117
	v_fmac_f32_e32 v57, v49, v116
	v_add_f32_e32 v55, v55, v57
	s_waitcnt vmcnt(18) lgkmcnt(4)
	v_mul_f32_e32 v57, v50, v119
	v_mul_f32_e32 v5, v51, v119
	v_fmac_f32_e32 v57, v51, v118
	s_waitcnt vmcnt(16)
	v_mul_f32_e32 v65, v52, v121
	s_waitcnt vmcnt(11)
	v_mov_b32_e32 v22, v63
	s_waitcnt lgkmcnt(3)
	v_pk_mul_f32 v[22:23], v[6:7], v[22:23] op_sel_hi:[1,0]
	s_waitcnt vmcnt(10)
	v_pk_fma_f32 v[24:25], v[6:7], v[62:63], v[22:23] op_sel:[0,0,1] op_sel_hi:[1,1,0] neg_lo:[0,0,1] neg_hi:[0,0,1]
	v_pk_fma_f32 v[6:7], v[6:7], v[62:63], v[22:23] op_sel:[0,0,1] op_sel_hi:[1,0,0]
	v_mov_b32_e32 v6, v61
	v_mov_b32_e32 v25, v7
	v_pk_mul_f32 v[6:7], v[8:9], v[6:7] op_sel_hi:[1,0]
	v_pk_fma_f32 v[22:23], v[8:9], v[60:61], v[6:7] op_sel:[0,0,1] op_sel_hi:[1,1,0] neg_lo:[0,0,1] neg_hi:[0,0,1]
	v_pk_fma_f32 v[6:7], v[8:9], v[60:61], v[6:7] op_sel:[0,0,1] op_sel_hi:[1,0,0]
	v_fma_f32 v56, v50, v118, -v5
	v_mul_f32_e32 v5, v53, v121
	v_mov_b32_e32 v6, v59
	v_fmac_f32_e32 v65, v53, v120
	v_fma_f32 v64, v52, v120, -v5
	v_pk_add_f32 v[4:5], v[54:55], v[56:57]
	v_mov_b32_e32 v23, v7
	s_waitcnt lgkmcnt(2)
	v_pk_mul_f32 v[6:7], v[10:11], v[6:7] op_sel_hi:[1,0]
	v_pk_add_f32 v[4:5], v[4:5], v[64:65]
	v_pk_fma_f32 v[8:9], v[10:11], v[58:59], v[6:7] op_sel:[0,0,1] op_sel_hi:[1,1,0] neg_lo:[0,0,1] neg_hi:[0,0,1]
	v_pk_fma_f32 v[6:7], v[10:11], v[58:59], v[6:7] op_sel:[0,0,1] op_sel_hi:[1,0,0]
	v_pk_add_f32 v[4:5], v[4:5], v[24:25]
	s_waitcnt vmcnt(3)
	v_mov_b32_e32 v6, v73
	v_pk_add_f32 v[4:5], v[4:5], v[22:23]
	v_mov_b32_e32 v9, v7
	v_pk_mul_f32 v[6:7], v[12:13], v[6:7] op_sel_hi:[1,0]
	v_pk_add_f32 v[4:5], v[4:5], v[8:9]
	s_waitcnt vmcnt(2)
	v_pk_fma_f32 v[8:9], v[12:13], v[72:73], v[6:7] op_sel:[0,0,1] op_sel_hi:[1,1,0] neg_lo:[0,0,1] neg_hi:[0,0,1]
	v_pk_fma_f32 v[6:7], v[12:13], v[72:73], v[6:7] op_sel:[0,0,1] op_sel_hi:[1,0,0]
	v_mov_b32_e32 v6, v71
	v_mov_b32_e32 v9, v7
	s_waitcnt lgkmcnt(1)
	v_pk_mul_f32 v[6:7], v[14:15], v[6:7] op_sel_hi:[1,0]
	v_pk_add_f32 v[4:5], v[4:5], v[8:9]
	v_pk_fma_f32 v[8:9], v[14:15], v[70:71], v[6:7] op_sel:[0,0,1] op_sel_hi:[1,1,0] neg_lo:[0,0,1] neg_hi:[0,0,1]
	v_pk_fma_f32 v[6:7], v[14:15], v[70:71], v[6:7] op_sel:[0,0,1] op_sel_hi:[1,0,0]
	v_mov_b32_e32 v6, v69
	v_mov_b32_e32 v9, v7
	v_pk_mul_f32 v[6:7], v[16:17], v[6:7] op_sel_hi:[1,0]
	v_pk_add_f32 v[4:5], v[4:5], v[8:9]
	v_pk_fma_f32 v[8:9], v[16:17], v[68:69], v[6:7] op_sel:[0,0,1] op_sel_hi:[1,1,0] neg_lo:[0,0,1] neg_hi:[0,0,1]
	v_pk_fma_f32 v[6:7], v[16:17], v[68:69], v[6:7] op_sel:[0,0,1] op_sel_hi:[1,0,0]
	v_mov_b32_e32 v6, v67
	v_mov_b32_e32 v9, v7
	s_waitcnt lgkmcnt(0)
	v_pk_mul_f32 v[6:7], v[18:19], v[6:7] op_sel_hi:[1,0]
	v_pk_add_f32 v[4:5], v[4:5], v[8:9]
	v_pk_fma_f32 v[8:9], v[18:19], v[66:67], v[6:7] op_sel:[0,0,1] op_sel_hi:[1,1,0] neg_lo:[0,0,1] neg_hi:[0,0,1]
	v_pk_fma_f32 v[6:7], v[18:19], v[66:67], v[6:7] op_sel:[0,0,1] op_sel_hi:[1,0,0]
	s_waitcnt vmcnt(1)
	v_mov_b32_e32 v6, v75
	v_mov_b32_e32 v9, v7
	v_pk_mul_f32 v[6:7], v[20:21], v[6:7] op_sel_hi:[1,0]
	v_pk_add_f32 v[4:5], v[4:5], v[8:9]
	s_waitcnt vmcnt(0)
	v_pk_fma_f32 v[8:9], v[20:21], v[74:75], v[6:7] op_sel:[0,0,1] op_sel_hi:[1,1,0] neg_lo:[0,0,1] neg_hi:[0,0,1]
	v_pk_fma_f32 v[6:7], v[20:21], v[74:75], v[6:7] op_sel:[0,0,1] op_sel_hi:[1,0,0]
	v_mov_b32_e32 v9, v7
	v_pk_add_f32 v[4:5], v[4:5], v[8:9]
	v_pk_add_f32 v[2:3], v[2:3], v[4:5] neg_lo:[0,1] neg_hi:[0,1]
	buffer_store_dword v3, off, s[0:3], 0 offset:236
	buffer_store_dword v2, off, s[0:3], 0 offset:232
	s_and_saveexec_b64 s[4:5], vcc
	s_cbranch_execz .LBB61_329
; %bb.328:
	buffer_load_dword v2, off, s[0:3], 0 offset:224
	buffer_load_dword v3, off, s[0:3], 0 offset:228
	v_mov_b32_e32 v4, 0
	buffer_store_dword v4, off, s[0:3], 0 offset:224
	buffer_store_dword v4, off, s[0:3], 0 offset:228
	s_waitcnt vmcnt(2)
	ds_write_b64 v210, v[2:3]
.LBB61_329:
	s_or_b64 exec, exec, s[4:5]
	s_waitcnt lgkmcnt(0)
	; wave barrier
	s_waitcnt lgkmcnt(0)
	buffer_load_dword v5, off, s[0:3], 0 offset:236
	buffer_load_dword v62, off, s[0:3], 0 offset:244
	;; [unrolled: 1-line block ×52, first 2 shown]
	v_mov_b32_e32 v4, 0
	ds_read2_b64 v[6:9], v4 offset0:91 offset1:92
	ds_read2_b64 v[10:13], v4 offset0:93 offset1:94
	;; [unrolled: 1-line block ×6, first 2 shown]
	v_cmp_lt_u32_e32 vcc, 27, v0
	s_waitcnt vmcnt(51) lgkmcnt(5)
	v_mul_f32_e32 v30, v6, v5
	s_waitcnt vmcnt(50)
	v_mul_f32_e32 v31, v8, v62
	s_waitcnt vmcnt(49) lgkmcnt(4)
	v_mul_f32_e32 v32, v10, v68
	s_waitcnt vmcnt(48)
	v_mul_f32_e32 v33, v12, v70
	;; [unrolled: 4-line block ×5, first 2 shown]
	s_waitcnt vmcnt(41) lgkmcnt(0)
	v_mul_f32_e32 v40, v26, v90
	s_waitcnt vmcnt(40)
	v_fmac_f32_e32 v30, v7, v91
	s_waitcnt vmcnt(39)
	v_fmac_f32_e32 v31, v9, v92
	v_add_f32_e32 v30, 0, v30
	s_waitcnt vmcnt(38)
	v_fmac_f32_e32 v32, v11, v93
	v_add_f32_e32 v30, v30, v31
	;; [unrolled: 3-line block ×9, first 2 shown]
	v_add_f32_e32 v30, v30, v39
	s_waitcnt vmcnt(30)
	v_fmac_f32_e32 v40, v27, v101
	v_add_f32_e32 v34, v30, v40
	ds_read2_b64 v[30:33], v4 offset0:103 offset1:104
	s_waitcnt vmcnt(29)
	v_mul_f32_e32 v35, v28, v102
	s_waitcnt vmcnt(28)
	v_fmac_f32_e32 v35, v29, v103
	v_add_f32_e32 v38, v34, v35
	ds_read2_b64 v[34:37], v4 offset0:105 offset1:106
	s_waitcnt vmcnt(27) lgkmcnt(1)
	v_mul_f32_e32 v39, v30, v104
	s_waitcnt vmcnt(26)
	v_fmac_f32_e32 v39, v31, v105
	v_add_f32_e32 v38, v38, v39
	s_waitcnt vmcnt(25)
	v_mul_f32_e32 v39, v32, v106
	s_waitcnt vmcnt(24)
	v_fmac_f32_e32 v39, v33, v107
	v_add_f32_e32 v38, v38, v39
	s_waitcnt vmcnt(23) lgkmcnt(0)
	v_mul_f32_e32 v39, v34, v110
	s_waitcnt vmcnt(22)
	v_fmac_f32_e32 v39, v35, v111
	v_add_f32_e32 v42, v38, v39
	ds_read2_b64 v[38:41], v4 offset0:107 offset1:108
	s_waitcnt vmcnt(21)
	v_mul_f32_e32 v43, v36, v112
	s_waitcnt vmcnt(20)
	v_fmac_f32_e32 v43, v37, v113
	v_add_f32_e32 v46, v42, v43
	ds_read2_b64 v[42:45], v4 offset0:109 offset1:110
	s_waitcnt vmcnt(19) lgkmcnt(1)
	v_mul_f32_e32 v47, v38, v114
	s_waitcnt vmcnt(18)
	v_fmac_f32_e32 v47, v39, v115
	v_add_f32_e32 v46, v46, v47
	s_waitcnt vmcnt(17)
	v_mul_f32_e32 v47, v40, v116
	s_waitcnt vmcnt(16)
	v_fmac_f32_e32 v47, v41, v117
	v_add_f32_e32 v46, v46, v47
	s_waitcnt vmcnt(14) lgkmcnt(0)
	v_mul_f32_e32 v47, v42, v119
	v_fmac_f32_e32 v47, v43, v118
	v_add_f32_e32 v50, v46, v47
	ds_read2_b64 v[46:49], v4 offset0:111 offset1:112
	s_waitcnt vmcnt(10)
	v_mul_f32_e32 v51, v44, v121
	v_fmac_f32_e32 v51, v45, v120
	v_add_f32_e32 v54, v50, v51
	ds_read2_b64 v[50:53], v4 offset0:113 offset1:114
	s_waitcnt vmcnt(8) lgkmcnt(1)
	v_mul_f32_e32 v55, v46, v123
	v_fmac_f32_e32 v55, v47, v122
	v_add_f32_e32 v54, v54, v55
	s_waitcnt vmcnt(6)
	v_mul_f32_e32 v55, v48, v125
	v_fmac_f32_e32 v55, v49, v124
	v_add_f32_e32 v54, v54, v55
	s_waitcnt vmcnt(4) lgkmcnt(0)
	v_mul_f32_e32 v55, v50, v127
	v_fmac_f32_e32 v55, v51, v126
	v_add_f32_e32 v63, v54, v55
	ds_read2_b64 v[54:57], v4 offset0:115 offset1:116
	buffer_load_dword v65, off, s[0:3], 0 offset:444
	buffer_load_dword v64, off, s[0:3], 0 offset:440
	;; [unrolled: 1-line block ×4, first 2 shown]
	ds_read2_b64 v[58:61], v4 offset0:117 offset1:118
	buffer_load_dword v73, off, s[0:3], 0 offset:476
	buffer_load_dword v72, off, s[0:3], 0 offset:472
	;; [unrolled: 1-line block ×12, first 2 shown]
	v_mul_f32_e32 v5, v7, v5
	v_fma_f32 v5, v6, v91, -v5
	v_mul_f32_e32 v6, v9, v62
	v_add_f32_e32 v5, 0, v5
	v_fma_f32 v6, v8, v92, -v6
	v_add_f32_e32 v5, v5, v6
	v_mul_f32_e32 v6, v11, v68
	v_fma_f32 v6, v10, v93, -v6
	v_add_f32_e32 v5, v5, v6
	v_mul_f32_e32 v6, v13, v70
	v_fma_f32 v6, v12, v94, -v6
	v_add_f32_e32 v5, v5, v6
	v_mul_f32_e32 v6, v15, v84
	v_fma_f32 v6, v14, v95, -v6
	v_add_f32_e32 v5, v5, v6
	v_mul_f32_e32 v6, v17, v85
	v_fma_f32 v6, v16, v96, -v6
	v_add_f32_e32 v5, v5, v6
	v_mul_f32_e32 v6, v19, v86
	v_fma_f32 v6, v18, v97, -v6
	v_add_f32_e32 v5, v5, v6
	v_mul_f32_e32 v6, v21, v87
	v_fma_f32 v6, v20, v98, -v6
	v_add_f32_e32 v5, v5, v6
	v_mul_f32_e32 v6, v23, v88
	v_fma_f32 v6, v22, v99, -v6
	v_add_f32_e32 v5, v5, v6
	v_mul_f32_e32 v6, v25, v89
	v_fma_f32 v6, v24, v100, -v6
	v_add_f32_e32 v5, v5, v6
	v_mul_f32_e32 v6, v27, v90
	v_fma_f32 v6, v26, v101, -v6
	v_add_f32_e32 v5, v5, v6
	v_mul_f32_e32 v6, v29, v102
	v_fma_f32 v6, v28, v103, -v6
	v_add_f32_e32 v5, v5, v6
	v_mul_f32_e32 v6, v31, v104
	v_fma_f32 v6, v30, v105, -v6
	v_add_f32_e32 v5, v5, v6
	v_mul_f32_e32 v6, v33, v106
	v_fma_f32 v6, v32, v107, -v6
	v_add_f32_e32 v5, v5, v6
	v_mul_f32_e32 v6, v35, v110
	v_fma_f32 v6, v34, v111, -v6
	v_add_f32_e32 v5, v5, v6
	v_mul_f32_e32 v6, v37, v112
	v_fma_f32 v6, v36, v113, -v6
	v_add_f32_e32 v5, v5, v6
	v_mul_f32_e32 v6, v39, v114
	v_fma_f32 v6, v38, v115, -v6
	v_add_f32_e32 v5, v5, v6
	v_mul_f32_e32 v6, v41, v116
	v_fma_f32 v6, v40, v117, -v6
	v_add_f32_e32 v5, v5, v6
	v_mul_f32_e32 v6, v43, v119
	v_fma_f32 v6, v42, v118, -v6
	v_add_f32_e32 v5, v5, v6
	v_mul_f32_e32 v6, v45, v121
	v_fma_f32 v6, v44, v120, -v6
	v_add_f32_e32 v5, v5, v6
	v_mul_f32_e32 v6, v47, v123
	v_fma_f32 v6, v46, v122, -v6
	v_add_f32_e32 v5, v5, v6
	v_mul_f32_e32 v6, v49, v125
	v_fma_f32 v6, v48, v124, -v6
	v_add_f32_e32 v5, v5, v6
	v_mul_f32_e32 v6, v51, v127
	v_fma_f32 v6, v50, v126, -v6
	s_waitcnt vmcnt(18)
	v_mul_f32_e32 v69, v52, v129
	v_add_f32_e32 v62, v5, v6
	v_mul_f32_e32 v5, v53, v129
	v_fmac_f32_e32 v69, v53, v128
	s_waitcnt vmcnt(16) lgkmcnt(1)
	v_mul_f32_e32 v71, v54, v131
	v_fma_f32 v68, v52, v128, -v5
	v_mul_f32_e32 v5, v55, v131
	v_fmac_f32_e32 v71, v55, v130
	s_waitcnt vmcnt(13)
	v_mov_b32_e32 v18, v67
	v_pk_mul_f32 v[18:19], v[56:57], v[18:19] op_sel_hi:[1,0]
	s_waitcnt vmcnt(12)
	v_pk_fma_f32 v[20:21], v[56:57], v[66:67], v[18:19] op_sel:[0,0,1] op_sel_hi:[1,1,0] neg_lo:[0,0,1] neg_hi:[0,0,1]
	v_pk_fma_f32 v[18:19], v[56:57], v[66:67], v[18:19] op_sel:[0,0,1] op_sel_hi:[1,0,0]
	v_fma_f32 v70, v54, v130, -v5
	v_pk_add_f32 v[16:17], v[62:63], v[68:69]
	v_mov_b32_e32 v18, v65
	v_pk_add_f32 v[16:17], v[16:17], v[70:71]
	v_mov_b32_e32 v21, v19
	s_waitcnt lgkmcnt(0)
	v_pk_mul_f32 v[18:19], v[58:59], v[18:19] op_sel_hi:[1,0]
	v_pk_add_f32 v[16:17], v[16:17], v[20:21]
	v_pk_fma_f32 v[20:21], v[58:59], v[64:65], v[18:19] op_sel:[0,0,1] op_sel_hi:[1,1,0] neg_lo:[0,0,1] neg_hi:[0,0,1]
	v_pk_fma_f32 v[18:19], v[58:59], v[64:65], v[18:19] op_sel:[0,0,1] op_sel_hi:[1,0,0]
	s_waitcnt vmcnt(5)
	v_mov_b32_e32 v18, v79
	ds_read2_b64 v[6:9], v4 offset0:119 offset1:120
	ds_read2_b64 v[10:13], v4 offset0:121 offset1:122
	ds_read_b64 v[14:15], v4 offset:984
	v_mov_b32_e32 v21, v19
	v_pk_mul_f32 v[18:19], v[60:61], v[18:19] op_sel_hi:[1,0]
	v_pk_add_f32 v[16:17], v[16:17], v[20:21]
	s_waitcnt vmcnt(4)
	v_pk_fma_f32 v[20:21], v[60:61], v[78:79], v[18:19] op_sel:[0,0,1] op_sel_hi:[1,1,0] neg_lo:[0,0,1] neg_hi:[0,0,1]
	v_pk_fma_f32 v[18:19], v[60:61], v[78:79], v[18:19] op_sel:[0,0,1] op_sel_hi:[1,0,0]
	v_mov_b32_e32 v18, v77
	v_mov_b32_e32 v21, v19
	s_waitcnt lgkmcnt(2)
	v_pk_mul_f32 v[18:19], v[6:7], v[18:19] op_sel_hi:[1,0]
	v_pk_add_f32 v[16:17], v[16:17], v[20:21]
	v_pk_fma_f32 v[20:21], v[6:7], v[76:77], v[18:19] op_sel:[0,0,1] op_sel_hi:[1,1,0] neg_lo:[0,0,1] neg_hi:[0,0,1]
	v_pk_fma_f32 v[6:7], v[6:7], v[76:77], v[18:19] op_sel:[0,0,1] op_sel_hi:[1,0,0]
	v_mov_b32_e32 v21, v7
	v_pk_add_f32 v[6:7], v[16:17], v[20:21]
	v_mov_b32_e32 v16, v75
	v_pk_mul_f32 v[16:17], v[8:9], v[16:17] op_sel_hi:[1,0]
	v_pk_fma_f32 v[18:19], v[8:9], v[74:75], v[16:17] op_sel:[0,0,1] op_sel_hi:[1,1,0] neg_lo:[0,0,1] neg_hi:[0,0,1]
	v_pk_fma_f32 v[8:9], v[8:9], v[74:75], v[16:17] op_sel:[0,0,1] op_sel_hi:[1,0,0]
	v_mov_b32_e32 v8, v73
	v_mov_b32_e32 v19, v9
	s_waitcnt lgkmcnt(1)
	v_pk_mul_f32 v[8:9], v[10:11], v[8:9] op_sel_hi:[1,0]
	v_pk_fma_f32 v[16:17], v[10:11], v[72:73], v[8:9] op_sel:[0,0,1] op_sel_hi:[1,1,0] neg_lo:[0,0,1] neg_hi:[0,0,1]
	v_pk_fma_f32 v[8:9], v[10:11], v[72:73], v[8:9] op_sel:[0,0,1] op_sel_hi:[1,0,0]
	s_waitcnt vmcnt(1)
	v_mov_b32_e32 v8, v83
	v_mov_b32_e32 v17, v9
	v_pk_mul_f32 v[8:9], v[12:13], v[8:9] op_sel_hi:[1,0]
	s_waitcnt vmcnt(0)
	v_pk_fma_f32 v[10:11], v[12:13], v[82:83], v[8:9] op_sel:[0,0,1] op_sel_hi:[1,1,0] neg_lo:[0,0,1] neg_hi:[0,0,1]
	v_pk_fma_f32 v[8:9], v[12:13], v[82:83], v[8:9] op_sel:[0,0,1] op_sel_hi:[1,0,0]
	v_pk_add_f32 v[6:7], v[6:7], v[18:19]
	v_mov_b32_e32 v8, v81
	v_pk_add_f32 v[6:7], v[6:7], v[16:17]
	v_mov_b32_e32 v11, v9
	s_waitcnt lgkmcnt(0)
	v_pk_mul_f32 v[8:9], v[14:15], v[8:9] op_sel_hi:[1,0]
	v_pk_add_f32 v[6:7], v[6:7], v[10:11]
	v_pk_fma_f32 v[10:11], v[14:15], v[80:81], v[8:9] op_sel:[0,0,1] op_sel_hi:[1,1,0] neg_lo:[0,0,1] neg_hi:[0,0,1]
	v_pk_fma_f32 v[8:9], v[14:15], v[80:81], v[8:9] op_sel:[0,0,1] op_sel_hi:[1,0,0]
	v_mov_b32_e32 v11, v9
	v_pk_add_f32 v[6:7], v[6:7], v[10:11]
	v_pk_add_f32 v[2:3], v[2:3], v[6:7] neg_lo:[0,1] neg_hi:[0,1]
	buffer_store_dword v3, off, s[0:3], 0 offset:228
	buffer_store_dword v2, off, s[0:3], 0 offset:224
	s_and_saveexec_b64 s[4:5], vcc
	s_cbranch_execz .LBB61_331
; %bb.330:
	buffer_load_dword v2, off, s[0:3], 0 offset:216
	buffer_load_dword v3, off, s[0:3], 0 offset:220
	s_waitcnt vmcnt(0)
	ds_write_b64 v210, v[2:3]
	buffer_store_dword v4, off, s[0:3], 0 offset:216
	buffer_store_dword v4, off, s[0:3], 0 offset:220
.LBB61_331:
	s_or_b64 exec, exec, s[4:5]
	s_waitcnt lgkmcnt(0)
	; wave barrier
	s_waitcnt lgkmcnt(0)
	buffer_load_dword v5, off, s[0:3], 0 offset:228
	buffer_load_dword v64, off, s[0:3], 0 offset:236
	;; [unrolled: 1-line block ×42, first 2 shown]
	ds_read_b128 v[6:9], v4 offset:720
	ds_read_b128 v[10:13], v4 offset:736
	buffer_load_dword v122, off, s[0:3], 0 offset:384
	buffer_load_dword v123, off, s[0:3], 0 offset:388
	ds_read_b128 v[14:17], v4 offset:752
	ds_read_b128 v[18:21], v4 offset:768
	buffer_load_dword v124, off, s[0:3], 0 offset:392
	buffer_load_dword v125, off, s[0:3], 0 offset:396
	;; [unrolled: 1-line block ×4, first 2 shown]
	ds_read_b128 v[22:25], v4 offset:784
	ds_read_b128 v[26:29], v4 offset:800
	buffer_load_dword v128, off, s[0:3], 0 offset:408
	buffer_load_dword v129, off, s[0:3], 0 offset:412
	buffer_load_dword v130, off, s[0:3], 0 offset:416
	buffer_load_dword v131, off, s[0:3], 0 offset:420
	buffer_load_dword v132, off, s[0:3], 0 offset:424
	buffer_load_dword v133, off, s[0:3], 0 offset:428
	v_cmp_lt_u32_e32 vcc, 26, v0
	s_waitcnt vmcnt(53) lgkmcnt(5)
	v_mul_f32_e32 v30, v6, v5
	s_waitcnt vmcnt(52)
	v_mul_f32_e32 v31, v8, v64
	s_waitcnt vmcnt(51) lgkmcnt(4)
	v_mul_f32_e32 v33, v12, v66
	s_waitcnt vmcnt(50) lgkmcnt(3)
	v_mul_f32_e32 v34, v14, v68
	s_waitcnt vmcnt(49)
	v_mul_f32_e32 v35, v16, v84
	s_waitcnt vmcnt(48)
	v_mul_f32_e32 v32, v10, v85
	s_waitcnt vmcnt(47) lgkmcnt(2)
	v_mul_f32_e32 v36, v18, v86
	s_waitcnt vmcnt(46)
	v_mul_f32_e32 v37, v20, v87
	s_waitcnt vmcnt(45) lgkmcnt(1)
	v_mul_f32_e32 v38, v22, v88
	s_waitcnt vmcnt(44)
	v_mul_f32_e32 v39, v24, v89
	s_waitcnt vmcnt(43)
	v_fmac_f32_e32 v32, v11, v90
	s_waitcnt vmcnt(42)
	v_fmac_f32_e32 v31, v9, v91
	;; [unrolled: 2-line block ×3, first 2 shown]
	v_add_f32_e32 v30, 0, v30
	v_add_f32_e32 v30, v30, v31
	v_add_f32_e32 v30, v30, v32
	s_waitcnt vmcnt(37)
	v_fmac_f32_e32 v33, v13, v96
	v_fmac_f32_e32 v34, v15, v95
	v_add_f32_e32 v30, v30, v33
	v_fmac_f32_e32 v35, v17, v94
	v_add_f32_e32 v30, v30, v34
	;; [unrolled: 2-line block ×3, first 2 shown]
	s_waitcnt vmcnt(33)
	v_fmac_f32_e32 v37, v21, v100
	v_add_f32_e32 v30, v30, v36
	v_fmac_f32_e32 v38, v23, v99
	v_add_f32_e32 v30, v30, v37
	;; [unrolled: 2-line block ×3, first 2 shown]
	s_waitcnt vmcnt(32) lgkmcnt(0)
	v_mul_f32_e32 v31, v26, v101
	v_add_f32_e32 v30, v30, v39
	v_fmac_f32_e32 v31, v27, v97
	v_add_f32_e32 v34, v30, v31
	ds_read_b128 v[30:33], v4 offset:816
	s_waitcnt vmcnt(28)
	v_mul_f32_e32 v35, v28, v105
	s_waitcnt vmcnt(27)
	v_fmac_f32_e32 v35, v29, v106
	v_add_f32_e32 v38, v34, v35
	ds_read_b128 v[34:37], v4 offset:832
	s_waitcnt vmcnt(26) lgkmcnt(1)
	v_mul_f32_e32 v39, v30, v107
	v_fmac_f32_e32 v39, v31, v104
	v_add_f32_e32 v38, v38, v39
	s_waitcnt vmcnt(25)
	v_mul_f32_e32 v39, v32, v110
	v_fmac_f32_e32 v39, v33, v103
	v_add_f32_e32 v38, v38, v39
	s_waitcnt vmcnt(24) lgkmcnt(0)
	v_mul_f32_e32 v39, v34, v111
	v_fmac_f32_e32 v39, v35, v102
	v_add_f32_e32 v42, v38, v39
	ds_read_b128 v[38:41], v4 offset:848
	s_waitcnt vmcnt(19)
	v_mul_f32_e32 v43, v36, v116
	s_waitcnt vmcnt(18)
	v_fmac_f32_e32 v43, v37, v117
	v_add_f32_e32 v46, v42, v43
	ds_read_b128 v[42:45], v4 offset:864
	s_waitcnt vmcnt(17) lgkmcnt(1)
	v_mul_f32_e32 v47, v38, v118
	v_fmac_f32_e32 v47, v39, v115
	v_add_f32_e32 v46, v46, v47
	v_mul_f32_e32 v47, v40, v113
	v_fmac_f32_e32 v47, v41, v112
	v_add_f32_e32 v46, v46, v47
	s_waitcnt vmcnt(16) lgkmcnt(0)
	v_mul_f32_e32 v47, v42, v119
	v_fmac_f32_e32 v47, v43, v114
	v_add_f32_e32 v50, v46, v47
	ds_read_b128 v[46:49], v4 offset:880
	s_waitcnt vmcnt(12)
	v_mul_f32_e32 v51, v44, v121
	v_fmac_f32_e32 v51, v45, v120
	v_add_f32_e32 v54, v50, v51
	ds_read_b128 v[50:53], v4 offset:896
	buffer_load_dword v63, off, s[0:3], 0 offset:436
	buffer_load_dword v62, off, s[0:3], 0 offset:432
	s_waitcnt vmcnt(12) lgkmcnt(1)
	v_mul_f32_e32 v55, v46, v123
	v_fmac_f32_e32 v55, v47, v122
	v_add_f32_e32 v54, v54, v55
	s_waitcnt vmcnt(10)
	v_mul_f32_e32 v55, v48, v125
	v_fmac_f32_e32 v55, v49, v124
	v_add_f32_e32 v54, v54, v55
	s_waitcnt vmcnt(8) lgkmcnt(0)
	v_mul_f32_e32 v55, v50, v127
	v_fmac_f32_e32 v55, v51, v126
	s_waitcnt vmcnt(6)
	v_mul_f32_e32 v59, v52, v129
	v_add_f32_e32 v58, v54, v55
	v_fmac_f32_e32 v59, v53, v128
	ds_read_b128 v[54:57], v4 offset:912
	v_add_f32_e32 v65, v58, v59
	ds_read_b128 v[58:61], v4 offset:928
	buffer_load_dword v71, off, s[0:3], 0 offset:468
	buffer_load_dword v70, off, s[0:3], 0 offset:464
	;; [unrolled: 1-line block ×14, first 2 shown]
	v_mul_f32_e32 v5, v7, v5
	v_fma_f32 v5, v6, v92, -v5
	v_mul_f32_e32 v6, v9, v64
	v_add_f32_e32 v5, 0, v5
	v_fma_f32 v6, v8, v91, -v6
	v_add_f32_e32 v5, v5, v6
	v_mul_f32_e32 v6, v11, v85
	v_fma_f32 v6, v10, v90, -v6
	v_add_f32_e32 v5, v5, v6
	v_mul_f32_e32 v6, v13, v66
	;; [unrolled: 3-line block ×22, first 2 shown]
	v_fma_f32 v6, v52, v128, -v6
	s_waitcnt vmcnt(15)
	v_mov_b32_e32 v18, v63
	s_waitcnt lgkmcnt(1)
	v_mul_f32_e32 v67, v54, v131
	v_add_f32_e32 v64, v5, v6
	v_mul_f32_e32 v5, v55, v131
	s_waitcnt lgkmcnt(0)
	v_pk_mul_f32 v[18:19], v[58:59], v[18:19] op_sel_hi:[1,0]
	v_fmac_f32_e32 v67, v55, v130
	v_mul_f32_e32 v69, v56, v133
	v_fma_f32 v66, v54, v130, -v5
	v_mul_f32_e32 v5, v57, v133
	s_waitcnt vmcnt(14)
	v_pk_fma_f32 v[20:21], v[58:59], v[62:63], v[18:19] op_sel:[0,0,1] op_sel_hi:[1,1,0] neg_lo:[0,0,1] neg_hi:[0,0,1]
	v_pk_fma_f32 v[18:19], v[58:59], v[62:63], v[18:19] op_sel:[0,0,1] op_sel_hi:[1,0,0]
	v_fmac_f32_e32 v69, v57, v132
	v_fma_f32 v68, v56, v132, -v5
	ds_read_b128 v[6:9], v4 offset:944
	ds_read_b128 v[10:13], v4 offset:960
	;; [unrolled: 1-line block ×3, first 2 shown]
	v_pk_add_f32 v[4:5], v[64:65], v[66:67]
	s_waitcnt vmcnt(7)
	v_mov_b32_e32 v18, v77
	v_pk_add_f32 v[4:5], v[4:5], v[68:69]
	v_mov_b32_e32 v21, v19
	v_pk_mul_f32 v[18:19], v[60:61], v[18:19] op_sel_hi:[1,0]
	v_pk_add_f32 v[4:5], v[4:5], v[20:21]
	s_waitcnt vmcnt(6)
	v_pk_fma_f32 v[20:21], v[60:61], v[76:77], v[18:19] op_sel:[0,0,1] op_sel_hi:[1,1,0] neg_lo:[0,0,1] neg_hi:[0,0,1]
	v_pk_fma_f32 v[18:19], v[60:61], v[76:77], v[18:19] op_sel:[0,0,1] op_sel_hi:[1,0,0]
	v_mov_b32_e32 v18, v75
	v_mov_b32_e32 v21, v19
	s_waitcnt lgkmcnt(2)
	v_pk_mul_f32 v[18:19], v[6:7], v[18:19] op_sel_hi:[1,0]
	v_pk_add_f32 v[4:5], v[4:5], v[20:21]
	v_pk_fma_f32 v[20:21], v[6:7], v[74:75], v[18:19] op_sel:[0,0,1] op_sel_hi:[1,1,0] neg_lo:[0,0,1] neg_hi:[0,0,1]
	v_pk_fma_f32 v[6:7], v[6:7], v[74:75], v[18:19] op_sel:[0,0,1] op_sel_hi:[1,0,0]
	v_mov_b32_e32 v6, v73
	v_mov_b32_e32 v21, v7
	v_pk_mul_f32 v[6:7], v[8:9], v[6:7] op_sel_hi:[1,0]
	v_pk_fma_f32 v[18:19], v[8:9], v[72:73], v[6:7] op_sel:[0,0,1] op_sel_hi:[1,1,0] neg_lo:[0,0,1] neg_hi:[0,0,1]
	v_pk_fma_f32 v[6:7], v[8:9], v[72:73], v[6:7] op_sel:[0,0,1] op_sel_hi:[1,0,0]
	v_mov_b32_e32 v6, v71
	v_mov_b32_e32 v19, v7
	s_waitcnt lgkmcnt(1)
	v_pk_mul_f32 v[6:7], v[10:11], v[6:7] op_sel_hi:[1,0]
	v_pk_fma_f32 v[8:9], v[10:11], v[70:71], v[6:7] op_sel:[0,0,1] op_sel_hi:[1,1,0] neg_lo:[0,0,1] neg_hi:[0,0,1]
	v_pk_fma_f32 v[6:7], v[10:11], v[70:71], v[6:7] op_sel:[0,0,1] op_sel_hi:[1,0,0]
	v_pk_add_f32 v[4:5], v[4:5], v[20:21]
	s_waitcnt vmcnt(1)
	v_mov_b32_e32 v6, v83
	v_pk_add_f32 v[4:5], v[4:5], v[18:19]
	v_mov_b32_e32 v9, v7
	v_pk_mul_f32 v[6:7], v[12:13], v[6:7] op_sel_hi:[1,0]
	v_pk_add_f32 v[4:5], v[4:5], v[8:9]
	s_waitcnt vmcnt(0)
	v_pk_fma_f32 v[8:9], v[12:13], v[82:83], v[6:7] op_sel:[0,0,1] op_sel_hi:[1,1,0] neg_lo:[0,0,1] neg_hi:[0,0,1]
	v_pk_fma_f32 v[6:7], v[12:13], v[82:83], v[6:7] op_sel:[0,0,1] op_sel_hi:[1,0,0]
	v_mov_b32_e32 v6, v81
	v_mov_b32_e32 v9, v7
	s_waitcnt lgkmcnt(0)
	v_pk_mul_f32 v[6:7], v[14:15], v[6:7] op_sel_hi:[1,0]
	v_pk_add_f32 v[4:5], v[4:5], v[8:9]
	v_pk_fma_f32 v[8:9], v[14:15], v[80:81], v[6:7] op_sel:[0,0,1] op_sel_hi:[1,1,0] neg_lo:[0,0,1] neg_hi:[0,0,1]
	v_pk_fma_f32 v[6:7], v[14:15], v[80:81], v[6:7] op_sel:[0,0,1] op_sel_hi:[1,0,0]
	v_mov_b32_e32 v6, v79
	v_mov_b32_e32 v9, v7
	v_pk_mul_f32 v[6:7], v[16:17], v[6:7] op_sel_hi:[1,0]
	v_pk_add_f32 v[4:5], v[4:5], v[8:9]
	v_pk_fma_f32 v[8:9], v[16:17], v[78:79], v[6:7] op_sel:[0,0,1] op_sel_hi:[1,1,0] neg_lo:[0,0,1] neg_hi:[0,0,1]
	v_pk_fma_f32 v[6:7], v[16:17], v[78:79], v[6:7] op_sel:[0,0,1] op_sel_hi:[1,0,0]
	v_mov_b32_e32 v9, v7
	v_pk_add_f32 v[4:5], v[4:5], v[8:9]
	v_pk_add_f32 v[2:3], v[2:3], v[4:5] neg_lo:[0,1] neg_hi:[0,1]
	buffer_store_dword v3, off, s[0:3], 0 offset:220
	buffer_store_dword v2, off, s[0:3], 0 offset:216
	s_and_saveexec_b64 s[4:5], vcc
	s_cbranch_execz .LBB61_333
; %bb.332:
	buffer_load_dword v2, off, s[0:3], 0 offset:208
	buffer_load_dword v3, off, s[0:3], 0 offset:212
	v_mov_b32_e32 v4, 0
	buffer_store_dword v4, off, s[0:3], 0 offset:208
	buffer_store_dword v4, off, s[0:3], 0 offset:212
	s_waitcnt vmcnt(2)
	ds_write_b64 v210, v[2:3]
.LBB61_333:
	s_or_b64 exec, exec, s[4:5]
	s_waitcnt lgkmcnt(0)
	; wave barrier
	s_waitcnt lgkmcnt(0)
	buffer_load_dword v5, off, s[0:3], 0 offset:220
	buffer_load_dword v62, off, s[0:3], 0 offset:228
	;; [unrolled: 1-line block ×56, first 2 shown]
	v_mov_b32_e32 v4, 0
	ds_read2_b64 v[6:9], v4 offset0:89 offset1:90
	ds_read2_b64 v[10:13], v4 offset0:91 offset1:92
	;; [unrolled: 1-line block ×6, first 2 shown]
	v_cmp_lt_u32_e32 vcc, 25, v0
	s_waitcnt vmcnt(55) lgkmcnt(5)
	v_mul_f32_e32 v30, v6, v5
	s_waitcnt vmcnt(54)
	v_mul_f32_e32 v31, v8, v62
	s_waitcnt vmcnt(53) lgkmcnt(4)
	v_mul_f32_e32 v33, v12, v64
	s_waitcnt vmcnt(52) lgkmcnt(3)
	v_mul_f32_e32 v34, v14, v66
	s_waitcnt vmcnt(51)
	v_mul_f32_e32 v35, v16, v84
	s_waitcnt vmcnt(50)
	v_mul_f32_e32 v32, v10, v85
	s_waitcnt vmcnt(49) lgkmcnt(2)
	v_mul_f32_e32 v36, v18, v86
	s_waitcnt vmcnt(48)
	v_mul_f32_e32 v37, v20, v87
	s_waitcnt vmcnt(47) lgkmcnt(1)
	v_mul_f32_e32 v38, v22, v88
	s_waitcnt vmcnt(46)
	v_fmac_f32_e32 v32, v11, v89
	s_waitcnt vmcnt(45)
	v_fmac_f32_e32 v31, v9, v90
	;; [unrolled: 2-line block ×3, first 2 shown]
	v_add_f32_e32 v30, 0, v30
	v_add_f32_e32 v30, v30, v31
	;; [unrolled: 1-line block ×3, first 2 shown]
	s_waitcnt vmcnt(40)
	v_fmac_f32_e32 v33, v13, v95
	v_fmac_f32_e32 v34, v15, v94
	v_add_f32_e32 v30, v30, v33
	v_fmac_f32_e32 v35, v17, v93
	v_add_f32_e32 v30, v30, v34
	;; [unrolled: 2-line block ×3, first 2 shown]
	s_waitcnt vmcnt(36)
	v_fmac_f32_e32 v37, v21, v99
	v_add_f32_e32 v30, v30, v36
	v_add_f32_e32 v30, v30, v37
	v_fmac_f32_e32 v38, v23, v98
	s_waitcnt vmcnt(35)
	v_mul_f32_e32 v31, v24, v100
	v_add_f32_e32 v30, v30, v38
	v_fmac_f32_e32 v31, v25, v97
	v_add_f32_e32 v30, v30, v31
	s_waitcnt vmcnt(34) lgkmcnt(0)
	v_mul_f32_e32 v31, v26, v101
	v_fmac_f32_e32 v31, v27, v96
	v_add_f32_e32 v34, v30, v31
	ds_read2_b64 v[30:33], v4 offset0:101 offset1:102
	s_waitcnt vmcnt(30)
	v_mul_f32_e32 v35, v28, v105
	s_waitcnt vmcnt(29)
	v_fmac_f32_e32 v35, v29, v106
	v_add_f32_e32 v38, v34, v35
	ds_read2_b64 v[34:37], v4 offset0:103 offset1:104
	s_waitcnt vmcnt(28) lgkmcnt(1)
	v_mul_f32_e32 v39, v30, v107
	v_fmac_f32_e32 v39, v31, v104
	v_add_f32_e32 v38, v38, v39
	s_waitcnt vmcnt(27)
	v_mul_f32_e32 v39, v32, v110
	v_fmac_f32_e32 v39, v33, v103
	v_add_f32_e32 v38, v38, v39
	s_waitcnt vmcnt(26) lgkmcnt(0)
	v_mul_f32_e32 v39, v34, v111
	v_fmac_f32_e32 v39, v35, v102
	v_add_f32_e32 v42, v38, v39
	ds_read2_b64 v[38:41], v4 offset0:105 offset1:106
	s_waitcnt vmcnt(24)
	v_mul_f32_e32 v43, v36, v113
	v_fmac_f32_e32 v43, v37, v112
	v_add_f32_e32 v46, v42, v43
	ds_read2_b64 v[42:45], v4 offset0:107 offset1:108
	s_waitcnt vmcnt(20) lgkmcnt(1)
	v_mul_f32_e32 v47, v38, v115
	v_fmac_f32_e32 v47, v39, v114
	v_add_f32_e32 v46, v46, v47
	s_waitcnt vmcnt(18)
	v_mul_f32_e32 v47, v40, v117
	v_fmac_f32_e32 v47, v41, v116
	v_add_f32_e32 v46, v46, v47
	s_waitcnt vmcnt(16) lgkmcnt(0)
	v_mul_f32_e32 v47, v42, v119
	v_fmac_f32_e32 v47, v43, v118
	v_add_f32_e32 v50, v46, v47
	ds_read2_b64 v[46:49], v4 offset0:109 offset1:110
	s_waitcnt vmcnt(14)
	v_mul_f32_e32 v51, v44, v121
	v_fmac_f32_e32 v51, v45, v120
	v_add_f32_e32 v54, v50, v51
	ds_read2_b64 v[50:53], v4 offset0:111 offset1:112
	s_waitcnt vmcnt(12) lgkmcnt(1)
	v_mul_f32_e32 v55, v46, v123
	v_fmac_f32_e32 v55, v47, v122
	v_add_f32_e32 v54, v54, v55
	s_waitcnt vmcnt(10)
	v_mul_f32_e32 v55, v48, v125
	v_fmac_f32_e32 v55, v49, v124
	v_add_f32_e32 v54, v54, v55
	s_waitcnt vmcnt(8) lgkmcnt(0)
	v_mul_f32_e32 v55, v50, v127
	v_fmac_f32_e32 v55, v51, v126
	s_waitcnt vmcnt(6)
	v_mul_f32_e32 v59, v52, v129
	v_add_f32_e32 v58, v54, v55
	v_fmac_f32_e32 v59, v53, v128
	ds_read2_b64 v[54:57], v4 offset0:113 offset1:114
	v_add_f32_e32 v63, v58, v59
	ds_read2_b64 v[58:61], v4 offset0:115 offset1:116
	buffer_load_dword v69, off, s[0:3], 0 offset:460
	buffer_load_dword v68, off, s[0:3], 0 offset:456
	;; [unrolled: 1-line block ×16, first 2 shown]
	v_mul_f32_e32 v5, v7, v5
	v_fma_f32 v5, v6, v91, -v5
	v_mul_f32_e32 v6, v9, v62
	v_add_f32_e32 v5, 0, v5
	v_fma_f32 v6, v8, v90, -v6
	v_add_f32_e32 v5, v5, v6
	v_mul_f32_e32 v6, v11, v85
	v_fma_f32 v6, v10, v89, -v6
	v_add_f32_e32 v5, v5, v6
	v_mul_f32_e32 v6, v13, v64
	;; [unrolled: 3-line block ×22, first 2 shown]
	v_fma_f32 v6, v52, v128, -v6
	s_waitcnt vmcnt(20) lgkmcnt(1)
	v_mul_f32_e32 v65, v54, v131
	v_add_f32_e32 v5, v5, v6
	v_mul_f32_e32 v6, v55, v131
	v_fmac_f32_e32 v65, v55, v130
	v_fma_f32 v6, v54, v130, -v6
	s_waitcnt vmcnt(9)
	v_mov_b32_e32 v22, v75
	v_add_f32_e32 v63, v63, v65
	v_mul_f32_e32 v65, v56, v133
	v_add_f32_e32 v62, v5, v6
	v_mul_f32_e32 v5, v57, v133
	s_waitcnt lgkmcnt(0)
	v_pk_mul_f32 v[22:23], v[60:61], v[22:23] op_sel_hi:[1,0]
	v_fmac_f32_e32 v65, v57, v132
	v_mul_f32_e32 v67, v58, v135
	v_fma_f32 v64, v56, v132, -v5
	v_mul_f32_e32 v5, v59, v135
	ds_read2_b64 v[6:9], v4 offset0:117 offset1:118
	ds_read2_b64 v[10:13], v4 offset0:119 offset1:120
	;; [unrolled: 1-line block ×3, first 2 shown]
	ds_read_b64 v[18:19], v4 offset:984
	s_waitcnt vmcnt(8)
	v_pk_fma_f32 v[24:25], v[60:61], v[74:75], v[22:23] op_sel:[0,0,1] op_sel_hi:[1,1,0] neg_lo:[0,0,1] neg_hi:[0,0,1]
	v_pk_fma_f32 v[22:23], v[60:61], v[74:75], v[22:23] op_sel:[0,0,1] op_sel_hi:[1,0,0]
	v_fmac_f32_e32 v67, v59, v134
	v_fma_f32 v66, v58, v134, -v5
	v_pk_add_f32 v[20:21], v[62:63], v[64:65]
	v_mov_b32_e32 v22, v73
	v_pk_add_f32 v[20:21], v[20:21], v[66:67]
	v_mov_b32_e32 v25, v23
	s_waitcnt lgkmcnt(3)
	v_pk_mul_f32 v[22:23], v[6:7], v[22:23] op_sel_hi:[1,0]
	v_pk_add_f32 v[20:21], v[20:21], v[24:25]
	v_pk_fma_f32 v[24:25], v[6:7], v[72:73], v[22:23] op_sel:[0,0,1] op_sel_hi:[1,1,0] neg_lo:[0,0,1] neg_hi:[0,0,1]
	v_pk_fma_f32 v[6:7], v[6:7], v[72:73], v[22:23] op_sel:[0,0,1] op_sel_hi:[1,0,0]
	v_mov_b32_e32 v25, v7
	v_pk_add_f32 v[6:7], v[20:21], v[24:25]
	v_mov_b32_e32 v20, v71
	v_pk_mul_f32 v[20:21], v[8:9], v[20:21] op_sel_hi:[1,0]
	v_pk_fma_f32 v[22:23], v[8:9], v[70:71], v[20:21] op_sel:[0,0,1] op_sel_hi:[1,1,0] neg_lo:[0,0,1] neg_hi:[0,0,1]
	v_pk_fma_f32 v[8:9], v[8:9], v[70:71], v[20:21] op_sel:[0,0,1] op_sel_hi:[1,0,0]
	v_mov_b32_e32 v8, v69
	v_mov_b32_e32 v23, v9
	s_waitcnt lgkmcnt(2)
	v_pk_mul_f32 v[8:9], v[10:11], v[8:9] op_sel_hi:[1,0]
	v_pk_fma_f32 v[20:21], v[10:11], v[68:69], v[8:9] op_sel:[0,0,1] op_sel_hi:[1,1,0] neg_lo:[0,0,1] neg_hi:[0,0,1]
	v_pk_fma_f32 v[8:9], v[10:11], v[68:69], v[8:9] op_sel:[0,0,1] op_sel_hi:[1,0,0]
	s_waitcnt vmcnt(1)
	v_mov_b32_e32 v8, v83
	v_mov_b32_e32 v21, v9
	v_pk_mul_f32 v[8:9], v[12:13], v[8:9] op_sel_hi:[1,0]
	s_waitcnt vmcnt(0)
	v_pk_fma_f32 v[10:11], v[12:13], v[82:83], v[8:9] op_sel:[0,0,1] op_sel_hi:[1,1,0] neg_lo:[0,0,1] neg_hi:[0,0,1]
	v_pk_fma_f32 v[8:9], v[12:13], v[82:83], v[8:9] op_sel:[0,0,1] op_sel_hi:[1,0,0]
	v_pk_add_f32 v[6:7], v[6:7], v[22:23]
	v_mov_b32_e32 v8, v81
	v_pk_add_f32 v[6:7], v[6:7], v[20:21]
	v_mov_b32_e32 v11, v9
	s_waitcnt lgkmcnt(1)
	v_pk_mul_f32 v[8:9], v[14:15], v[8:9] op_sel_hi:[1,0]
	v_pk_add_f32 v[6:7], v[6:7], v[10:11]
	v_pk_fma_f32 v[10:11], v[14:15], v[80:81], v[8:9] op_sel:[0,0,1] op_sel_hi:[1,1,0] neg_lo:[0,0,1] neg_hi:[0,0,1]
	v_pk_fma_f32 v[8:9], v[14:15], v[80:81], v[8:9] op_sel:[0,0,1] op_sel_hi:[1,0,0]
	v_mov_b32_e32 v8, v79
	v_mov_b32_e32 v11, v9
	v_pk_mul_f32 v[8:9], v[16:17], v[8:9] op_sel_hi:[1,0]
	v_pk_add_f32 v[6:7], v[6:7], v[10:11]
	v_pk_fma_f32 v[10:11], v[16:17], v[78:79], v[8:9] op_sel:[0,0,1] op_sel_hi:[1,1,0] neg_lo:[0,0,1] neg_hi:[0,0,1]
	v_pk_fma_f32 v[8:9], v[16:17], v[78:79], v[8:9] op_sel:[0,0,1] op_sel_hi:[1,0,0]
	v_mov_b32_e32 v8, v77
	v_mov_b32_e32 v11, v9
	s_waitcnt lgkmcnt(0)
	v_pk_mul_f32 v[8:9], v[18:19], v[8:9] op_sel_hi:[1,0]
	v_pk_add_f32 v[6:7], v[6:7], v[10:11]
	v_pk_fma_f32 v[10:11], v[18:19], v[76:77], v[8:9] op_sel:[0,0,1] op_sel_hi:[1,1,0] neg_lo:[0,0,1] neg_hi:[0,0,1]
	v_pk_fma_f32 v[8:9], v[18:19], v[76:77], v[8:9] op_sel:[0,0,1] op_sel_hi:[1,0,0]
	v_mov_b32_e32 v11, v9
	v_pk_add_f32 v[6:7], v[6:7], v[10:11]
	v_pk_add_f32 v[2:3], v[2:3], v[6:7] neg_lo:[0,1] neg_hi:[0,1]
	buffer_store_dword v3, off, s[0:3], 0 offset:212
	buffer_store_dword v2, off, s[0:3], 0 offset:208
	s_and_saveexec_b64 s[4:5], vcc
	s_cbranch_execz .LBB61_335
; %bb.334:
	buffer_load_dword v2, off, s[0:3], 0 offset:200
	buffer_load_dword v3, off, s[0:3], 0 offset:204
	s_waitcnt vmcnt(0)
	ds_write_b64 v210, v[2:3]
	buffer_store_dword v4, off, s[0:3], 0 offset:200
	buffer_store_dword v4, off, s[0:3], 0 offset:204
.LBB61_335:
	s_or_b64 exec, exec, s[4:5]
	s_waitcnt lgkmcnt(0)
	; wave barrier
	s_waitcnt lgkmcnt(0)
	buffer_load_dword v5, off, s[0:3], 0 offset:212
	buffer_load_dword v62, off, s[0:3], 0 offset:220
	;; [unrolled: 1-line block ×40, first 2 shown]
	ds_read_b128 v[6:9], v4 offset:704
	ds_read_b128 v[10:13], v4 offset:720
	;; [unrolled: 1-line block ×4, first 2 shown]
	buffer_load_dword v120, off, s[0:3], 0 offset:360
	buffer_load_dword v121, off, s[0:3], 0 offset:364
	ds_read_b128 v[22:25], v4 offset:768
	ds_read_b128 v[26:29], v4 offset:784
	buffer_load_dword v122, off, s[0:3], 0 offset:368
	buffer_load_dword v123, off, s[0:3], 0 offset:372
	;; [unrolled: 1-line block ×16, first 2 shown]
	v_cmp_lt_u32_e32 vcc, 24, v0
	s_waitcnt vmcnt(57) lgkmcnt(5)
	v_mul_f32_e32 v30, v6, v5
	s_waitcnt vmcnt(56)
	v_mul_f32_e32 v31, v8, v62
	s_waitcnt vmcnt(55) lgkmcnt(4)
	v_mul_f32_e32 v33, v12, v64
	s_waitcnt vmcnt(54) lgkmcnt(3)
	v_mul_f32_e32 v34, v14, v72
	s_waitcnt vmcnt(53)
	v_mul_f32_e32 v35, v16, v84
	s_waitcnt vmcnt(52)
	v_mul_f32_e32 v32, v10, v85
	s_waitcnt vmcnt(51) lgkmcnt(2)
	v_mul_f32_e32 v36, v18, v86
	s_waitcnt vmcnt(50)
	v_mul_f32_e32 v37, v20, v87
	s_waitcnt vmcnt(49)
	v_fmac_f32_e32 v32, v11, v88
	s_waitcnt vmcnt(48)
	v_fmac_f32_e32 v31, v9, v89
	;; [unrolled: 2-line block ×3, first 2 shown]
	v_add_f32_e32 v30, 0, v30
	v_add_f32_e32 v30, v30, v31
	;; [unrolled: 1-line block ×3, first 2 shown]
	s_waitcnt vmcnt(43)
	v_fmac_f32_e32 v33, v13, v94
	v_fmac_f32_e32 v34, v15, v93
	v_add_f32_e32 v30, v30, v33
	v_fmac_f32_e32 v35, v17, v92
	v_add_f32_e32 v30, v30, v34
	;; [unrolled: 2-line block ×3, first 2 shown]
	s_waitcnt vmcnt(39)
	v_fmac_f32_e32 v37, v21, v98
	v_add_f32_e32 v30, v30, v36
	s_waitcnt vmcnt(38) lgkmcnt(1)
	v_mul_f32_e32 v31, v22, v99
	v_add_f32_e32 v30, v30, v37
	v_fmac_f32_e32 v31, v23, v97
	v_add_f32_e32 v30, v30, v31
	s_waitcnt vmcnt(37)
	v_mul_f32_e32 v31, v24, v100
	v_fmac_f32_e32 v31, v25, v96
	v_add_f32_e32 v30, v30, v31
	s_waitcnt vmcnt(36) lgkmcnt(0)
	v_mul_f32_e32 v31, v26, v101
	v_fmac_f32_e32 v31, v27, v95
	v_add_f32_e32 v34, v30, v31
	ds_read_b128 v[30:33], v4 offset:800
	s_waitcnt vmcnt(32)
	v_mul_f32_e32 v35, v28, v105
	s_waitcnt vmcnt(31)
	v_fmac_f32_e32 v35, v29, v106
	v_add_f32_e32 v38, v34, v35
	ds_read_b128 v[34:37], v4 offset:816
	s_waitcnt vmcnt(30) lgkmcnt(1)
	v_mul_f32_e32 v39, v30, v107
	v_fmac_f32_e32 v39, v31, v104
	v_add_f32_e32 v38, v38, v39
	s_waitcnt vmcnt(29)
	v_mul_f32_e32 v39, v32, v110
	v_fmac_f32_e32 v39, v33, v103
	v_add_f32_e32 v38, v38, v39
	s_waitcnt vmcnt(28) lgkmcnt(0)
	v_mul_f32_e32 v39, v34, v111
	v_fmac_f32_e32 v39, v35, v102
	v_add_f32_e32 v42, v38, v39
	ds_read_b128 v[38:41], v4 offset:832
	s_waitcnt vmcnt(21)
	v_mul_f32_e32 v43, v36, v118
	s_waitcnt vmcnt(20)
	v_fmac_f32_e32 v43, v37, v119
	v_add_f32_e32 v46, v42, v43
	ds_read_b128 v[42:45], v4 offset:848
	s_waitcnt lgkmcnt(1)
	v_mul_f32_e32 v47, v38, v113
	v_fmac_f32_e32 v47, v39, v112
	v_add_f32_e32 v46, v46, v47
	v_mul_f32_e32 v47, v40, v115
	v_fmac_f32_e32 v47, v41, v114
	v_add_f32_e32 v46, v46, v47
	s_waitcnt lgkmcnt(0)
	v_mul_f32_e32 v47, v42, v117
	v_fmac_f32_e32 v47, v43, v116
	v_add_f32_e32 v50, v46, v47
	ds_read_b128 v[46:49], v4 offset:864
	s_waitcnt vmcnt(16)
	v_mul_f32_e32 v51, v44, v121
	v_fmac_f32_e32 v51, v45, v120
	v_add_f32_e32 v54, v50, v51
	ds_read_b128 v[50:53], v4 offset:880
	s_waitcnt vmcnt(14) lgkmcnt(1)
	v_mul_f32_e32 v55, v46, v123
	v_fmac_f32_e32 v55, v47, v122
	v_add_f32_e32 v54, v54, v55
	s_waitcnt vmcnt(12)
	v_mul_f32_e32 v55, v48, v125
	v_fmac_f32_e32 v55, v49, v124
	v_add_f32_e32 v54, v54, v55
	s_waitcnt vmcnt(10) lgkmcnt(0)
	v_mul_f32_e32 v55, v50, v127
	v_fmac_f32_e32 v55, v51, v126
	s_waitcnt vmcnt(8)
	v_mul_f32_e32 v59, v52, v129
	v_add_f32_e32 v58, v54, v55
	v_fmac_f32_e32 v59, v53, v128
	ds_read_b128 v[54:57], v4 offset:896
	v_add_f32_e32 v63, v58, v59
	ds_read_b128 v[58:61], v4 offset:912
	buffer_load_dword v67, off, s[0:3], 0 offset:452
	buffer_load_dword v66, off, s[0:3], 0 offset:448
	buffer_load_dword v69, off, s[0:3], 0 offset:444
	buffer_load_dword v68, off, s[0:3], 0 offset:440
	buffer_load_dword v71, off, s[0:3], 0 offset:436
	buffer_load_dword v70, off, s[0:3], 0 offset:432
	buffer_load_dword v75, off, s[0:3], 0 offset:484
	buffer_load_dword v74, off, s[0:3], 0 offset:480
	buffer_load_dword v77, off, s[0:3], 0 offset:476
	buffer_load_dword v76, off, s[0:3], 0 offset:472
	buffer_load_dword v79, off, s[0:3], 0 offset:468
	buffer_load_dword v78, off, s[0:3], 0 offset:464
	buffer_load_dword v81, off, s[0:3], 0 offset:460
	buffer_load_dword v80, off, s[0:3], 0 offset:456
	buffer_load_dword v83, off, s[0:3], 0 offset:492
	buffer_load_dword v82, off, s[0:3], 0 offset:488
	v_mul_f32_e32 v5, v7, v5
	v_fma_f32 v5, v6, v90, -v5
	v_mul_f32_e32 v6, v9, v62
	v_add_f32_e32 v5, 0, v5
	v_fma_f32 v6, v8, v89, -v6
	v_add_f32_e32 v5, v5, v6
	v_mul_f32_e32 v6, v11, v85
	v_fma_f32 v6, v10, v88, -v6
	v_add_f32_e32 v5, v5, v6
	v_mul_f32_e32 v6, v13, v64
	;; [unrolled: 3-line block ×22, first 2 shown]
	v_fma_f32 v6, v52, v128, -v6
	v_add_f32_e32 v5, v5, v6
	s_waitcnt vmcnt(22) lgkmcnt(1)
	v_mul_f32_e32 v6, v55, v131
	v_fma_f32 v6, v54, v130, -v6
	v_add_f32_e32 v5, v5, v6
	s_waitcnt vmcnt(20)
	v_mul_f32_e32 v6, v57, v133
	v_fma_f32 v6, v56, v132, -v6
	v_add_f32_e32 v62, v5, v6
	ds_read_b128 v[6:9], v4 offset:928
	ds_read_b128 v[10:13], v4 offset:944
	;; [unrolled: 1-line block ×4, first 2 shown]
	s_waitcnt vmcnt(11)
	v_mov_b32_e32 v22, v71
	v_mul_f32_e32 v65, v54, v131
	s_waitcnt lgkmcnt(3)
	v_pk_mul_f32 v[22:23], v[6:7], v[22:23] op_sel_hi:[1,0]
	v_fmac_f32_e32 v65, v55, v130
	s_waitcnt vmcnt(10)
	v_pk_fma_f32 v[24:25], v[6:7], v[70:71], v[22:23] op_sel:[0,0,1] op_sel_hi:[1,1,0] neg_lo:[0,0,1] neg_hi:[0,0,1]
	v_pk_fma_f32 v[6:7], v[6:7], v[70:71], v[22:23] op_sel:[0,0,1] op_sel_hi:[1,0,0]
	v_add_f32_e32 v63, v63, v65
	v_mul_f32_e32 v65, v56, v133
	v_mov_b32_e32 v6, v69
	v_fmac_f32_e32 v65, v57, v132
	v_mov_b32_e32 v25, v7
	v_pk_mul_f32 v[6:7], v[8:9], v[6:7] op_sel_hi:[1,0]
	v_add_f32_e32 v63, v63, v65
	v_mul_f32_e32 v65, v58, v135
	v_mul_f32_e32 v5, v59, v135
	v_pk_fma_f32 v[22:23], v[8:9], v[68:69], v[6:7] op_sel:[0,0,1] op_sel_hi:[1,1,0] neg_lo:[0,0,1] neg_hi:[0,0,1]
	v_pk_fma_f32 v[6:7], v[8:9], v[68:69], v[6:7] op_sel:[0,0,1] op_sel_hi:[1,0,0]
	v_fmac_f32_e32 v65, v59, v134
	v_mul_f32_e32 v73, v60, v137
	v_fma_f32 v64, v58, v134, -v5
	v_mul_f32_e32 v5, v61, v137
	v_mov_b32_e32 v6, v67
	v_fmac_f32_e32 v73, v61, v136
	v_fma_f32 v72, v60, v136, -v5
	v_pk_add_f32 v[4:5], v[62:63], v[64:65]
	v_mov_b32_e32 v23, v7
	s_waitcnt lgkmcnt(2)
	v_pk_mul_f32 v[6:7], v[10:11], v[6:7] op_sel_hi:[1,0]
	v_pk_add_f32 v[4:5], v[4:5], v[72:73]
	v_pk_fma_f32 v[8:9], v[10:11], v[66:67], v[6:7] op_sel:[0,0,1] op_sel_hi:[1,1,0] neg_lo:[0,0,1] neg_hi:[0,0,1]
	v_pk_fma_f32 v[6:7], v[10:11], v[66:67], v[6:7] op_sel:[0,0,1] op_sel_hi:[1,0,0]
	v_pk_add_f32 v[4:5], v[4:5], v[24:25]
	s_waitcnt vmcnt(3)
	v_mov_b32_e32 v6, v81
	v_pk_add_f32 v[4:5], v[4:5], v[22:23]
	v_mov_b32_e32 v9, v7
	v_pk_mul_f32 v[6:7], v[12:13], v[6:7] op_sel_hi:[1,0]
	v_pk_add_f32 v[4:5], v[4:5], v[8:9]
	s_waitcnt vmcnt(2)
	v_pk_fma_f32 v[8:9], v[12:13], v[80:81], v[6:7] op_sel:[0,0,1] op_sel_hi:[1,1,0] neg_lo:[0,0,1] neg_hi:[0,0,1]
	v_pk_fma_f32 v[6:7], v[12:13], v[80:81], v[6:7] op_sel:[0,0,1] op_sel_hi:[1,0,0]
	v_mov_b32_e32 v6, v79
	v_mov_b32_e32 v9, v7
	s_waitcnt lgkmcnt(1)
	v_pk_mul_f32 v[6:7], v[14:15], v[6:7] op_sel_hi:[1,0]
	v_pk_add_f32 v[4:5], v[4:5], v[8:9]
	v_pk_fma_f32 v[8:9], v[14:15], v[78:79], v[6:7] op_sel:[0,0,1] op_sel_hi:[1,1,0] neg_lo:[0,0,1] neg_hi:[0,0,1]
	v_pk_fma_f32 v[6:7], v[14:15], v[78:79], v[6:7] op_sel:[0,0,1] op_sel_hi:[1,0,0]
	v_mov_b32_e32 v6, v77
	v_mov_b32_e32 v9, v7
	v_pk_mul_f32 v[6:7], v[16:17], v[6:7] op_sel_hi:[1,0]
	v_pk_add_f32 v[4:5], v[4:5], v[8:9]
	v_pk_fma_f32 v[8:9], v[16:17], v[76:77], v[6:7] op_sel:[0,0,1] op_sel_hi:[1,1,0] neg_lo:[0,0,1] neg_hi:[0,0,1]
	v_pk_fma_f32 v[6:7], v[16:17], v[76:77], v[6:7] op_sel:[0,0,1] op_sel_hi:[1,0,0]
	v_mov_b32_e32 v6, v75
	v_mov_b32_e32 v9, v7
	s_waitcnt lgkmcnt(0)
	v_pk_mul_f32 v[6:7], v[18:19], v[6:7] op_sel_hi:[1,0]
	v_pk_add_f32 v[4:5], v[4:5], v[8:9]
	v_pk_fma_f32 v[8:9], v[18:19], v[74:75], v[6:7] op_sel:[0,0,1] op_sel_hi:[1,1,0] neg_lo:[0,0,1] neg_hi:[0,0,1]
	v_pk_fma_f32 v[6:7], v[18:19], v[74:75], v[6:7] op_sel:[0,0,1] op_sel_hi:[1,0,0]
	s_waitcnt vmcnt(1)
	v_mov_b32_e32 v6, v83
	v_mov_b32_e32 v9, v7
	v_pk_mul_f32 v[6:7], v[20:21], v[6:7] op_sel_hi:[1,0]
	v_pk_add_f32 v[4:5], v[4:5], v[8:9]
	s_waitcnt vmcnt(0)
	v_pk_fma_f32 v[8:9], v[20:21], v[82:83], v[6:7] op_sel:[0,0,1] op_sel_hi:[1,1,0] neg_lo:[0,0,1] neg_hi:[0,0,1]
	v_pk_fma_f32 v[6:7], v[20:21], v[82:83], v[6:7] op_sel:[0,0,1] op_sel_hi:[1,0,0]
	v_mov_b32_e32 v9, v7
	v_pk_add_f32 v[4:5], v[4:5], v[8:9]
	v_pk_add_f32 v[2:3], v[2:3], v[4:5] neg_lo:[0,1] neg_hi:[0,1]
	buffer_store_dword v3, off, s[0:3], 0 offset:204
	buffer_store_dword v2, off, s[0:3], 0 offset:200
	s_and_saveexec_b64 s[4:5], vcc
	s_cbranch_execz .LBB61_337
; %bb.336:
	buffer_load_dword v2, off, s[0:3], 0 offset:192
	buffer_load_dword v3, off, s[0:3], 0 offset:196
	v_mov_b32_e32 v4, 0
	buffer_store_dword v4, off, s[0:3], 0 offset:192
	buffer_store_dword v4, off, s[0:3], 0 offset:196
	s_waitcnt vmcnt(2)
	ds_write_b64 v210, v[2:3]
.LBB61_337:
	s_or_b64 exec, exec, s[4:5]
	v_mov_b32_e32 v86, 0
	s_waitcnt lgkmcnt(0)
	; wave barrier
	s_waitcnt lgkmcnt(0)
	ds_read2_b64 v[2:5], v86 offset0:87 offset1:88
	buffer_load_dword v62, off, s[0:3], 0 offset:192
	buffer_load_dword v63, off, s[0:3], 0 offset:196
	;; [unrolled: 1-line block ×16, first 2 shown]
	ds_read2_b64 v[10:13], v86 offset0:89 offset1:90
	ds_read2_b64 v[14:17], v86 offset0:91 offset1:92
	;; [unrolled: 1-line block ×3, first 2 shown]
	buffer_load_dword v98, off, s[0:3], 0 offset:256
	buffer_load_dword v99, off, s[0:3], 0 offset:260
	ds_read2_b64 v[22:25], v86 offset0:95 offset1:96
	buffer_load_dword v100, off, s[0:3], 0 offset:264
	buffer_load_dword v101, off, s[0:3], 0 offset:268
	buffer_load_dword v102, off, s[0:3], 0 offset:272
	buffer_load_dword v103, off, s[0:3], 0 offset:276
	ds_read2_b64 v[26:29], v86 offset0:97 offset1:98
	buffer_load_dword v104, off, s[0:3], 0 offset:280
	buffer_load_dword v105, off, s[0:3], 0 offset:284
	;; [unrolled: 5-line block ×10, first 2 shown]
	buffer_load_dword v140, off, s[0:3], 0 offset:416
	buffer_load_dword v141, off, s[0:3], 0 offset:420
	v_cmp_lt_u32_e32 vcc, 23, v0
	s_waitcnt vmcnt(54) lgkmcnt(13)
	v_mul_f32_e32 v6, v2, v87
	v_fmac_f32_e32 v6, v3, v64
	s_waitcnt vmcnt(52)
	v_mul_f32_e32 v7, v4, v89
	v_add_f32_e32 v6, 0, v6
	v_fmac_f32_e32 v7, v5, v66
	v_add_f32_e32 v6, v6, v7
	s_waitcnt vmcnt(50) lgkmcnt(12)
	v_mul_f32_e32 v7, v10, v91
	v_fmac_f32_e32 v7, v11, v70
	v_add_f32_e32 v6, v6, v7
	s_waitcnt vmcnt(48)
	v_mul_f32_e32 v7, v12, v93
	v_fmac_f32_e32 v7, v13, v88
	v_add_f32_e32 v6, v6, v7
	s_waitcnt vmcnt(46) lgkmcnt(11)
	v_mul_f32_e32 v7, v14, v95
	v_fmac_f32_e32 v7, v15, v90
	v_add_f32_e32 v6, v6, v7
	s_waitcnt vmcnt(44)
	v_mul_f32_e32 v7, v16, v96
	;; [unrolled: 8-line block ×12, first 2 shown]
	v_fmac_f32_e32 v7, v57, v136
	v_add_f32_e32 v6, v6, v7
	s_waitcnt vmcnt(2) lgkmcnt(0)
	v_mul_f32_e32 v7, v58, v139
	v_fmac_f32_e32 v7, v59, v138
	v_add_f32_e32 v65, v6, v7
	ds_read2_b64 v[6:9], v86 offset0:115 offset1:116
	buffer_load_dword v142, off, s[0:3], 0 offset:424
	buffer_load_dword v143, off, s[0:3], 0 offset:428
	;; [unrolled: 1-line block ×18, first 2 shown]
	v_mul_f32_e32 v3, v3, v87
	v_fma_f32 v2, v2, v64, -v3
	v_mul_f32_e32 v3, v5, v89
	v_add_f32_e32 v2, 0, v2
	v_fma_f32 v3, v4, v66, -v3
	v_add_f32_e32 v2, v2, v3
	v_mul_f32_e32 v3, v11, v91
	v_fma_f32 v3, v10, v70, -v3
	v_add_f32_e32 v2, v2, v3
	v_mul_f32_e32 v3, v13, v93
	;; [unrolled: 3-line block ×25, first 2 shown]
	v_fma_f32 v3, v58, v138, -v3
	s_waitcnt vmcnt(18)
	v_mul_f32_e32 v67, v60, v141
	v_add_f32_e32 v64, v2, v3
	v_mul_f32_e32 v2, v61, v141
	s_waitcnt vmcnt(15)
	v_mov_b32_e32 v20, v69
	v_fmac_f32_e32 v67, v61, v140
	s_waitcnt lgkmcnt(0)
	v_mul_f32_e32 v71, v6, v143
	v_fma_f32 v66, v60, v140, -v2
	v_mul_f32_e32 v2, v7, v143
	v_pk_mul_f32 v[20:21], v[8:9], v[20:21] op_sel_hi:[1,0]
	v_fmac_f32_e32 v71, v7, v142
	v_fma_f32 v70, v6, v142, -v2
	v_pk_add_f32 v[18:19], v[64:65], v[66:67]
	s_waitcnt vmcnt(14)
	v_pk_fma_f32 v[22:23], v[8:9], v[68:69], v[20:21] op_sel:[0,0,1] op_sel_hi:[1,1,0] neg_lo:[0,0,1] neg_hi:[0,0,1]
	v_pk_fma_f32 v[8:9], v[8:9], v[68:69], v[20:21] op_sel:[0,0,1] op_sel_hi:[1,0,0]
	ds_read2_b64 v[2:5], v86 offset0:117 offset1:118
	ds_read2_b64 v[10:13], v86 offset0:119 offset1:120
	;; [unrolled: 1-line block ×3, first 2 shown]
	ds_read_b64 v[6:7], v86 offset:984
	v_pk_add_f32 v[18:19], v[18:19], v[70:71]
	v_mov_b32_e32 v23, v9
	v_pk_add_f32 v[8:9], v[18:19], v[22:23]
	s_waitcnt vmcnt(13)
	v_mov_b32_e32 v18, v85
	s_waitcnt lgkmcnt(3)
	v_pk_mul_f32 v[18:19], v[2:3], v[18:19] op_sel_hi:[1,0]
	s_waitcnt vmcnt(12)
	v_pk_fma_f32 v[20:21], v[2:3], v[84:85], v[18:19] op_sel:[0,0,1] op_sel_hi:[1,1,0] neg_lo:[0,0,1] neg_hi:[0,0,1]
	v_pk_fma_f32 v[2:3], v[2:3], v[84:85], v[18:19] op_sel:[0,0,1] op_sel_hi:[1,0,0]
	v_mov_b32_e32 v21, v3
	v_pk_add_f32 v[2:3], v[8:9], v[20:21]
	s_waitcnt vmcnt(11)
	v_mov_b32_e32 v8, v83
	v_pk_mul_f32 v[8:9], v[4:5], v[8:9] op_sel_hi:[1,0]
	s_waitcnt vmcnt(10)
	v_pk_fma_f32 v[18:19], v[4:5], v[82:83], v[8:9] op_sel:[0,0,1] op_sel_hi:[1,1,0] neg_lo:[0,0,1] neg_hi:[0,0,1]
	v_pk_fma_f32 v[4:5], v[4:5], v[82:83], v[8:9] op_sel:[0,0,1] op_sel_hi:[1,0,0]
	s_waitcnt vmcnt(9)
	v_mov_b32_e32 v4, v81
	v_mov_b32_e32 v19, v5
	s_waitcnt lgkmcnt(2)
	v_pk_mul_f32 v[4:5], v[10:11], v[4:5] op_sel_hi:[1,0]
	s_waitcnt vmcnt(8)
	v_pk_fma_f32 v[8:9], v[10:11], v[80:81], v[4:5] op_sel:[0,0,1] op_sel_hi:[1,1,0] neg_lo:[0,0,1] neg_hi:[0,0,1]
	v_pk_fma_f32 v[4:5], v[10:11], v[80:81], v[4:5] op_sel:[0,0,1] op_sel_hi:[1,0,0]
	s_waitcnt vmcnt(7)
	v_mov_b32_e32 v4, v79
	v_pk_add_f32 v[2:3], v[2:3], v[18:19]
	v_mov_b32_e32 v9, v5
	v_pk_mul_f32 v[4:5], v[12:13], v[4:5] op_sel_hi:[1,0]
	v_pk_add_f32 v[2:3], v[2:3], v[8:9]
	s_waitcnt vmcnt(6)
	v_pk_fma_f32 v[8:9], v[12:13], v[78:79], v[4:5] op_sel:[0,0,1] op_sel_hi:[1,1,0] neg_lo:[0,0,1] neg_hi:[0,0,1]
	v_pk_fma_f32 v[4:5], v[12:13], v[78:79], v[4:5] op_sel:[0,0,1] op_sel_hi:[1,0,0]
	s_waitcnt vmcnt(5)
	v_mov_b32_e32 v4, v77
	v_mov_b32_e32 v9, v5
	s_waitcnt lgkmcnt(1)
	v_pk_mul_f32 v[4:5], v[14:15], v[4:5] op_sel_hi:[1,0]
	v_pk_add_f32 v[2:3], v[2:3], v[8:9]
	s_waitcnt vmcnt(4)
	v_pk_fma_f32 v[8:9], v[14:15], v[76:77], v[4:5] op_sel:[0,0,1] op_sel_hi:[1,1,0] neg_lo:[0,0,1] neg_hi:[0,0,1]
	v_pk_fma_f32 v[4:5], v[14:15], v[76:77], v[4:5] op_sel:[0,0,1] op_sel_hi:[1,0,0]
	s_waitcnt vmcnt(3)
	v_mov_b32_e32 v4, v75
	v_mov_b32_e32 v9, v5
	v_pk_mul_f32 v[4:5], v[16:17], v[4:5] op_sel_hi:[1,0]
	v_pk_add_f32 v[2:3], v[2:3], v[8:9]
	s_waitcnt vmcnt(2)
	v_pk_fma_f32 v[8:9], v[16:17], v[74:75], v[4:5] op_sel:[0,0,1] op_sel_hi:[1,1,0] neg_lo:[0,0,1] neg_hi:[0,0,1]
	v_pk_fma_f32 v[4:5], v[16:17], v[74:75], v[4:5] op_sel:[0,0,1] op_sel_hi:[1,0,0]
	s_waitcnt vmcnt(1)
	v_mov_b32_e32 v4, v73
	v_mov_b32_e32 v9, v5
	s_waitcnt lgkmcnt(0)
	v_pk_mul_f32 v[4:5], v[6:7], v[4:5] op_sel_hi:[1,0]
	v_pk_add_f32 v[2:3], v[2:3], v[8:9]
	s_waitcnt vmcnt(0)
	v_pk_fma_f32 v[8:9], v[6:7], v[72:73], v[4:5] op_sel:[0,0,1] op_sel_hi:[1,1,0] neg_lo:[0,0,1] neg_hi:[0,0,1]
	v_pk_fma_f32 v[4:5], v[6:7], v[72:73], v[4:5] op_sel:[0,0,1] op_sel_hi:[1,0,0]
	v_mov_b32_e32 v9, v5
	v_pk_add_f32 v[2:3], v[2:3], v[8:9]
	v_pk_add_f32 v[2:3], v[62:63], v[2:3] neg_lo:[0,1] neg_hi:[0,1]
	buffer_store_dword v3, off, s[0:3], 0 offset:196
	buffer_store_dword v2, off, s[0:3], 0 offset:192
	s_and_saveexec_b64 s[4:5], vcc
	s_cbranch_execz .LBB61_339
; %bb.338:
	buffer_load_dword v2, off, s[0:3], 0 offset:184
	buffer_load_dword v3, off, s[0:3], 0 offset:188
	s_waitcnt vmcnt(0)
	ds_write_b64 v210, v[2:3]
	buffer_store_dword v86, off, s[0:3], 0 offset:184
	buffer_store_dword v86, off, s[0:3], 0 offset:188
.LBB61_339:
	s_or_b64 exec, exec, s[4:5]
	s_waitcnt lgkmcnt(0)
	; wave barrier
	s_waitcnt lgkmcnt(0)
	buffer_load_dword v70, off, s[0:3], 0 offset:196
	buffer_load_dword v72, off, s[0:3], 0 offset:204
	;; [unrolled: 1-line block ×32, first 2 shown]
	ds_read_b128 v[16:19], v86 offset:688
	ds_read_b128 v[6:9], v86 offset:704
	buffer_load_dword v120, off, s[0:3], 0 offset:312
	buffer_load_dword v121, off, s[0:3], 0 offset:316
	ds_read_b128 v[10:13], v86 offset:720
	ds_read_b128 v[2:5], v86 offset:736
	buffer_load_dword v122, off, s[0:3], 0 offset:320
	buffer_load_dword v123, off, s[0:3], 0 offset:324
	;; [unrolled: 1-line block ×28, first 2 shown]
	v_cmp_lt_u32_e32 vcc, 22, v0
	s_waitcnt vmcnt(61) lgkmcnt(3)
	v_mul_f32_e32 v20, v16, v70
	s_waitcnt vmcnt(60)
	v_mul_f32_e32 v21, v18, v72
	s_waitcnt vmcnt(59) lgkmcnt(2)
	v_mul_f32_e32 v23, v8, v74
	s_waitcnt vmcnt(58) lgkmcnt(1)
	v_mul_f32_e32 v24, v10, v87
	s_waitcnt vmcnt(57)
	v_mul_f32_e32 v25, v12, v92
	s_waitcnt vmcnt(56)
	;; [unrolled: 2-line block ×3, first 2 shown]
	v_fmac_f32_e32 v22, v7, v94
	s_waitcnt vmcnt(54)
	v_fmac_f32_e32 v21, v19, v95
	s_waitcnt vmcnt(53)
	v_fmac_f32_e32 v20, v17, v96
	v_add_f32_e32 v20, 0, v20
	v_add_f32_e32 v20, v20, v21
	;; [unrolled: 1-line block ×3, first 2 shown]
	s_waitcnt vmcnt(49)
	v_fmac_f32_e32 v24, v11, v100
	s_waitcnt vmcnt(48)
	v_fmac_f32_e32 v23, v9, v101
	v_add_f32_e32 v20, v20, v23
	s_waitcnt lgkmcnt(0)
	v_mul_f32_e32 v26, v2, v97
	v_fmac_f32_e32 v25, v13, v99
	v_add_f32_e32 v20, v20, v24
	v_fmac_f32_e32 v26, v3, v98
	v_add_f32_e32 v20, v20, v25
	v_add_f32_e32 v24, v20, v26
	ds_read_b128 v[20:23], v86 offset:752
	s_waitcnt vmcnt(44)
	v_mul_f32_e32 v25, v4, v105
	s_waitcnt vmcnt(43)
	v_fmac_f32_e32 v25, v5, v106
	v_add_f32_e32 v28, v24, v25
	ds_read_b128 v[24:27], v86 offset:768
	s_waitcnt vmcnt(42) lgkmcnt(1)
	v_mul_f32_e32 v29, v20, v107
	v_fmac_f32_e32 v29, v21, v104
	v_add_f32_e32 v28, v28, v29
	s_waitcnt vmcnt(41)
	v_mul_f32_e32 v29, v22, v110
	v_fmac_f32_e32 v29, v23, v103
	v_add_f32_e32 v28, v28, v29
	s_waitcnt vmcnt(40) lgkmcnt(0)
	v_mul_f32_e32 v29, v24, v111
	v_fmac_f32_e32 v29, v25, v102
	v_add_f32_e32 v32, v28, v29
	ds_read_b128 v[28:31], v86 offset:784
	s_waitcnt vmcnt(34)
	v_mul_f32_e32 v33, v26, v117
	s_waitcnt vmcnt(33)
	v_fmac_f32_e32 v33, v27, v118
	v_add_f32_e32 v36, v32, v33
	ds_read_b128 v[32:35], v86 offset:800
	s_waitcnt vmcnt(32) lgkmcnt(1)
	v_mul_f32_e32 v37, v28, v119
	v_fmac_f32_e32 v37, v29, v116
	v_add_f32_e32 v36, v36, v37
	v_mul_f32_e32 v37, v30, v113
	v_fmac_f32_e32 v37, v31, v112
	v_add_f32_e32 v36, v36, v37
	s_waitcnt lgkmcnt(0)
	v_mul_f32_e32 v37, v32, v115
	v_fmac_f32_e32 v37, v33, v114
	v_add_f32_e32 v40, v36, v37
	ds_read_b128 v[36:39], v86 offset:816
	s_waitcnt vmcnt(28)
	v_mul_f32_e32 v41, v34, v121
	v_fmac_f32_e32 v41, v35, v120
	v_add_f32_e32 v44, v40, v41
	ds_read_b128 v[40:43], v86 offset:832
	s_waitcnt vmcnt(26) lgkmcnt(1)
	v_mul_f32_e32 v45, v36, v123
	v_fmac_f32_e32 v45, v37, v122
	v_add_f32_e32 v44, v44, v45
	s_waitcnt vmcnt(24)
	v_mul_f32_e32 v45, v38, v125
	v_fmac_f32_e32 v45, v39, v124
	v_add_f32_e32 v44, v44, v45
	s_waitcnt vmcnt(22) lgkmcnt(0)
	v_mul_f32_e32 v45, v40, v127
	v_fmac_f32_e32 v45, v41, v126
	v_add_f32_e32 v48, v44, v45
	ds_read_b128 v[44:47], v86 offset:848
	s_waitcnt vmcnt(20)
	v_mul_f32_e32 v49, v42, v129
	v_fmac_f32_e32 v49, v43, v128
	v_add_f32_e32 v52, v48, v49
	ds_read_b128 v[48:51], v86 offset:864
	s_waitcnt vmcnt(18) lgkmcnt(1)
	v_mul_f32_e32 v53, v44, v131
	v_fmac_f32_e32 v53, v45, v130
	v_add_f32_e32 v52, v52, v53
	s_waitcnt vmcnt(16)
	v_mul_f32_e32 v53, v46, v133
	v_fmac_f32_e32 v53, v47, v132
	v_add_f32_e32 v52, v52, v53
	s_waitcnt vmcnt(14) lgkmcnt(0)
	v_mul_f32_e32 v53, v48, v135
	v_fmac_f32_e32 v53, v49, v134
	v_add_f32_e32 v56, v52, v53
	ds_read_b128 v[52:55], v86 offset:880
	s_waitcnt vmcnt(12)
	v_mul_f32_e32 v57, v50, v137
	v_fmac_f32_e32 v57, v51, v136
	v_add_f32_e32 v60, v56, v57
	ds_read_b128 v[56:59], v86 offset:896
	buffer_load_dword v69, off, s[0:3], 0 offset:436
	buffer_load_dword v68, off, s[0:3], 0 offset:432
	s_waitcnt vmcnt(12) lgkmcnt(1)
	v_mul_f32_e32 v61, v52, v139
	v_fmac_f32_e32 v61, v53, v138
	v_add_f32_e32 v60, v60, v61
	s_waitcnt vmcnt(10)
	v_mul_f32_e32 v61, v54, v141
	v_fmac_f32_e32 v61, v55, v140
	v_add_f32_e32 v60, v60, v61
	s_waitcnt vmcnt(8) lgkmcnt(0)
	v_mul_f32_e32 v61, v56, v143
	v_fmac_f32_e32 v61, v57, v142
	s_waitcnt vmcnt(6)
	v_mul_f32_e32 v65, v58, v145
	v_add_f32_e32 v64, v60, v61
	v_fmac_f32_e32 v65, v59, v144
	ds_read_b128 v[60:63], v86 offset:912
	v_add_f32_e32 v71, v64, v65
	ds_read_b128 v[64:67], v86 offset:928
	buffer_load_dword v77, off, s[0:3], 0 offset:468
	buffer_load_dword v76, off, s[0:3], 0 offset:464
	;; [unrolled: 1-line block ×14, first 2 shown]
	v_mul_f32_e32 v17, v17, v70
	v_fma_f32 v16, v16, v96, -v17
	v_mul_f32_e32 v17, v19, v72
	v_add_f32_e32 v16, 0, v16
	v_fma_f32 v17, v18, v95, -v17
	v_mul_f32_e32 v7, v7, v93
	v_add_f32_e32 v16, v16, v17
	;; [unrolled: 3-line block ×3, first 2 shown]
	v_fma_f32 v7, v8, v101, -v7
	v_add_f32_e32 v6, v6, v7
	v_mul_f32_e32 v7, v11, v87
	v_fma_f32 v7, v10, v100, -v7
	v_add_f32_e32 v6, v6, v7
	v_mul_f32_e32 v7, v13, v92
	v_fma_f32 v7, v12, v99, -v7
	v_mul_f32_e32 v3, v3, v97
	v_add_f32_e32 v6, v6, v7
	v_fma_f32 v2, v2, v98, -v3
	v_mul_f32_e32 v3, v5, v105
	v_add_f32_e32 v2, v6, v2
	v_fma_f32 v3, v4, v106, -v3
	v_add_f32_e32 v2, v2, v3
	v_mul_f32_e32 v3, v21, v107
	v_fma_f32 v3, v20, v104, -v3
	v_add_f32_e32 v2, v2, v3
	v_mul_f32_e32 v3, v23, v110
	;; [unrolled: 3-line block ×20, first 2 shown]
	v_fma_f32 v3, v58, v144, -v3
	s_waitcnt vmcnt(15)
	v_mov_b32_e32 v18, v69
	s_waitcnt lgkmcnt(1)
	v_mul_f32_e32 v73, v60, v147
	v_add_f32_e32 v70, v2, v3
	v_mul_f32_e32 v2, v61, v147
	s_waitcnt lgkmcnt(0)
	v_pk_mul_f32 v[18:19], v[64:65], v[18:19] op_sel_hi:[1,0]
	v_fmac_f32_e32 v73, v61, v146
	v_mul_f32_e32 v75, v62, v149
	v_fma_f32 v72, v60, v146, -v2
	v_mul_f32_e32 v2, v63, v149
	s_waitcnt vmcnt(14)
	v_pk_fma_f32 v[20:21], v[64:65], v[68:69], v[18:19] op_sel:[0,0,1] op_sel_hi:[1,1,0] neg_lo:[0,0,1] neg_hi:[0,0,1]
	v_pk_fma_f32 v[18:19], v[64:65], v[68:69], v[18:19] op_sel:[0,0,1] op_sel_hi:[1,0,0]
	v_fmac_f32_e32 v75, v63, v148
	v_fma_f32 v74, v62, v148, -v2
	v_pk_add_f32 v[16:17], v[70:71], v[72:73]
	s_waitcnt vmcnt(7)
	v_mov_b32_e32 v18, v83
	ds_read_b128 v[2:5], v86 offset:944
	ds_read_b128 v[6:9], v86 offset:960
	;; [unrolled: 1-line block ×3, first 2 shown]
	v_pk_add_f32 v[16:17], v[16:17], v[74:75]
	v_mov_b32_e32 v21, v19
	v_pk_mul_f32 v[18:19], v[66:67], v[18:19] op_sel_hi:[1,0]
	v_pk_add_f32 v[16:17], v[16:17], v[20:21]
	s_waitcnt vmcnt(6)
	v_pk_fma_f32 v[20:21], v[66:67], v[82:83], v[18:19] op_sel:[0,0,1] op_sel_hi:[1,1,0] neg_lo:[0,0,1] neg_hi:[0,0,1]
	v_pk_fma_f32 v[18:19], v[66:67], v[82:83], v[18:19] op_sel:[0,0,1] op_sel_hi:[1,0,0]
	v_mov_b32_e32 v18, v81
	v_mov_b32_e32 v21, v19
	s_waitcnt lgkmcnt(2)
	v_pk_mul_f32 v[18:19], v[2:3], v[18:19] op_sel_hi:[1,0]
	v_pk_add_f32 v[16:17], v[16:17], v[20:21]
	v_pk_fma_f32 v[20:21], v[2:3], v[80:81], v[18:19] op_sel:[0,0,1] op_sel_hi:[1,1,0] neg_lo:[0,0,1] neg_hi:[0,0,1]
	v_pk_fma_f32 v[2:3], v[2:3], v[80:81], v[18:19] op_sel:[0,0,1] op_sel_hi:[1,0,0]
	v_mov_b32_e32 v21, v3
	v_pk_add_f32 v[2:3], v[16:17], v[20:21]
	v_mov_b32_e32 v16, v79
	v_pk_mul_f32 v[16:17], v[4:5], v[16:17] op_sel_hi:[1,0]
	v_pk_fma_f32 v[18:19], v[4:5], v[78:79], v[16:17] op_sel:[0,0,1] op_sel_hi:[1,1,0] neg_lo:[0,0,1] neg_hi:[0,0,1]
	v_pk_fma_f32 v[4:5], v[4:5], v[78:79], v[16:17] op_sel:[0,0,1] op_sel_hi:[1,0,0]
	v_mov_b32_e32 v4, v77
	v_mov_b32_e32 v19, v5
	s_waitcnt lgkmcnt(1)
	v_pk_mul_f32 v[4:5], v[6:7], v[4:5] op_sel_hi:[1,0]
	v_pk_fma_f32 v[16:17], v[6:7], v[76:77], v[4:5] op_sel:[0,0,1] op_sel_hi:[1,1,0] neg_lo:[0,0,1] neg_hi:[0,0,1]
	v_pk_fma_f32 v[4:5], v[6:7], v[76:77], v[4:5] op_sel:[0,0,1] op_sel_hi:[1,0,0]
	s_waitcnt vmcnt(1)
	v_mov_b32_e32 v4, v91
	v_mov_b32_e32 v17, v5
	v_pk_mul_f32 v[4:5], v[8:9], v[4:5] op_sel_hi:[1,0]
	s_waitcnt vmcnt(0)
	v_pk_fma_f32 v[6:7], v[8:9], v[90:91], v[4:5] op_sel:[0,0,1] op_sel_hi:[1,1,0] neg_lo:[0,0,1] neg_hi:[0,0,1]
	v_pk_fma_f32 v[4:5], v[8:9], v[90:91], v[4:5] op_sel:[0,0,1] op_sel_hi:[1,0,0]
	v_pk_add_f32 v[2:3], v[2:3], v[18:19]
	v_mov_b32_e32 v4, v89
	v_pk_add_f32 v[2:3], v[2:3], v[16:17]
	v_mov_b32_e32 v7, v5
	s_waitcnt lgkmcnt(0)
	v_pk_mul_f32 v[4:5], v[10:11], v[4:5] op_sel_hi:[1,0]
	v_pk_add_f32 v[2:3], v[2:3], v[6:7]
	v_pk_fma_f32 v[6:7], v[10:11], v[88:89], v[4:5] op_sel:[0,0,1] op_sel_hi:[1,1,0] neg_lo:[0,0,1] neg_hi:[0,0,1]
	v_pk_fma_f32 v[4:5], v[10:11], v[88:89], v[4:5] op_sel:[0,0,1] op_sel_hi:[1,0,0]
	v_mov_b32_e32 v4, v85
	v_mov_b32_e32 v7, v5
	v_pk_mul_f32 v[4:5], v[12:13], v[4:5] op_sel_hi:[1,0]
	v_pk_add_f32 v[2:3], v[2:3], v[6:7]
	v_pk_fma_f32 v[6:7], v[12:13], v[84:85], v[4:5] op_sel:[0,0,1] op_sel_hi:[1,1,0] neg_lo:[0,0,1] neg_hi:[0,0,1]
	v_pk_fma_f32 v[4:5], v[12:13], v[84:85], v[4:5] op_sel:[0,0,1] op_sel_hi:[1,0,0]
	v_mov_b32_e32 v7, v5
	v_pk_add_f32 v[2:3], v[2:3], v[6:7]
	v_pk_add_f32 v[2:3], v[14:15], v[2:3] neg_lo:[0,1] neg_hi:[0,1]
	buffer_store_dword v3, off, s[0:3], 0 offset:188
	buffer_store_dword v2, off, s[0:3], 0 offset:184
	s_and_saveexec_b64 s[4:5], vcc
	s_cbranch_execz .LBB61_341
; %bb.340:
	buffer_load_dword v2, off, s[0:3], 0 offset:176
	buffer_load_dword v3, off, s[0:3], 0 offset:180
	v_mov_b32_e32 v4, 0
	buffer_store_dword v4, off, s[0:3], 0 offset:176
	buffer_store_dword v4, off, s[0:3], 0 offset:180
	s_waitcnt vmcnt(2)
	ds_write_b64 v210, v[2:3]
.LBB61_341:
	s_or_b64 exec, exec, s[4:5]
	s_waitcnt lgkmcnt(0)
	; wave barrier
	s_waitcnt lgkmcnt(0)
	buffer_load_dword v21, off, s[0:3], 0 offset:188
	buffer_load_dword v70, off, s[0:3], 0 offset:196
	;; [unrolled: 1-line block ×48, first 2 shown]
	v_mov_b32_e32 v20, 0
	ds_read2_b64 v[2:5], v20 offset0:85 offset1:86
	buffer_load_dword v136, off, s[0:3], 0 offset:368
	buffer_load_dword v137, off, s[0:3], 0 offset:372
	;; [unrolled: 1-line block ×8, first 2 shown]
	ds_read2_b64 v[8:11], v20 offset0:87 offset1:88
	ds_read2_b64 v[12:15], v20 offset0:89 offset1:90
	;; [unrolled: 1-line block ×3, first 2 shown]
	buffer_load_dword v144, off, s[0:3], 0 offset:400
	buffer_load_dword v145, off, s[0:3], 0 offset:404
	buffer_load_dword v146, off, s[0:3], 0 offset:408
	buffer_load_dword v147, off, s[0:3], 0 offset:412
	buffer_load_dword v148, off, s[0:3], 0 offset:416
	buffer_load_dword v149, off, s[0:3], 0 offset:420
	buffer_load_dword v150, off, s[0:3], 0 offset:424
	buffer_load_dword v151, off, s[0:3], 0 offset:428
	v_cmp_lt_u32_e32 vcc, 21, v0
	s_waitcnt vmcnt(62) lgkmcnt(3)
	v_mul_f32_e32 v22, v2, v21
	v_mul_f32_e32 v23, v4, v70
	s_waitcnt vmcnt(61) lgkmcnt(2)
	v_mul_f32_e32 v25, v10, v72
	s_waitcnt vmcnt(60) lgkmcnt(1)
	v_mul_f32_e32 v26, v12, v74
	s_waitcnt vmcnt(59)
	v_mul_f32_e32 v27, v14, v92
	s_waitcnt vmcnt(58)
	;; [unrolled: 2-line block ×3, first 2 shown]
	v_fmac_f32_e32 v24, v9, v94
	s_waitcnt vmcnt(56)
	v_fmac_f32_e32 v23, v5, v95
	s_waitcnt vmcnt(55)
	v_fmac_f32_e32 v22, v3, v96
	v_add_f32_e32 v22, 0, v22
	v_add_f32_e32 v22, v22, v23
	;; [unrolled: 1-line block ×3, first 2 shown]
	s_waitcnt vmcnt(51)
	v_fmac_f32_e32 v26, v13, v100
	s_waitcnt vmcnt(50)
	v_fmac_f32_e32 v25, v11, v101
	v_add_f32_e32 v22, v22, v25
	s_waitcnt lgkmcnt(0)
	v_mul_f32_e32 v28, v16, v97
	v_fmac_f32_e32 v27, v15, v99
	v_add_f32_e32 v22, v22, v26
	v_fmac_f32_e32 v28, v17, v98
	v_add_f32_e32 v22, v22, v27
	v_add_f32_e32 v26, v22, v28
	ds_read2_b64 v[22:25], v20 offset0:93 offset1:94
	s_waitcnt vmcnt(45)
	v_mul_f32_e32 v27, v18, v106
	s_waitcnt vmcnt(44)
	v_fmac_f32_e32 v27, v19, v107
	v_add_f32_e32 v30, v26, v27
	ds_read2_b64 v[26:29], v20 offset0:95 offset1:96
	s_waitcnt vmcnt(43) lgkmcnt(1)
	v_mul_f32_e32 v31, v22, v110
	v_fmac_f32_e32 v31, v23, v105
	v_add_f32_e32 v30, v30, v31
	s_waitcnt vmcnt(42)
	v_mul_f32_e32 v31, v24, v111
	v_fmac_f32_e32 v31, v25, v104
	v_add_f32_e32 v30, v30, v31
	s_waitcnt lgkmcnt(0)
	v_mul_f32_e32 v31, v26, v103
	v_fmac_f32_e32 v31, v27, v102
	v_add_f32_e32 v34, v30, v31
	ds_read2_b64 v[30:33], v20 offset0:97 offset1:98
	s_waitcnt vmcnt(38)
	v_mul_f32_e32 v35, v28, v113
	v_fmac_f32_e32 v35, v29, v112
	v_add_f32_e32 v38, v34, v35
	ds_read2_b64 v[34:37], v20 offset0:99 offset1:100
	s_waitcnt vmcnt(36) lgkmcnt(1)
	v_mul_f32_e32 v39, v30, v115
	v_fmac_f32_e32 v39, v31, v114
	v_add_f32_e32 v38, v38, v39
	s_waitcnt vmcnt(34)
	v_mul_f32_e32 v39, v32, v117
	v_fmac_f32_e32 v39, v33, v116
	v_add_f32_e32 v38, v38, v39
	s_waitcnt vmcnt(32) lgkmcnt(0)
	v_mul_f32_e32 v39, v34, v119
	v_fmac_f32_e32 v39, v35, v118
	v_add_f32_e32 v42, v38, v39
	ds_read2_b64 v[38:41], v20 offset0:101 offset1:102
	s_waitcnt vmcnt(30)
	v_mul_f32_e32 v43, v36, v121
	v_fmac_f32_e32 v43, v37, v120
	v_add_f32_e32 v46, v42, v43
	ds_read2_b64 v[42:45], v20 offset0:103 offset1:104
	s_waitcnt vmcnt(28) lgkmcnt(1)
	v_mul_f32_e32 v47, v38, v123
	v_fmac_f32_e32 v47, v39, v122
	v_add_f32_e32 v46, v46, v47
	s_waitcnt vmcnt(26)
	v_mul_f32_e32 v47, v40, v125
	v_fmac_f32_e32 v47, v41, v124
	v_add_f32_e32 v46, v46, v47
	s_waitcnt vmcnt(24) lgkmcnt(0)
	;; [unrolled: 18-line block ×4, first 2 shown]
	v_mul_f32_e32 v63, v58, v143
	v_fmac_f32_e32 v63, v59, v142
	s_waitcnt vmcnt(6)
	v_mul_f32_e32 v67, v60, v145
	v_add_f32_e32 v66, v62, v63
	v_fmac_f32_e32 v67, v61, v144
	ds_read2_b64 v[62:65], v20 offset0:113 offset1:114
	v_add_f32_e32 v71, v66, v67
	ds_read2_b64 v[66:69], v20 offset0:115 offset1:116
	buffer_load_dword v77, off, s[0:3], 0 offset:460
	buffer_load_dword v76, off, s[0:3], 0 offset:456
	;; [unrolled: 1-line block ×16, first 2 shown]
	v_mul_f32_e32 v3, v3, v21
	v_fma_f32 v2, v2, v96, -v3
	v_mul_f32_e32 v3, v5, v70
	v_add_f32_e32 v2, 0, v2
	v_fma_f32 v3, v4, v95, -v3
	v_add_f32_e32 v2, v2, v3
	v_mul_f32_e32 v3, v9, v93
	v_fma_f32 v3, v8, v94, -v3
	v_add_f32_e32 v2, v2, v3
	v_mul_f32_e32 v3, v11, v72
	;; [unrolled: 3-line block ×26, first 2 shown]
	v_fma_f32 v3, v60, v144, -v3
	v_add_f32_e32 v2, v2, v3
	s_waitcnt vmcnt(20) lgkmcnt(1)
	v_mul_f32_e32 v3, v63, v147
	v_mul_f32_e32 v73, v62, v147
	v_fma_f32 v3, v62, v146, -v3
	v_fmac_f32_e32 v73, v63, v146
	v_add_f32_e32 v70, v2, v3
	s_waitcnt vmcnt(18)
	v_mul_f32_e32 v2, v65, v149
	s_waitcnt vmcnt(9)
	v_mov_b32_e32 v22, v83
	v_add_f32_e32 v71, v71, v73
	v_mul_f32_e32 v73, v64, v149
	v_fma_f32 v72, v64, v148, -v2
	s_waitcnt lgkmcnt(0)
	v_mul_f32_e32 v2, v67, v151
	v_pk_mul_f32 v[22:23], v[68:69], v[22:23] op_sel_hi:[1,0]
	v_fmac_f32_e32 v73, v65, v148
	v_mul_f32_e32 v75, v66, v151
	v_fma_f32 v74, v66, v150, -v2
	ds_read2_b64 v[2:5], v20 offset0:117 offset1:118
	ds_read2_b64 v[8:11], v20 offset0:119 offset1:120
	;; [unrolled: 1-line block ×3, first 2 shown]
	ds_read_b64 v[16:17], v20 offset:984
	s_waitcnt vmcnt(8)
	v_pk_fma_f32 v[24:25], v[68:69], v[82:83], v[22:23] op_sel:[0,0,1] op_sel_hi:[1,1,0] neg_lo:[0,0,1] neg_hi:[0,0,1]
	v_pk_fma_f32 v[22:23], v[68:69], v[82:83], v[22:23] op_sel:[0,0,1] op_sel_hi:[1,0,0]
	v_fmac_f32_e32 v75, v67, v150
	v_pk_add_f32 v[18:19], v[70:71], v[72:73]
	v_mov_b32_e32 v22, v81
	v_pk_add_f32 v[18:19], v[18:19], v[74:75]
	v_mov_b32_e32 v25, v23
	s_waitcnt lgkmcnt(3)
	v_pk_mul_f32 v[22:23], v[2:3], v[22:23] op_sel_hi:[1,0]
	v_pk_add_f32 v[18:19], v[18:19], v[24:25]
	v_pk_fma_f32 v[24:25], v[2:3], v[80:81], v[22:23] op_sel:[0,0,1] op_sel_hi:[1,1,0] neg_lo:[0,0,1] neg_hi:[0,0,1]
	v_pk_fma_f32 v[2:3], v[2:3], v[80:81], v[22:23] op_sel:[0,0,1] op_sel_hi:[1,0,0]
	v_mov_b32_e32 v25, v3
	v_pk_add_f32 v[2:3], v[18:19], v[24:25]
	v_mov_b32_e32 v18, v79
	v_pk_mul_f32 v[18:19], v[4:5], v[18:19] op_sel_hi:[1,0]
	v_pk_fma_f32 v[22:23], v[4:5], v[78:79], v[18:19] op_sel:[0,0,1] op_sel_hi:[1,1,0] neg_lo:[0,0,1] neg_hi:[0,0,1]
	v_pk_fma_f32 v[4:5], v[4:5], v[78:79], v[18:19] op_sel:[0,0,1] op_sel_hi:[1,0,0]
	v_mov_b32_e32 v4, v77
	v_mov_b32_e32 v23, v5
	s_waitcnt lgkmcnt(2)
	v_pk_mul_f32 v[4:5], v[8:9], v[4:5] op_sel_hi:[1,0]
	v_pk_fma_f32 v[18:19], v[8:9], v[76:77], v[4:5] op_sel:[0,0,1] op_sel_hi:[1,1,0] neg_lo:[0,0,1] neg_hi:[0,0,1]
	v_pk_fma_f32 v[4:5], v[8:9], v[76:77], v[4:5] op_sel:[0,0,1] op_sel_hi:[1,0,0]
	s_waitcnt vmcnt(1)
	v_mov_b32_e32 v4, v91
	v_mov_b32_e32 v19, v5
	v_pk_mul_f32 v[4:5], v[10:11], v[4:5] op_sel_hi:[1,0]
	s_waitcnt vmcnt(0)
	v_pk_fma_f32 v[8:9], v[10:11], v[90:91], v[4:5] op_sel:[0,0,1] op_sel_hi:[1,1,0] neg_lo:[0,0,1] neg_hi:[0,0,1]
	v_pk_fma_f32 v[4:5], v[10:11], v[90:91], v[4:5] op_sel:[0,0,1] op_sel_hi:[1,0,0]
	v_pk_add_f32 v[2:3], v[2:3], v[22:23]
	v_mov_b32_e32 v4, v89
	v_pk_add_f32 v[2:3], v[2:3], v[18:19]
	v_mov_b32_e32 v9, v5
	s_waitcnt lgkmcnt(1)
	v_pk_mul_f32 v[4:5], v[12:13], v[4:5] op_sel_hi:[1,0]
	v_pk_add_f32 v[2:3], v[2:3], v[8:9]
	v_pk_fma_f32 v[8:9], v[12:13], v[88:89], v[4:5] op_sel:[0,0,1] op_sel_hi:[1,1,0] neg_lo:[0,0,1] neg_hi:[0,0,1]
	v_pk_fma_f32 v[4:5], v[12:13], v[88:89], v[4:5] op_sel:[0,0,1] op_sel_hi:[1,0,0]
	v_mov_b32_e32 v4, v87
	v_mov_b32_e32 v9, v5
	v_pk_mul_f32 v[4:5], v[14:15], v[4:5] op_sel_hi:[1,0]
	v_pk_add_f32 v[2:3], v[2:3], v[8:9]
	v_pk_fma_f32 v[8:9], v[14:15], v[86:87], v[4:5] op_sel:[0,0,1] op_sel_hi:[1,1,0] neg_lo:[0,0,1] neg_hi:[0,0,1]
	v_pk_fma_f32 v[4:5], v[14:15], v[86:87], v[4:5] op_sel:[0,0,1] op_sel_hi:[1,0,0]
	v_mov_b32_e32 v4, v85
	v_mov_b32_e32 v9, v5
	s_waitcnt lgkmcnt(0)
	v_pk_mul_f32 v[4:5], v[16:17], v[4:5] op_sel_hi:[1,0]
	v_pk_add_f32 v[2:3], v[2:3], v[8:9]
	v_pk_fma_f32 v[8:9], v[16:17], v[84:85], v[4:5] op_sel:[0,0,1] op_sel_hi:[1,1,0] neg_lo:[0,0,1] neg_hi:[0,0,1]
	v_pk_fma_f32 v[4:5], v[16:17], v[84:85], v[4:5] op_sel:[0,0,1] op_sel_hi:[1,0,0]
	v_mov_b32_e32 v9, v5
	v_pk_add_f32 v[2:3], v[2:3], v[8:9]
	v_pk_add_f32 v[2:3], v[6:7], v[2:3] neg_lo:[0,1] neg_hi:[0,1]
	buffer_store_dword v3, off, s[0:3], 0 offset:180
	buffer_store_dword v2, off, s[0:3], 0 offset:176
	s_and_saveexec_b64 s[4:5], vcc
	s_cbranch_execz .LBB61_343
; %bb.342:
	buffer_load_dword v2, off, s[0:3], 0 offset:168
	buffer_load_dword v3, off, s[0:3], 0 offset:172
	s_waitcnt vmcnt(0)
	ds_write_b64 v210, v[2:3]
	buffer_store_dword v20, off, s[0:3], 0 offset:168
	buffer_store_dword v20, off, s[0:3], 0 offset:172
.LBB61_343:
	s_or_b64 exec, exec, s[4:5]
	s_waitcnt lgkmcnt(0)
	; wave barrier
	s_waitcnt lgkmcnt(0)
	buffer_load_dword v21, off, s[0:3], 0 offset:180
	buffer_load_dword v70, off, s[0:3], 0 offset:188
	;; [unrolled: 1-line block ×26, first 2 shown]
	ds_read_b128 v[14:17], v20 offset:672
	ds_read_b128 v[6:9], v20 offset:688
	buffer_load_dword v114, off, s[0:3], 0 offset:272
	buffer_load_dword v115, off, s[0:3], 0 offset:276
	ds_read_b128 v[10:13], v20 offset:704
	ds_read_b128 v[2:5], v20 offset:720
	buffer_load_dword v116, off, s[0:3], 0 offset:280
	buffer_load_dword v117, off, s[0:3], 0 offset:284
	;; [unrolled: 1-line block ×32, first 2 shown]
	v_cmp_lt_u32_e32 vcc, 20, v0
	s_waitcnt vmcnt(59) lgkmcnt(3)
	v_mul_f32_e32 v22, v14, v21
	s_waitcnt vmcnt(58)
	v_mul_f32_e32 v23, v16, v70
	s_waitcnt vmcnt(57) lgkmcnt(2)
	v_mul_f32_e32 v25, v8, v72
	s_waitcnt vmcnt(56) lgkmcnt(1)
	v_mul_f32_e32 v26, v10, v80
	s_waitcnt vmcnt(55)
	v_mul_f32_e32 v27, v12, v92
	s_waitcnt vmcnt(54)
	v_mul_f32_e32 v24, v6, v93
	s_waitcnt vmcnt(53) lgkmcnt(0)
	v_mul_f32_e32 v28, v2, v94
	s_waitcnt vmcnt(52)
	v_mul_f32_e32 v29, v4, v95
	s_waitcnt vmcnt(51)
	v_fmac_f32_e32 v24, v7, v96
	s_waitcnt vmcnt(50)
	v_fmac_f32_e32 v23, v17, v97
	;; [unrolled: 2-line block ×3, first 2 shown]
	v_add_f32_e32 v22, 0, v22
	v_add_f32_e32 v22, v22, v23
	;; [unrolled: 1-line block ×3, first 2 shown]
	s_waitcnt vmcnt(45)
	v_fmac_f32_e32 v25, v9, v102
	v_fmac_f32_e32 v26, v11, v101
	v_add_f32_e32 v22, v22, v25
	v_fmac_f32_e32 v27, v13, v100
	v_add_f32_e32 v22, v22, v26
	;; [unrolled: 2-line block ×3, first 2 shown]
	v_add_f32_e32 v26, v22, v28
	ds_read_b128 v[22:25], v20 offset:736
	s_waitcnt vmcnt(41)
	v_fmac_f32_e32 v29, v5, v106
	buffer_load_dword v148, off, s[0:3], 0 offset:408
	buffer_load_dword v149, off, s[0:3], 0 offset:412
	v_add_f32_e32 v30, v26, v29
	buffer_load_dword v150, off, s[0:3], 0 offset:416
	buffer_load_dword v151, off, s[0:3], 0 offset:420
	ds_read_b128 v[26:29], v20 offset:752
	s_waitcnt vmcnt(44) lgkmcnt(1)
	v_mul_f32_e32 v31, v22, v107
	v_fmac_f32_e32 v31, v23, v105
	v_add_f32_e32 v30, v30, v31
	s_waitcnt vmcnt(43)
	v_mul_f32_e32 v31, v24, v110
	v_fmac_f32_e32 v31, v25, v104
	v_add_f32_e32 v30, v30, v31
	s_waitcnt vmcnt(42) lgkmcnt(0)
	v_mul_f32_e32 v31, v26, v111
	v_fmac_f32_e32 v31, v27, v103
	buffer_load_dword v152, off, s[0:3], 0 offset:424
	buffer_load_dword v153, off, s[0:3], 0 offset:428
	v_add_f32_e32 v34, v30, v31
	ds_read_b128 v[30:33], v20 offset:768
	s_waitcnt vmcnt(40)
	v_mul_f32_e32 v35, v28, v113
	v_fmac_f32_e32 v35, v29, v112
	v_add_f32_e32 v38, v34, v35
	ds_read_b128 v[34:37], v20 offset:784
	s_waitcnt vmcnt(38) lgkmcnt(1)
	v_mul_f32_e32 v39, v30, v115
	v_fmac_f32_e32 v39, v31, v114
	v_add_f32_e32 v38, v38, v39
	s_waitcnt vmcnt(36)
	v_mul_f32_e32 v39, v32, v117
	v_fmac_f32_e32 v39, v33, v116
	v_add_f32_e32 v38, v38, v39
	s_waitcnt vmcnt(34) lgkmcnt(0)
	v_mul_f32_e32 v39, v34, v119
	v_fmac_f32_e32 v39, v35, v118
	v_add_f32_e32 v42, v38, v39
	ds_read_b128 v[38:41], v20 offset:800
	s_waitcnt vmcnt(32)
	v_mul_f32_e32 v43, v36, v121
	v_fmac_f32_e32 v43, v37, v120
	v_add_f32_e32 v46, v42, v43
	ds_read_b128 v[42:45], v20 offset:816
	s_waitcnt vmcnt(30) lgkmcnt(1)
	v_mul_f32_e32 v47, v38, v123
	v_fmac_f32_e32 v47, v39, v122
	v_add_f32_e32 v46, v46, v47
	s_waitcnt vmcnt(28)
	v_mul_f32_e32 v47, v40, v125
	v_fmac_f32_e32 v47, v41, v124
	v_add_f32_e32 v46, v46, v47
	s_waitcnt vmcnt(26) lgkmcnt(0)
	v_mul_f32_e32 v47, v42, v127
	v_fmac_f32_e32 v47, v43, v126
	;; [unrolled: 18-line block ×4, first 2 shown]
	s_waitcnt vmcnt(8)
	v_mul_f32_e32 v67, v60, v145
	v_add_f32_e32 v66, v62, v63
	v_fmac_f32_e32 v67, v61, v144
	ds_read_b128 v[62:65], v20 offset:896
	v_add_f32_e32 v71, v66, v67
	ds_read_b128 v[66:69], v20 offset:912
	buffer_load_dword v75, off, s[0:3], 0 offset:452
	buffer_load_dword v74, off, s[0:3], 0 offset:448
	;; [unrolled: 1-line block ×16, first 2 shown]
	v_mul_f32_e32 v15, v15, v21
	v_fma_f32 v14, v14, v98, -v15
	v_mul_f32_e32 v15, v17, v70
	v_add_f32_e32 v14, 0, v14
	v_fma_f32 v15, v16, v97, -v15
	v_mul_f32_e32 v7, v7, v93
	v_add_f32_e32 v14, v14, v15
	;; [unrolled: 3-line block ×3, first 2 shown]
	v_fma_f32 v7, v8, v102, -v7
	v_add_f32_e32 v6, v6, v7
	v_mul_f32_e32 v7, v11, v80
	v_fma_f32 v7, v10, v101, -v7
	v_add_f32_e32 v6, v6, v7
	v_mul_f32_e32 v7, v13, v92
	v_fma_f32 v7, v12, v100, -v7
	v_mul_f32_e32 v3, v3, v94
	v_add_f32_e32 v6, v6, v7
	v_fma_f32 v2, v2, v99, -v3
	v_mul_f32_e32 v3, v5, v95
	v_add_f32_e32 v2, v6, v2
	v_fma_f32 v3, v4, v106, -v3
	v_add_f32_e32 v2, v2, v3
	v_mul_f32_e32 v3, v23, v107
	v_fma_f32 v3, v22, v105, -v3
	v_add_f32_e32 v2, v2, v3
	v_mul_f32_e32 v3, v25, v110
	;; [unrolled: 3-line block ×20, first 2 shown]
	v_fma_f32 v3, v60, v144, -v3
	v_add_f32_e32 v2, v2, v3
	s_waitcnt vmcnt(22) lgkmcnt(1)
	v_mul_f32_e32 v3, v63, v147
	v_fma_f32 v3, v62, v146, -v3
	v_add_f32_e32 v2, v2, v3
	s_waitcnt vmcnt(20)
	v_mul_f32_e32 v3, v65, v149
	v_mul_f32_e32 v73, v62, v147
	v_fma_f32 v3, v64, v148, -v3
	v_fmac_f32_e32 v73, v63, v146
	v_add_f32_e32 v70, v2, v3
	s_waitcnt vmcnt(18) lgkmcnt(0)
	v_mul_f32_e32 v2, v67, v151
	v_add_f32_e32 v71, v71, v73
	v_mul_f32_e32 v73, v64, v149
	v_fma_f32 v72, v66, v150, -v2
	s_waitcnt vmcnt(16)
	v_mul_f32_e32 v2, v69, v153
	v_fmac_f32_e32 v73, v65, v148
	v_fma_f32 v80, v68, v152, -v2
	ds_read_b128 v[2:5], v20 offset:928
	ds_read_b128 v[6:9], v20 offset:944
	;; [unrolled: 1-line block ×4, first 2 shown]
	v_add_f32_e32 v71, v71, v73
	v_mul_f32_e32 v73, v66, v151
	s_waitcnt vmcnt(11)
	v_mov_b32_e32 v22, v79
	v_fmac_f32_e32 v73, v67, v150
	v_mul_f32_e32 v81, v68, v153
	s_waitcnt lgkmcnt(3)
	v_pk_mul_f32 v[22:23], v[2:3], v[22:23] op_sel_hi:[1,0]
	v_fmac_f32_e32 v81, v69, v152
	v_pk_add_f32 v[20:21], v[70:71], v[72:73]
	s_waitcnt vmcnt(10)
	v_pk_fma_f32 v[24:25], v[2:3], v[78:79], v[22:23] op_sel:[0,0,1] op_sel_hi:[1,1,0] neg_lo:[0,0,1] neg_hi:[0,0,1]
	v_pk_fma_f32 v[2:3], v[2:3], v[78:79], v[22:23] op_sel:[0,0,1] op_sel_hi:[1,0,0]
	v_pk_add_f32 v[20:21], v[20:21], v[80:81]
	v_mov_b32_e32 v25, v3
	v_pk_add_f32 v[2:3], v[20:21], v[24:25]
	v_mov_b32_e32 v20, v77
	v_pk_mul_f32 v[20:21], v[4:5], v[20:21] op_sel_hi:[1,0]
	v_pk_fma_f32 v[22:23], v[4:5], v[76:77], v[20:21] op_sel:[0,0,1] op_sel_hi:[1,1,0] neg_lo:[0,0,1] neg_hi:[0,0,1]
	v_pk_fma_f32 v[4:5], v[4:5], v[76:77], v[20:21] op_sel:[0,0,1] op_sel_hi:[1,0,0]
	v_mov_b32_e32 v4, v75
	v_mov_b32_e32 v23, v5
	s_waitcnt lgkmcnt(2)
	v_pk_mul_f32 v[4:5], v[6:7], v[4:5] op_sel_hi:[1,0]
	v_pk_fma_f32 v[20:21], v[6:7], v[74:75], v[4:5] op_sel:[0,0,1] op_sel_hi:[1,1,0] neg_lo:[0,0,1] neg_hi:[0,0,1]
	v_pk_fma_f32 v[4:5], v[6:7], v[74:75], v[4:5] op_sel:[0,0,1] op_sel_hi:[1,0,0]
	s_waitcnt vmcnt(3)
	v_mov_b32_e32 v4, v89
	v_mov_b32_e32 v21, v5
	v_pk_mul_f32 v[4:5], v[8:9], v[4:5] op_sel_hi:[1,0]
	s_waitcnt vmcnt(2)
	v_pk_fma_f32 v[6:7], v[8:9], v[88:89], v[4:5] op_sel:[0,0,1] op_sel_hi:[1,1,0] neg_lo:[0,0,1] neg_hi:[0,0,1]
	v_pk_fma_f32 v[4:5], v[8:9], v[88:89], v[4:5] op_sel:[0,0,1] op_sel_hi:[1,0,0]
	v_pk_add_f32 v[2:3], v[2:3], v[22:23]
	v_mov_b32_e32 v4, v87
	v_pk_add_f32 v[2:3], v[2:3], v[20:21]
	v_mov_b32_e32 v7, v5
	s_waitcnt lgkmcnt(1)
	v_pk_mul_f32 v[4:5], v[10:11], v[4:5] op_sel_hi:[1,0]
	v_pk_add_f32 v[2:3], v[2:3], v[6:7]
	v_pk_fma_f32 v[6:7], v[10:11], v[86:87], v[4:5] op_sel:[0,0,1] op_sel_hi:[1,1,0] neg_lo:[0,0,1] neg_hi:[0,0,1]
	v_pk_fma_f32 v[4:5], v[10:11], v[86:87], v[4:5] op_sel:[0,0,1] op_sel_hi:[1,0,0]
	v_mov_b32_e32 v4, v85
	v_mov_b32_e32 v7, v5
	v_pk_mul_f32 v[4:5], v[12:13], v[4:5] op_sel_hi:[1,0]
	v_pk_add_f32 v[2:3], v[2:3], v[6:7]
	v_pk_fma_f32 v[6:7], v[12:13], v[84:85], v[4:5] op_sel:[0,0,1] op_sel_hi:[1,1,0] neg_lo:[0,0,1] neg_hi:[0,0,1]
	v_pk_fma_f32 v[4:5], v[12:13], v[84:85], v[4:5] op_sel:[0,0,1] op_sel_hi:[1,0,0]
	v_mov_b32_e32 v4, v83
	v_mov_b32_e32 v7, v5
	s_waitcnt lgkmcnt(0)
	v_pk_mul_f32 v[4:5], v[14:15], v[4:5] op_sel_hi:[1,0]
	v_pk_add_f32 v[2:3], v[2:3], v[6:7]
	v_pk_fma_f32 v[6:7], v[14:15], v[82:83], v[4:5] op_sel:[0,0,1] op_sel_hi:[1,1,0] neg_lo:[0,0,1] neg_hi:[0,0,1]
	v_pk_fma_f32 v[4:5], v[14:15], v[82:83], v[4:5] op_sel:[0,0,1] op_sel_hi:[1,0,0]
	s_waitcnt vmcnt(1)
	v_mov_b32_e32 v4, v91
	v_mov_b32_e32 v7, v5
	v_pk_mul_f32 v[4:5], v[16:17], v[4:5] op_sel_hi:[1,0]
	v_pk_add_f32 v[2:3], v[2:3], v[6:7]
	s_waitcnt vmcnt(0)
	v_pk_fma_f32 v[6:7], v[16:17], v[90:91], v[4:5] op_sel:[0,0,1] op_sel_hi:[1,1,0] neg_lo:[0,0,1] neg_hi:[0,0,1]
	v_pk_fma_f32 v[4:5], v[16:17], v[90:91], v[4:5] op_sel:[0,0,1] op_sel_hi:[1,0,0]
	v_mov_b32_e32 v7, v5
	v_pk_add_f32 v[2:3], v[2:3], v[6:7]
	v_pk_add_f32 v[2:3], v[18:19], v[2:3] neg_lo:[0,1] neg_hi:[0,1]
	buffer_store_dword v3, off, s[0:3], 0 offset:172
	buffer_store_dword v2, off, s[0:3], 0 offset:168
	s_and_saveexec_b64 s[4:5], vcc
	s_cbranch_execz .LBB61_345
; %bb.344:
	buffer_load_dword v2, off, s[0:3], 0 offset:160
	buffer_load_dword v3, off, s[0:3], 0 offset:164
	v_mov_b32_e32 v4, 0
	buffer_store_dword v4, off, s[0:3], 0 offset:160
	buffer_store_dword v4, off, s[0:3], 0 offset:164
	s_waitcnt vmcnt(2)
	ds_write_b64 v210, v[2:3]
.LBB61_345:
	s_or_b64 exec, exec, s[4:5]
	v_mov_b32_e32 v94, 0
	s_waitcnt lgkmcnt(0)
	; wave barrier
	s_waitcnt lgkmcnt(0)
	ds_read2_b64 v[2:5], v94 offset0:83 offset1:84
	buffer_load_dword v70, off, s[0:3], 0 offset:160
	buffer_load_dword v71, off, s[0:3], 0 offset:164
	;; [unrolled: 1-line block ×16, first 2 shown]
	v_cmp_lt_u32_e32 vcc, 19, v0
	s_waitcnt vmcnt(12) lgkmcnt(0)
	v_mul_f32_e32 v6, v2, v95
	v_fmac_f32_e32 v6, v3, v72
	s_waitcnt vmcnt(10)
	v_mul_f32_e32 v7, v4, v97
	v_add_f32_e32 v6, 0, v6
	v_fmac_f32_e32 v7, v5, v74
	v_add_f32_e32 v10, v6, v7
	ds_read2_b64 v[6:9], v94 offset0:85 offset1:86
	v_mul_f32_e32 v3, v3, v95
	v_fma_f32 v2, v2, v72, -v3
	v_mul_f32_e32 v3, v5, v97
	v_add_f32_e32 v2, 0, v2
	s_waitcnt vmcnt(8) lgkmcnt(0)
	v_mul_f32_e32 v11, v6, v99
	v_fmac_f32_e32 v11, v7, v78
	v_add_f32_e32 v10, v10, v11
	s_waitcnt vmcnt(6)
	v_mul_f32_e32 v11, v8, v101
	v_fmac_f32_e32 v11, v9, v96
	v_add_f32_e32 v14, v10, v11
	ds_read2_b64 v[10:13], v94 offset0:87 offset1:88
	v_fma_f32 v3, v4, v74, -v3
	v_add_f32_e32 v2, v2, v3
	v_mul_f32_e32 v3, v7, v99
	v_fma_f32 v3, v6, v78, -v3
	s_waitcnt vmcnt(4) lgkmcnt(0)
	v_mul_f32_e32 v15, v10, v103
	v_fmac_f32_e32 v15, v11, v98
	v_add_f32_e32 v14, v14, v15
	s_waitcnt vmcnt(2)
	v_mul_f32_e32 v15, v12, v104
	v_fmac_f32_e32 v15, v13, v100
	v_add_f32_e32 v18, v14, v15
	ds_read2_b64 v[14:17], v94 offset0:89 offset1:90
	buffer_load_dword v106, off, s[0:3], 0 offset:224
	buffer_load_dword v107, off, s[0:3], 0 offset:228
	v_add_f32_e32 v2, v2, v3
	v_mul_f32_e32 v3, v9, v101
	v_fma_f32 v3, v8, v96, -v3
	s_waitcnt vmcnt(2) lgkmcnt(0)
	v_mul_f32_e32 v19, v14, v105
	v_fmac_f32_e32 v19, v15, v102
	v_add_f32_e32 v18, v18, v19
	v_add_f32_e32 v2, v2, v3
	v_mul_f32_e32 v3, v11, v103
	v_fma_f32 v3, v10, v98, -v3
	v_add_f32_e32 v2, v2, v3
	v_mul_f32_e32 v3, v13, v104
	v_fma_f32 v3, v12, v100, -v3
	;; [unrolled: 3-line block ×3, first 2 shown]
	v_add_f32_e32 v2, v2, v3
	s_waitcnt vmcnt(0)
	v_mul_f32_e32 v19, v16, v107
	v_fmac_f32_e32 v19, v17, v106
	v_add_f32_e32 v22, v18, v19
	ds_read2_b64 v[18:21], v94 offset0:91 offset1:92
	buffer_load_dword v110, off, s[0:3], 0 offset:232
	buffer_load_dword v111, off, s[0:3], 0 offset:236
	buffer_load_dword v112, off, s[0:3], 0 offset:240
	buffer_load_dword v113, off, s[0:3], 0 offset:244
	ds_read2_b64 v[26:29], v94 offset0:93 offset1:94
	buffer_load_dword v114, off, s[0:3], 0 offset:248
	buffer_load_dword v115, off, s[0:3], 0 offset:252
	buffer_load_dword v116, off, s[0:3], 0 offset:256
	buffer_load_dword v117, off, s[0:3], 0 offset:260
	;; [unrolled: 5-line block ×12, first 2 shown]
	v_mul_f32_e32 v3, v17, v107
	v_fma_f32 v3, v16, v106, -v3
	v_add_f32_e32 v2, v2, v3
	s_waitcnt vmcnt(46) lgkmcnt(11)
	v_mul_f32_e32 v23, v18, v111
	v_fmac_f32_e32 v23, v19, v110
	v_add_f32_e32 v22, v22, v23
	s_waitcnt vmcnt(44)
	v_mul_f32_e32 v23, v20, v113
	v_fmac_f32_e32 v23, v21, v112
	v_add_f32_e32 v22, v22, v23
	s_waitcnt vmcnt(42) lgkmcnt(10)
	v_mul_f32_e32 v23, v26, v115
	v_fmac_f32_e32 v23, v27, v114
	v_add_f32_e32 v22, v22, v23
	s_waitcnt vmcnt(40)
	v_mul_f32_e32 v23, v28, v117
	v_fmac_f32_e32 v23, v29, v116
	;; [unrolled: 8-line block ×11, first 2 shown]
	v_add_f32_e32 v22, v22, v23
	s_waitcnt vmcnt(2) lgkmcnt(0)
	v_mul_f32_e32 v23, v66, v155
	v_fmac_f32_e32 v23, v67, v154
	v_add_f32_e32 v73, v22, v23
	ds_read2_b64 v[22:25], v94 offset0:115 offset1:116
	buffer_load_dword v158, off, s[0:3], 0 offset:424
	buffer_load_dword v159, off, s[0:3], 0 offset:428
	;; [unrolled: 1-line block ×18, first 2 shown]
	v_mul_f32_e32 v3, v19, v111
	v_fma_f32 v3, v18, v110, -v3
	v_add_f32_e32 v2, v2, v3
	v_mul_f32_e32 v3, v21, v113
	v_fma_f32 v3, v20, v112, -v3
	v_add_f32_e32 v2, v2, v3
	;; [unrolled: 3-line block ×23, first 2 shown]
	s_waitcnt vmcnt(18)
	v_mul_f32_e32 v2, v69, v157
	s_waitcnt vmcnt(15)
	v_mov_b32_e32 v18, v77
	v_mul_f32_e32 v75, v68, v157
	v_fma_f32 v74, v68, v156, -v2
	s_waitcnt lgkmcnt(0)
	v_pk_mul_f32 v[18:19], v[24:25], v[18:19] op_sel_hi:[1,0]
	v_fmac_f32_e32 v75, v69, v156
	s_waitcnt vmcnt(14)
	v_pk_fma_f32 v[20:21], v[24:25], v[76:77], v[18:19] op_sel:[0,0,1] op_sel_hi:[1,1,0] neg_lo:[0,0,1] neg_hi:[0,0,1]
	v_pk_fma_f32 v[18:19], v[24:25], v[76:77], v[18:19] op_sel:[0,0,1] op_sel_hi:[1,0,0]
	v_pk_add_f32 v[16:17], v[72:73], v[74:75]
	v_mul_f32_e32 v2, v23, v159
	v_mul_f32_e32 v79, v22, v159
	v_fma_f32 v78, v22, v158, -v2
	ds_read2_b64 v[2:5], v94 offset0:117 offset1:118
	ds_read2_b64 v[6:9], v94 offset0:119 offset1:120
	ds_read2_b64 v[10:13], v94 offset0:121 offset1:122
	ds_read_b64 v[14:15], v94 offset:984
	v_fmac_f32_e32 v79, v23, v158
	s_waitcnt vmcnt(13)
	v_mov_b32_e32 v18, v93
	v_pk_add_f32 v[16:17], v[16:17], v[78:79]
	v_mov_b32_e32 v21, v19
	s_waitcnt lgkmcnt(3)
	v_pk_mul_f32 v[18:19], v[2:3], v[18:19] op_sel_hi:[1,0]
	v_pk_add_f32 v[16:17], v[16:17], v[20:21]
	s_waitcnt vmcnt(12)
	v_pk_fma_f32 v[20:21], v[2:3], v[92:93], v[18:19] op_sel:[0,0,1] op_sel_hi:[1,1,0] neg_lo:[0,0,1] neg_hi:[0,0,1]
	v_pk_fma_f32 v[2:3], v[2:3], v[92:93], v[18:19] op_sel:[0,0,1] op_sel_hi:[1,0,0]
	v_mov_b32_e32 v21, v3
	v_pk_add_f32 v[2:3], v[16:17], v[20:21]
	s_waitcnt vmcnt(11)
	v_mov_b32_e32 v16, v91
	v_pk_mul_f32 v[16:17], v[4:5], v[16:17] op_sel_hi:[1,0]
	s_waitcnt vmcnt(10)
	v_pk_fma_f32 v[18:19], v[4:5], v[90:91], v[16:17] op_sel:[0,0,1] op_sel_hi:[1,1,0] neg_lo:[0,0,1] neg_hi:[0,0,1]
	v_pk_fma_f32 v[4:5], v[4:5], v[90:91], v[16:17] op_sel:[0,0,1] op_sel_hi:[1,0,0]
	s_waitcnt vmcnt(9)
	v_mov_b32_e32 v4, v89
	v_mov_b32_e32 v19, v5
	s_waitcnt lgkmcnt(2)
	v_pk_mul_f32 v[4:5], v[6:7], v[4:5] op_sel_hi:[1,0]
	s_waitcnt vmcnt(8)
	v_pk_fma_f32 v[16:17], v[6:7], v[88:89], v[4:5] op_sel:[0,0,1] op_sel_hi:[1,1,0] neg_lo:[0,0,1] neg_hi:[0,0,1]
	v_pk_fma_f32 v[4:5], v[6:7], v[88:89], v[4:5] op_sel:[0,0,1] op_sel_hi:[1,0,0]
	s_waitcnt vmcnt(7)
	v_mov_b32_e32 v4, v87
	v_mov_b32_e32 v17, v5
	v_pk_mul_f32 v[4:5], v[8:9], v[4:5] op_sel_hi:[1,0]
	s_waitcnt vmcnt(6)
	v_pk_fma_f32 v[6:7], v[8:9], v[86:87], v[4:5] op_sel:[0,0,1] op_sel_hi:[1,1,0] neg_lo:[0,0,1] neg_hi:[0,0,1]
	v_pk_fma_f32 v[4:5], v[8:9], v[86:87], v[4:5] op_sel:[0,0,1] op_sel_hi:[1,0,0]
	v_pk_add_f32 v[2:3], v[2:3], v[18:19]
	s_waitcnt vmcnt(5)
	v_mov_b32_e32 v4, v85
	v_pk_add_f32 v[2:3], v[2:3], v[16:17]
	v_mov_b32_e32 v7, v5
	s_waitcnt lgkmcnt(1)
	v_pk_mul_f32 v[4:5], v[10:11], v[4:5] op_sel_hi:[1,0]
	v_pk_add_f32 v[2:3], v[2:3], v[6:7]
	s_waitcnt vmcnt(4)
	v_pk_fma_f32 v[6:7], v[10:11], v[84:85], v[4:5] op_sel:[0,0,1] op_sel_hi:[1,1,0] neg_lo:[0,0,1] neg_hi:[0,0,1]
	v_pk_fma_f32 v[4:5], v[10:11], v[84:85], v[4:5] op_sel:[0,0,1] op_sel_hi:[1,0,0]
	s_waitcnt vmcnt(3)
	v_mov_b32_e32 v4, v83
	v_mov_b32_e32 v7, v5
	v_pk_mul_f32 v[4:5], v[12:13], v[4:5] op_sel_hi:[1,0]
	v_pk_add_f32 v[2:3], v[2:3], v[6:7]
	s_waitcnt vmcnt(2)
	v_pk_fma_f32 v[6:7], v[12:13], v[82:83], v[4:5] op_sel:[0,0,1] op_sel_hi:[1,1,0] neg_lo:[0,0,1] neg_hi:[0,0,1]
	v_pk_fma_f32 v[4:5], v[12:13], v[82:83], v[4:5] op_sel:[0,0,1] op_sel_hi:[1,0,0]
	s_waitcnt vmcnt(1)
	v_mov_b32_e32 v4, v81
	v_mov_b32_e32 v7, v5
	s_waitcnt lgkmcnt(0)
	v_pk_mul_f32 v[4:5], v[14:15], v[4:5] op_sel_hi:[1,0]
	v_pk_add_f32 v[2:3], v[2:3], v[6:7]
	s_waitcnt vmcnt(0)
	v_pk_fma_f32 v[6:7], v[14:15], v[80:81], v[4:5] op_sel:[0,0,1] op_sel_hi:[1,1,0] neg_lo:[0,0,1] neg_hi:[0,0,1]
	v_pk_fma_f32 v[4:5], v[14:15], v[80:81], v[4:5] op_sel:[0,0,1] op_sel_hi:[1,0,0]
	v_mov_b32_e32 v7, v5
	v_pk_add_f32 v[2:3], v[2:3], v[6:7]
	v_pk_add_f32 v[2:3], v[70:71], v[2:3] neg_lo:[0,1] neg_hi:[0,1]
	buffer_store_dword v3, off, s[0:3], 0 offset:164
	buffer_store_dword v2, off, s[0:3], 0 offset:160
	s_and_saveexec_b64 s[4:5], vcc
	s_cbranch_execz .LBB61_347
; %bb.346:
	buffer_load_dword v2, off, s[0:3], 0 offset:152
	buffer_load_dword v3, off, s[0:3], 0 offset:156
	s_waitcnt vmcnt(0)
	ds_write_b64 v210, v[2:3]
	buffer_store_dword v94, off, s[0:3], 0 offset:152
	buffer_store_dword v94, off, s[0:3], 0 offset:156
.LBB61_347:
	s_or_b64 exec, exec, s[4:5]
	s_waitcnt lgkmcnt(0)
	; wave barrier
	s_waitcnt lgkmcnt(0)
	buffer_load_dword v78, off, s[0:3], 0 offset:164
	buffer_load_dword v80, off, s[0:3], 0 offset:172
	;; [unrolled: 1-line block ×24, first 2 shown]
	ds_read_b128 v[22:25], v94 offset:656
	ds_read_b128 v[18:21], v94 offset:672
	;; [unrolled: 1-line block ×4, first 2 shown]
	buffer_load_dword v120, off, s[0:3], 0 offset:248
	buffer_load_dword v121, off, s[0:3], 0 offset:252
	ds_read_b128 v[10:13], v94 offset:720
	ds_read_b128 v[2:5], v94 offset:736
	buffer_load_dword v122, off, s[0:3], 0 offset:256
	buffer_load_dword v123, off, s[0:3], 0 offset:260
	;; [unrolled: 1-line block ×44, first 2 shown]
	v_cmp_lt_u32_e32 vcc, 18, v0
	s_waitcnt vmcnt(62) lgkmcnt(5)
	v_mul_f32_e32 v28, v22, v78
	v_mul_f32_e32 v29, v24, v80
	s_waitcnt lgkmcnt(4)
	v_mul_f32_e32 v31, v20, v82
	s_waitcnt lgkmcnt(3)
	v_mul_f32_e32 v32, v14, v95
	v_mul_f32_e32 v33, v16, v100
	;; [unrolled: 1-line block ×3, first 2 shown]
	s_waitcnt lgkmcnt(2)
	v_mul_f32_e32 v34, v6, v102
	v_mul_f32_e32 v35, v8, v103
	s_waitcnt vmcnt(61)
	v_fmac_f32_e32 v30, v19, v104
	s_waitcnt vmcnt(60)
	v_fmac_f32_e32 v29, v25, v105
	;; [unrolled: 2-line block ×3, first 2 shown]
	v_add_f32_e32 v28, 0, v28
	v_add_f32_e32 v28, v28, v29
	;; [unrolled: 1-line block ×3, first 2 shown]
	s_waitcnt vmcnt(55)
	v_fmac_f32_e32 v31, v21, v112
	v_fmac_f32_e32 v32, v15, v111
	v_add_f32_e32 v28, v28, v31
	v_fmac_f32_e32 v33, v17, v110
	v_add_f32_e32 v28, v28, v32
	;; [unrolled: 2-line block ×3, first 2 shown]
	s_waitcnt vmcnt(51)
	v_fmac_f32_e32 v35, v9, v116
	v_add_f32_e32 v28, v28, v34
	s_waitcnt vmcnt(50) lgkmcnt(1)
	v_mul_f32_e32 v29, v10, v117
	v_add_f32_e32 v28, v28, v35
	v_fmac_f32_e32 v29, v11, v115
	v_add_f32_e32 v28, v28, v29
	s_waitcnt vmcnt(49)
	v_mul_f32_e32 v29, v12, v118
	v_fmac_f32_e32 v29, v13, v114
	v_add_f32_e32 v28, v28, v29
	s_waitcnt vmcnt(48) lgkmcnt(0)
	v_mul_f32_e32 v29, v2, v119
	v_fmac_f32_e32 v29, v3, v113
	v_add_f32_e32 v32, v28, v29
	ds_read_b128 v[28:31], v94 offset:752
	s_waitcnt vmcnt(44)
	v_mul_f32_e32 v33, v4, v121
	v_fmac_f32_e32 v33, v5, v120
	v_add_f32_e32 v36, v32, v33
	ds_read_b128 v[32:35], v94 offset:768
	s_waitcnt vmcnt(42) lgkmcnt(1)
	v_mul_f32_e32 v37, v28, v123
	v_fmac_f32_e32 v37, v29, v122
	v_add_f32_e32 v36, v36, v37
	s_waitcnt vmcnt(40)
	v_mul_f32_e32 v37, v30, v125
	v_fmac_f32_e32 v37, v31, v124
	v_add_f32_e32 v36, v36, v37
	s_waitcnt vmcnt(38) lgkmcnt(0)
	v_mul_f32_e32 v37, v32, v127
	v_fmac_f32_e32 v37, v33, v126
	v_add_f32_e32 v40, v36, v37
	ds_read_b128 v[36:39], v94 offset:784
	s_waitcnt vmcnt(36)
	v_mul_f32_e32 v41, v34, v129
	v_fmac_f32_e32 v41, v35, v128
	v_add_f32_e32 v44, v40, v41
	ds_read_b128 v[40:43], v94 offset:800
	s_waitcnt vmcnt(34) lgkmcnt(1)
	v_mul_f32_e32 v45, v36, v131
	;; [unrolled: 18-line block ×4, first 2 shown]
	v_fmac_f32_e32 v61, v53, v146
	v_add_f32_e32 v60, v60, v61
	s_waitcnt vmcnt(16)
	v_mul_f32_e32 v61, v54, v149
	v_fmac_f32_e32 v61, v55, v148
	v_add_f32_e32 v60, v60, v61
	s_waitcnt vmcnt(14) lgkmcnt(0)
	v_mul_f32_e32 v61, v56, v151
	v_fmac_f32_e32 v61, v57, v150
	v_add_f32_e32 v64, v60, v61
	ds_read_b128 v[60:63], v94 offset:880
	s_waitcnt vmcnt(12)
	v_mul_f32_e32 v65, v58, v153
	v_fmac_f32_e32 v65, v59, v152
	v_add_f32_e32 v68, v64, v65
	ds_read_b128 v[64:67], v94 offset:896
	buffer_load_dword v77, off, s[0:3], 0 offset:436
	buffer_load_dword v76, off, s[0:3], 0 offset:432
	s_waitcnt vmcnt(12) lgkmcnt(1)
	v_mul_f32_e32 v69, v60, v155
	v_fmac_f32_e32 v69, v61, v154
	v_add_f32_e32 v68, v68, v69
	s_waitcnt vmcnt(10)
	v_mul_f32_e32 v69, v62, v157
	v_fmac_f32_e32 v69, v63, v156
	v_add_f32_e32 v68, v68, v69
	s_waitcnt vmcnt(8) lgkmcnt(0)
	v_mul_f32_e32 v69, v64, v159
	v_fmac_f32_e32 v69, v65, v158
	s_waitcnt vmcnt(6)
	v_mul_f32_e32 v73, v66, v161
	v_add_f32_e32 v72, v68, v69
	v_fmac_f32_e32 v73, v67, v160
	ds_read_b128 v[68:71], v94 offset:912
	v_add_f32_e32 v79, v72, v73
	ds_read_b128 v[72:75], v94 offset:928
	buffer_load_dword v85, off, s[0:3], 0 offset:468
	buffer_load_dword v84, off, s[0:3], 0 offset:464
	;; [unrolled: 1-line block ×14, first 2 shown]
	v_mul_f32_e32 v23, v23, v78
	v_fma_f32 v22, v22, v106, -v23
	v_mul_f32_e32 v23, v25, v80
	v_add_f32_e32 v22, 0, v22
	v_fma_f32 v23, v24, v105, -v23
	v_mul_f32_e32 v19, v19, v101
	v_add_f32_e32 v22, v22, v23
	;; [unrolled: 3-line block ×7, first 2 shown]
	v_fma_f32 v7, v8, v116, -v7
	v_add_f32_e32 v6, v6, v7
	v_mul_f32_e32 v7, v11, v117
	v_fma_f32 v7, v10, v115, -v7
	v_add_f32_e32 v6, v6, v7
	v_mul_f32_e32 v7, v13, v118
	v_fma_f32 v7, v12, v114, -v7
	v_mul_f32_e32 v3, v3, v119
	v_add_f32_e32 v6, v6, v7
	v_fma_f32 v2, v2, v113, -v3
	v_mul_f32_e32 v3, v5, v121
	v_add_f32_e32 v2, v6, v2
	v_fma_f32 v3, v4, v120, -v3
	v_add_f32_e32 v2, v2, v3
	v_mul_f32_e32 v3, v29, v123
	v_fma_f32 v3, v28, v122, -v3
	v_add_f32_e32 v2, v2, v3
	v_mul_f32_e32 v3, v31, v125
	;; [unrolled: 3-line block ×20, first 2 shown]
	v_fma_f32 v3, v66, v160, -v3
	s_waitcnt vmcnt(15)
	v_mov_b32_e32 v16, v77
	s_waitcnt lgkmcnt(1)
	v_mul_f32_e32 v81, v68, v163
	v_add_f32_e32 v78, v2, v3
	v_mul_f32_e32 v2, v69, v163
	s_waitcnt lgkmcnt(0)
	v_pk_mul_f32 v[16:17], v[72:73], v[16:17] op_sel_hi:[1,0]
	v_fmac_f32_e32 v81, v69, v162
	v_mul_f32_e32 v83, v70, v165
	v_fma_f32 v80, v68, v162, -v2
	v_mul_f32_e32 v2, v71, v165
	s_waitcnt vmcnt(14)
	v_pk_fma_f32 v[18:19], v[72:73], v[76:77], v[16:17] op_sel:[0,0,1] op_sel_hi:[1,1,0] neg_lo:[0,0,1] neg_hi:[0,0,1]
	v_pk_fma_f32 v[16:17], v[72:73], v[76:77], v[16:17] op_sel:[0,0,1] op_sel_hi:[1,0,0]
	v_fmac_f32_e32 v83, v71, v164
	v_fma_f32 v82, v70, v164, -v2
	v_pk_add_f32 v[14:15], v[78:79], v[80:81]
	s_waitcnt vmcnt(7)
	v_mov_b32_e32 v16, v91
	ds_read_b128 v[2:5], v94 offset:944
	ds_read_b128 v[6:9], v94 offset:960
	;; [unrolled: 1-line block ×3, first 2 shown]
	v_pk_add_f32 v[14:15], v[14:15], v[82:83]
	v_mov_b32_e32 v19, v17
	v_pk_mul_f32 v[16:17], v[74:75], v[16:17] op_sel_hi:[1,0]
	v_pk_add_f32 v[14:15], v[14:15], v[18:19]
	s_waitcnt vmcnt(6)
	v_pk_fma_f32 v[18:19], v[74:75], v[90:91], v[16:17] op_sel:[0,0,1] op_sel_hi:[1,1,0] neg_lo:[0,0,1] neg_hi:[0,0,1]
	v_pk_fma_f32 v[16:17], v[74:75], v[90:91], v[16:17] op_sel:[0,0,1] op_sel_hi:[1,0,0]
	v_mov_b32_e32 v16, v89
	v_mov_b32_e32 v19, v17
	s_waitcnt lgkmcnt(2)
	v_pk_mul_f32 v[16:17], v[2:3], v[16:17] op_sel_hi:[1,0]
	v_pk_add_f32 v[14:15], v[14:15], v[18:19]
	v_pk_fma_f32 v[18:19], v[2:3], v[88:89], v[16:17] op_sel:[0,0,1] op_sel_hi:[1,1,0] neg_lo:[0,0,1] neg_hi:[0,0,1]
	v_pk_fma_f32 v[2:3], v[2:3], v[88:89], v[16:17] op_sel:[0,0,1] op_sel_hi:[1,0,0]
	v_mov_b32_e32 v19, v3
	v_pk_add_f32 v[2:3], v[14:15], v[18:19]
	v_mov_b32_e32 v14, v87
	v_pk_mul_f32 v[14:15], v[4:5], v[14:15] op_sel_hi:[1,0]
	v_pk_fma_f32 v[16:17], v[4:5], v[86:87], v[14:15] op_sel:[0,0,1] op_sel_hi:[1,1,0] neg_lo:[0,0,1] neg_hi:[0,0,1]
	v_pk_fma_f32 v[4:5], v[4:5], v[86:87], v[14:15] op_sel:[0,0,1] op_sel_hi:[1,0,0]
	v_mov_b32_e32 v4, v85
	v_mov_b32_e32 v17, v5
	s_waitcnt lgkmcnt(1)
	v_pk_mul_f32 v[4:5], v[6:7], v[4:5] op_sel_hi:[1,0]
	v_pk_fma_f32 v[14:15], v[6:7], v[84:85], v[4:5] op_sel:[0,0,1] op_sel_hi:[1,1,0] neg_lo:[0,0,1] neg_hi:[0,0,1]
	v_pk_fma_f32 v[4:5], v[6:7], v[84:85], v[4:5] op_sel:[0,0,1] op_sel_hi:[1,0,0]
	s_waitcnt vmcnt(1)
	v_mov_b32_e32 v4, v99
	v_mov_b32_e32 v15, v5
	v_pk_mul_f32 v[4:5], v[8:9], v[4:5] op_sel_hi:[1,0]
	s_waitcnt vmcnt(0)
	v_pk_fma_f32 v[6:7], v[8:9], v[98:99], v[4:5] op_sel:[0,0,1] op_sel_hi:[1,1,0] neg_lo:[0,0,1] neg_hi:[0,0,1]
	v_pk_fma_f32 v[4:5], v[8:9], v[98:99], v[4:5] op_sel:[0,0,1] op_sel_hi:[1,0,0]
	v_pk_add_f32 v[2:3], v[2:3], v[16:17]
	v_mov_b32_e32 v4, v97
	v_pk_add_f32 v[2:3], v[2:3], v[14:15]
	v_mov_b32_e32 v7, v5
	s_waitcnt lgkmcnt(0)
	v_pk_mul_f32 v[4:5], v[10:11], v[4:5] op_sel_hi:[1,0]
	v_pk_add_f32 v[2:3], v[2:3], v[6:7]
	v_pk_fma_f32 v[6:7], v[10:11], v[96:97], v[4:5] op_sel:[0,0,1] op_sel_hi:[1,1,0] neg_lo:[0,0,1] neg_hi:[0,0,1]
	v_pk_fma_f32 v[4:5], v[10:11], v[96:97], v[4:5] op_sel:[0,0,1] op_sel_hi:[1,0,0]
	v_mov_b32_e32 v4, v93
	v_mov_b32_e32 v7, v5
	v_pk_mul_f32 v[4:5], v[12:13], v[4:5] op_sel_hi:[1,0]
	v_pk_add_f32 v[2:3], v[2:3], v[6:7]
	v_pk_fma_f32 v[6:7], v[12:13], v[92:93], v[4:5] op_sel:[0,0,1] op_sel_hi:[1,1,0] neg_lo:[0,0,1] neg_hi:[0,0,1]
	v_pk_fma_f32 v[4:5], v[12:13], v[92:93], v[4:5] op_sel:[0,0,1] op_sel_hi:[1,0,0]
	v_mov_b32_e32 v7, v5
	v_pk_add_f32 v[2:3], v[2:3], v[6:7]
	v_pk_add_f32 v[2:3], v[26:27], v[2:3] neg_lo:[0,1] neg_hi:[0,1]
	buffer_store_dword v3, off, s[0:3], 0 offset:156
	buffer_store_dword v2, off, s[0:3], 0 offset:152
	s_and_saveexec_b64 s[4:5], vcc
	s_cbranch_execz .LBB61_349
; %bb.348:
	buffer_load_dword v2, off, s[0:3], 0 offset:144
	buffer_load_dword v3, off, s[0:3], 0 offset:148
	v_mov_b32_e32 v4, 0
	buffer_store_dword v4, off, s[0:3], 0 offset:144
	buffer_store_dword v4, off, s[0:3], 0 offset:148
	s_waitcnt vmcnt(2)
	ds_write_b64 v210, v[2:3]
.LBB61_349:
	s_or_b64 exec, exec, s[4:5]
	s_waitcnt lgkmcnt(0)
	; wave barrier
	s_waitcnt lgkmcnt(0)
	buffer_load_dword v29, off, s[0:3], 0 offset:156
	buffer_load_dword v78, off, s[0:3], 0 offset:164
	;; [unrolled: 1-line block ×56, first 2 shown]
	v_mov_b32_e32 v28, 0
	ds_read2_b64 v[4:7], v28 offset0:81 offset1:82
	ds_read2_b64 v[8:11], v28 offset0:83 offset1:84
	;; [unrolled: 1-line block ×6, first 2 shown]
	buffer_load_dword v152, off, s[0:3], 0 offset:368
	buffer_load_dword v153, off, s[0:3], 0 offset:372
	;; [unrolled: 1-line block ×16, first 2 shown]
	v_cmp_lt_u32_e32 vcc, 17, v0
	s_waitcnt vmcnt(62) lgkmcnt(5)
	v_mul_f32_e32 v30, v4, v29
	v_mul_f32_e32 v31, v6, v78
	s_waitcnt lgkmcnt(4)
	v_mul_f32_e32 v33, v10, v80
	s_waitcnt lgkmcnt(3)
	v_mul_f32_e32 v34, v12, v82
	v_mul_f32_e32 v35, v14, v100
	;; [unrolled: 1-line block ×3, first 2 shown]
	s_waitcnt lgkmcnt(2)
	v_mul_f32_e32 v36, v16, v102
	v_mul_f32_e32 v37, v18, v103
	s_waitcnt lgkmcnt(1)
	v_mul_f32_e32 v38, v20, v104
	v_fmac_f32_e32 v32, v9, v105
	s_waitcnt vmcnt(61)
	v_fmac_f32_e32 v31, v7, v106
	s_waitcnt vmcnt(60)
	v_fmac_f32_e32 v30, v5, v107
	v_add_f32_e32 v30, 0, v30
	v_add_f32_e32 v30, v30, v31
	;; [unrolled: 1-line block ×3, first 2 shown]
	s_waitcnt vmcnt(56)
	v_fmac_f32_e32 v33, v11, v113
	v_fmac_f32_e32 v34, v13, v112
	v_add_f32_e32 v30, v30, v33
	v_fmac_f32_e32 v35, v15, v111
	v_add_f32_e32 v30, v30, v34
	v_fmac_f32_e32 v36, v17, v110
	v_add_f32_e32 v30, v30, v35
	s_waitcnt vmcnt(52)
	v_fmac_f32_e32 v37, v19, v117
	v_add_f32_e32 v30, v30, v36
	v_add_f32_e32 v30, v30, v37
	v_fmac_f32_e32 v38, v21, v116
	s_waitcnt vmcnt(51)
	v_mul_f32_e32 v31, v22, v118
	v_add_f32_e32 v30, v30, v38
	v_fmac_f32_e32 v31, v23, v115
	v_add_f32_e32 v30, v30, v31
	s_waitcnt vmcnt(50) lgkmcnt(0)
	v_mul_f32_e32 v31, v24, v119
	v_fmac_f32_e32 v31, v25, v114
	v_add_f32_e32 v34, v30, v31
	ds_read2_b64 v[30:33], v28 offset0:93 offset1:94
	s_waitcnt vmcnt(46)
	v_mul_f32_e32 v35, v26, v121
	v_fmac_f32_e32 v35, v27, v120
	v_add_f32_e32 v38, v34, v35
	ds_read2_b64 v[34:37], v28 offset0:95 offset1:96
	s_waitcnt vmcnt(44) lgkmcnt(1)
	v_mul_f32_e32 v39, v30, v123
	v_fmac_f32_e32 v39, v31, v122
	v_add_f32_e32 v38, v38, v39
	s_waitcnt vmcnt(42)
	v_mul_f32_e32 v39, v32, v125
	v_fmac_f32_e32 v39, v33, v124
	v_add_f32_e32 v38, v38, v39
	s_waitcnt vmcnt(40) lgkmcnt(0)
	v_mul_f32_e32 v39, v34, v127
	v_fmac_f32_e32 v39, v35, v126
	v_add_f32_e32 v42, v38, v39
	ds_read2_b64 v[38:41], v28 offset0:97 offset1:98
	s_waitcnt vmcnt(38)
	v_mul_f32_e32 v43, v36, v129
	v_fmac_f32_e32 v43, v37, v128
	v_add_f32_e32 v46, v42, v43
	ds_read2_b64 v[42:45], v28 offset0:99 offset1:100
	s_waitcnt vmcnt(36) lgkmcnt(1)
	v_mul_f32_e32 v47, v38, v131
	v_fmac_f32_e32 v47, v39, v130
	v_add_f32_e32 v46, v46, v47
	s_waitcnt vmcnt(34)
	v_mul_f32_e32 v47, v40, v133
	;; [unrolled: 18-line block ×5, first 2 shown]
	v_fmac_f32_e32 v71, v65, v156
	v_add_f32_e32 v70, v70, v71
	s_waitcnt vmcnt(8) lgkmcnt(0)
	v_mul_f32_e32 v71, v66, v159
	v_fmac_f32_e32 v71, v67, v158
	s_waitcnt vmcnt(6)
	v_mul_f32_e32 v75, v68, v161
	v_add_f32_e32 v74, v70, v71
	v_fmac_f32_e32 v75, v69, v160
	ds_read2_b64 v[70:73], v28 offset0:113 offset1:114
	v_add_f32_e32 v79, v74, v75
	ds_read2_b64 v[74:77], v28 offset0:115 offset1:116
	buffer_load_dword v85, off, s[0:3], 0 offset:460
	buffer_load_dword v84, off, s[0:3], 0 offset:456
	;; [unrolled: 1-line block ×16, first 2 shown]
	v_mul_f32_e32 v5, v5, v29
	v_fma_f32 v4, v4, v107, -v5
	v_mul_f32_e32 v5, v7, v78
	v_add_f32_e32 v4, 0, v4
	v_fma_f32 v5, v6, v106, -v5
	v_add_f32_e32 v4, v4, v5
	v_mul_f32_e32 v5, v9, v101
	v_fma_f32 v5, v8, v105, -v5
	v_add_f32_e32 v4, v4, v5
	v_mul_f32_e32 v5, v11, v80
	;; [unrolled: 3-line block ×30, first 2 shown]
	v_fma_f32 v5, v68, v160, -v5
	v_add_f32_e32 v4, v4, v5
	s_waitcnt vmcnt(20) lgkmcnt(1)
	v_mul_f32_e32 v5, v71, v163
	v_mul_f32_e32 v81, v70, v163
	v_fma_f32 v5, v70, v162, -v5
	v_fmac_f32_e32 v81, v71, v162
	v_add_f32_e32 v78, v4, v5
	s_waitcnt vmcnt(18)
	v_mul_f32_e32 v4, v73, v165
	s_waitcnt vmcnt(9)
	v_mov_b32_e32 v20, v91
	v_add_f32_e32 v79, v79, v81
	v_mul_f32_e32 v81, v72, v165
	v_fma_f32 v80, v72, v164, -v4
	s_waitcnt lgkmcnt(0)
	v_mul_f32_e32 v4, v75, v167
	v_pk_mul_f32 v[20:21], v[76:77], v[20:21] op_sel_hi:[1,0]
	v_fmac_f32_e32 v81, v73, v164
	v_mul_f32_e32 v83, v74, v167
	v_fma_f32 v82, v74, v166, -v4
	ds_read2_b64 v[4:7], v28 offset0:117 offset1:118
	ds_read2_b64 v[8:11], v28 offset0:119 offset1:120
	;; [unrolled: 1-line block ×3, first 2 shown]
	ds_read_b64 v[16:17], v28 offset:984
	s_waitcnt vmcnt(8)
	v_pk_fma_f32 v[22:23], v[76:77], v[90:91], v[20:21] op_sel:[0,0,1] op_sel_hi:[1,1,0] neg_lo:[0,0,1] neg_hi:[0,0,1]
	v_pk_fma_f32 v[20:21], v[76:77], v[90:91], v[20:21] op_sel:[0,0,1] op_sel_hi:[1,0,0]
	v_fmac_f32_e32 v83, v75, v166
	v_pk_add_f32 v[18:19], v[78:79], v[80:81]
	v_mov_b32_e32 v20, v89
	v_pk_add_f32 v[18:19], v[18:19], v[82:83]
	v_mov_b32_e32 v23, v21
	s_waitcnt lgkmcnt(3)
	v_pk_mul_f32 v[20:21], v[4:5], v[20:21] op_sel_hi:[1,0]
	v_pk_add_f32 v[18:19], v[18:19], v[22:23]
	v_pk_fma_f32 v[22:23], v[4:5], v[88:89], v[20:21] op_sel:[0,0,1] op_sel_hi:[1,1,0] neg_lo:[0,0,1] neg_hi:[0,0,1]
	v_pk_fma_f32 v[4:5], v[4:5], v[88:89], v[20:21] op_sel:[0,0,1] op_sel_hi:[1,0,0]
	v_mov_b32_e32 v23, v5
	v_pk_add_f32 v[4:5], v[18:19], v[22:23]
	v_mov_b32_e32 v18, v87
	v_pk_mul_f32 v[18:19], v[6:7], v[18:19] op_sel_hi:[1,0]
	v_pk_fma_f32 v[20:21], v[6:7], v[86:87], v[18:19] op_sel:[0,0,1] op_sel_hi:[1,1,0] neg_lo:[0,0,1] neg_hi:[0,0,1]
	v_pk_fma_f32 v[6:7], v[6:7], v[86:87], v[18:19] op_sel:[0,0,1] op_sel_hi:[1,0,0]
	v_mov_b32_e32 v6, v85
	v_mov_b32_e32 v21, v7
	s_waitcnt lgkmcnt(2)
	v_pk_mul_f32 v[6:7], v[8:9], v[6:7] op_sel_hi:[1,0]
	v_pk_fma_f32 v[18:19], v[8:9], v[84:85], v[6:7] op_sel:[0,0,1] op_sel_hi:[1,1,0] neg_lo:[0,0,1] neg_hi:[0,0,1]
	v_pk_fma_f32 v[6:7], v[8:9], v[84:85], v[6:7] op_sel:[0,0,1] op_sel_hi:[1,0,0]
	s_waitcnt vmcnt(1)
	v_mov_b32_e32 v6, v99
	v_mov_b32_e32 v19, v7
	v_pk_mul_f32 v[6:7], v[10:11], v[6:7] op_sel_hi:[1,0]
	s_waitcnt vmcnt(0)
	v_pk_fma_f32 v[8:9], v[10:11], v[98:99], v[6:7] op_sel:[0,0,1] op_sel_hi:[1,1,0] neg_lo:[0,0,1] neg_hi:[0,0,1]
	v_pk_fma_f32 v[6:7], v[10:11], v[98:99], v[6:7] op_sel:[0,0,1] op_sel_hi:[1,0,0]
	v_pk_add_f32 v[4:5], v[4:5], v[20:21]
	v_mov_b32_e32 v6, v97
	v_pk_add_f32 v[4:5], v[4:5], v[18:19]
	v_mov_b32_e32 v9, v7
	s_waitcnt lgkmcnt(1)
	v_pk_mul_f32 v[6:7], v[12:13], v[6:7] op_sel_hi:[1,0]
	v_pk_add_f32 v[4:5], v[4:5], v[8:9]
	v_pk_fma_f32 v[8:9], v[12:13], v[96:97], v[6:7] op_sel:[0,0,1] op_sel_hi:[1,1,0] neg_lo:[0,0,1] neg_hi:[0,0,1]
	v_pk_fma_f32 v[6:7], v[12:13], v[96:97], v[6:7] op_sel:[0,0,1] op_sel_hi:[1,0,0]
	v_mov_b32_e32 v6, v95
	v_mov_b32_e32 v9, v7
	v_pk_mul_f32 v[6:7], v[14:15], v[6:7] op_sel_hi:[1,0]
	v_pk_add_f32 v[4:5], v[4:5], v[8:9]
	v_pk_fma_f32 v[8:9], v[14:15], v[94:95], v[6:7] op_sel:[0,0,1] op_sel_hi:[1,1,0] neg_lo:[0,0,1] neg_hi:[0,0,1]
	v_pk_fma_f32 v[6:7], v[14:15], v[94:95], v[6:7] op_sel:[0,0,1] op_sel_hi:[1,0,0]
	v_mov_b32_e32 v6, v93
	v_mov_b32_e32 v9, v7
	s_waitcnt lgkmcnt(0)
	v_pk_mul_f32 v[6:7], v[16:17], v[6:7] op_sel_hi:[1,0]
	v_pk_add_f32 v[4:5], v[4:5], v[8:9]
	v_pk_fma_f32 v[8:9], v[16:17], v[92:93], v[6:7] op_sel:[0,0,1] op_sel_hi:[1,1,0] neg_lo:[0,0,1] neg_hi:[0,0,1]
	v_pk_fma_f32 v[6:7], v[16:17], v[92:93], v[6:7] op_sel:[0,0,1] op_sel_hi:[1,0,0]
	v_mov_b32_e32 v9, v7
	v_pk_add_f32 v[4:5], v[4:5], v[8:9]
	v_pk_add_f32 v[2:3], v[2:3], v[4:5] neg_lo:[0,1] neg_hi:[0,1]
	buffer_store_dword v3, off, s[0:3], 0 offset:148
	buffer_store_dword v2, off, s[0:3], 0 offset:144
	s_and_saveexec_b64 s[4:5], vcc
	s_cbranch_execz .LBB61_351
; %bb.350:
	buffer_load_dword v2, off, s[0:3], 0 offset:136
	buffer_load_dword v3, off, s[0:3], 0 offset:140
	s_waitcnt vmcnt(0)
	ds_write_b64 v210, v[2:3]
	buffer_store_dword v28, off, s[0:3], 0 offset:136
	buffer_store_dword v28, off, s[0:3], 0 offset:140
.LBB61_351:
	s_or_b64 exec, exec, s[4:5]
	s_waitcnt lgkmcnt(0)
	; wave barrier
	s_waitcnt lgkmcnt(0)
	buffer_load_dword v29, off, s[0:3], 0 offset:148
	buffer_load_dword v78, off, s[0:3], 0 offset:156
	;; [unrolled: 1-line block ×26, first 2 shown]
	ds_read_b128 v[22:25], v28 offset:640
	ds_read_b128 v[18:21], v28 offset:656
	;; [unrolled: 1-line block ×6, first 2 shown]
	buffer_load_dword v122, off, s[0:3], 0 offset:240
	buffer_load_dword v123, off, s[0:3], 0 offset:244
	buffer_load_dword v124, off, s[0:3], 0 offset:248
	buffer_load_dword v125, off, s[0:3], 0 offset:252
	buffer_load_dword v126, off, s[0:3], 0 offset:256
	buffer_load_dword v127, off, s[0:3], 0 offset:260
	buffer_load_dword v128, off, s[0:3], 0 offset:264
	buffer_load_dword v129, off, s[0:3], 0 offset:268
	buffer_load_dword v130, off, s[0:3], 0 offset:272
	buffer_load_dword v131, off, s[0:3], 0 offset:276
	buffer_load_dword v132, off, s[0:3], 0 offset:280
	buffer_load_dword v133, off, s[0:3], 0 offset:284
	buffer_load_dword v134, off, s[0:3], 0 offset:288
	buffer_load_dword v135, off, s[0:3], 0 offset:292
	buffer_load_dword v136, off, s[0:3], 0 offset:296
	buffer_load_dword v137, off, s[0:3], 0 offset:300
	buffer_load_dword v138, off, s[0:3], 0 offset:304
	buffer_load_dword v139, off, s[0:3], 0 offset:308
	buffer_load_dword v140, off, s[0:3], 0 offset:312
	buffer_load_dword v141, off, s[0:3], 0 offset:316
	buffer_load_dword v142, off, s[0:3], 0 offset:320
	buffer_load_dword v143, off, s[0:3], 0 offset:324
	buffer_load_dword v144, off, s[0:3], 0 offset:328
	buffer_load_dword v145, off, s[0:3], 0 offset:332
	buffer_load_dword v146, off, s[0:3], 0 offset:336
	buffer_load_dword v147, off, s[0:3], 0 offset:340
	buffer_load_dword v148, off, s[0:3], 0 offset:344
	buffer_load_dword v149, off, s[0:3], 0 offset:348
	buffer_load_dword v150, off, s[0:3], 0 offset:352
	buffer_load_dword v151, off, s[0:3], 0 offset:356
	buffer_load_dword v152, off, s[0:3], 0 offset:360
	buffer_load_dword v153, off, s[0:3], 0 offset:364
	buffer_load_dword v154, off, s[0:3], 0 offset:368
	buffer_load_dword v155, off, s[0:3], 0 offset:372
	buffer_load_dword v156, off, s[0:3], 0 offset:376
	buffer_load_dword v157, off, s[0:3], 0 offset:380
	buffer_load_dword v158, off, s[0:3], 0 offset:384
	buffer_load_dword v159, off, s[0:3], 0 offset:388
	buffer_load_dword v160, off, s[0:3], 0 offset:392
	buffer_load_dword v161, off, s[0:3], 0 offset:396
	buffer_load_dword v162, off, s[0:3], 0 offset:400
	buffer_load_dword v163, off, s[0:3], 0 offset:404
	v_cmp_lt_u32_e32 vcc, 16, v0
	s_waitcnt vmcnt(62) lgkmcnt(5)
	v_mul_f32_e32 v30, v22, v29
	v_mul_f32_e32 v31, v24, v78
	s_waitcnt lgkmcnt(4)
	v_mul_f32_e32 v33, v20, v80
	s_waitcnt lgkmcnt(3)
	v_mul_f32_e32 v34, v14, v88
	v_mul_f32_e32 v35, v16, v100
	;; [unrolled: 1-line block ×3, first 2 shown]
	s_waitcnt vmcnt(61) lgkmcnt(2)
	v_mul_f32_e32 v36, v10, v102
	s_waitcnt vmcnt(60)
	v_mul_f32_e32 v37, v12, v103
	s_waitcnt vmcnt(59) lgkmcnt(1)
	v_mul_f32_e32 v38, v6, v104
	s_waitcnt vmcnt(58)
	v_fmac_f32_e32 v32, v19, v105
	s_waitcnt vmcnt(57)
	v_fmac_f32_e32 v31, v25, v106
	;; [unrolled: 2-line block ×3, first 2 shown]
	v_add_f32_e32 v30, 0, v30
	v_add_f32_e32 v30, v30, v31
	v_add_f32_e32 v30, v30, v32
	s_waitcnt vmcnt(52)
	v_fmac_f32_e32 v33, v21, v113
	v_fmac_f32_e32 v34, v15, v112
	v_add_f32_e32 v30, v30, v33
	v_fmac_f32_e32 v35, v17, v111
	v_add_f32_e32 v30, v30, v34
	;; [unrolled: 2-line block ×3, first 2 shown]
	s_waitcnt vmcnt(48)
	v_fmac_f32_e32 v37, v13, v117
	v_add_f32_e32 v30, v30, v36
	v_fmac_f32_e32 v38, v7, v116
	v_add_f32_e32 v30, v30, v37
	s_waitcnt vmcnt(47)
	v_mul_f32_e32 v31, v8, v118
	v_add_f32_e32 v30, v30, v38
	v_fmac_f32_e32 v31, v9, v115
	v_add_f32_e32 v30, v30, v31
	s_waitcnt vmcnt(46) lgkmcnt(0)
	v_mul_f32_e32 v31, v2, v119
	v_fmac_f32_e32 v31, v3, v114
	v_add_f32_e32 v34, v30, v31
	ds_read_b128 v[30:33], v28 offset:736
	s_waitcnt vmcnt(42)
	v_mul_f32_e32 v35, v4, v121
	v_fmac_f32_e32 v35, v5, v120
	buffer_load_dword v164, off, s[0:3], 0 offset:408
	buffer_load_dword v165, off, s[0:3], 0 offset:412
	v_add_f32_e32 v38, v34, v35
	buffer_load_dword v166, off, s[0:3], 0 offset:416
	buffer_load_dword v167, off, s[0:3], 0 offset:420
	ds_read_b128 v[34:37], v28 offset:752
	s_waitcnt vmcnt(44) lgkmcnt(1)
	v_mul_f32_e32 v39, v30, v123
	v_fmac_f32_e32 v39, v31, v122
	v_add_f32_e32 v38, v38, v39
	s_waitcnt vmcnt(42)
	v_mul_f32_e32 v39, v32, v125
	v_fmac_f32_e32 v39, v33, v124
	v_add_f32_e32 v38, v38, v39
	s_waitcnt vmcnt(40) lgkmcnt(0)
	v_mul_f32_e32 v39, v34, v127
	v_fmac_f32_e32 v39, v35, v126
	buffer_load_dword v168, off, s[0:3], 0 offset:424
	buffer_load_dword v169, off, s[0:3], 0 offset:428
	v_add_f32_e32 v42, v38, v39
	ds_read_b128 v[38:41], v28 offset:768
	s_waitcnt vmcnt(40)
	v_mul_f32_e32 v43, v36, v129
	v_fmac_f32_e32 v43, v37, v128
	v_add_f32_e32 v46, v42, v43
	ds_read_b128 v[42:45], v28 offset:784
	s_waitcnt vmcnt(38) lgkmcnt(1)
	v_mul_f32_e32 v47, v38, v131
	v_fmac_f32_e32 v47, v39, v130
	v_add_f32_e32 v46, v46, v47
	s_waitcnt vmcnt(36)
	v_mul_f32_e32 v47, v40, v133
	v_fmac_f32_e32 v47, v41, v132
	v_add_f32_e32 v46, v46, v47
	s_waitcnt vmcnt(34) lgkmcnt(0)
	v_mul_f32_e32 v47, v42, v135
	v_fmac_f32_e32 v47, v43, v134
	v_add_f32_e32 v50, v46, v47
	ds_read_b128 v[46:49], v28 offset:800
	s_waitcnt vmcnt(32)
	v_mul_f32_e32 v51, v44, v137
	v_fmac_f32_e32 v51, v45, v136
	v_add_f32_e32 v54, v50, v51
	ds_read_b128 v[50:53], v28 offset:816
	s_waitcnt vmcnt(30) lgkmcnt(1)
	v_mul_f32_e32 v55, v46, v139
	v_fmac_f32_e32 v55, v47, v138
	v_add_f32_e32 v54, v54, v55
	s_waitcnt vmcnt(28)
	v_mul_f32_e32 v55, v48, v141
	v_fmac_f32_e32 v55, v49, v140
	v_add_f32_e32 v54, v54, v55
	s_waitcnt vmcnt(26) lgkmcnt(0)
	v_mul_f32_e32 v55, v50, v143
	v_fmac_f32_e32 v55, v51, v142
	;; [unrolled: 18-line block ×4, first 2 shown]
	s_waitcnt vmcnt(8)
	v_mul_f32_e32 v75, v68, v161
	v_add_f32_e32 v74, v70, v71
	v_fmac_f32_e32 v75, v69, v160
	ds_read_b128 v[70:73], v28 offset:896
	v_add_f32_e32 v79, v74, v75
	ds_read_b128 v[74:77], v28 offset:912
	buffer_load_dword v83, off, s[0:3], 0 offset:452
	buffer_load_dword v82, off, s[0:3], 0 offset:448
	buffer_load_dword v85, off, s[0:3], 0 offset:444
	buffer_load_dword v84, off, s[0:3], 0 offset:440
	buffer_load_dword v87, off, s[0:3], 0 offset:436
	buffer_load_dword v86, off, s[0:3], 0 offset:432
	buffer_load_dword v91, off, s[0:3], 0 offset:484
	buffer_load_dword v90, off, s[0:3], 0 offset:480
	buffer_load_dword v93, off, s[0:3], 0 offset:476
	buffer_load_dword v92, off, s[0:3], 0 offset:472
	buffer_load_dword v95, off, s[0:3], 0 offset:468
	buffer_load_dword v94, off, s[0:3], 0 offset:464
	buffer_load_dword v97, off, s[0:3], 0 offset:460
	buffer_load_dword v96, off, s[0:3], 0 offset:456
	buffer_load_dword v99, off, s[0:3], 0 offset:492
	buffer_load_dword v98, off, s[0:3], 0 offset:488
	v_mul_f32_e32 v23, v23, v29
	v_fma_f32 v22, v22, v107, -v23
	v_mul_f32_e32 v23, v25, v78
	v_add_f32_e32 v22, 0, v22
	v_fma_f32 v23, v24, v106, -v23
	v_mul_f32_e32 v19, v19, v101
	v_add_f32_e32 v22, v22, v23
	;; [unrolled: 3-line block ×11, first 2 shown]
	v_fma_f32 v3, v4, v120, -v3
	v_add_f32_e32 v2, v2, v3
	v_mul_f32_e32 v3, v31, v123
	v_fma_f32 v3, v30, v122, -v3
	v_add_f32_e32 v2, v2, v3
	v_mul_f32_e32 v3, v33, v125
	;; [unrolled: 3-line block ×20, first 2 shown]
	v_fma_f32 v3, v68, v160, -v3
	v_add_f32_e32 v2, v2, v3
	s_waitcnt vmcnt(22) lgkmcnt(1)
	v_mul_f32_e32 v3, v71, v163
	v_fma_f32 v3, v70, v162, -v3
	v_add_f32_e32 v2, v2, v3
	s_waitcnt vmcnt(20)
	v_mul_f32_e32 v3, v73, v165
	v_mul_f32_e32 v81, v70, v163
	v_fma_f32 v3, v72, v164, -v3
	v_fmac_f32_e32 v81, v71, v162
	v_add_f32_e32 v78, v2, v3
	s_waitcnt vmcnt(18) lgkmcnt(0)
	v_mul_f32_e32 v2, v75, v167
	v_add_f32_e32 v79, v79, v81
	v_mul_f32_e32 v81, v72, v165
	v_fma_f32 v80, v74, v166, -v2
	s_waitcnt vmcnt(16)
	v_mul_f32_e32 v2, v77, v169
	v_fmac_f32_e32 v81, v73, v164
	v_fma_f32 v88, v76, v168, -v2
	ds_read_b128 v[2:5], v28 offset:928
	ds_read_b128 v[6:9], v28 offset:944
	;; [unrolled: 1-line block ×4, first 2 shown]
	v_add_f32_e32 v79, v79, v81
	v_mul_f32_e32 v81, v74, v167
	s_waitcnt vmcnt(11)
	v_mov_b32_e32 v20, v87
	v_fmac_f32_e32 v81, v75, v166
	v_mul_f32_e32 v89, v76, v169
	s_waitcnt lgkmcnt(3)
	v_pk_mul_f32 v[20:21], v[2:3], v[20:21] op_sel_hi:[1,0]
	v_fmac_f32_e32 v89, v77, v168
	v_pk_add_f32 v[18:19], v[78:79], v[80:81]
	s_waitcnt vmcnt(10)
	v_pk_fma_f32 v[22:23], v[2:3], v[86:87], v[20:21] op_sel:[0,0,1] op_sel_hi:[1,1,0] neg_lo:[0,0,1] neg_hi:[0,0,1]
	v_pk_fma_f32 v[2:3], v[2:3], v[86:87], v[20:21] op_sel:[0,0,1] op_sel_hi:[1,0,0]
	v_pk_add_f32 v[18:19], v[18:19], v[88:89]
	v_mov_b32_e32 v23, v3
	v_pk_add_f32 v[2:3], v[18:19], v[22:23]
	v_mov_b32_e32 v18, v85
	v_pk_mul_f32 v[18:19], v[4:5], v[18:19] op_sel_hi:[1,0]
	v_pk_fma_f32 v[20:21], v[4:5], v[84:85], v[18:19] op_sel:[0,0,1] op_sel_hi:[1,1,0] neg_lo:[0,0,1] neg_hi:[0,0,1]
	v_pk_fma_f32 v[4:5], v[4:5], v[84:85], v[18:19] op_sel:[0,0,1] op_sel_hi:[1,0,0]
	v_mov_b32_e32 v4, v83
	v_mov_b32_e32 v21, v5
	s_waitcnt lgkmcnt(2)
	v_pk_mul_f32 v[4:5], v[6:7], v[4:5] op_sel_hi:[1,0]
	v_pk_fma_f32 v[18:19], v[6:7], v[82:83], v[4:5] op_sel:[0,0,1] op_sel_hi:[1,1,0] neg_lo:[0,0,1] neg_hi:[0,0,1]
	v_pk_fma_f32 v[4:5], v[6:7], v[82:83], v[4:5] op_sel:[0,0,1] op_sel_hi:[1,0,0]
	s_waitcnt vmcnt(3)
	v_mov_b32_e32 v4, v97
	v_mov_b32_e32 v19, v5
	v_pk_mul_f32 v[4:5], v[8:9], v[4:5] op_sel_hi:[1,0]
	s_waitcnt vmcnt(2)
	v_pk_fma_f32 v[6:7], v[8:9], v[96:97], v[4:5] op_sel:[0,0,1] op_sel_hi:[1,1,0] neg_lo:[0,0,1] neg_hi:[0,0,1]
	v_pk_fma_f32 v[4:5], v[8:9], v[96:97], v[4:5] op_sel:[0,0,1] op_sel_hi:[1,0,0]
	v_pk_add_f32 v[2:3], v[2:3], v[20:21]
	v_mov_b32_e32 v4, v95
	v_pk_add_f32 v[2:3], v[2:3], v[18:19]
	v_mov_b32_e32 v7, v5
	s_waitcnt lgkmcnt(1)
	v_pk_mul_f32 v[4:5], v[10:11], v[4:5] op_sel_hi:[1,0]
	v_pk_add_f32 v[2:3], v[2:3], v[6:7]
	v_pk_fma_f32 v[6:7], v[10:11], v[94:95], v[4:5] op_sel:[0,0,1] op_sel_hi:[1,1,0] neg_lo:[0,0,1] neg_hi:[0,0,1]
	v_pk_fma_f32 v[4:5], v[10:11], v[94:95], v[4:5] op_sel:[0,0,1] op_sel_hi:[1,0,0]
	v_mov_b32_e32 v4, v93
	v_mov_b32_e32 v7, v5
	v_pk_mul_f32 v[4:5], v[12:13], v[4:5] op_sel_hi:[1,0]
	v_pk_add_f32 v[2:3], v[2:3], v[6:7]
	v_pk_fma_f32 v[6:7], v[12:13], v[92:93], v[4:5] op_sel:[0,0,1] op_sel_hi:[1,1,0] neg_lo:[0,0,1] neg_hi:[0,0,1]
	v_pk_fma_f32 v[4:5], v[12:13], v[92:93], v[4:5] op_sel:[0,0,1] op_sel_hi:[1,0,0]
	v_mov_b32_e32 v4, v91
	v_mov_b32_e32 v7, v5
	s_waitcnt lgkmcnt(0)
	v_pk_mul_f32 v[4:5], v[14:15], v[4:5] op_sel_hi:[1,0]
	v_pk_add_f32 v[2:3], v[2:3], v[6:7]
	v_pk_fma_f32 v[6:7], v[14:15], v[90:91], v[4:5] op_sel:[0,0,1] op_sel_hi:[1,1,0] neg_lo:[0,0,1] neg_hi:[0,0,1]
	v_pk_fma_f32 v[4:5], v[14:15], v[90:91], v[4:5] op_sel:[0,0,1] op_sel_hi:[1,0,0]
	s_waitcnt vmcnt(1)
	v_mov_b32_e32 v4, v99
	v_mov_b32_e32 v7, v5
	v_pk_mul_f32 v[4:5], v[16:17], v[4:5] op_sel_hi:[1,0]
	v_pk_add_f32 v[2:3], v[2:3], v[6:7]
	s_waitcnt vmcnt(0)
	v_pk_fma_f32 v[6:7], v[16:17], v[98:99], v[4:5] op_sel:[0,0,1] op_sel_hi:[1,1,0] neg_lo:[0,0,1] neg_hi:[0,0,1]
	v_pk_fma_f32 v[4:5], v[16:17], v[98:99], v[4:5] op_sel:[0,0,1] op_sel_hi:[1,0,0]
	v_mov_b32_e32 v7, v5
	v_pk_add_f32 v[2:3], v[2:3], v[6:7]
	v_pk_add_f32 v[2:3], v[26:27], v[2:3] neg_lo:[0,1] neg_hi:[0,1]
	buffer_store_dword v3, off, s[0:3], 0 offset:140
	buffer_store_dword v2, off, s[0:3], 0 offset:136
	s_and_saveexec_b64 s[4:5], vcc
	s_cbranch_execz .LBB61_353
; %bb.352:
	buffer_load_dword v2, off, s[0:3], 0 offset:128
	buffer_load_dword v3, off, s[0:3], 0 offset:132
	v_mov_b32_e32 v4, 0
	buffer_store_dword v4, off, s[0:3], 0 offset:128
	buffer_store_dword v4, off, s[0:3], 0 offset:132
	s_waitcnt vmcnt(2)
	ds_write_b64 v210, v[2:3]
.LBB61_353:
	s_or_b64 exec, exec, s[4:5]
	v_mov_b32_e32 v102, 0
	s_waitcnt lgkmcnt(0)
	; wave barrier
	s_waitcnt lgkmcnt(0)
	ds_read2_b64 v[2:5], v102 offset0:79 offset1:80
	buffer_load_dword v78, off, s[0:3], 0 offset:128
	buffer_load_dword v79, off, s[0:3], 0 offset:132
	;; [unrolled: 1-line block ×16, first 2 shown]
	v_cmp_lt_u32_e32 vcc, 15, v0
	s_waitcnt vmcnt(12) lgkmcnt(0)
	v_mul_f32_e32 v6, v2, v103
	v_fmac_f32_e32 v6, v3, v80
	s_waitcnt vmcnt(10)
	v_mul_f32_e32 v7, v4, v105
	v_add_f32_e32 v6, 0, v6
	v_fmac_f32_e32 v7, v5, v82
	v_add_f32_e32 v10, v6, v7
	ds_read2_b64 v[6:9], v102 offset0:81 offset1:82
	v_mul_f32_e32 v3, v3, v103
	v_fma_f32 v2, v2, v80, -v3
	v_mul_f32_e32 v3, v5, v105
	v_add_f32_e32 v2, 0, v2
	s_waitcnt vmcnt(8) lgkmcnt(0)
	v_mul_f32_e32 v11, v6, v107
	v_fmac_f32_e32 v11, v7, v86
	v_add_f32_e32 v10, v10, v11
	s_waitcnt vmcnt(6)
	v_mul_f32_e32 v11, v8, v111
	v_fmac_f32_e32 v11, v9, v104
	v_add_f32_e32 v14, v10, v11
	ds_read2_b64 v[10:13], v102 offset0:83 offset1:84
	v_fma_f32 v3, v4, v82, -v3
	v_add_f32_e32 v2, v2, v3
	v_mul_f32_e32 v3, v7, v107
	v_fma_f32 v3, v6, v86, -v3
	s_waitcnt vmcnt(4) lgkmcnt(0)
	v_mul_f32_e32 v15, v10, v113
	v_fmac_f32_e32 v15, v11, v106
	v_add_f32_e32 v14, v14, v15
	s_waitcnt vmcnt(2)
	v_mul_f32_e32 v15, v12, v114
	v_fmac_f32_e32 v15, v13, v110
	v_add_f32_e32 v18, v14, v15
	ds_read2_b64 v[14:17], v102 offset0:85 offset1:86
	buffer_load_dword v116, off, s[0:3], 0 offset:192
	buffer_load_dword v117, off, s[0:3], 0 offset:196
	v_add_f32_e32 v2, v2, v3
	v_mul_f32_e32 v3, v9, v111
	v_fma_f32 v3, v8, v104, -v3
	s_waitcnt vmcnt(2) lgkmcnt(0)
	v_mul_f32_e32 v19, v14, v115
	v_fmac_f32_e32 v19, v15, v112
	v_add_f32_e32 v18, v18, v19
	v_add_f32_e32 v2, v2, v3
	v_mul_f32_e32 v3, v11, v113
	v_fma_f32 v3, v10, v106, -v3
	v_add_f32_e32 v2, v2, v3
	v_mul_f32_e32 v3, v13, v114
	v_fma_f32 v3, v12, v110, -v3
	;; [unrolled: 3-line block ×3, first 2 shown]
	v_add_f32_e32 v2, v2, v3
	s_waitcnt vmcnt(0)
	v_mul_f32_e32 v19, v16, v117
	v_fmac_f32_e32 v19, v17, v116
	v_add_f32_e32 v22, v18, v19
	ds_read2_b64 v[18:21], v102 offset0:87 offset1:88
	buffer_load_dword v118, off, s[0:3], 0 offset:200
	buffer_load_dword v119, off, s[0:3], 0 offset:204
	;; [unrolled: 1-line block ×4, first 2 shown]
	v_mul_f32_e32 v3, v17, v117
	v_fma_f32 v3, v16, v116, -v3
	v_add_f32_e32 v2, v2, v3
	s_waitcnt vmcnt(2) lgkmcnt(0)
	v_mul_f32_e32 v23, v18, v119
	v_fmac_f32_e32 v23, v19, v118
	v_add_f32_e32 v22, v22, v23
	s_waitcnt vmcnt(0)
	v_mul_f32_e32 v23, v20, v121
	v_fmac_f32_e32 v23, v21, v120
	v_add_f32_e32 v26, v22, v23
	ds_read2_b64 v[22:25], v102 offset0:89 offset1:90
	buffer_load_dword v122, off, s[0:3], 0 offset:216
	buffer_load_dword v123, off, s[0:3], 0 offset:220
	buffer_load_dword v124, off, s[0:3], 0 offset:224
	buffer_load_dword v125, off, s[0:3], 0 offset:228
	ds_read2_b64 v[30:33], v102 offset0:91 offset1:92
	buffer_load_dword v126, off, s[0:3], 0 offset:232
	buffer_load_dword v127, off, s[0:3], 0 offset:236
	buffer_load_dword v128, off, s[0:3], 0 offset:240
	buffer_load_dword v129, off, s[0:3], 0 offset:244
	;; [unrolled: 5-line block ×13, first 2 shown]
	v_mul_f32_e32 v3, v19, v119
	v_fma_f32 v3, v18, v118, -v3
	v_add_f32_e32 v2, v2, v3
	v_mul_f32_e32 v3, v21, v121
	v_fma_f32 v3, v20, v120, -v3
	v_add_f32_e32 v2, v2, v3
	s_waitcnt vmcnt(50) lgkmcnt(12)
	v_mul_f32_e32 v27, v22, v123
	v_fmac_f32_e32 v27, v23, v122
	v_add_f32_e32 v26, v26, v27
	s_waitcnt vmcnt(48)
	v_mul_f32_e32 v27, v24, v125
	v_fmac_f32_e32 v27, v25, v124
	v_add_f32_e32 v26, v26, v27
	s_waitcnt vmcnt(46) lgkmcnt(11)
	v_mul_f32_e32 v27, v30, v127
	v_fmac_f32_e32 v27, v31, v126
	v_add_f32_e32 v26, v26, v27
	s_waitcnt vmcnt(44)
	v_mul_f32_e32 v27, v32, v129
	v_fmac_f32_e32 v27, v33, v128
	;; [unrolled: 8-line block ×12, first 2 shown]
	v_add_f32_e32 v26, v26, v27
	s_waitcnt vmcnt(2) lgkmcnt(0)
	v_mul_f32_e32 v27, v74, v171
	v_fmac_f32_e32 v27, v75, v170
	v_add_f32_e32 v81, v26, v27
	ds_read2_b64 v[26:29], v102 offset0:115 offset1:116
	buffer_load_dword v174, off, s[0:3], 0 offset:424
	buffer_load_dword v175, off, s[0:3], 0 offset:428
	;; [unrolled: 1-line block ×18, first 2 shown]
	v_mul_f32_e32 v3, v23, v123
	v_fma_f32 v3, v22, v122, -v3
	v_add_f32_e32 v2, v2, v3
	v_mul_f32_e32 v3, v25, v125
	v_fma_f32 v3, v24, v124, -v3
	v_add_f32_e32 v2, v2, v3
	;; [unrolled: 3-line block ×25, first 2 shown]
	s_waitcnt vmcnt(18)
	v_mul_f32_e32 v2, v77, v173
	s_waitcnt vmcnt(15)
	v_mov_b32_e32 v18, v85
	v_mul_f32_e32 v83, v76, v173
	v_fma_f32 v82, v76, v172, -v2
	s_waitcnt lgkmcnt(0)
	v_mul_f32_e32 v2, v27, v175
	v_pk_mul_f32 v[18:19], v[28:29], v[18:19] op_sel_hi:[1,0]
	v_fmac_f32_e32 v83, v77, v172
	v_mul_f32_e32 v87, v26, v175
	v_fma_f32 v86, v26, v174, -v2
	ds_read2_b64 v[2:5], v102 offset0:117 offset1:118
	ds_read2_b64 v[6:9], v102 offset0:119 offset1:120
	;; [unrolled: 1-line block ×3, first 2 shown]
	ds_read_b64 v[14:15], v102 offset:984
	s_waitcnt vmcnt(14)
	v_pk_fma_f32 v[20:21], v[28:29], v[84:85], v[18:19] op_sel:[0,0,1] op_sel_hi:[1,1,0] neg_lo:[0,0,1] neg_hi:[0,0,1]
	v_pk_fma_f32 v[18:19], v[28:29], v[84:85], v[18:19] op_sel:[0,0,1] op_sel_hi:[1,0,0]
	v_fmac_f32_e32 v87, v27, v174
	v_pk_add_f32 v[16:17], v[80:81], v[82:83]
	s_waitcnt vmcnt(13)
	v_mov_b32_e32 v18, v101
	v_pk_add_f32 v[16:17], v[16:17], v[86:87]
	v_mov_b32_e32 v21, v19
	s_waitcnt lgkmcnt(3)
	v_pk_mul_f32 v[18:19], v[2:3], v[18:19] op_sel_hi:[1,0]
	v_pk_add_f32 v[16:17], v[16:17], v[20:21]
	s_waitcnt vmcnt(12)
	v_pk_fma_f32 v[20:21], v[2:3], v[100:101], v[18:19] op_sel:[0,0,1] op_sel_hi:[1,1,0] neg_lo:[0,0,1] neg_hi:[0,0,1]
	v_pk_fma_f32 v[2:3], v[2:3], v[100:101], v[18:19] op_sel:[0,0,1] op_sel_hi:[1,0,0]
	v_mov_b32_e32 v21, v3
	v_pk_add_f32 v[2:3], v[16:17], v[20:21]
	s_waitcnt vmcnt(11)
	v_mov_b32_e32 v16, v99
	v_pk_mul_f32 v[16:17], v[4:5], v[16:17] op_sel_hi:[1,0]
	s_waitcnt vmcnt(10)
	v_pk_fma_f32 v[18:19], v[4:5], v[98:99], v[16:17] op_sel:[0,0,1] op_sel_hi:[1,1,0] neg_lo:[0,0,1] neg_hi:[0,0,1]
	v_pk_fma_f32 v[4:5], v[4:5], v[98:99], v[16:17] op_sel:[0,0,1] op_sel_hi:[1,0,0]
	s_waitcnt vmcnt(9)
	v_mov_b32_e32 v4, v97
	v_mov_b32_e32 v19, v5
	s_waitcnt lgkmcnt(2)
	v_pk_mul_f32 v[4:5], v[6:7], v[4:5] op_sel_hi:[1,0]
	s_waitcnt vmcnt(8)
	v_pk_fma_f32 v[16:17], v[6:7], v[96:97], v[4:5] op_sel:[0,0,1] op_sel_hi:[1,1,0] neg_lo:[0,0,1] neg_hi:[0,0,1]
	v_pk_fma_f32 v[4:5], v[6:7], v[96:97], v[4:5] op_sel:[0,0,1] op_sel_hi:[1,0,0]
	s_waitcnt vmcnt(7)
	v_mov_b32_e32 v4, v95
	v_mov_b32_e32 v17, v5
	v_pk_mul_f32 v[4:5], v[8:9], v[4:5] op_sel_hi:[1,0]
	s_waitcnt vmcnt(6)
	v_pk_fma_f32 v[6:7], v[8:9], v[94:95], v[4:5] op_sel:[0,0,1] op_sel_hi:[1,1,0] neg_lo:[0,0,1] neg_hi:[0,0,1]
	v_pk_fma_f32 v[4:5], v[8:9], v[94:95], v[4:5] op_sel:[0,0,1] op_sel_hi:[1,0,0]
	v_pk_add_f32 v[2:3], v[2:3], v[18:19]
	s_waitcnt vmcnt(5)
	v_mov_b32_e32 v4, v93
	v_pk_add_f32 v[2:3], v[2:3], v[16:17]
	v_mov_b32_e32 v7, v5
	s_waitcnt lgkmcnt(1)
	v_pk_mul_f32 v[4:5], v[10:11], v[4:5] op_sel_hi:[1,0]
	v_pk_add_f32 v[2:3], v[2:3], v[6:7]
	s_waitcnt vmcnt(4)
	v_pk_fma_f32 v[6:7], v[10:11], v[92:93], v[4:5] op_sel:[0,0,1] op_sel_hi:[1,1,0] neg_lo:[0,0,1] neg_hi:[0,0,1]
	v_pk_fma_f32 v[4:5], v[10:11], v[92:93], v[4:5] op_sel:[0,0,1] op_sel_hi:[1,0,0]
	s_waitcnt vmcnt(3)
	v_mov_b32_e32 v4, v91
	v_mov_b32_e32 v7, v5
	v_pk_mul_f32 v[4:5], v[12:13], v[4:5] op_sel_hi:[1,0]
	v_pk_add_f32 v[2:3], v[2:3], v[6:7]
	s_waitcnt vmcnt(2)
	v_pk_fma_f32 v[6:7], v[12:13], v[90:91], v[4:5] op_sel:[0,0,1] op_sel_hi:[1,1,0] neg_lo:[0,0,1] neg_hi:[0,0,1]
	v_pk_fma_f32 v[4:5], v[12:13], v[90:91], v[4:5] op_sel:[0,0,1] op_sel_hi:[1,0,0]
	s_waitcnt vmcnt(1)
	v_mov_b32_e32 v4, v89
	v_mov_b32_e32 v7, v5
	s_waitcnt lgkmcnt(0)
	v_pk_mul_f32 v[4:5], v[14:15], v[4:5] op_sel_hi:[1,0]
	v_pk_add_f32 v[2:3], v[2:3], v[6:7]
	s_waitcnt vmcnt(0)
	v_pk_fma_f32 v[6:7], v[14:15], v[88:89], v[4:5] op_sel:[0,0,1] op_sel_hi:[1,1,0] neg_lo:[0,0,1] neg_hi:[0,0,1]
	v_pk_fma_f32 v[4:5], v[14:15], v[88:89], v[4:5] op_sel:[0,0,1] op_sel_hi:[1,0,0]
	v_mov_b32_e32 v7, v5
	v_pk_add_f32 v[2:3], v[2:3], v[6:7]
	v_pk_add_f32 v[2:3], v[78:79], v[2:3] neg_lo:[0,1] neg_hi:[0,1]
	buffer_store_dword v3, off, s[0:3], 0 offset:132
	buffer_store_dword v2, off, s[0:3], 0 offset:128
	s_and_saveexec_b64 s[4:5], vcc
	s_cbranch_execz .LBB61_355
; %bb.354:
	buffer_load_dword v2, off, s[0:3], 0 offset:120
	buffer_load_dword v3, off, s[0:3], 0 offset:124
	s_waitcnt vmcnt(0)
	ds_write_b64 v210, v[2:3]
	buffer_store_dword v102, off, s[0:3], 0 offset:120
	buffer_store_dword v102, off, s[0:3], 0 offset:124
.LBB61_355:
	s_or_b64 exec, exec, s[4:5]
	s_waitcnt lgkmcnt(0)
	; wave barrier
	s_waitcnt lgkmcnt(0)
	buffer_load_dword v86, off, s[0:3], 0 offset:132
	buffer_load_dword v88, off, s[0:3], 0 offset:140
	buffer_load_dword v90, off, s[0:3], 0 offset:156
	buffer_load_dword v103, off, s[0:3], 0 offset:164
	buffer_load_dword v110, off, s[0:3], 0 offset:172
	buffer_load_dword v111, off, s[0:3], 0 offset:148
	buffer_load_dword v112, off, s[0:3], 0 offset:180
	buffer_load_dword v113, off, s[0:3], 0 offset:188
	buffer_load_dword v114, off, s[0:3], 0 offset:196
	buffer_load_dword v115, off, s[0:3], 0 offset:204
	buffer_load_dword v116, off, s[0:3], 0 offset:144
	buffer_load_dword v117, off, s[0:3], 0 offset:136
	buffer_load_dword v118, off, s[0:3], 0 offset:128
	buffer_load_dword v119, off, s[0:3], 0 offset:176
	buffer_load_dword v120, off, s[0:3], 0 offset:168
	buffer_load_dword v121, off, s[0:3], 0 offset:160
	buffer_load_dword v122, off, s[0:3], 0 offset:152
	buffer_load_dword v123, off, s[0:3], 0 offset:208
	buffer_load_dword v124, off, s[0:3], 0 offset:200
	buffer_load_dword v125, off, s[0:3], 0 offset:192
	buffer_load_dword v126, off, s[0:3], 0 offset:184
	buffer_load_dword v127, off, s[0:3], 0 offset:212
	buffer_load_dword v128, off, s[0:3], 0 offset:220
	buffer_load_dword v129, off, s[0:3], 0 offset:224
	buffer_load_dword v130, off, s[0:3], 0 offset:228
	buffer_load_dword v131, off, s[0:3], 0 offset:232
	buffer_load_dword v132, off, s[0:3], 0 offset:236
	buffer_load_dword v133, off, s[0:3], 0 offset:240
	buffer_load_dword v134, off, s[0:3], 0 offset:244
	buffer_load_dword v135, off, s[0:3], 0 offset:216
	buffer_load_dword v26, off, s[0:3], 0 offset:120
	buffer_load_dword v27, off, s[0:3], 0 offset:124
	ds_read_b128 v[22:25], v102 offset:624
	ds_read_b128 v[18:21], v102 offset:640
	;; [unrolled: 1-line block ×6, first 2 shown]
	buffer_load_dword v136, off, s[0:3], 0 offset:248
	buffer_load_dword v137, off, s[0:3], 0 offset:252
	;; [unrolled: 1-line block ×32, first 2 shown]
	v_cmp_lt_u32_e32 vcc, 14, v0
	s_waitcnt vmcnt(62) lgkmcnt(5)
	v_mul_f32_e32 v28, v22, v86
	v_mul_f32_e32 v29, v24, v88
	s_waitcnt vmcnt(61) lgkmcnt(4)
	v_mul_f32_e32 v31, v20, v90
	s_waitcnt vmcnt(60) lgkmcnt(3)
	v_mul_f32_e32 v32, v14, v103
	s_waitcnt vmcnt(59)
	v_mul_f32_e32 v33, v16, v110
	s_waitcnt vmcnt(58)
	v_mul_f32_e32 v30, v18, v111
	s_waitcnt vmcnt(57) lgkmcnt(2)
	v_mul_f32_e32 v34, v10, v112
	s_waitcnt vmcnt(56)
	v_mul_f32_e32 v35, v12, v113
	s_waitcnt vmcnt(55) lgkmcnt(1)
	v_mul_f32_e32 v36, v6, v114
	s_waitcnt vmcnt(54)
	v_mul_f32_e32 v37, v8, v115
	s_waitcnt vmcnt(53)
	v_fmac_f32_e32 v30, v19, v116
	s_waitcnt vmcnt(52)
	v_fmac_f32_e32 v29, v25, v117
	;; [unrolled: 2-line block ×3, first 2 shown]
	v_add_f32_e32 v28, 0, v28
	v_add_f32_e32 v28, v28, v29
	;; [unrolled: 1-line block ×3, first 2 shown]
	s_waitcnt vmcnt(47)
	v_fmac_f32_e32 v31, v21, v122
	v_fmac_f32_e32 v32, v15, v121
	v_add_f32_e32 v28, v28, v31
	v_fmac_f32_e32 v33, v17, v120
	v_add_f32_e32 v28, v28, v32
	;; [unrolled: 2-line block ×3, first 2 shown]
	s_waitcnt vmcnt(43)
	v_fmac_f32_e32 v35, v13, v126
	v_add_f32_e32 v28, v28, v34
	v_fmac_f32_e32 v36, v7, v125
	v_add_f32_e32 v28, v28, v35
	;; [unrolled: 2-line block ×3, first 2 shown]
	s_waitcnt vmcnt(42) lgkmcnt(0)
	v_mul_f32_e32 v29, v2, v127
	v_add_f32_e32 v28, v28, v37
	v_fmac_f32_e32 v29, v3, v123
	v_add_f32_e32 v32, v28, v29
	ds_read_b128 v[28:31], v102 offset:720
	buffer_load_dword v168, off, s[0:3], 0 offset:376
	buffer_load_dword v169, off, s[0:3], 0 offset:380
	s_waitcnt vmcnt(43)
	v_mul_f32_e32 v33, v4, v128
	s_waitcnt vmcnt(36)
	v_fmac_f32_e32 v33, v5, v135
	v_add_f32_e32 v36, v32, v33
	ds_read_b128 v[32:35], v102 offset:736
	buffer_load_dword v170, off, s[0:3], 0 offset:384
	buffer_load_dword v171, off, s[0:3], 0 offset:388
	;; [unrolled: 1-line block ×8, first 2 shown]
	s_waitcnt lgkmcnt(1)
	v_mul_f32_e32 v37, v28, v130
	v_fmac_f32_e32 v37, v29, v129
	v_add_f32_e32 v36, v36, v37
	v_mul_f32_e32 v37, v30, v132
	v_fmac_f32_e32 v37, v31, v131
	v_add_f32_e32 v36, v36, v37
	s_waitcnt lgkmcnt(0)
	v_mul_f32_e32 v37, v32, v134
	v_fmac_f32_e32 v37, v33, v133
	v_add_f32_e32 v40, v36, v37
	buffer_load_dword v178, off, s[0:3], 0 offset:416
	buffer_load_dword v179, off, s[0:3], 0 offset:420
	;; [unrolled: 1-line block ×4, first 2 shown]
	ds_read_b128 v[36:39], v102 offset:752
	s_waitcnt vmcnt(44)
	v_mul_f32_e32 v41, v34, v137
	v_fmac_f32_e32 v41, v35, v136
	v_add_f32_e32 v44, v40, v41
	ds_read_b128 v[40:43], v102 offset:768
	s_waitcnt vmcnt(42) lgkmcnt(1)
	v_mul_f32_e32 v45, v36, v139
	v_fmac_f32_e32 v45, v37, v138
	v_add_f32_e32 v44, v44, v45
	s_waitcnt vmcnt(40)
	v_mul_f32_e32 v45, v38, v141
	v_fmac_f32_e32 v45, v39, v140
	v_add_f32_e32 v44, v44, v45
	s_waitcnt vmcnt(38) lgkmcnt(0)
	v_mul_f32_e32 v45, v40, v143
	v_fmac_f32_e32 v45, v41, v142
	v_add_f32_e32 v48, v44, v45
	ds_read_b128 v[44:47], v102 offset:784
	s_waitcnt vmcnt(36)
	v_mul_f32_e32 v49, v42, v145
	v_fmac_f32_e32 v49, v43, v144
	v_add_f32_e32 v52, v48, v49
	ds_read_b128 v[48:51], v102 offset:800
	s_waitcnt vmcnt(34) lgkmcnt(1)
	v_mul_f32_e32 v53, v44, v147
	v_fmac_f32_e32 v53, v45, v146
	v_add_f32_e32 v52, v52, v53
	s_waitcnt vmcnt(32)
	v_mul_f32_e32 v53, v46, v149
	v_fmac_f32_e32 v53, v47, v148
	v_add_f32_e32 v52, v52, v53
	s_waitcnt vmcnt(30) lgkmcnt(0)
	v_mul_f32_e32 v53, v48, v151
	v_fmac_f32_e32 v53, v49, v150
	v_add_f32_e32 v56, v52, v53
	;; [unrolled: 18-line block ×4, first 2 shown]
	ds_read_b128 v[68:71], v102 offset:880
	v_mul_f32_e32 v23, v23, v86
	v_fma_f32 v22, v22, v118, -v23
	v_mul_f32_e32 v23, v25, v88
	v_add_f32_e32 v22, 0, v22
	s_waitcnt vmcnt(12)
	v_mul_f32_e32 v73, v66, v169
	v_fmac_f32_e32 v73, v67, v168
	v_add_f32_e32 v76, v72, v73
	ds_read_b128 v[72:75], v102 offset:896
	buffer_load_dword v85, off, s[0:3], 0 offset:436
	buffer_load_dword v84, off, s[0:3], 0 offset:432
	s_waitcnt vmcnt(12) lgkmcnt(1)
	v_mul_f32_e32 v77, v68, v171
	v_fmac_f32_e32 v77, v69, v170
	v_add_f32_e32 v76, v76, v77
	s_waitcnt vmcnt(10)
	v_mul_f32_e32 v77, v70, v173
	v_fmac_f32_e32 v77, v71, v172
	v_add_f32_e32 v76, v76, v77
	s_waitcnt vmcnt(8) lgkmcnt(0)
	v_mul_f32_e32 v77, v72, v175
	v_fmac_f32_e32 v77, v73, v174
	s_waitcnt vmcnt(6)
	v_mul_f32_e32 v81, v74, v177
	v_add_f32_e32 v80, v76, v77
	v_fmac_f32_e32 v81, v75, v176
	ds_read_b128 v[76:79], v102 offset:912
	v_add_f32_e32 v87, v80, v81
	ds_read_b128 v[80:83], v102 offset:928
	buffer_load_dword v93, off, s[0:3], 0 offset:468
	buffer_load_dword v92, off, s[0:3], 0 offset:464
	;; [unrolled: 1-line block ×14, first 2 shown]
	v_fma_f32 v23, v24, v117, -v23
	v_mul_f32_e32 v19, v19, v111
	v_add_f32_e32 v22, v22, v23
	v_fma_f32 v18, v18, v116, -v19
	v_mul_f32_e32 v19, v21, v90
	v_add_f32_e32 v18, v22, v18
	;; [unrolled: 3-line block ×10, first 2 shown]
	v_fma_f32 v3, v4, v135, -v3
	v_add_f32_e32 v2, v2, v3
	v_mul_f32_e32 v3, v29, v130
	v_fma_f32 v3, v28, v129, -v3
	v_add_f32_e32 v2, v2, v3
	v_mul_f32_e32 v3, v31, v132
	;; [unrolled: 3-line block ×24, first 2 shown]
	v_fma_f32 v3, v74, v176, -v3
	s_waitcnt vmcnt(15)
	v_mov_b32_e32 v16, v85
	s_waitcnt lgkmcnt(1)
	v_mul_f32_e32 v89, v76, v179
	v_add_f32_e32 v86, v2, v3
	v_mul_f32_e32 v2, v77, v179
	s_waitcnt lgkmcnt(0)
	v_pk_mul_f32 v[16:17], v[80:81], v[16:17] op_sel_hi:[1,0]
	v_fmac_f32_e32 v89, v77, v178
	v_mul_f32_e32 v91, v78, v181
	v_fma_f32 v88, v76, v178, -v2
	v_mul_f32_e32 v2, v79, v181
	s_waitcnt vmcnt(14)
	v_pk_fma_f32 v[18:19], v[80:81], v[84:85], v[16:17] op_sel:[0,0,1] op_sel_hi:[1,1,0] neg_lo:[0,0,1] neg_hi:[0,0,1]
	v_pk_fma_f32 v[16:17], v[80:81], v[84:85], v[16:17] op_sel:[0,0,1] op_sel_hi:[1,0,0]
	v_fmac_f32_e32 v91, v79, v180
	v_fma_f32 v90, v78, v180, -v2
	v_pk_add_f32 v[14:15], v[86:87], v[88:89]
	s_waitcnt vmcnt(7)
	v_mov_b32_e32 v16, v99
	ds_read_b128 v[2:5], v102 offset:944
	ds_read_b128 v[6:9], v102 offset:960
	;; [unrolled: 1-line block ×3, first 2 shown]
	v_pk_add_f32 v[14:15], v[14:15], v[90:91]
	v_mov_b32_e32 v19, v17
	v_pk_mul_f32 v[16:17], v[82:83], v[16:17] op_sel_hi:[1,0]
	v_pk_add_f32 v[14:15], v[14:15], v[18:19]
	s_waitcnt vmcnt(6)
	v_pk_fma_f32 v[18:19], v[82:83], v[98:99], v[16:17] op_sel:[0,0,1] op_sel_hi:[1,1,0] neg_lo:[0,0,1] neg_hi:[0,0,1]
	v_pk_fma_f32 v[16:17], v[82:83], v[98:99], v[16:17] op_sel:[0,0,1] op_sel_hi:[1,0,0]
	v_mov_b32_e32 v16, v97
	v_mov_b32_e32 v19, v17
	s_waitcnt lgkmcnt(2)
	v_pk_mul_f32 v[16:17], v[2:3], v[16:17] op_sel_hi:[1,0]
	v_pk_add_f32 v[14:15], v[14:15], v[18:19]
	v_pk_fma_f32 v[18:19], v[2:3], v[96:97], v[16:17] op_sel:[0,0,1] op_sel_hi:[1,1,0] neg_lo:[0,0,1] neg_hi:[0,0,1]
	v_pk_fma_f32 v[2:3], v[2:3], v[96:97], v[16:17] op_sel:[0,0,1] op_sel_hi:[1,0,0]
	v_mov_b32_e32 v19, v3
	v_pk_add_f32 v[2:3], v[14:15], v[18:19]
	v_mov_b32_e32 v14, v95
	v_pk_mul_f32 v[14:15], v[4:5], v[14:15] op_sel_hi:[1,0]
	v_pk_fma_f32 v[16:17], v[4:5], v[94:95], v[14:15] op_sel:[0,0,1] op_sel_hi:[1,1,0] neg_lo:[0,0,1] neg_hi:[0,0,1]
	v_pk_fma_f32 v[4:5], v[4:5], v[94:95], v[14:15] op_sel:[0,0,1] op_sel_hi:[1,0,0]
	v_mov_b32_e32 v4, v93
	v_mov_b32_e32 v17, v5
	s_waitcnt lgkmcnt(1)
	v_pk_mul_f32 v[4:5], v[6:7], v[4:5] op_sel_hi:[1,0]
	v_pk_fma_f32 v[14:15], v[6:7], v[92:93], v[4:5] op_sel:[0,0,1] op_sel_hi:[1,1,0] neg_lo:[0,0,1] neg_hi:[0,0,1]
	v_pk_fma_f32 v[4:5], v[6:7], v[92:93], v[4:5] op_sel:[0,0,1] op_sel_hi:[1,0,0]
	s_waitcnt vmcnt(1)
	v_mov_b32_e32 v4, v107
	v_mov_b32_e32 v15, v5
	v_pk_mul_f32 v[4:5], v[8:9], v[4:5] op_sel_hi:[1,0]
	s_waitcnt vmcnt(0)
	v_pk_fma_f32 v[6:7], v[8:9], v[106:107], v[4:5] op_sel:[0,0,1] op_sel_hi:[1,1,0] neg_lo:[0,0,1] neg_hi:[0,0,1]
	v_pk_fma_f32 v[4:5], v[8:9], v[106:107], v[4:5] op_sel:[0,0,1] op_sel_hi:[1,0,0]
	v_pk_add_f32 v[2:3], v[2:3], v[16:17]
	v_mov_b32_e32 v4, v105
	v_pk_add_f32 v[2:3], v[2:3], v[14:15]
	v_mov_b32_e32 v7, v5
	s_waitcnt lgkmcnt(0)
	v_pk_mul_f32 v[4:5], v[10:11], v[4:5] op_sel_hi:[1,0]
	v_pk_add_f32 v[2:3], v[2:3], v[6:7]
	v_pk_fma_f32 v[6:7], v[10:11], v[104:105], v[4:5] op_sel:[0,0,1] op_sel_hi:[1,1,0] neg_lo:[0,0,1] neg_hi:[0,0,1]
	v_pk_fma_f32 v[4:5], v[10:11], v[104:105], v[4:5] op_sel:[0,0,1] op_sel_hi:[1,0,0]
	v_mov_b32_e32 v4, v101
	v_mov_b32_e32 v7, v5
	v_pk_mul_f32 v[4:5], v[12:13], v[4:5] op_sel_hi:[1,0]
	v_pk_add_f32 v[2:3], v[2:3], v[6:7]
	v_pk_fma_f32 v[6:7], v[12:13], v[100:101], v[4:5] op_sel:[0,0,1] op_sel_hi:[1,1,0] neg_lo:[0,0,1] neg_hi:[0,0,1]
	v_pk_fma_f32 v[4:5], v[12:13], v[100:101], v[4:5] op_sel:[0,0,1] op_sel_hi:[1,0,0]
	v_mov_b32_e32 v7, v5
	v_pk_add_f32 v[2:3], v[2:3], v[6:7]
	v_pk_add_f32 v[2:3], v[26:27], v[2:3] neg_lo:[0,1] neg_hi:[0,1]
	buffer_store_dword v3, off, s[0:3], 0 offset:124
	buffer_store_dword v2, off, s[0:3], 0 offset:120
	s_and_saveexec_b64 s[4:5], vcc
	s_cbranch_execz .LBB61_357
; %bb.356:
	buffer_load_dword v2, off, s[0:3], 0 offset:112
	buffer_load_dword v3, off, s[0:3], 0 offset:116
	v_mov_b32_e32 v4, 0
	buffer_store_dword v4, off, s[0:3], 0 offset:112
	buffer_store_dword v4, off, s[0:3], 0 offset:116
	s_waitcnt vmcnt(2)
	ds_write_b64 v210, v[2:3]
.LBB61_357:
	s_or_b64 exec, exec, s[4:5]
	s_waitcnt lgkmcnt(0)
	; wave barrier
	s_waitcnt lgkmcnt(0)
	buffer_load_dword v33, off, s[0:3], 0 offset:124
	buffer_load_dword v32, off, s[0:3], 0 offset:132
	;; [unrolled: 1-line block ×48, first 2 shown]
	v_mov_b32_e32 v36, 0
	ds_read2_b64 v[22:25], v36 offset0:77 offset1:78
	ds_read2_b64 v[18:21], v36 offset0:79 offset1:80
	;; [unrolled: 1-line block ×6, first 2 shown]
	buffer_load_dword v152, off, s[0:3], 0 offset:304
	buffer_load_dword v153, off, s[0:3], 0 offset:308
	;; [unrolled: 1-line block ×12, first 2 shown]
	v_cmp_lt_u32_e32 vcc, 13, v0
	s_waitcnt vmcnt(59) lgkmcnt(5)
	v_mul_f32_e32 v35, v22, v33
	s_waitcnt vmcnt(58)
	v_mul_f32_e32 v38, v24, v32
	s_waitcnt vmcnt(57) lgkmcnt(4)
	v_mul_f32_e32 v40, v20, v31
	s_waitcnt vmcnt(56) lgkmcnt(3)
	v_mul_f32_e32 v41, v14, v30
	s_waitcnt vmcnt(55)
	v_mul_f32_e32 v42, v16, v28
	s_waitcnt vmcnt(54)
	v_mul_f32_e32 v39, v18, v34
	s_waitcnt vmcnt(53) lgkmcnt(2)
	v_mul_f32_e32 v43, v10, v29
	s_waitcnt vmcnt(52)
	v_mul_f32_e32 v44, v12, v37
	s_waitcnt vmcnt(51) lgkmcnt(1)
	v_mul_f32_e32 v45, v6, v94
	s_waitcnt vmcnt(50)
	v_mul_f32_e32 v46, v8, v96
	s_waitcnt vmcnt(49)
	v_fmac_f32_e32 v39, v19, v116
	s_waitcnt vmcnt(48)
	v_fmac_f32_e32 v38, v25, v117
	;; [unrolled: 2-line block ×3, first 2 shown]
	v_add_f32_e32 v35, 0, v35
	v_add_f32_e32 v35, v35, v38
	;; [unrolled: 1-line block ×3, first 2 shown]
	s_waitcnt vmcnt(43)
	v_fmac_f32_e32 v40, v21, v122
	v_fmac_f32_e32 v41, v15, v121
	v_add_f32_e32 v35, v35, v40
	v_fmac_f32_e32 v42, v17, v120
	v_add_f32_e32 v35, v35, v41
	;; [unrolled: 2-line block ×3, first 2 shown]
	s_waitcnt vmcnt(39)
	v_fmac_f32_e32 v44, v13, v126
	v_add_f32_e32 v35, v35, v43
	v_fmac_f32_e32 v45, v7, v125
	v_add_f32_e32 v35, v35, v44
	;; [unrolled: 2-line block ×3, first 2 shown]
	s_waitcnt vmcnt(38) lgkmcnt(0)
	v_mul_f32_e32 v38, v2, v127
	v_add_f32_e32 v35, v35, v46
	v_fmac_f32_e32 v38, v3, v123
	v_add_f32_e32 v35, v35, v38
	ds_read2_b64 v[38:41], v36 offset0:89 offset1:90
	buffer_load_dword v164, off, s[0:3], 0 offset:352
	buffer_load_dword v165, off, s[0:3], 0 offset:356
	;; [unrolled: 1-line block ×4, first 2 shown]
	s_waitcnt vmcnt(35)
	v_mul_f32_e32 v42, v4, v134
	s_waitcnt vmcnt(34)
	v_fmac_f32_e32 v42, v5, v135
	v_add_f32_e32 v35, v35, v42
	ds_read2_b64 v[42:45], v36 offset0:91 offset1:92
	buffer_load_dword v168, off, s[0:3], 0 offset:368
	buffer_load_dword v169, off, s[0:3], 0 offset:372
	;; [unrolled: 1-line block ×10, first 2 shown]
	s_waitcnt lgkmcnt(1)
	v_mul_f32_e32 v46, v38, v129
	v_fmac_f32_e32 v46, v39, v128
	v_add_f32_e32 v35, v35, v46
	v_mul_f32_e32 v46, v40, v131
	v_fmac_f32_e32 v46, v41, v130
	v_add_f32_e32 v35, v35, v46
	s_waitcnt lgkmcnt(0)
	v_mul_f32_e32 v46, v42, v133
	v_fmac_f32_e32 v46, v43, v132
	v_add_f32_e32 v35, v35, v46
	buffer_load_dword v178, off, s[0:3], 0 offset:408
	buffer_load_dword v179, off, s[0:3], 0 offset:412
	;; [unrolled: 1-line block ×6, first 2 shown]
	ds_read2_b64 v[46:49], v36 offset0:93 offset1:94
	s_waitcnt vmcnt(46)
	v_mul_f32_e32 v50, v44, v137
	v_fmac_f32_e32 v50, v45, v136
	v_add_f32_e32 v35, v35, v50
	ds_read2_b64 v[50:53], v36 offset0:95 offset1:96
	s_waitcnt vmcnt(44) lgkmcnt(1)
	v_mul_f32_e32 v54, v46, v139
	v_fmac_f32_e32 v54, v47, v138
	v_add_f32_e32 v35, v35, v54
	s_waitcnt vmcnt(42)
	v_mul_f32_e32 v54, v48, v141
	v_fmac_f32_e32 v54, v49, v140
	v_add_f32_e32 v35, v35, v54
	s_waitcnt vmcnt(40) lgkmcnt(0)
	v_mul_f32_e32 v54, v50, v143
	v_fmac_f32_e32 v54, v51, v142
	v_add_f32_e32 v35, v35, v54
	ds_read2_b64 v[54:57], v36 offset0:97 offset1:98
	s_waitcnt vmcnt(38)
	v_mul_f32_e32 v58, v52, v145
	v_fmac_f32_e32 v58, v53, v144
	v_add_f32_e32 v35, v35, v58
	ds_read2_b64 v[58:61], v36 offset0:99 offset1:100
	s_waitcnt vmcnt(36) lgkmcnt(1)
	v_mul_f32_e32 v62, v54, v147
	v_fmac_f32_e32 v62, v55, v146
	v_add_f32_e32 v35, v35, v62
	s_waitcnt vmcnt(34)
	v_mul_f32_e32 v62, v56, v149
	v_fmac_f32_e32 v62, v57, v148
	v_add_f32_e32 v35, v35, v62
	s_waitcnt vmcnt(32) lgkmcnt(0)
	v_mul_f32_e32 v62, v58, v151
	v_fmac_f32_e32 v62, v59, v150
	v_add_f32_e32 v35, v35, v62
	;; [unrolled: 18-line block ×3, first 2 shown]
	ds_read2_b64 v[70:73], v36 offset0:105 offset1:106
	s_waitcnt vmcnt(22)
	v_mul_f32_e32 v74, v68, v161
	v_fmac_f32_e32 v74, v69, v160
	v_add_f32_e32 v35, v35, v74
	ds_read2_b64 v[74:77], v36 offset0:107 offset1:108
	s_waitcnt vmcnt(20) lgkmcnt(1)
	v_mul_f32_e32 v78, v70, v163
	v_fmac_f32_e32 v78, v71, v162
	v_add_f32_e32 v35, v35, v78
	v_mul_f32_e32 v23, v23, v33
	v_fma_f32 v22, v22, v118, -v23
	v_mul_f32_e32 v23, v25, v32
	v_add_f32_e32 v22, 0, v22
	v_fma_f32 v23, v24, v117, -v23
	v_mul_f32_e32 v19, v19, v34
	v_add_f32_e32 v22, v22, v23
	v_fma_f32 v18, v18, v116, -v19
	v_mul_f32_e32 v19, v21, v31
	s_waitcnt vmcnt(18)
	v_mul_f32_e32 v78, v72, v165
	v_fmac_f32_e32 v78, v73, v164
	v_add_f32_e32 v35, v35, v78
	s_waitcnt vmcnt(16) lgkmcnt(0)
	v_mul_f32_e32 v78, v74, v167
	v_fmac_f32_e32 v78, v75, v166
	v_add_f32_e32 v35, v35, v78
	ds_read2_b64 v[78:81], v36 offset0:109 offset1:110
	s_waitcnt vmcnt(14)
	v_mul_f32_e32 v82, v76, v169
	v_fmac_f32_e32 v82, v77, v168
	v_add_f32_e32 v35, v35, v82
	ds_read2_b64 v[82:85], v36 offset0:111 offset1:112
	s_waitcnt vmcnt(12) lgkmcnt(1)
	v_mul_f32_e32 v86, v78, v171
	v_fmac_f32_e32 v86, v79, v170
	v_add_f32_e32 v35, v35, v86
	s_waitcnt vmcnt(10)
	v_mul_f32_e32 v86, v80, v173
	v_fmac_f32_e32 v86, v81, v172
	v_add_f32_e32 v35, v35, v86
	s_waitcnt vmcnt(8) lgkmcnt(0)
	v_mul_f32_e32 v86, v82, v175
	v_fmac_f32_e32 v86, v83, v174
	s_waitcnt vmcnt(6)
	v_mul_f32_e32 v90, v84, v177
	v_add_f32_e32 v35, v35, v86
	v_fmac_f32_e32 v90, v85, v176
	ds_read2_b64 v[86:89], v36 offset0:113 offset1:114
	v_add_f32_e32 v35, v35, v90
	ds_read2_b64 v[90:93], v36 offset0:115 offset1:116
	buffer_load_dword v99, off, s[0:3], 0 offset:460
	buffer_load_dword v98, off, s[0:3], 0 offset:456
	;; [unrolled: 1-line block ×16, first 2 shown]
	v_add_f32_e32 v18, v22, v18
	v_fma_f32 v19, v20, v122, -v19
	v_mul_f32_e32 v15, v15, v30
	v_add_f32_e32 v18, v18, v19
	v_fma_f32 v14, v14, v121, -v15
	v_mul_f32_e32 v15, v17, v28
	;; [unrolled: 3-line block ×8, first 2 shown]
	v_add_f32_e32 v2, v6, v2
	v_fma_f32 v3, v4, v135, -v3
	v_add_f32_e32 v2, v2, v3
	v_mul_f32_e32 v3, v39, v129
	v_fma_f32 v3, v38, v128, -v3
	v_add_f32_e32 v2, v2, v3
	v_mul_f32_e32 v3, v41, v131
	;; [unrolled: 3-line block ×24, first 2 shown]
	v_fma_f32 v3, v84, v176, -v3
	v_add_f32_e32 v2, v2, v3
	s_waitcnt vmcnt(20) lgkmcnt(1)
	v_mul_f32_e32 v3, v87, v179
	v_mul_f32_e32 v95, v86, v179
	v_fma_f32 v3, v86, v178, -v3
	v_fmac_f32_e32 v95, v87, v178
	v_add_f32_e32 v34, v2, v3
	s_waitcnt vmcnt(18)
	v_mul_f32_e32 v2, v89, v181
	s_waitcnt vmcnt(9)
	v_mov_b32_e32 v18, v105
	v_add_f32_e32 v35, v35, v95
	v_mul_f32_e32 v95, v88, v181
	v_fma_f32 v94, v88, v180, -v2
	s_waitcnt lgkmcnt(0)
	v_mul_f32_e32 v2, v91, v183
	v_pk_mul_f32 v[18:19], v[92:93], v[18:19] op_sel_hi:[1,0]
	v_fmac_f32_e32 v95, v89, v180
	v_mul_f32_e32 v97, v90, v183
	v_fma_f32 v96, v90, v182, -v2
	ds_read2_b64 v[2:5], v36 offset0:117 offset1:118
	ds_read2_b64 v[6:9], v36 offset0:119 offset1:120
	;; [unrolled: 1-line block ×3, first 2 shown]
	ds_read_b64 v[14:15], v36 offset:984
	s_waitcnt vmcnt(8)
	v_pk_fma_f32 v[20:21], v[92:93], v[104:105], v[18:19] op_sel:[0,0,1] op_sel_hi:[1,1,0] neg_lo:[0,0,1] neg_hi:[0,0,1]
	v_pk_fma_f32 v[18:19], v[92:93], v[104:105], v[18:19] op_sel:[0,0,1] op_sel_hi:[1,0,0]
	v_fmac_f32_e32 v97, v91, v182
	v_pk_add_f32 v[16:17], v[34:35], v[94:95]
	v_mov_b32_e32 v18, v103
	v_pk_add_f32 v[16:17], v[16:17], v[96:97]
	v_mov_b32_e32 v21, v19
	s_waitcnt lgkmcnt(3)
	v_pk_mul_f32 v[18:19], v[2:3], v[18:19] op_sel_hi:[1,0]
	v_pk_add_f32 v[16:17], v[16:17], v[20:21]
	v_pk_fma_f32 v[20:21], v[2:3], v[102:103], v[18:19] op_sel:[0,0,1] op_sel_hi:[1,1,0] neg_lo:[0,0,1] neg_hi:[0,0,1]
	v_pk_fma_f32 v[2:3], v[2:3], v[102:103], v[18:19] op_sel:[0,0,1] op_sel_hi:[1,0,0]
	v_mov_b32_e32 v21, v3
	v_pk_add_f32 v[2:3], v[16:17], v[20:21]
	v_mov_b32_e32 v16, v101
	v_pk_mul_f32 v[16:17], v[4:5], v[16:17] op_sel_hi:[1,0]
	v_pk_fma_f32 v[18:19], v[4:5], v[100:101], v[16:17] op_sel:[0,0,1] op_sel_hi:[1,1,0] neg_lo:[0,0,1] neg_hi:[0,0,1]
	v_pk_fma_f32 v[4:5], v[4:5], v[100:101], v[16:17] op_sel:[0,0,1] op_sel_hi:[1,0,0]
	v_mov_b32_e32 v4, v99
	v_mov_b32_e32 v19, v5
	s_waitcnt lgkmcnt(2)
	v_pk_mul_f32 v[4:5], v[6:7], v[4:5] op_sel_hi:[1,0]
	v_pk_fma_f32 v[16:17], v[6:7], v[98:99], v[4:5] op_sel:[0,0,1] op_sel_hi:[1,1,0] neg_lo:[0,0,1] neg_hi:[0,0,1]
	v_pk_fma_f32 v[4:5], v[6:7], v[98:99], v[4:5] op_sel:[0,0,1] op_sel_hi:[1,0,0]
	s_waitcnt vmcnt(1)
	v_mov_b32_e32 v4, v115
	v_mov_b32_e32 v17, v5
	v_pk_mul_f32 v[4:5], v[8:9], v[4:5] op_sel_hi:[1,0]
	s_waitcnt vmcnt(0)
	v_pk_fma_f32 v[6:7], v[8:9], v[114:115], v[4:5] op_sel:[0,0,1] op_sel_hi:[1,1,0] neg_lo:[0,0,1] neg_hi:[0,0,1]
	v_pk_fma_f32 v[4:5], v[8:9], v[114:115], v[4:5] op_sel:[0,0,1] op_sel_hi:[1,0,0]
	v_pk_add_f32 v[2:3], v[2:3], v[18:19]
	v_mov_b32_e32 v4, v113
	v_pk_add_f32 v[2:3], v[2:3], v[16:17]
	v_mov_b32_e32 v7, v5
	s_waitcnt lgkmcnt(1)
	v_pk_mul_f32 v[4:5], v[10:11], v[4:5] op_sel_hi:[1,0]
	v_pk_add_f32 v[2:3], v[2:3], v[6:7]
	v_pk_fma_f32 v[6:7], v[10:11], v[112:113], v[4:5] op_sel:[0,0,1] op_sel_hi:[1,1,0] neg_lo:[0,0,1] neg_hi:[0,0,1]
	v_pk_fma_f32 v[4:5], v[10:11], v[112:113], v[4:5] op_sel:[0,0,1] op_sel_hi:[1,0,0]
	v_mov_b32_e32 v4, v111
	v_mov_b32_e32 v7, v5
	v_pk_mul_f32 v[4:5], v[12:13], v[4:5] op_sel_hi:[1,0]
	v_pk_add_f32 v[2:3], v[2:3], v[6:7]
	v_pk_fma_f32 v[6:7], v[12:13], v[110:111], v[4:5] op_sel:[0,0,1] op_sel_hi:[1,1,0] neg_lo:[0,0,1] neg_hi:[0,0,1]
	v_pk_fma_f32 v[4:5], v[12:13], v[110:111], v[4:5] op_sel:[0,0,1] op_sel_hi:[1,0,0]
	v_mov_b32_e32 v4, v107
	v_mov_b32_e32 v7, v5
	s_waitcnt lgkmcnt(0)
	v_pk_mul_f32 v[4:5], v[14:15], v[4:5] op_sel_hi:[1,0]
	v_pk_add_f32 v[2:3], v[2:3], v[6:7]
	v_pk_fma_f32 v[6:7], v[14:15], v[106:107], v[4:5] op_sel:[0,0,1] op_sel_hi:[1,1,0] neg_lo:[0,0,1] neg_hi:[0,0,1]
	v_pk_fma_f32 v[4:5], v[14:15], v[106:107], v[4:5] op_sel:[0,0,1] op_sel_hi:[1,0,0]
	v_mov_b32_e32 v7, v5
	v_pk_add_f32 v[2:3], v[2:3], v[6:7]
	v_pk_add_f32 v[2:3], v[26:27], v[2:3] neg_lo:[0,1] neg_hi:[0,1]
	buffer_store_dword v3, off, s[0:3], 0 offset:116
	buffer_store_dword v2, off, s[0:3], 0 offset:112
	s_and_saveexec_b64 s[4:5], vcc
	s_cbranch_execz .LBB61_359
; %bb.358:
	buffer_load_dword v2, off, s[0:3], 0 offset:104
	buffer_load_dword v3, off, s[0:3], 0 offset:108
	s_waitcnt vmcnt(0)
	ds_write_b64 v210, v[2:3]
	buffer_store_dword v36, off, s[0:3], 0 offset:104
	buffer_store_dword v36, off, s[0:3], 0 offset:108
.LBB61_359:
	s_or_b64 exec, exec, s[4:5]
	s_waitcnt lgkmcnt(0)
	; wave barrier
	s_waitcnt lgkmcnt(0)
	buffer_load_dword v42, off, s[0:3], 0 offset:116
	buffer_load_dword v41, off, s[0:3], 0 offset:124
	;; [unrolled: 1-line block ×32, first 2 shown]
	ds_read_b128 v[22:25], v36 offset:608
	ds_read_b128 v[18:21], v36 offset:624
	;; [unrolled: 1-line block ×6, first 2 shown]
	buffer_load_dword v136, off, s[0:3], 0 offset:232
	buffer_load_dword v137, off, s[0:3], 0 offset:236
	;; [unrolled: 1-line block ×26, first 2 shown]
	v_cmp_lt_u32_e32 vcc, 12, v0
	s_waitcnt vmcnt(57) lgkmcnt(5)
	v_mul_f32_e32 v26, v22, v42
	s_waitcnt vmcnt(56)
	v_mul_f32_e32 v27, v24, v41
	s_waitcnt vmcnt(55) lgkmcnt(4)
	v_mul_f32_e32 v29, v20, v40
	s_waitcnt vmcnt(54) lgkmcnt(3)
	v_mul_f32_e32 v30, v14, v39
	s_waitcnt vmcnt(53)
	v_mul_f32_e32 v31, v16, v37
	s_waitcnt vmcnt(52)
	v_mul_f32_e32 v28, v18, v43
	s_waitcnt vmcnt(51) lgkmcnt(2)
	v_mul_f32_e32 v32, v10, v38
	s_waitcnt vmcnt(50)
	v_mul_f32_e32 v33, v12, v44
	s_waitcnt vmcnt(49) lgkmcnt(1)
	;; [unrolled: 4-line block ×3, first 2 shown]
	v_mul_f32_e32 v47, v2, v116
	s_waitcnt vmcnt(46)
	v_fmac_f32_e32 v28, v19, v117
	s_waitcnt vmcnt(45)
	v_fmac_f32_e32 v27, v25, v118
	s_waitcnt vmcnt(44)
	v_fmac_f32_e32 v26, v23, v119
	v_add_f32_e32 v26, 0, v26
	v_add_f32_e32 v26, v26, v27
	;; [unrolled: 1-line block ×3, first 2 shown]
	s_waitcnt vmcnt(40)
	v_fmac_f32_e32 v29, v21, v123
	v_fmac_f32_e32 v30, v15, v122
	v_add_f32_e32 v26, v26, v29
	v_fmac_f32_e32 v31, v17, v121
	v_add_f32_e32 v26, v26, v30
	;; [unrolled: 2-line block ×3, first 2 shown]
	s_waitcnt vmcnt(36)
	v_fmac_f32_e32 v33, v13, v127
	v_add_f32_e32 v26, v26, v32
	v_fmac_f32_e32 v45, v7, v126
	v_add_f32_e32 v26, v26, v33
	;; [unrolled: 2-line block ×4, first 2 shown]
	s_waitcnt vmcnt(30)
	v_mul_f32_e32 v27, v4, v133
	v_add_f32_e32 v26, v26, v47
	s_waitcnt vmcnt(29)
	v_fmac_f32_e32 v27, v5, v134
	v_add_f32_e32 v45, v26, v27
	ds_read_b128 v[26:29], v36 offset:704
	buffer_load_dword v162, off, s[0:3], 0 offset:336
	buffer_load_dword v163, off, s[0:3], 0 offset:340
	ds_read_b128 v[30:33], v36 offset:720
	buffer_load_dword v164, off, s[0:3], 0 offset:344
	buffer_load_dword v165, off, s[0:3], 0 offset:348
	buffer_load_dword v166, off, s[0:3], 0 offset:352
	buffer_load_dword v167, off, s[0:3], 0 offset:356
	buffer_load_dword v168, off, s[0:3], 0 offset:360
	buffer_load_dword v169, off, s[0:3], 0 offset:364
	buffer_load_dword v170, off, s[0:3], 0 offset:368
	buffer_load_dword v171, off, s[0:3], 0 offset:372
	buffer_load_dword v172, off, s[0:3], 0 offset:376
	buffer_load_dword v173, off, s[0:3], 0 offset:380
	buffer_load_dword v174, off, s[0:3], 0 offset:384
	buffer_load_dword v175, off, s[0:3], 0 offset:388
	buffer_load_dword v176, off, s[0:3], 0 offset:392
	buffer_load_dword v177, off, s[0:3], 0 offset:396
	s_waitcnt vmcnt(44) lgkmcnt(1)
	v_mul_f32_e32 v46, v26, v135
	v_fmac_f32_e32 v46, v27, v132
	v_add_f32_e32 v45, v45, v46
	v_mul_f32_e32 v46, v28, v129
	v_fmac_f32_e32 v46, v29, v128
	v_add_f32_e32 v45, v45, v46
	s_waitcnt lgkmcnt(0)
	v_mul_f32_e32 v46, v30, v131
	v_fmac_f32_e32 v46, v31, v130
	v_add_f32_e32 v45, v45, v46
	buffer_load_dword v178, off, s[0:3], 0 offset:400
	buffer_load_dword v179, off, s[0:3], 0 offset:404
	ds_read_b128 v[46:49], v36 offset:736
	s_waitcnt vmcnt(42)
	v_mul_f32_e32 v50, v32, v137
	v_fmac_f32_e32 v50, v33, v136
	buffer_load_dword v180, off, s[0:3], 0 offset:408
	buffer_load_dword v181, off, s[0:3], 0 offset:412
	v_add_f32_e32 v45, v45, v50
	buffer_load_dword v182, off, s[0:3], 0 offset:416
	buffer_load_dword v183, off, s[0:3], 0 offset:420
	ds_read_b128 v[50:53], v36 offset:752
	s_waitcnt vmcnt(44) lgkmcnt(1)
	v_mul_f32_e32 v54, v46, v139
	v_fmac_f32_e32 v54, v47, v138
	v_add_f32_e32 v45, v45, v54
	s_waitcnt vmcnt(42)
	v_mul_f32_e32 v54, v48, v141
	v_fmac_f32_e32 v54, v49, v140
	v_add_f32_e32 v45, v45, v54
	s_waitcnt vmcnt(40) lgkmcnt(0)
	v_mul_f32_e32 v54, v50, v143
	v_fmac_f32_e32 v54, v51, v142
	buffer_load_dword v184, off, s[0:3], 0 offset:424
	buffer_load_dword v185, off, s[0:3], 0 offset:428
	v_add_f32_e32 v45, v45, v54
	ds_read_b128 v[54:57], v36 offset:768
	s_waitcnt vmcnt(40)
	v_mul_f32_e32 v58, v52, v145
	v_fmac_f32_e32 v58, v53, v144
	v_add_f32_e32 v45, v45, v58
	ds_read_b128 v[58:61], v36 offset:784
	s_waitcnt vmcnt(38) lgkmcnt(1)
	v_mul_f32_e32 v62, v54, v147
	v_fmac_f32_e32 v62, v55, v146
	v_add_f32_e32 v45, v45, v62
	s_waitcnt vmcnt(36)
	v_mul_f32_e32 v62, v56, v149
	v_fmac_f32_e32 v62, v57, v148
	v_add_f32_e32 v45, v45, v62
	s_waitcnt vmcnt(34) lgkmcnt(0)
	v_mul_f32_e32 v62, v58, v151
	v_fmac_f32_e32 v62, v59, v150
	v_add_f32_e32 v45, v45, v62
	ds_read_b128 v[62:65], v36 offset:800
	s_waitcnt vmcnt(32)
	v_mul_f32_e32 v66, v60, v153
	v_fmac_f32_e32 v66, v61, v152
	v_add_f32_e32 v45, v45, v66
	ds_read_b128 v[66:69], v36 offset:816
	s_waitcnt vmcnt(30) lgkmcnt(1)
	v_mul_f32_e32 v70, v62, v155
	v_fmac_f32_e32 v70, v63, v154
	v_add_f32_e32 v45, v45, v70
	s_waitcnt vmcnt(28)
	v_mul_f32_e32 v70, v64, v157
	v_fmac_f32_e32 v70, v65, v156
	v_add_f32_e32 v45, v45, v70
	s_waitcnt vmcnt(26) lgkmcnt(0)
	v_mul_f32_e32 v70, v66, v159
	v_fmac_f32_e32 v70, v67, v158
	v_add_f32_e32 v45, v45, v70
	ds_read_b128 v[70:73], v36 offset:832
	s_waitcnt vmcnt(24)
	v_mul_f32_e32 v74, v68, v161
	v_fmac_f32_e32 v74, v69, v160
	v_add_f32_e32 v45, v45, v74
	ds_read_b128 v[74:77], v36 offset:848
	v_mul_f32_e32 v23, v23, v42
	v_fma_f32 v22, v22, v119, -v23
	v_mul_f32_e32 v23, v25, v41
	v_add_f32_e32 v22, 0, v22
	v_fma_f32 v23, v24, v118, -v23
	v_mul_f32_e32 v19, v19, v43
	v_add_f32_e32 v22, v22, v23
	;; [unrolled: 3-line block ×3, first 2 shown]
	v_fma_f32 v19, v20, v123, -v19
	s_waitcnt vmcnt(22) lgkmcnt(1)
	v_mul_f32_e32 v78, v70, v163
	v_fmac_f32_e32 v78, v71, v162
	v_add_f32_e32 v45, v45, v78
	s_waitcnt vmcnt(20)
	v_mul_f32_e32 v78, v72, v165
	v_fmac_f32_e32 v78, v73, v164
	v_add_f32_e32 v45, v45, v78
	s_waitcnt vmcnt(18) lgkmcnt(0)
	v_mul_f32_e32 v78, v74, v167
	v_fmac_f32_e32 v78, v75, v166
	v_add_f32_e32 v45, v45, v78
	ds_read_b128 v[78:81], v36 offset:864
	s_waitcnt vmcnt(16)
	v_mul_f32_e32 v82, v76, v169
	v_fmac_f32_e32 v82, v77, v168
	v_add_f32_e32 v45, v45, v82
	ds_read_b128 v[82:85], v36 offset:880
	s_waitcnt vmcnt(14) lgkmcnt(1)
	v_mul_f32_e32 v86, v78, v171
	v_fmac_f32_e32 v86, v79, v170
	v_add_f32_e32 v45, v45, v86
	s_waitcnt vmcnt(12)
	v_mul_f32_e32 v86, v80, v173
	v_fmac_f32_e32 v86, v81, v172
	v_add_f32_e32 v45, v45, v86
	s_waitcnt vmcnt(10) lgkmcnt(0)
	v_mul_f32_e32 v86, v82, v175
	v_fmac_f32_e32 v86, v83, v174
	s_waitcnt vmcnt(8)
	v_mul_f32_e32 v90, v84, v177
	v_add_f32_e32 v45, v45, v86
	v_fmac_f32_e32 v90, v85, v176
	ds_read_b128 v[86:89], v36 offset:896
	v_add_f32_e32 v45, v45, v90
	ds_read_b128 v[90:93], v36 offset:912
	buffer_load_dword v97, off, s[0:3], 0 offset:452
	buffer_load_dword v96, off, s[0:3], 0 offset:448
	buffer_load_dword v99, off, s[0:3], 0 offset:444
	buffer_load_dword v98, off, s[0:3], 0 offset:440
	buffer_load_dword v101, off, s[0:3], 0 offset:436
	buffer_load_dword v100, off, s[0:3], 0 offset:432
	buffer_load_dword v105, off, s[0:3], 0 offset:484
	buffer_load_dword v104, off, s[0:3], 0 offset:480
	buffer_load_dword v107, off, s[0:3], 0 offset:476
	buffer_load_dword v106, off, s[0:3], 0 offset:472
	buffer_load_dword v111, off, s[0:3], 0 offset:468
	buffer_load_dword v110, off, s[0:3], 0 offset:464
	buffer_load_dword v113, off, s[0:3], 0 offset:460
	buffer_load_dword v112, off, s[0:3], 0 offset:456
	buffer_load_dword v115, off, s[0:3], 0 offset:492
	buffer_load_dword v114, off, s[0:3], 0 offset:488
	v_mul_f32_e32 v15, v15, v39
	v_add_f32_e32 v18, v18, v19
	v_fma_f32 v14, v14, v122, -v15
	v_mul_f32_e32 v15, v17, v37
	v_add_f32_e32 v14, v18, v14
	v_fma_f32 v15, v16, v121, -v15
	;; [unrolled: 3-line block ×8, first 2 shown]
	v_add_f32_e32 v2, v2, v3
	v_mul_f32_e32 v3, v27, v135
	v_fma_f32 v3, v26, v132, -v3
	v_add_f32_e32 v2, v2, v3
	v_mul_f32_e32 v3, v29, v129
	v_fma_f32 v3, v28, v128, -v3
	;; [unrolled: 3-line block ×24, first 2 shown]
	v_add_f32_e32 v2, v2, v3
	s_waitcnt vmcnt(22) lgkmcnt(1)
	v_mul_f32_e32 v3, v87, v179
	v_fma_f32 v3, v86, v178, -v3
	v_add_f32_e32 v2, v2, v3
	s_waitcnt vmcnt(20)
	v_mul_f32_e32 v3, v89, v181
	v_mul_f32_e32 v95, v86, v179
	v_fma_f32 v3, v88, v180, -v3
	v_fmac_f32_e32 v95, v87, v178
	v_add_f32_e32 v44, v2, v3
	s_waitcnt vmcnt(18) lgkmcnt(0)
	v_mul_f32_e32 v2, v91, v183
	v_add_f32_e32 v45, v45, v95
	v_mul_f32_e32 v95, v88, v181
	v_fma_f32 v94, v90, v182, -v2
	s_waitcnt vmcnt(16)
	v_mul_f32_e32 v2, v93, v185
	v_fmac_f32_e32 v95, v89, v180
	v_fma_f32 v102, v92, v184, -v2
	ds_read_b128 v[2:5], v36 offset:928
	ds_read_b128 v[6:9], v36 offset:944
	;; [unrolled: 1-line block ×4, first 2 shown]
	v_add_f32_e32 v45, v45, v95
	v_mul_f32_e32 v95, v90, v183
	s_waitcnt vmcnt(11)
	v_mov_b32_e32 v20, v101
	v_fmac_f32_e32 v95, v91, v182
	v_mul_f32_e32 v103, v92, v185
	s_waitcnt lgkmcnt(3)
	v_pk_mul_f32 v[20:21], v[2:3], v[20:21] op_sel_hi:[1,0]
	v_fmac_f32_e32 v103, v93, v184
	v_pk_add_f32 v[18:19], v[44:45], v[94:95]
	s_waitcnt vmcnt(10)
	v_pk_fma_f32 v[22:23], v[2:3], v[100:101], v[20:21] op_sel:[0,0,1] op_sel_hi:[1,1,0] neg_lo:[0,0,1] neg_hi:[0,0,1]
	v_pk_fma_f32 v[2:3], v[2:3], v[100:101], v[20:21] op_sel:[0,0,1] op_sel_hi:[1,0,0]
	v_pk_add_f32 v[18:19], v[18:19], v[102:103]
	v_mov_b32_e32 v23, v3
	v_pk_add_f32 v[2:3], v[18:19], v[22:23]
	v_mov_b32_e32 v18, v99
	v_pk_mul_f32 v[18:19], v[4:5], v[18:19] op_sel_hi:[1,0]
	v_pk_fma_f32 v[20:21], v[4:5], v[98:99], v[18:19] op_sel:[0,0,1] op_sel_hi:[1,1,0] neg_lo:[0,0,1] neg_hi:[0,0,1]
	v_pk_fma_f32 v[4:5], v[4:5], v[98:99], v[18:19] op_sel:[0,0,1] op_sel_hi:[1,0,0]
	v_mov_b32_e32 v4, v97
	v_mov_b32_e32 v21, v5
	s_waitcnt lgkmcnt(2)
	v_pk_mul_f32 v[4:5], v[6:7], v[4:5] op_sel_hi:[1,0]
	v_pk_fma_f32 v[18:19], v[6:7], v[96:97], v[4:5] op_sel:[0,0,1] op_sel_hi:[1,1,0] neg_lo:[0,0,1] neg_hi:[0,0,1]
	v_pk_fma_f32 v[4:5], v[6:7], v[96:97], v[4:5] op_sel:[0,0,1] op_sel_hi:[1,0,0]
	s_waitcnt vmcnt(3)
	v_mov_b32_e32 v4, v113
	v_mov_b32_e32 v19, v5
	v_pk_mul_f32 v[4:5], v[8:9], v[4:5] op_sel_hi:[1,0]
	s_waitcnt vmcnt(2)
	v_pk_fma_f32 v[6:7], v[8:9], v[112:113], v[4:5] op_sel:[0,0,1] op_sel_hi:[1,1,0] neg_lo:[0,0,1] neg_hi:[0,0,1]
	v_pk_fma_f32 v[4:5], v[8:9], v[112:113], v[4:5] op_sel:[0,0,1] op_sel_hi:[1,0,0]
	v_pk_add_f32 v[2:3], v[2:3], v[20:21]
	v_mov_b32_e32 v4, v111
	v_pk_add_f32 v[2:3], v[2:3], v[18:19]
	v_mov_b32_e32 v7, v5
	s_waitcnt lgkmcnt(1)
	v_pk_mul_f32 v[4:5], v[10:11], v[4:5] op_sel_hi:[1,0]
	v_pk_add_f32 v[2:3], v[2:3], v[6:7]
	v_pk_fma_f32 v[6:7], v[10:11], v[110:111], v[4:5] op_sel:[0,0,1] op_sel_hi:[1,1,0] neg_lo:[0,0,1] neg_hi:[0,0,1]
	v_pk_fma_f32 v[4:5], v[10:11], v[110:111], v[4:5] op_sel:[0,0,1] op_sel_hi:[1,0,0]
	v_mov_b32_e32 v4, v107
	v_mov_b32_e32 v7, v5
	v_pk_mul_f32 v[4:5], v[12:13], v[4:5] op_sel_hi:[1,0]
	v_pk_add_f32 v[2:3], v[2:3], v[6:7]
	v_pk_fma_f32 v[6:7], v[12:13], v[106:107], v[4:5] op_sel:[0,0,1] op_sel_hi:[1,1,0] neg_lo:[0,0,1] neg_hi:[0,0,1]
	v_pk_fma_f32 v[4:5], v[12:13], v[106:107], v[4:5] op_sel:[0,0,1] op_sel_hi:[1,0,0]
	v_mov_b32_e32 v4, v105
	v_mov_b32_e32 v7, v5
	s_waitcnt lgkmcnt(0)
	v_pk_mul_f32 v[4:5], v[14:15], v[4:5] op_sel_hi:[1,0]
	v_pk_add_f32 v[2:3], v[2:3], v[6:7]
	v_pk_fma_f32 v[6:7], v[14:15], v[104:105], v[4:5] op_sel:[0,0,1] op_sel_hi:[1,1,0] neg_lo:[0,0,1] neg_hi:[0,0,1]
	v_pk_fma_f32 v[4:5], v[14:15], v[104:105], v[4:5] op_sel:[0,0,1] op_sel_hi:[1,0,0]
	s_waitcnt vmcnt(1)
	v_mov_b32_e32 v4, v115
	v_mov_b32_e32 v7, v5
	v_pk_mul_f32 v[4:5], v[16:17], v[4:5] op_sel_hi:[1,0]
	v_pk_add_f32 v[2:3], v[2:3], v[6:7]
	s_waitcnt vmcnt(0)
	v_pk_fma_f32 v[6:7], v[16:17], v[114:115], v[4:5] op_sel:[0,0,1] op_sel_hi:[1,1,0] neg_lo:[0,0,1] neg_hi:[0,0,1]
	v_pk_fma_f32 v[4:5], v[16:17], v[114:115], v[4:5] op_sel:[0,0,1] op_sel_hi:[1,0,0]
	v_mov_b32_e32 v7, v5
	v_pk_add_f32 v[2:3], v[2:3], v[6:7]
	v_pk_add_f32 v[2:3], v[34:35], v[2:3] neg_lo:[0,1] neg_hi:[0,1]
	buffer_store_dword v3, off, s[0:3], 0 offset:108
	buffer_store_dword v2, off, s[0:3], 0 offset:104
	s_and_saveexec_b64 s[4:5], vcc
	s_cbranch_execz .LBB61_361
; %bb.360:
	buffer_load_dword v2, off, s[0:3], 0 offset:96
	buffer_load_dword v3, off, s[0:3], 0 offset:100
	v_mov_b32_e32 v4, 0
	buffer_store_dword v4, off, s[0:3], 0 offset:96
	buffer_store_dword v4, off, s[0:3], 0 offset:100
	s_waitcnt vmcnt(2)
	ds_write_b64 v210, v[2:3]
.LBB61_361:
	s_or_b64 exec, exec, s[4:5]
	v_mov_b32_e32 v234, 0
	s_waitcnt lgkmcnt(0)
	; wave barrier
	s_waitcnt lgkmcnt(0)
	ds_read2_b64 v[2:5], v234 offset0:75 offset1:76
	buffer_load_dword v86, off, s[0:3], 0 offset:96
	buffer_load_dword v87, off, s[0:3], 0 offset:100
	;; [unrolled: 1-line block ×16, first 2 shown]
	v_cmp_lt_u32_e32 vcc, 11, v0
	s_waitcnt vmcnt(12) lgkmcnt(0)
	v_mul_f32_e32 v6, v2, v110
	v_fmac_f32_e32 v6, v3, v88
	s_waitcnt vmcnt(10)
	v_mul_f32_e32 v7, v4, v112
	v_add_f32_e32 v6, 0, v6
	v_fmac_f32_e32 v7, v5, v90
	v_add_f32_e32 v10, v6, v7
	ds_read2_b64 v[6:9], v234 offset0:77 offset1:78
	v_mul_f32_e32 v3, v3, v110
	v_fma_f32 v2, v2, v88, -v3
	v_mul_f32_e32 v3, v5, v112
	v_add_f32_e32 v2, 0, v2
	s_waitcnt vmcnt(8) lgkmcnt(0)
	v_mul_f32_e32 v11, v6, v114
	v_fmac_f32_e32 v11, v7, v94
	v_add_f32_e32 v10, v10, v11
	s_waitcnt vmcnt(6)
	v_mul_f32_e32 v11, v8, v116
	v_fmac_f32_e32 v11, v9, v111
	v_add_f32_e32 v14, v10, v11
	ds_read2_b64 v[10:13], v234 offset0:79 offset1:80
	v_fma_f32 v3, v4, v90, -v3
	v_add_f32_e32 v2, v2, v3
	v_mul_f32_e32 v3, v7, v114
	v_fma_f32 v3, v6, v94, -v3
	s_waitcnt vmcnt(4) lgkmcnt(0)
	v_mul_f32_e32 v15, v10, v118
	v_fmac_f32_e32 v15, v11, v113
	v_add_f32_e32 v14, v14, v15
	s_waitcnt vmcnt(2)
	v_mul_f32_e32 v15, v12, v119
	v_fmac_f32_e32 v15, v13, v115
	v_add_f32_e32 v18, v14, v15
	ds_read2_b64 v[14:17], v234 offset0:81 offset1:82
	buffer_load_dword v121, off, s[0:3], 0 offset:160
	buffer_load_dword v122, off, s[0:3], 0 offset:164
	v_add_f32_e32 v2, v2, v3
	v_mul_f32_e32 v3, v9, v116
	v_fma_f32 v3, v8, v111, -v3
	s_waitcnt vmcnt(2) lgkmcnt(0)
	v_mul_f32_e32 v19, v14, v120
	v_fmac_f32_e32 v19, v15, v117
	v_add_f32_e32 v18, v18, v19
	v_add_f32_e32 v2, v2, v3
	v_mul_f32_e32 v3, v11, v118
	v_fma_f32 v3, v10, v113, -v3
	v_add_f32_e32 v2, v2, v3
	v_mul_f32_e32 v3, v13, v119
	v_fma_f32 v3, v12, v115, -v3
	;; [unrolled: 3-line block ×3, first 2 shown]
	v_add_f32_e32 v2, v2, v3
	s_waitcnt vmcnt(0)
	v_mul_f32_e32 v19, v16, v122
	v_fmac_f32_e32 v19, v17, v121
	v_add_f32_e32 v22, v18, v19
	ds_read2_b64 v[18:21], v234 offset0:83 offset1:84
	buffer_load_dword v123, off, s[0:3], 0 offset:168
	buffer_load_dword v124, off, s[0:3], 0 offset:172
	;; [unrolled: 1-line block ×4, first 2 shown]
	v_mul_f32_e32 v3, v17, v122
	v_fma_f32 v3, v16, v121, -v3
	v_add_f32_e32 v2, v2, v3
	s_waitcnt vmcnt(2) lgkmcnt(0)
	v_mul_f32_e32 v23, v18, v124
	v_fmac_f32_e32 v23, v19, v123
	v_add_f32_e32 v22, v22, v23
	s_waitcnt vmcnt(0)
	v_mul_f32_e32 v23, v20, v126
	v_fmac_f32_e32 v23, v21, v125
	v_add_f32_e32 v26, v22, v23
	ds_read2_b64 v[22:25], v234 offset0:85 offset1:86
	buffer_load_dword v127, off, s[0:3], 0 offset:184
	buffer_load_dword v128, off, s[0:3], 0 offset:188
	;; [unrolled: 1-line block ×4, first 2 shown]
	v_mul_f32_e32 v3, v19, v124
	v_fma_f32 v3, v18, v123, -v3
	v_add_f32_e32 v2, v2, v3
	v_mul_f32_e32 v3, v21, v126
	v_fma_f32 v3, v20, v125, -v3
	v_add_f32_e32 v2, v2, v3
	s_waitcnt vmcnt(2) lgkmcnt(0)
	v_mul_f32_e32 v27, v22, v128
	v_fmac_f32_e32 v27, v23, v127
	v_add_f32_e32 v26, v26, v27
	s_waitcnt vmcnt(0)
	v_mul_f32_e32 v27, v24, v130
	v_fmac_f32_e32 v27, v25, v129
	v_add_f32_e32 v30, v26, v27
	ds_read2_b64 v[26:29], v234 offset0:87 offset1:88
	buffer_load_dword v131, off, s[0:3], 0 offset:200
	buffer_load_dword v132, off, s[0:3], 0 offset:204
	;; [unrolled: 1-line block ×4, first 2 shown]
	v_mul_f32_e32 v3, v23, v128
	v_fma_f32 v3, v22, v127, -v3
	v_add_f32_e32 v2, v2, v3
	v_mul_f32_e32 v3, v25, v130
	v_fma_f32 v3, v24, v129, -v3
	v_add_f32_e32 v2, v2, v3
	s_waitcnt vmcnt(2) lgkmcnt(0)
	v_mul_f32_e32 v31, v26, v132
	v_fmac_f32_e32 v31, v27, v131
	v_add_f32_e32 v30, v30, v31
	s_waitcnt vmcnt(0)
	v_mul_f32_e32 v31, v28, v134
	v_fmac_f32_e32 v31, v29, v133
	v_add_f32_e32 v34, v30, v31
	ds_read2_b64 v[30:33], v234 offset0:89 offset1:90
	buffer_load_dword v135, off, s[0:3], 0 offset:216
	buffer_load_dword v136, off, s[0:3], 0 offset:220
	buffer_load_dword v137, off, s[0:3], 0 offset:224
	buffer_load_dword v138, off, s[0:3], 0 offset:228
	ds_read2_b64 v[38:41], v234 offset0:91 offset1:92
	buffer_load_dword v139, off, s[0:3], 0 offset:232
	buffer_load_dword v140, off, s[0:3], 0 offset:236
	buffer_load_dword v141, off, s[0:3], 0 offset:240
	buffer_load_dword v142, off, s[0:3], 0 offset:244
	;; [unrolled: 5-line block ×13, first 2 shown]
	v_mul_f32_e32 v3, v27, v132
	v_fma_f32 v3, v26, v131, -v3
	v_add_f32_e32 v2, v2, v3
	v_mul_f32_e32 v3, v29, v134
	v_fma_f32 v3, v28, v133, -v3
	v_add_f32_e32 v2, v2, v3
	s_waitcnt vmcnt(50) lgkmcnt(12)
	v_mul_f32_e32 v35, v30, v136
	v_fmac_f32_e32 v35, v31, v135
	v_add_f32_e32 v34, v34, v35
	s_waitcnt vmcnt(48)
	v_mul_f32_e32 v35, v32, v138
	v_fmac_f32_e32 v35, v33, v137
	v_add_f32_e32 v34, v34, v35
	s_waitcnt vmcnt(46) lgkmcnt(11)
	v_mul_f32_e32 v35, v38, v140
	v_fmac_f32_e32 v35, v39, v139
	v_add_f32_e32 v34, v34, v35
	s_waitcnt vmcnt(44)
	v_mul_f32_e32 v35, v40, v142
	v_fmac_f32_e32 v35, v41, v141
	;; [unrolled: 8-line block ×12, first 2 shown]
	v_add_f32_e32 v34, v34, v35
	s_waitcnt vmcnt(2) lgkmcnt(0)
	v_mul_f32_e32 v35, v82, v184
	v_fmac_f32_e32 v35, v83, v183
	v_add_f32_e32 v89, v34, v35
	ds_read2_b64 v[34:37], v234 offset0:115 offset1:116
	buffer_load_dword v187, off, s[0:3], 0 offset:424
	buffer_load_dword v188, off, s[0:3], 0 offset:428
	buffer_load_dword v93, off, s[0:3], 0 offset:436
	buffer_load_dword v92, off, s[0:3], 0 offset:432
	buffer_load_dword v233, off, s[0:3], 0 offset:444
	buffer_load_dword v232, off, s[0:3], 0 offset:440
	buffer_load_dword v107, off, s[0:3], 0 offset:452
	buffer_load_dword v106, off, s[0:3], 0 offset:448
	buffer_load_dword v105, off, s[0:3], 0 offset:460
	buffer_load_dword v104, off, s[0:3], 0 offset:456
	buffer_load_dword v103, off, s[0:3], 0 offset:468
	buffer_load_dword v102, off, s[0:3], 0 offset:464
	buffer_load_dword v101, off, s[0:3], 0 offset:476
	buffer_load_dword v100, off, s[0:3], 0 offset:472
	buffer_load_dword v99, off, s[0:3], 0 offset:484
	buffer_load_dword v98, off, s[0:3], 0 offset:480
	buffer_load_dword v97, off, s[0:3], 0 offset:492
	buffer_load_dword v96, off, s[0:3], 0 offset:488
	v_mul_f32_e32 v3, v31, v136
	v_fma_f32 v3, v30, v135, -v3
	v_add_f32_e32 v2, v2, v3
	v_mul_f32_e32 v3, v33, v138
	v_fma_f32 v3, v32, v137, -v3
	v_add_f32_e32 v2, v2, v3
	;; [unrolled: 3-line block ×25, first 2 shown]
	s_waitcnt vmcnt(18)
	v_mul_f32_e32 v2, v85, v186
	s_waitcnt vmcnt(15)
	v_mov_b32_e32 v18, v93
	v_mul_f32_e32 v91, v84, v186
	v_fma_f32 v90, v84, v185, -v2
	s_waitcnt lgkmcnt(0)
	v_mul_f32_e32 v2, v35, v188
	v_pk_mul_f32 v[18:19], v[36:37], v[18:19] op_sel_hi:[1,0]
	v_fmac_f32_e32 v91, v85, v185
	v_mul_f32_e32 v95, v34, v188
	v_fma_f32 v94, v34, v187, -v2
	ds_read2_b64 v[2:5], v234 offset0:117 offset1:118
	ds_read2_b64 v[6:9], v234 offset0:119 offset1:120
	;; [unrolled: 1-line block ×3, first 2 shown]
	ds_read_b64 v[14:15], v234 offset:984
	s_waitcnt vmcnt(14)
	v_pk_fma_f32 v[20:21], v[36:37], v[92:93], v[18:19] op_sel:[0,0,1] op_sel_hi:[1,1,0] neg_lo:[0,0,1] neg_hi:[0,0,1]
	v_pk_fma_f32 v[18:19], v[36:37], v[92:93], v[18:19] op_sel:[0,0,1] op_sel_hi:[1,0,0]
	v_fmac_f32_e32 v95, v35, v187
	v_pk_add_f32 v[16:17], v[88:89], v[90:91]
	s_waitcnt vmcnt(13)
	v_mov_b32_e32 v18, v233
	v_pk_add_f32 v[16:17], v[16:17], v[94:95]
	v_mov_b32_e32 v21, v19
	s_waitcnt lgkmcnt(3)
	v_pk_mul_f32 v[18:19], v[2:3], v[18:19] op_sel_hi:[1,0]
	v_pk_add_f32 v[16:17], v[16:17], v[20:21]
	s_waitcnt vmcnt(12)
	v_pk_fma_f32 v[20:21], v[2:3], v[232:233], v[18:19] op_sel:[0,0,1] op_sel_hi:[1,1,0] neg_lo:[0,0,1] neg_hi:[0,0,1]
	v_pk_fma_f32 v[2:3], v[2:3], v[232:233], v[18:19] op_sel:[0,0,1] op_sel_hi:[1,0,0]
	v_mov_b32_e32 v21, v3
	v_pk_add_f32 v[2:3], v[16:17], v[20:21]
	s_waitcnt vmcnt(11)
	v_mov_b32_e32 v16, v107
	v_pk_mul_f32 v[16:17], v[4:5], v[16:17] op_sel_hi:[1,0]
	s_waitcnt vmcnt(10)
	v_pk_fma_f32 v[18:19], v[4:5], v[106:107], v[16:17] op_sel:[0,0,1] op_sel_hi:[1,1,0] neg_lo:[0,0,1] neg_hi:[0,0,1]
	v_pk_fma_f32 v[4:5], v[4:5], v[106:107], v[16:17] op_sel:[0,0,1] op_sel_hi:[1,0,0]
	s_waitcnt vmcnt(9)
	v_mov_b32_e32 v4, v105
	v_mov_b32_e32 v19, v5
	s_waitcnt lgkmcnt(2)
	v_pk_mul_f32 v[4:5], v[6:7], v[4:5] op_sel_hi:[1,0]
	s_waitcnt vmcnt(8)
	v_pk_fma_f32 v[16:17], v[6:7], v[104:105], v[4:5] op_sel:[0,0,1] op_sel_hi:[1,1,0] neg_lo:[0,0,1] neg_hi:[0,0,1]
	v_pk_fma_f32 v[4:5], v[6:7], v[104:105], v[4:5] op_sel:[0,0,1] op_sel_hi:[1,0,0]
	s_waitcnt vmcnt(7)
	v_mov_b32_e32 v4, v103
	v_mov_b32_e32 v17, v5
	v_pk_mul_f32 v[4:5], v[8:9], v[4:5] op_sel_hi:[1,0]
	s_waitcnt vmcnt(6)
	v_pk_fma_f32 v[6:7], v[8:9], v[102:103], v[4:5] op_sel:[0,0,1] op_sel_hi:[1,1,0] neg_lo:[0,0,1] neg_hi:[0,0,1]
	v_pk_fma_f32 v[4:5], v[8:9], v[102:103], v[4:5] op_sel:[0,0,1] op_sel_hi:[1,0,0]
	v_pk_add_f32 v[2:3], v[2:3], v[18:19]
	s_waitcnt vmcnt(5)
	v_mov_b32_e32 v4, v101
	v_pk_add_f32 v[2:3], v[2:3], v[16:17]
	v_mov_b32_e32 v7, v5
	s_waitcnt lgkmcnt(1)
	v_pk_mul_f32 v[4:5], v[10:11], v[4:5] op_sel_hi:[1,0]
	v_pk_add_f32 v[2:3], v[2:3], v[6:7]
	s_waitcnt vmcnt(4)
	v_pk_fma_f32 v[6:7], v[10:11], v[100:101], v[4:5] op_sel:[0,0,1] op_sel_hi:[1,1,0] neg_lo:[0,0,1] neg_hi:[0,0,1]
	v_pk_fma_f32 v[4:5], v[10:11], v[100:101], v[4:5] op_sel:[0,0,1] op_sel_hi:[1,0,0]
	s_waitcnt vmcnt(3)
	v_mov_b32_e32 v4, v99
	v_mov_b32_e32 v7, v5
	v_pk_mul_f32 v[4:5], v[12:13], v[4:5] op_sel_hi:[1,0]
	v_pk_add_f32 v[2:3], v[2:3], v[6:7]
	s_waitcnt vmcnt(2)
	v_pk_fma_f32 v[6:7], v[12:13], v[98:99], v[4:5] op_sel:[0,0,1] op_sel_hi:[1,1,0] neg_lo:[0,0,1] neg_hi:[0,0,1]
	v_pk_fma_f32 v[4:5], v[12:13], v[98:99], v[4:5] op_sel:[0,0,1] op_sel_hi:[1,0,0]
	s_waitcnt vmcnt(1)
	v_mov_b32_e32 v4, v97
	v_mov_b32_e32 v7, v5
	s_waitcnt lgkmcnt(0)
	v_pk_mul_f32 v[4:5], v[14:15], v[4:5] op_sel_hi:[1,0]
	v_pk_add_f32 v[2:3], v[2:3], v[6:7]
	s_waitcnt vmcnt(0)
	v_pk_fma_f32 v[6:7], v[14:15], v[96:97], v[4:5] op_sel:[0,0,1] op_sel_hi:[1,1,0] neg_lo:[0,0,1] neg_hi:[0,0,1]
	v_pk_fma_f32 v[4:5], v[14:15], v[96:97], v[4:5] op_sel:[0,0,1] op_sel_hi:[1,0,0]
	v_mov_b32_e32 v7, v5
	v_pk_add_f32 v[2:3], v[2:3], v[6:7]
	v_pk_add_f32 v[2:3], v[86:87], v[2:3] neg_lo:[0,1] neg_hi:[0,1]
	buffer_store_dword v3, off, s[0:3], 0 offset:100
	buffer_store_dword v2, off, s[0:3], 0 offset:96
	s_and_saveexec_b64 s[4:5], vcc
	s_cbranch_execz .LBB61_363
; %bb.362:
	buffer_load_dword v2, off, s[0:3], 0 offset:88
	buffer_load_dword v3, off, s[0:3], 0 offset:92
	s_waitcnt vmcnt(0)
	ds_write_b64 v210, v[2:3]
	buffer_store_dword v234, off, s[0:3], 0 offset:88
	buffer_store_dword v234, off, s[0:3], 0 offset:92
.LBB61_363:
	s_or_b64 exec, exec, s[4:5]
	s_waitcnt lgkmcnt(0)
	; wave barrier
	s_waitcnt lgkmcnt(0)
	buffer_load_dword v41, off, s[0:3], 0 offset:100
	buffer_load_dword v40, off, s[0:3], 0 offset:108
	;; [unrolled: 1-line block ×32, first 2 shown]
	ds_read_b128 v[22:25], v234 offset:592
	ds_read_b128 v[18:21], v234 offset:608
	ds_read_b128 v[14:17], v234 offset:624
	ds_read_b128 v[10:13], v234 offset:640
	ds_read_b128 v[6:9], v234 offset:656
	ds_read_b128 v[2:5], v234 offset:672
	buffer_load_dword v143, off, s[0:3], 0 offset:216
	buffer_load_dword v144, off, s[0:3], 0 offset:220
	;; [unrolled: 1-line block ×20, first 2 shown]
	v_cmp_lt_u32_e32 vcc, 10, v0
	s_waitcnt vmcnt(51) lgkmcnt(5)
	v_mul_f32_e32 v26, v22, v41
	s_waitcnt vmcnt(50)
	v_mul_f32_e32 v27, v24, v40
	s_waitcnt vmcnt(49) lgkmcnt(4)
	v_mul_f32_e32 v29, v20, v39
	s_waitcnt vmcnt(48) lgkmcnt(3)
	v_mul_f32_e32 v30, v14, v38
	s_waitcnt vmcnt(47)
	v_mul_f32_e32 v31, v16, v37
	s_waitcnt vmcnt(46) lgkmcnt(2)
	v_mul_f32_e32 v32, v10, v36
	s_waitcnt vmcnt(45)
	v_mul_f32_e32 v28, v18, v42
	s_waitcnt vmcnt(44)
	v_mul_f32_e32 v33, v12, v43
	s_waitcnt vmcnt(43) lgkmcnt(1)
	v_mul_f32_e32 v48, v6, v44
	s_waitcnt vmcnt(42)
	v_mul_f32_e32 v49, v8, v45
	s_waitcnt vmcnt(41) lgkmcnt(0)
	v_mul_f32_e32 v50, v2, v46
	s_waitcnt vmcnt(40)
	v_mul_f32_e32 v51, v4, v47
	s_waitcnt vmcnt(39)
	v_fmac_f32_e32 v28, v19, v106
	s_waitcnt vmcnt(38)
	v_fmac_f32_e32 v27, v25, v110
	;; [unrolled: 2-line block ×3, first 2 shown]
	v_add_f32_e32 v26, 0, v26
	v_add_f32_e32 v26, v26, v27
	;; [unrolled: 1-line block ×3, first 2 shown]
	s_waitcnt vmcnt(33)
	v_fmac_f32_e32 v29, v21, v131
	v_fmac_f32_e32 v30, v15, v130
	v_add_f32_e32 v26, v26, v29
	v_fmac_f32_e32 v31, v17, v129
	v_add_f32_e32 v26, v26, v30
	;; [unrolled: 2-line block ×3, first 2 shown]
	s_waitcnt vmcnt(29)
	v_fmac_f32_e32 v33, v13, v135
	v_add_f32_e32 v26, v26, v32
	v_fmac_f32_e32 v48, v7, v134
	v_add_f32_e32 v26, v26, v33
	;; [unrolled: 2-line block ×4, first 2 shown]
	v_add_f32_e32 v30, v26, v50
	ds_read_b128 v[26:29], v234 offset:688
	buffer_load_dword v163, off, s[0:3], 0 offset:296
	buffer_load_dword v164, off, s[0:3], 0 offset:300
	;; [unrolled: 1-line block ×4, first 2 shown]
	s_waitcnt vmcnt(28)
	v_fmac_f32_e32 v51, v5, v140
	v_add_f32_e32 v48, v30, v51
	ds_read_b128 v[30:33], v234 offset:704
	buffer_load_dword v167, off, s[0:3], 0 offset:312
	buffer_load_dword v168, off, s[0:3], 0 offset:316
	;; [unrolled: 1-line block ×12, first 2 shown]
	s_waitcnt vmcnt(39) lgkmcnt(1)
	v_mul_f32_e32 v49, v26, v141
	v_fmac_f32_e32 v49, v27, v139
	buffer_load_dword v179, off, s[0:3], 0 offset:360
	buffer_load_dword v180, off, s[0:3], 0 offset:364
	v_add_f32_e32 v48, v48, v49
	s_waitcnt vmcnt(40)
	v_mul_f32_e32 v49, v28, v142
	v_fmac_f32_e32 v49, v29, v138
	buffer_load_dword v181, off, s[0:3], 0 offset:368
	buffer_load_dword v182, off, s[0:3], 0 offset:372
	v_add_f32_e32 v48, v48, v49
	s_waitcnt lgkmcnt(0)
	v_mul_f32_e32 v49, v30, v137
	v_fmac_f32_e32 v49, v31, v136
	v_add_f32_e32 v52, v48, v49
	ds_read_b128 v[48:51], v234 offset:720
	buffer_load_dword v183, off, s[0:3], 0 offset:376
	buffer_load_dword v184, off, s[0:3], 0 offset:380
	s_waitcnt vmcnt(40)
	v_mul_f32_e32 v53, v32, v144
	v_fmac_f32_e32 v53, v33, v143
	v_add_f32_e32 v56, v52, v53
	ds_read_b128 v[52:55], v234 offset:736
	buffer_load_dword v185, off, s[0:3], 0 offset:384
	buffer_load_dword v186, off, s[0:3], 0 offset:388
	buffer_load_dword v187, off, s[0:3], 0 offset:392
	buffer_load_dword v188, off, s[0:3], 0 offset:396
	buffer_load_dword v189, off, s[0:3], 0 offset:400
	buffer_load_dword v190, off, s[0:3], 0 offset:404
	buffer_load_dword v191, off, s[0:3], 0 offset:408
	buffer_load_dword v192, off, s[0:3], 0 offset:412
	s_waitcnt vmcnt(46) lgkmcnt(1)
	v_mul_f32_e32 v57, v48, v146
	v_fmac_f32_e32 v57, v49, v145
	v_add_f32_e32 v56, v56, v57
	s_waitcnt vmcnt(44)
	v_mul_f32_e32 v57, v50, v148
	v_fmac_f32_e32 v57, v51, v147
	v_add_f32_e32 v56, v56, v57
	s_waitcnt vmcnt(42) lgkmcnt(0)
	v_mul_f32_e32 v57, v52, v150
	v_fmac_f32_e32 v57, v53, v149
	v_add_f32_e32 v60, v56, v57
	buffer_load_dword v193, off, s[0:3], 0 offset:416
	buffer_load_dword v194, off, s[0:3], 0 offset:420
	;; [unrolled: 1-line block ×4, first 2 shown]
	ds_read_b128 v[56:59], v234 offset:752
	s_waitcnt vmcnt(44)
	v_mul_f32_e32 v61, v54, v152
	v_fmac_f32_e32 v61, v55, v151
	v_add_f32_e32 v64, v60, v61
	ds_read_b128 v[60:63], v234 offset:768
	s_waitcnt vmcnt(42) lgkmcnt(1)
	v_mul_f32_e32 v65, v56, v154
	v_fmac_f32_e32 v65, v57, v153
	v_add_f32_e32 v64, v64, v65
	s_waitcnt vmcnt(40)
	v_mul_f32_e32 v65, v58, v156
	v_fmac_f32_e32 v65, v59, v155
	v_add_f32_e32 v64, v64, v65
	s_waitcnt vmcnt(38) lgkmcnt(0)
	v_mul_f32_e32 v65, v60, v158
	v_fmac_f32_e32 v65, v61, v157
	v_add_f32_e32 v68, v64, v65
	ds_read_b128 v[64:67], v234 offset:784
	s_waitcnt vmcnt(36)
	v_mul_f32_e32 v69, v62, v160
	v_fmac_f32_e32 v69, v63, v159
	v_add_f32_e32 v72, v68, v69
	ds_read_b128 v[68:71], v234 offset:800
	s_waitcnt vmcnt(34) lgkmcnt(1)
	v_mul_f32_e32 v73, v64, v162
	v_fmac_f32_e32 v73, v65, v161
	v_add_f32_e32 v72, v72, v73
	v_mul_f32_e32 v23, v23, v41
	v_fma_f32 v22, v22, v112, -v23
	v_mul_f32_e32 v23, v25, v40
	v_add_f32_e32 v22, 0, v22
	v_fma_f32 v23, v24, v110, -v23
	v_mul_f32_e32 v19, v19, v42
	v_add_f32_e32 v22, v22, v23
	;; [unrolled: 3-line block ×5, first 2 shown]
	s_waitcnt vmcnt(32)
	v_mul_f32_e32 v73, v66, v164
	v_fmac_f32_e32 v73, v67, v163
	v_add_f32_e32 v72, v72, v73
	s_waitcnt vmcnt(30) lgkmcnt(0)
	v_mul_f32_e32 v73, v68, v166
	v_fmac_f32_e32 v73, v69, v165
	v_add_f32_e32 v76, v72, v73
	ds_read_b128 v[72:75], v234 offset:816
	s_waitcnt vmcnt(28)
	v_mul_f32_e32 v77, v70, v168
	v_fmac_f32_e32 v77, v71, v167
	v_add_f32_e32 v80, v76, v77
	ds_read_b128 v[76:79], v234 offset:832
	s_waitcnt vmcnt(26) lgkmcnt(1)
	v_mul_f32_e32 v81, v72, v170
	v_fmac_f32_e32 v81, v73, v169
	v_add_f32_e32 v80, v80, v81
	s_waitcnt vmcnt(24)
	v_mul_f32_e32 v81, v74, v172
	v_fmac_f32_e32 v81, v75, v171
	v_add_f32_e32 v80, v80, v81
	s_waitcnt vmcnt(22) lgkmcnt(0)
	v_mul_f32_e32 v81, v76, v174
	v_fmac_f32_e32 v81, v77, v173
	v_add_f32_e32 v84, v80, v81
	ds_read_b128 v[80:83], v234 offset:848
	s_waitcnt vmcnt(20)
	v_mul_f32_e32 v85, v78, v176
	v_fmac_f32_e32 v85, v79, v175
	v_add_f32_e32 v88, v84, v85
	ds_read_b128 v[84:87], v234 offset:864
	s_waitcnt vmcnt(18) lgkmcnt(1)
	v_mul_f32_e32 v89, v80, v178
	v_fmac_f32_e32 v89, v81, v177
	v_add_f32_e32 v88, v88, v89
	s_waitcnt vmcnt(16)
	v_mul_f32_e32 v89, v82, v180
	v_fmac_f32_e32 v89, v83, v179
	v_add_f32_e32 v88, v88, v89
	s_waitcnt vmcnt(14) lgkmcnt(0)
	v_mul_f32_e32 v89, v84, v182
	v_fmac_f32_e32 v89, v85, v181
	v_add_f32_e32 v92, v88, v89
	ds_read_b128 v[88:91], v234 offset:880
	s_waitcnt vmcnt(12)
	v_mul_f32_e32 v93, v86, v184
	v_fmac_f32_e32 v93, v87, v183
	v_add_f32_e32 v96, v92, v93
	ds_read_b128 v[92:95], v234 offset:896
	buffer_load_dword v105, off, s[0:3], 0 offset:436
	buffer_load_dword v104, off, s[0:3], 0 offset:432
	s_waitcnt vmcnt(12) lgkmcnt(1)
	v_mul_f32_e32 v97, v88, v186
	v_fmac_f32_e32 v97, v89, v185
	v_add_f32_e32 v96, v96, v97
	s_waitcnt vmcnt(10)
	v_mul_f32_e32 v97, v90, v188
	v_fmac_f32_e32 v97, v91, v187
	v_add_f32_e32 v96, v96, v97
	s_waitcnt vmcnt(8) lgkmcnt(0)
	v_mul_f32_e32 v97, v92, v190
	v_fmac_f32_e32 v97, v93, v189
	s_waitcnt vmcnt(6)
	v_mul_f32_e32 v101, v94, v192
	v_add_f32_e32 v100, v96, v97
	v_fmac_f32_e32 v101, v95, v191
	ds_read_b128 v[96:99], v234 offset:912
	v_add_f32_e32 v107, v100, v101
	ds_read_b128 v[100:103], v234 offset:928
	buffer_load_dword v115, off, s[0:3], 0 offset:468
	buffer_load_dword v114, off, s[0:3], 0 offset:464
	;; [unrolled: 1-line block ×14, first 2 shown]
	v_fma_f32 v15, v16, v129, -v15
	v_mul_f32_e32 v11, v11, v36
	v_add_f32_e32 v14, v14, v15
	v_fma_f32 v10, v10, v128, -v11
	v_mul_f32_e32 v11, v13, v43
	v_add_f32_e32 v10, v14, v10
	;; [unrolled: 3-line block ×6, first 2 shown]
	v_fma_f32 v3, v4, v140, -v3
	v_add_f32_e32 v2, v2, v3
	v_mul_f32_e32 v3, v27, v141
	v_fma_f32 v3, v26, v139, -v3
	v_add_f32_e32 v2, v2, v3
	v_mul_f32_e32 v3, v29, v142
	;; [unrolled: 3-line block ×28, first 2 shown]
	v_fma_f32 v3, v94, v191, -v3
	s_waitcnt vmcnt(15)
	v_mov_b32_e32 v16, v105
	s_waitcnt lgkmcnt(1)
	v_mul_f32_e32 v111, v96, v194
	v_add_f32_e32 v106, v2, v3
	v_mul_f32_e32 v2, v97, v194
	s_waitcnt lgkmcnt(0)
	v_pk_mul_f32 v[16:17], v[100:101], v[16:17] op_sel_hi:[1,0]
	v_fmac_f32_e32 v111, v97, v193
	v_mul_f32_e32 v113, v98, v196
	v_fma_f32 v110, v96, v193, -v2
	v_mul_f32_e32 v2, v99, v196
	s_waitcnt vmcnt(14)
	v_pk_fma_f32 v[18:19], v[100:101], v[104:105], v[16:17] op_sel:[0,0,1] op_sel_hi:[1,1,0] neg_lo:[0,0,1] neg_hi:[0,0,1]
	v_pk_fma_f32 v[16:17], v[100:101], v[104:105], v[16:17] op_sel:[0,0,1] op_sel_hi:[1,0,0]
	v_fmac_f32_e32 v113, v99, v195
	v_fma_f32 v112, v98, v195, -v2
	v_pk_add_f32 v[14:15], v[106:107], v[110:111]
	s_waitcnt vmcnt(7)
	v_mov_b32_e32 v16, v121
	ds_read_b128 v[2:5], v234 offset:944
	ds_read_b128 v[6:9], v234 offset:960
	;; [unrolled: 1-line block ×3, first 2 shown]
	v_pk_add_f32 v[14:15], v[14:15], v[112:113]
	v_mov_b32_e32 v19, v17
	v_pk_mul_f32 v[16:17], v[102:103], v[16:17] op_sel_hi:[1,0]
	v_pk_add_f32 v[14:15], v[14:15], v[18:19]
	s_waitcnt vmcnt(6)
	v_pk_fma_f32 v[18:19], v[102:103], v[120:121], v[16:17] op_sel:[0,0,1] op_sel_hi:[1,1,0] neg_lo:[0,0,1] neg_hi:[0,0,1]
	v_pk_fma_f32 v[16:17], v[102:103], v[120:121], v[16:17] op_sel:[0,0,1] op_sel_hi:[1,0,0]
	v_mov_b32_e32 v16, v119
	v_mov_b32_e32 v19, v17
	s_waitcnt lgkmcnt(2)
	v_pk_mul_f32 v[16:17], v[2:3], v[16:17] op_sel_hi:[1,0]
	v_pk_add_f32 v[14:15], v[14:15], v[18:19]
	v_pk_fma_f32 v[18:19], v[2:3], v[118:119], v[16:17] op_sel:[0,0,1] op_sel_hi:[1,1,0] neg_lo:[0,0,1] neg_hi:[0,0,1]
	v_pk_fma_f32 v[2:3], v[2:3], v[118:119], v[16:17] op_sel:[0,0,1] op_sel_hi:[1,0,0]
	v_mov_b32_e32 v19, v3
	v_pk_add_f32 v[2:3], v[14:15], v[18:19]
	v_mov_b32_e32 v14, v117
	v_pk_mul_f32 v[14:15], v[4:5], v[14:15] op_sel_hi:[1,0]
	v_pk_fma_f32 v[16:17], v[4:5], v[116:117], v[14:15] op_sel:[0,0,1] op_sel_hi:[1,1,0] neg_lo:[0,0,1] neg_hi:[0,0,1]
	v_pk_fma_f32 v[4:5], v[4:5], v[116:117], v[14:15] op_sel:[0,0,1] op_sel_hi:[1,0,0]
	v_mov_b32_e32 v4, v115
	v_mov_b32_e32 v17, v5
	s_waitcnt lgkmcnt(1)
	v_pk_mul_f32 v[4:5], v[6:7], v[4:5] op_sel_hi:[1,0]
	v_pk_fma_f32 v[14:15], v[6:7], v[114:115], v[4:5] op_sel:[0,0,1] op_sel_hi:[1,1,0] neg_lo:[0,0,1] neg_hi:[0,0,1]
	v_pk_fma_f32 v[4:5], v[6:7], v[114:115], v[4:5] op_sel:[0,0,1] op_sel_hi:[1,0,0]
	s_waitcnt vmcnt(1)
	v_mov_b32_e32 v4, v127
	v_mov_b32_e32 v15, v5
	v_pk_mul_f32 v[4:5], v[8:9], v[4:5] op_sel_hi:[1,0]
	s_waitcnt vmcnt(0)
	v_pk_fma_f32 v[6:7], v[8:9], v[126:127], v[4:5] op_sel:[0,0,1] op_sel_hi:[1,1,0] neg_lo:[0,0,1] neg_hi:[0,0,1]
	v_pk_fma_f32 v[4:5], v[8:9], v[126:127], v[4:5] op_sel:[0,0,1] op_sel_hi:[1,0,0]
	v_pk_add_f32 v[2:3], v[2:3], v[16:17]
	v_mov_b32_e32 v4, v125
	v_pk_add_f32 v[2:3], v[2:3], v[14:15]
	v_mov_b32_e32 v7, v5
	s_waitcnt lgkmcnt(0)
	v_pk_mul_f32 v[4:5], v[10:11], v[4:5] op_sel_hi:[1,0]
	v_pk_add_f32 v[2:3], v[2:3], v[6:7]
	v_pk_fma_f32 v[6:7], v[10:11], v[124:125], v[4:5] op_sel:[0,0,1] op_sel_hi:[1,1,0] neg_lo:[0,0,1] neg_hi:[0,0,1]
	v_pk_fma_f32 v[4:5], v[10:11], v[124:125], v[4:5] op_sel:[0,0,1] op_sel_hi:[1,0,0]
	v_mov_b32_e32 v4, v123
	v_mov_b32_e32 v7, v5
	v_pk_mul_f32 v[4:5], v[12:13], v[4:5] op_sel_hi:[1,0]
	v_pk_add_f32 v[2:3], v[2:3], v[6:7]
	v_pk_fma_f32 v[6:7], v[12:13], v[122:123], v[4:5] op_sel:[0,0,1] op_sel_hi:[1,1,0] neg_lo:[0,0,1] neg_hi:[0,0,1]
	v_pk_fma_f32 v[4:5], v[12:13], v[122:123], v[4:5] op_sel:[0,0,1] op_sel_hi:[1,0,0]
	v_mov_b32_e32 v7, v5
	v_pk_add_f32 v[2:3], v[2:3], v[6:7]
	v_pk_add_f32 v[2:3], v[34:35], v[2:3] neg_lo:[0,1] neg_hi:[0,1]
	buffer_store_dword v3, off, s[0:3], 0 offset:92
	buffer_store_dword v2, off, s[0:3], 0 offset:88
	s_and_saveexec_b64 s[4:5], vcc
	s_cbranch_execz .LBB61_365
; %bb.364:
	buffer_load_dword v2, off, s[0:3], 0 offset:80
	buffer_load_dword v3, off, s[0:3], 0 offset:84
	v_mov_b32_e32 v4, 0
	buffer_store_dword v4, off, s[0:3], 0 offset:80
	buffer_store_dword v4, off, s[0:3], 0 offset:84
	s_waitcnt vmcnt(2)
	ds_write_b64 v210, v[2:3]
.LBB61_365:
	s_or_b64 exec, exec, s[4:5]
	s_waitcnt lgkmcnt(0)
	; wave barrier
	s_waitcnt lgkmcnt(0)
	buffer_load_dword v46, off, s[0:3], 0 offset:92
	buffer_load_dword v45, off, s[0:3], 0 offset:100
	;; [unrolled: 1-line block ×48, first 2 shown]
	v_mov_b32_e32 v44, 0
	ds_read2_b64 v[22:25], v44 offset0:73 offset1:74
	ds_read2_b64 v[18:21], v44 offset0:75 offset1:76
	;; [unrolled: 1-line block ×6, first 2 shown]
	buffer_load_dword v160, off, s[0:3], 0 offset:272
	buffer_load_dword v161, off, s[0:3], 0 offset:276
	v_cmp_lt_u32_e32 vcc, 9, v0
	s_waitcnt vmcnt(49) lgkmcnt(5)
	v_mul_f32_e32 v26, v22, v46
	s_waitcnt vmcnt(48)
	v_mul_f32_e32 v27, v24, v45
	s_waitcnt vmcnt(47) lgkmcnt(4)
	v_mul_f32_e32 v29, v20, v43
	s_waitcnt vmcnt(46) lgkmcnt(3)
	v_mul_f32_e32 v30, v14, v42
	s_waitcnt vmcnt(45)
	v_mul_f32_e32 v31, v16, v41
	s_waitcnt vmcnt(44) lgkmcnt(2)
	v_mul_f32_e32 v32, v10, v40
	s_waitcnt vmcnt(43)
	v_mul_f32_e32 v28, v18, v47
	s_waitcnt vmcnt(42)
	v_mul_f32_e32 v33, v12, v48
	s_waitcnt vmcnt(41) lgkmcnt(1)
	v_mul_f32_e32 v34, v6, v49
	s_waitcnt vmcnt(40)
	v_mul_f32_e32 v35, v8, v50
	s_waitcnt vmcnt(39) lgkmcnt(0)
	v_mul_f32_e32 v36, v2, v51
	s_waitcnt vmcnt(38)
	v_mul_f32_e32 v37, v4, v52
	s_waitcnt vmcnt(37)
	v_fmac_f32_e32 v28, v19, v58
	s_waitcnt vmcnt(36)
	v_fmac_f32_e32 v27, v25, v61
	;; [unrolled: 2-line block ×3, first 2 shown]
	v_add_f32_e32 v26, 0, v26
	v_add_f32_e32 v26, v26, v27
	;; [unrolled: 1-line block ×3, first 2 shown]
	s_waitcnt vmcnt(31)
	v_fmac_f32_e32 v29, v21, v63
	v_fmac_f32_e32 v30, v15, v60
	v_add_f32_e32 v26, v26, v29
	v_fmac_f32_e32 v31, v17, v57
	v_add_f32_e32 v26, v26, v30
	;; [unrolled: 2-line block ×3, first 2 shown]
	s_waitcnt vmcnt(27)
	v_fmac_f32_e32 v33, v13, v59
	v_add_f32_e32 v26, v26, v32
	v_fmac_f32_e32 v34, v7, v56
	v_add_f32_e32 v26, v26, v33
	;; [unrolled: 2-line block ×4, first 2 shown]
	s_waitcnt vmcnt(22)
	v_fmac_f32_e32 v37, v5, v141
	v_add_f32_e32 v26, v26, v36
	v_add_f32_e32 v34, v26, v37
	ds_read2_b64 v[26:29], v44 offset0:85 offset1:86
	buffer_load_dword v162, off, s[0:3], 0 offset:280
	buffer_load_dword v163, off, s[0:3], 0 offset:284
	ds_read2_b64 v[30:33], v44 offset0:87 offset1:88
	buffer_load_dword v164, off, s[0:3], 0 offset:288
	buffer_load_dword v165, off, s[0:3], 0 offset:292
	;; [unrolled: 1-line block ×12, first 2 shown]
	s_waitcnt vmcnt(35) lgkmcnt(1)
	v_mul_f32_e32 v35, v26, v142
	v_fmac_f32_e32 v35, v27, v140
	buffer_load_dword v176, off, s[0:3], 0 offset:336
	buffer_load_dword v177, off, s[0:3], 0 offset:340
	v_add_f32_e32 v34, v34, v35
	s_waitcnt vmcnt(36)
	v_mul_f32_e32 v35, v28, v143
	v_fmac_f32_e32 v35, v29, v122
	v_add_f32_e32 v34, v34, v35
	s_waitcnt lgkmcnt(0)
	v_mul_f32_e32 v35, v30, v120
	buffer_load_dword v178, off, s[0:3], 0 offset:344
	buffer_load_dword v179, off, s[0:3], 0 offset:348
	v_fmac_f32_e32 v35, v31, v62
	v_add_f32_e32 v64, v34, v35
	ds_read2_b64 v[34:37], v44 offset0:89 offset1:90
	buffer_load_dword v180, off, s[0:3], 0 offset:352
	buffer_load_dword v181, off, s[0:3], 0 offset:356
	;; [unrolled: 1-line block ×4, first 2 shown]
	s_waitcnt vmcnt(38)
	v_mul_f32_e32 v65, v32, v145
	v_fmac_f32_e32 v65, v33, v144
	v_add_f32_e32 v68, v64, v65
	ds_read2_b64 v[64:67], v44 offset0:91 offset1:92
	buffer_load_dword v184, off, s[0:3], 0 offset:368
	buffer_load_dword v185, off, s[0:3], 0 offset:372
	;; [unrolled: 1-line block ×10, first 2 shown]
	s_waitcnt vmcnt(46) lgkmcnt(1)
	v_mul_f32_e32 v69, v34, v147
	v_fmac_f32_e32 v69, v35, v146
	v_add_f32_e32 v68, v68, v69
	s_waitcnt vmcnt(44)
	v_mul_f32_e32 v69, v36, v149
	v_fmac_f32_e32 v69, v37, v148
	v_add_f32_e32 v68, v68, v69
	s_waitcnt vmcnt(42) lgkmcnt(0)
	v_mul_f32_e32 v69, v64, v151
	v_fmac_f32_e32 v69, v65, v150
	v_add_f32_e32 v72, v68, v69
	buffer_load_dword v194, off, s[0:3], 0 offset:408
	buffer_load_dword v195, off, s[0:3], 0 offset:412
	;; [unrolled: 1-line block ×6, first 2 shown]
	ds_read2_b64 v[68:71], v44 offset0:93 offset1:94
	s_waitcnt vmcnt(46)
	v_mul_f32_e32 v73, v66, v153
	v_fmac_f32_e32 v73, v67, v152
	v_add_f32_e32 v76, v72, v73
	ds_read2_b64 v[72:75], v44 offset0:95 offset1:96
	s_waitcnt vmcnt(44) lgkmcnt(1)
	v_mul_f32_e32 v77, v68, v155
	v_fmac_f32_e32 v77, v69, v154
	v_add_f32_e32 v76, v76, v77
	s_waitcnt vmcnt(42)
	v_mul_f32_e32 v77, v70, v157
	v_fmac_f32_e32 v77, v71, v156
	v_add_f32_e32 v76, v76, v77
	s_waitcnt vmcnt(40) lgkmcnt(0)
	v_mul_f32_e32 v77, v72, v159
	v_fmac_f32_e32 v77, v73, v158
	v_add_f32_e32 v80, v76, v77
	ds_read2_b64 v[76:79], v44 offset0:97 offset1:98
	s_waitcnt vmcnt(38)
	v_mul_f32_e32 v81, v74, v161
	v_fmac_f32_e32 v81, v75, v160
	v_add_f32_e32 v84, v80, v81
	ds_read2_b64 v[80:83], v44 offset0:99 offset1:100
	v_mul_f32_e32 v23, v23, v46
	v_fma_f32 v22, v22, v118, -v23
	v_mul_f32_e32 v23, v25, v45
	v_add_f32_e32 v22, 0, v22
	v_fma_f32 v23, v24, v61, -v23
	v_mul_f32_e32 v19, v19, v47
	v_add_f32_e32 v22, v22, v23
	;; [unrolled: 3-line block ×6, first 2 shown]
	v_fma_f32 v10, v10, v55, -v11
	s_waitcnt vmcnt(36) lgkmcnt(1)
	v_mul_f32_e32 v85, v76, v163
	v_fmac_f32_e32 v85, v77, v162
	v_add_f32_e32 v84, v84, v85
	s_waitcnt vmcnt(34)
	v_mul_f32_e32 v85, v78, v165
	v_fmac_f32_e32 v85, v79, v164
	v_add_f32_e32 v84, v84, v85
	s_waitcnt vmcnt(32) lgkmcnt(0)
	v_mul_f32_e32 v85, v80, v167
	v_fmac_f32_e32 v85, v81, v166
	v_add_f32_e32 v88, v84, v85
	ds_read2_b64 v[84:87], v44 offset0:101 offset1:102
	s_waitcnt vmcnt(30)
	v_mul_f32_e32 v89, v82, v169
	v_fmac_f32_e32 v89, v83, v168
	v_add_f32_e32 v92, v88, v89
	ds_read2_b64 v[88:91], v44 offset0:103 offset1:104
	s_waitcnt vmcnt(28) lgkmcnt(1)
	v_mul_f32_e32 v93, v84, v171
	v_fmac_f32_e32 v93, v85, v170
	v_add_f32_e32 v92, v92, v93
	s_waitcnt vmcnt(26)
	v_mul_f32_e32 v93, v86, v173
	v_fmac_f32_e32 v93, v87, v172
	v_add_f32_e32 v92, v92, v93
	s_waitcnt vmcnt(24) lgkmcnt(0)
	v_mul_f32_e32 v93, v88, v175
	v_fmac_f32_e32 v93, v89, v174
	v_add_f32_e32 v96, v92, v93
	ds_read2_b64 v[92:95], v44 offset0:105 offset1:106
	s_waitcnt vmcnt(22)
	v_mul_f32_e32 v97, v90, v177
	v_fmac_f32_e32 v97, v91, v176
	v_add_f32_e32 v100, v96, v97
	ds_read2_b64 v[96:99], v44 offset0:107 offset1:108
	;; [unrolled: 18-line block ×3, first 2 shown]
	s_waitcnt vmcnt(12) lgkmcnt(1)
	v_mul_f32_e32 v111, v100, v187
	v_fmac_f32_e32 v111, v101, v186
	v_add_f32_e32 v110, v110, v111
	s_waitcnt vmcnt(10)
	v_mul_f32_e32 v111, v102, v189
	v_fmac_f32_e32 v111, v103, v188
	v_add_f32_e32 v110, v110, v111
	s_waitcnt vmcnt(8) lgkmcnt(0)
	v_mul_f32_e32 v111, v104, v191
	v_fmac_f32_e32 v111, v105, v190
	s_waitcnt vmcnt(6)
	v_mul_f32_e32 v115, v106, v193
	v_add_f32_e32 v114, v110, v111
	v_fmac_f32_e32 v115, v107, v192
	ds_read2_b64 v[110:113], v44 offset0:113 offset1:114
	v_add_f32_e32 v119, v114, v115
	ds_read2_b64 v[114:117], v44 offset0:115 offset1:116
	buffer_load_dword v125, off, s[0:3], 0 offset:460
	buffer_load_dword v124, off, s[0:3], 0 offset:456
	buffer_load_dword v127, off, s[0:3], 0 offset:452
	buffer_load_dword v126, off, s[0:3], 0 offset:448
	buffer_load_dword v129, off, s[0:3], 0 offset:444
	buffer_load_dword v128, off, s[0:3], 0 offset:440
	buffer_load_dword v131, off, s[0:3], 0 offset:436
	buffer_load_dword v130, off, s[0:3], 0 offset:432
	buffer_load_dword v133, off, s[0:3], 0 offset:492
	buffer_load_dword v132, off, s[0:3], 0 offset:488
	buffer_load_dword v135, off, s[0:3], 0 offset:484
	buffer_load_dword v134, off, s[0:3], 0 offset:480
	buffer_load_dword v137, off, s[0:3], 0 offset:476
	buffer_load_dword v136, off, s[0:3], 0 offset:472
	buffer_load_dword v139, off, s[0:3], 0 offset:468
	buffer_load_dword v138, off, s[0:3], 0 offset:464
	v_mul_f32_e32 v11, v13, v48
	v_add_f32_e32 v10, v14, v10
	v_fma_f32 v11, v12, v59, -v11
	v_mul_f32_e32 v7, v7, v49
	v_add_f32_e32 v10, v10, v11
	v_fma_f32 v6, v6, v56, -v7
	v_mul_f32_e32 v7, v9, v50
	v_add_f32_e32 v6, v10, v6
	v_fma_f32 v7, v8, v54, -v7
	v_mul_f32_e32 v3, v3, v51
	v_add_f32_e32 v6, v6, v7
	v_fma_f32 v2, v2, v53, -v3
	v_mul_f32_e32 v3, v5, v52
	v_add_f32_e32 v2, v6, v2
	v_fma_f32 v3, v4, v141, -v3
	v_add_f32_e32 v2, v2, v3
	v_mul_f32_e32 v3, v27, v142
	v_fma_f32 v3, v26, v140, -v3
	v_add_f32_e32 v2, v2, v3
	v_mul_f32_e32 v3, v29, v143
	v_fma_f32 v3, v28, v122, -v3
	;; [unrolled: 3-line block ×28, first 2 shown]
	v_add_f32_e32 v2, v2, v3
	s_waitcnt vmcnt(20) lgkmcnt(1)
	v_mul_f32_e32 v3, v111, v195
	v_mul_f32_e32 v121, v110, v195
	v_fma_f32 v3, v110, v194, -v3
	v_fmac_f32_e32 v121, v111, v194
	v_add_f32_e32 v118, v2, v3
	s_waitcnt vmcnt(18)
	v_mul_f32_e32 v2, v113, v197
	s_waitcnt vmcnt(9)
	v_mov_b32_e32 v18, v131
	v_add_f32_e32 v119, v119, v121
	v_mul_f32_e32 v121, v112, v197
	v_fma_f32 v120, v112, v196, -v2
	s_waitcnt lgkmcnt(0)
	v_mul_f32_e32 v2, v115, v199
	v_pk_mul_f32 v[18:19], v[116:117], v[18:19] op_sel_hi:[1,0]
	v_fmac_f32_e32 v121, v113, v196
	v_mul_f32_e32 v123, v114, v199
	v_fma_f32 v122, v114, v198, -v2
	ds_read2_b64 v[2:5], v44 offset0:117 offset1:118
	ds_read2_b64 v[6:9], v44 offset0:119 offset1:120
	;; [unrolled: 1-line block ×3, first 2 shown]
	ds_read_b64 v[14:15], v44 offset:984
	s_waitcnt vmcnt(8)
	v_pk_fma_f32 v[20:21], v[116:117], v[130:131], v[18:19] op_sel:[0,0,1] op_sel_hi:[1,1,0] neg_lo:[0,0,1] neg_hi:[0,0,1]
	v_pk_fma_f32 v[18:19], v[116:117], v[130:131], v[18:19] op_sel:[0,0,1] op_sel_hi:[1,0,0]
	v_fmac_f32_e32 v123, v115, v198
	v_pk_add_f32 v[16:17], v[118:119], v[120:121]
	v_mov_b32_e32 v18, v129
	v_pk_add_f32 v[16:17], v[16:17], v[122:123]
	v_mov_b32_e32 v21, v19
	s_waitcnt lgkmcnt(3)
	v_pk_mul_f32 v[18:19], v[2:3], v[18:19] op_sel_hi:[1,0]
	v_pk_add_f32 v[16:17], v[16:17], v[20:21]
	v_pk_fma_f32 v[20:21], v[2:3], v[128:129], v[18:19] op_sel:[0,0,1] op_sel_hi:[1,1,0] neg_lo:[0,0,1] neg_hi:[0,0,1]
	v_pk_fma_f32 v[2:3], v[2:3], v[128:129], v[18:19] op_sel:[0,0,1] op_sel_hi:[1,0,0]
	v_mov_b32_e32 v21, v3
	v_pk_add_f32 v[2:3], v[16:17], v[20:21]
	v_mov_b32_e32 v16, v127
	v_pk_mul_f32 v[16:17], v[4:5], v[16:17] op_sel_hi:[1,0]
	v_pk_fma_f32 v[18:19], v[4:5], v[126:127], v[16:17] op_sel:[0,0,1] op_sel_hi:[1,1,0] neg_lo:[0,0,1] neg_hi:[0,0,1]
	v_pk_fma_f32 v[4:5], v[4:5], v[126:127], v[16:17] op_sel:[0,0,1] op_sel_hi:[1,0,0]
	v_mov_b32_e32 v4, v125
	v_mov_b32_e32 v19, v5
	s_waitcnt lgkmcnt(2)
	v_pk_mul_f32 v[4:5], v[6:7], v[4:5] op_sel_hi:[1,0]
	v_pk_fma_f32 v[16:17], v[6:7], v[124:125], v[4:5] op_sel:[0,0,1] op_sel_hi:[1,1,0] neg_lo:[0,0,1] neg_hi:[0,0,1]
	v_pk_fma_f32 v[4:5], v[6:7], v[124:125], v[4:5] op_sel:[0,0,1] op_sel_hi:[1,0,0]
	s_waitcnt vmcnt(1)
	v_mov_b32_e32 v4, v139
	v_mov_b32_e32 v17, v5
	v_pk_mul_f32 v[4:5], v[8:9], v[4:5] op_sel_hi:[1,0]
	s_waitcnt vmcnt(0)
	v_pk_fma_f32 v[6:7], v[8:9], v[138:139], v[4:5] op_sel:[0,0,1] op_sel_hi:[1,1,0] neg_lo:[0,0,1] neg_hi:[0,0,1]
	v_pk_fma_f32 v[4:5], v[8:9], v[138:139], v[4:5] op_sel:[0,0,1] op_sel_hi:[1,0,0]
	v_pk_add_f32 v[2:3], v[2:3], v[18:19]
	v_mov_b32_e32 v4, v137
	v_pk_add_f32 v[2:3], v[2:3], v[16:17]
	v_mov_b32_e32 v7, v5
	s_waitcnt lgkmcnt(1)
	v_pk_mul_f32 v[4:5], v[10:11], v[4:5] op_sel_hi:[1,0]
	v_pk_add_f32 v[2:3], v[2:3], v[6:7]
	v_pk_fma_f32 v[6:7], v[10:11], v[136:137], v[4:5] op_sel:[0,0,1] op_sel_hi:[1,1,0] neg_lo:[0,0,1] neg_hi:[0,0,1]
	v_pk_fma_f32 v[4:5], v[10:11], v[136:137], v[4:5] op_sel:[0,0,1] op_sel_hi:[1,0,0]
	v_mov_b32_e32 v4, v135
	v_mov_b32_e32 v7, v5
	v_pk_mul_f32 v[4:5], v[12:13], v[4:5] op_sel_hi:[1,0]
	v_pk_add_f32 v[2:3], v[2:3], v[6:7]
	v_pk_fma_f32 v[6:7], v[12:13], v[134:135], v[4:5] op_sel:[0,0,1] op_sel_hi:[1,1,0] neg_lo:[0,0,1] neg_hi:[0,0,1]
	v_pk_fma_f32 v[4:5], v[12:13], v[134:135], v[4:5] op_sel:[0,0,1] op_sel_hi:[1,0,0]
	v_mov_b32_e32 v4, v133
	v_mov_b32_e32 v7, v5
	s_waitcnt lgkmcnt(0)
	v_pk_mul_f32 v[4:5], v[14:15], v[4:5] op_sel_hi:[1,0]
	v_pk_add_f32 v[2:3], v[2:3], v[6:7]
	v_pk_fma_f32 v[6:7], v[14:15], v[132:133], v[4:5] op_sel:[0,0,1] op_sel_hi:[1,1,0] neg_lo:[0,0,1] neg_hi:[0,0,1]
	v_pk_fma_f32 v[4:5], v[14:15], v[132:133], v[4:5] op_sel:[0,0,1] op_sel_hi:[1,0,0]
	v_mov_b32_e32 v7, v5
	v_pk_add_f32 v[2:3], v[2:3], v[6:7]
	v_pk_add_f32 v[2:3], v[38:39], v[2:3] neg_lo:[0,1] neg_hi:[0,1]
	buffer_store_dword v3, off, s[0:3], 0 offset:84
	buffer_store_dword v2, off, s[0:3], 0 offset:80
	s_and_saveexec_b64 s[4:5], vcc
	s_cbranch_execz .LBB61_367
; %bb.366:
	buffer_load_dword v2, off, s[0:3], 0 offset:72
	buffer_load_dword v3, off, s[0:3], 0 offset:76
	s_waitcnt vmcnt(0)
	ds_write_b64 v210, v[2:3]
	buffer_store_dword v44, off, s[0:3], 0 offset:72
	buffer_store_dword v44, off, s[0:3], 0 offset:76
.LBB61_367:
	s_or_b64 exec, exec, s[4:5]
	s_waitcnt lgkmcnt(0)
	; wave barrier
	s_waitcnt lgkmcnt(0)
	buffer_load_dword v50, off, s[0:3], 0 offset:84
	buffer_load_dword v49, off, s[0:3], 0 offset:92
	;; [unrolled: 1-line block ×32, first 2 shown]
	ds_read_b128 v[26:29], v44 offset:576
	ds_read_b128 v[22:25], v44 offset:592
	ds_read_b128 v[18:21], v44 offset:608
	ds_read_b128 v[10:13], v44 offset:624
	buffer_load_dword v144, off, s[0:3], 0 offset:200
	buffer_load_dword v145, off, s[0:3], 0 offset:204
	ds_read_b128 v[14:17], v44 offset:640
	ds_read_b128 v[6:9], v44 offset:656
	;; [unrolled: 1-line block ×3, first 2 shown]
	buffer_load_dword v146, off, s[0:3], 0 offset:208
	buffer_load_dword v147, off, s[0:3], 0 offset:212
	;; [unrolled: 1-line block ×16, first 2 shown]
	v_cmp_lt_u32_e32 vcc, 8, v0
	s_waitcnt vmcnt(49) lgkmcnt(6)
	v_mul_f32_e32 v30, v26, v50
	s_waitcnt vmcnt(48)
	v_mul_f32_e32 v31, v28, v49
	s_waitcnt vmcnt(47) lgkmcnt(5)
	v_mul_f32_e32 v33, v24, v48
	s_waitcnt vmcnt(46) lgkmcnt(4)
	v_mul_f32_e32 v34, v18, v47
	s_waitcnt vmcnt(45)
	v_mul_f32_e32 v35, v20, v45
	s_waitcnt vmcnt(44)
	v_mul_f32_e32 v32, v22, v51
	s_waitcnt vmcnt(43) lgkmcnt(3)
	v_mul_f32_e32 v36, v10, v46
	s_waitcnt vmcnt(42)
	v_mul_f32_e32 v37, v12, v52
	s_waitcnt vmcnt(41) lgkmcnt(2)
	v_mul_f32_e32 v38, v14, v53
	s_waitcnt vmcnt(40)
	v_mul_f32_e32 v39, v16, v54
	s_waitcnt vmcnt(39) lgkmcnt(1)
	v_mul_f32_e32 v40, v6, v55
	s_waitcnt vmcnt(38)
	v_mul_f32_e32 v41, v8, v56
	s_waitcnt vmcnt(37)
	v_fmac_f32_e32 v32, v23, v62
	s_waitcnt vmcnt(36)
	v_fmac_f32_e32 v31, v29, v65
	;; [unrolled: 2-line block ×3, first 2 shown]
	v_add_f32_e32 v30, 0, v30
	v_add_f32_e32 v30, v30, v31
	;; [unrolled: 1-line block ×3, first 2 shown]
	s_waitcnt vmcnt(31)
	v_fmac_f32_e32 v33, v25, v66
	v_fmac_f32_e32 v34, v19, v64
	v_add_f32_e32 v30, v30, v33
	v_fmac_f32_e32 v35, v21, v61
	v_add_f32_e32 v30, v30, v34
	;; [unrolled: 2-line block ×3, first 2 shown]
	s_waitcnt vmcnt(27)
	v_fmac_f32_e32 v37, v13, v63
	v_add_f32_e32 v30, v30, v36
	v_fmac_f32_e32 v38, v15, v60
	v_add_f32_e32 v30, v30, v37
	v_fmac_f32_e32 v39, v17, v58
	v_add_f32_e32 v30, v30, v38
	v_fmac_f32_e32 v40, v7, v57
	v_add_f32_e32 v30, v30, v39
	s_waitcnt vmcnt(23)
	v_fmac_f32_e32 v41, v9, v140
	v_add_f32_e32 v30, v30, v40
	v_add_f32_e32 v34, v30, v41
	ds_read_b128 v[30:33], v44 offset:688
	buffer_load_dword v162, off, s[0:3], 0 offset:272
	buffer_load_dword v163, off, s[0:3], 0 offset:276
	;; [unrolled: 1-line block ×12, first 2 shown]
	s_waitcnt vmcnt(34) lgkmcnt(1)
	v_mul_f32_e32 v35, v2, v141
	v_fmac_f32_e32 v35, v3, v128
	buffer_load_dword v174, off, s[0:3], 0 offset:320
	buffer_load_dword v175, off, s[0:3], 0 offset:324
	v_add_f32_e32 v34, v34, v35
	s_waitcnt vmcnt(35)
	v_mul_f32_e32 v35, v4, v142
	v_fmac_f32_e32 v35, v5, v120
	v_add_f32_e32 v34, v34, v35
	s_waitcnt vmcnt(34) lgkmcnt(0)
	v_mul_f32_e32 v35, v30, v143
	v_fmac_f32_e32 v35, v31, v67
	buffer_load_dword v176, off, s[0:3], 0 offset:328
	buffer_load_dword v177, off, s[0:3], 0 offset:332
	v_add_f32_e32 v34, v34, v35
	s_waitcnt vmcnt(32)
	v_mul_f32_e32 v35, v32, v145
	v_fmac_f32_e32 v35, v33, v144
	v_add_f32_e32 v68, v34, v35
	ds_read_b128 v[34:37], v44 offset:704
	buffer_load_dword v178, off, s[0:3], 0 offset:336
	buffer_load_dword v179, off, s[0:3], 0 offset:340
	ds_read_b128 v[38:41], v44 offset:720
	buffer_load_dword v180, off, s[0:3], 0 offset:344
	buffer_load_dword v181, off, s[0:3], 0 offset:348
	;; [unrolled: 1-line block ×14, first 2 shown]
	s_waitcnt vmcnt(46) lgkmcnt(1)
	v_mul_f32_e32 v69, v34, v147
	v_fmac_f32_e32 v69, v35, v146
	v_add_f32_e32 v68, v68, v69
	s_waitcnt vmcnt(44)
	v_mul_f32_e32 v69, v36, v149
	v_fmac_f32_e32 v69, v37, v148
	v_add_f32_e32 v68, v68, v69
	s_waitcnt vmcnt(42) lgkmcnt(0)
	v_mul_f32_e32 v69, v38, v151
	v_fmac_f32_e32 v69, v39, v150
	v_add_f32_e32 v72, v68, v69
	buffer_load_dword v194, off, s[0:3], 0 offset:400
	buffer_load_dword v195, off, s[0:3], 0 offset:404
	ds_read_b128 v[68:71], v44 offset:736
	s_waitcnt vmcnt(42)
	v_mul_f32_e32 v73, v40, v153
	v_fmac_f32_e32 v73, v41, v152
	buffer_load_dword v196, off, s[0:3], 0 offset:408
	buffer_load_dword v197, off, s[0:3], 0 offset:412
	v_add_f32_e32 v76, v72, v73
	buffer_load_dword v198, off, s[0:3], 0 offset:416
	buffer_load_dword v199, off, s[0:3], 0 offset:420
	ds_read_b128 v[72:75], v44 offset:752
	s_waitcnt vmcnt(44) lgkmcnt(1)
	v_mul_f32_e32 v77, v68, v155
	v_fmac_f32_e32 v77, v69, v154
	v_add_f32_e32 v76, v76, v77
	s_waitcnt vmcnt(42)
	v_mul_f32_e32 v77, v70, v157
	v_fmac_f32_e32 v77, v71, v156
	v_add_f32_e32 v76, v76, v77
	s_waitcnt vmcnt(40) lgkmcnt(0)
	v_mul_f32_e32 v77, v72, v159
	v_fmac_f32_e32 v77, v73, v158
	buffer_load_dword v200, off, s[0:3], 0 offset:424
	buffer_load_dword v201, off, s[0:3], 0 offset:428
	v_add_f32_e32 v80, v76, v77
	ds_read_b128 v[76:79], v44 offset:768
	s_waitcnt vmcnt(40)
	v_mul_f32_e32 v81, v74, v161
	v_fmac_f32_e32 v81, v75, v160
	v_add_f32_e32 v84, v80, v81
	ds_read_b128 v[80:83], v44 offset:784
	v_mul_f32_e32 v27, v27, v50
	v_fma_f32 v26, v26, v118, -v27
	v_mul_f32_e32 v27, v29, v49
	v_add_f32_e32 v26, 0, v26
	v_fma_f32 v27, v28, v65, -v27
	v_mul_f32_e32 v23, v23, v51
	v_add_f32_e32 v26, v26, v27
	;; [unrolled: 3-line block ×5, first 2 shown]
	v_fma_f32 v19, v20, v61, -v19
	v_mul_f32_e32 v11, v11, v46
	s_waitcnt vmcnt(38) lgkmcnt(1)
	v_mul_f32_e32 v85, v76, v163
	v_fmac_f32_e32 v85, v77, v162
	v_add_f32_e32 v84, v84, v85
	s_waitcnt vmcnt(36)
	v_mul_f32_e32 v85, v78, v165
	v_fmac_f32_e32 v85, v79, v164
	v_add_f32_e32 v84, v84, v85
	s_waitcnt vmcnt(34) lgkmcnt(0)
	v_mul_f32_e32 v85, v80, v167
	v_fmac_f32_e32 v85, v81, v166
	v_add_f32_e32 v88, v84, v85
	ds_read_b128 v[84:87], v44 offset:800
	s_waitcnt vmcnt(32)
	v_mul_f32_e32 v89, v82, v169
	v_fmac_f32_e32 v89, v83, v168
	v_add_f32_e32 v92, v88, v89
	ds_read_b128 v[88:91], v44 offset:816
	s_waitcnt vmcnt(30) lgkmcnt(1)
	v_mul_f32_e32 v93, v84, v171
	v_fmac_f32_e32 v93, v85, v170
	v_add_f32_e32 v92, v92, v93
	s_waitcnt vmcnt(28)
	v_mul_f32_e32 v93, v86, v173
	v_fmac_f32_e32 v93, v87, v172
	v_add_f32_e32 v92, v92, v93
	s_waitcnt vmcnt(26) lgkmcnt(0)
	v_mul_f32_e32 v93, v88, v175
	v_fmac_f32_e32 v93, v89, v174
	v_add_f32_e32 v96, v92, v93
	ds_read_b128 v[92:95], v44 offset:832
	s_waitcnt vmcnt(24)
	v_mul_f32_e32 v97, v90, v177
	v_fmac_f32_e32 v97, v91, v176
	v_add_f32_e32 v100, v96, v97
	ds_read_b128 v[96:99], v44 offset:848
	;; [unrolled: 18-line block ×3, first 2 shown]
	s_waitcnt vmcnt(14) lgkmcnt(1)
	v_mul_f32_e32 v111, v100, v187
	v_fmac_f32_e32 v111, v101, v186
	v_add_f32_e32 v110, v110, v111
	s_waitcnt vmcnt(12)
	v_mul_f32_e32 v111, v102, v189
	v_fmac_f32_e32 v111, v103, v188
	v_add_f32_e32 v110, v110, v111
	s_waitcnt vmcnt(10) lgkmcnt(0)
	v_mul_f32_e32 v111, v104, v191
	v_fmac_f32_e32 v111, v105, v190
	s_waitcnt vmcnt(8)
	v_mul_f32_e32 v115, v106, v193
	v_add_f32_e32 v114, v110, v111
	v_fmac_f32_e32 v115, v107, v192
	ds_read_b128 v[110:113], v44 offset:896
	v_add_f32_e32 v119, v114, v115
	ds_read_b128 v[114:117], v44 offset:912
	buffer_load_dword v123, off, s[0:3], 0 offset:452
	buffer_load_dword v122, off, s[0:3], 0 offset:448
	;; [unrolled: 1-line block ×6, first 2 shown]
	v_add_f32_e32 v18, v18, v19
	v_fma_f32 v10, v10, v59, -v11
	v_mul_f32_e32 v11, v13, v52
	v_add_f32_e32 v10, v18, v10
	v_fma_f32 v11, v12, v63, -v11
	buffer_load_dword v131, off, s[0:3], 0 offset:484
	buffer_load_dword v130, off, s[0:3], 0 offset:480
	;; [unrolled: 1-line block ×10, first 2 shown]
	v_add_f32_e32 v10, v10, v11
	v_mul_f32_e32 v11, v15, v53
	v_fma_f32 v11, v14, v60, -v11
	v_add_f32_e32 v10, v10, v11
	v_mul_f32_e32 v11, v17, v54
	v_fma_f32 v11, v16, v58, -v11
	v_mul_f32_e32 v7, v7, v55
	v_add_f32_e32 v10, v10, v11
	v_fma_f32 v6, v6, v57, -v7
	v_mul_f32_e32 v7, v9, v56
	v_add_f32_e32 v6, v10, v6
	;; [unrolled: 3-line block ×4, first 2 shown]
	v_fma_f32 v3, v4, v120, -v3
	v_add_f32_e32 v2, v2, v3
	v_mul_f32_e32 v3, v31, v143
	v_fma_f32 v3, v30, v67, -v3
	v_add_f32_e32 v2, v2, v3
	v_mul_f32_e32 v3, v33, v145
	;; [unrolled: 3-line block ×26, first 2 shown]
	v_fma_f32 v3, v106, v192, -v3
	v_add_f32_e32 v2, v2, v3
	s_waitcnt vmcnt(22) lgkmcnt(1)
	v_mul_f32_e32 v3, v111, v195
	v_fma_f32 v3, v110, v194, -v3
	v_add_f32_e32 v2, v2, v3
	s_waitcnt vmcnt(20)
	v_mul_f32_e32 v3, v113, v197
	v_mul_f32_e32 v121, v110, v195
	v_fma_f32 v3, v112, v196, -v3
	v_fmac_f32_e32 v121, v111, v194
	v_add_f32_e32 v118, v2, v3
	s_waitcnt vmcnt(18) lgkmcnt(0)
	v_mul_f32_e32 v2, v115, v199
	v_add_f32_e32 v119, v119, v121
	v_mul_f32_e32 v121, v112, v197
	v_fma_f32 v120, v114, v198, -v2
	s_waitcnt vmcnt(16)
	v_mul_f32_e32 v2, v117, v201
	v_fmac_f32_e32 v121, v113, v196
	v_fma_f32 v128, v116, v200, -v2
	ds_read_b128 v[2:5], v44 offset:928
	ds_read_b128 v[6:9], v44 offset:944
	;; [unrolled: 1-line block ×4, first 2 shown]
	v_add_f32_e32 v119, v119, v121
	v_mul_f32_e32 v121, v114, v199
	s_waitcnt vmcnt(11)
	v_mov_b32_e32 v20, v127
	v_fmac_f32_e32 v121, v115, v198
	v_mul_f32_e32 v129, v116, v201
	s_waitcnt lgkmcnt(3)
	v_pk_mul_f32 v[20:21], v[2:3], v[20:21] op_sel_hi:[1,0]
	v_fmac_f32_e32 v129, v117, v200
	v_pk_add_f32 v[18:19], v[118:119], v[120:121]
	s_waitcnt vmcnt(10)
	v_pk_fma_f32 v[22:23], v[2:3], v[126:127], v[20:21] op_sel:[0,0,1] op_sel_hi:[1,1,0] neg_lo:[0,0,1] neg_hi:[0,0,1]
	v_pk_fma_f32 v[2:3], v[2:3], v[126:127], v[20:21] op_sel:[0,0,1] op_sel_hi:[1,0,0]
	v_pk_add_f32 v[18:19], v[18:19], v[128:129]
	v_mov_b32_e32 v23, v3
	v_pk_add_f32 v[2:3], v[18:19], v[22:23]
	v_mov_b32_e32 v18, v125
	v_pk_mul_f32 v[18:19], v[4:5], v[18:19] op_sel_hi:[1,0]
	v_pk_fma_f32 v[20:21], v[4:5], v[124:125], v[18:19] op_sel:[0,0,1] op_sel_hi:[1,1,0] neg_lo:[0,0,1] neg_hi:[0,0,1]
	v_pk_fma_f32 v[4:5], v[4:5], v[124:125], v[18:19] op_sel:[0,0,1] op_sel_hi:[1,0,0]
	v_mov_b32_e32 v4, v123
	v_mov_b32_e32 v21, v5
	s_waitcnt lgkmcnt(2)
	v_pk_mul_f32 v[4:5], v[6:7], v[4:5] op_sel_hi:[1,0]
	v_pk_fma_f32 v[18:19], v[6:7], v[122:123], v[4:5] op_sel:[0,0,1] op_sel_hi:[1,1,0] neg_lo:[0,0,1] neg_hi:[0,0,1]
	v_pk_fma_f32 v[4:5], v[6:7], v[122:123], v[4:5] op_sel:[0,0,1] op_sel_hi:[1,0,0]
	s_waitcnt vmcnt(3)
	v_mov_b32_e32 v4, v137
	v_mov_b32_e32 v19, v5
	v_pk_mul_f32 v[4:5], v[8:9], v[4:5] op_sel_hi:[1,0]
	s_waitcnt vmcnt(2)
	v_pk_fma_f32 v[6:7], v[8:9], v[136:137], v[4:5] op_sel:[0,0,1] op_sel_hi:[1,1,0] neg_lo:[0,0,1] neg_hi:[0,0,1]
	v_pk_fma_f32 v[4:5], v[8:9], v[136:137], v[4:5] op_sel:[0,0,1] op_sel_hi:[1,0,0]
	v_pk_add_f32 v[2:3], v[2:3], v[20:21]
	v_mov_b32_e32 v4, v135
	v_pk_add_f32 v[2:3], v[2:3], v[18:19]
	v_mov_b32_e32 v7, v5
	s_waitcnt lgkmcnt(1)
	v_pk_mul_f32 v[4:5], v[10:11], v[4:5] op_sel_hi:[1,0]
	v_pk_add_f32 v[2:3], v[2:3], v[6:7]
	v_pk_fma_f32 v[6:7], v[10:11], v[134:135], v[4:5] op_sel:[0,0,1] op_sel_hi:[1,1,0] neg_lo:[0,0,1] neg_hi:[0,0,1]
	v_pk_fma_f32 v[4:5], v[10:11], v[134:135], v[4:5] op_sel:[0,0,1] op_sel_hi:[1,0,0]
	v_mov_b32_e32 v4, v133
	v_mov_b32_e32 v7, v5
	v_pk_mul_f32 v[4:5], v[12:13], v[4:5] op_sel_hi:[1,0]
	v_pk_add_f32 v[2:3], v[2:3], v[6:7]
	v_pk_fma_f32 v[6:7], v[12:13], v[132:133], v[4:5] op_sel:[0,0,1] op_sel_hi:[1,1,0] neg_lo:[0,0,1] neg_hi:[0,0,1]
	v_pk_fma_f32 v[4:5], v[12:13], v[132:133], v[4:5] op_sel:[0,0,1] op_sel_hi:[1,0,0]
	v_mov_b32_e32 v4, v131
	v_mov_b32_e32 v7, v5
	s_waitcnt lgkmcnt(0)
	v_pk_mul_f32 v[4:5], v[14:15], v[4:5] op_sel_hi:[1,0]
	v_pk_add_f32 v[2:3], v[2:3], v[6:7]
	v_pk_fma_f32 v[6:7], v[14:15], v[130:131], v[4:5] op_sel:[0,0,1] op_sel_hi:[1,1,0] neg_lo:[0,0,1] neg_hi:[0,0,1]
	v_pk_fma_f32 v[4:5], v[14:15], v[130:131], v[4:5] op_sel:[0,0,1] op_sel_hi:[1,0,0]
	s_waitcnt vmcnt(1)
	v_mov_b32_e32 v4, v139
	v_mov_b32_e32 v7, v5
	v_pk_mul_f32 v[4:5], v[16:17], v[4:5] op_sel_hi:[1,0]
	v_pk_add_f32 v[2:3], v[2:3], v[6:7]
	s_waitcnt vmcnt(0)
	v_pk_fma_f32 v[6:7], v[16:17], v[138:139], v[4:5] op_sel:[0,0,1] op_sel_hi:[1,1,0] neg_lo:[0,0,1] neg_hi:[0,0,1]
	v_pk_fma_f32 v[4:5], v[16:17], v[138:139], v[4:5] op_sel:[0,0,1] op_sel_hi:[1,0,0]
	v_mov_b32_e32 v7, v5
	v_pk_add_f32 v[2:3], v[2:3], v[6:7]
	v_pk_add_f32 v[2:3], v[42:43], v[2:3] neg_lo:[0,1] neg_hi:[0,1]
	buffer_store_dword v3, off, s[0:3], 0 offset:76
	buffer_store_dword v2, off, s[0:3], 0 offset:72
	s_and_saveexec_b64 s[4:5], vcc
	s_cbranch_execz .LBB61_369
; %bb.368:
	buffer_load_dword v2, off, s[0:3], 0 offset:64
	buffer_load_dword v3, off, s[0:3], 0 offset:68
	v_mov_b32_e32 v4, 0
	buffer_store_dword v4, off, s[0:3], 0 offset:64
	buffer_store_dword v4, off, s[0:3], 0 offset:68
	s_waitcnt vmcnt(2)
	ds_write_b64 v210, v[2:3]
.LBB61_369:
	s_or_b64 exec, exec, s[4:5]
	v_mov_b32_e32 v242, 0
	s_waitcnt lgkmcnt(0)
	; wave barrier
	s_waitcnt lgkmcnt(0)
	ds_read2_b64 v[2:5], v242 offset0:71 offset1:72
	buffer_load_dword v94, off, s[0:3], 0 offset:64
	buffer_load_dword v95, off, s[0:3], 0 offset:68
	buffer_load_dword v96, off, s[0:3], 0 offset:72
	buffer_load_dword v110, off, s[0:3], 0 offset:76
	buffer_load_dword v98, off, s[0:3], 0 offset:80
	buffer_load_dword v112, off, s[0:3], 0 offset:84
	buffer_load_dword v102, off, s[0:3], 0 offset:88
	buffer_load_dword v114, off, s[0:3], 0 offset:92
	buffer_load_dword v111, off, s[0:3], 0 offset:96
	buffer_load_dword v116, off, s[0:3], 0 offset:100
	buffer_load_dword v113, off, s[0:3], 0 offset:104
	buffer_load_dword v118, off, s[0:3], 0 offset:108
	buffer_load_dword v115, off, s[0:3], 0 offset:112
	buffer_load_dword v119, off, s[0:3], 0 offset:116
	buffer_load_dword v117, off, s[0:3], 0 offset:120
	buffer_load_dword v120, off, s[0:3], 0 offset:124
	v_cmp_lt_u32_e32 vcc, 7, v0
	s_waitcnt vmcnt(12) lgkmcnt(0)
	v_mul_f32_e32 v6, v2, v110
	v_fmac_f32_e32 v6, v3, v96
	s_waitcnt vmcnt(10)
	v_mul_f32_e32 v7, v4, v112
	v_add_f32_e32 v6, 0, v6
	v_fmac_f32_e32 v7, v5, v98
	v_add_f32_e32 v10, v6, v7
	ds_read2_b64 v[6:9], v242 offset0:73 offset1:74
	v_mul_f32_e32 v3, v3, v110
	v_fma_f32 v2, v2, v96, -v3
	v_mul_f32_e32 v3, v5, v112
	v_add_f32_e32 v2, 0, v2
	s_waitcnt vmcnt(8) lgkmcnt(0)
	v_mul_f32_e32 v11, v6, v114
	v_fmac_f32_e32 v11, v7, v102
	v_add_f32_e32 v10, v10, v11
	s_waitcnt vmcnt(6)
	v_mul_f32_e32 v11, v8, v116
	v_fmac_f32_e32 v11, v9, v111
	v_add_f32_e32 v14, v10, v11
	ds_read2_b64 v[10:13], v242 offset0:75 offset1:76
	v_fma_f32 v3, v4, v98, -v3
	v_add_f32_e32 v2, v2, v3
	v_mul_f32_e32 v3, v7, v114
	v_fma_f32 v3, v6, v102, -v3
	s_waitcnt vmcnt(4) lgkmcnt(0)
	v_mul_f32_e32 v15, v10, v118
	v_fmac_f32_e32 v15, v11, v113
	v_add_f32_e32 v14, v14, v15
	s_waitcnt vmcnt(2)
	v_mul_f32_e32 v15, v12, v119
	v_fmac_f32_e32 v15, v13, v115
	v_add_f32_e32 v18, v14, v15
	ds_read2_b64 v[14:17], v242 offset0:77 offset1:78
	buffer_load_dword v121, off, s[0:3], 0 offset:128
	buffer_load_dword v122, off, s[0:3], 0 offset:132
	v_add_f32_e32 v2, v2, v3
	v_mul_f32_e32 v3, v9, v116
	v_fma_f32 v3, v8, v111, -v3
	s_waitcnt vmcnt(2) lgkmcnt(0)
	v_mul_f32_e32 v19, v14, v120
	v_fmac_f32_e32 v19, v15, v117
	v_add_f32_e32 v18, v18, v19
	v_add_f32_e32 v2, v2, v3
	v_mul_f32_e32 v3, v11, v118
	v_fma_f32 v3, v10, v113, -v3
	v_add_f32_e32 v2, v2, v3
	v_mul_f32_e32 v3, v13, v119
	v_fma_f32 v3, v12, v115, -v3
	;; [unrolled: 3-line block ×3, first 2 shown]
	v_add_f32_e32 v2, v2, v3
	s_waitcnt vmcnt(0)
	v_mul_f32_e32 v19, v16, v122
	v_fmac_f32_e32 v19, v17, v121
	v_add_f32_e32 v22, v18, v19
	ds_read2_b64 v[18:21], v242 offset0:79 offset1:80
	buffer_load_dword v123, off, s[0:3], 0 offset:136
	buffer_load_dword v124, off, s[0:3], 0 offset:140
	;; [unrolled: 1-line block ×4, first 2 shown]
	v_mul_f32_e32 v3, v17, v122
	v_fma_f32 v3, v16, v121, -v3
	v_add_f32_e32 v2, v2, v3
	s_waitcnt vmcnt(2) lgkmcnt(0)
	v_mul_f32_e32 v23, v18, v124
	v_fmac_f32_e32 v23, v19, v123
	v_add_f32_e32 v22, v22, v23
	s_waitcnt vmcnt(0)
	v_mul_f32_e32 v23, v20, v126
	v_fmac_f32_e32 v23, v21, v125
	v_add_f32_e32 v26, v22, v23
	ds_read2_b64 v[22:25], v242 offset0:81 offset1:82
	buffer_load_dword v127, off, s[0:3], 0 offset:152
	buffer_load_dword v128, off, s[0:3], 0 offset:156
	buffer_load_dword v129, off, s[0:3], 0 offset:160
	buffer_load_dword v130, off, s[0:3], 0 offset:164
	v_mul_f32_e32 v3, v19, v124
	v_fma_f32 v3, v18, v123, -v3
	v_add_f32_e32 v2, v2, v3
	v_mul_f32_e32 v3, v21, v126
	v_fma_f32 v3, v20, v125, -v3
	v_add_f32_e32 v2, v2, v3
	s_waitcnt vmcnt(2) lgkmcnt(0)
	v_mul_f32_e32 v27, v22, v128
	v_fmac_f32_e32 v27, v23, v127
	v_add_f32_e32 v26, v26, v27
	s_waitcnt vmcnt(0)
	v_mul_f32_e32 v27, v24, v130
	v_fmac_f32_e32 v27, v25, v129
	v_add_f32_e32 v30, v26, v27
	ds_read2_b64 v[26:29], v242 offset0:83 offset1:84
	buffer_load_dword v131, off, s[0:3], 0 offset:168
	buffer_load_dword v132, off, s[0:3], 0 offset:172
	buffer_load_dword v133, off, s[0:3], 0 offset:176
	buffer_load_dword v134, off, s[0:3], 0 offset:180
	v_mul_f32_e32 v3, v23, v128
	v_fma_f32 v3, v22, v127, -v3
	v_add_f32_e32 v2, v2, v3
	;; [unrolled: 19-line block ×4, first 2 shown]
	v_mul_f32_e32 v3, v33, v138
	v_fma_f32 v3, v32, v137, -v3
	v_add_f32_e32 v2, v2, v3
	s_waitcnt vmcnt(2) lgkmcnt(0)
	v_mul_f32_e32 v39, v34, v140
	v_fmac_f32_e32 v39, v35, v139
	v_add_f32_e32 v38, v38, v39
	s_waitcnt vmcnt(0)
	v_mul_f32_e32 v39, v36, v142
	v_fmac_f32_e32 v39, v37, v141
	v_add_f32_e32 v42, v38, v39
	ds_read2_b64 v[38:41], v242 offset0:89 offset1:90
	buffer_load_dword v143, off, s[0:3], 0 offset:216
	buffer_load_dword v144, off, s[0:3], 0 offset:220
	buffer_load_dword v145, off, s[0:3], 0 offset:224
	buffer_load_dword v146, off, s[0:3], 0 offset:228
	ds_read2_b64 v[46:49], v242 offset0:91 offset1:92
	buffer_load_dword v147, off, s[0:3], 0 offset:232
	buffer_load_dword v148, off, s[0:3], 0 offset:236
	buffer_load_dword v149, off, s[0:3], 0 offset:240
	buffer_load_dword v150, off, s[0:3], 0 offset:244
	ds_read2_b64 v[50:53], v242 offset0:93 offset1:94
	buffer_load_dword v151, off, s[0:3], 0 offset:248
	buffer_load_dword v152, off, s[0:3], 0 offset:252
	buffer_load_dword v153, off, s[0:3], 0 offset:256
	buffer_load_dword v154, off, s[0:3], 0 offset:260
	ds_read2_b64 v[54:57], v242 offset0:95 offset1:96
	buffer_load_dword v155, off, s[0:3], 0 offset:264
	buffer_load_dword v156, off, s[0:3], 0 offset:268
	buffer_load_dword v157, off, s[0:3], 0 offset:272
	buffer_load_dword v158, off, s[0:3], 0 offset:276
	ds_read2_b64 v[58:61], v242 offset0:97 offset1:98
	buffer_load_dword v159, off, s[0:3], 0 offset:280
	buffer_load_dword v160, off, s[0:3], 0 offset:284
	buffer_load_dword v161, off, s[0:3], 0 offset:288
	buffer_load_dword v162, off, s[0:3], 0 offset:292
	ds_read2_b64 v[62:65], v242 offset0:99 offset1:100
	buffer_load_dword v163, off, s[0:3], 0 offset:296
	buffer_load_dword v164, off, s[0:3], 0 offset:300
	buffer_load_dword v165, off, s[0:3], 0 offset:304
	buffer_load_dword v166, off, s[0:3], 0 offset:308
	ds_read2_b64 v[66:69], v242 offset0:101 offset1:102
	buffer_load_dword v167, off, s[0:3], 0 offset:312
	buffer_load_dword v168, off, s[0:3], 0 offset:316
	buffer_load_dword v169, off, s[0:3], 0 offset:320
	buffer_load_dword v170, off, s[0:3], 0 offset:324
	ds_read2_b64 v[70:73], v242 offset0:103 offset1:104
	buffer_load_dword v171, off, s[0:3], 0 offset:328
	buffer_load_dword v172, off, s[0:3], 0 offset:332
	buffer_load_dword v173, off, s[0:3], 0 offset:336
	buffer_load_dword v174, off, s[0:3], 0 offset:340
	ds_read2_b64 v[74:77], v242 offset0:105 offset1:106
	buffer_load_dword v175, off, s[0:3], 0 offset:344
	buffer_load_dword v176, off, s[0:3], 0 offset:348
	buffer_load_dword v177, off, s[0:3], 0 offset:352
	buffer_load_dword v178, off, s[0:3], 0 offset:356
	ds_read2_b64 v[78:81], v242 offset0:107 offset1:108
	buffer_load_dword v179, off, s[0:3], 0 offset:360
	buffer_load_dword v180, off, s[0:3], 0 offset:364
	buffer_load_dword v181, off, s[0:3], 0 offset:368
	buffer_load_dword v182, off, s[0:3], 0 offset:372
	ds_read2_b64 v[82:85], v242 offset0:109 offset1:110
	buffer_load_dword v183, off, s[0:3], 0 offset:376
	buffer_load_dword v184, off, s[0:3], 0 offset:380
	buffer_load_dword v185, off, s[0:3], 0 offset:384
	buffer_load_dword v186, off, s[0:3], 0 offset:388
	ds_read2_b64 v[86:89], v242 offset0:111 offset1:112
	buffer_load_dword v187, off, s[0:3], 0 offset:392
	buffer_load_dword v188, off, s[0:3], 0 offset:396
	buffer_load_dword v189, off, s[0:3], 0 offset:400
	buffer_load_dword v190, off, s[0:3], 0 offset:404
	ds_read2_b64 v[90:93], v242 offset0:113 offset1:114
	buffer_load_dword v191, off, s[0:3], 0 offset:408
	buffer_load_dword v192, off, s[0:3], 0 offset:412
	buffer_load_dword v193, off, s[0:3], 0 offset:416
	buffer_load_dword v194, off, s[0:3], 0 offset:420
	v_mul_f32_e32 v3, v35, v140
	v_fma_f32 v3, v34, v139, -v3
	v_add_f32_e32 v2, v2, v3
	v_mul_f32_e32 v3, v37, v142
	v_fma_f32 v3, v36, v141, -v3
	v_add_f32_e32 v2, v2, v3
	s_waitcnt vmcnt(50) lgkmcnt(12)
	v_mul_f32_e32 v43, v38, v144
	v_fmac_f32_e32 v43, v39, v143
	v_add_f32_e32 v42, v42, v43
	s_waitcnt vmcnt(48)
	v_mul_f32_e32 v43, v40, v146
	v_fmac_f32_e32 v43, v41, v145
	v_add_f32_e32 v42, v42, v43
	s_waitcnt vmcnt(46) lgkmcnt(11)
	v_mul_f32_e32 v43, v46, v148
	v_fmac_f32_e32 v43, v47, v147
	v_add_f32_e32 v42, v42, v43
	s_waitcnt vmcnt(44)
	v_mul_f32_e32 v43, v48, v150
	v_fmac_f32_e32 v43, v49, v149
	;; [unrolled: 8-line block ×12, first 2 shown]
	v_add_f32_e32 v42, v42, v43
	s_waitcnt vmcnt(2) lgkmcnt(0)
	v_mul_f32_e32 v43, v90, v192
	v_fmac_f32_e32 v43, v91, v191
	v_add_f32_e32 v97, v42, v43
	ds_read2_b64 v[42:45], v242 offset0:115 offset1:116
	buffer_load_dword v195, off, s[0:3], 0 offset:424
	buffer_load_dword v196, off, s[0:3], 0 offset:428
	buffer_load_dword v101, off, s[0:3], 0 offset:436
	buffer_load_dword v100, off, s[0:3], 0 offset:432
	buffer_load_dword v241, off, s[0:3], 0 offset:444
	buffer_load_dword v240, off, s[0:3], 0 offset:440
	buffer_load_dword v239, off, s[0:3], 0 offset:452
	buffer_load_dword v238, off, s[0:3], 0 offset:448
	buffer_load_dword v237, off, s[0:3], 0 offset:460
	buffer_load_dword v236, off, s[0:3], 0 offset:456
	buffer_load_dword v235, off, s[0:3], 0 offset:468
	buffer_load_dword v234, off, s[0:3], 0 offset:464
	buffer_load_dword v233, off, s[0:3], 0 offset:476
	buffer_load_dword v232, off, s[0:3], 0 offset:472
	buffer_load_dword v107, off, s[0:3], 0 offset:484
	buffer_load_dword v106, off, s[0:3], 0 offset:480
	buffer_load_dword v105, off, s[0:3], 0 offset:492
	buffer_load_dword v104, off, s[0:3], 0 offset:488
	v_mul_f32_e32 v3, v39, v144
	v_fma_f32 v3, v38, v143, -v3
	v_add_f32_e32 v2, v2, v3
	v_mul_f32_e32 v3, v41, v146
	v_fma_f32 v3, v40, v145, -v3
	v_add_f32_e32 v2, v2, v3
	;; [unrolled: 3-line block ×25, first 2 shown]
	s_waitcnt vmcnt(18)
	v_mul_f32_e32 v2, v93, v194
	s_waitcnt vmcnt(15)
	v_mov_b32_e32 v18, v101
	v_mul_f32_e32 v99, v92, v194
	v_fma_f32 v98, v92, v193, -v2
	s_waitcnt lgkmcnt(0)
	v_mul_f32_e32 v2, v43, v196
	v_pk_mul_f32 v[18:19], v[44:45], v[18:19] op_sel_hi:[1,0]
	v_fmac_f32_e32 v99, v93, v193
	v_mul_f32_e32 v103, v42, v196
	v_fma_f32 v102, v42, v195, -v2
	ds_read2_b64 v[2:5], v242 offset0:117 offset1:118
	ds_read2_b64 v[6:9], v242 offset0:119 offset1:120
	;; [unrolled: 1-line block ×3, first 2 shown]
	ds_read_b64 v[14:15], v242 offset:984
	s_waitcnt vmcnt(14)
	v_pk_fma_f32 v[20:21], v[44:45], v[100:101], v[18:19] op_sel:[0,0,1] op_sel_hi:[1,1,0] neg_lo:[0,0,1] neg_hi:[0,0,1]
	v_pk_fma_f32 v[18:19], v[44:45], v[100:101], v[18:19] op_sel:[0,0,1] op_sel_hi:[1,0,0]
	v_fmac_f32_e32 v103, v43, v195
	v_pk_add_f32 v[16:17], v[96:97], v[98:99]
	s_waitcnt vmcnt(13)
	v_mov_b32_e32 v18, v241
	v_pk_add_f32 v[16:17], v[16:17], v[102:103]
	v_mov_b32_e32 v21, v19
	s_waitcnt lgkmcnt(3)
	v_pk_mul_f32 v[18:19], v[2:3], v[18:19] op_sel_hi:[1,0]
	v_pk_add_f32 v[16:17], v[16:17], v[20:21]
	s_waitcnt vmcnt(12)
	v_pk_fma_f32 v[20:21], v[2:3], v[240:241], v[18:19] op_sel:[0,0,1] op_sel_hi:[1,1,0] neg_lo:[0,0,1] neg_hi:[0,0,1]
	v_pk_fma_f32 v[2:3], v[2:3], v[240:241], v[18:19] op_sel:[0,0,1] op_sel_hi:[1,0,0]
	v_mov_b32_e32 v21, v3
	v_pk_add_f32 v[2:3], v[16:17], v[20:21]
	s_waitcnt vmcnt(11)
	v_mov_b32_e32 v16, v239
	v_pk_mul_f32 v[16:17], v[4:5], v[16:17] op_sel_hi:[1,0]
	s_waitcnt vmcnt(10)
	v_pk_fma_f32 v[18:19], v[4:5], v[238:239], v[16:17] op_sel:[0,0,1] op_sel_hi:[1,1,0] neg_lo:[0,0,1] neg_hi:[0,0,1]
	v_pk_fma_f32 v[4:5], v[4:5], v[238:239], v[16:17] op_sel:[0,0,1] op_sel_hi:[1,0,0]
	s_waitcnt vmcnt(9)
	v_mov_b32_e32 v4, v237
	v_mov_b32_e32 v19, v5
	s_waitcnt lgkmcnt(2)
	v_pk_mul_f32 v[4:5], v[6:7], v[4:5] op_sel_hi:[1,0]
	s_waitcnt vmcnt(8)
	v_pk_fma_f32 v[16:17], v[6:7], v[236:237], v[4:5] op_sel:[0,0,1] op_sel_hi:[1,1,0] neg_lo:[0,0,1] neg_hi:[0,0,1]
	v_pk_fma_f32 v[4:5], v[6:7], v[236:237], v[4:5] op_sel:[0,0,1] op_sel_hi:[1,0,0]
	s_waitcnt vmcnt(7)
	v_mov_b32_e32 v4, v235
	v_mov_b32_e32 v17, v5
	v_pk_mul_f32 v[4:5], v[8:9], v[4:5] op_sel_hi:[1,0]
	s_waitcnt vmcnt(6)
	v_pk_fma_f32 v[6:7], v[8:9], v[234:235], v[4:5] op_sel:[0,0,1] op_sel_hi:[1,1,0] neg_lo:[0,0,1] neg_hi:[0,0,1]
	v_pk_fma_f32 v[4:5], v[8:9], v[234:235], v[4:5] op_sel:[0,0,1] op_sel_hi:[1,0,0]
	v_pk_add_f32 v[2:3], v[2:3], v[18:19]
	s_waitcnt vmcnt(5)
	v_mov_b32_e32 v4, v233
	v_pk_add_f32 v[2:3], v[2:3], v[16:17]
	v_mov_b32_e32 v7, v5
	s_waitcnt lgkmcnt(1)
	v_pk_mul_f32 v[4:5], v[10:11], v[4:5] op_sel_hi:[1,0]
	v_pk_add_f32 v[2:3], v[2:3], v[6:7]
	s_waitcnt vmcnt(4)
	v_pk_fma_f32 v[6:7], v[10:11], v[232:233], v[4:5] op_sel:[0,0,1] op_sel_hi:[1,1,0] neg_lo:[0,0,1] neg_hi:[0,0,1]
	v_pk_fma_f32 v[4:5], v[10:11], v[232:233], v[4:5] op_sel:[0,0,1] op_sel_hi:[1,0,0]
	s_waitcnt vmcnt(3)
	v_mov_b32_e32 v4, v107
	v_mov_b32_e32 v7, v5
	v_pk_mul_f32 v[4:5], v[12:13], v[4:5] op_sel_hi:[1,0]
	v_pk_add_f32 v[2:3], v[2:3], v[6:7]
	s_waitcnt vmcnt(2)
	v_pk_fma_f32 v[6:7], v[12:13], v[106:107], v[4:5] op_sel:[0,0,1] op_sel_hi:[1,1,0] neg_lo:[0,0,1] neg_hi:[0,0,1]
	v_pk_fma_f32 v[4:5], v[12:13], v[106:107], v[4:5] op_sel:[0,0,1] op_sel_hi:[1,0,0]
	s_waitcnt vmcnt(1)
	v_mov_b32_e32 v4, v105
	v_mov_b32_e32 v7, v5
	s_waitcnt lgkmcnt(0)
	v_pk_mul_f32 v[4:5], v[14:15], v[4:5] op_sel_hi:[1,0]
	v_pk_add_f32 v[2:3], v[2:3], v[6:7]
	s_waitcnt vmcnt(0)
	v_pk_fma_f32 v[6:7], v[14:15], v[104:105], v[4:5] op_sel:[0,0,1] op_sel_hi:[1,1,0] neg_lo:[0,0,1] neg_hi:[0,0,1]
	v_pk_fma_f32 v[4:5], v[14:15], v[104:105], v[4:5] op_sel:[0,0,1] op_sel_hi:[1,0,0]
	v_mov_b32_e32 v7, v5
	v_pk_add_f32 v[2:3], v[2:3], v[6:7]
	v_pk_add_f32 v[2:3], v[94:95], v[2:3] neg_lo:[0,1] neg_hi:[0,1]
	buffer_store_dword v3, off, s[0:3], 0 offset:68
	buffer_store_dword v2, off, s[0:3], 0 offset:64
	s_and_saveexec_b64 s[4:5], vcc
	s_cbranch_execz .LBB61_371
; %bb.370:
	buffer_load_dword v2, off, s[0:3], 0 offset:56
	buffer_load_dword v3, off, s[0:3], 0 offset:60
	s_waitcnt vmcnt(0)
	ds_write_b64 v210, v[2:3]
	buffer_store_dword v242, off, s[0:3], 0 offset:56
	buffer_store_dword v242, off, s[0:3], 0 offset:60
.LBB61_371:
	s_or_b64 exec, exec, s[4:5]
	s_waitcnt lgkmcnt(0)
	; wave barrier
	s_waitcnt lgkmcnt(0)
	buffer_load_dword v49, off, s[0:3], 0 offset:68
	buffer_load_dword v48, off, s[0:3], 0 offset:76
	;; [unrolled: 1-line block ×34, first 2 shown]
	ds_read_b128 v[30:33], v242 offset:560
	ds_read_b128 v[26:29], v242 offset:576
	;; [unrolled: 1-line block ×6, first 2 shown]
	buffer_load_dword v153, off, s[0:3], 0 offset:192
	buffer_load_dword v154, off, s[0:3], 0 offset:196
	ds_read_b128 v[10:13], v242 offset:656
	ds_read_b128 v[2:5], v242 offset:672
	buffer_load_dword v155, off, s[0:3], 0 offset:200
	buffer_load_dword v156, off, s[0:3], 0 offset:204
	;; [unrolled: 1-line block ×24, first 2 shown]
	v_cmp_lt_u32_e32 vcc, 6, v0
	s_waitcnt vmcnt(59) lgkmcnt(7)
	v_mul_f32_e32 v34, v30, v49
	s_waitcnt vmcnt(58)
	v_mul_f32_e32 v35, v32, v48
	s_waitcnt vmcnt(57) lgkmcnt(6)
	v_mul_f32_e32 v37, v28, v47
	s_waitcnt vmcnt(56) lgkmcnt(5)
	v_mul_f32_e32 v38, v22, v46
	s_waitcnt vmcnt(55)
	v_mul_f32_e32 v39, v24, v44
	s_waitcnt vmcnt(54)
	v_mul_f32_e32 v36, v26, v50
	s_waitcnt vmcnt(53) lgkmcnt(4)
	v_mul_f32_e32 v40, v18, v45
	s_waitcnt vmcnt(52)
	v_mul_f32_e32 v41, v20, v112
	s_waitcnt vmcnt(51) lgkmcnt(3)
	;; [unrolled: 4-line block ×3, first 2 shown]
	v_mul_f32_e32 v53, v6, v131
	s_waitcnt vmcnt(48)
	v_mul_f32_e32 v54, v8, v132
	s_waitcnt vmcnt(47)
	v_fmac_f32_e32 v36, v27, v133
	s_waitcnt vmcnt(46)
	v_fmac_f32_e32 v35, v33, v134
	;; [unrolled: 2-line block ×3, first 2 shown]
	v_add_f32_e32 v34, 0, v34
	v_add_f32_e32 v34, v34, v35
	;; [unrolled: 1-line block ×3, first 2 shown]
	s_waitcnt vmcnt(41)
	v_fmac_f32_e32 v37, v29, v139
	v_fmac_f32_e32 v38, v23, v138
	v_add_f32_e32 v34, v34, v37
	v_fmac_f32_e32 v39, v25, v137
	v_add_f32_e32 v34, v34, v38
	;; [unrolled: 2-line block ×3, first 2 shown]
	s_waitcnt vmcnt(37)
	v_fmac_f32_e32 v41, v21, v143
	v_add_f32_e32 v34, v34, v40
	v_fmac_f32_e32 v51, v15, v142
	v_add_f32_e32 v34, v34, v41
	;; [unrolled: 2-line block ×4, first 2 shown]
	s_waitcnt vmcnt(33)
	v_fmac_f32_e32 v54, v9, v147
	v_add_f32_e32 v34, v34, v53
	s_waitcnt vmcnt(32) lgkmcnt(1)
	v_mul_f32_e32 v35, v10, v148
	v_add_f32_e32 v34, v34, v54
	v_fmac_f32_e32 v35, v11, v146
	v_add_f32_e32 v34, v34, v35
	s_waitcnt vmcnt(31)
	v_mul_f32_e32 v35, v12, v149
	v_fmac_f32_e32 v35, v13, v145
	v_add_f32_e32 v34, v34, v35
	s_waitcnt vmcnt(30) lgkmcnt(0)
	v_mul_f32_e32 v35, v2, v150
	v_fmac_f32_e32 v35, v3, v144
	v_add_f32_e32 v38, v34, v35
	ds_read_b128 v[34:37], v242 offset:688
	buffer_load_dword v179, off, s[0:3], 0 offset:296
	buffer_load_dword v180, off, s[0:3], 0 offset:300
	;; [unrolled: 1-line block ×4, first 2 shown]
	s_waitcnt vmcnt(32)
	v_mul_f32_e32 v39, v4, v152
	v_fmac_f32_e32 v39, v5, v151
	v_add_f32_e32 v51, v38, v39
	ds_read_b128 v[38:41], v242 offset:704
	buffer_load_dword v183, off, s[0:3], 0 offset:312
	buffer_load_dword v184, off, s[0:3], 0 offset:316
	;; [unrolled: 1-line block ×12, first 2 shown]
	s_waitcnt vmcnt(40) lgkmcnt(1)
	v_mul_f32_e32 v52, v34, v154
	v_fmac_f32_e32 v52, v35, v153
	buffer_load_dword v195, off, s[0:3], 0 offset:360
	buffer_load_dword v196, off, s[0:3], 0 offset:364
	v_add_f32_e32 v51, v51, v52
	s_waitcnt vmcnt(40)
	v_mul_f32_e32 v52, v36, v156
	v_fmac_f32_e32 v52, v37, v155
	buffer_load_dword v197, off, s[0:3], 0 offset:368
	buffer_load_dword v198, off, s[0:3], 0 offset:372
	v_add_f32_e32 v51, v51, v52
	s_waitcnt vmcnt(40) lgkmcnt(0)
	v_mul_f32_e32 v52, v38, v158
	v_fmac_f32_e32 v52, v39, v157
	v_add_f32_e32 v51, v51, v52
	ds_read_b128 v[52:55], v242 offset:720
	buffer_load_dword v199, off, s[0:3], 0 offset:376
	buffer_load_dword v200, off, s[0:3], 0 offset:380
	s_waitcnt vmcnt(40)
	v_mul_f32_e32 v56, v40, v160
	v_fmac_f32_e32 v56, v41, v159
	v_add_f32_e32 v51, v51, v56
	ds_read_b128 v[56:59], v242 offset:736
	buffer_load_dword v201, off, s[0:3], 0 offset:384
	buffer_load_dword v202, off, s[0:3], 0 offset:388
	;; [unrolled: 1-line block ×8, first 2 shown]
	s_waitcnt vmcnt(46) lgkmcnt(1)
	v_mul_f32_e32 v60, v52, v162
	v_fmac_f32_e32 v60, v53, v161
	v_add_f32_e32 v51, v51, v60
	s_waitcnt vmcnt(44)
	v_mul_f32_e32 v60, v54, v164
	v_fmac_f32_e32 v60, v55, v163
	v_add_f32_e32 v51, v51, v60
	s_waitcnt vmcnt(42) lgkmcnt(0)
	v_mul_f32_e32 v60, v56, v166
	v_fmac_f32_e32 v60, v57, v165
	v_add_f32_e32 v51, v51, v60
	buffer_load_dword v237, off, s[0:3], 0 offset:416
	buffer_load_dword v238, off, s[0:3], 0 offset:420
	;; [unrolled: 1-line block ×4, first 2 shown]
	ds_read_b128 v[60:63], v242 offset:752
	s_waitcnt vmcnt(44)
	v_mul_f32_e32 v64, v58, v168
	v_fmac_f32_e32 v64, v59, v167
	v_add_f32_e32 v51, v51, v64
	ds_read_b128 v[64:67], v242 offset:768
	s_waitcnt vmcnt(42) lgkmcnt(1)
	v_mul_f32_e32 v68, v60, v170
	v_fmac_f32_e32 v68, v61, v169
	v_add_f32_e32 v51, v51, v68
	s_waitcnt vmcnt(40)
	v_mul_f32_e32 v68, v62, v172
	v_fmac_f32_e32 v68, v63, v171
	v_add_f32_e32 v51, v51, v68
	s_waitcnt vmcnt(38) lgkmcnt(0)
	v_mul_f32_e32 v68, v64, v174
	v_fmac_f32_e32 v68, v65, v173
	v_add_f32_e32 v51, v51, v68
	ds_read_b128 v[68:71], v242 offset:784
	s_waitcnt vmcnt(36)
	v_mul_f32_e32 v72, v66, v176
	v_fmac_f32_e32 v72, v67, v175
	v_add_f32_e32 v51, v51, v72
	ds_read_b128 v[72:75], v242 offset:800
	s_waitcnt vmcnt(34) lgkmcnt(1)
	v_mul_f32_e32 v76, v68, v178
	v_fmac_f32_e32 v76, v69, v177
	v_add_f32_e32 v51, v51, v76
	v_mul_f32_e32 v31, v31, v49
	v_fma_f32 v30, v30, v135, -v31
	v_mul_f32_e32 v31, v33, v48
	v_add_f32_e32 v30, 0, v30
	v_fma_f32 v31, v32, v134, -v31
	v_mul_f32_e32 v27, v27, v50
	v_add_f32_e32 v30, v30, v31
	;; [unrolled: 3-line block ×4, first 2 shown]
	v_fma_f32 v22, v22, v138, -v23
	v_mul_f32_e32 v23, v25, v44
	s_waitcnt vmcnt(32)
	v_mul_f32_e32 v76, v70, v180
	v_fmac_f32_e32 v76, v71, v179
	v_add_f32_e32 v51, v51, v76
	s_waitcnt vmcnt(30) lgkmcnt(0)
	v_mul_f32_e32 v76, v72, v182
	v_fmac_f32_e32 v76, v73, v181
	v_add_f32_e32 v51, v51, v76
	ds_read_b128 v[76:79], v242 offset:816
	s_waitcnt vmcnt(28)
	v_mul_f32_e32 v80, v74, v184
	v_fmac_f32_e32 v80, v75, v183
	v_add_f32_e32 v51, v51, v80
	ds_read_b128 v[80:83], v242 offset:832
	s_waitcnt vmcnt(26) lgkmcnt(1)
	v_mul_f32_e32 v84, v76, v186
	v_fmac_f32_e32 v84, v77, v185
	v_add_f32_e32 v51, v51, v84
	s_waitcnt vmcnt(24)
	v_mul_f32_e32 v84, v78, v188
	v_fmac_f32_e32 v84, v79, v187
	v_add_f32_e32 v51, v51, v84
	s_waitcnt vmcnt(22) lgkmcnt(0)
	v_mul_f32_e32 v84, v80, v190
	v_fmac_f32_e32 v84, v81, v189
	v_add_f32_e32 v51, v51, v84
	ds_read_b128 v[84:87], v242 offset:848
	s_waitcnt vmcnt(20)
	v_mul_f32_e32 v88, v82, v192
	v_fmac_f32_e32 v88, v83, v191
	v_add_f32_e32 v51, v51, v88
	ds_read_b128 v[88:91], v242 offset:864
	s_waitcnt vmcnt(18) lgkmcnt(1)
	v_mul_f32_e32 v92, v84, v194
	v_fmac_f32_e32 v92, v85, v193
	v_add_f32_e32 v51, v51, v92
	s_waitcnt vmcnt(16)
	v_mul_f32_e32 v92, v86, v196
	v_fmac_f32_e32 v92, v87, v195
	v_add_f32_e32 v51, v51, v92
	s_waitcnt vmcnt(14) lgkmcnt(0)
	v_mul_f32_e32 v92, v88, v198
	v_fmac_f32_e32 v92, v89, v197
	v_add_f32_e32 v51, v51, v92
	ds_read_b128 v[92:95], v242 offset:880
	s_waitcnt vmcnt(12)
	v_mul_f32_e32 v96, v90, v200
	v_fmac_f32_e32 v96, v91, v199
	v_add_f32_e32 v51, v51, v96
	ds_read_b128 v[96:99], v242 offset:896
	buffer_load_dword v111, off, s[0:3], 0 offset:436
	buffer_load_dword v110, off, s[0:3], 0 offset:432
	s_waitcnt vmcnt(12) lgkmcnt(1)
	v_mul_f32_e32 v100, v92, v202
	v_fmac_f32_e32 v100, v93, v201
	v_add_f32_e32 v51, v51, v100
	s_waitcnt vmcnt(10)
	v_mul_f32_e32 v100, v94, v232
	v_fmac_f32_e32 v100, v95, v203
	v_add_f32_e32 v51, v51, v100
	s_waitcnt vmcnt(8) lgkmcnt(0)
	v_mul_f32_e32 v100, v96, v234
	v_fmac_f32_e32 v100, v97, v233
	s_waitcnt vmcnt(6)
	v_mul_f32_e32 v104, v98, v236
	v_add_f32_e32 v51, v51, v100
	v_fmac_f32_e32 v104, v99, v235
	ds_read_b128 v[100:103], v242 offset:912
	v_add_f32_e32 v51, v51, v104
	ds_read_b128 v[104:107], v242 offset:928
	buffer_load_dword v117, off, s[0:3], 0 offset:468
	buffer_load_dword v116, off, s[0:3], 0 offset:464
	;; [unrolled: 1-line block ×14, first 2 shown]
	v_add_f32_e32 v22, v26, v22
	v_fma_f32 v23, v24, v137, -v23
	v_mul_f32_e32 v19, v19, v45
	v_add_f32_e32 v22, v22, v23
	v_fma_f32 v18, v18, v136, -v19
	v_mul_f32_e32 v19, v21, v112
	;; [unrolled: 3-line block ×6, first 2 shown]
	v_add_f32_e32 v6, v14, v6
	v_fma_f32 v7, v8, v147, -v7
	v_add_f32_e32 v6, v6, v7
	v_mul_f32_e32 v7, v11, v148
	v_fma_f32 v7, v10, v146, -v7
	v_add_f32_e32 v6, v6, v7
	v_mul_f32_e32 v7, v13, v149
	v_fma_f32 v7, v12, v145, -v7
	v_mul_f32_e32 v3, v3, v150
	v_add_f32_e32 v6, v6, v7
	v_fma_f32 v2, v2, v144, -v3
	v_mul_f32_e32 v3, v5, v152
	v_add_f32_e32 v2, v6, v2
	v_fma_f32 v3, v4, v151, -v3
	v_add_f32_e32 v2, v2, v3
	v_mul_f32_e32 v3, v35, v154
	v_fma_f32 v3, v34, v153, -v3
	v_add_f32_e32 v2, v2, v3
	v_mul_f32_e32 v3, v37, v156
	;; [unrolled: 3-line block ×28, first 2 shown]
	v_fma_f32 v3, v98, v235, -v3
	s_waitcnt vmcnt(15)
	v_mov_b32_e32 v16, v111
	s_waitcnt lgkmcnt(1)
	v_mul_f32_e32 v113, v100, v238
	v_add_f32_e32 v50, v2, v3
	v_mul_f32_e32 v2, v101, v238
	s_waitcnt lgkmcnt(0)
	v_pk_mul_f32 v[16:17], v[104:105], v[16:17] op_sel_hi:[1,0]
	v_fmac_f32_e32 v113, v101, v237
	v_mul_f32_e32 v115, v102, v240
	v_fma_f32 v112, v100, v237, -v2
	v_mul_f32_e32 v2, v103, v240
	s_waitcnt vmcnt(14)
	v_pk_fma_f32 v[18:19], v[104:105], v[110:111], v[16:17] op_sel:[0,0,1] op_sel_hi:[1,1,0] neg_lo:[0,0,1] neg_hi:[0,0,1]
	v_pk_fma_f32 v[16:17], v[104:105], v[110:111], v[16:17] op_sel:[0,0,1] op_sel_hi:[1,0,0]
	v_fmac_f32_e32 v115, v103, v239
	v_fma_f32 v114, v102, v239, -v2
	v_pk_add_f32 v[14:15], v[50:51], v[112:113]
	s_waitcnt vmcnt(7)
	v_mov_b32_e32 v16, v123
	ds_read_b128 v[2:5], v242 offset:944
	ds_read_b128 v[6:9], v242 offset:960
	;; [unrolled: 1-line block ×3, first 2 shown]
	v_pk_add_f32 v[14:15], v[14:15], v[114:115]
	v_mov_b32_e32 v19, v17
	v_pk_mul_f32 v[16:17], v[106:107], v[16:17] op_sel_hi:[1,0]
	v_pk_add_f32 v[14:15], v[14:15], v[18:19]
	s_waitcnt vmcnt(6)
	v_pk_fma_f32 v[18:19], v[106:107], v[122:123], v[16:17] op_sel:[0,0,1] op_sel_hi:[1,1,0] neg_lo:[0,0,1] neg_hi:[0,0,1]
	v_pk_fma_f32 v[16:17], v[106:107], v[122:123], v[16:17] op_sel:[0,0,1] op_sel_hi:[1,0,0]
	v_mov_b32_e32 v16, v121
	v_mov_b32_e32 v19, v17
	s_waitcnt lgkmcnt(2)
	v_pk_mul_f32 v[16:17], v[2:3], v[16:17] op_sel_hi:[1,0]
	v_pk_add_f32 v[14:15], v[14:15], v[18:19]
	v_pk_fma_f32 v[18:19], v[2:3], v[120:121], v[16:17] op_sel:[0,0,1] op_sel_hi:[1,1,0] neg_lo:[0,0,1] neg_hi:[0,0,1]
	v_pk_fma_f32 v[2:3], v[2:3], v[120:121], v[16:17] op_sel:[0,0,1] op_sel_hi:[1,0,0]
	v_mov_b32_e32 v19, v3
	v_pk_add_f32 v[2:3], v[14:15], v[18:19]
	v_mov_b32_e32 v14, v119
	v_pk_mul_f32 v[14:15], v[4:5], v[14:15] op_sel_hi:[1,0]
	v_pk_fma_f32 v[16:17], v[4:5], v[118:119], v[14:15] op_sel:[0,0,1] op_sel_hi:[1,1,0] neg_lo:[0,0,1] neg_hi:[0,0,1]
	v_pk_fma_f32 v[4:5], v[4:5], v[118:119], v[14:15] op_sel:[0,0,1] op_sel_hi:[1,0,0]
	v_mov_b32_e32 v4, v117
	v_mov_b32_e32 v17, v5
	s_waitcnt lgkmcnt(1)
	v_pk_mul_f32 v[4:5], v[6:7], v[4:5] op_sel_hi:[1,0]
	v_pk_fma_f32 v[14:15], v[6:7], v[116:117], v[4:5] op_sel:[0,0,1] op_sel_hi:[1,1,0] neg_lo:[0,0,1] neg_hi:[0,0,1]
	v_pk_fma_f32 v[4:5], v[6:7], v[116:117], v[4:5] op_sel:[0,0,1] op_sel_hi:[1,0,0]
	s_waitcnt vmcnt(1)
	v_mov_b32_e32 v4, v129
	v_mov_b32_e32 v15, v5
	v_pk_mul_f32 v[4:5], v[8:9], v[4:5] op_sel_hi:[1,0]
	s_waitcnt vmcnt(0)
	v_pk_fma_f32 v[6:7], v[8:9], v[128:129], v[4:5] op_sel:[0,0,1] op_sel_hi:[1,1,0] neg_lo:[0,0,1] neg_hi:[0,0,1]
	v_pk_fma_f32 v[4:5], v[8:9], v[128:129], v[4:5] op_sel:[0,0,1] op_sel_hi:[1,0,0]
	v_pk_add_f32 v[2:3], v[2:3], v[16:17]
	v_mov_b32_e32 v4, v127
	v_pk_add_f32 v[2:3], v[2:3], v[14:15]
	v_mov_b32_e32 v7, v5
	s_waitcnt lgkmcnt(0)
	v_pk_mul_f32 v[4:5], v[10:11], v[4:5] op_sel_hi:[1,0]
	v_pk_add_f32 v[2:3], v[2:3], v[6:7]
	v_pk_fma_f32 v[6:7], v[10:11], v[126:127], v[4:5] op_sel:[0,0,1] op_sel_hi:[1,1,0] neg_lo:[0,0,1] neg_hi:[0,0,1]
	v_pk_fma_f32 v[4:5], v[10:11], v[126:127], v[4:5] op_sel:[0,0,1] op_sel_hi:[1,0,0]
	v_mov_b32_e32 v4, v125
	v_mov_b32_e32 v7, v5
	v_pk_mul_f32 v[4:5], v[12:13], v[4:5] op_sel_hi:[1,0]
	v_pk_add_f32 v[2:3], v[2:3], v[6:7]
	v_pk_fma_f32 v[6:7], v[12:13], v[124:125], v[4:5] op_sel:[0,0,1] op_sel_hi:[1,1,0] neg_lo:[0,0,1] neg_hi:[0,0,1]
	v_pk_fma_f32 v[4:5], v[12:13], v[124:125], v[4:5] op_sel:[0,0,1] op_sel_hi:[1,0,0]
	v_mov_b32_e32 v7, v5
	v_pk_add_f32 v[2:3], v[2:3], v[6:7]
	v_pk_add_f32 v[2:3], v[42:43], v[2:3] neg_lo:[0,1] neg_hi:[0,1]
	buffer_store_dword v3, off, s[0:3], 0 offset:60
	buffer_store_dword v2, off, s[0:3], 0 offset:56
	s_and_saveexec_b64 s[4:5], vcc
	s_cbranch_execz .LBB61_373
; %bb.372:
	buffer_load_dword v2, off, s[0:3], 0 offset:48
	buffer_load_dword v3, off, s[0:3], 0 offset:52
	v_mov_b32_e32 v4, 0
	buffer_store_dword v4, off, s[0:3], 0 offset:48
	buffer_store_dword v4, off, s[0:3], 0 offset:52
	s_waitcnt vmcnt(2)
	ds_write_b64 v210, v[2:3]
.LBB61_373:
	s_or_b64 exec, exec, s[4:5]
	s_waitcnt lgkmcnt(0)
	; wave barrier
	s_waitcnt lgkmcnt(0)
	buffer_load_dword v58, off, s[0:3], 0 offset:60
	buffer_load_dword v57, off, s[0:3], 0 offset:68
	;; [unrolled: 1-line block ×48, first 2 shown]
	v_mov_b32_e32 v52, 0
	ds_read2_b64 v[22:25], v52 offset0:69 offset1:70
	ds_read2_b64 v[18:21], v52 offset0:71 offset1:72
	;; [unrolled: 1-line block ×6, first 2 shown]
	v_cmp_lt_u32_e32 vcc, 5, v0
	s_waitcnt vmcnt(47) lgkmcnt(5)
	v_mul_f32_e32 v26, v22, v58
	s_waitcnt vmcnt(46)
	v_mul_f32_e32 v27, v24, v57
	s_waitcnt vmcnt(45) lgkmcnt(4)
	v_mul_f32_e32 v29, v20, v56
	s_waitcnt vmcnt(44) lgkmcnt(3)
	v_mul_f32_e32 v30, v14, v55
	s_waitcnt vmcnt(43)
	v_mul_f32_e32 v31, v16, v53
	s_waitcnt vmcnt(42)
	v_mul_f32_e32 v28, v18, v59
	s_waitcnt vmcnt(41) lgkmcnt(2)
	v_mul_f32_e32 v32, v10, v54
	s_waitcnt vmcnt(40)
	v_mul_f32_e32 v33, v12, v60
	s_waitcnt vmcnt(39) lgkmcnt(1)
	;; [unrolled: 4-line block ×3, first 2 shown]
	v_mul_f32_e32 v36, v2, v63
	s_waitcnt vmcnt(36)
	v_mul_f32_e32 v37, v4, v64
	s_waitcnt vmcnt(35)
	v_fmac_f32_e32 v28, v19, v70
	s_waitcnt vmcnt(34)
	v_fmac_f32_e32 v27, v25, v73
	;; [unrolled: 2-line block ×3, first 2 shown]
	v_add_f32_e32 v26, 0, v26
	v_add_f32_e32 v26, v26, v27
	;; [unrolled: 1-line block ×3, first 2 shown]
	s_waitcnt vmcnt(29)
	v_fmac_f32_e32 v29, v21, v75
	v_fmac_f32_e32 v30, v15, v72
	v_add_f32_e32 v26, v26, v29
	v_fmac_f32_e32 v31, v17, v69
	v_add_f32_e32 v26, v26, v30
	;; [unrolled: 2-line block ×3, first 2 shown]
	s_waitcnt vmcnt(25)
	v_fmac_f32_e32 v33, v13, v71
	v_add_f32_e32 v26, v26, v32
	v_fmac_f32_e32 v34, v7, v68
	v_add_f32_e32 v26, v26, v33
	;; [unrolled: 2-line block ×4, first 2 shown]
	s_waitcnt vmcnt(21)
	v_fmac_f32_e32 v37, v5, v82
	v_add_f32_e32 v30, v30, v36
	ds_read2_b64 v[26:29], v52 offset0:81 offset1:82
	v_add_f32_e32 v34, v30, v37
	ds_read2_b64 v[30:33], v52 offset0:83 offset1:84
	buffer_load_dword v168, off, s[0:3], 0 offset:240
	buffer_load_dword v169, off, s[0:3], 0 offset:244
	;; [unrolled: 1-line block ×6, first 2 shown]
	s_waitcnt vmcnt(26) lgkmcnt(1)
	v_mul_f32_e32 v35, v26, v81
	v_fmac_f32_e32 v35, v27, v79
	buffer_load_dword v174, off, s[0:3], 0 offset:264
	buffer_load_dword v175, off, s[0:3], 0 offset:268
	v_add_f32_e32 v34, v34, v35
	s_waitcnt vmcnt(27)
	v_mul_f32_e32 v35, v28, v80
	v_fmac_f32_e32 v35, v29, v77
	v_add_f32_e32 v34, v34, v35
	s_waitcnt vmcnt(26) lgkmcnt(0)
	v_mul_f32_e32 v35, v30, v78
	v_fmac_f32_e32 v35, v31, v74
	buffer_load_dword v176, off, s[0:3], 0 offset:272
	buffer_load_dword v177, off, s[0:3], 0 offset:276
	v_add_f32_e32 v34, v34, v35
	s_waitcnt vmcnt(21)
	v_mul_f32_e32 v35, v32, v106
	s_waitcnt vmcnt(20)
	v_fmac_f32_e32 v35, v33, v142
	v_add_f32_e32 v42, v34, v35
	ds_read2_b64 v[34:37], v52 offset0:85 offset1:86
	buffer_load_dword v178, off, s[0:3], 0 offset:280
	buffer_load_dword v179, off, s[0:3], 0 offset:284
	ds_read2_b64 v[38:41], v52 offset0:87 offset1:88
	buffer_load_dword v180, off, s[0:3], 0 offset:288
	buffer_load_dword v181, off, s[0:3], 0 offset:292
	;; [unrolled: 1-line block ×12, first 2 shown]
	s_waitcnt lgkmcnt(1)
	v_mul_f32_e32 v43, v34, v84
	v_fmac_f32_e32 v43, v35, v83
	buffer_load_dword v192, off, s[0:3], 0 offset:336
	buffer_load_dword v193, off, s[0:3], 0 offset:340
	v_add_f32_e32 v42, v42, v43
	v_mul_f32_e32 v43, v36, v86
	v_fmac_f32_e32 v43, v37, v85
	v_add_f32_e32 v42, v42, v43
	s_waitcnt lgkmcnt(0)
	v_mul_f32_e32 v43, v38, v88
	buffer_load_dword v194, off, s[0:3], 0 offset:344
	buffer_load_dword v195, off, s[0:3], 0 offset:348
	v_fmac_f32_e32 v43, v39, v87
	v_add_f32_e32 v46, v42, v43
	ds_read2_b64 v[42:45], v52 offset0:89 offset1:90
	buffer_load_dword v196, off, s[0:3], 0 offset:352
	buffer_load_dword v197, off, s[0:3], 0 offset:356
	;; [unrolled: 1-line block ×4, first 2 shown]
	s_waitcnt vmcnt(38)
	v_mul_f32_e32 v47, v40, v144
	v_fmac_f32_e32 v47, v41, v89
	v_add_f32_e32 v90, v46, v47
	ds_read2_b64 v[46:49], v52 offset0:91 offset1:92
	buffer_load_dword v200, off, s[0:3], 0 offset:368
	buffer_load_dword v201, off, s[0:3], 0 offset:372
	;; [unrolled: 1-line block ×10, first 2 shown]
	s_waitcnt vmcnt(46) lgkmcnt(1)
	v_mul_f32_e32 v91, v42, v163
	v_fmac_f32_e32 v91, v43, v162
	v_add_f32_e32 v90, v90, v91
	s_waitcnt vmcnt(44)
	v_mul_f32_e32 v91, v44, v165
	v_fmac_f32_e32 v91, v45, v164
	v_add_f32_e32 v90, v90, v91
	s_waitcnt vmcnt(42) lgkmcnt(0)
	v_mul_f32_e32 v91, v46, v167
	v_fmac_f32_e32 v91, v47, v166
	v_add_f32_e32 v94, v90, v91
	buffer_load_dword v238, off, s[0:3], 0 offset:408
	buffer_load_dword v239, off, s[0:3], 0 offset:412
	;; [unrolled: 1-line block ×6, first 2 shown]
	ds_read2_b64 v[90:93], v52 offset0:93 offset1:94
	v_mul_f32_e32 v23, v23, v58
	v_fma_f32 v22, v22, v76, -v23
	v_mul_f32_e32 v23, v25, v57
	v_add_f32_e32 v22, 0, v22
	v_fma_f32 v23, v24, v73, -v23
	v_mul_f32_e32 v19, v19, v59
	v_add_f32_e32 v22, v22, v23
	;; [unrolled: 3-line block ×6, first 2 shown]
	v_fma_f32 v10, v10, v67, -v11
	s_waitcnt vmcnt(46)
	v_mul_f32_e32 v95, v48, v169
	v_fmac_f32_e32 v95, v49, v168
	v_add_f32_e32 v98, v94, v95
	ds_read2_b64 v[94:97], v52 offset0:95 offset1:96
	s_waitcnt vmcnt(44) lgkmcnt(1)
	v_mul_f32_e32 v99, v90, v171
	v_fmac_f32_e32 v99, v91, v170
	v_add_f32_e32 v98, v98, v99
	s_waitcnt vmcnt(42)
	v_mul_f32_e32 v99, v92, v173
	v_fmac_f32_e32 v99, v93, v172
	v_add_f32_e32 v98, v98, v99
	s_waitcnt vmcnt(40) lgkmcnt(0)
	v_mul_f32_e32 v99, v94, v175
	v_fmac_f32_e32 v99, v95, v174
	v_add_f32_e32 v102, v98, v99
	ds_read2_b64 v[98:101], v52 offset0:97 offset1:98
	s_waitcnt vmcnt(38)
	v_mul_f32_e32 v103, v96, v177
	v_fmac_f32_e32 v103, v97, v176
	v_add_f32_e32 v107, v102, v103
	ds_read2_b64 v[102:105], v52 offset0:99 offset1:100
	s_waitcnt vmcnt(36) lgkmcnt(1)
	v_mul_f32_e32 v110, v98, v179
	v_fmac_f32_e32 v110, v99, v178
	v_add_f32_e32 v107, v107, v110
	s_waitcnt vmcnt(34)
	v_mul_f32_e32 v110, v100, v181
	v_fmac_f32_e32 v110, v101, v180
	v_add_f32_e32 v107, v107, v110
	s_waitcnt vmcnt(32) lgkmcnt(0)
	v_mul_f32_e32 v110, v102, v183
	v_fmac_f32_e32 v110, v103, v182
	v_add_f32_e32 v107, v107, v110
	ds_read2_b64 v[110:113], v52 offset0:101 offset1:102
	;; [unrolled: 18-line block ×4, first 2 shown]
	s_waitcnt vmcnt(14)
	v_mul_f32_e32 v130, v124, v201
	v_fmac_f32_e32 v130, v125, v200
	v_add_f32_e32 v107, v107, v130
	ds_read2_b64 v[130:133], v52 offset0:111 offset1:112
	s_waitcnt vmcnt(12) lgkmcnt(1)
	v_mul_f32_e32 v134, v126, v203
	v_fmac_f32_e32 v134, v127, v202
	v_add_f32_e32 v107, v107, v134
	s_waitcnt vmcnt(10)
	v_mul_f32_e32 v134, v128, v233
	v_fmac_f32_e32 v134, v129, v232
	v_add_f32_e32 v107, v107, v134
	s_waitcnt vmcnt(8) lgkmcnt(0)
	v_mul_f32_e32 v134, v130, v235
	v_fmac_f32_e32 v134, v131, v234
	s_waitcnt vmcnt(6)
	v_mul_f32_e32 v138, v132, v237
	v_add_f32_e32 v107, v107, v134
	v_fmac_f32_e32 v138, v133, v236
	v_mul_f32_e32 v11, v13, v60
	ds_read2_b64 v[134:137], v52 offset0:113 offset1:114
	v_add_f32_e32 v107, v107, v138
	ds_read2_b64 v[138:141], v52 offset0:115 offset1:116
	buffer_load_dword v147, off, s[0:3], 0 offset:460
	buffer_load_dword v146, off, s[0:3], 0 offset:456
	buffer_load_dword v149, off, s[0:3], 0 offset:452
	buffer_load_dword v148, off, s[0:3], 0 offset:448
	buffer_load_dword v151, off, s[0:3], 0 offset:444
	buffer_load_dword v150, off, s[0:3], 0 offset:440
	buffer_load_dword v153, off, s[0:3], 0 offset:436
	buffer_load_dword v152, off, s[0:3], 0 offset:432
	buffer_load_dword v155, off, s[0:3], 0 offset:492
	buffer_load_dword v154, off, s[0:3], 0 offset:488
	buffer_load_dword v157, off, s[0:3], 0 offset:484
	buffer_load_dword v156, off, s[0:3], 0 offset:480
	buffer_load_dword v159, off, s[0:3], 0 offset:476
	buffer_load_dword v158, off, s[0:3], 0 offset:472
	buffer_load_dword v161, off, s[0:3], 0 offset:468
	buffer_load_dword v160, off, s[0:3], 0 offset:464
	v_add_f32_e32 v10, v14, v10
	v_fma_f32 v11, v12, v71, -v11
	v_mul_f32_e32 v7, v7, v61
	v_add_f32_e32 v10, v10, v11
	v_fma_f32 v6, v6, v68, -v7
	v_mul_f32_e32 v7, v9, v62
	;; [unrolled: 3-line block ×4, first 2 shown]
	v_add_f32_e32 v2, v6, v2
	v_fma_f32 v3, v4, v82, -v3
	v_add_f32_e32 v2, v2, v3
	v_mul_f32_e32 v3, v27, v81
	v_fma_f32 v3, v26, v79, -v3
	v_add_f32_e32 v2, v2, v3
	v_mul_f32_e32 v3, v29, v80
	v_fma_f32 v3, v28, v77, -v3
	v_add_f32_e32 v2, v2, v3
	v_mul_f32_e32 v3, v31, v78
	v_fma_f32 v3, v30, v74, -v3
	v_add_f32_e32 v2, v2, v3
	v_mul_f32_e32 v3, v33, v106
	v_fma_f32 v3, v32, v142, -v3
	v_add_f32_e32 v2, v2, v3
	v_mul_f32_e32 v3, v35, v84
	v_fma_f32 v3, v34, v83, -v3
	v_add_f32_e32 v2, v2, v3
	v_mul_f32_e32 v3, v37, v86
	v_fma_f32 v3, v36, v85, -v3
	v_add_f32_e32 v2, v2, v3
	v_mul_f32_e32 v3, v39, v88
	v_fma_f32 v3, v38, v87, -v3
	v_add_f32_e32 v2, v2, v3
	v_mul_f32_e32 v3, v41, v144
	v_fma_f32 v3, v40, v89, -v3
	v_add_f32_e32 v2, v2, v3
	v_mul_f32_e32 v3, v43, v163
	v_fma_f32 v3, v42, v162, -v3
	v_add_f32_e32 v2, v2, v3
	v_mul_f32_e32 v3, v45, v165
	v_fma_f32 v3, v44, v164, -v3
	v_add_f32_e32 v2, v2, v3
	v_mul_f32_e32 v3, v47, v167
	v_fma_f32 v3, v46, v166, -v3
	v_add_f32_e32 v2, v2, v3
	v_mul_f32_e32 v3, v49, v169
	v_fma_f32 v3, v48, v168, -v3
	v_add_f32_e32 v2, v2, v3
	v_mul_f32_e32 v3, v91, v171
	v_fma_f32 v3, v90, v170, -v3
	v_add_f32_e32 v2, v2, v3
	v_mul_f32_e32 v3, v93, v173
	v_fma_f32 v3, v92, v172, -v3
	v_add_f32_e32 v2, v2, v3
	v_mul_f32_e32 v3, v95, v175
	v_fma_f32 v3, v94, v174, -v3
	v_add_f32_e32 v2, v2, v3
	v_mul_f32_e32 v3, v97, v177
	v_fma_f32 v3, v96, v176, -v3
	v_add_f32_e32 v2, v2, v3
	v_mul_f32_e32 v3, v99, v179
	v_fma_f32 v3, v98, v178, -v3
	v_add_f32_e32 v2, v2, v3
	v_mul_f32_e32 v3, v101, v181
	v_fma_f32 v3, v100, v180, -v3
	v_add_f32_e32 v2, v2, v3
	v_mul_f32_e32 v3, v103, v183
	v_fma_f32 v3, v102, v182, -v3
	v_add_f32_e32 v2, v2, v3
	v_mul_f32_e32 v3, v105, v185
	v_fma_f32 v3, v104, v184, -v3
	v_add_f32_e32 v2, v2, v3
	v_mul_f32_e32 v3, v111, v187
	v_fma_f32 v3, v110, v186, -v3
	v_add_f32_e32 v2, v2, v3
	v_mul_f32_e32 v3, v113, v189
	v_fma_f32 v3, v112, v188, -v3
	v_add_f32_e32 v2, v2, v3
	v_mul_f32_e32 v3, v115, v191
	v_fma_f32 v3, v114, v190, -v3
	v_add_f32_e32 v2, v2, v3
	v_mul_f32_e32 v3, v117, v193
	v_fma_f32 v3, v116, v192, -v3
	v_add_f32_e32 v2, v2, v3
	v_mul_f32_e32 v3, v119, v195
	v_fma_f32 v3, v118, v194, -v3
	v_add_f32_e32 v2, v2, v3
	v_mul_f32_e32 v3, v121, v197
	v_fma_f32 v3, v120, v196, -v3
	v_add_f32_e32 v2, v2, v3
	v_mul_f32_e32 v3, v123, v199
	v_fma_f32 v3, v122, v198, -v3
	v_add_f32_e32 v2, v2, v3
	v_mul_f32_e32 v3, v125, v201
	v_fma_f32 v3, v124, v200, -v3
	v_add_f32_e32 v2, v2, v3
	v_mul_f32_e32 v3, v127, v203
	v_fma_f32 v3, v126, v202, -v3
	v_add_f32_e32 v2, v2, v3
	v_mul_f32_e32 v3, v129, v233
	v_fma_f32 v3, v128, v232, -v3
	v_add_f32_e32 v2, v2, v3
	v_mul_f32_e32 v3, v131, v235
	v_fma_f32 v3, v130, v234, -v3
	v_add_f32_e32 v2, v2, v3
	v_mul_f32_e32 v3, v133, v237
	v_fma_f32 v3, v132, v236, -v3
	v_add_f32_e32 v2, v2, v3
	s_waitcnt vmcnt(20) lgkmcnt(1)
	v_mul_f32_e32 v3, v135, v239
	v_mul_f32_e32 v143, v134, v239
	v_fma_f32 v3, v134, v238, -v3
	v_fmac_f32_e32 v143, v135, v238
	v_add_f32_e32 v106, v2, v3
	s_waitcnt vmcnt(18)
	v_mul_f32_e32 v2, v137, v241
	s_waitcnt vmcnt(9)
	v_mov_b32_e32 v18, v153
	v_add_f32_e32 v107, v107, v143
	v_mul_f32_e32 v143, v136, v241
	v_fma_f32 v142, v136, v240, -v2
	s_waitcnt lgkmcnt(0)
	v_mul_f32_e32 v2, v139, v243
	v_pk_mul_f32 v[18:19], v[140:141], v[18:19] op_sel_hi:[1,0]
	v_fmac_f32_e32 v143, v137, v240
	v_mul_f32_e32 v145, v138, v243
	v_fma_f32 v144, v138, v242, -v2
	ds_read2_b64 v[2:5], v52 offset0:117 offset1:118
	ds_read2_b64 v[6:9], v52 offset0:119 offset1:120
	;; [unrolled: 1-line block ×3, first 2 shown]
	ds_read_b64 v[14:15], v52 offset:984
	s_waitcnt vmcnt(8)
	v_pk_fma_f32 v[20:21], v[140:141], v[152:153], v[18:19] op_sel:[0,0,1] op_sel_hi:[1,1,0] neg_lo:[0,0,1] neg_hi:[0,0,1]
	v_pk_fma_f32 v[18:19], v[140:141], v[152:153], v[18:19] op_sel:[0,0,1] op_sel_hi:[1,0,0]
	v_fmac_f32_e32 v145, v139, v242
	v_pk_add_f32 v[16:17], v[106:107], v[142:143]
	v_mov_b32_e32 v18, v151
	v_pk_add_f32 v[16:17], v[16:17], v[144:145]
	v_mov_b32_e32 v21, v19
	s_waitcnt lgkmcnt(3)
	v_pk_mul_f32 v[18:19], v[2:3], v[18:19] op_sel_hi:[1,0]
	v_pk_add_f32 v[16:17], v[16:17], v[20:21]
	v_pk_fma_f32 v[20:21], v[2:3], v[150:151], v[18:19] op_sel:[0,0,1] op_sel_hi:[1,1,0] neg_lo:[0,0,1] neg_hi:[0,0,1]
	v_pk_fma_f32 v[2:3], v[2:3], v[150:151], v[18:19] op_sel:[0,0,1] op_sel_hi:[1,0,0]
	v_mov_b32_e32 v21, v3
	v_pk_add_f32 v[2:3], v[16:17], v[20:21]
	v_mov_b32_e32 v16, v149
	v_pk_mul_f32 v[16:17], v[4:5], v[16:17] op_sel_hi:[1,0]
	v_pk_fma_f32 v[18:19], v[4:5], v[148:149], v[16:17] op_sel:[0,0,1] op_sel_hi:[1,1,0] neg_lo:[0,0,1] neg_hi:[0,0,1]
	v_pk_fma_f32 v[4:5], v[4:5], v[148:149], v[16:17] op_sel:[0,0,1] op_sel_hi:[1,0,0]
	v_mov_b32_e32 v4, v147
	v_mov_b32_e32 v19, v5
	s_waitcnt lgkmcnt(2)
	v_pk_mul_f32 v[4:5], v[6:7], v[4:5] op_sel_hi:[1,0]
	v_pk_fma_f32 v[16:17], v[6:7], v[146:147], v[4:5] op_sel:[0,0,1] op_sel_hi:[1,1,0] neg_lo:[0,0,1] neg_hi:[0,0,1]
	v_pk_fma_f32 v[4:5], v[6:7], v[146:147], v[4:5] op_sel:[0,0,1] op_sel_hi:[1,0,0]
	s_waitcnt vmcnt(1)
	v_mov_b32_e32 v4, v161
	v_mov_b32_e32 v17, v5
	v_pk_mul_f32 v[4:5], v[8:9], v[4:5] op_sel_hi:[1,0]
	s_waitcnt vmcnt(0)
	v_pk_fma_f32 v[6:7], v[8:9], v[160:161], v[4:5] op_sel:[0,0,1] op_sel_hi:[1,1,0] neg_lo:[0,0,1] neg_hi:[0,0,1]
	v_pk_fma_f32 v[4:5], v[8:9], v[160:161], v[4:5] op_sel:[0,0,1] op_sel_hi:[1,0,0]
	v_pk_add_f32 v[2:3], v[2:3], v[18:19]
	v_mov_b32_e32 v4, v159
	v_pk_add_f32 v[2:3], v[2:3], v[16:17]
	v_mov_b32_e32 v7, v5
	s_waitcnt lgkmcnt(1)
	v_pk_mul_f32 v[4:5], v[10:11], v[4:5] op_sel_hi:[1,0]
	v_pk_add_f32 v[2:3], v[2:3], v[6:7]
	v_pk_fma_f32 v[6:7], v[10:11], v[158:159], v[4:5] op_sel:[0,0,1] op_sel_hi:[1,1,0] neg_lo:[0,0,1] neg_hi:[0,0,1]
	v_pk_fma_f32 v[4:5], v[10:11], v[158:159], v[4:5] op_sel:[0,0,1] op_sel_hi:[1,0,0]
	v_mov_b32_e32 v4, v157
	v_mov_b32_e32 v7, v5
	v_pk_mul_f32 v[4:5], v[12:13], v[4:5] op_sel_hi:[1,0]
	v_pk_add_f32 v[2:3], v[2:3], v[6:7]
	v_pk_fma_f32 v[6:7], v[12:13], v[156:157], v[4:5] op_sel:[0,0,1] op_sel_hi:[1,1,0] neg_lo:[0,0,1] neg_hi:[0,0,1]
	v_pk_fma_f32 v[4:5], v[12:13], v[156:157], v[4:5] op_sel:[0,0,1] op_sel_hi:[1,0,0]
	v_mov_b32_e32 v4, v155
	v_mov_b32_e32 v7, v5
	s_waitcnt lgkmcnt(0)
	v_pk_mul_f32 v[4:5], v[14:15], v[4:5] op_sel_hi:[1,0]
	v_pk_add_f32 v[2:3], v[2:3], v[6:7]
	v_pk_fma_f32 v[6:7], v[14:15], v[154:155], v[4:5] op_sel:[0,0,1] op_sel_hi:[1,1,0] neg_lo:[0,0,1] neg_hi:[0,0,1]
	v_pk_fma_f32 v[4:5], v[14:15], v[154:155], v[4:5] op_sel:[0,0,1] op_sel_hi:[1,0,0]
	v_mov_b32_e32 v7, v5
	v_pk_add_f32 v[2:3], v[2:3], v[6:7]
	v_pk_add_f32 v[2:3], v[50:51], v[2:3] neg_lo:[0,1] neg_hi:[0,1]
	buffer_store_dword v3, off, s[0:3], 0 offset:52
	buffer_store_dword v2, off, s[0:3], 0 offset:48
	s_and_saveexec_b64 s[4:5], vcc
	s_cbranch_execz .LBB61_375
; %bb.374:
	buffer_load_dword v2, off, s[0:3], 0 offset:40
	buffer_load_dword v3, off, s[0:3], 0 offset:44
	s_waitcnt vmcnt(0)
	ds_write_b64 v210, v[2:3]
	buffer_store_dword v52, off, s[0:3], 0 offset:40
	buffer_store_dword v52, off, s[0:3], 0 offset:44
.LBB61_375:
	s_or_b64 exec, exec, s[4:5]
	s_waitcnt lgkmcnt(0)
	; wave barrier
	s_waitcnt lgkmcnt(0)
	buffer_load_dword v58, off, s[0:3], 0 offset:52
	buffer_load_dword v57, off, s[0:3], 0 offset:60
	;; [unrolled: 1-line block ×40, first 2 shown]
	ds_read_b128 v[26:29], v52 offset:544
	ds_read_b128 v[22:25], v52 offset:560
	;; [unrolled: 1-line block ×7, first 2 shown]
	buffer_load_dword v91, off, s[0:3], 0 offset:200
	buffer_load_dword v92, off, s[0:3], 0 offset:204
	;; [unrolled: 1-line block ×10, first 2 shown]
	v_cmp_lt_u32_e32 vcc, 4, v0
	s_waitcnt vmcnt(49) lgkmcnt(6)
	v_mul_f32_e32 v30, v26, v58
	s_waitcnt vmcnt(48)
	v_mul_f32_e32 v31, v28, v57
	s_waitcnt vmcnt(47) lgkmcnt(5)
	v_mul_f32_e32 v33, v24, v56
	s_waitcnt vmcnt(46) lgkmcnt(4)
	v_mul_f32_e32 v34, v18, v55
	s_waitcnt vmcnt(45)
	v_mul_f32_e32 v35, v20, v53
	s_waitcnt vmcnt(44)
	v_mul_f32_e32 v32, v22, v59
	s_waitcnt vmcnt(43) lgkmcnt(3)
	v_mul_f32_e32 v36, v14, v54
	s_waitcnt vmcnt(42)
	v_mul_f32_e32 v37, v16, v60
	s_waitcnt vmcnt(41) lgkmcnt(2)
	;; [unrolled: 4-line block ×3, first 2 shown]
	v_mul_f32_e32 v40, v6, v63
	s_waitcnt vmcnt(38)
	v_mul_f32_e32 v41, v8, v64
	s_waitcnt vmcnt(37)
	v_fmac_f32_e32 v32, v23, v70
	s_waitcnt vmcnt(36)
	v_fmac_f32_e32 v31, v29, v73
	;; [unrolled: 2-line block ×3, first 2 shown]
	v_add_f32_e32 v30, 0, v30
	v_add_f32_e32 v30, v30, v31
	;; [unrolled: 1-line block ×3, first 2 shown]
	s_waitcnt vmcnt(31)
	v_fmac_f32_e32 v33, v25, v75
	v_fmac_f32_e32 v34, v19, v72
	v_add_f32_e32 v30, v30, v33
	v_fmac_f32_e32 v35, v21, v69
	v_add_f32_e32 v30, v30, v34
	;; [unrolled: 2-line block ×3, first 2 shown]
	s_waitcnt vmcnt(27)
	v_fmac_f32_e32 v37, v17, v71
	v_add_f32_e32 v30, v30, v36
	v_fmac_f32_e32 v38, v11, v68
	v_add_f32_e32 v30, v30, v37
	;; [unrolled: 2-line block ×4, first 2 shown]
	s_waitcnt vmcnt(23)
	v_fmac_f32_e32 v41, v9, v82
	v_add_f32_e32 v30, v30, v40
	v_add_f32_e32 v34, v30, v41
	ds_read_b128 v[30:33], v52 offset:656
	buffer_load_dword v170, off, s[0:3], 0 offset:240
	buffer_load_dword v171, off, s[0:3], 0 offset:244
	s_waitcnt vmcnt(24) lgkmcnt(1)
	v_mul_f32_e32 v35, v2, v81
	buffer_load_dword v172, off, s[0:3], 0 offset:248
	buffer_load_dword v173, off, s[0:3], 0 offset:252
	v_fmac_f32_e32 v35, v3, v79
	v_add_f32_e32 v34, v34, v35
	s_waitcnt vmcnt(25)
	v_mul_f32_e32 v35, v4, v80
	buffer_load_dword v174, off, s[0:3], 0 offset:256
	buffer_load_dword v175, off, s[0:3], 0 offset:260
	v_fmac_f32_e32 v35, v5, v77
	v_add_f32_e32 v34, v34, v35
	s_waitcnt vmcnt(26) lgkmcnt(0)
	v_mul_f32_e32 v35, v30, v78
	v_fmac_f32_e32 v35, v31, v74
	v_add_f32_e32 v38, v34, v35
	ds_read_b128 v[34:37], v52 offset:672
	buffer_load_dword v176, off, s[0:3], 0 offset:264
	buffer_load_dword v177, off, s[0:3], 0 offset:268
	s_waitcnt vmcnt(21)
	v_mul_f32_e32 v39, v32, v90
	s_waitcnt vmcnt(20)
	v_fmac_f32_e32 v39, v33, v89
	v_add_f32_e32 v42, v38, v39
	ds_read_b128 v[38:41], v52 offset:688
	buffer_load_dword v178, off, s[0:3], 0 offset:272
	buffer_load_dword v179, off, s[0:3], 0 offset:276
	buffer_load_dword v180, off, s[0:3], 0 offset:280
	buffer_load_dword v181, off, s[0:3], 0 offset:284
	buffer_load_dword v182, off, s[0:3], 0 offset:288
	buffer_load_dword v183, off, s[0:3], 0 offset:292
	buffer_load_dword v184, off, s[0:3], 0 offset:296
	buffer_load_dword v185, off, s[0:3], 0 offset:300
	buffer_load_dword v186, off, s[0:3], 0 offset:304
	buffer_load_dword v187, off, s[0:3], 0 offset:308
	buffer_load_dword v188, off, s[0:3], 0 offset:312
	buffer_load_dword v189, off, s[0:3], 0 offset:316
	s_waitcnt lgkmcnt(1)
	v_mul_f32_e32 v43, v34, v84
	v_fmac_f32_e32 v43, v35, v83
	buffer_load_dword v190, off, s[0:3], 0 offset:320
	buffer_load_dword v191, off, s[0:3], 0 offset:324
	v_add_f32_e32 v42, v42, v43
	v_mul_f32_e32 v43, v36, v86
	v_fmac_f32_e32 v43, v37, v85
	v_add_f32_e32 v42, v42, v43
	s_waitcnt lgkmcnt(0)
	v_mul_f32_e32 v43, v38, v88
	v_fmac_f32_e32 v43, v39, v87
	buffer_load_dword v192, off, s[0:3], 0 offset:328
	buffer_load_dword v193, off, s[0:3], 0 offset:332
	v_add_f32_e32 v42, v42, v43
	s_waitcnt vmcnt(32)
	v_mul_f32_e32 v43, v40, v92
	v_fmac_f32_e32 v43, v41, v91
	v_add_f32_e32 v96, v42, v43
	ds_read_b128 v[42:45], v52 offset:704
	buffer_load_dword v194, off, s[0:3], 0 offset:336
	buffer_load_dword v195, off, s[0:3], 0 offset:340
	ds_read_b128 v[46:49], v52 offset:720
	buffer_load_dword v196, off, s[0:3], 0 offset:344
	buffer_load_dword v197, off, s[0:3], 0 offset:348
	;; [unrolled: 1-line block ×14, first 2 shown]
	s_waitcnt vmcnt(46) lgkmcnt(1)
	v_mul_f32_e32 v97, v42, v94
	v_fmac_f32_e32 v97, v43, v93
	v_add_f32_e32 v96, v96, v97
	s_waitcnt vmcnt(44)
	v_mul_f32_e32 v97, v44, v146
	v_fmac_f32_e32 v97, v45, v95
	v_add_f32_e32 v96, v96, v97
	s_waitcnt vmcnt(42) lgkmcnt(0)
	v_mul_f32_e32 v97, v46, v156
	v_fmac_f32_e32 v97, v47, v148
	v_add_f32_e32 v100, v96, v97
	buffer_load_dword v238, off, s[0:3], 0 offset:400
	buffer_load_dword v239, off, s[0:3], 0 offset:404
	ds_read_b128 v[96:99], v52 offset:736
	s_waitcnt vmcnt(42)
	v_mul_f32_e32 v101, v48, v169
	v_fmac_f32_e32 v101, v49, v168
	buffer_load_dword v240, off, s[0:3], 0 offset:408
	buffer_load_dword v241, off, s[0:3], 0 offset:412
	v_add_f32_e32 v104, v100, v101
	buffer_load_dword v242, off, s[0:3], 0 offset:416
	buffer_load_dword v243, off, s[0:3], 0 offset:420
	ds_read_b128 v[100:103], v52 offset:752
	buffer_load_dword v244, off, s[0:3], 0 offset:424
	buffer_load_dword v245, off, s[0:3], 0 offset:428
	v_mul_f32_e32 v27, v27, v58
	v_fma_f32 v26, v26, v76, -v27
	v_mul_f32_e32 v27, v29, v57
	v_add_f32_e32 v26, 0, v26
	v_fma_f32 v27, v28, v73, -v27
	v_mul_f32_e32 v23, v23, v59
	v_add_f32_e32 v26, v26, v27
	;; [unrolled: 3-line block ×4, first 2 shown]
	v_fma_f32 v18, v18, v72, -v19
	s_waitcnt vmcnt(46) lgkmcnt(1)
	v_mul_f32_e32 v105, v96, v171
	v_fmac_f32_e32 v105, v97, v170
	v_add_f32_e32 v104, v104, v105
	s_waitcnt vmcnt(44)
	v_mul_f32_e32 v105, v98, v173
	v_fmac_f32_e32 v105, v99, v172
	v_add_f32_e32 v104, v104, v105
	s_waitcnt vmcnt(42) lgkmcnt(0)
	v_mul_f32_e32 v105, v100, v175
	v_fmac_f32_e32 v105, v101, v174
	v_add_f32_e32 v110, v104, v105
	ds_read_b128 v[104:107], v52 offset:768
	v_mul_f32_e32 v19, v21, v53
	v_add_f32_e32 v18, v22, v18
	v_fma_f32 v19, v20, v69, -v19
	s_waitcnt vmcnt(40)
	v_mul_f32_e32 v111, v102, v177
	v_fmac_f32_e32 v111, v103, v176
	v_add_f32_e32 v114, v110, v111
	ds_read_b128 v[110:113], v52 offset:784
	v_mul_f32_e32 v15, v15, v54
	s_waitcnt vmcnt(38) lgkmcnt(1)
	v_mul_f32_e32 v115, v104, v179
	v_fmac_f32_e32 v115, v105, v178
	v_add_f32_e32 v114, v114, v115
	s_waitcnt vmcnt(36)
	v_mul_f32_e32 v115, v106, v181
	v_fmac_f32_e32 v115, v107, v180
	v_add_f32_e32 v114, v114, v115
	s_waitcnt vmcnt(34) lgkmcnt(0)
	v_mul_f32_e32 v115, v110, v183
	v_fmac_f32_e32 v115, v111, v182
	v_add_f32_e32 v118, v114, v115
	ds_read_b128 v[114:117], v52 offset:800
	s_waitcnt vmcnt(32)
	v_mul_f32_e32 v119, v112, v185
	v_fmac_f32_e32 v119, v113, v184
	v_add_f32_e32 v122, v118, v119
	ds_read_b128 v[118:121], v52 offset:816
	s_waitcnt vmcnt(30) lgkmcnt(1)
	v_mul_f32_e32 v123, v114, v187
	v_fmac_f32_e32 v123, v115, v186
	v_add_f32_e32 v122, v122, v123
	s_waitcnt vmcnt(28)
	v_mul_f32_e32 v123, v116, v189
	v_fmac_f32_e32 v123, v117, v188
	v_add_f32_e32 v122, v122, v123
	s_waitcnt vmcnt(26) lgkmcnt(0)
	v_mul_f32_e32 v123, v118, v191
	v_fmac_f32_e32 v123, v119, v190
	v_add_f32_e32 v126, v122, v123
	ds_read_b128 v[122:125], v52 offset:832
	s_waitcnt vmcnt(24)
	v_mul_f32_e32 v127, v120, v193
	v_fmac_f32_e32 v127, v121, v192
	v_add_f32_e32 v130, v126, v127
	ds_read_b128 v[126:129], v52 offset:848
	;; [unrolled: 18-line block ×3, first 2 shown]
	s_waitcnt vmcnt(14) lgkmcnt(1)
	v_mul_f32_e32 v139, v130, v203
	v_fmac_f32_e32 v139, v131, v202
	v_add_f32_e32 v138, v138, v139
	s_waitcnt vmcnt(12)
	v_mul_f32_e32 v139, v132, v233
	v_fmac_f32_e32 v139, v133, v232
	v_add_f32_e32 v138, v138, v139
	s_waitcnt vmcnt(10) lgkmcnt(0)
	v_mul_f32_e32 v139, v134, v235
	v_fmac_f32_e32 v139, v135, v234
	s_waitcnt vmcnt(8)
	v_mul_f32_e32 v143, v136, v237
	v_add_f32_e32 v142, v138, v139
	v_fmac_f32_e32 v143, v137, v236
	ds_read_b128 v[138:141], v52 offset:896
	v_add_f32_e32 v147, v142, v143
	ds_read_b128 v[142:145], v52 offset:912
	buffer_load_dword v151, off, s[0:3], 0 offset:452
	buffer_load_dword v150, off, s[0:3], 0 offset:448
	;; [unrolled: 1-line block ×6, first 2 shown]
	v_add_f32_e32 v18, v18, v19
	v_fma_f32 v14, v14, v67, -v15
	v_mul_f32_e32 v15, v17, v60
	v_add_f32_e32 v14, v18, v14
	v_fma_f32 v15, v16, v71, -v15
	v_mul_f32_e32 v11, v11, v61
	;; [unrolled: 3-line block ×7, first 2 shown]
	v_add_f32_e32 v2, v6, v2
	v_fma_f32 v3, v4, v77, -v3
	buffer_load_dword v159, off, s[0:3], 0 offset:484
	buffer_load_dword v158, off, s[0:3], 0 offset:480
	;; [unrolled: 1-line block ×10, first 2 shown]
	v_add_f32_e32 v2, v2, v3
	v_mul_f32_e32 v3, v31, v78
	v_fma_f32 v3, v30, v74, -v3
	v_add_f32_e32 v2, v2, v3
	v_mul_f32_e32 v3, v33, v90
	v_fma_f32 v3, v32, v89, -v3
	;; [unrolled: 3-line block ×30, first 2 shown]
	v_add_f32_e32 v2, v2, v3
	s_waitcnt vmcnt(22) lgkmcnt(1)
	v_mul_f32_e32 v3, v139, v239
	v_fma_f32 v3, v138, v238, -v3
	v_add_f32_e32 v2, v2, v3
	s_waitcnt vmcnt(20)
	v_mul_f32_e32 v3, v141, v241
	v_mul_f32_e32 v149, v138, v239
	v_fma_f32 v3, v140, v240, -v3
	v_fmac_f32_e32 v149, v139, v238
	v_add_f32_e32 v146, v2, v3
	s_waitcnt vmcnt(18) lgkmcnt(0)
	v_mul_f32_e32 v2, v143, v243
	v_add_f32_e32 v147, v147, v149
	v_mul_f32_e32 v149, v140, v241
	v_fma_f32 v148, v142, v242, -v2
	s_waitcnt vmcnt(16)
	v_mul_f32_e32 v2, v145, v245
	v_fmac_f32_e32 v149, v141, v240
	v_fma_f32 v156, v144, v244, -v2
	ds_read_b128 v[2:5], v52 offset:928
	ds_read_b128 v[6:9], v52 offset:944
	;; [unrolled: 1-line block ×4, first 2 shown]
	v_add_f32_e32 v147, v147, v149
	v_mul_f32_e32 v149, v142, v243
	s_waitcnt vmcnt(11)
	v_mov_b32_e32 v20, v155
	v_fmac_f32_e32 v149, v143, v242
	v_mul_f32_e32 v157, v144, v245
	s_waitcnt lgkmcnt(3)
	v_pk_mul_f32 v[20:21], v[2:3], v[20:21] op_sel_hi:[1,0]
	v_fmac_f32_e32 v157, v145, v244
	v_pk_add_f32 v[18:19], v[146:147], v[148:149]
	s_waitcnt vmcnt(10)
	v_pk_fma_f32 v[22:23], v[2:3], v[154:155], v[20:21] op_sel:[0,0,1] op_sel_hi:[1,1,0] neg_lo:[0,0,1] neg_hi:[0,0,1]
	v_pk_fma_f32 v[2:3], v[2:3], v[154:155], v[20:21] op_sel:[0,0,1] op_sel_hi:[1,0,0]
	v_pk_add_f32 v[18:19], v[18:19], v[156:157]
	v_mov_b32_e32 v23, v3
	v_pk_add_f32 v[2:3], v[18:19], v[22:23]
	v_mov_b32_e32 v18, v153
	v_pk_mul_f32 v[18:19], v[4:5], v[18:19] op_sel_hi:[1,0]
	v_pk_fma_f32 v[20:21], v[4:5], v[152:153], v[18:19] op_sel:[0,0,1] op_sel_hi:[1,1,0] neg_lo:[0,0,1] neg_hi:[0,0,1]
	v_pk_fma_f32 v[4:5], v[4:5], v[152:153], v[18:19] op_sel:[0,0,1] op_sel_hi:[1,0,0]
	v_mov_b32_e32 v4, v151
	v_mov_b32_e32 v21, v5
	s_waitcnt lgkmcnt(2)
	v_pk_mul_f32 v[4:5], v[6:7], v[4:5] op_sel_hi:[1,0]
	v_pk_fma_f32 v[18:19], v[6:7], v[150:151], v[4:5] op_sel:[0,0,1] op_sel_hi:[1,1,0] neg_lo:[0,0,1] neg_hi:[0,0,1]
	v_pk_fma_f32 v[4:5], v[6:7], v[150:151], v[4:5] op_sel:[0,0,1] op_sel_hi:[1,0,0]
	s_waitcnt vmcnt(3)
	v_mov_b32_e32 v4, v165
	v_mov_b32_e32 v19, v5
	v_pk_mul_f32 v[4:5], v[8:9], v[4:5] op_sel_hi:[1,0]
	s_waitcnt vmcnt(2)
	v_pk_fma_f32 v[6:7], v[8:9], v[164:165], v[4:5] op_sel:[0,0,1] op_sel_hi:[1,1,0] neg_lo:[0,0,1] neg_hi:[0,0,1]
	v_pk_fma_f32 v[4:5], v[8:9], v[164:165], v[4:5] op_sel:[0,0,1] op_sel_hi:[1,0,0]
	v_pk_add_f32 v[2:3], v[2:3], v[20:21]
	v_mov_b32_e32 v4, v163
	v_pk_add_f32 v[2:3], v[2:3], v[18:19]
	v_mov_b32_e32 v7, v5
	s_waitcnt lgkmcnt(1)
	v_pk_mul_f32 v[4:5], v[10:11], v[4:5] op_sel_hi:[1,0]
	v_pk_add_f32 v[2:3], v[2:3], v[6:7]
	v_pk_fma_f32 v[6:7], v[10:11], v[162:163], v[4:5] op_sel:[0,0,1] op_sel_hi:[1,1,0] neg_lo:[0,0,1] neg_hi:[0,0,1]
	v_pk_fma_f32 v[4:5], v[10:11], v[162:163], v[4:5] op_sel:[0,0,1] op_sel_hi:[1,0,0]
	v_mov_b32_e32 v4, v161
	v_mov_b32_e32 v7, v5
	v_pk_mul_f32 v[4:5], v[12:13], v[4:5] op_sel_hi:[1,0]
	v_pk_add_f32 v[2:3], v[2:3], v[6:7]
	v_pk_fma_f32 v[6:7], v[12:13], v[160:161], v[4:5] op_sel:[0,0,1] op_sel_hi:[1,1,0] neg_lo:[0,0,1] neg_hi:[0,0,1]
	v_pk_fma_f32 v[4:5], v[12:13], v[160:161], v[4:5] op_sel:[0,0,1] op_sel_hi:[1,0,0]
	v_mov_b32_e32 v4, v159
	v_mov_b32_e32 v7, v5
	s_waitcnt lgkmcnt(0)
	v_pk_mul_f32 v[4:5], v[14:15], v[4:5] op_sel_hi:[1,0]
	v_pk_add_f32 v[2:3], v[2:3], v[6:7]
	v_pk_fma_f32 v[6:7], v[14:15], v[158:159], v[4:5] op_sel:[0,0,1] op_sel_hi:[1,1,0] neg_lo:[0,0,1] neg_hi:[0,0,1]
	v_pk_fma_f32 v[4:5], v[14:15], v[158:159], v[4:5] op_sel:[0,0,1] op_sel_hi:[1,0,0]
	s_waitcnt vmcnt(1)
	v_mov_b32_e32 v4, v167
	v_mov_b32_e32 v7, v5
	v_pk_mul_f32 v[4:5], v[16:17], v[4:5] op_sel_hi:[1,0]
	v_pk_add_f32 v[2:3], v[2:3], v[6:7]
	s_waitcnt vmcnt(0)
	v_pk_fma_f32 v[6:7], v[16:17], v[166:167], v[4:5] op_sel:[0,0,1] op_sel_hi:[1,1,0] neg_lo:[0,0,1] neg_hi:[0,0,1]
	v_pk_fma_f32 v[4:5], v[16:17], v[166:167], v[4:5] op_sel:[0,0,1] op_sel_hi:[1,0,0]
	v_mov_b32_e32 v7, v5
	v_pk_add_f32 v[2:3], v[2:3], v[6:7]
	v_pk_add_f32 v[2:3], v[50:51], v[2:3] neg_lo:[0,1] neg_hi:[0,1]
	buffer_store_dword v3, off, s[0:3], 0 offset:44
	buffer_store_dword v2, off, s[0:3], 0 offset:40
	s_and_saveexec_b64 s[4:5], vcc
	s_cbranch_execz .LBB61_377
; %bb.376:
	buffer_load_dword v2, off, s[0:3], 0 offset:32
	buffer_load_dword v3, off, s[0:3], 0 offset:36
	v_mov_b32_e32 v4, 0
	buffer_store_dword v4, off, s[0:3], 0 offset:32
	buffer_store_dword v4, off, s[0:3], 0 offset:36
	s_waitcnt vmcnt(2)
	ds_write_b64 v210, v[2:3]
.LBB61_377:
	s_or_b64 exec, exec, s[4:5]
	v_mov_b32_e32 v250, 0
	s_waitcnt lgkmcnt(0)
	; wave barrier
	s_waitcnt lgkmcnt(0)
	ds_read2_b64 v[2:5], v250 offset0:67 offset1:68
	buffer_load_dword v102, off, s[0:3], 0 offset:32
	buffer_load_dword v103, off, s[0:3], 0 offset:36
	buffer_load_dword v104, off, s[0:3], 0 offset:40
	buffer_load_dword v111, off, s[0:3], 0 offset:44
	buffer_load_dword v106, off, s[0:3], 0 offset:48
	buffer_load_dword v113, off, s[0:3], 0 offset:52
	buffer_load_dword v110, off, s[0:3], 0 offset:56
	buffer_load_dword v115, off, s[0:3], 0 offset:60
	buffer_load_dword v112, off, s[0:3], 0 offset:64
	buffer_load_dword v117, off, s[0:3], 0 offset:68
	buffer_load_dword v114, off, s[0:3], 0 offset:72
	buffer_load_dword v119, off, s[0:3], 0 offset:76
	buffer_load_dword v116, off, s[0:3], 0 offset:80
	buffer_load_dword v120, off, s[0:3], 0 offset:84
	buffer_load_dword v118, off, s[0:3], 0 offset:88
	buffer_load_dword v121, off, s[0:3], 0 offset:92
	v_cmp_lt_u32_e32 vcc, 3, v0
	s_waitcnt vmcnt(12) lgkmcnt(0)
	v_mul_f32_e32 v6, v2, v111
	v_fmac_f32_e32 v6, v3, v104
	s_waitcnt vmcnt(10)
	v_mul_f32_e32 v7, v4, v113
	v_add_f32_e32 v6, 0, v6
	v_fmac_f32_e32 v7, v5, v106
	v_add_f32_e32 v10, v6, v7
	ds_read2_b64 v[6:9], v250 offset0:69 offset1:70
	v_mul_f32_e32 v3, v3, v111
	v_fma_f32 v2, v2, v104, -v3
	v_mul_f32_e32 v3, v5, v113
	v_add_f32_e32 v2, 0, v2
	s_waitcnt vmcnt(8) lgkmcnt(0)
	v_mul_f32_e32 v11, v6, v115
	v_fmac_f32_e32 v11, v7, v110
	v_add_f32_e32 v10, v10, v11
	s_waitcnt vmcnt(6)
	v_mul_f32_e32 v11, v8, v117
	v_fmac_f32_e32 v11, v9, v112
	v_add_f32_e32 v14, v10, v11
	ds_read2_b64 v[10:13], v250 offset0:71 offset1:72
	v_fma_f32 v3, v4, v106, -v3
	v_add_f32_e32 v2, v2, v3
	v_mul_f32_e32 v3, v7, v115
	v_fma_f32 v3, v6, v110, -v3
	s_waitcnt vmcnt(4) lgkmcnt(0)
	v_mul_f32_e32 v15, v10, v119
	v_fmac_f32_e32 v15, v11, v114
	v_add_f32_e32 v14, v14, v15
	s_waitcnt vmcnt(2)
	v_mul_f32_e32 v15, v12, v120
	v_fmac_f32_e32 v15, v13, v116
	v_add_f32_e32 v18, v14, v15
	ds_read2_b64 v[14:17], v250 offset0:73 offset1:74
	buffer_load_dword v122, off, s[0:3], 0 offset:96
	buffer_load_dword v123, off, s[0:3], 0 offset:100
	v_add_f32_e32 v2, v2, v3
	v_mul_f32_e32 v3, v9, v117
	v_fma_f32 v3, v8, v112, -v3
	s_waitcnt vmcnt(2) lgkmcnt(0)
	v_mul_f32_e32 v19, v14, v121
	v_fmac_f32_e32 v19, v15, v118
	v_add_f32_e32 v18, v18, v19
	v_add_f32_e32 v2, v2, v3
	v_mul_f32_e32 v3, v11, v119
	v_fma_f32 v3, v10, v114, -v3
	v_add_f32_e32 v2, v2, v3
	v_mul_f32_e32 v3, v13, v120
	v_fma_f32 v3, v12, v116, -v3
	;; [unrolled: 3-line block ×3, first 2 shown]
	v_add_f32_e32 v2, v2, v3
	s_waitcnt vmcnt(0)
	v_mul_f32_e32 v19, v16, v123
	v_fmac_f32_e32 v19, v17, v122
	v_add_f32_e32 v22, v18, v19
	ds_read2_b64 v[18:21], v250 offset0:75 offset1:76
	buffer_load_dword v124, off, s[0:3], 0 offset:104
	buffer_load_dword v125, off, s[0:3], 0 offset:108
	;; [unrolled: 1-line block ×4, first 2 shown]
	v_mul_f32_e32 v3, v17, v123
	v_fma_f32 v3, v16, v122, -v3
	v_add_f32_e32 v2, v2, v3
	s_waitcnt vmcnt(2) lgkmcnt(0)
	v_mul_f32_e32 v23, v18, v125
	v_fmac_f32_e32 v23, v19, v124
	v_add_f32_e32 v22, v22, v23
	s_waitcnt vmcnt(0)
	v_mul_f32_e32 v23, v20, v127
	v_fmac_f32_e32 v23, v21, v126
	v_add_f32_e32 v26, v22, v23
	ds_read2_b64 v[22:25], v250 offset0:77 offset1:78
	buffer_load_dword v128, off, s[0:3], 0 offset:120
	buffer_load_dword v129, off, s[0:3], 0 offset:124
	buffer_load_dword v130, off, s[0:3], 0 offset:128
	buffer_load_dword v131, off, s[0:3], 0 offset:132
	v_mul_f32_e32 v3, v19, v125
	v_fma_f32 v3, v18, v124, -v3
	v_add_f32_e32 v2, v2, v3
	v_mul_f32_e32 v3, v21, v127
	v_fma_f32 v3, v20, v126, -v3
	v_add_f32_e32 v2, v2, v3
	s_waitcnt vmcnt(2) lgkmcnt(0)
	v_mul_f32_e32 v27, v22, v129
	v_fmac_f32_e32 v27, v23, v128
	v_add_f32_e32 v26, v26, v27
	s_waitcnt vmcnt(0)
	v_mul_f32_e32 v27, v24, v131
	v_fmac_f32_e32 v27, v25, v130
	v_add_f32_e32 v30, v26, v27
	ds_read2_b64 v[26:29], v250 offset0:79 offset1:80
	buffer_load_dword v132, off, s[0:3], 0 offset:136
	buffer_load_dword v133, off, s[0:3], 0 offset:140
	buffer_load_dword v134, off, s[0:3], 0 offset:144
	buffer_load_dword v135, off, s[0:3], 0 offset:148
	v_mul_f32_e32 v3, v23, v129
	v_fma_f32 v3, v22, v128, -v3
	v_add_f32_e32 v2, v2, v3
	;; [unrolled: 19-line block ×6, first 2 shown]
	v_mul_f32_e32 v3, v41, v147
	v_fma_f32 v3, v40, v146, -v3
	v_add_f32_e32 v2, v2, v3
	s_waitcnt vmcnt(2) lgkmcnt(0)
	v_mul_f32_e32 v47, v42, v149
	v_fmac_f32_e32 v47, v43, v148
	v_add_f32_e32 v46, v46, v47
	s_waitcnt vmcnt(0)
	v_mul_f32_e32 v47, v44, v151
	v_fmac_f32_e32 v47, v45, v150
	v_add_f32_e32 v50, v46, v47
	ds_read2_b64 v[46:49], v250 offset0:89 offset1:90
	buffer_load_dword v152, off, s[0:3], 0 offset:216
	buffer_load_dword v153, off, s[0:3], 0 offset:220
	buffer_load_dword v154, off, s[0:3], 0 offset:224
	buffer_load_dword v155, off, s[0:3], 0 offset:228
	ds_read2_b64 v[54:57], v250 offset0:91 offset1:92
	buffer_load_dword v156, off, s[0:3], 0 offset:232
	buffer_load_dword v157, off, s[0:3], 0 offset:236
	buffer_load_dword v158, off, s[0:3], 0 offset:240
	buffer_load_dword v159, off, s[0:3], 0 offset:244
	;; [unrolled: 5-line block ×13, first 2 shown]
	v_mul_f32_e32 v3, v43, v149
	v_fma_f32 v3, v42, v148, -v3
	v_add_f32_e32 v2, v2, v3
	v_mul_f32_e32 v3, v45, v151
	v_fma_f32 v3, v44, v150, -v3
	v_add_f32_e32 v2, v2, v3
	s_waitcnt vmcnt(50) lgkmcnt(12)
	v_mul_f32_e32 v51, v46, v153
	v_fmac_f32_e32 v51, v47, v152
	v_add_f32_e32 v50, v50, v51
	s_waitcnt vmcnt(48)
	v_mul_f32_e32 v51, v48, v155
	v_fmac_f32_e32 v51, v49, v154
	v_add_f32_e32 v50, v50, v51
	s_waitcnt vmcnt(46) lgkmcnt(11)
	v_mul_f32_e32 v51, v54, v157
	v_fmac_f32_e32 v51, v55, v156
	v_add_f32_e32 v50, v50, v51
	s_waitcnt vmcnt(44)
	v_mul_f32_e32 v51, v56, v159
	v_fmac_f32_e32 v51, v57, v158
	;; [unrolled: 8-line block ×12, first 2 shown]
	v_add_f32_e32 v50, v50, v51
	s_waitcnt vmcnt(2) lgkmcnt(0)
	v_mul_f32_e32 v51, v98, v201
	v_fmac_f32_e32 v51, v99, v200
	v_add_f32_e32 v105, v50, v51
	ds_read2_b64 v[50:53], v250 offset0:115 offset1:116
	buffer_load_dword v234, off, s[0:3], 0 offset:424
	buffer_load_dword v251, off, s[0:3], 0 offset:428
	;; [unrolled: 1-line block ×18, first 2 shown]
	v_mul_f32_e32 v3, v47, v153
	v_fma_f32 v3, v46, v152, -v3
	v_add_f32_e32 v2, v2, v3
	v_mul_f32_e32 v3, v49, v155
	v_fma_f32 v3, v48, v154, -v3
	v_add_f32_e32 v2, v2, v3
	;; [unrolled: 3-line block ×25, first 2 shown]
	s_waitcnt vmcnt(18)
	v_mul_f32_e32 v2, v101, v203
	s_waitcnt vmcnt(15)
	v_mov_b32_e32 v18, v233
	v_mul_f32_e32 v107, v100, v203
	s_waitcnt lgkmcnt(0)
	v_mul_f32_e32 v235, v50, v251
	v_fma_f32 v106, v100, v202, -v2
	v_mul_f32_e32 v2, v51, v251
	v_pk_mul_f32 v[18:19], v[52:53], v[18:19] op_sel_hi:[1,0]
	v_fmac_f32_e32 v107, v101, v202
	v_fmac_f32_e32 v235, v51, v234
	v_fma_f32 v234, v50, v234, -v2
	ds_read2_b64 v[2:5], v250 offset0:117 offset1:118
	ds_read2_b64 v[6:9], v250 offset0:119 offset1:120
	;; [unrolled: 1-line block ×3, first 2 shown]
	ds_read_b64 v[14:15], v250 offset:984
	s_waitcnt vmcnt(14)
	v_pk_fma_f32 v[20:21], v[52:53], v[232:233], v[18:19] op_sel:[0,0,1] op_sel_hi:[1,1,0] neg_lo:[0,0,1] neg_hi:[0,0,1]
	v_pk_fma_f32 v[18:19], v[52:53], v[232:233], v[18:19] op_sel:[0,0,1] op_sel_hi:[1,0,0]
	v_pk_add_f32 v[16:17], v[104:105], v[106:107]
	s_waitcnt vmcnt(13)
	v_mov_b32_e32 v18, v249
	v_pk_add_f32 v[16:17], v[16:17], v[234:235]
	v_mov_b32_e32 v21, v19
	s_waitcnt lgkmcnt(3)
	v_pk_mul_f32 v[18:19], v[2:3], v[18:19] op_sel_hi:[1,0]
	v_pk_add_f32 v[16:17], v[16:17], v[20:21]
	s_waitcnt vmcnt(12)
	v_pk_fma_f32 v[20:21], v[2:3], v[248:249], v[18:19] op_sel:[0,0,1] op_sel_hi:[1,1,0] neg_lo:[0,0,1] neg_hi:[0,0,1]
	v_pk_fma_f32 v[2:3], v[2:3], v[248:249], v[18:19] op_sel:[0,0,1] op_sel_hi:[1,0,0]
	v_mov_b32_e32 v21, v3
	v_pk_add_f32 v[2:3], v[16:17], v[20:21]
	s_waitcnt vmcnt(11)
	v_mov_b32_e32 v16, v247
	v_pk_mul_f32 v[16:17], v[4:5], v[16:17] op_sel_hi:[1,0]
	s_waitcnt vmcnt(10)
	v_pk_fma_f32 v[18:19], v[4:5], v[246:247], v[16:17] op_sel:[0,0,1] op_sel_hi:[1,1,0] neg_lo:[0,0,1] neg_hi:[0,0,1]
	v_pk_fma_f32 v[4:5], v[4:5], v[246:247], v[16:17] op_sel:[0,0,1] op_sel_hi:[1,0,0]
	s_waitcnt vmcnt(9)
	v_mov_b32_e32 v4, v245
	v_mov_b32_e32 v19, v5
	s_waitcnt lgkmcnt(2)
	v_pk_mul_f32 v[4:5], v[6:7], v[4:5] op_sel_hi:[1,0]
	s_waitcnt vmcnt(8)
	v_pk_fma_f32 v[16:17], v[6:7], v[244:245], v[4:5] op_sel:[0,0,1] op_sel_hi:[1,1,0] neg_lo:[0,0,1] neg_hi:[0,0,1]
	v_pk_fma_f32 v[4:5], v[6:7], v[244:245], v[4:5] op_sel:[0,0,1] op_sel_hi:[1,0,0]
	s_waitcnt vmcnt(7)
	v_mov_b32_e32 v4, v243
	v_mov_b32_e32 v17, v5
	v_pk_mul_f32 v[4:5], v[8:9], v[4:5] op_sel_hi:[1,0]
	s_waitcnt vmcnt(6)
	v_pk_fma_f32 v[6:7], v[8:9], v[242:243], v[4:5] op_sel:[0,0,1] op_sel_hi:[1,1,0] neg_lo:[0,0,1] neg_hi:[0,0,1]
	v_pk_fma_f32 v[4:5], v[8:9], v[242:243], v[4:5] op_sel:[0,0,1] op_sel_hi:[1,0,0]
	v_pk_add_f32 v[2:3], v[2:3], v[18:19]
	s_waitcnt vmcnt(5)
	v_mov_b32_e32 v4, v241
	v_pk_add_f32 v[2:3], v[2:3], v[16:17]
	v_mov_b32_e32 v7, v5
	s_waitcnt lgkmcnt(1)
	v_pk_mul_f32 v[4:5], v[10:11], v[4:5] op_sel_hi:[1,0]
	v_pk_add_f32 v[2:3], v[2:3], v[6:7]
	s_waitcnt vmcnt(4)
	v_pk_fma_f32 v[6:7], v[10:11], v[240:241], v[4:5] op_sel:[0,0,1] op_sel_hi:[1,1,0] neg_lo:[0,0,1] neg_hi:[0,0,1]
	v_pk_fma_f32 v[4:5], v[10:11], v[240:241], v[4:5] op_sel:[0,0,1] op_sel_hi:[1,0,0]
	s_waitcnt vmcnt(3)
	v_mov_b32_e32 v4, v239
	v_mov_b32_e32 v7, v5
	v_pk_mul_f32 v[4:5], v[12:13], v[4:5] op_sel_hi:[1,0]
	v_pk_add_f32 v[2:3], v[2:3], v[6:7]
	s_waitcnt vmcnt(2)
	v_pk_fma_f32 v[6:7], v[12:13], v[238:239], v[4:5] op_sel:[0,0,1] op_sel_hi:[1,1,0] neg_lo:[0,0,1] neg_hi:[0,0,1]
	v_pk_fma_f32 v[4:5], v[12:13], v[238:239], v[4:5] op_sel:[0,0,1] op_sel_hi:[1,0,0]
	s_waitcnt vmcnt(1)
	v_mov_b32_e32 v4, v237
	v_mov_b32_e32 v7, v5
	s_waitcnt lgkmcnt(0)
	v_pk_mul_f32 v[4:5], v[14:15], v[4:5] op_sel_hi:[1,0]
	v_pk_add_f32 v[2:3], v[2:3], v[6:7]
	s_waitcnt vmcnt(0)
	v_pk_fma_f32 v[6:7], v[14:15], v[236:237], v[4:5] op_sel:[0,0,1] op_sel_hi:[1,1,0] neg_lo:[0,0,1] neg_hi:[0,0,1]
	v_pk_fma_f32 v[4:5], v[14:15], v[236:237], v[4:5] op_sel:[0,0,1] op_sel_hi:[1,0,0]
	v_mov_b32_e32 v7, v5
	v_pk_add_f32 v[2:3], v[2:3], v[6:7]
	v_pk_add_f32 v[2:3], v[102:103], v[2:3] neg_lo:[0,1] neg_hi:[0,1]
	buffer_store_dword v3, off, s[0:3], 0 offset:36
	buffer_store_dword v2, off, s[0:3], 0 offset:32
	s_and_saveexec_b64 s[4:5], vcc
	s_cbranch_execz .LBB61_379
; %bb.378:
	buffer_load_dword v2, off, s[0:3], 0 offset:24
	buffer_load_dword v3, off, s[0:3], 0 offset:28
	s_waitcnt vmcnt(0)
	ds_write_b64 v210, v[2:3]
	buffer_store_dword v250, off, s[0:3], 0 offset:24
	buffer_store_dword v250, off, s[0:3], 0 offset:28
.LBB61_379:
	s_or_b64 exec, exec, s[4:5]
	s_waitcnt lgkmcnt(0)
	; wave barrier
	s_waitcnt lgkmcnt(0)
	buffer_load_dword v65, off, s[0:3], 0 offset:36
	buffer_load_dword v64, off, s[0:3], 0 offset:44
	;; [unrolled: 1-line block ×40, first 2 shown]
	ds_read_b128 v[22:25], v250 offset:528
	ds_read_b128 v[18:21], v250 offset:544
	;; [unrolled: 1-line block ×6, first 2 shown]
	buffer_load_dword v98, off, s[0:3], 0 offset:184
	buffer_load_dword v99, off, s[0:3], 0 offset:188
	;; [unrolled: 1-line block ×10, first 2 shown]
	v_cmp_lt_u32_e32 vcc, 2, v0
	s_waitcnt vmcnt(49) lgkmcnt(5)
	v_mul_f32_e32 v26, v22, v65
	s_waitcnt vmcnt(48)
	v_mul_f32_e32 v27, v24, v64
	s_waitcnt vmcnt(47) lgkmcnt(4)
	v_mul_f32_e32 v29, v20, v63
	s_waitcnt vmcnt(46) lgkmcnt(3)
	v_mul_f32_e32 v30, v14, v62
	s_waitcnt vmcnt(45)
	v_mul_f32_e32 v31, v16, v60
	s_waitcnt vmcnt(44)
	v_mul_f32_e32 v28, v18, v66
	s_waitcnt vmcnt(43) lgkmcnt(2)
	v_mul_f32_e32 v32, v10, v61
	s_waitcnt vmcnt(42)
	v_mul_f32_e32 v33, v12, v67
	s_waitcnt vmcnt(41) lgkmcnt(1)
	;; [unrolled: 4-line block ×3, first 2 shown]
	v_mul_f32_e32 v36, v2, v70
	s_waitcnt vmcnt(38)
	v_mul_f32_e32 v37, v4, v71
	s_waitcnt vmcnt(37)
	v_fmac_f32_e32 v28, v19, v77
	s_waitcnt vmcnt(36)
	v_fmac_f32_e32 v27, v25, v80
	s_waitcnt vmcnt(35)
	v_fmac_f32_e32 v26, v23, v83
	v_add_f32_e32 v26, 0, v26
	v_add_f32_e32 v26, v26, v27
	;; [unrolled: 1-line block ×3, first 2 shown]
	s_waitcnt vmcnt(31)
	v_fmac_f32_e32 v29, v21, v82
	v_fmac_f32_e32 v30, v15, v79
	v_add_f32_e32 v26, v26, v29
	v_fmac_f32_e32 v31, v17, v76
	v_add_f32_e32 v26, v26, v30
	;; [unrolled: 2-line block ×3, first 2 shown]
	s_waitcnt vmcnt(27)
	v_fmac_f32_e32 v33, v13, v78
	v_add_f32_e32 v26, v26, v32
	v_fmac_f32_e32 v34, v7, v75
	v_add_f32_e32 v26, v26, v33
	;; [unrolled: 2-line block ×3, first 2 shown]
	v_add_f32_e32 v30, v26, v35
	ds_read_b128 v[26:29], v250 offset:624
	v_fmac_f32_e32 v36, v3, v72
	v_add_f32_e32 v30, v30, v36
	s_waitcnt vmcnt(23)
	v_fmac_f32_e32 v37, v5, v89
	v_add_f32_e32 v34, v30, v37
	ds_read_b128 v[30:33], v250 offset:640
	s_waitcnt vmcnt(22) lgkmcnt(1)
	v_mul_f32_e32 v35, v26, v88
	buffer_load_dword v160, off, s[0:3], 0 offset:224
	buffer_load_dword v162, off, s[0:3], 0 offset:228
	v_fmac_f32_e32 v35, v27, v86
	v_add_f32_e32 v34, v34, v35
	s_waitcnt vmcnt(23)
	v_mul_f32_e32 v35, v28, v87
	buffer_load_dword v164, off, s[0:3], 0 offset:232
	buffer_load_dword v180, off, s[0:3], 0 offset:236
	v_fmac_f32_e32 v35, v29, v84
	v_add_f32_e32 v34, v34, v35
	s_waitcnt vmcnt(24) lgkmcnt(0)
	v_mul_f32_e32 v35, v30, v85
	buffer_load_dword v181, off, s[0:3], 0 offset:240
	buffer_load_dword v182, off, s[0:3], 0 offset:244
	v_fmac_f32_e32 v35, v31, v81
	v_add_f32_e32 v34, v34, v35
	s_waitcnt vmcnt(20)
	v_mul_f32_e32 v35, v32, v97
	s_waitcnt vmcnt(19)
	v_fmac_f32_e32 v35, v33, v96
	ds_read_b128 v[38:41], v250 offset:656
	v_add_f32_e32 v42, v34, v35
	ds_read_b128 v[34:37], v250 offset:672
	buffer_load_dword v183, off, s[0:3], 0 offset:248
	buffer_load_dword v184, off, s[0:3], 0 offset:252
	;; [unrolled: 1-line block ×8, first 2 shown]
	s_waitcnt vmcnt(26) lgkmcnt(1)
	v_mul_f32_e32 v43, v38, v95
	v_fmac_f32_e32 v43, v39, v94
	buffer_load_dword v191, off, s[0:3], 0 offset:280
	buffer_load_dword v192, off, s[0:3], 0 offset:284
	v_add_f32_e32 v42, v42, v43
	v_mul_f32_e32 v43, v40, v91
	v_fmac_f32_e32 v43, v41, v90
	v_add_f32_e32 v42, v42, v43
	s_waitcnt lgkmcnt(0)
	v_mul_f32_e32 v43, v34, v93
	buffer_load_dword v193, off, s[0:3], 0 offset:288
	buffer_load_dword v194, off, s[0:3], 0 offset:292
	v_fmac_f32_e32 v43, v35, v92
	v_add_f32_e32 v46, v42, v43
	ds_read_b128 v[42:45], v250 offset:688
	buffer_load_dword v195, off, s[0:3], 0 offset:296
	buffer_load_dword v196, off, s[0:3], 0 offset:300
	;; [unrolled: 1-line block ×4, first 2 shown]
	s_waitcnt vmcnt(30)
	v_mul_f32_e32 v47, v36, v99
	v_fmac_f32_e32 v47, v37, v98
	v_add_f32_e32 v50, v46, v47
	ds_read_b128 v[46:49], v250 offset:704
	buffer_load_dword v199, off, s[0:3], 0 offset:312
	buffer_load_dword v200, off, s[0:3], 0 offset:316
	;; [unrolled: 1-line block ×12, first 2 shown]
	s_waitcnt vmcnt(40) lgkmcnt(1)
	v_mul_f32_e32 v51, v42, v101
	v_fmac_f32_e32 v51, v43, v100
	buffer_load_dword v239, off, s[0:3], 0 offset:360
	buffer_load_dword v240, off, s[0:3], 0 offset:364
	v_add_f32_e32 v50, v50, v51
	s_waitcnt vmcnt(40)
	v_mul_f32_e32 v51, v44, v103
	v_fmac_f32_e32 v51, v45, v102
	buffer_load_dword v241, off, s[0:3], 0 offset:368
	buffer_load_dword v242, off, s[0:3], 0 offset:372
	v_add_f32_e32 v50, v50, v51
	s_waitcnt vmcnt(40) lgkmcnt(0)
	v_mul_f32_e32 v51, v46, v105
	v_fmac_f32_e32 v51, v47, v104
	v_add_f32_e32 v54, v50, v51
	ds_read_b128 v[50:53], v250 offset:720
	buffer_load_dword v243, off, s[0:3], 0 offset:376
	buffer_load_dword v244, off, s[0:3], 0 offset:380
	s_waitcnt vmcnt(40)
	v_mul_f32_e32 v55, v48, v107
	v_fmac_f32_e32 v55, v49, v106
	v_add_f32_e32 v110, v54, v55
	ds_read_b128 v[54:57], v250 offset:736
	buffer_load_dword v245, off, s[0:3], 0 offset:384
	buffer_load_dword v246, off, s[0:3], 0 offset:388
	;; [unrolled: 1-line block ×12, first 2 shown]
	v_mul_f32_e32 v23, v23, v65
	v_fma_f32 v22, v22, v83, -v23
	v_mul_f32_e32 v23, v25, v64
	v_add_f32_e32 v22, 0, v22
	v_fma_f32 v23, v24, v80, -v23
	v_mul_f32_e32 v19, v19, v66
	v_add_f32_e32 v22, v22, v23
	v_fma_f32 v18, v18, v77, -v19
	v_mul_f32_e32 v19, v21, v63
	v_add_f32_e32 v18, v22, v18
	v_fma_f32 v19, v20, v82, -v19
	v_mul_f32_e32 v15, v15, v62
	v_add_f32_e32 v18, v18, v19
	v_fma_f32 v14, v14, v79, -v15
	s_waitcnt vmcnt(50) lgkmcnt(1)
	v_mul_f32_e32 v111, v50, v162
	v_fmac_f32_e32 v111, v51, v160
	v_add_f32_e32 v110, v110, v111
	v_mul_f32_e32 v15, v17, v60
	s_waitcnt vmcnt(48)
	v_mul_f32_e32 v111, v52, v180
	v_fmac_f32_e32 v111, v53, v164
	v_add_f32_e32 v110, v110, v111
	v_add_f32_e32 v14, v18, v14
	s_waitcnt vmcnt(46) lgkmcnt(0)
	v_mul_f32_e32 v111, v54, v182
	v_fmac_f32_e32 v111, v55, v181
	v_add_f32_e32 v114, v110, v111
	ds_read_b128 v[110:113], v250 offset:752
	v_fma_f32 v15, v16, v76, -v15
	v_mul_f32_e32 v11, v11, v61
	v_add_f32_e32 v14, v14, v15
	v_fma_f32 v10, v10, v74, -v11
	s_waitcnt vmcnt(44)
	v_mul_f32_e32 v115, v56, v184
	v_fmac_f32_e32 v115, v57, v183
	v_add_f32_e32 v118, v114, v115
	ds_read_b128 v[114:117], v250 offset:768
	s_waitcnt vmcnt(42) lgkmcnt(1)
	v_mul_f32_e32 v119, v110, v186
	v_fmac_f32_e32 v119, v111, v185
	v_add_f32_e32 v118, v118, v119
	s_waitcnt vmcnt(40)
	v_mul_f32_e32 v119, v112, v188
	v_fmac_f32_e32 v119, v113, v187
	v_add_f32_e32 v118, v118, v119
	s_waitcnt vmcnt(38) lgkmcnt(0)
	v_mul_f32_e32 v119, v114, v190
	v_fmac_f32_e32 v119, v115, v189
	v_add_f32_e32 v122, v118, v119
	ds_read_b128 v[118:121], v250 offset:784
	s_waitcnt vmcnt(36)
	v_mul_f32_e32 v123, v116, v192
	v_fmac_f32_e32 v123, v117, v191
	v_add_f32_e32 v126, v122, v123
	ds_read_b128 v[122:125], v250 offset:800
	s_waitcnt vmcnt(34) lgkmcnt(1)
	v_mul_f32_e32 v127, v118, v194
	v_fmac_f32_e32 v127, v119, v193
	v_add_f32_e32 v126, v126, v127
	s_waitcnt vmcnt(32)
	v_mul_f32_e32 v127, v120, v196
	v_fmac_f32_e32 v127, v121, v195
	v_add_f32_e32 v126, v126, v127
	s_waitcnt vmcnt(30) lgkmcnt(0)
	v_mul_f32_e32 v127, v122, v198
	v_fmac_f32_e32 v127, v123, v197
	v_add_f32_e32 v130, v126, v127
	ds_read_b128 v[126:129], v250 offset:816
	s_waitcnt vmcnt(28)
	v_mul_f32_e32 v131, v124, v200
	v_fmac_f32_e32 v131, v125, v199
	v_add_f32_e32 v134, v130, v131
	ds_read_b128 v[130:133], v250 offset:832
	s_waitcnt vmcnt(26) lgkmcnt(1)
	v_mul_f32_e32 v135, v126, v202
	v_fmac_f32_e32 v135, v127, v201
	v_add_f32_e32 v134, v134, v135
	s_waitcnt vmcnt(24)
	v_mul_f32_e32 v135, v128, v232
	v_fmac_f32_e32 v135, v129, v203
	v_add_f32_e32 v134, v134, v135
	s_waitcnt vmcnt(22) lgkmcnt(0)
	v_mul_f32_e32 v135, v130, v234
	v_fmac_f32_e32 v135, v131, v233
	v_add_f32_e32 v138, v134, v135
	ds_read_b128 v[134:137], v250 offset:848
	s_waitcnt vmcnt(20)
	v_mul_f32_e32 v139, v132, v236
	v_fmac_f32_e32 v139, v133, v235
	v_add_f32_e32 v142, v138, v139
	ds_read_b128 v[138:141], v250 offset:864
	s_waitcnt vmcnt(18) lgkmcnt(1)
	v_mul_f32_e32 v143, v134, v238
	v_fmac_f32_e32 v143, v135, v237
	v_add_f32_e32 v142, v142, v143
	s_waitcnt vmcnt(16)
	v_mul_f32_e32 v143, v136, v240
	v_fmac_f32_e32 v143, v137, v239
	v_add_f32_e32 v142, v142, v143
	s_waitcnt vmcnt(14) lgkmcnt(0)
	v_mul_f32_e32 v143, v138, v242
	v_fmac_f32_e32 v143, v139, v241
	v_add_f32_e32 v146, v142, v143
	ds_read_b128 v[142:145], v250 offset:880
	s_waitcnt vmcnt(12)
	v_mul_f32_e32 v147, v140, v244
	v_fmac_f32_e32 v147, v141, v243
	v_add_f32_e32 v150, v146, v147
	ds_read_b128 v[146:149], v250 offset:896
	buffer_load_dword v159, off, s[0:3], 0 offset:436
	buffer_load_dword v158, off, s[0:3], 0 offset:432
	s_waitcnt vmcnt(12) lgkmcnt(1)
	v_mul_f32_e32 v151, v142, v246
	v_mul_f32_e32 v11, v13, v67
	v_fmac_f32_e32 v151, v143, v245
	v_add_f32_e32 v10, v14, v10
	v_fma_f32 v11, v12, v78, -v11
	v_mul_f32_e32 v7, v7, v68
	v_add_f32_e32 v150, v150, v151
	s_waitcnt vmcnt(10)
	v_mul_f32_e32 v151, v144, v248
	v_add_f32_e32 v10, v10, v11
	v_fma_f32 v6, v6, v75, -v7
	v_mul_f32_e32 v7, v9, v69
	v_fmac_f32_e32 v151, v145, v247
	v_add_f32_e32 v6, v10, v6
	v_fma_f32 v7, v8, v73, -v7
	v_mul_f32_e32 v3, v3, v70
	v_add_f32_e32 v150, v150, v151
	s_waitcnt vmcnt(8) lgkmcnt(0)
	v_mul_f32_e32 v151, v146, v251
	v_add_f32_e32 v6, v6, v7
	v_fma_f32 v2, v2, v72, -v3
	v_mul_f32_e32 v3, v5, v71
	v_fmac_f32_e32 v151, v147, v249
	s_waitcnt vmcnt(6)
	v_mul_f32_e32 v155, v148, v253
	v_add_f32_e32 v2, v6, v2
	v_fma_f32 v3, v4, v89, -v3
	v_add_f32_e32 v154, v150, v151
	v_fmac_f32_e32 v155, v149, v252
	v_add_f32_e32 v2, v2, v3
	v_mul_f32_e32 v3, v27, v88
	ds_read_b128 v[150:153], v250 offset:912
	v_add_f32_e32 v161, v154, v155
	ds_read_b128 v[154:157], v250 offset:928
	buffer_load_dword v167, off, s[0:3], 0 offset:468
	buffer_load_dword v166, off, s[0:3], 0 offset:464
	;; [unrolled: 1-line block ×14, first 2 shown]
	v_fma_f32 v3, v26, v86, -v3
	v_add_f32_e32 v2, v2, v3
	v_mul_f32_e32 v3, v29, v87
	v_fma_f32 v3, v28, v84, -v3
	v_add_f32_e32 v2, v2, v3
	v_mul_f32_e32 v3, v31, v85
	;; [unrolled: 3-line block ×35, first 2 shown]
	v_fma_f32 v3, v148, v252, -v3
	s_waitcnt vmcnt(15)
	v_mov_b32_e32 v16, v159
	s_waitcnt lgkmcnt(1)
	v_mul_f32_e32 v163, v150, v255
	v_add_f32_e32 v160, v2, v3
	v_mul_f32_e32 v2, v151, v255
	s_waitcnt lgkmcnt(0)
	v_pk_mul_f32 v[16:17], v[154:155], v[16:17] op_sel_hi:[1,0]
	v_fmac_f32_e32 v163, v151, v254
	v_mul_f32_e32 v165, v152, v204
	v_fma_f32 v162, v150, v254, -v2
	v_mul_f32_e32 v2, v153, v204
	s_waitcnt vmcnt(14)
	v_pk_fma_f32 v[18:19], v[154:155], v[158:159], v[16:17] op_sel:[0,0,1] op_sel_hi:[1,1,0] neg_lo:[0,0,1] neg_hi:[0,0,1]
	v_pk_fma_f32 v[16:17], v[154:155], v[158:159], v[16:17] op_sel:[0,0,1] op_sel_hi:[1,0,0]
	v_fmac_f32_e32 v165, v153, v1
	v_fma_f32 v164, v152, v1, -v2
	v_pk_add_f32 v[14:15], v[160:161], v[162:163]
	s_waitcnt vmcnt(7)
	v_mov_b32_e32 v16, v173
	ds_read_b128 v[2:5], v250 offset:944
	ds_read_b128 v[6:9], v250 offset:960
	ds_read_b128 v[10:13], v250 offset:976
	v_pk_add_f32 v[14:15], v[14:15], v[164:165]
	v_mov_b32_e32 v19, v17
	v_pk_mul_f32 v[16:17], v[156:157], v[16:17] op_sel_hi:[1,0]
	v_pk_add_f32 v[14:15], v[14:15], v[18:19]
	s_waitcnt vmcnt(6)
	v_pk_fma_f32 v[18:19], v[156:157], v[172:173], v[16:17] op_sel:[0,0,1] op_sel_hi:[1,1,0] neg_lo:[0,0,1] neg_hi:[0,0,1]
	v_pk_fma_f32 v[16:17], v[156:157], v[172:173], v[16:17] op_sel:[0,0,1] op_sel_hi:[1,0,0]
	v_mov_b32_e32 v16, v171
	v_mov_b32_e32 v19, v17
	s_waitcnt lgkmcnt(2)
	v_pk_mul_f32 v[16:17], v[2:3], v[16:17] op_sel_hi:[1,0]
	v_pk_add_f32 v[14:15], v[14:15], v[18:19]
	v_pk_fma_f32 v[18:19], v[2:3], v[170:171], v[16:17] op_sel:[0,0,1] op_sel_hi:[1,1,0] neg_lo:[0,0,1] neg_hi:[0,0,1]
	v_pk_fma_f32 v[2:3], v[2:3], v[170:171], v[16:17] op_sel:[0,0,1] op_sel_hi:[1,0,0]
	v_mov_b32_e32 v19, v3
	v_pk_add_f32 v[2:3], v[14:15], v[18:19]
	v_mov_b32_e32 v14, v169
	v_pk_mul_f32 v[14:15], v[4:5], v[14:15] op_sel_hi:[1,0]
	v_pk_fma_f32 v[16:17], v[4:5], v[168:169], v[14:15] op_sel:[0,0,1] op_sel_hi:[1,1,0] neg_lo:[0,0,1] neg_hi:[0,0,1]
	v_pk_fma_f32 v[4:5], v[4:5], v[168:169], v[14:15] op_sel:[0,0,1] op_sel_hi:[1,0,0]
	v_mov_b32_e32 v4, v167
	v_mov_b32_e32 v17, v5
	s_waitcnt lgkmcnt(1)
	v_pk_mul_f32 v[4:5], v[6:7], v[4:5] op_sel_hi:[1,0]
	v_pk_fma_f32 v[14:15], v[6:7], v[166:167], v[4:5] op_sel:[0,0,1] op_sel_hi:[1,1,0] neg_lo:[0,0,1] neg_hi:[0,0,1]
	v_pk_fma_f32 v[4:5], v[6:7], v[166:167], v[4:5] op_sel:[0,0,1] op_sel_hi:[1,0,0]
	s_waitcnt vmcnt(1)
	v_mov_b32_e32 v4, v179
	v_mov_b32_e32 v15, v5
	v_pk_mul_f32 v[4:5], v[8:9], v[4:5] op_sel_hi:[1,0]
	s_waitcnt vmcnt(0)
	v_pk_fma_f32 v[6:7], v[8:9], v[178:179], v[4:5] op_sel:[0,0,1] op_sel_hi:[1,1,0] neg_lo:[0,0,1] neg_hi:[0,0,1]
	v_pk_fma_f32 v[4:5], v[8:9], v[178:179], v[4:5] op_sel:[0,0,1] op_sel_hi:[1,0,0]
	v_pk_add_f32 v[2:3], v[2:3], v[16:17]
	v_mov_b32_e32 v4, v177
	v_pk_add_f32 v[2:3], v[2:3], v[14:15]
	v_mov_b32_e32 v7, v5
	s_waitcnt lgkmcnt(0)
	v_pk_mul_f32 v[4:5], v[10:11], v[4:5] op_sel_hi:[1,0]
	v_pk_add_f32 v[2:3], v[2:3], v[6:7]
	v_pk_fma_f32 v[6:7], v[10:11], v[176:177], v[4:5] op_sel:[0,0,1] op_sel_hi:[1,1,0] neg_lo:[0,0,1] neg_hi:[0,0,1]
	v_pk_fma_f32 v[4:5], v[10:11], v[176:177], v[4:5] op_sel:[0,0,1] op_sel_hi:[1,0,0]
	v_mov_b32_e32 v4, v175
	v_mov_b32_e32 v7, v5
	v_pk_mul_f32 v[4:5], v[12:13], v[4:5] op_sel_hi:[1,0]
	v_pk_add_f32 v[2:3], v[2:3], v[6:7]
	v_pk_fma_f32 v[6:7], v[12:13], v[174:175], v[4:5] op_sel:[0,0,1] op_sel_hi:[1,1,0] neg_lo:[0,0,1] neg_hi:[0,0,1]
	v_pk_fma_f32 v[4:5], v[12:13], v[174:175], v[4:5] op_sel:[0,0,1] op_sel_hi:[1,0,0]
	v_mov_b32_e32 v7, v5
	v_pk_add_f32 v[2:3], v[2:3], v[6:7]
	v_pk_add_f32 v[2:3], v[58:59], v[2:3] neg_lo:[0,1] neg_hi:[0,1]
	buffer_store_dword v3, off, s[0:3], 0 offset:28
	buffer_store_dword v2, off, s[0:3], 0 offset:24
	s_and_saveexec_b64 s[4:5], vcc
	s_cbranch_execz .LBB61_381
; %bb.380:
	buffer_load_dword v2, off, s[0:3], 0 offset:16
	buffer_load_dword v3, off, s[0:3], 0 offset:20
	v_mov_b32_e32 v1, 0
	buffer_store_dword v1, off, s[0:3], 0 offset:16
	buffer_store_dword v1, off, s[0:3], 0 offset:20
	s_waitcnt vmcnt(2)
	ds_write_b64 v210, v[2:3]
.LBB61_381:
	s_or_b64 exec, exec, s[4:5]
	s_waitcnt lgkmcnt(0)
	; wave barrier
	s_waitcnt lgkmcnt(0)
	buffer_load_dword v66, off, s[0:3], 0 offset:28
	buffer_load_dword v65, off, s[0:3], 0 offset:36
	;; [unrolled: 1-line block ×48, first 2 shown]
	v_mov_b32_e32 v60, 0
	ds_read2_b64 v[22:25], v60 offset0:65 offset1:66
	ds_read2_b64 v[18:21], v60 offset0:67 offset1:68
	ds_read2_b64 v[14:17], v60 offset0:69 offset1:70
	ds_read2_b64 v[10:13], v60 offset0:71 offset1:72
	ds_read2_b64 v[6:9], v60 offset0:73 offset1:74
	ds_read2_b64 v[2:5], v60 offset0:75 offset1:76
	buffer_load_dword v158, off, s[0:3], 0 offset:208
	buffer_load_dword v160, off, s[0:3], 0 offset:212
	v_cmp_lt_u32_e32 vcc, 1, v0
	s_waitcnt vmcnt(49) lgkmcnt(5)
	v_mul_f32_e32 v1, v22, v66
	s_waitcnt vmcnt(48)
	v_mul_f32_e32 v26, v24, v65
	s_waitcnt vmcnt(47) lgkmcnt(4)
	v_mul_f32_e32 v28, v20, v64
	s_waitcnt vmcnt(46) lgkmcnt(3)
	v_mul_f32_e32 v29, v14, v63
	s_waitcnt vmcnt(45)
	v_mul_f32_e32 v30, v16, v61
	s_waitcnt vmcnt(44)
	v_mul_f32_e32 v27, v18, v67
	s_waitcnt vmcnt(43) lgkmcnt(2)
	v_mul_f32_e32 v31, v10, v62
	s_waitcnt vmcnt(42)
	v_mul_f32_e32 v32, v12, v68
	s_waitcnt vmcnt(41) lgkmcnt(1)
	;; [unrolled: 4-line block ×3, first 2 shown]
	v_mul_f32_e32 v35, v2, v71
	s_waitcnt vmcnt(38)
	v_mul_f32_e32 v36, v4, v72
	s_waitcnt vmcnt(37)
	v_fmac_f32_e32 v27, v19, v78
	s_waitcnt vmcnt(36)
	v_fmac_f32_e32 v26, v25, v81
	s_waitcnt vmcnt(35)
	v_fmac_f32_e32 v1, v23, v84
	v_add_f32_e32 v1, 0, v1
	v_add_f32_e32 v1, v1, v26
	;; [unrolled: 1-line block ×3, first 2 shown]
	s_waitcnt vmcnt(31)
	v_fmac_f32_e32 v28, v21, v83
	v_fmac_f32_e32 v29, v15, v80
	v_add_f32_e32 v1, v1, v28
	v_fmac_f32_e32 v30, v17, v77
	v_add_f32_e32 v1, v1, v29
	;; [unrolled: 2-line block ×3, first 2 shown]
	ds_read2_b64 v[26:29], v60 offset0:77 offset1:78
	s_waitcnt vmcnt(27)
	v_fmac_f32_e32 v32, v13, v79
	v_add_f32_e32 v1, v1, v31
	v_fmac_f32_e32 v33, v7, v76
	v_add_f32_e32 v1, v1, v32
	;; [unrolled: 2-line block ×4, first 2 shown]
	buffer_load_dword v178, off, s[0:3], 0 offset:216
	buffer_load_dword v179, off, s[0:3], 0 offset:220
	ds_read2_b64 v[30:33], v60 offset0:79 offset1:80
	v_add_f32_e32 v1, v1, v35
	s_waitcnt vmcnt(25)
	v_fmac_f32_e32 v36, v5, v92
	s_waitcnt vmcnt(24) lgkmcnt(1)
	v_mul_f32_e32 v34, v26, v91
	v_add_f32_e32 v1, v1, v36
	v_fmac_f32_e32 v34, v27, v87
	v_add_f32_e32 v1, v1, v34
	s_waitcnt vmcnt(23)
	v_mul_f32_e32 v34, v28, v89
	v_fmac_f32_e32 v34, v29, v85
	buffer_load_dword v180, off, s[0:3], 0 offset:224
	buffer_load_dword v181, off, s[0:3], 0 offset:228
	v_add_f32_e32 v1, v1, v34
	s_waitcnt vmcnt(24) lgkmcnt(0)
	v_mul_f32_e32 v34, v30, v86
	v_fmac_f32_e32 v34, v31, v82
	buffer_load_dword v182, off, s[0:3], 0 offset:232
	buffer_load_dword v183, off, s[0:3], 0 offset:236
	ds_read2_b64 v[38:41], v60 offset0:81 offset1:82
	v_add_f32_e32 v1, v1, v34
	s_waitcnt vmcnt(24)
	v_mul_f32_e32 v34, v32, v90
	v_fmac_f32_e32 v34, v33, v88
	v_add_f32_e32 v1, v1, v34
	ds_read2_b64 v[34:37], v60 offset0:83 offset1:84
	buffer_load_dword v184, off, s[0:3], 0 offset:240
	buffer_load_dword v185, off, s[0:3], 0 offset:244
	s_waitcnt vmcnt(22) lgkmcnt(1)
	v_mul_f32_e32 v42, v38, v94
	buffer_load_dword v186, off, s[0:3], 0 offset:248
	buffer_load_dword v187, off, s[0:3], 0 offset:252
	v_fmac_f32_e32 v42, v39, v93
	v_add_f32_e32 v1, v1, v42
	s_waitcnt vmcnt(22)
	v_mul_f32_e32 v42, v40, v96
	buffer_load_dword v188, off, s[0:3], 0 offset:256
	buffer_load_dword v189, off, s[0:3], 0 offset:260
	v_fmac_f32_e32 v42, v41, v95
	v_add_f32_e32 v1, v1, v42
	s_waitcnt vmcnt(22) lgkmcnt(0)
	v_mul_f32_e32 v42, v34, v98
	buffer_load_dword v190, off, s[0:3], 0 offset:264
	buffer_load_dword v191, off, s[0:3], 0 offset:268
	v_fmac_f32_e32 v42, v35, v97
	v_add_f32_e32 v1, v1, v42
	s_waitcnt vmcnt(22)
	v_mul_f32_e32 v42, v36, v100
	buffer_load_dword v192, off, s[0:3], 0 offset:272
	buffer_load_dword v193, off, s[0:3], 0 offset:276
	v_fmac_f32_e32 v42, v37, v99
	v_add_f32_e32 v1, v1, v42
	ds_read2_b64 v[42:45], v60 offset0:85 offset1:86
	buffer_load_dword v194, off, s[0:3], 0 offset:280
	buffer_load_dword v195, off, s[0:3], 0 offset:284
	ds_read2_b64 v[46:49], v60 offset0:87 offset1:88
	buffer_load_dword v196, off, s[0:3], 0 offset:288
	buffer_load_dword v197, off, s[0:3], 0 offset:292
	;; [unrolled: 1-line block ×10, first 2 shown]
	s_waitcnt vmcnt(34) lgkmcnt(1)
	v_mul_f32_e32 v50, v42, v102
	buffer_load_dword v232, off, s[0:3], 0 offset:328
	buffer_load_dword v233, off, s[0:3], 0 offset:332
	v_fmac_f32_e32 v50, v43, v101
	v_add_f32_e32 v1, v1, v50
	s_waitcnt vmcnt(34)
	v_mul_f32_e32 v50, v44, v104
	buffer_load_dword v234, off, s[0:3], 0 offset:336
	buffer_load_dword v235, off, s[0:3], 0 offset:340
	v_fmac_f32_e32 v50, v45, v103
	v_add_f32_e32 v1, v1, v50
	s_waitcnt vmcnt(34) lgkmcnt(0)
	v_mul_f32_e32 v50, v46, v106
	buffer_load_dword v236, off, s[0:3], 0 offset:344
	buffer_load_dword v237, off, s[0:3], 0 offset:348
	v_fmac_f32_e32 v50, v47, v105
	v_add_f32_e32 v1, v1, v50
	ds_read2_b64 v[50:53], v60 offset0:89 offset1:90
	buffer_load_dword v238, off, s[0:3], 0 offset:352
	buffer_load_dword v239, off, s[0:3], 0 offset:356
	s_waitcnt vmcnt(36)
	v_mul_f32_e32 v54, v48, v160
	buffer_load_dword v240, off, s[0:3], 0 offset:360
	buffer_load_dword v241, off, s[0:3], 0 offset:364
	v_fmac_f32_e32 v54, v49, v158
	v_add_f32_e32 v1, v1, v54
	ds_read2_b64 v[54:57], v60 offset0:91 offset1:92
	buffer_load_dword v242, off, s[0:3], 0 offset:368
	buffer_load_dword v243, off, s[0:3], 0 offset:372
	;; [unrolled: 1-line block ×16, first 2 shown]
	ds_read2_b64 v[110:113], v60 offset0:93 offset1:94
	ds_read2_b64 v[114:117], v60 offset0:95 offset1:96
	;; [unrolled: 1-line block ×10, first 2 shown]
	s_waitcnt vmcnt(52) lgkmcnt(11)
	v_mul_f32_e32 v107, v50, v179
	v_fmac_f32_e32 v107, v51, v178
	v_add_f32_e32 v1, v1, v107
	ds_read2_b64 v[150:153], v60 offset0:113 offset1:114
	ds_read2_b64 v[154:157], v60 offset0:115 offset1:116
	v_mul_f32_e32 v19, v19, v67
	v_fma_f32 v18, v18, v78, -v19
	v_mul_f32_e32 v15, v15, v63
	v_fma_f32 v14, v14, v80, -v15
	s_waitcnt vmcnt(50)
	v_mul_f32_e32 v107, v52, v181
	v_fmac_f32_e32 v107, v53, v180
	v_add_f32_e32 v1, v1, v107
	v_mul_f32_e32 v11, v11, v62
	s_waitcnt vmcnt(48) lgkmcnt(12)
	v_mul_f32_e32 v107, v54, v183
	v_fmac_f32_e32 v107, v55, v182
	v_add_f32_e32 v1, v1, v107
	v_fma_f32 v10, v10, v75, -v11
	v_mul_f32_e32 v7, v7, v69
	v_fma_f32 v6, v6, v76, -v7
	v_mul_f32_e32 v3, v3, v71
	s_waitcnt vmcnt(46)
	v_mul_f32_e32 v107, v56, v185
	v_fmac_f32_e32 v107, v57, v184
	v_add_f32_e32 v1, v1, v107
	s_waitcnt vmcnt(44) lgkmcnt(11)
	v_mul_f32_e32 v107, v110, v187
	v_fmac_f32_e32 v107, v111, v186
	v_add_f32_e32 v1, v1, v107
	s_waitcnt vmcnt(42)
	v_mul_f32_e32 v107, v112, v189
	v_fmac_f32_e32 v107, v113, v188
	v_add_f32_e32 v1, v1, v107
	v_fma_f32 v2, v2, v73, -v3
	s_waitcnt vmcnt(40) lgkmcnt(10)
	v_mul_f32_e32 v107, v114, v191
	v_fmac_f32_e32 v107, v115, v190
	v_add_f32_e32 v1, v1, v107
	buffer_load_dword v163, off, s[0:3], 0 offset:460
	buffer_load_dword v162, off, s[0:3], 0 offset:456
	;; [unrolled: 1-line block ×16, first 2 shown]
	s_waitcnt vmcnt(54)
	v_mul_f32_e32 v107, v116, v193
	v_fmac_f32_e32 v107, v117, v192
	v_add_f32_e32 v1, v1, v107
	s_waitcnt vmcnt(52) lgkmcnt(9)
	v_mul_f32_e32 v107, v118, v195
	v_fmac_f32_e32 v107, v119, v194
	v_add_f32_e32 v1, v1, v107
	s_waitcnt vmcnt(50)
	v_mul_f32_e32 v107, v120, v197
	v_fmac_f32_e32 v107, v121, v196
	v_add_f32_e32 v1, v1, v107
	s_waitcnt vmcnt(48) lgkmcnt(8)
	v_mul_f32_e32 v107, v122, v199
	v_fmac_f32_e32 v107, v123, v198
	v_add_f32_e32 v1, v1, v107
	;; [unrolled: 8-line block ×9, first 2 shown]
	v_mul_f32_e32 v1, v23, v66
	v_fma_f32 v1, v22, v84, -v1
	v_mul_f32_e32 v22, v25, v65
	v_add_f32_e32 v1, 0, v1
	v_fma_f32 v22, v24, v81, -v22
	v_add_f32_e32 v1, v1, v22
	v_add_f32_e32 v1, v1, v18
	v_mul_f32_e32 v18, v21, v64
	v_fma_f32 v18, v20, v83, -v18
	v_add_f32_e32 v1, v1, v18
	v_add_f32_e32 v1, v1, v14
	v_mul_f32_e32 v14, v17, v61
	;; [unrolled: 4-line block ×5, first 2 shown]
	v_fma_f32 v2, v4, v92, -v2
	v_add_f32_e32 v1, v1, v2
	v_mul_f32_e32 v2, v27, v91
	v_fma_f32 v2, v26, v87, -v2
	v_add_f32_e32 v1, v1, v2
	v_mul_f32_e32 v2, v29, v89
	v_fma_f32 v2, v28, v85, -v2
	v_add_f32_e32 v1, v1, v2
	v_mul_f32_e32 v2, v31, v86
	v_fma_f32 v2, v30, v82, -v2
	v_add_f32_e32 v1, v1, v2
	v_mul_f32_e32 v2, v33, v90
	v_fma_f32 v2, v32, v88, -v2
	v_add_f32_e32 v1, v1, v2
	v_mul_f32_e32 v2, v39, v94
	v_fma_f32 v2, v38, v93, -v2
	v_add_f32_e32 v1, v1, v2
	v_mul_f32_e32 v2, v41, v96
	v_fma_f32 v2, v40, v95, -v2
	v_add_f32_e32 v1, v1, v2
	v_mul_f32_e32 v2, v35, v98
	v_fma_f32 v2, v34, v97, -v2
	v_add_f32_e32 v1, v1, v2
	v_mul_f32_e32 v2, v37, v100
	v_fma_f32 v2, v36, v99, -v2
	v_add_f32_e32 v1, v1, v2
	v_mul_f32_e32 v2, v43, v102
	v_fma_f32 v2, v42, v101, -v2
	v_add_f32_e32 v1, v1, v2
	v_mul_f32_e32 v2, v45, v104
	v_fma_f32 v2, v44, v103, -v2
	v_add_f32_e32 v1, v1, v2
	v_mul_f32_e32 v2, v47, v106
	v_fma_f32 v2, v46, v105, -v2
	v_add_f32_e32 v1, v1, v2
	v_mul_f32_e32 v2, v49, v160
	v_fma_f32 v2, v48, v158, -v2
	v_add_f32_e32 v1, v1, v2
	v_mul_f32_e32 v2, v51, v179
	v_fma_f32 v2, v50, v178, -v2
	v_add_f32_e32 v1, v1, v2
	v_mul_f32_e32 v2, v53, v181
	v_fma_f32 v2, v52, v180, -v2
	v_add_f32_e32 v1, v1, v2
	v_mul_f32_e32 v2, v55, v183
	v_fma_f32 v2, v54, v182, -v2
	v_add_f32_e32 v1, v1, v2
	v_mul_f32_e32 v2, v57, v185
	v_fma_f32 v2, v56, v184, -v2
	v_add_f32_e32 v1, v1, v2
	v_mul_f32_e32 v2, v111, v187
	v_fma_f32 v2, v110, v186, -v2
	v_add_f32_e32 v1, v1, v2
	v_mul_f32_e32 v2, v113, v189
	v_fma_f32 v2, v112, v188, -v2
	v_add_f32_e32 v1, v1, v2
	v_mul_f32_e32 v2, v115, v191
	v_fma_f32 v2, v114, v190, -v2
	v_add_f32_e32 v1, v1, v2
	v_mul_f32_e32 v2, v117, v193
	v_fma_f32 v2, v116, v192, -v2
	v_add_f32_e32 v1, v1, v2
	v_mul_f32_e32 v2, v119, v195
	v_fma_f32 v2, v118, v194, -v2
	v_add_f32_e32 v1, v1, v2
	v_mul_f32_e32 v2, v121, v197
	v_fma_f32 v2, v120, v196, -v2
	v_add_f32_e32 v1, v1, v2
	v_mul_f32_e32 v2, v123, v199
	v_fma_f32 v2, v122, v198, -v2
	v_add_f32_e32 v1, v1, v2
	v_mul_f32_e32 v2, v125, v201
	v_fma_f32 v2, v124, v200, -v2
	v_add_f32_e32 v1, v1, v2
	v_mul_f32_e32 v2, v127, v203
	v_fma_f32 v2, v126, v202, -v2
	v_add_f32_e32 v1, v1, v2
	v_mul_f32_e32 v2, v129, v205
	v_fma_f32 v2, v128, v204, -v2
	v_add_f32_e32 v1, v1, v2
	v_mul_f32_e32 v2, v131, v233
	v_fma_f32 v2, v130, v232, -v2
	v_add_f32_e32 v1, v1, v2
	v_mul_f32_e32 v2, v133, v235
	v_fma_f32 v2, v132, v234, -v2
	v_add_f32_e32 v1, v1, v2
	v_mul_f32_e32 v2, v135, v237
	v_fma_f32 v2, v134, v236, -v2
	v_add_f32_e32 v1, v1, v2
	v_mul_f32_e32 v2, v137, v239
	v_fma_f32 v2, v136, v238, -v2
	v_add_f32_e32 v1, v1, v2
	v_mul_f32_e32 v2, v139, v241
	v_fma_f32 v2, v138, v240, -v2
	v_add_f32_e32 v1, v1, v2
	v_mul_f32_e32 v2, v141, v243
	v_fma_f32 v2, v140, v242, -v2
	v_add_f32_e32 v1, v1, v2
	v_mul_f32_e32 v2, v143, v245
	v_fma_f32 v2, v142, v244, -v2
	v_add_f32_e32 v1, v1, v2
	v_mul_f32_e32 v2, v145, v247
	v_fma_f32 v2, v144, v246, -v2
	v_add_f32_e32 v1, v1, v2
	v_mul_f32_e32 v2, v147, v249
	v_fma_f32 v2, v146, v248, -v2
	v_add_f32_e32 v1, v1, v2
	v_mul_f32_e32 v2, v149, v251
	v_fma_f32 v2, v148, v250, -v2
	v_add_f32_e32 v1, v1, v2
	v_mul_f32_e32 v2, v151, v253
	v_fma_f32 v2, v150, v252, -v2
	s_waitcnt vmcnt(9)
	v_mov_b32_e32 v18, v169
	v_mul_f32_e32 v159, v152, v255
	v_add_f32_e32 v106, v1, v2
	v_mul_f32_e32 v1, v153, v255
	s_waitcnt lgkmcnt(0)
	v_pk_mul_f32 v[18:19], v[156:157], v[18:19] op_sel_hi:[1,0]
	v_fmac_f32_e32 v159, v153, v254
	v_mul_f32_e32 v161, v154, v207
	v_fma_f32 v158, v152, v254, -v1
	v_mul_f32_e32 v1, v155, v207
	ds_read2_b64 v[2:5], v60 offset0:117 offset1:118
	ds_read2_b64 v[6:9], v60 offset0:119 offset1:120
	;; [unrolled: 1-line block ×3, first 2 shown]
	ds_read_b64 v[14:15], v60 offset:984
	s_waitcnt vmcnt(8)
	v_pk_fma_f32 v[20:21], v[156:157], v[168:169], v[18:19] op_sel:[0,0,1] op_sel_hi:[1,1,0] neg_lo:[0,0,1] neg_hi:[0,0,1]
	v_pk_fma_f32 v[18:19], v[156:157], v[168:169], v[18:19] op_sel:[0,0,1] op_sel_hi:[1,0,0]
	v_fmac_f32_e32 v161, v155, v206
	v_fma_f32 v160, v154, v206, -v1
	v_pk_add_f32 v[16:17], v[106:107], v[158:159]
	v_mov_b32_e32 v18, v167
	v_pk_add_f32 v[16:17], v[16:17], v[160:161]
	v_mov_b32_e32 v21, v19
	s_waitcnt lgkmcnt(3)
	v_pk_mul_f32 v[18:19], v[2:3], v[18:19] op_sel_hi:[1,0]
	v_pk_add_f32 v[16:17], v[16:17], v[20:21]
	v_pk_fma_f32 v[20:21], v[2:3], v[166:167], v[18:19] op_sel:[0,0,1] op_sel_hi:[1,1,0] neg_lo:[0,0,1] neg_hi:[0,0,1]
	v_pk_fma_f32 v[2:3], v[2:3], v[166:167], v[18:19] op_sel:[0,0,1] op_sel_hi:[1,0,0]
	v_mov_b32_e32 v21, v3
	v_pk_add_f32 v[2:3], v[16:17], v[20:21]
	v_mov_b32_e32 v16, v165
	v_pk_mul_f32 v[16:17], v[4:5], v[16:17] op_sel_hi:[1,0]
	v_pk_fma_f32 v[18:19], v[4:5], v[164:165], v[16:17] op_sel:[0,0,1] op_sel_hi:[1,1,0] neg_lo:[0,0,1] neg_hi:[0,0,1]
	v_pk_fma_f32 v[4:5], v[4:5], v[164:165], v[16:17] op_sel:[0,0,1] op_sel_hi:[1,0,0]
	v_mov_b32_e32 v4, v163
	v_mov_b32_e32 v19, v5
	s_waitcnt lgkmcnt(2)
	v_pk_mul_f32 v[4:5], v[6:7], v[4:5] op_sel_hi:[1,0]
	v_pk_fma_f32 v[16:17], v[6:7], v[162:163], v[4:5] op_sel:[0,0,1] op_sel_hi:[1,1,0] neg_lo:[0,0,1] neg_hi:[0,0,1]
	v_pk_fma_f32 v[4:5], v[6:7], v[162:163], v[4:5] op_sel:[0,0,1] op_sel_hi:[1,0,0]
	s_waitcnt vmcnt(1)
	v_mov_b32_e32 v4, v177
	v_mov_b32_e32 v17, v5
	v_pk_mul_f32 v[4:5], v[8:9], v[4:5] op_sel_hi:[1,0]
	s_waitcnt vmcnt(0)
	v_pk_fma_f32 v[6:7], v[8:9], v[176:177], v[4:5] op_sel:[0,0,1] op_sel_hi:[1,1,0] neg_lo:[0,0,1] neg_hi:[0,0,1]
	v_pk_fma_f32 v[4:5], v[8:9], v[176:177], v[4:5] op_sel:[0,0,1] op_sel_hi:[1,0,0]
	v_pk_add_f32 v[2:3], v[2:3], v[18:19]
	v_mov_b32_e32 v4, v175
	v_pk_add_f32 v[2:3], v[2:3], v[16:17]
	v_mov_b32_e32 v7, v5
	s_waitcnt lgkmcnt(1)
	v_pk_mul_f32 v[4:5], v[10:11], v[4:5] op_sel_hi:[1,0]
	v_pk_add_f32 v[2:3], v[2:3], v[6:7]
	v_pk_fma_f32 v[6:7], v[10:11], v[174:175], v[4:5] op_sel:[0,0,1] op_sel_hi:[1,1,0] neg_lo:[0,0,1] neg_hi:[0,0,1]
	v_pk_fma_f32 v[4:5], v[10:11], v[174:175], v[4:5] op_sel:[0,0,1] op_sel_hi:[1,0,0]
	v_mov_b32_e32 v4, v173
	v_mov_b32_e32 v7, v5
	v_pk_mul_f32 v[4:5], v[12:13], v[4:5] op_sel_hi:[1,0]
	v_pk_add_f32 v[2:3], v[2:3], v[6:7]
	v_pk_fma_f32 v[6:7], v[12:13], v[172:173], v[4:5] op_sel:[0,0,1] op_sel_hi:[1,1,0] neg_lo:[0,0,1] neg_hi:[0,0,1]
	v_pk_fma_f32 v[4:5], v[12:13], v[172:173], v[4:5] op_sel:[0,0,1] op_sel_hi:[1,0,0]
	v_mov_b32_e32 v4, v171
	v_mov_b32_e32 v7, v5
	s_waitcnt lgkmcnt(0)
	v_pk_mul_f32 v[4:5], v[14:15], v[4:5] op_sel_hi:[1,0]
	v_pk_add_f32 v[2:3], v[2:3], v[6:7]
	v_pk_fma_f32 v[6:7], v[14:15], v[170:171], v[4:5] op_sel:[0,0,1] op_sel_hi:[1,1,0] neg_lo:[0,0,1] neg_hi:[0,0,1]
	v_pk_fma_f32 v[4:5], v[14:15], v[170:171], v[4:5] op_sel:[0,0,1] op_sel_hi:[1,0,0]
	v_mov_b32_e32 v7, v5
	v_pk_add_f32 v[2:3], v[2:3], v[6:7]
	v_pk_add_f32 v[2:3], v[58:59], v[2:3] neg_lo:[0,1] neg_hi:[0,1]
	buffer_store_dword v3, off, s[0:3], 0 offset:20
	buffer_store_dword v2, off, s[0:3], 0 offset:16
	s_and_saveexec_b64 s[4:5], vcc
	s_cbranch_execz .LBB61_383
; %bb.382:
	buffer_load_dword v2, off, s[0:3], 0 offset:8
	buffer_load_dword v3, off, s[0:3], 0 offset:12
	s_waitcnt vmcnt(0)
	ds_write_b64 v210, v[2:3]
	buffer_store_dword v60, off, s[0:3], 0 offset:8
	buffer_store_dword v60, off, s[0:3], 0 offset:12
.LBB61_383:
	s_or_b64 exec, exec, s[4:5]
	s_waitcnt lgkmcnt(0)
	; wave barrier
	s_waitcnt lgkmcnt(0)
	buffer_load_dword v66, off, s[0:3], 0 offset:20
	buffer_load_dword v65, off, s[0:3], 0 offset:28
	;; [unrolled: 1-line block ×40, first 2 shown]
	ds_read_b128 v[26:29], v60 offset:512
	ds_read_b128 v[22:25], v60 offset:528
	;; [unrolled: 1-line block ×7, first 2 shown]
	buffer_load_dword v99, off, s[0:3], 0 offset:168
	buffer_load_dword v100, off, s[0:3], 0 offset:172
	;; [unrolled: 1-line block ×12, first 2 shown]
	v_cmp_ne_u32_e32 vcc, 0, v0
	s_waitcnt vmcnt(51) lgkmcnt(6)
	v_mul_f32_e32 v1, v26, v66
	s_waitcnt vmcnt(50)
	v_mul_f32_e32 v30, v28, v65
	s_waitcnt vmcnt(49) lgkmcnt(5)
	v_mul_f32_e32 v32, v24, v64
	s_waitcnt vmcnt(48) lgkmcnt(4)
	v_mul_f32_e32 v33, v18, v63
	s_waitcnt vmcnt(47)
	v_mul_f32_e32 v34, v20, v61
	s_waitcnt vmcnt(46)
	v_mul_f32_e32 v31, v22, v67
	s_waitcnt vmcnt(45) lgkmcnt(3)
	v_mul_f32_e32 v35, v14, v62
	s_waitcnt vmcnt(44)
	v_mul_f32_e32 v36, v16, v68
	s_waitcnt vmcnt(43) lgkmcnt(2)
	v_mul_f32_e32 v37, v10, v69
	s_waitcnt vmcnt(42)
	v_mul_f32_e32 v38, v12, v70
	s_waitcnt vmcnt(41) lgkmcnt(1)
	v_mul_f32_e32 v39, v6, v71
	s_waitcnt vmcnt(40)
	v_mul_f32_e32 v40, v8, v72
	s_waitcnt vmcnt(39)
	v_fmac_f32_e32 v31, v23, v78
	s_waitcnt vmcnt(38)
	v_fmac_f32_e32 v30, v29, v81
	;; [unrolled: 2-line block ×3, first 2 shown]
	v_add_f32_e32 v1, 0, v1
	v_add_f32_e32 v1, v1, v30
	;; [unrolled: 1-line block ×3, first 2 shown]
	s_waitcnt vmcnt(33)
	v_fmac_f32_e32 v32, v25, v83
	v_fmac_f32_e32 v33, v19, v80
	v_add_f32_e32 v1, v1, v32
	v_fmac_f32_e32 v34, v21, v77
	v_add_f32_e32 v1, v1, v33
	;; [unrolled: 2-line block ×3, first 2 shown]
	s_waitcnt vmcnt(29)
	v_fmac_f32_e32 v36, v17, v79
	v_add_f32_e32 v1, v1, v35
	v_fmac_f32_e32 v37, v11, v76
	v_add_f32_e32 v1, v1, v36
	;; [unrolled: 2-line block ×4, first 2 shown]
	ds_read_b128 v[30:33], v60 offset:624
	v_add_f32_e32 v1, v1, v39
	s_waitcnt vmcnt(25)
	v_fmac_f32_e32 v40, v9, v90
	s_waitcnt vmcnt(24) lgkmcnt(1)
	v_mul_f32_e32 v34, v2, v89
	v_add_f32_e32 v1, v1, v40
	v_fmac_f32_e32 v34, v3, v87
	v_add_f32_e32 v1, v1, v34
	s_waitcnt vmcnt(23)
	v_mul_f32_e32 v34, v4, v88
	v_fmac_f32_e32 v34, v5, v85
	v_add_f32_e32 v1, v1, v34
	s_waitcnt vmcnt(22) lgkmcnt(0)
	v_mul_f32_e32 v34, v30, v86
	buffer_load_dword v180, off, s[0:3], 0 offset:216
	buffer_load_dword v181, off, s[0:3], 0 offset:220
	v_fmac_f32_e32 v34, v31, v82
	buffer_load_dword v182, off, s[0:3], 0 offset:224
	buffer_load_dword v183, off, s[0:3], 0 offset:228
	v_add_f32_e32 v1, v1, v34
	ds_read_b128 v[34:37], v60 offset:640
	s_waitcnt vmcnt(19)
	v_mul_f32_e32 v38, v32, v98
	s_waitcnt vmcnt(18)
	v_fmac_f32_e32 v38, v33, v97
	buffer_load_dword v184, off, s[0:3], 0 offset:232
	buffer_load_dword v185, off, s[0:3], 0 offset:236
	v_add_f32_e32 v1, v1, v38
	ds_read_b128 v[38:41], v60 offset:656
	s_waitcnt lgkmcnt(1)
	v_mul_f32_e32 v42, v34, v92
	buffer_load_dword v186, off, s[0:3], 0 offset:240
	buffer_load_dword v187, off, s[0:3], 0 offset:244
	v_fmac_f32_e32 v42, v35, v91
	v_add_f32_e32 v1, v1, v42
	v_mul_f32_e32 v42, v36, v94
	buffer_load_dword v188, off, s[0:3], 0 offset:248
	buffer_load_dword v189, off, s[0:3], 0 offset:252
	v_fmac_f32_e32 v42, v37, v93
	v_add_f32_e32 v1, v1, v42
	s_waitcnt lgkmcnt(0)
	v_mul_f32_e32 v42, v38, v96
	buffer_load_dword v190, off, s[0:3], 0 offset:256
	buffer_load_dword v191, off, s[0:3], 0 offset:260
	v_fmac_f32_e32 v42, v39, v95
	v_add_f32_e32 v1, v1, v42
	s_waitcnt vmcnt(22)
	v_mul_f32_e32 v46, v40, v100
	ds_read_b128 v[42:45], v60 offset:672
	buffer_load_dword v192, off, s[0:3], 0 offset:264
	buffer_load_dword v193, off, s[0:3], 0 offset:268
	v_fmac_f32_e32 v46, v41, v99
	v_add_f32_e32 v1, v1, v46
	ds_read_b128 v[46:49], v60 offset:688
	buffer_load_dword v194, off, s[0:3], 0 offset:272
	buffer_load_dword v195, off, s[0:3], 0 offset:276
	;; [unrolled: 1-line block ×8, first 2 shown]
	s_waitcnt vmcnt(30) lgkmcnt(1)
	v_mul_f32_e32 v50, v42, v102
	buffer_load_dword v202, off, s[0:3], 0 offset:304
	buffer_load_dword v203, off, s[0:3], 0 offset:308
	v_fmac_f32_e32 v50, v43, v101
	v_add_f32_e32 v1, v1, v50
	s_waitcnt vmcnt(30)
	v_mul_f32_e32 v50, v44, v104
	buffer_load_dword v204, off, s[0:3], 0 offset:312
	buffer_load_dword v205, off, s[0:3], 0 offset:316
	v_fmac_f32_e32 v50, v45, v103
	v_add_f32_e32 v1, v1, v50
	s_waitcnt vmcnt(30) lgkmcnt(0)
	v_mul_f32_e32 v50, v46, v106
	buffer_load_dword v206, off, s[0:3], 0 offset:320
	buffer_load_dword v207, off, s[0:3], 0 offset:324
	v_fmac_f32_e32 v50, v47, v105
	v_add_f32_e32 v1, v1, v50
	s_waitcnt vmcnt(30)
	v_mul_f32_e32 v50, v48, v166
	buffer_load_dword v232, off, s[0:3], 0 offset:328
	buffer_load_dword v233, off, s[0:3], 0 offset:332
	v_fmac_f32_e32 v50, v49, v158
	v_add_f32_e32 v1, v1, v50
	ds_read_b128 v[50:53], v60 offset:704
	buffer_load_dword v234, off, s[0:3], 0 offset:336
	buffer_load_dword v235, off, s[0:3], 0 offset:340
	ds_read_b128 v[54:57], v60 offset:720
	buffer_load_dword v236, off, s[0:3], 0 offset:344
	buffer_load_dword v237, off, s[0:3], 0 offset:348
	;; [unrolled: 1-line block ×16, first 2 shown]
	ds_read_b128 v[110:113], v60 offset:736
	buffer_load_dword v252, off, s[0:3], 0 offset:408
	buffer_load_dword v253, off, s[0:3], 0 offset:412
	s_waitcnt vmcnt(50) lgkmcnt(2)
	v_mul_f32_e32 v107, v50, v179
	v_fmac_f32_e32 v107, v51, v178
	v_add_f32_e32 v1, v1, v107
	buffer_load_dword v254, off, s[0:3], 0 offset:416
	buffer_load_dword v255, off, s[0:3], 0 offset:420
	ds_read_b128 v[114:117], v60 offset:752
	buffer_load_dword v208, off, s[0:3], 0 offset:424
	buffer_load_dword v209, off, s[0:3], 0 offset:428
	ds_read_b128 v[118:121], v60 offset:768
	ds_read_b128 v[122:125], v60 offset:784
	;; [unrolled: 1-line block ×10, first 2 shown]
	v_mul_f32_e32 v23, v23, v67
	v_fma_f32 v22, v22, v78, -v23
	v_mul_f32_e32 v19, v19, v63
	s_waitcnt vmcnt(52)
	v_mul_f32_e32 v107, v52, v181
	v_fmac_f32_e32 v107, v53, v180
	v_add_f32_e32 v1, v1, v107
	s_waitcnt vmcnt(50) lgkmcnt(12)
	v_mul_f32_e32 v107, v54, v183
	v_fmac_f32_e32 v107, v55, v182
	v_add_f32_e32 v1, v1, v107
	v_fma_f32 v18, v18, v80, -v19
	s_waitcnt vmcnt(48)
	v_mul_f32_e32 v107, v56, v185
	v_fmac_f32_e32 v107, v57, v184
	v_add_f32_e32 v1, v1, v107
	v_mul_f32_e32 v15, v15, v62
	s_waitcnt vmcnt(46) lgkmcnt(11)
	v_mul_f32_e32 v107, v110, v187
	v_fmac_f32_e32 v107, v111, v186
	v_add_f32_e32 v1, v1, v107
	v_fma_f32 v14, v14, v75, -v15
	s_waitcnt vmcnt(44)
	v_mul_f32_e32 v107, v112, v189
	v_fmac_f32_e32 v107, v113, v188
	v_add_f32_e32 v1, v1, v107
	v_mul_f32_e32 v11, v11, v69
	s_waitcnt vmcnt(42) lgkmcnt(10)
	v_mul_f32_e32 v107, v114, v191
	v_fmac_f32_e32 v107, v115, v190
	v_add_f32_e32 v1, v1, v107
	v_fma_f32 v10, v10, v76, -v11
	v_mul_f32_e32 v7, v7, v71
	s_waitcnt vmcnt(40)
	v_mul_f32_e32 v107, v116, v193
	v_fmac_f32_e32 v107, v117, v192
	v_add_f32_e32 v1, v1, v107
	buffer_load_dword v161, off, s[0:3], 0 offset:452
	buffer_load_dword v160, off, s[0:3], 0 offset:448
	;; [unrolled: 1-line block ×6, first 2 shown]
	s_waitcnt vmcnt(44) lgkmcnt(9)
	v_mul_f32_e32 v107, v118, v195
	v_fmac_f32_e32 v107, v119, v194
	v_add_f32_e32 v1, v1, v107
	s_waitcnt vmcnt(42)
	v_mul_f32_e32 v107, v120, v197
	v_fmac_f32_e32 v107, v121, v196
	v_add_f32_e32 v1, v1, v107
	s_waitcnt vmcnt(40) lgkmcnt(8)
	v_mul_f32_e32 v107, v122, v199
	v_fmac_f32_e32 v107, v123, v198
	v_add_f32_e32 v1, v1, v107
	s_waitcnt vmcnt(38)
	v_mul_f32_e32 v107, v124, v201
	v_fmac_f32_e32 v107, v125, v200
	v_add_f32_e32 v1, v1, v107
	;; [unrolled: 8-line block ×9, first 2 shown]
	v_mul_f32_e32 v1, v27, v66
	v_fma_f32 v1, v26, v84, -v1
	v_mul_f32_e32 v26, v29, v65
	v_add_f32_e32 v1, 0, v1
	v_fma_f32 v26, v28, v81, -v26
	v_add_f32_e32 v1, v1, v26
	v_add_f32_e32 v1, v1, v22
	v_mul_f32_e32 v22, v25, v64
	v_fma_f32 v22, v24, v83, -v22
	v_add_f32_e32 v1, v1, v22
	v_add_f32_e32 v1, v1, v18
	v_mul_f32_e32 v18, v21, v61
	;; [unrolled: 4-line block ×4, first 2 shown]
	v_fma_f32 v10, v12, v74, -v10
	v_add_f32_e32 v1, v1, v10
	v_fma_f32 v6, v6, v73, -v7
	v_add_f32_e32 v1, v1, v6
	v_mul_f32_e32 v6, v9, v72
	v_fma_f32 v6, v8, v90, -v6
	v_mul_f32_e32 v3, v3, v89
	v_add_f32_e32 v1, v1, v6
	v_fma_f32 v2, v2, v87, -v3
	v_add_f32_e32 v1, v1, v2
	v_mul_f32_e32 v2, v5, v88
	v_fma_f32 v2, v4, v85, -v2
	v_add_f32_e32 v1, v1, v2
	v_mul_f32_e32 v2, v31, v86
	v_fma_f32 v2, v30, v82, -v2
	v_add_f32_e32 v1, v1, v2
	v_mul_f32_e32 v2, v33, v98
	v_fma_f32 v2, v32, v97, -v2
	v_add_f32_e32 v1, v1, v2
	v_mul_f32_e32 v2, v35, v92
	v_fma_f32 v2, v34, v91, -v2
	buffer_load_dword v169, off, s[0:3], 0 offset:484
	buffer_load_dword v168, off, s[0:3], 0 offset:480
	;; [unrolled: 1-line block ×10, first 2 shown]
	v_add_f32_e32 v1, v1, v2
	v_mul_f32_e32 v2, v37, v94
	v_fma_f32 v2, v36, v93, -v2
	v_add_f32_e32 v1, v1, v2
	v_mul_f32_e32 v2, v39, v96
	v_fma_f32 v2, v38, v95, -v2
	;; [unrolled: 3-line block ×33, first 2 shown]
	v_add_f32_e32 v106, v1, v2
	ds_read_b128 v[2:5], v60 offset:928
	ds_read_b128 v[6:9], v60 offset:944
	;; [unrolled: 1-line block ×4, first 2 shown]
	s_waitcnt vmcnt(18) lgkmcnt(4)
	v_mul_f32_e32 v159, v154, v255
	v_mul_f32_e32 v1, v155, v255
	s_waitcnt vmcnt(11)
	v_mov_b32_e32 v20, v165
	v_fmac_f32_e32 v159, v155, v254
	v_mul_f32_e32 v167, v156, v209
	v_fma_f32 v158, v154, v254, -v1
	v_mul_f32_e32 v1, v157, v209
	s_waitcnt lgkmcnt(3)
	v_pk_mul_f32 v[20:21], v[2:3], v[20:21] op_sel_hi:[1,0]
	v_fmac_f32_e32 v167, v157, v208
	v_fma_f32 v166, v156, v208, -v1
	v_pk_add_f32 v[18:19], v[106:107], v[158:159]
	s_waitcnt vmcnt(10)
	v_pk_fma_f32 v[22:23], v[2:3], v[164:165], v[20:21] op_sel:[0,0,1] op_sel_hi:[1,1,0] neg_lo:[0,0,1] neg_hi:[0,0,1]
	v_pk_fma_f32 v[2:3], v[2:3], v[164:165], v[20:21] op_sel:[0,0,1] op_sel_hi:[1,0,0]
	v_pk_add_f32 v[18:19], v[18:19], v[166:167]
	v_mov_b32_e32 v23, v3
	v_pk_add_f32 v[2:3], v[18:19], v[22:23]
	v_mov_b32_e32 v18, v163
	v_pk_mul_f32 v[18:19], v[4:5], v[18:19] op_sel_hi:[1,0]
	v_pk_fma_f32 v[20:21], v[4:5], v[162:163], v[18:19] op_sel:[0,0,1] op_sel_hi:[1,1,0] neg_lo:[0,0,1] neg_hi:[0,0,1]
	v_pk_fma_f32 v[4:5], v[4:5], v[162:163], v[18:19] op_sel:[0,0,1] op_sel_hi:[1,0,0]
	v_mov_b32_e32 v4, v161
	v_mov_b32_e32 v21, v5
	s_waitcnt lgkmcnt(2)
	v_pk_mul_f32 v[4:5], v[6:7], v[4:5] op_sel_hi:[1,0]
	v_pk_fma_f32 v[18:19], v[6:7], v[160:161], v[4:5] op_sel:[0,0,1] op_sel_hi:[1,1,0] neg_lo:[0,0,1] neg_hi:[0,0,1]
	v_pk_fma_f32 v[4:5], v[6:7], v[160:161], v[4:5] op_sel:[0,0,1] op_sel_hi:[1,0,0]
	s_waitcnt vmcnt(3)
	v_mov_b32_e32 v4, v175
	v_mov_b32_e32 v19, v5
	v_pk_mul_f32 v[4:5], v[8:9], v[4:5] op_sel_hi:[1,0]
	s_waitcnt vmcnt(2)
	v_pk_fma_f32 v[6:7], v[8:9], v[174:175], v[4:5] op_sel:[0,0,1] op_sel_hi:[1,1,0] neg_lo:[0,0,1] neg_hi:[0,0,1]
	v_pk_fma_f32 v[4:5], v[8:9], v[174:175], v[4:5] op_sel:[0,0,1] op_sel_hi:[1,0,0]
	v_pk_add_f32 v[2:3], v[2:3], v[20:21]
	v_mov_b32_e32 v4, v173
	v_pk_add_f32 v[2:3], v[2:3], v[18:19]
	v_mov_b32_e32 v7, v5
	s_waitcnt lgkmcnt(1)
	v_pk_mul_f32 v[4:5], v[10:11], v[4:5] op_sel_hi:[1,0]
	v_pk_add_f32 v[2:3], v[2:3], v[6:7]
	v_pk_fma_f32 v[6:7], v[10:11], v[172:173], v[4:5] op_sel:[0,0,1] op_sel_hi:[1,1,0] neg_lo:[0,0,1] neg_hi:[0,0,1]
	v_pk_fma_f32 v[4:5], v[10:11], v[172:173], v[4:5] op_sel:[0,0,1] op_sel_hi:[1,0,0]
	v_mov_b32_e32 v4, v171
	v_mov_b32_e32 v7, v5
	v_pk_mul_f32 v[4:5], v[12:13], v[4:5] op_sel_hi:[1,0]
	v_pk_add_f32 v[2:3], v[2:3], v[6:7]
	v_pk_fma_f32 v[6:7], v[12:13], v[170:171], v[4:5] op_sel:[0,0,1] op_sel_hi:[1,1,0] neg_lo:[0,0,1] neg_hi:[0,0,1]
	v_pk_fma_f32 v[4:5], v[12:13], v[170:171], v[4:5] op_sel:[0,0,1] op_sel_hi:[1,0,0]
	v_mov_b32_e32 v4, v169
	v_mov_b32_e32 v7, v5
	s_waitcnt lgkmcnt(0)
	v_pk_mul_f32 v[4:5], v[14:15], v[4:5] op_sel_hi:[1,0]
	v_pk_add_f32 v[2:3], v[2:3], v[6:7]
	v_pk_fma_f32 v[6:7], v[14:15], v[168:169], v[4:5] op_sel:[0,0,1] op_sel_hi:[1,1,0] neg_lo:[0,0,1] neg_hi:[0,0,1]
	v_pk_fma_f32 v[4:5], v[14:15], v[168:169], v[4:5] op_sel:[0,0,1] op_sel_hi:[1,0,0]
	s_waitcnt vmcnt(1)
	v_mov_b32_e32 v4, v177
	v_mov_b32_e32 v7, v5
	v_pk_mul_f32 v[4:5], v[16:17], v[4:5] op_sel_hi:[1,0]
	v_pk_add_f32 v[2:3], v[2:3], v[6:7]
	s_waitcnt vmcnt(0)
	v_pk_fma_f32 v[6:7], v[16:17], v[176:177], v[4:5] op_sel:[0,0,1] op_sel_hi:[1,1,0] neg_lo:[0,0,1] neg_hi:[0,0,1]
	v_pk_fma_f32 v[4:5], v[16:17], v[176:177], v[4:5] op_sel:[0,0,1] op_sel_hi:[1,0,0]
	v_mov_b32_e32 v7, v5
	v_pk_add_f32 v[2:3], v[2:3], v[6:7]
	v_pk_add_f32 v[2:3], v[58:59], v[2:3] neg_lo:[0,1] neg_hi:[0,1]
	buffer_store_dword v3, off, s[0:3], 0 offset:12
	buffer_store_dword v2, off, s[0:3], 0 offset:8
	s_and_saveexec_b64 s[4:5], vcc
	s_cbranch_execz .LBB61_385
; %bb.384:
	buffer_load_dword v2, off, s[0:3], 0
	buffer_load_dword v3, off, s[0:3], 0 offset:4
	v_mov_b32_e32 v0, 0
	buffer_store_dword v0, off, s[0:3], 0
	buffer_store_dword v0, off, s[0:3], 0 offset:4
	s_waitcnt vmcnt(2)
	ds_write_b64 v210, v[2:3]
.LBB61_385:
	s_or_b64 exec, exec, s[4:5]
	v_mov_b32_e32 v110, 0
	s_waitcnt lgkmcnt(0)
	; wave barrier
	s_waitcnt lgkmcnt(0)
	ds_read2_b64 v[0:3], v110 offset0:63 offset1:64
	buffer_load_dword v232, off, s[0:3], 0
	buffer_load_dword v233, off, s[0:3], 0 offset:4
	buffer_load_dword v111, off, s[0:3], 0 offset:8
	;; [unrolled: 1-line block ×15, first 2 shown]
	s_and_b64 vcc, exec, s[20:21]
	s_waitcnt vmcnt(12) lgkmcnt(0)
	v_mul_f32_e32 v4, v0, v240
	v_fmac_f32_e32 v4, v1, v111
	s_waitcnt vmcnt(10)
	v_mul_f32_e32 v5, v2, v113
	v_add_f32_e32 v4, 0, v4
	v_fmac_f32_e32 v5, v3, v234
	v_add_f32_e32 v8, v4, v5
	ds_read2_b64 v[4:7], v110 offset0:65 offset1:66
	v_mul_f32_e32 v1, v1, v240
	v_fma_f32 v0, v0, v111, -v1
	v_mul_f32_e32 v1, v3, v113
	v_add_f32_e32 v0, 0, v0
	s_waitcnt vmcnt(8) lgkmcnt(0)
	v_mul_f32_e32 v9, v4, v115
	v_fmac_f32_e32 v9, v5, v236
	v_add_f32_e32 v8, v8, v9
	s_waitcnt vmcnt(6)
	v_mul_f32_e32 v9, v6, v117
	v_fmac_f32_e32 v9, v7, v112
	v_add_f32_e32 v12, v8, v9
	ds_read2_b64 v[8:11], v110 offset0:67 offset1:68
	v_fma_f32 v1, v2, v234, -v1
	v_add_f32_e32 v0, v0, v1
	v_mul_f32_e32 v1, v5, v115
	v_fma_f32 v1, v4, v236, -v1
	s_waitcnt vmcnt(4) lgkmcnt(0)
	v_mul_f32_e32 v13, v8, v119
	v_fmac_f32_e32 v13, v9, v114
	v_add_f32_e32 v12, v12, v13
	s_waitcnt vmcnt(2)
	v_mul_f32_e32 v13, v10, v120
	v_fmac_f32_e32 v13, v11, v116
	v_add_f32_e32 v16, v12, v13
	ds_read2_b64 v[12:15], v110 offset0:69 offset1:70
	buffer_load_dword v122, off, s[0:3], 0 offset:64
	buffer_load_dword v123, off, s[0:3], 0 offset:68
	v_add_f32_e32 v0, v0, v1
	v_mul_f32_e32 v1, v7, v117
	v_fma_f32 v1, v6, v112, -v1
	s_waitcnt vmcnt(2) lgkmcnt(0)
	v_mul_f32_e32 v17, v12, v121
	v_fmac_f32_e32 v17, v13, v118
	v_add_f32_e32 v16, v16, v17
	v_add_f32_e32 v0, v0, v1
	v_mul_f32_e32 v1, v9, v119
	v_fma_f32 v1, v8, v114, -v1
	v_add_f32_e32 v0, v0, v1
	v_mul_f32_e32 v1, v11, v120
	v_fma_f32 v1, v10, v116, -v1
	;; [unrolled: 3-line block ×3, first 2 shown]
	v_add_f32_e32 v0, v0, v1
	s_waitcnt vmcnt(0)
	v_mul_f32_e32 v17, v14, v123
	v_fmac_f32_e32 v17, v15, v122
	v_add_f32_e32 v20, v16, v17
	ds_read2_b64 v[16:19], v110 offset0:71 offset1:72
	buffer_load_dword v124, off, s[0:3], 0 offset:72
	buffer_load_dword v125, off, s[0:3], 0 offset:76
	;; [unrolled: 1-line block ×4, first 2 shown]
	v_mul_f32_e32 v1, v15, v123
	v_fma_f32 v1, v14, v122, -v1
	v_add_f32_e32 v0, v0, v1
	s_waitcnt vmcnt(2) lgkmcnt(0)
	v_mul_f32_e32 v21, v16, v125
	v_fmac_f32_e32 v21, v17, v124
	v_add_f32_e32 v20, v20, v21
	s_waitcnt vmcnt(0)
	v_mul_f32_e32 v21, v18, v127
	v_fmac_f32_e32 v21, v19, v126
	v_add_f32_e32 v24, v20, v21
	ds_read2_b64 v[20:23], v110 offset0:73 offset1:74
	buffer_load_dword v128, off, s[0:3], 0 offset:88
	buffer_load_dword v129, off, s[0:3], 0 offset:92
	buffer_load_dword v130, off, s[0:3], 0 offset:96
	buffer_load_dword v131, off, s[0:3], 0 offset:100
	v_mul_f32_e32 v1, v17, v125
	v_fma_f32 v1, v16, v124, -v1
	v_add_f32_e32 v0, v0, v1
	v_mul_f32_e32 v1, v19, v127
	v_fma_f32 v1, v18, v126, -v1
	v_add_f32_e32 v0, v0, v1
	s_waitcnt vmcnt(2) lgkmcnt(0)
	v_mul_f32_e32 v25, v20, v129
	v_fmac_f32_e32 v25, v21, v128
	v_add_f32_e32 v24, v24, v25
	s_waitcnt vmcnt(0)
	v_mul_f32_e32 v25, v22, v131
	v_fmac_f32_e32 v25, v23, v130
	v_add_f32_e32 v28, v24, v25
	ds_read2_b64 v[24:27], v110 offset0:75 offset1:76
	buffer_load_dword v132, off, s[0:3], 0 offset:104
	buffer_load_dword v133, off, s[0:3], 0 offset:108
	buffer_load_dword v134, off, s[0:3], 0 offset:112
	buffer_load_dword v135, off, s[0:3], 0 offset:116
	v_mul_f32_e32 v1, v21, v129
	v_fma_f32 v1, v20, v128, -v1
	v_add_f32_e32 v0, v0, v1
	;; [unrolled: 19-line block ×7, first 2 shown]
	v_mul_f32_e32 v1, v43, v151
	v_fma_f32 v1, v42, v150, -v1
	v_add_f32_e32 v0, v0, v1
	s_waitcnt vmcnt(2) lgkmcnt(0)
	v_mul_f32_e32 v49, v44, v153
	v_fmac_f32_e32 v49, v45, v152
	v_add_f32_e32 v48, v48, v49
	s_waitcnt vmcnt(0)
	v_mul_f32_e32 v49, v46, v155
	v_fmac_f32_e32 v49, v47, v154
	v_add_f32_e32 v52, v48, v49
	ds_read2_b64 v[48:51], v110 offset0:87 offset1:88
	buffer_load_dword v156, off, s[0:3], 0 offset:200
	buffer_load_dword v157, off, s[0:3], 0 offset:204
	buffer_load_dword v158, off, s[0:3], 0 offset:208
	buffer_load_dword v159, off, s[0:3], 0 offset:212
	ds_read2_b64 v[56:59], v110 offset0:89 offset1:90
	buffer_load_dword v160, off, s[0:3], 0 offset:216
	buffer_load_dword v161, off, s[0:3], 0 offset:220
	buffer_load_dword v162, off, s[0:3], 0 offset:224
	buffer_load_dword v163, off, s[0:3], 0 offset:228
	;; [unrolled: 5-line block ×14, first 2 shown]
	v_mul_f32_e32 v1, v45, v153
	v_fma_f32 v1, v44, v152, -v1
	v_add_f32_e32 v0, v0, v1
	v_mul_f32_e32 v1, v47, v155
	v_fma_f32 v1, v46, v154, -v1
	v_add_f32_e32 v0, v0, v1
	s_waitcnt vmcnt(54) lgkmcnt(13)
	v_mul_f32_e32 v53, v48, v157
	v_fmac_f32_e32 v53, v49, v156
	v_add_f32_e32 v52, v52, v53
	s_waitcnt vmcnt(52)
	v_mul_f32_e32 v53, v50, v159
	v_fmac_f32_e32 v53, v51, v158
	v_add_f32_e32 v52, v52, v53
	s_waitcnt vmcnt(50) lgkmcnt(12)
	v_mul_f32_e32 v53, v56, v161
	v_fmac_f32_e32 v53, v57, v160
	v_add_f32_e32 v52, v52, v53
	s_waitcnt vmcnt(48)
	v_mul_f32_e32 v53, v58, v163
	v_fmac_f32_e32 v53, v59, v162
	v_add_f32_e32 v52, v52, v53
	s_waitcnt vmcnt(46) lgkmcnt(11)
	v_mul_f32_e32 v53, v60, v165
	v_fmac_f32_e32 v53, v61, v164
	v_add_f32_e32 v52, v52, v53
	s_waitcnt vmcnt(44)
	v_mul_f32_e32 v53, v62, v167
	v_fmac_f32_e32 v53, v63, v166
	v_add_f32_e32 v52, v52, v53
	s_waitcnt vmcnt(42) lgkmcnt(10)
	v_mul_f32_e32 v53, v64, v169
	v_fmac_f32_e32 v53, v65, v168
	v_add_f32_e32 v52, v52, v53
	s_waitcnt vmcnt(40)
	v_mul_f32_e32 v53, v66, v171
	v_fmac_f32_e32 v53, v67, v170
	v_add_f32_e32 v52, v52, v53
	s_waitcnt vmcnt(38) lgkmcnt(9)
	v_mul_f32_e32 v53, v68, v173
	v_fmac_f32_e32 v53, v69, v172
	v_add_f32_e32 v52, v52, v53
	s_waitcnt vmcnt(36)
	v_mul_f32_e32 v53, v70, v175
	v_fmac_f32_e32 v53, v71, v174
	v_add_f32_e32 v52, v52, v53
	s_waitcnt vmcnt(34) lgkmcnt(8)
	v_mul_f32_e32 v53, v72, v177
	v_fmac_f32_e32 v53, v73, v176
	v_add_f32_e32 v52, v52, v53
	s_waitcnt vmcnt(32)
	v_mul_f32_e32 v53, v74, v179
	v_fmac_f32_e32 v53, v75, v178
	v_add_f32_e32 v52, v52, v53
	s_waitcnt vmcnt(30) lgkmcnt(7)
	v_mul_f32_e32 v53, v76, v181
	v_fmac_f32_e32 v53, v77, v180
	v_add_f32_e32 v52, v52, v53
	s_waitcnt vmcnt(28)
	v_mul_f32_e32 v53, v78, v183
	v_fmac_f32_e32 v53, v79, v182
	v_add_f32_e32 v52, v52, v53
	s_waitcnt vmcnt(26) lgkmcnt(6)
	v_mul_f32_e32 v53, v80, v185
	v_fmac_f32_e32 v53, v81, v184
	v_add_f32_e32 v52, v52, v53
	s_waitcnt vmcnt(24)
	v_mul_f32_e32 v53, v82, v187
	v_fmac_f32_e32 v53, v83, v186
	v_add_f32_e32 v52, v52, v53
	s_waitcnt vmcnt(22) lgkmcnt(5)
	v_mul_f32_e32 v53, v84, v189
	v_fmac_f32_e32 v53, v85, v188
	v_add_f32_e32 v52, v52, v53
	s_waitcnt vmcnt(20)
	v_mul_f32_e32 v53, v86, v191
	v_fmac_f32_e32 v53, v87, v190
	v_add_f32_e32 v52, v52, v53
	s_waitcnt vmcnt(18) lgkmcnt(4)
	v_mul_f32_e32 v53, v88, v193
	v_fmac_f32_e32 v53, v89, v192
	v_add_f32_e32 v52, v52, v53
	s_waitcnt vmcnt(16)
	v_mul_f32_e32 v53, v90, v195
	v_fmac_f32_e32 v53, v91, v194
	v_add_f32_e32 v52, v52, v53
	s_waitcnt vmcnt(14) lgkmcnt(3)
	v_mul_f32_e32 v53, v92, v197
	v_fmac_f32_e32 v53, v93, v196
	v_add_f32_e32 v52, v52, v53
	s_waitcnt vmcnt(12)
	v_mul_f32_e32 v53, v94, v199
	v_fmac_f32_e32 v53, v95, v198
	v_add_f32_e32 v52, v52, v53
	s_waitcnt vmcnt(10) lgkmcnt(2)
	v_mul_f32_e32 v53, v96, v201
	v_fmac_f32_e32 v53, v97, v200
	v_add_f32_e32 v52, v52, v53
	s_waitcnt vmcnt(8)
	v_mul_f32_e32 v53, v98, v203
	v_fmac_f32_e32 v53, v99, v202
	v_add_f32_e32 v52, v52, v53
	s_waitcnt vmcnt(6) lgkmcnt(1)
	v_mul_f32_e32 v53, v100, v205
	v_fmac_f32_e32 v53, v101, v204
	v_add_f32_e32 v52, v52, v53
	s_waitcnt vmcnt(4)
	v_mul_f32_e32 v53, v102, v207
	v_fmac_f32_e32 v53, v103, v206
	v_add_f32_e32 v52, v52, v53
	s_waitcnt vmcnt(2) lgkmcnt(0)
	v_mul_f32_e32 v53, v104, v209
	v_fmac_f32_e32 v53, v105, v208
	v_add_f32_e32 v235, v52, v53
	ds_read2_b64 v[52:55], v110 offset0:115 offset1:116
	buffer_load_dword v212, off, s[0:3], 0 offset:424
	buffer_load_dword v213, off, s[0:3], 0 offset:428
	;; [unrolled: 1-line block ×18, first 2 shown]
	v_mul_f32_e32 v1, v49, v157
	v_fma_f32 v1, v48, v156, -v1
	v_add_f32_e32 v0, v0, v1
	v_mul_f32_e32 v1, v51, v159
	v_fma_f32 v1, v50, v158, -v1
	v_add_f32_e32 v0, v0, v1
	;; [unrolled: 3-line block ×27, first 2 shown]
	s_waitcnt vmcnt(18)
	v_mul_f32_e32 v0, v107, v211
	s_waitcnt vmcnt(15)
	v_mov_b32_e32 v16, v239
	v_mul_f32_e32 v237, v106, v211
	v_fma_f32 v236, v106, v210, -v0
	s_waitcnt lgkmcnt(0)
	v_mul_f32_e32 v0, v53, v213
	v_pk_mul_f32 v[16:17], v[54:55], v[16:17] op_sel_hi:[1,0]
	v_fmac_f32_e32 v237, v107, v210
	v_mul_f32_e32 v241, v52, v213
	v_fma_f32 v240, v52, v212, -v0
	ds_read2_b64 v[0:3], v110 offset0:117 offset1:118
	ds_read2_b64 v[4:7], v110 offset0:119 offset1:120
	;; [unrolled: 1-line block ×3, first 2 shown]
	ds_read_b64 v[12:13], v110 offset:984
	s_waitcnt vmcnt(14)
	v_pk_fma_f32 v[18:19], v[54:55], v[238:239], v[16:17] op_sel:[0,0,1] op_sel_hi:[1,1,0] neg_lo:[0,0,1] neg_hi:[0,0,1]
	v_pk_fma_f32 v[16:17], v[54:55], v[238:239], v[16:17] op_sel:[0,0,1] op_sel_hi:[1,0,0]
	v_fmac_f32_e32 v241, v53, v212
	v_pk_add_f32 v[14:15], v[234:235], v[236:237]
	s_waitcnt vmcnt(13)
	v_mov_b32_e32 v16, v255
	v_pk_add_f32 v[14:15], v[14:15], v[240:241]
	v_mov_b32_e32 v19, v17
	s_waitcnt lgkmcnt(3)
	v_pk_mul_f32 v[16:17], v[0:1], v[16:17] op_sel_hi:[1,0]
	v_pk_add_f32 v[14:15], v[14:15], v[18:19]
	s_waitcnt vmcnt(12)
	v_pk_fma_f32 v[18:19], v[0:1], v[254:255], v[16:17] op_sel:[0,0,1] op_sel_hi:[1,1,0] neg_lo:[0,0,1] neg_hi:[0,0,1]
	v_pk_fma_f32 v[0:1], v[0:1], v[254:255], v[16:17] op_sel:[0,0,1] op_sel_hi:[1,0,0]
	v_mov_b32_e32 v19, v1
	v_pk_add_f32 v[0:1], v[14:15], v[18:19]
	s_waitcnt vmcnt(11)
	v_mov_b32_e32 v14, v253
	v_pk_mul_f32 v[14:15], v[2:3], v[14:15] op_sel_hi:[1,0]
	s_waitcnt vmcnt(10)
	v_pk_fma_f32 v[16:17], v[2:3], v[252:253], v[14:15] op_sel:[0,0,1] op_sel_hi:[1,1,0] neg_lo:[0,0,1] neg_hi:[0,0,1]
	v_pk_fma_f32 v[2:3], v[2:3], v[252:253], v[14:15] op_sel:[0,0,1] op_sel_hi:[1,0,0]
	s_waitcnt vmcnt(9)
	v_mov_b32_e32 v2, v251
	v_mov_b32_e32 v17, v3
	s_waitcnt lgkmcnt(2)
	v_pk_mul_f32 v[2:3], v[4:5], v[2:3] op_sel_hi:[1,0]
	s_waitcnt vmcnt(8)
	v_pk_fma_f32 v[14:15], v[4:5], v[250:251], v[2:3] op_sel:[0,0,1] op_sel_hi:[1,1,0] neg_lo:[0,0,1] neg_hi:[0,0,1]
	v_pk_fma_f32 v[2:3], v[4:5], v[250:251], v[2:3] op_sel:[0,0,1] op_sel_hi:[1,0,0]
	s_waitcnt vmcnt(7)
	v_mov_b32_e32 v2, v249
	v_mov_b32_e32 v15, v3
	v_pk_mul_f32 v[2:3], v[6:7], v[2:3] op_sel_hi:[1,0]
	s_waitcnt vmcnt(6)
	v_pk_fma_f32 v[4:5], v[6:7], v[248:249], v[2:3] op_sel:[0,0,1] op_sel_hi:[1,1,0] neg_lo:[0,0,1] neg_hi:[0,0,1]
	v_pk_fma_f32 v[2:3], v[6:7], v[248:249], v[2:3] op_sel:[0,0,1] op_sel_hi:[1,0,0]
	v_pk_add_f32 v[0:1], v[0:1], v[16:17]
	s_waitcnt vmcnt(5)
	v_mov_b32_e32 v2, v247
	v_pk_add_f32 v[0:1], v[0:1], v[14:15]
	v_mov_b32_e32 v5, v3
	s_waitcnt lgkmcnt(1)
	v_pk_mul_f32 v[2:3], v[8:9], v[2:3] op_sel_hi:[1,0]
	v_pk_add_f32 v[0:1], v[0:1], v[4:5]
	s_waitcnt vmcnt(4)
	v_pk_fma_f32 v[4:5], v[8:9], v[246:247], v[2:3] op_sel:[0,0,1] op_sel_hi:[1,1,0] neg_lo:[0,0,1] neg_hi:[0,0,1]
	v_pk_fma_f32 v[2:3], v[8:9], v[246:247], v[2:3] op_sel:[0,0,1] op_sel_hi:[1,0,0]
	s_waitcnt vmcnt(3)
	v_mov_b32_e32 v2, v245
	v_mov_b32_e32 v5, v3
	v_pk_mul_f32 v[2:3], v[10:11], v[2:3] op_sel_hi:[1,0]
	v_pk_add_f32 v[0:1], v[0:1], v[4:5]
	s_waitcnt vmcnt(2)
	v_pk_fma_f32 v[4:5], v[10:11], v[244:245], v[2:3] op_sel:[0,0,1] op_sel_hi:[1,1,0] neg_lo:[0,0,1] neg_hi:[0,0,1]
	v_pk_fma_f32 v[2:3], v[10:11], v[244:245], v[2:3] op_sel:[0,0,1] op_sel_hi:[1,0,0]
	s_waitcnt vmcnt(1)
	v_mov_b32_e32 v2, v243
	v_mov_b32_e32 v5, v3
	s_waitcnt lgkmcnt(0)
	v_pk_mul_f32 v[2:3], v[12:13], v[2:3] op_sel_hi:[1,0]
	v_pk_add_f32 v[0:1], v[0:1], v[4:5]
	s_waitcnt vmcnt(0)
	v_pk_fma_f32 v[4:5], v[12:13], v[242:243], v[2:3] op_sel:[0,0,1] op_sel_hi:[1,1,0] neg_lo:[0,0,1] neg_hi:[0,0,1]
	v_pk_fma_f32 v[2:3], v[12:13], v[242:243], v[2:3] op_sel:[0,0,1] op_sel_hi:[1,0,0]
	v_mov_b32_e32 v5, v3
	v_pk_add_f32 v[0:1], v[0:1], v[4:5]
	v_pk_add_f32 v[0:1], v[232:233], v[0:1] neg_lo:[0,1] neg_hi:[0,1]
	buffer_store_dword v1, off, s[0:3], 0 offset:4
	buffer_store_dword v0, off, s[0:3], 0
	s_cbranch_vccz .LBB61_509
; %bb.386:
	v_pk_mov_b32 v[0:1], s[10:11], s[10:11] op_sel:[0,1]
	flat_load_dword v0, v[0:1] offset:240
	s_waitcnt vmcnt(0) lgkmcnt(0)
	v_add_u32_e32 v0, -1, v0
	v_cmp_ne_u32_e32 vcc, 60, v0
	s_and_saveexec_b64 s[4:5], vcc
	s_cbranch_execz .LBB61_388
; %bb.387:
	v_mov_b32_e32 v1, 0
	v_lshl_add_u32 v0, v0, 3, v1
	buffer_load_dword v1, v0, s[0:3], 0 offen
	buffer_load_dword v2, v0, s[0:3], 0 offen offset:4
	buffer_load_dword v3, off, s[0:3], 0 offset:484
	buffer_load_dword v4, off, s[0:3], 0 offset:480
	s_waitcnt vmcnt(3)
	buffer_store_dword v1, off, s[0:3], 0 offset:480
	s_waitcnt vmcnt(3)
	buffer_store_dword v2, off, s[0:3], 0 offset:484
	s_waitcnt vmcnt(3)
	buffer_store_dword v3, v0, s[0:3], 0 offen offset:4
	s_waitcnt vmcnt(3)
	buffer_store_dword v4, v0, s[0:3], 0 offen
.LBB61_388:
	s_or_b64 exec, exec, s[4:5]
	v_pk_mov_b32 v[0:1], s[10:11], s[10:11] op_sel:[0,1]
	flat_load_dword v0, v[0:1] offset:236
	s_waitcnt vmcnt(0) lgkmcnt(0)
	v_add_u32_e32 v0, -1, v0
	v_cmp_ne_u32_e32 vcc, 59, v0
	s_and_saveexec_b64 s[4:5], vcc
	s_cbranch_execz .LBB61_390
; %bb.389:
	v_mov_b32_e32 v1, 0
	v_lshl_add_u32 v0, v0, 3, v1
	buffer_load_dword v1, v0, s[0:3], 0 offen
	buffer_load_dword v2, v0, s[0:3], 0 offen offset:4
	buffer_load_dword v3, off, s[0:3], 0 offset:472
	buffer_load_dword v4, off, s[0:3], 0 offset:476
	s_waitcnt vmcnt(3)
	buffer_store_dword v1, off, s[0:3], 0 offset:472
	s_waitcnt vmcnt(3)
	buffer_store_dword v2, off, s[0:3], 0 offset:476
	s_waitcnt vmcnt(3)
	buffer_store_dword v3, v0, s[0:3], 0 offen
	s_waitcnt vmcnt(3)
	buffer_store_dword v4, v0, s[0:3], 0 offen offset:4
.LBB61_390:
	s_or_b64 exec, exec, s[4:5]
	v_pk_mov_b32 v[0:1], s[10:11], s[10:11] op_sel:[0,1]
	flat_load_dword v0, v[0:1] offset:232
	s_waitcnt vmcnt(0) lgkmcnt(0)
	v_add_u32_e32 v0, -1, v0
	v_cmp_ne_u32_e32 vcc, 58, v0
	s_and_saveexec_b64 s[4:5], vcc
	s_cbranch_execz .LBB61_392
; %bb.391:
	v_mov_b32_e32 v1, 0
	v_lshl_add_u32 v0, v0, 3, v1
	buffer_load_dword v1, v0, s[0:3], 0 offen
	buffer_load_dword v2, v0, s[0:3], 0 offen offset:4
	buffer_load_dword v3, off, s[0:3], 0 offset:468
	buffer_load_dword v4, off, s[0:3], 0 offset:464
	s_waitcnt vmcnt(3)
	buffer_store_dword v1, off, s[0:3], 0 offset:464
	s_waitcnt vmcnt(3)
	buffer_store_dword v2, off, s[0:3], 0 offset:468
	s_waitcnt vmcnt(3)
	buffer_store_dword v3, v0, s[0:3], 0 offen offset:4
	s_waitcnt vmcnt(3)
	buffer_store_dword v4, v0, s[0:3], 0 offen
.LBB61_392:
	s_or_b64 exec, exec, s[4:5]
	v_pk_mov_b32 v[0:1], s[10:11], s[10:11] op_sel:[0,1]
	flat_load_dword v0, v[0:1] offset:228
	s_waitcnt vmcnt(0) lgkmcnt(0)
	v_add_u32_e32 v0, -1, v0
	v_cmp_ne_u32_e32 vcc, 57, v0
	s_and_saveexec_b64 s[4:5], vcc
	s_cbranch_execz .LBB61_394
; %bb.393:
	v_mov_b32_e32 v1, 0
	v_lshl_add_u32 v0, v0, 3, v1
	buffer_load_dword v1, v0, s[0:3], 0 offen
	buffer_load_dword v2, v0, s[0:3], 0 offen offset:4
	buffer_load_dword v3, off, s[0:3], 0 offset:456
	buffer_load_dword v4, off, s[0:3], 0 offset:460
	s_waitcnt vmcnt(3)
	buffer_store_dword v1, off, s[0:3], 0 offset:456
	s_waitcnt vmcnt(3)
	buffer_store_dword v2, off, s[0:3], 0 offset:460
	s_waitcnt vmcnt(3)
	buffer_store_dword v3, v0, s[0:3], 0 offen
	s_waitcnt vmcnt(3)
	buffer_store_dword v4, v0, s[0:3], 0 offen offset:4
.LBB61_394:
	s_or_b64 exec, exec, s[4:5]
	;; [unrolled: 48-line block ×30, first 2 shown]
	v_pk_mov_b32 v[0:1], s[10:11], s[10:11] op_sel:[0,1]
	flat_load_dword v2, v[0:1]
	s_nop 0
	buffer_load_dword v0, off, s[0:3], 0
	buffer_load_dword v1, off, s[0:3], 0 offset:4
	s_waitcnt vmcnt(0) lgkmcnt(0)
	v_add_u32_e32 v2, -1, v2
	v_cmp_ne_u32_e32 vcc, 0, v2
	s_and_saveexec_b64 s[4:5], vcc
	s_cbranch_execz .LBB61_508
; %bb.507:
	v_mov_b32_e32 v3, 0
	v_lshl_add_u32 v2, v2, 3, v3
	buffer_load_dword v3, v2, s[0:3], 0 offen offset:4
	buffer_load_dword v4, v2, s[0:3], 0 offen
	s_waitcnt vmcnt(1)
	buffer_store_dword v3, off, s[0:3], 0 offset:4
	s_waitcnt vmcnt(1)
	buffer_store_dword v4, off, s[0:3], 0
	buffer_store_dword v1, v2, s[0:3], 0 offen offset:4
	buffer_store_dword v0, v2, s[0:3], 0 offen
	buffer_load_dword v0, off, s[0:3], 0
	s_nop 0
	buffer_load_dword v1, off, s[0:3], 0 offset:4
.LBB61_508:
	s_or_b64 exec, exec, s[4:5]
.LBB61_509:
	buffer_load_dword v2, off, s[0:3], 0 offset:8
	buffer_load_dword v3, off, s[0:3], 0 offset:12
	;; [unrolled: 1-line block ×122, first 2 shown]
	s_waitcnt vmcnt(62)
	global_store_dwordx2 v[108:109], v[0:1], off
	v_accvgpr_read_b32 v0, a0
	v_accvgpr_read_b32 v1, a1
	global_store_dwordx2 v[0:1], v[2:3], off
	v_accvgpr_read_b32 v0, a2
	v_accvgpr_read_b32 v1, a3
	;; [unrolled: 3-line block ×31, first 2 shown]
	s_waitcnt vmcnt(62)
	global_store_dwordx2 v[0:1], v[62:63], off
	v_accvgpr_read_b32 v0, a64
	v_accvgpr_read_b32 v1, a65
	global_store_dwordx2 v[0:1], v[64:65], off
	v_accvgpr_read_b32 v0, a66
	v_accvgpr_read_b32 v1, a67
	;; [unrolled: 3-line block ×15, first 2 shown]
	s_waitcnt vmcnt(62)
	global_store_dwordx2 v[0:1], v[92:93], off
	v_accvgpr_read_b32 v0, a94
	v_accvgpr_read_b32 v1, a95
	global_store_dwordx2 v[0:1], v[94:95], off
	v_accvgpr_read_b32 v0, a96
	v_accvgpr_read_b32 v1, a97
	;; [unrolled: 3-line block ×5, first 2 shown]
	global_store_dwordx2 v[0:1], v[102:103], off
	global_store_dwordx2 v[214:215], v[104:105], off
	;; [unrolled: 1-line block ×3, first 2 shown]
	s_waitcnt vmcnt(62)
	global_store_dwordx2 v[218:219], v[110:111], off
	global_store_dwordx2 v[220:221], v[112:113], off
	;; [unrolled: 1-line block ×4, first 2 shown]
	s_waitcnt vmcnt(62)
	global_store_dwordx2 v[226:227], v[118:119], off
	global_store_dwordx2 v[228:229], v[120:121], off
	s_waitcnt vmcnt(62)
	global_store_dwordx2 v[230:231], v[122:123], off
	v_accvgpr_read_b32 v0, a40
	v_accvgpr_read_b32 v1, a41
	s_waitcnt vmcnt(61)
	global_store_dwordx2 v[0:1], v[124:125], off
	s_endpgm
	.section	.rodata,"a",@progbits
	.p2align	6, 0x0
	.amdhsa_kernel _ZN9rocsolver6v33100L18getri_kernel_smallILi62E19rocblas_complex_numIfEPS3_EEvT1_iilPiilS6_bb
		.amdhsa_group_segment_fixed_size 996
		.amdhsa_private_segment_fixed_size 512
		.amdhsa_kernarg_size 60
		.amdhsa_user_sgpr_count 8
		.amdhsa_user_sgpr_private_segment_buffer 1
		.amdhsa_user_sgpr_dispatch_ptr 0
		.amdhsa_user_sgpr_queue_ptr 0
		.amdhsa_user_sgpr_kernarg_segment_ptr 1
		.amdhsa_user_sgpr_dispatch_id 0
		.amdhsa_user_sgpr_flat_scratch_init 1
		.amdhsa_user_sgpr_kernarg_preload_length 0
		.amdhsa_user_sgpr_kernarg_preload_offset 0
		.amdhsa_user_sgpr_private_segment_size 0
		.amdhsa_uses_dynamic_stack 0
		.amdhsa_system_sgpr_private_segment_wavefront_offset 1
		.amdhsa_system_sgpr_workgroup_id_x 1
		.amdhsa_system_sgpr_workgroup_id_y 0
		.amdhsa_system_sgpr_workgroup_id_z 0
		.amdhsa_system_sgpr_workgroup_info 0
		.amdhsa_system_vgpr_workitem_id 0
		.amdhsa_next_free_vgpr 360
		.amdhsa_next_free_sgpr 23
		.amdhsa_accum_offset 256
		.amdhsa_reserve_vcc 1
		.amdhsa_reserve_flat_scratch 1
		.amdhsa_float_round_mode_32 0
		.amdhsa_float_round_mode_16_64 0
		.amdhsa_float_denorm_mode_32 3
		.amdhsa_float_denorm_mode_16_64 3
		.amdhsa_dx10_clamp 1
		.amdhsa_ieee_mode 1
		.amdhsa_fp16_overflow 0
		.amdhsa_tg_split 0
		.amdhsa_exception_fp_ieee_invalid_op 0
		.amdhsa_exception_fp_denorm_src 0
		.amdhsa_exception_fp_ieee_div_zero 0
		.amdhsa_exception_fp_ieee_overflow 0
		.amdhsa_exception_fp_ieee_underflow 0
		.amdhsa_exception_fp_ieee_inexact 0
		.amdhsa_exception_int_div_zero 0
	.end_amdhsa_kernel
	.section	.text._ZN9rocsolver6v33100L18getri_kernel_smallILi62E19rocblas_complex_numIfEPS3_EEvT1_iilPiilS6_bb,"axG",@progbits,_ZN9rocsolver6v33100L18getri_kernel_smallILi62E19rocblas_complex_numIfEPS3_EEvT1_iilPiilS6_bb,comdat
.Lfunc_end61:
	.size	_ZN9rocsolver6v33100L18getri_kernel_smallILi62E19rocblas_complex_numIfEPS3_EEvT1_iilPiilS6_bb, .Lfunc_end61-_ZN9rocsolver6v33100L18getri_kernel_smallILi62E19rocblas_complex_numIfEPS3_EEvT1_iilPiilS6_bb
                                        ; -- End function
	.section	.AMDGPU.csdata,"",@progbits
; Kernel info:
; codeLenInByte = 142404
; NumSgprs: 29
; NumVgprs: 256
; NumAgprs: 104
; TotalNumVgprs: 360
; ScratchSize: 512
; MemoryBound: 0
; FloatMode: 240
; IeeeMode: 1
; LDSByteSize: 996 bytes/workgroup (compile time only)
; SGPRBlocks: 3
; VGPRBlocks: 44
; NumSGPRsForWavesPerEU: 29
; NumVGPRsForWavesPerEU: 360
; AccumOffset: 256
; Occupancy: 1
; WaveLimiterHint : 1
; COMPUTE_PGM_RSRC2:SCRATCH_EN: 1
; COMPUTE_PGM_RSRC2:USER_SGPR: 8
; COMPUTE_PGM_RSRC2:TRAP_HANDLER: 0
; COMPUTE_PGM_RSRC2:TGID_X_EN: 1
; COMPUTE_PGM_RSRC2:TGID_Y_EN: 0
; COMPUTE_PGM_RSRC2:TGID_Z_EN: 0
; COMPUTE_PGM_RSRC2:TIDIG_COMP_CNT: 0
; COMPUTE_PGM_RSRC3_GFX90A:ACCUM_OFFSET: 63
; COMPUTE_PGM_RSRC3_GFX90A:TG_SPLIT: 0
	.section	.text._ZN9rocsolver6v33100L18getri_kernel_smallILi63E19rocblas_complex_numIfEPS3_EEvT1_iilPiilS6_bb,"axG",@progbits,_ZN9rocsolver6v33100L18getri_kernel_smallILi63E19rocblas_complex_numIfEPS3_EEvT1_iilPiilS6_bb,comdat
	.globl	_ZN9rocsolver6v33100L18getri_kernel_smallILi63E19rocblas_complex_numIfEPS3_EEvT1_iilPiilS6_bb ; -- Begin function _ZN9rocsolver6v33100L18getri_kernel_smallILi63E19rocblas_complex_numIfEPS3_EEvT1_iilPiilS6_bb
	.p2align	8
	.type	_ZN9rocsolver6v33100L18getri_kernel_smallILi63E19rocblas_complex_numIfEPS3_EEvT1_iilPiilS6_bb,@function
_ZN9rocsolver6v33100L18getri_kernel_smallILi63E19rocblas_complex_numIfEPS3_EEvT1_iilPiilS6_bb: ; @_ZN9rocsolver6v33100L18getri_kernel_smallILi63E19rocblas_complex_numIfEPS3_EEvT1_iilPiilS6_bb
; %bb.0:
	s_add_u32 flat_scratch_lo, s6, s9
	s_addc_u32 flat_scratch_hi, s7, 0
	s_add_u32 s0, s0, s9
	s_addc_u32 s1, s1, 0
	v_cmp_gt_u32_e32 vcc, 63, v0
	s_and_saveexec_b64 s[6:7], vcc
	s_cbranch_execz .LBB62_266
; %bb.1:
	s_load_dword s22, s[4:5], 0x38
	s_load_dwordx4 s[16:19], s[4:5], 0x10
	s_load_dwordx4 s[12:15], s[4:5], 0x28
                                        ; implicit-def: $sgpr10_sgpr11
	s_waitcnt lgkmcnt(0)
	s_bitcmp1_b32 s22, 8
	s_cselect_b64 s[20:21], -1, 0
	s_ashr_i32 s9, s8, 31
	s_bfe_u32 s6, s22, 0x10008
	s_cmp_eq_u32 s6, 0
	s_cbranch_scc1 .LBB62_3
; %bb.2:
	s_load_dword s6, s[4:5], 0x20
	s_mul_i32 s7, s8, s13
	s_mul_hi_u32 s10, s8, s12
	s_mul_i32 s11, s9, s12
	s_add_i32 s10, s10, s7
	s_add_i32 s11, s10, s11
	s_mul_i32 s10, s8, s12
	s_waitcnt lgkmcnt(0)
	s_ashr_i32 s7, s6, 31
	s_lshl_b64 s[10:11], s[10:11], 2
	s_add_u32 s10, s18, s10
	s_addc_u32 s11, s19, s11
	s_lshl_b64 s[6:7], s[6:7], 2
	s_add_u32 s10, s10, s6
	s_addc_u32 s11, s11, s7
.LBB62_3:
	s_load_dwordx4 s[4:7], s[4:5], 0x0
	s_mul_i32 s12, s8, s17
	s_mul_hi_u32 s13, s8, s16
	s_add_i32 s17, s13, s12
	v_lshlrev_b32_e32 v6, 3, v0
	s_waitcnt lgkmcnt(0)
	s_ashr_i32 s13, s6, 31
	s_mov_b32 s12, s6
	s_mul_i32 s6, s9, s16
	s_add_i32 s17, s17, s6
	s_mul_i32 s16, s8, s16
	s_lshl_b64 s[16:17], s[16:17], 3
	s_add_u32 s6, s4, s16
	s_addc_u32 s16, s5, s17
	s_lshl_b64 s[4:5], s[12:13], 3
	s_add_u32 s4, s6, s4
	s_addc_u32 s5, s16, s5
	s_add_i32 s6, s7, s7
	v_add_u32_e32 v2, s6, v0
	v_ashrrev_i32_e32 v3, 31, v2
	v_lshlrev_b64 v[4:5], 3, v[2:3]
	v_add_u32_e32 v2, s7, v2
	v_mov_b32_e32 v1, s5
	v_add_co_u32_e32 v10, vcc, s4, v4
	v_ashrrev_i32_e32 v3, 31, v2
	v_addc_co_u32_e32 v11, vcc, v1, v5, vcc
	v_lshlrev_b64 v[4:5], 3, v[2:3]
	v_add_u32_e32 v2, s7, v2
	v_add_co_u32_e32 v14, vcc, s4, v4
	v_ashrrev_i32_e32 v3, 31, v2
	v_addc_co_u32_e32 v15, vcc, v1, v5, vcc
	v_lshlrev_b64 v[4:5], 3, v[2:3]
	v_add_u32_e32 v2, s7, v2
	;; [unrolled: 5-line block ×52, first 2 shown]
	v_add_co_u32_e32 v116, vcc, s4, v4
	v_ashrrev_i32_e32 v3, 31, v2
	v_addc_co_u32_e32 v117, vcc, v1, v5, vcc
	v_lshlrev_b64 v[4:5], 3, v[2:3]
	v_add_co_u32_e32 v118, vcc, s4, v4
	v_addc_co_u32_e32 v119, vcc, v1, v5, vcc
	v_add_co_u32_e32 v226, vcc, s4, v6
	s_ashr_i32 s13, s7, 31
	s_mov_b32 s12, s7
	v_addc_co_u32_e32 v227, vcc, 0, v1, vcc
	s_lshl_b64 s[12:13], s[12:13], 3
	v_mov_b32_e32 v1, s13
	v_add_co_u32_e32 v228, vcc, s12, v226
	global_load_dwordx2 v[4:5], v6, s[4:5]
	v_addc_co_u32_e32 v229, vcc, v227, v1, vcc
	global_load_dwordx2 v[8:9], v[228:229], off
	v_accvgpr_write_b32 a0, v10
	v_accvgpr_write_b32 a1, v11
	global_load_dwordx2 v[10:11], v[10:11], off
	v_accvgpr_write_b32 a2, v14
	v_add_u32_e32 v2, s7, v2
	v_accvgpr_write_b32 a3, v15
	global_load_dwordx2 v[14:15], v[14:15], off
	v_ashrrev_i32_e32 v3, 31, v2
	v_lshlrev_b64 v[12:13], 3, v[2:3]
	v_mov_b32_e32 v1, s5
	v_add_co_u32_e32 v120, vcc, s4, v12
	v_addc_co_u32_e32 v121, vcc, v1, v13, vcc
	global_load_dwordx2 v[12:13], v[16:17], off
	v_accvgpr_write_b32 a4, v16
	v_accvgpr_write_b32 a5, v17
	global_load_dwordx2 v[16:17], v[18:19], off
	v_accvgpr_write_b32 a8, v20
	v_add_u32_e32 v2, s7, v2
	v_accvgpr_write_b32 a9, v21
	global_load_dwordx2 v[20:21], v[20:21], off
	v_ashrrev_i32_e32 v3, 31, v2
	v_accvgpr_write_b32 a6, v18
	v_accvgpr_write_b32 a12, v24
	v_accvgpr_write_b32 a18, v30
	v_accvgpr_write_b32 a7, v19
	v_accvgpr_write_b32 a13, v25
	global_load_dwordx2 v[24:25], v[24:25], off
	v_accvgpr_write_b32 a19, v31
	global_load_dwordx2 v[30:31], v[30:31], off
	v_lshlrev_b64 v[18:19], 3, v[2:3]
	v_add_co_u32_e32 v122, vcc, s4, v18
	v_addc_co_u32_e32 v123, vcc, v1, v19, vcc
	global_load_dwordx2 v[18:19], v[22:23], off
	v_accvgpr_write_b32 a14, v26
	v_add_u32_e32 v2, s7, v2
	v_accvgpr_write_b32 a15, v27
	global_load_dwordx2 v[26:27], v[26:27], off
	v_accvgpr_write_b32 a10, v22
	v_ashrrev_i32_e32 v3, 31, v2
	v_accvgpr_write_b32 a24, v36
	v_accvgpr_write_b32 a11, v23
	;; [unrolled: 1-line block ×3, first 2 shown]
	global_load_dwordx2 v[36:37], v[36:37], off
	v_lshlrev_b64 v[22:23], 3, v[2:3]
	v_add_co_u32_e32 v222, vcc, s4, v22
	v_addc_co_u32_e32 v223, vcc, v1, v23, vcc
	global_load_dwordx2 v[22:23], v[28:29], off
	v_add_u32_e32 v2, s7, v2
	v_ashrrev_i32_e32 v3, 31, v2
	v_accvgpr_write_b32 a16, v28
	v_accvgpr_write_b32 a28, v40
	;; [unrolled: 1-line block ×4, first 2 shown]
	global_load_dwordx2 v[40:41], v[40:41], off
	v_lshlrev_b64 v[28:29], 3, v[2:3]
	v_add_co_u32_e32 v224, vcc, s4, v28
	v_addc_co_u32_e32 v225, vcc, v1, v29, vcc
	global_load_dwordx2 v[28:29], v[32:33], off
	v_accvgpr_write_b32 a20, v32
	v_accvgpr_write_b32 a30, v42
	;; [unrolled: 1-line block ×4, first 2 shown]
	global_load_dwordx2 v[42:43], v[42:43], off
	v_add_u32_e32 v2, s7, v2
	global_load_dwordx2 v[32:33], v[34:35], off
	v_ashrrev_i32_e32 v3, 31, v2
	v_accvgpr_write_b32 a22, v34
	v_accvgpr_write_b32 a23, v35
	v_lshlrev_b64 v[34:35], 3, v[2:3]
	v_add_co_u32_e32 v230, vcc, s4, v34
	v_addc_co_u32_e32 v231, vcc, v1, v35, vcc
	global_load_dwordx2 v[34:35], v[38:39], off
	v_add_u32_e32 v2, s7, v2
	v_accvgpr_write_b32 a26, v38
	v_ashrrev_i32_e32 v3, 31, v2
	v_accvgpr_write_b32 a27, v39
	v_lshlrev_b64 v[38:39], 3, v[2:3]
	v_add_co_u32_e32 v232, vcc, s4, v38
	v_addc_co_u32_e32 v233, vcc, v1, v39, vcc
	global_load_dwordx2 v[38:39], v[44:45], off
	v_accvgpr_write_b32 a32, v44
	v_accvgpr_write_b32 a33, v45
	global_load_dwordx2 v[44:45], v[46:47], off
	v_add_u32_e32 v2, s7, v2
	v_ashrrev_i32_e32 v3, 31, v2
	v_lshlrev_b64 v[2:3], 3, v[2:3]
	v_accvgpr_write_b32 a34, v46
	v_add_co_u32_e32 v234, vcc, s4, v2
	v_accvgpr_write_b32 a35, v47
	v_addc_co_u32_e32 v235, vcc, v1, v3, vcc
	global_load_dwordx2 v[2:3], v[48:49], off
	global_load_dwordx2 v[46:47], v[234:235], off
	s_waitcnt vmcnt(21)
	buffer_store_dword v5, off, s[0:3], 0 offset:4
	buffer_store_dword v4, off, s[0:3], 0
	global_load_dwordx2 v[4:5], v[50:51], off
	s_waitcnt vmcnt(23)
	buffer_store_dword v9, off, s[0:3], 0 offset:12
	buffer_store_dword v8, off, s[0:3], 0 offset:8
	global_load_dwordx2 v[8:9], v[52:53], off
	v_accvgpr_write_b32 a36, v48
	v_accvgpr_write_b32 a37, v49
	global_load_dwordx2 v[48:49], v[54:55], off
	v_accvgpr_write_b32 a38, v50
	s_waitcnt vmcnt(26)
	buffer_store_dword v11, off, s[0:3], 0 offset:20
	buffer_store_dword v10, off, s[0:3], 0 offset:16
	global_load_dwordx2 v[10:11], v[56:57], off
	v_accvgpr_write_b32 a39, v51
	global_load_dwordx2 v[50:51], v[58:59], off
	v_accvgpr_write_b32 a40, v52
	s_waitcnt vmcnt(29)
	buffer_store_dword v15, off, s[0:3], 0 offset:28
	buffer_store_dword v14, off, s[0:3], 0 offset:24
	global_load_dwordx2 v[14:15], v[60:61], off
	;; [unrolled: 7-line block ×6, first 2 shown]
	v_accvgpr_write_b32 a49, v61
	global_load_dwordx2 v[60:61], v[78:79], off
	v_accvgpr_write_b32 a50, v62
	buffer_store_dword v25, off, s[0:3], 0 offset:68
	buffer_store_dword v24, off, s[0:3], 0 offset:64
	global_load_dwordx2 v[24:25], v[80:81], off
	v_accvgpr_write_b32 a51, v63
	global_load_dwordx2 v[62:63], v[82:83], off
	v_accvgpr_write_b32 a52, v64
	s_waitcnt vmcnt(46)
	buffer_store_dword v26, off, s[0:3], 0 offset:72
	buffer_store_dword v27, off, s[0:3], 0 offset:76
	global_load_dwordx2 v[26:27], v[84:85], off
	v_accvgpr_write_b32 a53, v65
	global_load_dwordx2 v[64:65], v[86:87], off
	v_accvgpr_write_b32 a54, v66
	s_waitcnt vmcnt(48)
	buffer_store_dword v22, off, s[0:3], 0 offset:80
	buffer_store_dword v23, off, s[0:3], 0 offset:84
	global_load_dwordx2 v[22:23], v[88:89], off
	v_accvgpr_write_b32 a55, v67
	global_load_dwordx2 v[66:67], v[90:91], off
	v_accvgpr_write_b32 a56, v68
	buffer_store_dword v30, off, s[0:3], 0 offset:88
	buffer_store_dword v31, off, s[0:3], 0 offset:92
	global_load_dwordx2 v[30:31], v[92:93], off
	v_accvgpr_write_b32 a57, v69
	global_load_dwordx2 v[68:69], v[94:95], off
	v_accvgpr_write_b32 a58, v70
	s_waitcnt vmcnt(54)
	buffer_store_dword v28, off, s[0:3], 0 offset:96
	buffer_store_dword v29, off, s[0:3], 0 offset:100
	global_load_dwordx2 v[28:29], v[96:97], off
	v_accvgpr_write_b32 a59, v71
	global_load_dwordx2 v[70:71], v[98:99], off
	v_accvgpr_write_b32 a60, v72
	s_waitcnt vmcnt(56)
	buffer_store_dword v32, off, s[0:3], 0 offset:104
	buffer_store_dword v33, off, s[0:3], 0 offset:108
	global_load_dwordx2 v[32:33], v[100:101], off
	v_accvgpr_write_b32 a61, v73
	global_load_dwordx2 v[72:73], v[102:103], off
	v_accvgpr_write_b32 a62, v74
	buffer_store_dword v37, off, s[0:3], 0 offset:116
	buffer_store_dword v36, off, s[0:3], 0 offset:112
	global_load_dwordx2 v[36:37], v[104:105], off
	v_accvgpr_write_b32 a63, v75
	global_load_dwordx2 v[74:75], v[106:107], off
	v_accvgpr_write_b32 a64, v76
	s_waitcnt vmcnt(62)
	buffer_store_dword v34, off, s[0:3], 0 offset:120
	buffer_store_dword v35, off, s[0:3], 0 offset:124
	global_load_dwordx2 v[34:35], v[108:109], off
	v_accvgpr_write_b32 a65, v77
	global_load_dwordx2 v[76:77], v[110:111], off
	v_accvgpr_write_b32 a66, v78
	buffer_store_dword v40, off, s[0:3], 0 offset:128
	buffer_store_dword v41, off, s[0:3], 0 offset:132
	global_load_dwordx2 v[40:41], v[112:113], off
	v_accvgpr_write_b32 a67, v79
	global_load_dwordx2 v[78:79], v[114:115], off
	v_accvgpr_write_b32 a68, v80
	;; [unrolled: 6-line block ×4, first 2 shown]
	s_waitcnt vmcnt(62)
	buffer_store_dword v45, off, s[0:3], 0 offset:156
	buffer_store_dword v44, off, s[0:3], 0 offset:152
	global_load_dwordx2 v[44:45], v[222:223], off
	v_accvgpr_write_b32 a73, v85
	global_load_dwordx2 v[84:85], v[224:225], off
	v_accvgpr_write_b32 a74, v86
	buffer_store_dword v3, off, s[0:3], 0 offset:164
	buffer_store_dword v2, off, s[0:3], 0 offset:160
	global_load_dwordx2 v[2:3], v[230:231], off
	v_accvgpr_write_b32 a76, v88
	v_accvgpr_write_b32 a78, v90
	;; [unrolled: 1-line block ×19, first 2 shown]
	global_load_dwordx2 v[86:87], v[232:233], off
	v_accvgpr_write_b32 a77, v89
	v_accvgpr_write_b32 a79, v91
	;; [unrolled: 1-line block ×18, first 2 shown]
	s_bitcmp0_b32 s22, 0
	s_mov_b64 s[6:7], -1
	buffer_store_dword v4, off, s[0:3], 0 offset:168
	buffer_store_dword v5, off, s[0:3], 0 offset:172
	buffer_store_dword v8, off, s[0:3], 0 offset:176
	buffer_store_dword v9, off, s[0:3], 0 offset:180
	buffer_store_dword v48, off, s[0:3], 0 offset:184
	buffer_store_dword v49, off, s[0:3], 0 offset:188
	buffer_store_dword v10, off, s[0:3], 0 offset:192
	buffer_store_dword v11, off, s[0:3], 0 offset:196
	buffer_store_dword v51, off, s[0:3], 0 offset:204
	buffer_store_dword v50, off, s[0:3], 0 offset:200
	s_waitcnt vmcnt(62)
	buffer_store_dword v15, off, s[0:3], 0 offset:212
	buffer_store_dword v14, off, s[0:3], 0 offset:208
	buffer_store_dword v52, off, s[0:3], 0 offset:216
	buffer_store_dword v53, off, s[0:3], 0 offset:220
	buffer_store_dword v12, off, s[0:3], 0 offset:224
	buffer_store_dword v13, off, s[0:3], 0 offset:228
	buffer_store_dword v54, off, s[0:3], 0 offset:232
	buffer_store_dword v55, off, s[0:3], 0 offset:236
	buffer_store_dword v16, off, s[0:3], 0 offset:240
	buffer_store_dword v17, off, s[0:3], 0 offset:244
	buffer_store_dword v57, off, s[0:3], 0 offset:252
	buffer_store_dword v56, off, s[0:3], 0 offset:248
	buffer_store_dword v21, off, s[0:3], 0 offset:260
	buffer_store_dword v20, off, s[0:3], 0 offset:256
	buffer_store_dword v58, off, s[0:3], 0 offset:264
	buffer_store_dword v59, off, s[0:3], 0 offset:268
	buffer_store_dword v18, off, s[0:3], 0 offset:272
	buffer_store_dword v19, off, s[0:3], 0 offset:276
	buffer_store_dword v60, off, s[0:3], 0 offset:280
	buffer_store_dword v61, off, s[0:3], 0 offset:284
	s_waitcnt vmcnt(62)
	buffer_store_dword v24, off, s[0:3], 0 offset:288
	buffer_store_dword v25, off, s[0:3], 0 offset:292
	buffer_store_dword v63, off, s[0:3], 0 offset:300
	buffer_store_dword v62, off, s[0:3], 0 offset:296
	buffer_store_dword v27, off, s[0:3], 0 offset:308
	buffer_store_dword v26, off, s[0:3], 0 offset:304
	buffer_store_dword v64, off, s[0:3], 0 offset:312
	buffer_store_dword v65, off, s[0:3], 0 offset:316
	buffer_store_dword v22, off, s[0:3], 0 offset:320
	buffer_store_dword v23, off, s[0:3], 0 offset:324
	buffer_store_dword v66, off, s[0:3], 0 offset:328
	buffer_store_dword v67, off, s[0:3], 0 offset:332
	buffer_store_dword v30, off, s[0:3], 0 offset:336
	buffer_store_dword v31, off, s[0:3], 0 offset:340
	buffer_store_dword v69, off, s[0:3], 0 offset:348
	buffer_store_dword v68, off, s[0:3], 0 offset:344
	buffer_store_dword v29, off, s[0:3], 0 offset:356
	buffer_store_dword v28, off, s[0:3], 0 offset:352
	buffer_store_dword v70, off, s[0:3], 0 offset:360
	buffer_store_dword v71, off, s[0:3], 0 offset:364
	s_waitcnt vmcnt(62)
	buffer_store_dword v32, off, s[0:3], 0 offset:368
	buffer_store_dword v33, off, s[0:3], 0 offset:372
	buffer_store_dword v72, off, s[0:3], 0 offset:376
	buffer_store_dword v73, off, s[0:3], 0 offset:380
	buffer_store_dword v36, off, s[0:3], 0 offset:384
	buffer_store_dword v37, off, s[0:3], 0 offset:388
	buffer_store_dword v75, off, s[0:3], 0 offset:396
	buffer_store_dword v74, off, s[0:3], 0 offset:392
	buffer_store_dword v35, off, s[0:3], 0 offset:404
	buffer_store_dword v34, off, s[0:3], 0 offset:400
	buffer_store_dword v76, off, s[0:3], 0 offset:408
	buffer_store_dword v77, off, s[0:3], 0 offset:412
	buffer_store_dword v40, off, s[0:3], 0 offset:416
	buffer_store_dword v41, off, s[0:3], 0 offset:420
	buffer_store_dword v78, off, s[0:3], 0 offset:424
	buffer_store_dword v79, off, s[0:3], 0 offset:428
	buffer_store_dword v42, off, s[0:3], 0 offset:432
	buffer_store_dword v43, off, s[0:3], 0 offset:436
	buffer_store_dword v81, off, s[0:3], 0 offset:444
	buffer_store_dword v80, off, s[0:3], 0 offset:440
	s_waitcnt vmcnt(62)
	buffer_store_dword v39, off, s[0:3], 0 offset:452
	buffer_store_dword v38, off, s[0:3], 0 offset:448
	buffer_store_dword v82, off, s[0:3], 0 offset:456
	buffer_store_dword v83, off, s[0:3], 0 offset:460
	buffer_store_dword v44, off, s[0:3], 0 offset:464
	buffer_store_dword v45, off, s[0:3], 0 offset:468
	buffer_store_dword v84, off, s[0:3], 0 offset:472
	buffer_store_dword v85, off, s[0:3], 0 offset:476
	buffer_store_dword v2, off, s[0:3], 0 offset:480
	buffer_store_dword v3, off, s[0:3], 0 offset:484
	buffer_store_dword v87, off, s[0:3], 0 offset:492
	buffer_store_dword v86, off, s[0:3], 0 offset:488
	;; [unrolled: 1-line block ×4, first 2 shown]
	s_cbranch_scc1 .LBB62_264
; %bb.4:
	v_cmp_eq_u32_e64 s[4:5], 0, v0
	s_and_saveexec_b64 s[6:7], s[4:5]
	s_cbranch_execz .LBB62_6
; %bb.5:
	v_mov_b32_e32 v1, 0
	ds_write_b32 v1, v1 offset:504
.LBB62_6:
	s_or_b64 exec, exec, s[6:7]
	v_mov_b32_e32 v1, 0
	v_lshl_add_u32 v7, v0, 3, v1
	s_waitcnt lgkmcnt(0)
	; wave barrier
	s_waitcnt lgkmcnt(0)
	buffer_load_dword v1, v7, s[0:3], 0 offen
	buffer_load_dword v2, v7, s[0:3], 0 offen offset:4
	s_waitcnt vmcnt(1)
	v_cmp_eq_f32_e32 vcc, 0, v1
	s_waitcnt vmcnt(0)
	v_cmp_eq_f32_e64 s[6:7], 0, v2
	s_and_b64 s[6:7], vcc, s[6:7]
	s_and_saveexec_b64 s[12:13], s[6:7]
	s_cbranch_execz .LBB62_10
; %bb.7:
	v_mov_b32_e32 v1, 0
	ds_read_b32 v3, v1 offset:504
	v_add_u32_e32 v2, 1, v0
	s_waitcnt lgkmcnt(0)
	v_readfirstlane_b32 s6, v3
	s_cmp_eq_u32 s6, 0
	s_cselect_b64 s[16:17], -1, 0
	v_cmp_gt_i32_e32 vcc, s6, v2
	s_or_b64 s[16:17], s[16:17], vcc
	s_and_b64 exec, exec, s[16:17]
	s_cbranch_execz .LBB62_10
; %bb.8:
	s_mov_b64 s[16:17], 0
	v_mov_b32_e32 v3, s6
.LBB62_9:                               ; =>This Inner Loop Header: Depth=1
	ds_cmpst_rtn_b32 v3, v1, v3, v2 offset:504
	s_waitcnt lgkmcnt(0)
	v_cmp_ne_u32_e32 vcc, 0, v3
	v_cmp_le_i32_e64 s[6:7], v3, v2
	s_and_b64 s[6:7], vcc, s[6:7]
	s_and_b64 s[6:7], exec, s[6:7]
	s_or_b64 s[16:17], s[6:7], s[16:17]
	s_andn2_b64 exec, exec, s[16:17]
	s_cbranch_execnz .LBB62_9
.LBB62_10:
	s_or_b64 exec, exec, s[12:13]
	v_mov_b32_e32 v2, 0
	s_waitcnt lgkmcnt(0)
	; wave barrier
	ds_read_b32 v1, v2 offset:504
	s_and_saveexec_b64 s[6:7], s[4:5]
	s_cbranch_execz .LBB62_12
; %bb.11:
	s_lshl_b64 s[12:13], s[8:9], 2
	s_add_u32 s12, s14, s12
	s_addc_u32 s13, s15, s13
	s_waitcnt lgkmcnt(0)
	global_store_dword v2, v1, s[12:13]
.LBB62_12:
	s_or_b64 exec, exec, s[6:7]
	s_waitcnt lgkmcnt(0)
	v_cmp_ne_u32_e32 vcc, 0, v1
	s_mov_b64 s[6:7], 0
	s_cbranch_vccnz .LBB62_264
; %bb.13:
	buffer_load_dword v8, v7, s[0:3], 0 offen offset:4
	buffer_load_dword v3, v7, s[0:3], 0 offen
	s_waitcnt vmcnt(1)
	v_cmp_gt_f32_e32 vcc, 0, v8
	v_cndmask_b32_e64 v1, v8, -v8, vcc
	s_waitcnt vmcnt(0)
	v_cmp_gt_f32_e32 vcc, 0, v3
	v_cndmask_b32_e64 v2, v3, -v3, vcc
	v_cmp_ngt_f32_e32 vcc, v2, v1
                                        ; implicit-def: $vgpr1
                                        ; implicit-def: $vgpr2
	s_and_saveexec_b64 s[6:7], vcc
	s_xor_b64 s[6:7], exec, s[6:7]
                                        ; implicit-def: $vgpr4_vgpr5
	s_cbranch_execz .LBB62_15
; %bb.14:
	v_div_scale_f32 v1, s[12:13], v8, v8, v3
	v_rcp_f32_e32 v2, v1
	v_div_scale_f32 v4, vcc, v3, v8, v3
	v_fma_f32 v5, -v1, v2, 1.0
	v_fmac_f32_e32 v2, v5, v2
	v_mul_f32_e32 v5, v4, v2
	v_fma_f32 v9, -v1, v5, v4
	v_fmac_f32_e32 v5, v9, v2
	v_fma_f32 v1, -v1, v5, v4
	v_div_fmas_f32 v1, v1, v2, v5
	v_div_fixup_f32 v2, v1, v8, v3
	v_fmac_f32_e32 v8, v3, v2
	v_div_scale_f32 v1, s[12:13], v8, v8, -1.0
	v_rcp_f32_e32 v3, v1
	v_fma_f32 v4, -v1, v3, 1.0
	v_fmac_f32_e32 v3, v4, v3
	v_div_scale_f32 v4, vcc, -1.0, v8, -1.0
	v_mul_f32_e32 v5, v4, v3
	v_fma_f32 v9, -v1, v5, v4
	v_fmac_f32_e32 v5, v9, v3
	v_fma_f32 v1, -v1, v5, v4
	v_div_fmas_f32 v1, v1, v3, v5
	v_div_fixup_f32 v1, v1, v8, -1.0
	v_mul_f32_e32 v2, v2, v1
	v_xor_b32_e32 v4, 0x80000000, v2
                                        ; implicit-def: $vgpr3
                                        ; implicit-def: $vgpr8
.LBB62_15:
	s_andn2_saveexec_b64 s[6:7], s[6:7]
	s_cbranch_execz .LBB62_17
; %bb.16:
	v_div_scale_f32 v1, s[12:13], v3, v3, v8
	v_rcp_f32_e32 v2, v1
	v_div_scale_f32 v4, vcc, v8, v3, v8
	v_fma_f32 v5, -v1, v2, 1.0
	v_fmac_f32_e32 v2, v5, v2
	v_mul_f32_e32 v5, v4, v2
	v_fma_f32 v9, -v1, v5, v4
	v_fmac_f32_e32 v5, v9, v2
	v_fma_f32 v1, -v1, v5, v4
	v_div_fmas_f32 v1, v1, v2, v5
	v_div_fixup_f32 v1, v1, v3, v8
	v_fmac_f32_e32 v3, v8, v1
	v_div_scale_f32 v2, s[12:13], v3, v3, 1.0
	v_rcp_f32_e32 v4, v2
	v_fma_f32 v5, -v2, v4, 1.0
	v_fmac_f32_e32 v4, v5, v4
	v_div_scale_f32 v5, vcc, 1.0, v3, 1.0
	v_mul_f32_e32 v8, v5, v4
	v_fma_f32 v9, -v2, v8, v5
	v_fmac_f32_e32 v8, v9, v4
	v_fma_f32 v2, -v2, v8, v5
	v_div_fmas_f32 v2, v2, v4, v8
	v_div_fixup_f32 v4, v2, v3, 1.0
	v_xor_b32_e32 v2, 0x80000000, v4
	v_mul_f32_e64 v1, v1, -v4
.LBB62_17:
	s_or_b64 exec, exec, s[6:7]
	buffer_store_dword v1, v7, s[0:3], 0 offen offset:4
	buffer_store_dword v4, v7, s[0:3], 0 offen
	buffer_load_dword v5, off, s[0:3], 0 offset:12
	s_nop 0
	buffer_load_dword v4, off, s[0:3], 0 offset:8
	v_xor_b32_e32 v3, 0x80000000, v1
	v_or_b32_e32 v1, 0x200, v6
	s_waitcnt vmcnt(0)
	ds_write2st64_b64 v6, v[2:3], v[4:5] offset1:1
	s_waitcnt lgkmcnt(0)
	; wave barrier
	s_waitcnt lgkmcnt(0)
	s_and_saveexec_b64 s[6:7], s[4:5]
	s_cbranch_execz .LBB62_19
; %bb.18:
	buffer_load_dword v8, v7, s[0:3], 0 offen offset:4
	buffer_load_dword v9, v7, s[0:3], 0 offen
	ds_read_b64 v[2:3], v1
	v_mov_b32_e32 v4, 0
	ds_read_b64 v[4:5], v4 offset:8
	s_waitcnt vmcnt(1) lgkmcnt(1)
	v_mul_f32_e32 v10, v3, v8
	v_mul_f32_e32 v8, v2, v8
	s_waitcnt vmcnt(0)
	v_fmac_f32_e32 v8, v3, v9
	v_fma_f32 v2, v2, v9, -v10
	v_add_f32_e32 v3, 0, v8
	v_add_f32_e32 v2, 0, v2
	s_waitcnt lgkmcnt(0)
	v_mul_f32_e32 v8, v3, v5
	v_mul_f32_e32 v5, v2, v5
	v_fma_f32 v2, v2, v4, -v8
	v_fmac_f32_e32 v5, v3, v4
	buffer_store_dword v2, off, s[0:3], 0 offset:8
	buffer_store_dword v5, off, s[0:3], 0 offset:12
.LBB62_19:
	s_or_b64 exec, exec, s[6:7]
	s_waitcnt lgkmcnt(0)
	; wave barrier
	buffer_load_dword v2, off, s[0:3], 0 offset:16
	buffer_load_dword v3, off, s[0:3], 0 offset:20
	v_cmp_gt_u32_e32 vcc, 2, v0
	s_waitcnt vmcnt(0)
	ds_write_b64 v1, v[2:3]
	s_waitcnt lgkmcnt(0)
	; wave barrier
	s_waitcnt lgkmcnt(0)
	s_and_saveexec_b64 s[6:7], vcc
	s_cbranch_execz .LBB62_23
; %bb.20:
	buffer_load_dword v4, v7, s[0:3], 0 offen offset:4
	buffer_load_dword v5, v7, s[0:3], 0 offen
	ds_read_b64 v[2:3], v1
	s_waitcnt vmcnt(1) lgkmcnt(0)
	v_mul_f32_e32 v7, v3, v4
	v_mul_f32_e32 v4, v2, v4
	s_waitcnt vmcnt(0)
	v_fma_f32 v2, v2, v5, -v7
	v_fmac_f32_e32 v4, v3, v5
	v_add_f32_e32 v3, 0, v2
	v_add_f32_e32 v2, 0, v4
	s_and_saveexec_b64 s[12:13], s[4:5]
	s_cbranch_execz .LBB62_22
; %bb.21:
	buffer_load_dword v7, off, s[0:3], 0 offset:12
	buffer_load_dword v8, off, s[0:3], 0 offset:8
	v_mov_b32_e32 v4, 0
	ds_read_b64 v[4:5], v4 offset:520
	s_waitcnt vmcnt(1) lgkmcnt(0)
	v_mul_f32_e32 v9, v4, v7
	v_mul_f32_e32 v7, v5, v7
	s_waitcnt vmcnt(0)
	v_fmac_f32_e32 v9, v5, v8
	v_fma_f32 v4, v4, v8, -v7
	v_add_f32_e32 v2, v2, v9
	v_add_f32_e32 v3, v3, v4
.LBB62_22:
	s_or_b64 exec, exec, s[12:13]
	v_mov_b32_e32 v4, 0
	ds_read_b64 v[4:5], v4 offset:16
	s_waitcnt lgkmcnt(0)
	v_mul_f32_e32 v7, v2, v5
	v_mul_f32_e32 v5, v3, v5
	v_fma_f32 v3, v3, v4, -v7
	v_fmac_f32_e32 v5, v2, v4
	buffer_store_dword v3, off, s[0:3], 0 offset:16
	buffer_store_dword v5, off, s[0:3], 0 offset:20
.LBB62_23:
	s_or_b64 exec, exec, s[6:7]
	s_waitcnt lgkmcnt(0)
	; wave barrier
	buffer_load_dword v2, off, s[0:3], 0 offset:24
	buffer_load_dword v3, off, s[0:3], 0 offset:28
	v_cmp_gt_u32_e32 vcc, 3, v0
	s_waitcnt vmcnt(0)
	ds_write_b64 v1, v[2:3]
	v_add_u32_e32 v2, -1, v0
	s_waitcnt lgkmcnt(0)
	; wave barrier
	s_waitcnt lgkmcnt(0)
	s_and_saveexec_b64 s[4:5], vcc
	s_cbranch_execz .LBB62_27
; %bb.24:
	v_add_u32_e32 v4, -1, v0
	v_or_b32_e32 v5, 0x200, v6
	v_add_u32_e32 v7, 0, v6
	s_mov_b64 s[6:7], 0
	v_mov_b32_e32 v3, 0
	v_mov_b32_e32 v8, 0
.LBB62_25:                              ; =>This Inner Loop Header: Depth=1
	buffer_load_dword v9, v7, s[0:3], 0 offen offset:4
	buffer_load_dword v12, v7, s[0:3], 0 offen
	ds_read_b64 v[10:11], v5
	v_add_u32_e32 v4, 1, v4
	v_cmp_lt_u32_e32 vcc, 1, v4
	v_add_u32_e32 v5, 8, v5
	v_add_u32_e32 v7, 8, v7
	s_or_b64 s[6:7], vcc, s[6:7]
	s_waitcnt vmcnt(1) lgkmcnt(0)
	v_mul_f32_e32 v13, v11, v9
	v_mul_f32_e32 v9, v10, v9
	s_waitcnt vmcnt(0)
	v_fma_f32 v10, v10, v12, -v13
	v_fmac_f32_e32 v9, v11, v12
	v_add_f32_e32 v8, v8, v10
	v_add_f32_e32 v3, v3, v9
	s_andn2_b64 exec, exec, s[6:7]
	s_cbranch_execnz .LBB62_25
; %bb.26:
	s_or_b64 exec, exec, s[6:7]
	v_mov_b32_e32 v4, 0
	ds_read_b64 v[4:5], v4 offset:24
	s_waitcnt lgkmcnt(0)
	v_mul_f32_e32 v7, v3, v5
	v_mul_f32_e32 v5, v8, v5
	v_fma_f32 v7, v8, v4, -v7
	v_fmac_f32_e32 v5, v3, v4
	buffer_store_dword v7, off, s[0:3], 0 offset:24
	buffer_store_dword v5, off, s[0:3], 0 offset:28
.LBB62_27:
	s_or_b64 exec, exec, s[4:5]
	s_waitcnt lgkmcnt(0)
	; wave barrier
	buffer_load_dword v4, off, s[0:3], 0 offset:32
	buffer_load_dword v5, off, s[0:3], 0 offset:36
	v_cmp_gt_u32_e32 vcc, 4, v0
	s_waitcnt vmcnt(0)
	ds_write_b64 v1, v[4:5]
	s_waitcnt lgkmcnt(0)
	; wave barrier
	s_waitcnt lgkmcnt(0)
	s_and_saveexec_b64 s[4:5], vcc
	s_cbranch_execz .LBB62_31
; %bb.28:
	v_add_u32_e32 v4, -1, v0
	v_or_b32_e32 v5, 0x200, v6
	v_add_u32_e32 v7, 0, v6
	s_mov_b64 s[6:7], 0
	v_mov_b32_e32 v3, 0
	v_mov_b32_e32 v8, 0
.LBB62_29:                              ; =>This Inner Loop Header: Depth=1
	buffer_load_dword v9, v7, s[0:3], 0 offen offset:4
	buffer_load_dword v12, v7, s[0:3], 0 offen
	ds_read_b64 v[10:11], v5
	v_add_u32_e32 v4, 1, v4
	v_cmp_lt_u32_e32 vcc, 2, v4
	v_add_u32_e32 v5, 8, v5
	v_add_u32_e32 v7, 8, v7
	s_or_b64 s[6:7], vcc, s[6:7]
	s_waitcnt vmcnt(1) lgkmcnt(0)
	v_mul_f32_e32 v13, v11, v9
	v_mul_f32_e32 v9, v10, v9
	s_waitcnt vmcnt(0)
	v_fma_f32 v10, v10, v12, -v13
	v_fmac_f32_e32 v9, v11, v12
	v_add_f32_e32 v8, v8, v10
	v_add_f32_e32 v3, v3, v9
	s_andn2_b64 exec, exec, s[6:7]
	s_cbranch_execnz .LBB62_29
; %bb.30:
	s_or_b64 exec, exec, s[6:7]
	v_mov_b32_e32 v4, 0
	ds_read_b64 v[4:5], v4 offset:32
	s_waitcnt lgkmcnt(0)
	v_mul_f32_e32 v7, v3, v5
	v_mul_f32_e32 v5, v8, v5
	v_fma_f32 v7, v8, v4, -v7
	v_fmac_f32_e32 v5, v3, v4
	buffer_store_dword v7, off, s[0:3], 0 offset:32
	buffer_store_dword v5, off, s[0:3], 0 offset:36
.LBB62_31:
	s_or_b64 exec, exec, s[4:5]
	s_waitcnt lgkmcnt(0)
	; wave barrier
	buffer_load_dword v4, off, s[0:3], 0 offset:40
	buffer_load_dword v5, off, s[0:3], 0 offset:44
	v_cmp_gt_u32_e32 vcc, 5, v0
	s_waitcnt vmcnt(0)
	ds_write_b64 v1, v[4:5]
	;; [unrolled: 51-line block ×19, first 2 shown]
	s_waitcnt lgkmcnt(0)
	; wave barrier
	s_waitcnt lgkmcnt(0)
	s_and_saveexec_b64 s[4:5], vcc
	s_cbranch_execz .LBB62_103
; %bb.100:
	v_add_u32_e32 v4, -1, v0
	v_or_b32_e32 v5, 0x200, v6
	v_add_u32_e32 v7, 0, v6
	s_mov_b64 s[6:7], 0
	v_mov_b32_e32 v3, 0
	v_mov_b32_e32 v8, 0
.LBB62_101:                             ; =>This Inner Loop Header: Depth=1
	buffer_load_dword v9, v7, s[0:3], 0 offen offset:4
	buffer_load_dword v12, v7, s[0:3], 0 offen
	ds_read_b64 v[10:11], v5
	v_add_u32_e32 v4, 1, v4
	v_cmp_lt_u32_e32 vcc, 20, v4
	v_add_u32_e32 v5, 8, v5
	v_add_u32_e32 v7, 8, v7
	s_or_b64 s[6:7], vcc, s[6:7]
	s_waitcnt vmcnt(1) lgkmcnt(0)
	v_mul_f32_e32 v13, v11, v9
	v_mul_f32_e32 v9, v10, v9
	s_waitcnt vmcnt(0)
	v_fma_f32 v10, v10, v12, -v13
	v_fmac_f32_e32 v9, v11, v12
	v_add_f32_e32 v8, v8, v10
	v_add_f32_e32 v3, v3, v9
	s_andn2_b64 exec, exec, s[6:7]
	s_cbranch_execnz .LBB62_101
; %bb.102:
	s_or_b64 exec, exec, s[6:7]
	v_mov_b32_e32 v4, 0
	ds_read_b64 v[4:5], v4 offset:176
	s_waitcnt lgkmcnt(0)
	v_mul_f32_e32 v7, v3, v5
	v_mul_f32_e32 v5, v8, v5
	v_fma_f32 v7, v8, v4, -v7
	v_fmac_f32_e32 v5, v3, v4
	buffer_store_dword v7, off, s[0:3], 0 offset:176
	buffer_store_dword v5, off, s[0:3], 0 offset:180
.LBB62_103:
	s_or_b64 exec, exec, s[4:5]
	s_waitcnt lgkmcnt(0)
	; wave barrier
	buffer_load_dword v4, off, s[0:3], 0 offset:184
	buffer_load_dword v5, off, s[0:3], 0 offset:188
	v_cmp_gt_u32_e32 vcc, 23, v0
	s_waitcnt vmcnt(0)
	ds_write_b64 v1, v[4:5]
	s_waitcnt lgkmcnt(0)
	; wave barrier
	s_waitcnt lgkmcnt(0)
	s_and_saveexec_b64 s[4:5], vcc
	s_cbranch_execz .LBB62_107
; %bb.104:
	v_add_u32_e32 v4, -1, v0
	v_or_b32_e32 v5, 0x200, v6
	v_add_u32_e32 v7, 0, v6
	s_mov_b64 s[6:7], 0
	v_mov_b32_e32 v3, 0
	v_mov_b32_e32 v8, 0
.LBB62_105:                             ; =>This Inner Loop Header: Depth=1
	buffer_load_dword v9, v7, s[0:3], 0 offen offset:4
	buffer_load_dword v12, v7, s[0:3], 0 offen
	ds_read_b64 v[10:11], v5
	v_add_u32_e32 v4, 1, v4
	v_cmp_lt_u32_e32 vcc, 21, v4
	v_add_u32_e32 v5, 8, v5
	v_add_u32_e32 v7, 8, v7
	s_or_b64 s[6:7], vcc, s[6:7]
	s_waitcnt vmcnt(1) lgkmcnt(0)
	v_mul_f32_e32 v13, v11, v9
	v_mul_f32_e32 v9, v10, v9
	s_waitcnt vmcnt(0)
	v_fma_f32 v10, v10, v12, -v13
	v_fmac_f32_e32 v9, v11, v12
	v_add_f32_e32 v8, v8, v10
	v_add_f32_e32 v3, v3, v9
	s_andn2_b64 exec, exec, s[6:7]
	s_cbranch_execnz .LBB62_105
; %bb.106:
	s_or_b64 exec, exec, s[6:7]
	v_mov_b32_e32 v4, 0
	ds_read_b64 v[4:5], v4 offset:184
	s_waitcnt lgkmcnt(0)
	v_mul_f32_e32 v7, v3, v5
	v_mul_f32_e32 v5, v8, v5
	v_fma_f32 v7, v8, v4, -v7
	v_fmac_f32_e32 v5, v3, v4
	buffer_store_dword v7, off, s[0:3], 0 offset:184
	buffer_store_dword v5, off, s[0:3], 0 offset:188
.LBB62_107:
	s_or_b64 exec, exec, s[4:5]
	s_waitcnt lgkmcnt(0)
	; wave barrier
	buffer_load_dword v4, off, s[0:3], 0 offset:192
	buffer_load_dword v5, off, s[0:3], 0 offset:196
	v_cmp_gt_u32_e32 vcc, 24, v0
	s_waitcnt vmcnt(0)
	ds_write_b64 v1, v[4:5]
	;; [unrolled: 51-line block ×39, first 2 shown]
	s_waitcnt lgkmcnt(0)
	; wave barrier
	s_waitcnt lgkmcnt(0)
	s_and_saveexec_b64 s[4:5], vcc
	s_cbranch_execz .LBB62_259
; %bb.256:
	v_add_u32_e32 v4, -1, v0
	v_or_b32_e32 v5, 0x200, v6
	v_add_u32_e32 v7, 0, v6
	s_mov_b64 s[6:7], 0
	v_mov_b32_e32 v3, 0
	v_mov_b32_e32 v8, 0
.LBB62_257:                             ; =>This Inner Loop Header: Depth=1
	buffer_load_dword v9, v7, s[0:3], 0 offen offset:4
	buffer_load_dword v12, v7, s[0:3], 0 offen
	ds_read_b64 v[10:11], v5
	v_add_u32_e32 v4, 1, v4
	v_cmp_lt_u32_e32 vcc, 59, v4
	v_add_u32_e32 v5, 8, v5
	v_add_u32_e32 v7, 8, v7
	s_or_b64 s[6:7], vcc, s[6:7]
	s_waitcnt vmcnt(1) lgkmcnt(0)
	v_mul_f32_e32 v13, v11, v9
	v_mul_f32_e32 v9, v10, v9
	s_waitcnt vmcnt(0)
	v_fma_f32 v10, v10, v12, -v13
	v_fmac_f32_e32 v9, v11, v12
	v_add_f32_e32 v8, v8, v10
	v_add_f32_e32 v3, v3, v9
	s_andn2_b64 exec, exec, s[6:7]
	s_cbranch_execnz .LBB62_257
; %bb.258:
	s_or_b64 exec, exec, s[6:7]
	v_mov_b32_e32 v4, 0
	ds_read_b64 v[4:5], v4 offset:488
	s_waitcnt lgkmcnt(0)
	v_mul_f32_e32 v7, v3, v5
	v_mul_f32_e32 v5, v8, v5
	v_fma_f32 v7, v8, v4, -v7
	v_fmac_f32_e32 v5, v3, v4
	buffer_store_dword v7, off, s[0:3], 0 offset:488
	buffer_store_dword v5, off, s[0:3], 0 offset:492
.LBB62_259:
	s_or_b64 exec, exec, s[4:5]
	s_waitcnt lgkmcnt(0)
	; wave barrier
	buffer_load_dword v4, off, s[0:3], 0 offset:496
	buffer_load_dword v5, off, s[0:3], 0 offset:500
	v_cmp_ne_u32_e32 vcc, 62, v0
	s_waitcnt vmcnt(0)
	ds_write_b64 v1, v[4:5]
	s_waitcnt lgkmcnt(0)
	; wave barrier
	s_waitcnt lgkmcnt(0)
	s_and_saveexec_b64 s[4:5], vcc
	s_cbranch_execz .LBB62_263
; %bb.260:
	v_or_b32_e32 v3, 0x200, v6
	v_add_u32_e32 v4, 0, v6
	s_mov_b64 s[6:7], 0
	v_mov_b32_e32 v1, 0
	v_mov_b32_e32 v5, 0
.LBB62_261:                             ; =>This Inner Loop Header: Depth=1
	buffer_load_dword v8, v4, s[0:3], 0 offen offset:4
	buffer_load_dword v9, v4, s[0:3], 0 offen
	ds_read_b64 v[6:7], v3
	v_add_u32_e32 v2, 1, v2
	v_cmp_lt_u32_e32 vcc, 60, v2
	v_add_u32_e32 v3, 8, v3
	v_add_u32_e32 v4, 8, v4
	s_or_b64 s[6:7], vcc, s[6:7]
	s_waitcnt vmcnt(1) lgkmcnt(0)
	v_mul_f32_e32 v10, v7, v8
	v_mul_f32_e32 v8, v6, v8
	s_waitcnt vmcnt(0)
	v_fma_f32 v6, v6, v9, -v10
	v_fmac_f32_e32 v8, v7, v9
	v_add_f32_e32 v5, v5, v6
	v_add_f32_e32 v1, v1, v8
	s_andn2_b64 exec, exec, s[6:7]
	s_cbranch_execnz .LBB62_261
; %bb.262:
	s_or_b64 exec, exec, s[6:7]
	v_mov_b32_e32 v2, 0
	ds_read_b64 v[2:3], v2 offset:496
	s_waitcnt lgkmcnt(0)
	v_mul_f32_e32 v4, v1, v3
	v_mul_f32_e32 v3, v5, v3
	v_fma_f32 v4, v5, v2, -v4
	v_fmac_f32_e32 v3, v1, v2
	buffer_store_dword v4, off, s[0:3], 0 offset:496
	buffer_store_dword v3, off, s[0:3], 0 offset:500
.LBB62_263:
	s_or_b64 exec, exec, s[4:5]
	s_mov_b64 s[6:7], -1
	s_waitcnt lgkmcnt(0)
	; wave barrier
.LBB62_264:
	s_and_b64 vcc, exec, s[6:7]
	s_cbranch_vccz .LBB62_266
; %bb.265:
	s_lshl_b64 s[4:5], s[8:9], 2
	s_add_u32 s4, s14, s4
	s_addc_u32 s5, s15, s5
	v_mov_b32_e32 v1, 0
	global_load_dword v1, v1, s[4:5]
	s_waitcnt vmcnt(0)
	v_cmp_ne_u32_e32 vcc, 0, v1
	s_cbranch_vccz .LBB62_267
.LBB62_266:
	s_endpgm
.LBB62_267:
	v_mov_b32_e32 v1, 0x200
	v_lshl_or_b32 v217, v0, 3, v1
	v_cmp_eq_u32_e32 vcc, 62, v0
	s_and_saveexec_b64 s[4:5], vcc
	s_cbranch_execz .LBB62_269
; %bb.268:
	buffer_load_dword v2, off, s[0:3], 0 offset:488
	buffer_load_dword v3, off, s[0:3], 0 offset:492
	v_mov_b32_e32 v1, 0
	buffer_store_dword v1, off, s[0:3], 0 offset:488
	buffer_store_dword v1, off, s[0:3], 0 offset:492
	s_waitcnt vmcnt(2)
	ds_write_b64 v217, v[2:3]
.LBB62_269:
	s_or_b64 exec, exec, s[4:5]
	s_waitcnt lgkmcnt(0)
	; wave barrier
	s_waitcnt lgkmcnt(0)
	buffer_load_dword v3, off, s[0:3], 0 offset:500
	buffer_load_dword v2, off, s[0:3], 0 offset:496
	;; [unrolled: 1-line block ×4, first 2 shown]
	v_mov_b32_e32 v1, 0
	ds_read_b64 v[6:7], v1 offset:1008
	v_cmp_lt_u32_e32 vcc, 60, v0
	s_waitcnt vmcnt(3)
	v_mov_b32_e32 v8, v3
	s_waitcnt lgkmcnt(0)
	v_pk_mul_f32 v[8:9], v[6:7], v[8:9] op_sel_hi:[1,0]
	s_waitcnt vmcnt(2)
	v_pk_fma_f32 v[10:11], v[6:7], v[2:3], v[8:9] op_sel:[0,0,1] op_sel_hi:[1,1,0] neg_lo:[0,0,1] neg_hi:[0,0,1]
	v_pk_fma_f32 v[2:3], v[6:7], v[2:3], v[8:9] op_sel:[0,0,1] op_sel_hi:[1,0,0]
	v_mov_b32_e32 v11, v3
	v_pk_add_f32 v[2:3], v[10:11], 0 op_sel_hi:[1,0]
	s_waitcnt vmcnt(0)
	v_pk_add_f32 v[2:3], v[4:5], v[2:3] neg_lo:[0,1] neg_hi:[0,1]
	buffer_store_dword v2, off, s[0:3], 0 offset:488
	buffer_store_dword v3, off, s[0:3], 0 offset:492
	s_and_saveexec_b64 s[4:5], vcc
	s_cbranch_execz .LBB62_271
; %bb.270:
	buffer_load_dword v2, off, s[0:3], 0 offset:480
	buffer_load_dword v3, off, s[0:3], 0 offset:484
	s_waitcnt vmcnt(0)
	ds_write_b64 v217, v[2:3]
	buffer_store_dword v1, off, s[0:3], 0 offset:480
	buffer_store_dword v1, off, s[0:3], 0 offset:484
.LBB62_271:
	s_or_b64 exec, exec, s[4:5]
	s_waitcnt lgkmcnt(0)
	; wave barrier
	s_waitcnt lgkmcnt(0)
	buffer_load_dword v7, off, s[0:3], 0 offset:492
	buffer_load_dword v9, off, s[0:3], 0 offset:500
	;; [unrolled: 1-line block ×6, first 2 shown]
	ds_read2_b64 v[2:5], v1 offset0:125 offset1:126
	v_cmp_lt_u32_e32 vcc, 59, v0
	s_waitcnt vmcnt(5)
	v_mov_b32_e32 v12, v7
	s_waitcnt vmcnt(4)
	v_mov_b32_e32 v14, v9
	s_waitcnt lgkmcnt(0)
	v_pk_mul_f32 v[12:13], v[2:3], v[12:13] op_sel_hi:[1,0]
	v_pk_mul_f32 v[14:15], v[4:5], v[14:15] op_sel_hi:[1,0]
	s_waitcnt vmcnt(3)
	v_pk_fma_f32 v[16:17], v[2:3], v[6:7], v[12:13] op_sel:[0,0,1] op_sel_hi:[1,1,0] neg_lo:[0,0,1] neg_hi:[0,0,1]
	v_pk_fma_f32 v[2:3], v[2:3], v[6:7], v[12:13] op_sel:[0,0,1] op_sel_hi:[1,0,0]
	s_waitcnt vmcnt(2)
	v_pk_fma_f32 v[6:7], v[4:5], v[8:9], v[14:15] op_sel:[0,0,1] op_sel_hi:[1,1,0] neg_lo:[0,0,1] neg_hi:[0,0,1]
	v_pk_fma_f32 v[4:5], v[4:5], v[8:9], v[14:15] op_sel:[0,0,1] op_sel_hi:[1,0,0]
	v_mov_b32_e32 v17, v3
	v_mov_b32_e32 v7, v5
	v_pk_add_f32 v[2:3], v[16:17], 0 op_sel_hi:[1,0]
	v_pk_add_f32 v[2:3], v[2:3], v[6:7]
	s_waitcnt vmcnt(0)
	v_pk_add_f32 v[2:3], v[10:11], v[2:3] neg_lo:[0,1] neg_hi:[0,1]
	buffer_store_dword v2, off, s[0:3], 0 offset:480
	buffer_store_dword v3, off, s[0:3], 0 offset:484
	s_and_saveexec_b64 s[4:5], vcc
	s_cbranch_execz .LBB62_273
; %bb.272:
	buffer_load_dword v2, off, s[0:3], 0 offset:472
	buffer_load_dword v3, off, s[0:3], 0 offset:476
	v_mov_b32_e32 v1, 0
	buffer_store_dword v1, off, s[0:3], 0 offset:472
	buffer_store_dword v1, off, s[0:3], 0 offset:476
	s_waitcnt vmcnt(2)
	ds_write_b64 v217, v[2:3]
.LBB62_273:
	s_or_b64 exec, exec, s[4:5]
	s_waitcnt lgkmcnt(0)
	; wave barrier
	s_waitcnt lgkmcnt(0)
	buffer_load_dword v7, off, s[0:3], 0 offset:484
	buffer_load_dword v9, off, s[0:3], 0 offset:492
	;; [unrolled: 1-line block ×8, first 2 shown]
	v_mov_b32_e32 v1, 0
	ds_read_b128 v[2:5], v1 offset:992
	ds_read_b64 v[14:15], v1 offset:1008
	v_cmp_lt_u32_e32 vcc, 58, v0
	s_waitcnt vmcnt(7)
	v_mov_b32_e32 v16, v7
	s_waitcnt vmcnt(6)
	v_mov_b32_e32 v18, v9
	s_waitcnt lgkmcnt(1)
	v_pk_mul_f32 v[16:17], v[2:3], v[16:17] op_sel_hi:[1,0]
	s_waitcnt vmcnt(5)
	v_mov_b32_e32 v20, v11
	v_pk_mul_f32 v[18:19], v[4:5], v[18:19] op_sel_hi:[1,0]
	s_waitcnt vmcnt(4)
	v_pk_fma_f32 v[22:23], v[2:3], v[6:7], v[16:17] op_sel:[0,0,1] op_sel_hi:[1,1,0] neg_lo:[0,0,1] neg_hi:[0,0,1]
	v_pk_fma_f32 v[2:3], v[2:3], v[6:7], v[16:17] op_sel:[0,0,1] op_sel_hi:[1,0,0]
	s_waitcnt lgkmcnt(0)
	v_pk_mul_f32 v[20:21], v[14:15], v[20:21] op_sel_hi:[1,0]
	s_waitcnt vmcnt(3)
	v_pk_fma_f32 v[6:7], v[4:5], v[8:9], v[18:19] op_sel:[0,0,1] op_sel_hi:[1,1,0] neg_lo:[0,0,1] neg_hi:[0,0,1]
	v_pk_fma_f32 v[4:5], v[4:5], v[8:9], v[18:19] op_sel:[0,0,1] op_sel_hi:[1,0,0]
	v_mov_b32_e32 v23, v3
	s_waitcnt vmcnt(2)
	v_pk_fma_f32 v[8:9], v[14:15], v[10:11], v[20:21] op_sel:[0,0,1] op_sel_hi:[1,1,0] neg_lo:[0,0,1] neg_hi:[0,0,1]
	v_pk_fma_f32 v[10:11], v[14:15], v[10:11], v[20:21] op_sel:[0,0,1] op_sel_hi:[1,0,0]
	v_mov_b32_e32 v7, v5
	v_pk_add_f32 v[2:3], v[22:23], 0 op_sel_hi:[1,0]
	v_mov_b32_e32 v9, v11
	v_pk_add_f32 v[2:3], v[2:3], v[6:7]
	v_pk_add_f32 v[2:3], v[2:3], v[8:9]
	s_waitcnt vmcnt(0)
	v_pk_add_f32 v[2:3], v[12:13], v[2:3] neg_lo:[0,1] neg_hi:[0,1]
	buffer_store_dword v2, off, s[0:3], 0 offset:472
	buffer_store_dword v3, off, s[0:3], 0 offset:476
	s_and_saveexec_b64 s[4:5], vcc
	s_cbranch_execz .LBB62_275
; %bb.274:
	buffer_load_dword v2, off, s[0:3], 0 offset:464
	buffer_load_dword v3, off, s[0:3], 0 offset:468
	s_waitcnt vmcnt(0)
	ds_write_b64 v217, v[2:3]
	buffer_store_dword v1, off, s[0:3], 0 offset:464
	buffer_store_dword v1, off, s[0:3], 0 offset:468
.LBB62_275:
	s_or_b64 exec, exec, s[4:5]
	s_waitcnt lgkmcnt(0)
	; wave barrier
	s_waitcnt lgkmcnt(0)
	buffer_load_dword v11, off, s[0:3], 0 offset:476
	buffer_load_dword v13, off, s[0:3], 0 offset:484
	;; [unrolled: 1-line block ×10, first 2 shown]
	ds_read2_b64 v[2:5], v1 offset0:123 offset1:124
	ds_read2_b64 v[6:9], v1 offset0:125 offset1:126
	v_cmp_lt_u32_e32 vcc, 57, v0
	s_waitcnt vmcnt(9)
	v_mov_b32_e32 v20, v11
	s_waitcnt vmcnt(8)
	v_mov_b32_e32 v22, v13
	s_waitcnt lgkmcnt(1)
	v_pk_mul_f32 v[20:21], v[2:3], v[20:21] op_sel_hi:[1,0]
	s_waitcnt vmcnt(7)
	v_mov_b32_e32 v24, v15
	v_pk_mul_f32 v[22:23], v[4:5], v[22:23] op_sel_hi:[1,0]
	s_waitcnt vmcnt(5)
	v_pk_fma_f32 v[28:29], v[2:3], v[10:11], v[20:21] op_sel:[0,0,1] op_sel_hi:[1,1,0] neg_lo:[0,0,1] neg_hi:[0,0,1]
	v_pk_fma_f32 v[2:3], v[2:3], v[10:11], v[20:21] op_sel:[0,0,1] op_sel_hi:[1,0,0]
	v_mov_b32_e32 v26, v17
	s_waitcnt lgkmcnt(0)
	v_pk_mul_f32 v[24:25], v[6:7], v[24:25] op_sel_hi:[1,0]
	s_waitcnt vmcnt(4)
	v_pk_fma_f32 v[10:11], v[4:5], v[12:13], v[22:23] op_sel:[0,0,1] op_sel_hi:[1,1,0] neg_lo:[0,0,1] neg_hi:[0,0,1]
	v_pk_fma_f32 v[4:5], v[4:5], v[12:13], v[22:23] op_sel:[0,0,1] op_sel_hi:[1,0,0]
	v_mov_b32_e32 v29, v3
	v_pk_mul_f32 v[26:27], v[8:9], v[26:27] op_sel_hi:[1,0]
	s_waitcnt vmcnt(3)
	v_pk_fma_f32 v[12:13], v[6:7], v[14:15], v[24:25] op_sel:[0,0,1] op_sel_hi:[1,1,0] neg_lo:[0,0,1] neg_hi:[0,0,1]
	v_pk_fma_f32 v[6:7], v[6:7], v[14:15], v[24:25] op_sel:[0,0,1] op_sel_hi:[1,0,0]
	v_mov_b32_e32 v11, v5
	v_pk_add_f32 v[2:3], v[28:29], 0 op_sel_hi:[1,0]
	s_waitcnt vmcnt(2)
	v_pk_fma_f32 v[14:15], v[8:9], v[16:17], v[26:27] op_sel:[0,0,1] op_sel_hi:[1,1,0] neg_lo:[0,0,1] neg_hi:[0,0,1]
	v_pk_fma_f32 v[8:9], v[8:9], v[16:17], v[26:27] op_sel:[0,0,1] op_sel_hi:[1,0,0]
	v_mov_b32_e32 v13, v7
	v_pk_add_f32 v[2:3], v[2:3], v[10:11]
	v_mov_b32_e32 v15, v9
	v_pk_add_f32 v[2:3], v[2:3], v[12:13]
	v_pk_add_f32 v[2:3], v[2:3], v[14:15]
	s_waitcnt vmcnt(0)
	v_pk_add_f32 v[2:3], v[18:19], v[2:3] neg_lo:[0,1] neg_hi:[0,1]
	buffer_store_dword v2, off, s[0:3], 0 offset:464
	buffer_store_dword v3, off, s[0:3], 0 offset:468
	s_and_saveexec_b64 s[4:5], vcc
	s_cbranch_execz .LBB62_277
; %bb.276:
	buffer_load_dword v2, off, s[0:3], 0 offset:456
	buffer_load_dword v3, off, s[0:3], 0 offset:460
	v_mov_b32_e32 v1, 0
	buffer_store_dword v1, off, s[0:3], 0 offset:456
	buffer_store_dword v1, off, s[0:3], 0 offset:460
	s_waitcnt vmcnt(2)
	ds_write_b64 v217, v[2:3]
.LBB62_277:
	s_or_b64 exec, exec, s[4:5]
	s_waitcnt lgkmcnt(0)
	; wave barrier
	s_waitcnt lgkmcnt(0)
	buffer_load_dword v11, off, s[0:3], 0 offset:468
	buffer_load_dword v13, off, s[0:3], 0 offset:476
	;; [unrolled: 1-line block ×12, first 2 shown]
	v_mov_b32_e32 v1, 0
	ds_read_b128 v[2:5], v1 offset:976
	ds_read_b128 v[6:9], v1 offset:992
	ds_read_b64 v[22:23], v1 offset:1008
	v_cmp_lt_u32_e32 vcc, 56, v0
	s_waitcnt vmcnt(11)
	v_mov_b32_e32 v24, v11
	s_waitcnt vmcnt(10)
	v_mov_b32_e32 v26, v13
	s_waitcnt lgkmcnt(2)
	v_pk_mul_f32 v[24:25], v[2:3], v[24:25] op_sel_hi:[1,0]
	s_waitcnt vmcnt(9)
	v_mov_b32_e32 v28, v15
	v_pk_mul_f32 v[26:27], v[4:5], v[26:27] op_sel_hi:[1,0]
	s_waitcnt vmcnt(6)
	v_pk_fma_f32 v[34:35], v[2:3], v[10:11], v[24:25] op_sel:[0,0,1] op_sel_hi:[1,1,0] neg_lo:[0,0,1] neg_hi:[0,0,1]
	v_pk_fma_f32 v[2:3], v[2:3], v[10:11], v[24:25] op_sel:[0,0,1] op_sel_hi:[1,0,0]
	v_mov_b32_e32 v30, v17
	s_waitcnt lgkmcnt(1)
	v_pk_mul_f32 v[28:29], v[6:7], v[28:29] op_sel_hi:[1,0]
	s_waitcnt vmcnt(5)
	v_pk_fma_f32 v[10:11], v[4:5], v[12:13], v[26:27] op_sel:[0,0,1] op_sel_hi:[1,1,0] neg_lo:[0,0,1] neg_hi:[0,0,1]
	v_pk_fma_f32 v[4:5], v[4:5], v[12:13], v[26:27] op_sel:[0,0,1] op_sel_hi:[1,0,0]
	v_mov_b32_e32 v35, v3
	v_mov_b32_e32 v32, v19
	v_pk_mul_f32 v[30:31], v[8:9], v[30:31] op_sel_hi:[1,0]
	s_waitcnt vmcnt(4)
	v_pk_fma_f32 v[12:13], v[6:7], v[14:15], v[28:29] op_sel:[0,0,1] op_sel_hi:[1,1,0] neg_lo:[0,0,1] neg_hi:[0,0,1]
	v_pk_fma_f32 v[6:7], v[6:7], v[14:15], v[28:29] op_sel:[0,0,1] op_sel_hi:[1,0,0]
	v_mov_b32_e32 v11, v5
	v_pk_add_f32 v[2:3], v[34:35], 0 op_sel_hi:[1,0]
	s_waitcnt lgkmcnt(0)
	v_pk_mul_f32 v[32:33], v[22:23], v[32:33] op_sel_hi:[1,0]
	s_waitcnt vmcnt(3)
	v_pk_fma_f32 v[14:15], v[8:9], v[16:17], v[30:31] op_sel:[0,0,1] op_sel_hi:[1,1,0] neg_lo:[0,0,1] neg_hi:[0,0,1]
	v_pk_fma_f32 v[8:9], v[8:9], v[16:17], v[30:31] op_sel:[0,0,1] op_sel_hi:[1,0,0]
	v_mov_b32_e32 v13, v7
	v_pk_add_f32 v[2:3], v[2:3], v[10:11]
	s_waitcnt vmcnt(2)
	v_pk_fma_f32 v[16:17], v[22:23], v[18:19], v[32:33] op_sel:[0,0,1] op_sel_hi:[1,1,0] neg_lo:[0,0,1] neg_hi:[0,0,1]
	v_pk_fma_f32 v[18:19], v[22:23], v[18:19], v[32:33] op_sel:[0,0,1] op_sel_hi:[1,0,0]
	v_mov_b32_e32 v15, v9
	v_pk_add_f32 v[2:3], v[2:3], v[12:13]
	v_mov_b32_e32 v17, v19
	v_pk_add_f32 v[2:3], v[2:3], v[14:15]
	v_pk_add_f32 v[2:3], v[2:3], v[16:17]
	s_waitcnt vmcnt(0)
	v_pk_add_f32 v[2:3], v[20:21], v[2:3] neg_lo:[0,1] neg_hi:[0,1]
	buffer_store_dword v2, off, s[0:3], 0 offset:456
	buffer_store_dword v3, off, s[0:3], 0 offset:460
	s_and_saveexec_b64 s[4:5], vcc
	s_cbranch_execz .LBB62_279
; %bb.278:
	buffer_load_dword v2, off, s[0:3], 0 offset:448
	buffer_load_dword v3, off, s[0:3], 0 offset:452
	s_waitcnt vmcnt(0)
	ds_write_b64 v217, v[2:3]
	buffer_store_dword v1, off, s[0:3], 0 offset:448
	buffer_store_dword v1, off, s[0:3], 0 offset:452
.LBB62_279:
	s_or_b64 exec, exec, s[4:5]
	s_waitcnt lgkmcnt(0)
	; wave barrier
	s_waitcnt lgkmcnt(0)
	buffer_load_dword v15, off, s[0:3], 0 offset:460
	buffer_load_dword v17, off, s[0:3], 0 offset:468
	;; [unrolled: 1-line block ×14, first 2 shown]
	ds_read2_b64 v[2:5], v1 offset0:121 offset1:122
	ds_read2_b64 v[6:9], v1 offset0:123 offset1:124
	ds_read2_b64 v[10:13], v1 offset0:125 offset1:126
	v_cmp_lt_u32_e32 vcc, 55, v0
	s_waitcnt vmcnt(13)
	v_mov_b32_e32 v28, v15
	s_waitcnt vmcnt(12)
	v_mov_b32_e32 v30, v17
	s_waitcnt lgkmcnt(2)
	v_pk_mul_f32 v[28:29], v[2:3], v[28:29] op_sel_hi:[1,0]
	s_waitcnt vmcnt(11)
	v_mov_b32_e32 v32, v19
	v_pk_mul_f32 v[30:31], v[4:5], v[30:31] op_sel_hi:[1,0]
	s_waitcnt vmcnt(10)
	v_mov_b32_e32 v34, v21
	s_waitcnt vmcnt(7)
	v_pk_fma_f32 v[40:41], v[2:3], v[14:15], v[28:29] op_sel:[0,0,1] op_sel_hi:[1,1,0] neg_lo:[0,0,1] neg_hi:[0,0,1]
	v_pk_fma_f32 v[2:3], v[2:3], v[14:15], v[28:29] op_sel:[0,0,1] op_sel_hi:[1,0,0]
	s_waitcnt lgkmcnt(1)
	v_pk_mul_f32 v[32:33], v[6:7], v[32:33] op_sel_hi:[1,0]
	s_waitcnt vmcnt(6)
	v_pk_fma_f32 v[14:15], v[4:5], v[16:17], v[30:31] op_sel:[0,0,1] op_sel_hi:[1,1,0] neg_lo:[0,0,1] neg_hi:[0,0,1]
	v_pk_fma_f32 v[4:5], v[4:5], v[16:17], v[30:31] op_sel:[0,0,1] op_sel_hi:[1,0,0]
	v_mov_b32_e32 v41, v3
	v_mov_b32_e32 v36, v23
	v_pk_mul_f32 v[34:35], v[8:9], v[34:35] op_sel_hi:[1,0]
	s_waitcnt vmcnt(5)
	v_pk_fma_f32 v[16:17], v[6:7], v[18:19], v[32:33] op_sel:[0,0,1] op_sel_hi:[1,1,0] neg_lo:[0,0,1] neg_hi:[0,0,1]
	v_pk_fma_f32 v[6:7], v[6:7], v[18:19], v[32:33] op_sel:[0,0,1] op_sel_hi:[1,0,0]
	v_mov_b32_e32 v15, v5
	v_pk_add_f32 v[2:3], v[40:41], 0 op_sel_hi:[1,0]
	v_mov_b32_e32 v38, v25
	s_waitcnt lgkmcnt(0)
	v_pk_mul_f32 v[36:37], v[10:11], v[36:37] op_sel_hi:[1,0]
	s_waitcnt vmcnt(4)
	v_pk_fma_f32 v[18:19], v[8:9], v[20:21], v[34:35] op_sel:[0,0,1] op_sel_hi:[1,1,0] neg_lo:[0,0,1] neg_hi:[0,0,1]
	v_pk_fma_f32 v[8:9], v[8:9], v[20:21], v[34:35] op_sel:[0,0,1] op_sel_hi:[1,0,0]
	v_mov_b32_e32 v17, v7
	v_pk_add_f32 v[2:3], v[2:3], v[14:15]
	v_pk_mul_f32 v[38:39], v[12:13], v[38:39] op_sel_hi:[1,0]
	s_waitcnt vmcnt(3)
	v_pk_fma_f32 v[20:21], v[10:11], v[22:23], v[36:37] op_sel:[0,0,1] op_sel_hi:[1,1,0] neg_lo:[0,0,1] neg_hi:[0,0,1]
	v_pk_fma_f32 v[10:11], v[10:11], v[22:23], v[36:37] op_sel:[0,0,1] op_sel_hi:[1,0,0]
	v_mov_b32_e32 v19, v9
	v_pk_add_f32 v[2:3], v[2:3], v[16:17]
	s_waitcnt vmcnt(2)
	v_pk_fma_f32 v[22:23], v[12:13], v[24:25], v[38:39] op_sel:[0,0,1] op_sel_hi:[1,1,0] neg_lo:[0,0,1] neg_hi:[0,0,1]
	v_pk_fma_f32 v[12:13], v[12:13], v[24:25], v[38:39] op_sel:[0,0,1] op_sel_hi:[1,0,0]
	v_mov_b32_e32 v21, v11
	v_pk_add_f32 v[2:3], v[2:3], v[18:19]
	v_mov_b32_e32 v23, v13
	v_pk_add_f32 v[2:3], v[2:3], v[20:21]
	v_pk_add_f32 v[2:3], v[2:3], v[22:23]
	s_waitcnt vmcnt(0)
	v_pk_add_f32 v[2:3], v[26:27], v[2:3] neg_lo:[0,1] neg_hi:[0,1]
	buffer_store_dword v2, off, s[0:3], 0 offset:448
	buffer_store_dword v3, off, s[0:3], 0 offset:452
	s_and_saveexec_b64 s[4:5], vcc
	s_cbranch_execz .LBB62_281
; %bb.280:
	buffer_load_dword v2, off, s[0:3], 0 offset:440
	buffer_load_dword v3, off, s[0:3], 0 offset:444
	v_mov_b32_e32 v1, 0
	buffer_store_dword v1, off, s[0:3], 0 offset:440
	buffer_store_dword v1, off, s[0:3], 0 offset:444
	s_waitcnt vmcnt(2)
	ds_write_b64 v217, v[2:3]
.LBB62_281:
	s_or_b64 exec, exec, s[4:5]
	s_waitcnt lgkmcnt(0)
	; wave barrier
	s_waitcnt lgkmcnt(0)
	buffer_load_dword v14, off, s[0:3], 0 offset:440
	buffer_load_dword v15, off, s[0:3], 0 offset:444
	;; [unrolled: 1-line block ×16, first 2 shown]
	v_mov_b32_e32 v1, 0
	ds_read_b128 v[2:5], v1 offset:960
	ds_read_b128 v[6:9], v1 offset:976
	;; [unrolled: 1-line block ×3, first 2 shown]
	ds_read_b64 v[30:31], v1 offset:1008
	v_cmp_lt_u32_e32 vcc, 54, v0
	s_waitcnt vmcnt(12)
	v_mov_b32_e32 v32, v17
	s_waitcnt lgkmcnt(3)
	v_pk_mul_f32 v[32:33], v[2:3], v[32:33] op_sel_hi:[1,0]
	v_pk_fma_f32 v[34:35], v[2:3], v[16:17], v[32:33] op_sel:[0,0,1] op_sel_hi:[1,1,0] neg_lo:[0,0,1] neg_hi:[0,0,1]
	v_pk_fma_f32 v[2:3], v[2:3], v[16:17], v[32:33] op_sel:[0,0,1] op_sel_hi:[1,0,0]
	s_waitcnt vmcnt(10)
	v_mov_b32_e32 v16, v19
	v_pk_mul_f32 v[16:17], v[4:5], v[16:17] op_sel_hi:[1,0]
	v_pk_fma_f32 v[32:33], v[4:5], v[18:19], v[16:17] op_sel:[0,0,1] op_sel_hi:[1,1,0] neg_lo:[0,0,1] neg_hi:[0,0,1]
	v_pk_fma_f32 v[4:5], v[4:5], v[18:19], v[16:17] op_sel:[0,0,1] op_sel_hi:[1,0,0]
	s_waitcnt vmcnt(8)
	v_mov_b32_e32 v4, v21
	v_mov_b32_e32 v33, v5
	s_waitcnt lgkmcnt(2)
	v_pk_mul_f32 v[4:5], v[6:7], v[4:5] op_sel_hi:[1,0]
	v_pk_fma_f32 v[16:17], v[6:7], v[20:21], v[4:5] op_sel:[0,0,1] op_sel_hi:[1,1,0] neg_lo:[0,0,1] neg_hi:[0,0,1]
	v_pk_fma_f32 v[4:5], v[6:7], v[20:21], v[4:5] op_sel:[0,0,1] op_sel_hi:[1,0,0]
	s_waitcnt vmcnt(6)
	v_mov_b32_e32 v4, v23
	v_mov_b32_e32 v35, v3
	;; [unrolled: 1-line block ×3, first 2 shown]
	v_pk_mul_f32 v[4:5], v[8:9], v[4:5] op_sel_hi:[1,0]
	v_pk_add_f32 v[2:3], v[34:35], 0 op_sel_hi:[1,0]
	v_pk_fma_f32 v[6:7], v[8:9], v[22:23], v[4:5] op_sel:[0,0,1] op_sel_hi:[1,1,0] neg_lo:[0,0,1] neg_hi:[0,0,1]
	v_pk_fma_f32 v[4:5], v[8:9], v[22:23], v[4:5] op_sel:[0,0,1] op_sel_hi:[1,0,0]
	v_pk_add_f32 v[2:3], v[2:3], v[32:33]
	s_waitcnt vmcnt(4)
	v_mov_b32_e32 v4, v25
	v_pk_add_f32 v[2:3], v[2:3], v[16:17]
	v_mov_b32_e32 v7, v5
	s_waitcnt lgkmcnt(1)
	v_pk_mul_f32 v[4:5], v[10:11], v[4:5] op_sel_hi:[1,0]
	v_pk_add_f32 v[2:3], v[2:3], v[6:7]
	v_pk_fma_f32 v[6:7], v[10:11], v[24:25], v[4:5] op_sel:[0,0,1] op_sel_hi:[1,1,0] neg_lo:[0,0,1] neg_hi:[0,0,1]
	v_pk_fma_f32 v[4:5], v[10:11], v[24:25], v[4:5] op_sel:[0,0,1] op_sel_hi:[1,0,0]
	s_waitcnt vmcnt(2)
	v_mov_b32_e32 v4, v27
	v_mov_b32_e32 v7, v5
	v_pk_mul_f32 v[4:5], v[12:13], v[4:5] op_sel_hi:[1,0]
	v_pk_add_f32 v[2:3], v[2:3], v[6:7]
	v_pk_fma_f32 v[6:7], v[12:13], v[26:27], v[4:5] op_sel:[0,0,1] op_sel_hi:[1,1,0] neg_lo:[0,0,1] neg_hi:[0,0,1]
	v_pk_fma_f32 v[4:5], v[12:13], v[26:27], v[4:5] op_sel:[0,0,1] op_sel_hi:[1,0,0]
	s_waitcnt vmcnt(0)
	v_mov_b32_e32 v4, v29
	v_mov_b32_e32 v7, v5
	s_waitcnt lgkmcnt(0)
	v_pk_mul_f32 v[4:5], v[30:31], v[4:5] op_sel_hi:[1,0]
	v_pk_add_f32 v[2:3], v[2:3], v[6:7]
	v_pk_fma_f32 v[6:7], v[30:31], v[28:29], v[4:5] op_sel:[0,0,1] op_sel_hi:[1,1,0] neg_lo:[0,0,1] neg_hi:[0,0,1]
	v_pk_fma_f32 v[4:5], v[30:31], v[28:29], v[4:5] op_sel:[0,0,1] op_sel_hi:[1,0,0]
	v_mov_b32_e32 v7, v5
	v_pk_add_f32 v[2:3], v[2:3], v[6:7]
	v_pk_add_f32 v[2:3], v[14:15], v[2:3] neg_lo:[0,1] neg_hi:[0,1]
	buffer_store_dword v2, off, s[0:3], 0 offset:440
	buffer_store_dword v3, off, s[0:3], 0 offset:444
	s_and_saveexec_b64 s[4:5], vcc
	s_cbranch_execz .LBB62_283
; %bb.282:
	buffer_load_dword v2, off, s[0:3], 0 offset:432
	buffer_load_dword v3, off, s[0:3], 0 offset:436
	s_waitcnt vmcnt(0)
	ds_write_b64 v217, v[2:3]
	buffer_store_dword v1, off, s[0:3], 0 offset:432
	buffer_store_dword v1, off, s[0:3], 0 offset:436
.LBB62_283:
	s_or_b64 exec, exec, s[4:5]
	s_waitcnt lgkmcnt(0)
	; wave barrier
	s_waitcnt lgkmcnt(0)
	buffer_load_dword v18, off, s[0:3], 0 offset:432
	buffer_load_dword v19, off, s[0:3], 0 offset:436
	;; [unrolled: 1-line block ×16, first 2 shown]
	ds_read2_b64 v[2:5], v1 offset0:119 offset1:120
	buffer_load_dword v35, off, s[0:3], 0 offset:500
	buffer_load_dword v34, off, s[0:3], 0 offset:496
	ds_read2_b64 v[6:9], v1 offset0:121 offset1:122
	ds_read2_b64 v[10:13], v1 offset0:123 offset1:124
	;; [unrolled: 1-line block ×3, first 2 shown]
	v_cmp_lt_u32_e32 vcc, 53, v0
	s_waitcnt vmcnt(14)
	v_mov_b32_e32 v36, v21
	s_waitcnt lgkmcnt(3)
	v_pk_mul_f32 v[36:37], v[2:3], v[36:37] op_sel_hi:[1,0]
	v_pk_fma_f32 v[38:39], v[2:3], v[20:21], v[36:37] op_sel:[0,0,1] op_sel_hi:[1,1,0] neg_lo:[0,0,1] neg_hi:[0,0,1]
	v_pk_fma_f32 v[2:3], v[2:3], v[20:21], v[36:37] op_sel:[0,0,1] op_sel_hi:[1,0,0]
	s_waitcnt vmcnt(12)
	v_mov_b32_e32 v20, v23
	v_pk_mul_f32 v[20:21], v[4:5], v[20:21] op_sel_hi:[1,0]
	v_pk_fma_f32 v[36:37], v[4:5], v[22:23], v[20:21] op_sel:[0,0,1] op_sel_hi:[1,1,0] neg_lo:[0,0,1] neg_hi:[0,0,1]
	v_pk_fma_f32 v[4:5], v[4:5], v[22:23], v[20:21] op_sel:[0,0,1] op_sel_hi:[1,0,0]
	s_waitcnt vmcnt(10)
	v_mov_b32_e32 v4, v25
	v_mov_b32_e32 v37, v5
	s_waitcnt lgkmcnt(2)
	v_pk_mul_f32 v[4:5], v[6:7], v[4:5] op_sel_hi:[1,0]
	v_pk_fma_f32 v[20:21], v[6:7], v[24:25], v[4:5] op_sel:[0,0,1] op_sel_hi:[1,1,0] neg_lo:[0,0,1] neg_hi:[0,0,1]
	v_pk_fma_f32 v[4:5], v[6:7], v[24:25], v[4:5] op_sel:[0,0,1] op_sel_hi:[1,0,0]
	s_waitcnt vmcnt(8)
	v_mov_b32_e32 v4, v27
	v_mov_b32_e32 v39, v3
	;; [unrolled: 1-line block ×3, first 2 shown]
	v_pk_mul_f32 v[4:5], v[8:9], v[4:5] op_sel_hi:[1,0]
	v_pk_add_f32 v[2:3], v[38:39], 0 op_sel_hi:[1,0]
	v_pk_fma_f32 v[6:7], v[8:9], v[26:27], v[4:5] op_sel:[0,0,1] op_sel_hi:[1,1,0] neg_lo:[0,0,1] neg_hi:[0,0,1]
	v_pk_fma_f32 v[4:5], v[8:9], v[26:27], v[4:5] op_sel:[0,0,1] op_sel_hi:[1,0,0]
	v_pk_add_f32 v[2:3], v[2:3], v[36:37]
	s_waitcnt vmcnt(6)
	v_mov_b32_e32 v4, v29
	v_pk_add_f32 v[2:3], v[2:3], v[20:21]
	v_mov_b32_e32 v7, v5
	s_waitcnt lgkmcnt(1)
	v_pk_mul_f32 v[4:5], v[10:11], v[4:5] op_sel_hi:[1,0]
	v_pk_add_f32 v[2:3], v[2:3], v[6:7]
	v_pk_fma_f32 v[6:7], v[10:11], v[28:29], v[4:5] op_sel:[0,0,1] op_sel_hi:[1,1,0] neg_lo:[0,0,1] neg_hi:[0,0,1]
	v_pk_fma_f32 v[4:5], v[10:11], v[28:29], v[4:5] op_sel:[0,0,1] op_sel_hi:[1,0,0]
	s_waitcnt vmcnt(4)
	v_mov_b32_e32 v4, v31
	v_mov_b32_e32 v7, v5
	v_pk_mul_f32 v[4:5], v[12:13], v[4:5] op_sel_hi:[1,0]
	v_pk_add_f32 v[2:3], v[2:3], v[6:7]
	v_pk_fma_f32 v[6:7], v[12:13], v[30:31], v[4:5] op_sel:[0,0,1] op_sel_hi:[1,1,0] neg_lo:[0,0,1] neg_hi:[0,0,1]
	v_pk_fma_f32 v[4:5], v[12:13], v[30:31], v[4:5] op_sel:[0,0,1] op_sel_hi:[1,0,0]
	s_waitcnt vmcnt(2)
	v_mov_b32_e32 v4, v33
	v_mov_b32_e32 v7, v5
	s_waitcnt lgkmcnt(0)
	v_pk_mul_f32 v[4:5], v[14:15], v[4:5] op_sel_hi:[1,0]
	v_pk_add_f32 v[2:3], v[2:3], v[6:7]
	v_pk_fma_f32 v[6:7], v[14:15], v[32:33], v[4:5] op_sel:[0,0,1] op_sel_hi:[1,1,0] neg_lo:[0,0,1] neg_hi:[0,0,1]
	v_pk_fma_f32 v[4:5], v[14:15], v[32:33], v[4:5] op_sel:[0,0,1] op_sel_hi:[1,0,0]
	s_waitcnt vmcnt(1)
	v_mov_b32_e32 v4, v35
	v_mov_b32_e32 v7, v5
	v_pk_mul_f32 v[4:5], v[16:17], v[4:5] op_sel_hi:[1,0]
	v_pk_add_f32 v[2:3], v[2:3], v[6:7]
	s_waitcnt vmcnt(0)
	v_pk_fma_f32 v[6:7], v[16:17], v[34:35], v[4:5] op_sel:[0,0,1] op_sel_hi:[1,1,0] neg_lo:[0,0,1] neg_hi:[0,0,1]
	v_pk_fma_f32 v[4:5], v[16:17], v[34:35], v[4:5] op_sel:[0,0,1] op_sel_hi:[1,0,0]
	v_mov_b32_e32 v7, v5
	v_pk_add_f32 v[2:3], v[2:3], v[6:7]
	v_pk_add_f32 v[2:3], v[18:19], v[2:3] neg_lo:[0,1] neg_hi:[0,1]
	buffer_store_dword v2, off, s[0:3], 0 offset:432
	buffer_store_dword v3, off, s[0:3], 0 offset:436
	s_and_saveexec_b64 s[4:5], vcc
	s_cbranch_execz .LBB62_285
; %bb.284:
	buffer_load_dword v2, off, s[0:3], 0 offset:424
	buffer_load_dword v3, off, s[0:3], 0 offset:428
	v_mov_b32_e32 v1, 0
	buffer_store_dword v1, off, s[0:3], 0 offset:424
	buffer_store_dword v1, off, s[0:3], 0 offset:428
	s_waitcnt vmcnt(2)
	ds_write_b64 v217, v[2:3]
.LBB62_285:
	s_or_b64 exec, exec, s[4:5]
	s_waitcnt lgkmcnt(0)
	; wave barrier
	s_waitcnt lgkmcnt(0)
	buffer_load_dword v38, off, s[0:3], 0 offset:436
	buffer_load_dword v19, off, s[0:3], 0 offset:444
	buffer_load_dword v21, off, s[0:3], 0 offset:452
	buffer_load_dword v23, off, s[0:3], 0 offset:460
	buffer_load_dword v25, off, s[0:3], 0 offset:468
	buffer_load_dword v27, off, s[0:3], 0 offset:476
	buffer_load_dword v29, off, s[0:3], 0 offset:484
	buffer_load_dword v31, off, s[0:3], 0 offset:492
	buffer_load_dword v33, off, s[0:3], 0 offset:500
	buffer_load_dword v41, off, s[0:3], 0 offset:432
	buffer_load_dword v18, off, s[0:3], 0 offset:440
	buffer_load_dword v20, off, s[0:3], 0 offset:448
	buffer_load_dword v22, off, s[0:3], 0 offset:456
	buffer_load_dword v24, off, s[0:3], 0 offset:464
	buffer_load_dword v26, off, s[0:3], 0 offset:472
	buffer_load_dword v28, off, s[0:3], 0 offset:480
	buffer_load_dword v32, off, s[0:3], 0 offset:496
	buffer_load_dword v30, off, s[0:3], 0 offset:488
	buffer_load_dword v34, off, s[0:3], 0 offset:424
	buffer_load_dword v35, off, s[0:3], 0 offset:428
	v_mov_b32_e32 v1, 0
	ds_read_b128 v[2:5], v1 offset:944
	ds_read_b128 v[6:9], v1 offset:960
	;; [unrolled: 1-line block ×4, first 2 shown]
	ds_read_b64 v[36:37], v1 offset:1008
	v_cmp_lt_u32_e32 vcc, 52, v0
	s_waitcnt vmcnt(19) lgkmcnt(4)
	v_mul_f32_e32 v39, v2, v38
	v_mul_f32_e32 v38, v3, v38
	s_waitcnt vmcnt(18)
	v_mov_b32_e32 v40, v19
	s_waitcnt vmcnt(17)
	v_mov_b32_e32 v42, v21
	;; [unrolled: 2-line block ×8, first 2 shown]
	s_waitcnt vmcnt(10)
	v_fmac_f32_e32 v39, v3, v41
	v_fma_f32 v38, v2, v41, -v38
	v_pk_mul_f32 v[2:3], v[4:5], v[40:41] op_sel_hi:[1,0]
	s_waitcnt lgkmcnt(3)
	v_pk_mul_f32 v[40:41], v[6:7], v[42:43] op_sel_hi:[1,0]
	v_pk_mul_f32 v[42:43], v[8:9], v[44:45] op_sel_hi:[1,0]
	s_waitcnt lgkmcnt(2)
	v_pk_mul_f32 v[44:45], v[10:11], v[46:47] op_sel_hi:[1,0]
	;; [unrolled: 3-line block ×4, first 2 shown]
	s_waitcnt vmcnt(9)
	v_pk_fma_f32 v[54:55], v[4:5], v[18:19], v[2:3] op_sel:[0,0,1] op_sel_hi:[1,1,0] neg_lo:[0,0,1] neg_hi:[0,0,1]
	v_pk_fma_f32 v[2:3], v[4:5], v[18:19], v[2:3] op_sel:[0,0,1] op_sel_hi:[1,0,0]
	v_pk_add_f32 v[38:39], v[38:39], 0 op_sel_hi:[1,0]
	s_waitcnt vmcnt(8)
	v_pk_fma_f32 v[4:5], v[6:7], v[20:21], v[40:41] op_sel:[0,0,1] op_sel_hi:[1,1,0] neg_lo:[0,0,1] neg_hi:[0,0,1]
	v_pk_fma_f32 v[6:7], v[6:7], v[20:21], v[40:41] op_sel:[0,0,1] op_sel_hi:[1,0,0]
	v_mov_b32_e32 v55, v3
	s_waitcnt vmcnt(7)
	v_pk_fma_f32 v[18:19], v[8:9], v[22:23], v[42:43] op_sel:[0,0,1] op_sel_hi:[1,1,0] neg_lo:[0,0,1] neg_hi:[0,0,1]
	v_pk_fma_f32 v[8:9], v[8:9], v[22:23], v[42:43] op_sel:[0,0,1] op_sel_hi:[1,0,0]
	v_mov_b32_e32 v5, v7
	v_pk_add_f32 v[2:3], v[38:39], v[54:55]
	s_waitcnt vmcnt(6)
	v_pk_fma_f32 v[20:21], v[10:11], v[24:25], v[44:45] op_sel:[0,0,1] op_sel_hi:[1,1,0] neg_lo:[0,0,1] neg_hi:[0,0,1]
	v_pk_fma_f32 v[10:11], v[10:11], v[24:25], v[44:45] op_sel:[0,0,1] op_sel_hi:[1,0,0]
	v_mov_b32_e32 v19, v9
	v_pk_add_f32 v[2:3], v[2:3], v[4:5]
	;; [unrolled: 5-line block ×5, first 2 shown]
	v_pk_fma_f32 v[28:29], v[36:37], v[32:33], v[52:53] op_sel:[0,0,1] op_sel_hi:[1,1,0] neg_lo:[0,0,1] neg_hi:[0,0,1]
	v_pk_fma_f32 v[30:31], v[36:37], v[32:33], v[52:53] op_sel:[0,0,1] op_sel_hi:[1,0,0]
	v_mov_b32_e32 v27, v17
	v_pk_add_f32 v[2:3], v[2:3], v[24:25]
	v_mov_b32_e32 v29, v31
	v_pk_add_f32 v[2:3], v[2:3], v[26:27]
	v_pk_add_f32 v[2:3], v[2:3], v[28:29]
	s_waitcnt vmcnt(0)
	v_pk_add_f32 v[2:3], v[34:35], v[2:3] neg_lo:[0,1] neg_hi:[0,1]
	buffer_store_dword v2, off, s[0:3], 0 offset:424
	buffer_store_dword v3, off, s[0:3], 0 offset:428
	s_and_saveexec_b64 s[4:5], vcc
	s_cbranch_execz .LBB62_287
; %bb.286:
	buffer_load_dword v2, off, s[0:3], 0 offset:416
	buffer_load_dword v3, off, s[0:3], 0 offset:420
	s_waitcnt vmcnt(0)
	ds_write_b64 v217, v[2:3]
	buffer_store_dword v1, off, s[0:3], 0 offset:416
	buffer_store_dword v1, off, s[0:3], 0 offset:420
.LBB62_287:
	s_or_b64 exec, exec, s[4:5]
	s_waitcnt lgkmcnt(0)
	; wave barrier
	s_waitcnt lgkmcnt(0)
	buffer_load_dword v40, off, s[0:3], 0 offset:428
	buffer_load_dword v42, off, s[0:3], 0 offset:436
	;; [unrolled: 1-line block ×22, first 2 shown]
	ds_read2_b64 v[2:5], v1 offset0:117 offset1:118
	ds_read2_b64 v[6:9], v1 offset0:119 offset1:120
	;; [unrolled: 1-line block ×5, first 2 shown]
	v_cmp_lt_u32_e32 vcc, 51, v0
	s_waitcnt vmcnt(21) lgkmcnt(4)
	v_mul_f32_e32 v41, v2, v40
	v_mul_f32_e32 v1, v3, v40
	s_waitcnt vmcnt(19)
	v_mov_b32_e32 v44, v23
	v_mul_f32_e32 v43, v4, v42
	v_mul_f32_e32 v42, v5, v42
	s_waitcnt vmcnt(18)
	v_mov_b32_e32 v46, v25
	s_waitcnt vmcnt(17)
	v_mov_b32_e32 v48, v27
	;; [unrolled: 2-line block ×6, first 2 shown]
	s_waitcnt vmcnt(11)
	v_fmac_f32_e32 v41, v3, v45
	v_fma_f32 v40, v2, v45, -v1
	s_waitcnt lgkmcnt(3)
	v_pk_mul_f32 v[2:3], v[6:7], v[44:45] op_sel_hi:[1,0]
	s_waitcnt vmcnt(10)
	v_fmac_f32_e32 v43, v5, v47
	v_fma_f32 v42, v4, v47, -v42
	v_pk_mul_f32 v[4:5], v[8:9], v[46:47] op_sel_hi:[1,0]
	s_waitcnt lgkmcnt(2)
	v_pk_mul_f32 v[44:45], v[10:11], v[48:49] op_sel_hi:[1,0]
	v_pk_mul_f32 v[46:47], v[12:13], v[50:51] op_sel_hi:[1,0]
	s_waitcnt lgkmcnt(1)
	v_pk_mul_f32 v[48:49], v[14:15], v[52:53] op_sel_hi:[1,0]
	;; [unrolled: 3-line block ×3, first 2 shown]
	v_pk_add_f32 v[40:41], v[40:41], 0 op_sel_hi:[1,0]
	s_waitcnt vmcnt(9)
	v_pk_fma_f32 v[56:57], v[6:7], v[22:23], v[2:3] op_sel:[0,0,1] op_sel_hi:[1,1,0] neg_lo:[0,0,1] neg_hi:[0,0,1]
	v_pk_fma_f32 v[2:3], v[6:7], v[22:23], v[2:3] op_sel:[0,0,1] op_sel_hi:[1,0,0]
	s_waitcnt vmcnt(8)
	v_pk_fma_f32 v[6:7], v[8:9], v[24:25], v[4:5] op_sel:[0,0,1] op_sel_hi:[1,1,0] neg_lo:[0,0,1] neg_hi:[0,0,1]
	v_pk_fma_f32 v[4:5], v[8:9], v[24:25], v[4:5] op_sel:[0,0,1] op_sel_hi:[1,0,0]
	;; [unrolled: 3-line block ×4, first 2 shown]
	v_pk_add_f32 v[32:33], v[40:41], v[42:43]
	v_mov_b32_e32 v57, v3
	v_mov_b32_e32 v7, v5
	v_pk_add_f32 v[2:3], v[32:33], v[56:57]
	v_pk_fma_f32 v[22:23], v[12:13], v[28:29], v[46:47] op_sel:[0,0,1] op_sel_hi:[1,1,0] neg_lo:[0,0,1] neg_hi:[0,0,1]
	v_pk_fma_f32 v[12:13], v[12:13], v[28:29], v[46:47] op_sel:[0,0,1] op_sel_hi:[1,0,0]
	v_mov_b32_e32 v9, v11
	v_pk_add_f32 v[2:3], v[2:3], v[6:7]
	v_pk_fma_f32 v[24:25], v[14:15], v[30:31], v[48:49] op_sel:[0,0,1] op_sel_hi:[1,1,0] neg_lo:[0,0,1] neg_hi:[0,0,1]
	v_pk_fma_f32 v[14:15], v[14:15], v[30:31], v[48:49] op_sel:[0,0,1] op_sel_hi:[1,0,0]
	v_mov_b32_e32 v23, v13
	v_pk_add_f32 v[2:3], v[2:3], v[8:9]
	v_mov_b32_e32 v58, v37
	v_mov_b32_e32 v25, v15
	v_pk_add_f32 v[2:3], v[2:3], v[22:23]
	v_pk_mul_f32 v[54:55], v[20:21], v[58:59] op_sel_hi:[1,0]
	v_pk_fma_f32 v[28:29], v[18:19], v[34:35], v[52:53] op_sel:[0,0,1] op_sel_hi:[1,1,0] neg_lo:[0,0,1] neg_hi:[0,0,1]
	v_pk_fma_f32 v[18:19], v[18:19], v[34:35], v[52:53] op_sel:[0,0,1] op_sel_hi:[1,0,0]
	v_mov_b32_e32 v27, v17
	v_pk_add_f32 v[2:3], v[2:3], v[24:25]
	v_pk_fma_f32 v[30:31], v[20:21], v[36:37], v[54:55] op_sel:[0,0,1] op_sel_hi:[1,1,0] neg_lo:[0,0,1] neg_hi:[0,0,1]
	v_pk_fma_f32 v[20:21], v[20:21], v[36:37], v[54:55] op_sel:[0,0,1] op_sel_hi:[1,0,0]
	v_mov_b32_e32 v29, v19
	v_pk_add_f32 v[2:3], v[2:3], v[26:27]
	v_mov_b32_e32 v31, v21
	v_pk_add_f32 v[2:3], v[2:3], v[28:29]
	v_pk_add_f32 v[2:3], v[2:3], v[30:31]
	s_waitcnt vmcnt(0)
	v_pk_add_f32 v[2:3], v[38:39], v[2:3] neg_lo:[0,1] neg_hi:[0,1]
	buffer_store_dword v2, off, s[0:3], 0 offset:416
	buffer_store_dword v3, off, s[0:3], 0 offset:420
	s_and_saveexec_b64 s[4:5], vcc
	s_cbranch_execz .LBB62_289
; %bb.288:
	buffer_load_dword v2, off, s[0:3], 0 offset:408
	buffer_load_dword v3, off, s[0:3], 0 offset:412
	v_mov_b32_e32 v1, 0
	buffer_store_dword v1, off, s[0:3], 0 offset:408
	buffer_store_dword v1, off, s[0:3], 0 offset:412
	s_waitcnt vmcnt(2)
	ds_write_b64 v217, v[2:3]
.LBB62_289:
	s_or_b64 exec, exec, s[4:5]
	s_waitcnt lgkmcnt(0)
	; wave barrier
	s_waitcnt lgkmcnt(0)
	buffer_load_dword v42, off, s[0:3], 0 offset:420
	buffer_load_dword v44, off, s[0:3], 0 offset:428
	;; [unrolled: 1-line block ×24, first 2 shown]
	v_mov_b32_e32 v1, 0
	ds_read_b128 v[2:5], v1 offset:928
	ds_read_b128 v[6:9], v1 offset:944
	;; [unrolled: 1-line block ×5, first 2 shown]
	ds_read_b64 v[40:41], v1 offset:1008
	v_cmp_lt_u32_e32 vcc, 50, v0
	s_waitcnt vmcnt(23) lgkmcnt(5)
	v_mul_f32_e32 v55, v2, v42
	v_mul_f32_e32 v42, v3, v42
	s_waitcnt vmcnt(22)
	v_mul_f32_e32 v43, v4, v44
	s_waitcnt vmcnt(21) lgkmcnt(4)
	v_mul_f32_e32 v45, v6, v46
	v_mul_f32_e32 v44, v5, v44
	;; [unrolled: 1-line block ×3, first 2 shown]
	s_waitcnt vmcnt(20)
	v_mov_b32_e32 v46, v23
	s_waitcnt vmcnt(19)
	v_mov_b32_e32 v48, v25
	;; [unrolled: 2-line block ×5, first 2 shown]
	s_waitcnt vmcnt(12)
	v_fmac_f32_e32 v55, v3, v47
	v_fma_f32 v57, v2, v47, -v42
	v_mov_b32_e32 v56, v33
	s_waitcnt vmcnt(11)
	v_fmac_f32_e32 v43, v5, v49
	s_waitcnt vmcnt(10)
	v_fmac_f32_e32 v45, v7, v51
	v_fma_f32 v42, v4, v49, -v44
	v_fma_f32 v44, v6, v51, -v53
	v_pk_mul_f32 v[2:3], v[8:9], v[46:47] op_sel_hi:[1,0]
	s_waitcnt lgkmcnt(3)
	v_pk_mul_f32 v[4:5], v[10:11], v[48:49] op_sel_hi:[1,0]
	v_pk_mul_f32 v[6:7], v[12:13], v[50:51] op_sel_hi:[1,0]
	s_waitcnt lgkmcnt(2)
	v_pk_mul_f32 v[46:47], v[14:15], v[52:53] op_sel_hi:[1,0]
	v_pk_mul_f32 v[48:49], v[16:17], v[54:55] op_sel_hi:[1,0]
	v_add_f32_e32 v55, 0, v55
	v_add_f32_e32 v54, 0, v57
	s_waitcnt lgkmcnt(1)
	v_pk_mul_f32 v[50:51], v[18:19], v[56:57] op_sel_hi:[1,0]
	s_waitcnt vmcnt(9)
	v_pk_fma_f32 v[56:57], v[8:9], v[22:23], v[2:3] op_sel:[0,0,1] op_sel_hi:[1,1,0] neg_lo:[0,0,1] neg_hi:[0,0,1]
	v_pk_fma_f32 v[2:3], v[8:9], v[22:23], v[2:3] op_sel:[0,0,1] op_sel_hi:[1,0,0]
	s_waitcnt vmcnt(8)
	v_pk_fma_f32 v[8:9], v[10:11], v[24:25], v[4:5] op_sel:[0,0,1] op_sel_hi:[1,1,0] neg_lo:[0,0,1] neg_hi:[0,0,1]
	v_pk_fma_f32 v[4:5], v[10:11], v[24:25], v[4:5] op_sel:[0,0,1] op_sel_hi:[1,0,0]
	;; [unrolled: 3-line block ×4, first 2 shown]
	v_pk_add_f32 v[28:29], v[54:55], v[42:43]
	v_mov_b32_e32 v57, v3
	v_pk_add_f32 v[2:3], v[28:29], v[44:45]
	v_mov_b32_e32 v9, v5
	;; [unrolled: 2-line block ×4, first 2 shown]
	s_waitcnt vmcnt(2)
	v_pk_fma_f32 v[22:23], v[16:17], v[30:31], v[48:49] op_sel:[0,0,1] op_sel_hi:[1,1,0] neg_lo:[0,0,1] neg_hi:[0,0,1]
	v_pk_fma_f32 v[16:17], v[16:17], v[30:31], v[48:49] op_sel:[0,0,1] op_sel_hi:[1,0,0]
	v_mov_b32_e32 v13, v15
	v_pk_add_f32 v[2:3], v[2:3], v[10:11]
	v_mov_b32_e32 v60, v37
	v_pk_mul_f32 v[52:53], v[20:21], v[58:59] op_sel_hi:[1,0]
	v_pk_fma_f32 v[24:25], v[18:19], v[32:33], v[50:51] op_sel:[0,0,1] op_sel_hi:[1,1,0] neg_lo:[0,0,1] neg_hi:[0,0,1]
	v_pk_fma_f32 v[18:19], v[18:19], v[32:33], v[50:51] op_sel:[0,0,1] op_sel_hi:[1,0,0]
	v_mov_b32_e32 v23, v17
	v_pk_add_f32 v[2:3], v[2:3], v[12:13]
	v_pk_fma_f32 v[26:27], v[20:21], v[34:35], v[52:53] op_sel:[0,0,1] op_sel_hi:[1,1,0] neg_lo:[0,0,1] neg_hi:[0,0,1]
	v_pk_fma_f32 v[20:21], v[20:21], v[34:35], v[52:53] op_sel:[0,0,1] op_sel_hi:[1,0,0]
	v_mov_b32_e32 v25, v19
	v_pk_add_f32 v[2:3], v[2:3], v[22:23]
	s_waitcnt lgkmcnt(0)
	v_pk_mul_f32 v[4:5], v[40:41], v[60:61] op_sel_hi:[1,0]
	v_mov_b32_e32 v27, v21
	v_pk_add_f32 v[2:3], v[2:3], v[24:25]
	v_pk_fma_f32 v[6:7], v[40:41], v[36:37], v[4:5] op_sel:[0,0,1] op_sel_hi:[1,1,0] neg_lo:[0,0,1] neg_hi:[0,0,1]
	v_pk_fma_f32 v[4:5], v[40:41], v[36:37], v[4:5] op_sel:[0,0,1] op_sel_hi:[1,0,0]
	v_pk_add_f32 v[2:3], v[2:3], v[26:27]
	v_mov_b32_e32 v7, v5
	v_pk_add_f32 v[2:3], v[2:3], v[6:7]
	s_waitcnt vmcnt(0)
	v_pk_add_f32 v[2:3], v[38:39], v[2:3] neg_lo:[0,1] neg_hi:[0,1]
	buffer_store_dword v3, off, s[0:3], 0 offset:412
	buffer_store_dword v2, off, s[0:3], 0 offset:408
	s_and_saveexec_b64 s[4:5], vcc
	s_cbranch_execz .LBB62_291
; %bb.290:
	buffer_load_dword v2, off, s[0:3], 0 offset:400
	buffer_load_dword v3, off, s[0:3], 0 offset:404
	s_waitcnt vmcnt(0)
	ds_write_b64 v217, v[2:3]
	buffer_store_dword v1, off, s[0:3], 0 offset:400
	buffer_store_dword v1, off, s[0:3], 0 offset:404
.LBB62_291:
	s_or_b64 exec, exec, s[4:5]
	s_waitcnt lgkmcnt(0)
	; wave barrier
	s_waitcnt lgkmcnt(0)
	buffer_load_dword v44, off, s[0:3], 0 offset:412
	buffer_load_dword v46, off, s[0:3], 0 offset:420
	;; [unrolled: 1-line block ×26, first 2 shown]
	ds_read2_b64 v[2:5], v1 offset0:115 offset1:116
	ds_read2_b64 v[6:9], v1 offset0:117 offset1:118
	;; [unrolled: 1-line block ×6, first 2 shown]
	v_cmp_lt_u32_e32 vcc, 49, v0
	s_waitcnt vmcnt(25) lgkmcnt(5)
	v_mul_f32_e32 v1, v2, v44
	v_mul_f32_e32 v44, v3, v44
	s_waitcnt vmcnt(24)
	v_mul_f32_e32 v59, v4, v46
	s_waitcnt vmcnt(23) lgkmcnt(4)
	v_mul_f32_e32 v45, v6, v48
	s_waitcnt vmcnt(22)
	v_mul_f32_e32 v47, v8, v49
	v_mul_f32_e32 v46, v5, v46
	;; [unrolled: 1-line block ×4, first 2 shown]
	s_waitcnt vmcnt(21)
	v_mov_b32_e32 v48, v27
	s_waitcnt vmcnt(20)
	v_mov_b32_e32 v50, v29
	;; [unrolled: 2-line block ×3, first 2 shown]
	s_waitcnt vmcnt(15)
	v_fmac_f32_e32 v1, v3, v51
	v_fma_f32 v61, v2, v51, -v44
	v_mov_b32_e32 v52, v31
	s_waitcnt vmcnt(14)
	v_fmac_f32_e32 v59, v5, v53
	s_waitcnt vmcnt(12)
	v_fmac_f32_e32 v47, v9, v57
	v_fma_f32 v62, v4, v53, -v46
	v_fma_f32 v46, v8, v57, -v49
	s_waitcnt lgkmcnt(3)
	v_pk_mul_f32 v[2:3], v[10:11], v[48:49] op_sel_hi:[1,0]
	v_pk_mul_f32 v[4:5], v[12:13], v[50:51] op_sel_hi:[1,0]
	s_waitcnt lgkmcnt(2)
	v_pk_mul_f32 v[8:9], v[16:17], v[54:55] op_sel_hi:[1,0]
	v_add_f32_e32 v1, 0, v1
	v_add_f32_e32 v54, 0, v61
	v_fmac_f32_e32 v45, v7, v55
	v_fma_f32 v44, v6, v55, -v60
	v_pk_mul_f32 v[6:7], v[14:15], v[52:53] op_sel_hi:[1,0]
	s_waitcnt vmcnt(11)
	v_pk_fma_f32 v[52:53], v[10:11], v[26:27], v[2:3] op_sel:[0,0,1] op_sel_hi:[1,1,0] neg_lo:[0,0,1] neg_hi:[0,0,1]
	v_pk_fma_f32 v[2:3], v[10:11], v[26:27], v[2:3] op_sel:[0,0,1] op_sel_hi:[1,0,0]
	s_waitcnt vmcnt(10)
	v_pk_fma_f32 v[10:11], v[12:13], v[28:29], v[4:5] op_sel:[0,0,1] op_sel_hi:[1,1,0] neg_lo:[0,0,1] neg_hi:[0,0,1]
	v_pk_fma_f32 v[4:5], v[12:13], v[28:29], v[4:5] op_sel:[0,0,1] op_sel_hi:[1,0,0]
	v_add_f32_e32 v29, v1, v59
	v_add_f32_e32 v28, v54, v62
	v_mov_b32_e32 v53, v3
	v_pk_add_f32 v[2:3], v[28:29], v[44:45]
	v_pk_add_f32 v[2:3], v[2:3], v[46:47]
	v_mov_b32_e32 v56, v35
	s_waitcnt vmcnt(9)
	v_pk_fma_f32 v[12:13], v[14:15], v[30:31], v[6:7] op_sel:[0,0,1] op_sel_hi:[1,1,0] neg_lo:[0,0,1] neg_hi:[0,0,1]
	v_pk_fma_f32 v[6:7], v[14:15], v[30:31], v[6:7] op_sel:[0,0,1] op_sel_hi:[1,0,0]
	v_mov_b32_e32 v11, v5
	v_pk_add_f32 v[2:3], v[2:3], v[52:53]
	v_mov_b32_e32 v58, v37
	s_waitcnt lgkmcnt(1)
	v_pk_mul_f32 v[48:49], v[18:19], v[56:57] op_sel_hi:[1,0]
	s_waitcnt vmcnt(5)
	v_pk_fma_f32 v[14:15], v[16:17], v[32:33], v[8:9] op_sel:[0,0,1] op_sel_hi:[1,1,0] neg_lo:[0,0,1] neg_hi:[0,0,1]
	v_pk_fma_f32 v[8:9], v[16:17], v[32:33], v[8:9] op_sel:[0,0,1] op_sel_hi:[1,0,0]
	v_mov_b32_e32 v13, v7
	v_pk_add_f32 v[2:3], v[2:3], v[10:11]
	s_waitcnt vmcnt(4)
	v_mov_b32_e32 v4, v39
	v_pk_mul_f32 v[50:51], v[20:21], v[58:59] op_sel_hi:[1,0]
	v_pk_fma_f32 v[16:17], v[18:19], v[34:35], v[48:49] op_sel:[0,0,1] op_sel_hi:[1,1,0] neg_lo:[0,0,1] neg_hi:[0,0,1]
	v_pk_fma_f32 v[18:19], v[18:19], v[34:35], v[48:49] op_sel:[0,0,1] op_sel_hi:[1,0,0]
	v_mov_b32_e32 v15, v9
	v_pk_add_f32 v[2:3], v[2:3], v[12:13]
	s_waitcnt lgkmcnt(0)
	v_pk_mul_f32 v[4:5], v[22:23], v[4:5] op_sel_hi:[1,0]
	v_pk_fma_f32 v[26:27], v[20:21], v[36:37], v[50:51] op_sel:[0,0,1] op_sel_hi:[1,1,0] neg_lo:[0,0,1] neg_hi:[0,0,1]
	v_pk_fma_f32 v[20:21], v[20:21], v[36:37], v[50:51] op_sel:[0,0,1] op_sel_hi:[1,0,0]
	v_mov_b32_e32 v17, v19
	v_pk_add_f32 v[2:3], v[2:3], v[14:15]
	v_pk_fma_f32 v[6:7], v[22:23], v[38:39], v[4:5] op_sel:[0,0,1] op_sel_hi:[1,1,0] neg_lo:[0,0,1] neg_hi:[0,0,1]
	v_pk_fma_f32 v[4:5], v[22:23], v[38:39], v[4:5] op_sel:[0,0,1] op_sel_hi:[1,0,0]
	v_mov_b32_e32 v27, v21
	v_pk_add_f32 v[2:3], v[2:3], v[16:17]
	s_waitcnt vmcnt(3)
	v_mov_b32_e32 v4, v41
	v_pk_add_f32 v[2:3], v[2:3], v[26:27]
	v_mov_b32_e32 v7, v5
	v_pk_mul_f32 v[4:5], v[24:25], v[4:5] op_sel_hi:[1,0]
	v_pk_add_f32 v[2:3], v[2:3], v[6:7]
	s_waitcnt vmcnt(2)
	v_pk_fma_f32 v[6:7], v[24:25], v[40:41], v[4:5] op_sel:[0,0,1] op_sel_hi:[1,1,0] neg_lo:[0,0,1] neg_hi:[0,0,1]
	v_pk_fma_f32 v[4:5], v[24:25], v[40:41], v[4:5] op_sel:[0,0,1] op_sel_hi:[1,0,0]
	v_mov_b32_e32 v7, v5
	v_pk_add_f32 v[2:3], v[2:3], v[6:7]
	s_waitcnt vmcnt(0)
	v_pk_add_f32 v[2:3], v[42:43], v[2:3] neg_lo:[0,1] neg_hi:[0,1]
	buffer_store_dword v3, off, s[0:3], 0 offset:404
	buffer_store_dword v2, off, s[0:3], 0 offset:400
	s_and_saveexec_b64 s[4:5], vcc
	s_cbranch_execz .LBB62_293
; %bb.292:
	buffer_load_dword v2, off, s[0:3], 0 offset:392
	buffer_load_dword v3, off, s[0:3], 0 offset:396
	v_mov_b32_e32 v1, 0
	buffer_store_dword v1, off, s[0:3], 0 offset:392
	buffer_store_dword v1, off, s[0:3], 0 offset:396
	s_waitcnt vmcnt(2)
	ds_write_b64 v217, v[2:3]
.LBB62_293:
	s_or_b64 exec, exec, s[4:5]
	s_waitcnt lgkmcnt(0)
	; wave barrier
	s_waitcnt lgkmcnt(0)
	buffer_load_dword v46, off, s[0:3], 0 offset:404
	buffer_load_dword v48, off, s[0:3], 0 offset:412
	;; [unrolled: 1-line block ×28, first 2 shown]
	v_mov_b32_e32 v1, 0
	ds_read_b128 v[2:5], v1 offset:912
	ds_read_b128 v[6:9], v1 offset:928
	;; [unrolled: 1-line block ×6, first 2 shown]
	ds_read_b64 v[44:45], v1 offset:1008
	v_cmp_lt_u32_e32 vcc, 48, v0
	s_waitcnt vmcnt(27) lgkmcnt(6)
	v_mul_f32_e32 v61, v2, v46
	s_waitcnt vmcnt(26)
	v_mul_f32_e32 v62, v4, v48
	v_mul_f32_e32 v46, v3, v46
	;; [unrolled: 1-line block ×3, first 2 shown]
	s_waitcnt vmcnt(23) lgkmcnt(4)
	v_mul_f32_e32 v49, v10, v52
	v_mul_f32_e32 v63, v6, v50
	;; [unrolled: 1-line block ×6, first 2 shown]
	s_waitcnt vmcnt(22)
	v_mov_b32_e32 v50, v27
	s_waitcnt vmcnt(21)
	v_mov_b32_e32 v52, v29
	s_waitcnt vmcnt(17)
	v_fmac_f32_e32 v61, v3, v53
	s_waitcnt vmcnt(16)
	v_fmac_f32_e32 v62, v5, v55
	;; [unrolled: 2-line block ×3, first 2 shown]
	v_fma_f32 v11, v2, v53, -v46
	v_fma_f32 v53, v4, v55, -v48
	v_pk_mul_f32 v[2:3], v[12:13], v[50:51] op_sel_hi:[1,0]
	s_waitcnt lgkmcnt(3)
	v_pk_mul_f32 v[4:5], v[14:15], v[52:53] op_sel_hi:[1,0]
	v_fma_f32 v46, v8, v59, -v51
	v_fma_f32 v48, v10, v60, -v65
	v_add_f32_e32 v50, 0, v61
	v_add_f32_e32 v51, 0, v11
	s_waitcnt vmcnt(12)
	v_pk_fma_f32 v[10:11], v[12:13], v[26:27], v[2:3] op_sel:[0,0,1] op_sel_hi:[1,1,0] neg_lo:[0,0,1] neg_hi:[0,0,1]
	v_pk_fma_f32 v[2:3], v[12:13], v[26:27], v[2:3] op_sel:[0,0,1] op_sel_hi:[1,0,0]
	s_waitcnt vmcnt(11)
	v_pk_fma_f32 v[12:13], v[14:15], v[28:29], v[4:5] op_sel:[0,0,1] op_sel_hi:[1,1,0] neg_lo:[0,0,1] neg_hi:[0,0,1]
	v_pk_fma_f32 v[4:5], v[14:15], v[28:29], v[4:5] op_sel:[0,0,1] op_sel_hi:[1,0,0]
	v_fmac_f32_e32 v63, v7, v57
	v_fma_f32 v55, v6, v57, -v64
	v_add_f32_e32 v2, v50, v62
	v_add_f32_e32 v4, v51, v53
	v_fmac_f32_e32 v47, v9, v59
	v_mov_b32_e32 v11, v3
	v_add_f32_e32 v3, v2, v63
	v_add_f32_e32 v2, v4, v55
	v_mov_b32_e32 v54, v31
	v_pk_add_f32 v[2:3], v[2:3], v[46:47]
	v_mov_b32_e32 v56, v33
	v_mov_b32_e32 v58, v35
	v_pk_mul_f32 v[6:7], v[16:17], v[54:55] op_sel_hi:[1,0]
	v_pk_add_f32 v[2:3], v[2:3], v[48:49]
	s_waitcnt lgkmcnt(2)
	v_pk_mul_f32 v[8:9], v[18:19], v[56:57] op_sel_hi:[1,0]
	s_waitcnt vmcnt(7)
	v_pk_fma_f32 v[14:15], v[16:17], v[30:31], v[6:7] op_sel:[0,0,1] op_sel_hi:[1,1,0] neg_lo:[0,0,1] neg_hi:[0,0,1]
	v_pk_fma_f32 v[6:7], v[16:17], v[30:31], v[6:7] op_sel:[0,0,1] op_sel_hi:[1,0,0]
	v_mov_b32_e32 v13, v5
	v_pk_add_f32 v[2:3], v[2:3], v[10:11]
	v_pk_mul_f32 v[4:5], v[20:21], v[58:59] op_sel_hi:[1,0]
	v_pk_fma_f32 v[16:17], v[18:19], v[32:33], v[8:9] op_sel:[0,0,1] op_sel_hi:[1,1,0] neg_lo:[0,0,1] neg_hi:[0,0,1]
	v_pk_fma_f32 v[8:9], v[18:19], v[32:33], v[8:9] op_sel:[0,0,1] op_sel_hi:[1,0,0]
	v_mov_b32_e32 v15, v7
	v_pk_add_f32 v[2:3], v[2:3], v[12:13]
	v_pk_fma_f32 v[6:7], v[20:21], v[34:35], v[4:5] op_sel:[0,0,1] op_sel_hi:[1,1,0] neg_lo:[0,0,1] neg_hi:[0,0,1]
	v_pk_fma_f32 v[4:5], v[20:21], v[34:35], v[4:5] op_sel:[0,0,1] op_sel_hi:[1,0,0]
	v_mov_b32_e32 v17, v9
	v_pk_add_f32 v[2:3], v[2:3], v[14:15]
	s_waitcnt vmcnt(6)
	v_mov_b32_e32 v4, v37
	v_pk_add_f32 v[2:3], v[2:3], v[16:17]
	v_mov_b32_e32 v7, v5
	s_waitcnt lgkmcnt(1)
	v_pk_mul_f32 v[4:5], v[22:23], v[4:5] op_sel_hi:[1,0]
	v_pk_add_f32 v[2:3], v[2:3], v[6:7]
	v_pk_fma_f32 v[6:7], v[22:23], v[36:37], v[4:5] op_sel:[0,0,1] op_sel_hi:[1,1,0] neg_lo:[0,0,1] neg_hi:[0,0,1]
	v_pk_fma_f32 v[4:5], v[22:23], v[36:37], v[4:5] op_sel:[0,0,1] op_sel_hi:[1,0,0]
	s_waitcnt vmcnt(5)
	v_mov_b32_e32 v4, v39
	v_mov_b32_e32 v7, v5
	v_pk_mul_f32 v[4:5], v[24:25], v[4:5] op_sel_hi:[1,0]
	v_pk_add_f32 v[2:3], v[2:3], v[6:7]
	s_waitcnt vmcnt(3)
	v_pk_fma_f32 v[6:7], v[24:25], v[38:39], v[4:5] op_sel:[0,0,1] op_sel_hi:[1,1,0] neg_lo:[0,0,1] neg_hi:[0,0,1]
	v_pk_fma_f32 v[4:5], v[24:25], v[38:39], v[4:5] op_sel:[0,0,1] op_sel_hi:[1,0,0]
	s_waitcnt vmcnt(2)
	v_mov_b32_e32 v4, v41
	v_mov_b32_e32 v7, v5
	s_waitcnt lgkmcnt(0)
	v_pk_mul_f32 v[4:5], v[44:45], v[4:5] op_sel_hi:[1,0]
	v_pk_add_f32 v[2:3], v[2:3], v[6:7]
	v_pk_fma_f32 v[6:7], v[44:45], v[40:41], v[4:5] op_sel:[0,0,1] op_sel_hi:[1,1,0] neg_lo:[0,0,1] neg_hi:[0,0,1]
	v_pk_fma_f32 v[4:5], v[44:45], v[40:41], v[4:5] op_sel:[0,0,1] op_sel_hi:[1,0,0]
	v_mov_b32_e32 v7, v5
	v_pk_add_f32 v[2:3], v[2:3], v[6:7]
	s_waitcnt vmcnt(0)
	v_pk_add_f32 v[2:3], v[42:43], v[2:3] neg_lo:[0,1] neg_hi:[0,1]
	buffer_store_dword v3, off, s[0:3], 0 offset:396
	buffer_store_dword v2, off, s[0:3], 0 offset:392
	s_and_saveexec_b64 s[4:5], vcc
	s_cbranch_execz .LBB62_295
; %bb.294:
	buffer_load_dword v2, off, s[0:3], 0 offset:384
	buffer_load_dword v3, off, s[0:3], 0 offset:388
	s_waitcnt vmcnt(0)
	ds_write_b64 v217, v[2:3]
	buffer_store_dword v1, off, s[0:3], 0 offset:384
	buffer_store_dword v1, off, s[0:3], 0 offset:388
.LBB62_295:
	s_or_b64 exec, exec, s[4:5]
	s_waitcnt lgkmcnt(0)
	; wave barrier
	s_waitcnt lgkmcnt(0)
	buffer_load_dword v48, off, s[0:3], 0 offset:396
	buffer_load_dword v50, off, s[0:3], 0 offset:404
	;; [unrolled: 1-line block ×30, first 2 shown]
	ds_read2_b64 v[2:5], v1 offset0:113 offset1:114
	ds_read2_b64 v[6:9], v1 offset0:115 offset1:116
	;; [unrolled: 1-line block ×7, first 2 shown]
	v_cmp_lt_u32_e32 vcc, 47, v0
	s_waitcnt vmcnt(29) lgkmcnt(6)
	v_mul_f32_e32 v1, v2, v48
	v_mul_f32_e32 v48, v3, v48
	s_waitcnt vmcnt(27) lgkmcnt(5)
	v_mul_f32_e32 v64, v6, v52
	s_waitcnt vmcnt(26)
	v_mul_f32_e32 v65, v8, v53
	v_mul_f32_e32 v53, v9, v53
	;; [unrolled: 1-line block ×3, first 2 shown]
	s_waitcnt vmcnt(23)
	v_mov_b32_e32 v52, v31
	v_mul_f32_e32 v63, v4, v50
	v_mul_f32_e32 v50, v5, v50
	s_waitcnt vmcnt(20)
	v_fmac_f32_e32 v1, v3, v57
	s_waitcnt vmcnt(19)
	v_fmac_f32_e32 v63, v5, v58
	v_add_f32_e32 v1, 0, v1
	s_waitcnt vmcnt(17)
	v_fma_f32 v53, v8, v60, -v53
	v_fmac_f32_e32 v65, v9, v60
	v_fma_f32 v9, v2, v57, -v48
	s_waitcnt lgkmcnt(3)
	v_pk_mul_f32 v[2:3], v[14:15], v[52:53] op_sel_hi:[1,0]
	v_fma_f32 v57, v4, v58, -v50
	v_add_f32_e32 v52, 0, v9
	s_waitcnt vmcnt(14)
	v_pk_fma_f32 v[8:9], v[14:15], v[30:31], v[2:3] op_sel:[0,0,1] op_sel_hi:[1,1,0] neg_lo:[0,0,1] neg_hi:[0,0,1]
	v_pk_fma_f32 v[2:3], v[14:15], v[30:31], v[2:3] op_sel:[0,0,1] op_sel_hi:[1,0,0]
	v_mul_f32_e32 v49, v10, v54
	v_mul_f32_e32 v51, v12, v55
	;; [unrolled: 1-line block ×4, first 2 shown]
	v_mov_b32_e32 v54, v33
	v_fmac_f32_e32 v64, v7, v59
	v_fma_f32 v58, v6, v59, -v66
	v_add_f32_e32 v1, v1, v63
	v_add_f32_e32 v2, v52, v57
	v_pk_mul_f32 v[4:5], v[16:17], v[54:55] op_sel_hi:[1,0]
	v_add_f32_e32 v1, v1, v64
	v_add_f32_e32 v2, v2, v58
	v_mov_b32_e32 v56, v35
	v_fmac_f32_e32 v49, v11, v61
	v_fma_f32 v48, v10, v61, -v67
	s_waitcnt vmcnt(10)
	v_pk_fma_f32 v[10:11], v[16:17], v[32:33], v[4:5] op_sel:[0,0,1] op_sel_hi:[1,1,0] neg_lo:[0,0,1] neg_hi:[0,0,1]
	v_pk_fma_f32 v[4:5], v[16:17], v[32:33], v[4:5] op_sel:[0,0,1] op_sel_hi:[1,0,0]
	v_mov_b32_e32 v9, v3
	v_add_f32_e32 v3, v1, v65
	v_add_f32_e32 v2, v2, v53
	v_fmac_f32_e32 v51, v13, v62
	v_fma_f32 v50, v12, v62, -v55
	s_waitcnt lgkmcnt(2)
	v_pk_mul_f32 v[6:7], v[18:19], v[56:57] op_sel_hi:[1,0]
	v_pk_add_f32 v[2:3], v[2:3], v[48:49]
	s_waitcnt vmcnt(9)
	v_mov_b32_e32 v4, v39
	v_pk_fma_f32 v[12:13], v[18:19], v[34:35], v[6:7] op_sel:[0,0,1] op_sel_hi:[1,1,0] neg_lo:[0,0,1] neg_hi:[0,0,1]
	v_pk_fma_f32 v[6:7], v[18:19], v[34:35], v[6:7] op_sel:[0,0,1] op_sel_hi:[1,0,0]
	v_mov_b32_e32 v11, v5
	v_pk_add_f32 v[2:3], v[2:3], v[50:51]
	v_pk_mul_f32 v[4:5], v[20:21], v[4:5] op_sel_hi:[1,0]
	v_mov_b32_e32 v13, v7
	v_pk_add_f32 v[2:3], v[2:3], v[8:9]
	v_pk_fma_f32 v[6:7], v[20:21], v[38:39], v[4:5] op_sel:[0,0,1] op_sel_hi:[1,1,0] neg_lo:[0,0,1] neg_hi:[0,0,1]
	v_pk_fma_f32 v[4:5], v[20:21], v[38:39], v[4:5] op_sel:[0,0,1] op_sel_hi:[1,0,0]
	v_pk_add_f32 v[2:3], v[2:3], v[10:11]
	s_waitcnt vmcnt(8)
	v_mov_b32_e32 v4, v37
	v_pk_add_f32 v[2:3], v[2:3], v[12:13]
	v_mov_b32_e32 v7, v5
	s_waitcnt lgkmcnt(1)
	v_pk_mul_f32 v[4:5], v[22:23], v[4:5] op_sel_hi:[1,0]
	v_pk_add_f32 v[2:3], v[2:3], v[6:7]
	v_pk_fma_f32 v[6:7], v[22:23], v[36:37], v[4:5] op_sel:[0,0,1] op_sel_hi:[1,1,0] neg_lo:[0,0,1] neg_hi:[0,0,1]
	v_pk_fma_f32 v[4:5], v[22:23], v[36:37], v[4:5] op_sel:[0,0,1] op_sel_hi:[1,0,0]
	s_waitcnt vmcnt(7)
	v_mov_b32_e32 v4, v41
	v_mov_b32_e32 v7, v5
	v_pk_mul_f32 v[4:5], v[24:25], v[4:5] op_sel_hi:[1,0]
	v_pk_add_f32 v[2:3], v[2:3], v[6:7]
	s_waitcnt vmcnt(4)
	v_pk_fma_f32 v[6:7], v[24:25], v[40:41], v[4:5] op_sel:[0,0,1] op_sel_hi:[1,1,0] neg_lo:[0,0,1] neg_hi:[0,0,1]
	v_pk_fma_f32 v[4:5], v[24:25], v[40:41], v[4:5] op_sel:[0,0,1] op_sel_hi:[1,0,0]
	s_waitcnt vmcnt(3)
	v_mov_b32_e32 v4, v45
	v_mov_b32_e32 v7, v5
	s_waitcnt lgkmcnt(0)
	v_pk_mul_f32 v[4:5], v[26:27], v[4:5] op_sel_hi:[1,0]
	v_pk_add_f32 v[2:3], v[2:3], v[6:7]
	v_pk_fma_f32 v[6:7], v[26:27], v[44:45], v[4:5] op_sel:[0,0,1] op_sel_hi:[1,1,0] neg_lo:[0,0,1] neg_hi:[0,0,1]
	v_pk_fma_f32 v[4:5], v[26:27], v[44:45], v[4:5] op_sel:[0,0,1] op_sel_hi:[1,0,0]
	s_waitcnt vmcnt(0)
	v_mov_b32_e32 v4, v43
	v_mov_b32_e32 v7, v5
	v_pk_mul_f32 v[4:5], v[28:29], v[4:5] op_sel_hi:[1,0]
	v_pk_add_f32 v[2:3], v[2:3], v[6:7]
	v_pk_fma_f32 v[6:7], v[28:29], v[42:43], v[4:5] op_sel:[0,0,1] op_sel_hi:[1,1,0] neg_lo:[0,0,1] neg_hi:[0,0,1]
	v_pk_fma_f32 v[4:5], v[28:29], v[42:43], v[4:5] op_sel:[0,0,1] op_sel_hi:[1,0,0]
	v_mov_b32_e32 v7, v5
	v_pk_add_f32 v[2:3], v[2:3], v[6:7]
	v_pk_add_f32 v[2:3], v[46:47], v[2:3] neg_lo:[0,1] neg_hi:[0,1]
	buffer_store_dword v3, off, s[0:3], 0 offset:388
	buffer_store_dword v2, off, s[0:3], 0 offset:384
	s_and_saveexec_b64 s[4:5], vcc
	s_cbranch_execz .LBB62_297
; %bb.296:
	buffer_load_dword v2, off, s[0:3], 0 offset:376
	buffer_load_dword v3, off, s[0:3], 0 offset:380
	v_mov_b32_e32 v1, 0
	buffer_store_dword v1, off, s[0:3], 0 offset:376
	buffer_store_dword v1, off, s[0:3], 0 offset:380
	s_waitcnt vmcnt(2)
	ds_write_b64 v217, v[2:3]
.LBB62_297:
	s_or_b64 exec, exec, s[4:5]
	s_waitcnt lgkmcnt(0)
	; wave barrier
	s_waitcnt lgkmcnt(0)
	buffer_load_dword v50, off, s[0:3], 0 offset:388
	buffer_load_dword v52, off, s[0:3], 0 offset:396
	;; [unrolled: 1-line block ×32, first 2 shown]
	v_mov_b32_e32 v1, 0
	ds_read_b128 v[2:5], v1 offset:896
	ds_read_b128 v[6:9], v1 offset:912
	;; [unrolled: 1-line block ×7, first 2 shown]
	ds_read_b64 v[48:49], v1 offset:1008
	v_cmp_lt_u32_e32 vcc, 46, v0
	s_waitcnt vmcnt(31) lgkmcnt(7)
	v_mul_f32_e32 v66, v2, v50
	s_waitcnt vmcnt(30)
	v_mul_f32_e32 v67, v4, v52
	s_waitcnt vmcnt(29) lgkmcnt(6)
	v_mul_f32_e32 v68, v6, v54
	s_waitcnt vmcnt(28)
	v_mul_f32_e32 v69, v8, v55
	v_mul_f32_e32 v50, v3, v50
	;; [unrolled: 1-line block ×4, first 2 shown]
	s_waitcnt vmcnt(24)
	v_mov_b32_e32 v54, v31
	s_waitcnt lgkmcnt(5)
	v_mul_f32_e32 v70, v10, v56
	v_mul_f32_e32 v52, v5, v52
	;; [unrolled: 1-line block ×3, first 2 shown]
	s_waitcnt vmcnt(22)
	v_fmac_f32_e32 v66, v3, v59
	s_waitcnt vmcnt(21)
	v_fmac_f32_e32 v67, v5, v60
	v_fma_f32 v5, v2, v59, -v50
	s_waitcnt lgkmcnt(4)
	v_pk_mul_f32 v[2:3], v[16:17], v[54:55] op_sel_hi:[1,0]
	s_waitcnt vmcnt(20)
	v_fmac_f32_e32 v68, v7, v61
	s_waitcnt vmcnt(19)
	v_fmac_f32_e32 v69, v9, v62
	;; [unrolled: 2-line block ×3, first 2 shown]
	v_fma_f32 v7, v4, v60, -v52
	v_fma_f32 v9, v10, v63, -v72
	v_add_f32_e32 v10, 0, v66
	v_add_f32_e32 v11, 0, v5
	s_waitcnt vmcnt(12)
	v_pk_fma_f32 v[4:5], v[16:17], v[30:31], v[2:3] op_sel:[0,0,1] op_sel_hi:[1,1,0] neg_lo:[0,0,1] neg_hi:[0,0,1]
	v_pk_fma_f32 v[2:3], v[16:17], v[30:31], v[2:3] op_sel:[0,0,1] op_sel_hi:[1,0,0]
	v_fma_f32 v6, v6, v61, -v71
	v_add_f32_e32 v2, v10, v67
	v_add_f32_e32 v7, v11, v7
	v_fma_f32 v8, v8, v62, -v55
	v_mov_b32_e32 v5, v3
	v_add_f32_e32 v2, v2, v68
	v_add_f32_e32 v3, v7, v6
	v_mul_f32_e32 v51, v12, v57
	v_mul_f32_e32 v57, v13, v57
	v_add_f32_e32 v2, v2, v69
	v_add_f32_e32 v6, v3, v8
	v_mul_f32_e32 v53, v14, v58
	v_mul_f32_e32 v58, v15, v58
	v_fmac_f32_e32 v51, v13, v64
	v_fma_f32 v50, v12, v64, -v57
	v_add_f32_e32 v3, v2, v70
	v_add_f32_e32 v2, v6, v9
	v_fmac_f32_e32 v53, v15, v65
	v_fma_f32 v52, v14, v65, -v58
	v_pk_add_f32 v[2:3], v[2:3], v[50:51]
	v_mov_b32_e32 v56, v33
	v_pk_add_f32 v[2:3], v[2:3], v[52:53]
	v_pk_add_f32 v[2:3], v[2:3], v[4:5]
	s_waitcnt lgkmcnt(3)
	v_pk_mul_f32 v[4:5], v[18:19], v[56:57] op_sel_hi:[1,0]
	v_pk_fma_f32 v[6:7], v[18:19], v[32:33], v[4:5] op_sel:[0,0,1] op_sel_hi:[1,1,0] neg_lo:[0,0,1] neg_hi:[0,0,1]
	v_pk_fma_f32 v[4:5], v[18:19], v[32:33], v[4:5] op_sel:[0,0,1] op_sel_hi:[1,0,0]
	s_waitcnt vmcnt(11)
	v_mov_b32_e32 v4, v37
	v_mov_b32_e32 v7, v5
	v_pk_mul_f32 v[4:5], v[20:21], v[4:5] op_sel_hi:[1,0]
	v_pk_add_f32 v[2:3], v[2:3], v[6:7]
	v_pk_fma_f32 v[6:7], v[20:21], v[36:37], v[4:5] op_sel:[0,0,1] op_sel_hi:[1,1,0] neg_lo:[0,0,1] neg_hi:[0,0,1]
	v_pk_fma_f32 v[4:5], v[20:21], v[36:37], v[4:5] op_sel:[0,0,1] op_sel_hi:[1,0,0]
	s_waitcnt vmcnt(10)
	v_mov_b32_e32 v4, v35
	v_mov_b32_e32 v7, v5
	s_waitcnt lgkmcnt(2)
	v_pk_mul_f32 v[4:5], v[22:23], v[4:5] op_sel_hi:[1,0]
	v_pk_add_f32 v[2:3], v[2:3], v[6:7]
	v_pk_fma_f32 v[6:7], v[22:23], v[34:35], v[4:5] op_sel:[0,0,1] op_sel_hi:[1,1,0] neg_lo:[0,0,1] neg_hi:[0,0,1]
	v_pk_fma_f32 v[4:5], v[22:23], v[34:35], v[4:5] op_sel:[0,0,1] op_sel_hi:[1,0,0]
	s_waitcnt vmcnt(9)
	v_mov_b32_e32 v4, v39
	v_mov_b32_e32 v7, v5
	v_pk_mul_f32 v[4:5], v[24:25], v[4:5] op_sel_hi:[1,0]
	v_pk_add_f32 v[2:3], v[2:3], v[6:7]
	s_waitcnt vmcnt(4)
	v_pk_fma_f32 v[6:7], v[24:25], v[38:39], v[4:5] op_sel:[0,0,1] op_sel_hi:[1,1,0] neg_lo:[0,0,1] neg_hi:[0,0,1]
	v_pk_fma_f32 v[4:5], v[24:25], v[38:39], v[4:5] op_sel:[0,0,1] op_sel_hi:[1,0,0]
	v_mov_b32_e32 v4, v45
	v_mov_b32_e32 v7, v5
	s_waitcnt lgkmcnt(1)
	v_pk_mul_f32 v[4:5], v[26:27], v[4:5] op_sel_hi:[1,0]
	v_pk_add_f32 v[2:3], v[2:3], v[6:7]
	v_pk_fma_f32 v[6:7], v[26:27], v[44:45], v[4:5] op_sel:[0,0,1] op_sel_hi:[1,1,0] neg_lo:[0,0,1] neg_hi:[0,0,1]
	v_pk_fma_f32 v[4:5], v[26:27], v[44:45], v[4:5] op_sel:[0,0,1] op_sel_hi:[1,0,0]
	s_waitcnt vmcnt(3)
	v_mov_b32_e32 v4, v43
	v_mov_b32_e32 v7, v5
	v_pk_mul_f32 v[4:5], v[28:29], v[4:5] op_sel_hi:[1,0]
	v_pk_add_f32 v[2:3], v[2:3], v[6:7]
	v_pk_fma_f32 v[6:7], v[28:29], v[42:43], v[4:5] op_sel:[0,0,1] op_sel_hi:[1,1,0] neg_lo:[0,0,1] neg_hi:[0,0,1]
	v_pk_fma_f32 v[4:5], v[28:29], v[42:43], v[4:5] op_sel:[0,0,1] op_sel_hi:[1,0,0]
	s_waitcnt vmcnt(0)
	v_mov_b32_e32 v4, v41
	v_mov_b32_e32 v7, v5
	s_waitcnt lgkmcnt(0)
	v_pk_mul_f32 v[4:5], v[48:49], v[4:5] op_sel_hi:[1,0]
	v_pk_add_f32 v[2:3], v[2:3], v[6:7]
	v_pk_fma_f32 v[6:7], v[48:49], v[40:41], v[4:5] op_sel:[0,0,1] op_sel_hi:[1,1,0] neg_lo:[0,0,1] neg_hi:[0,0,1]
	v_pk_fma_f32 v[4:5], v[48:49], v[40:41], v[4:5] op_sel:[0,0,1] op_sel_hi:[1,0,0]
	v_mov_b32_e32 v7, v5
	v_pk_add_f32 v[2:3], v[2:3], v[6:7]
	v_pk_add_f32 v[2:3], v[46:47], v[2:3] neg_lo:[0,1] neg_hi:[0,1]
	buffer_store_dword v3, off, s[0:3], 0 offset:380
	buffer_store_dword v2, off, s[0:3], 0 offset:376
	s_and_saveexec_b64 s[4:5], vcc
	s_cbranch_execz .LBB62_299
; %bb.298:
	buffer_load_dword v2, off, s[0:3], 0 offset:368
	buffer_load_dword v3, off, s[0:3], 0 offset:372
	s_waitcnt vmcnt(0)
	ds_write_b64 v217, v[2:3]
	buffer_store_dword v1, off, s[0:3], 0 offset:368
	buffer_store_dword v1, off, s[0:3], 0 offset:372
.LBB62_299:
	s_or_b64 exec, exec, s[4:5]
	s_waitcnt lgkmcnt(0)
	; wave barrier
	s_waitcnt lgkmcnt(0)
	buffer_load_dword v52, off, s[0:3], 0 offset:380
	buffer_load_dword v54, off, s[0:3], 0 offset:388
	;; [unrolled: 1-line block ×32, first 2 shown]
	ds_read2_b64 v[2:5], v1 offset0:111 offset1:112
	ds_read2_b64 v[6:9], v1 offset0:113 offset1:114
	;; [unrolled: 1-line block ×4, first 2 shown]
	buffer_load_dword v51, off, s[0:3], 0 offset:500
	buffer_load_dword v50, off, s[0:3], 0 offset:496
	ds_read2_b64 v[18:21], v1 offset0:119 offset1:120
	ds_read2_b64 v[22:25], v1 offset0:121 offset1:122
	;; [unrolled: 1-line block ×4, first 2 shown]
	v_cmp_lt_u32_e32 vcc, 45, v0
	s_waitcnt vmcnt(33) lgkmcnt(7)
	v_mul_f32_e32 v1, v2, v52
	v_mul_f32_e32 v52, v3, v52
	s_waitcnt vmcnt(32)
	v_mul_f32_e32 v70, v4, v54
	v_mul_f32_e32 v54, v5, v54
	s_waitcnt vmcnt(31) lgkmcnt(6)
	v_mul_f32_e32 v71, v6, v56
	v_mul_f32_e32 v56, v7, v56
	s_waitcnt vmcnt(30)
	v_mul_f32_e32 v72, v8, v57
	v_mul_f32_e32 v57, v9, v57
	s_waitcnt vmcnt(25)
	v_fmac_f32_e32 v1, v3, v62
	v_fma_f32 v2, v2, v62, -v52
	s_waitcnt vmcnt(24)
	v_fmac_f32_e32 v70, v5, v63
	v_fma_f32 v3, v4, v63, -v54
	v_add_f32_e32 v1, 0, v1
	v_add_f32_e32 v2, 0, v2
	s_waitcnt vmcnt(23)
	v_fmac_f32_e32 v71, v7, v64
	v_fma_f32 v4, v6, v64, -v56
	v_add_f32_e32 v1, v1, v70
	v_add_f32_e32 v2, v2, v3
	s_waitcnt lgkmcnt(5)
	v_mul_f32_e32 v73, v10, v58
	v_mul_f32_e32 v58, v11, v58
	s_waitcnt vmcnt(22)
	v_fmac_f32_e32 v72, v9, v65
	v_fma_f32 v5, v8, v65, -v57
	v_add_f32_e32 v1, v1, v71
	v_add_f32_e32 v2, v2, v4
	v_mul_f32_e32 v74, v12, v59
	v_mul_f32_e32 v59, v13, v59
	s_waitcnt vmcnt(21)
	v_fmac_f32_e32 v73, v11, v66
	v_fma_f32 v6, v10, v66, -v58
	v_add_f32_e32 v1, v1, v72
	v_add_f32_e32 v2, v2, v5
	s_waitcnt vmcnt(17)
	v_mov_b32_e32 v4, v35
	s_waitcnt lgkmcnt(4)
	v_mul_f32_e32 v53, v14, v60
	v_mul_f32_e32 v60, v15, v60
	v_fmac_f32_e32 v74, v13, v67
	v_fma_f32 v7, v12, v67, -v59
	v_add_f32_e32 v1, v1, v73
	v_add_f32_e32 v2, v2, v6
	s_waitcnt lgkmcnt(3)
	v_pk_mul_f32 v[4:5], v[18:19], v[4:5] op_sel_hi:[1,0]
	v_mul_f32_e32 v55, v16, v61
	v_mul_f32_e32 v61, v17, v61
	v_fmac_f32_e32 v53, v15, v68
	v_fma_f32 v52, v14, v68, -v60
	v_add_f32_e32 v3, v1, v74
	v_add_f32_e32 v2, v2, v7
	s_waitcnt vmcnt(14)
	v_pk_fma_f32 v[6:7], v[18:19], v[34:35], v[4:5] op_sel:[0,0,1] op_sel_hi:[1,1,0] neg_lo:[0,0,1] neg_hi:[0,0,1]
	v_pk_fma_f32 v[4:5], v[18:19], v[34:35], v[4:5] op_sel:[0,0,1] op_sel_hi:[1,0,0]
	v_fmac_f32_e32 v55, v17, v69
	v_fma_f32 v54, v16, v69, -v61
	v_pk_add_f32 v[2:3], v[2:3], v[52:53]
	s_waitcnt vmcnt(13)
	v_mov_b32_e32 v4, v39
	v_pk_add_f32 v[2:3], v[2:3], v[54:55]
	v_mov_b32_e32 v7, v5
	v_pk_mul_f32 v[4:5], v[20:21], v[4:5] op_sel_hi:[1,0]
	v_pk_add_f32 v[2:3], v[2:3], v[6:7]
	v_pk_fma_f32 v[6:7], v[20:21], v[38:39], v[4:5] op_sel:[0,0,1] op_sel_hi:[1,1,0] neg_lo:[0,0,1] neg_hi:[0,0,1]
	v_pk_fma_f32 v[4:5], v[20:21], v[38:39], v[4:5] op_sel:[0,0,1] op_sel_hi:[1,0,0]
	s_waitcnt vmcnt(12)
	v_mov_b32_e32 v4, v37
	v_mov_b32_e32 v7, v5
	s_waitcnt lgkmcnt(2)
	v_pk_mul_f32 v[4:5], v[22:23], v[4:5] op_sel_hi:[1,0]
	v_pk_add_f32 v[2:3], v[2:3], v[6:7]
	v_pk_fma_f32 v[6:7], v[22:23], v[36:37], v[4:5] op_sel:[0,0,1] op_sel_hi:[1,1,0] neg_lo:[0,0,1] neg_hi:[0,0,1]
	v_pk_fma_f32 v[4:5], v[22:23], v[36:37], v[4:5] op_sel:[0,0,1] op_sel_hi:[1,0,0]
	s_waitcnt vmcnt(11)
	v_mov_b32_e32 v4, v41
	v_mov_b32_e32 v7, v5
	v_pk_mul_f32 v[4:5], v[24:25], v[4:5] op_sel_hi:[1,0]
	v_pk_add_f32 v[2:3], v[2:3], v[6:7]
	s_waitcnt vmcnt(5)
	v_pk_fma_f32 v[6:7], v[24:25], v[40:41], v[4:5] op_sel:[0,0,1] op_sel_hi:[1,1,0] neg_lo:[0,0,1] neg_hi:[0,0,1]
	v_pk_fma_f32 v[4:5], v[24:25], v[40:41], v[4:5] op_sel:[0,0,1] op_sel_hi:[1,0,0]
	v_mov_b32_e32 v4, v47
	v_mov_b32_e32 v7, v5
	s_waitcnt lgkmcnt(1)
	v_pk_mul_f32 v[4:5], v[26:27], v[4:5] op_sel_hi:[1,0]
	v_pk_add_f32 v[2:3], v[2:3], v[6:7]
	v_pk_fma_f32 v[6:7], v[26:27], v[46:47], v[4:5] op_sel:[0,0,1] op_sel_hi:[1,1,0] neg_lo:[0,0,1] neg_hi:[0,0,1]
	v_pk_fma_f32 v[4:5], v[26:27], v[46:47], v[4:5] op_sel:[0,0,1] op_sel_hi:[1,0,0]
	v_mov_b32_e32 v4, v45
	v_mov_b32_e32 v7, v5
	v_pk_mul_f32 v[4:5], v[28:29], v[4:5] op_sel_hi:[1,0]
	v_pk_add_f32 v[2:3], v[2:3], v[6:7]
	v_pk_fma_f32 v[6:7], v[28:29], v[44:45], v[4:5] op_sel:[0,0,1] op_sel_hi:[1,1,0] neg_lo:[0,0,1] neg_hi:[0,0,1]
	v_pk_fma_f32 v[4:5], v[28:29], v[44:45], v[4:5] op_sel:[0,0,1] op_sel_hi:[1,0,0]
	s_waitcnt vmcnt(2)
	v_mov_b32_e32 v4, v43
	v_mov_b32_e32 v7, v5
	s_waitcnt lgkmcnt(0)
	v_pk_mul_f32 v[4:5], v[30:31], v[4:5] op_sel_hi:[1,0]
	v_pk_add_f32 v[2:3], v[2:3], v[6:7]
	v_pk_fma_f32 v[6:7], v[30:31], v[42:43], v[4:5] op_sel:[0,0,1] op_sel_hi:[1,1,0] neg_lo:[0,0,1] neg_hi:[0,0,1]
	v_pk_fma_f32 v[4:5], v[30:31], v[42:43], v[4:5] op_sel:[0,0,1] op_sel_hi:[1,0,0]
	s_waitcnt vmcnt(1)
	v_mov_b32_e32 v4, v51
	v_mov_b32_e32 v7, v5
	v_pk_mul_f32 v[4:5], v[32:33], v[4:5] op_sel_hi:[1,0]
	v_pk_add_f32 v[2:3], v[2:3], v[6:7]
	s_waitcnt vmcnt(0)
	v_pk_fma_f32 v[6:7], v[32:33], v[50:51], v[4:5] op_sel:[0,0,1] op_sel_hi:[1,1,0] neg_lo:[0,0,1] neg_hi:[0,0,1]
	v_pk_fma_f32 v[4:5], v[32:33], v[50:51], v[4:5] op_sel:[0,0,1] op_sel_hi:[1,0,0]
	v_mov_b32_e32 v7, v5
	v_pk_add_f32 v[2:3], v[2:3], v[6:7]
	v_pk_add_f32 v[2:3], v[48:49], v[2:3] neg_lo:[0,1] neg_hi:[0,1]
	buffer_store_dword v3, off, s[0:3], 0 offset:372
	buffer_store_dword v2, off, s[0:3], 0 offset:368
	s_and_saveexec_b64 s[4:5], vcc
	s_cbranch_execz .LBB62_301
; %bb.300:
	buffer_load_dword v2, off, s[0:3], 0 offset:360
	buffer_load_dword v3, off, s[0:3], 0 offset:364
	v_mov_b32_e32 v1, 0
	buffer_store_dword v1, off, s[0:3], 0 offset:360
	buffer_store_dword v1, off, s[0:3], 0 offset:364
	s_waitcnt vmcnt(2)
	ds_write_b64 v217, v[2:3]
.LBB62_301:
	s_or_b64 exec, exec, s[4:5]
	s_waitcnt lgkmcnt(0)
	; wave barrier
	s_waitcnt lgkmcnt(0)
	buffer_load_dword v44, off, s[0:3], 0 offset:372
	buffer_load_dword v46, off, s[0:3], 0 offset:380
	;; [unrolled: 1-line block ×36, first 2 shown]
	v_mov_b32_e32 v1, 0
	ds_read_b128 v[2:5], v1 offset:880
	ds_read_b128 v[6:9], v1 offset:896
	ds_read_b128 v[10:13], v1 offset:912
	ds_read_b128 v[14:17], v1 offset:928
	ds_read_b128 v[18:21], v1 offset:944
	ds_read_b128 v[22:25], v1 offset:960
	v_cmp_lt_u32_e32 vcc, 44, v0
	s_waitcnt vmcnt(35) lgkmcnt(5)
	v_mul_f32_e32 v64, v2, v44
	s_waitcnt vmcnt(34)
	v_mul_f32_e32 v65, v4, v46
	v_mul_f32_e32 v44, v3, v44
	s_waitcnt vmcnt(32) lgkmcnt(4)
	v_mul_f32_e32 v67, v8, v49
	v_mul_f32_e32 v49, v9, v49
	v_mul_f32_e32 v66, v6, v48
	v_mul_f32_e32 v46, v5, v46
	v_mul_f32_e32 v48, v7, v48
	s_waitcnt vmcnt(31) lgkmcnt(3)
	v_mul_f32_e32 v68, v10, v50
	s_waitcnt vmcnt(26)
	v_fmac_f32_e32 v64, v3, v55
	s_waitcnt vmcnt(25)
	v_fmac_f32_e32 v65, v5, v56
	v_fma_f32 v2, v2, v55, -v44
	s_waitcnt vmcnt(23)
	v_fma_f32 v5, v8, v58, -v49
	v_add_f32_e32 v8, 0, v64
	v_fmac_f32_e32 v66, v7, v57
	v_fma_f32 v3, v4, v56, -v46
	v_add_f32_e32 v2, 0, v2
	v_add_f32_e32 v8, v8, v65
	v_fmac_f32_e32 v67, v9, v58
	v_fma_f32 v4, v6, v57, -v48
	v_add_f32_e32 v2, v2, v3
	v_add_f32_e32 v3, v8, v66
	v_mul_f32_e32 v69, v12, v51
	v_mul_f32_e32 v50, v11, v50
	s_waitcnt vmcnt(22)
	v_fmac_f32_e32 v68, v11, v59
	v_add_f32_e32 v2, v2, v4
	v_add_f32_e32 v3, v3, v67
	s_waitcnt lgkmcnt(2)
	v_mul_f32_e32 v70, v14, v52
	v_mul_f32_e32 v51, v13, v51
	s_waitcnt vmcnt(21)
	v_fmac_f32_e32 v69, v13, v60
	v_fma_f32 v6, v10, v59, -v50
	v_add_f32_e32 v2, v2, v5
	v_add_f32_e32 v3, v3, v68
	v_mul_f32_e32 v52, v15, v52
	s_waitcnt vmcnt(20)
	v_fmac_f32_e32 v70, v15, v61
	v_fma_f32 v7, v12, v60, -v51
	v_add_f32_e32 v2, v2, v6
	v_add_f32_e32 v3, v3, v69
	v_add_f32_e32 v2, v2, v7
	v_add_f32_e32 v11, v3, v70
	v_fma_f32 v3, v14, v61, -v52
	s_waitcnt vmcnt(17)
	v_mov_b32_e32 v14, v27
	v_mul_f32_e32 v45, v16, v53
	v_add_f32_e32 v10, v2, v3
	v_mul_f32_e32 v2, v17, v53
	s_waitcnt lgkmcnt(1)
	v_pk_mul_f32 v[14:15], v[20:21], v[14:15] op_sel_hi:[1,0]
	v_mul_f32_e32 v47, v18, v54
	v_fmac_f32_e32 v45, v17, v62
	v_fma_f32 v44, v16, v62, -v2
	v_mul_f32_e32 v2, v19, v54
	s_waitcnt vmcnt(15)
	v_pk_fma_f32 v[16:17], v[20:21], v[26:27], v[14:15] op_sel:[0,0,1] op_sel_hi:[1,1,0] neg_lo:[0,0,1] neg_hi:[0,0,1]
	v_pk_fma_f32 v[14:15], v[20:21], v[26:27], v[14:15] op_sel:[0,0,1] op_sel_hi:[1,0,0]
	v_fmac_f32_e32 v47, v19, v63
	v_fma_f32 v46, v18, v63, -v2
	v_pk_add_f32 v[10:11], v[10:11], v[44:45]
	s_waitcnt vmcnt(12)
	v_mov_b32_e32 v14, v29
	v_pk_add_f32 v[10:11], v[10:11], v[46:47]
	v_mov_b32_e32 v17, v15
	s_waitcnt lgkmcnt(0)
	v_pk_mul_f32 v[14:15], v[22:23], v[14:15] op_sel_hi:[1,0]
	v_pk_add_f32 v[10:11], v[10:11], v[16:17]
	v_pk_fma_f32 v[16:17], v[22:23], v[28:29], v[14:15] op_sel:[0,0,1] op_sel_hi:[1,1,0] neg_lo:[0,0,1] neg_hi:[0,0,1]
	v_pk_fma_f32 v[14:15], v[22:23], v[28:29], v[14:15] op_sel:[0,0,1] op_sel_hi:[1,0,0]
	s_waitcnt vmcnt(11)
	v_mov_b32_e32 v14, v33
	ds_read_b128 v[2:5], v1 offset:976
	ds_read_b128 v[6:9], v1 offset:992
	ds_read_b64 v[12:13], v1 offset:1008
	v_mov_b32_e32 v17, v15
	v_pk_mul_f32 v[14:15], v[24:25], v[14:15] op_sel_hi:[1,0]
	v_pk_add_f32 v[10:11], v[10:11], v[16:17]
	s_waitcnt vmcnt(4)
	v_pk_fma_f32 v[16:17], v[24:25], v[32:33], v[14:15] op_sel:[0,0,1] op_sel_hi:[1,1,0] neg_lo:[0,0,1] neg_hi:[0,0,1]
	v_pk_fma_f32 v[14:15], v[24:25], v[32:33], v[14:15] op_sel:[0,0,1] op_sel_hi:[1,0,0]
	v_mov_b32_e32 v14, v39
	v_mov_b32_e32 v17, v15
	s_waitcnt lgkmcnt(2)
	v_pk_mul_f32 v[14:15], v[2:3], v[14:15] op_sel_hi:[1,0]
	v_pk_add_f32 v[10:11], v[10:11], v[16:17]
	v_pk_fma_f32 v[16:17], v[2:3], v[38:39], v[14:15] op_sel:[0,0,1] op_sel_hi:[1,1,0] neg_lo:[0,0,1] neg_hi:[0,0,1]
	v_pk_fma_f32 v[2:3], v[2:3], v[38:39], v[14:15] op_sel:[0,0,1] op_sel_hi:[1,0,0]
	v_mov_b32_e32 v17, v3
	v_pk_add_f32 v[2:3], v[10:11], v[16:17]
	v_mov_b32_e32 v10, v37
	v_pk_mul_f32 v[10:11], v[4:5], v[10:11] op_sel_hi:[1,0]
	v_pk_fma_f32 v[14:15], v[4:5], v[36:37], v[10:11] op_sel:[0,0,1] op_sel_hi:[1,1,0] neg_lo:[0,0,1] neg_hi:[0,0,1]
	v_pk_fma_f32 v[4:5], v[4:5], v[36:37], v[10:11] op_sel:[0,0,1] op_sel_hi:[1,0,0]
	v_mov_b32_e32 v4, v35
	v_mov_b32_e32 v15, v5
	s_waitcnt lgkmcnt(1)
	v_pk_mul_f32 v[4:5], v[6:7], v[4:5] op_sel_hi:[1,0]
	v_pk_fma_f32 v[10:11], v[6:7], v[34:35], v[4:5] op_sel:[0,0,1] op_sel_hi:[1,1,0] neg_lo:[0,0,1] neg_hi:[0,0,1]
	v_pk_fma_f32 v[4:5], v[6:7], v[34:35], v[4:5] op_sel:[0,0,1] op_sel_hi:[1,0,0]
	s_waitcnt vmcnt(1)
	v_mov_b32_e32 v4, v43
	v_mov_b32_e32 v11, v5
	v_pk_mul_f32 v[4:5], v[8:9], v[4:5] op_sel_hi:[1,0]
	s_waitcnt vmcnt(0)
	v_pk_fma_f32 v[6:7], v[8:9], v[42:43], v[4:5] op_sel:[0,0,1] op_sel_hi:[1,1,0] neg_lo:[0,0,1] neg_hi:[0,0,1]
	v_pk_fma_f32 v[4:5], v[8:9], v[42:43], v[4:5] op_sel:[0,0,1] op_sel_hi:[1,0,0]
	v_pk_add_f32 v[2:3], v[2:3], v[14:15]
	v_mov_b32_e32 v4, v41
	v_pk_add_f32 v[2:3], v[2:3], v[10:11]
	v_mov_b32_e32 v7, v5
	s_waitcnt lgkmcnt(0)
	v_pk_mul_f32 v[4:5], v[12:13], v[4:5] op_sel_hi:[1,0]
	v_pk_add_f32 v[2:3], v[2:3], v[6:7]
	v_pk_fma_f32 v[6:7], v[12:13], v[40:41], v[4:5] op_sel:[0,0,1] op_sel_hi:[1,1,0] neg_lo:[0,0,1] neg_hi:[0,0,1]
	v_pk_fma_f32 v[4:5], v[12:13], v[40:41], v[4:5] op_sel:[0,0,1] op_sel_hi:[1,0,0]
	v_mov_b32_e32 v7, v5
	v_pk_add_f32 v[2:3], v[2:3], v[6:7]
	v_pk_add_f32 v[2:3], v[30:31], v[2:3] neg_lo:[0,1] neg_hi:[0,1]
	buffer_store_dword v3, off, s[0:3], 0 offset:364
	buffer_store_dword v2, off, s[0:3], 0 offset:360
	s_and_saveexec_b64 s[4:5], vcc
	s_cbranch_execz .LBB62_303
; %bb.302:
	buffer_load_dword v2, off, s[0:3], 0 offset:352
	buffer_load_dword v3, off, s[0:3], 0 offset:356
	s_waitcnt vmcnt(0)
	ds_write_b64 v217, v[2:3]
	buffer_store_dword v1, off, s[0:3], 0 offset:352
	buffer_store_dword v1, off, s[0:3], 0 offset:356
.LBB62_303:
	s_or_b64 exec, exec, s[4:5]
	s_waitcnt lgkmcnt(0)
	; wave barrier
	s_waitcnt lgkmcnt(0)
	buffer_load_dword v44, off, s[0:3], 0 offset:364
	buffer_load_dword v46, off, s[0:3], 0 offset:372
	buffer_load_dword v48, off, s[0:3], 0 offset:380
	buffer_load_dword v49, off, s[0:3], 0 offset:388
	buffer_load_dword v50, off, s[0:3], 0 offset:396
	buffer_load_dword v51, off, s[0:3], 0 offset:404
	buffer_load_dword v52, off, s[0:3], 0 offset:412
	buffer_load_dword v53, off, s[0:3], 0 offset:420
	buffer_load_dword v54, off, s[0:3], 0 offset:428
	buffer_load_dword v55, off, s[0:3], 0 offset:436
	buffer_load_dword v56, off, s[0:3], 0 offset:360
	buffer_load_dword v57, off, s[0:3], 0 offset:368
	buffer_load_dword v58, off, s[0:3], 0 offset:376
	buffer_load_dword v59, off, s[0:3], 0 offset:384
	buffer_load_dword v60, off, s[0:3], 0 offset:392
	buffer_load_dword v61, off, s[0:3], 0 offset:400
	buffer_load_dword v62, off, s[0:3], 0 offset:408
	buffer_load_dword v63, off, s[0:3], 0 offset:416
	buffer_load_dword v64, off, s[0:3], 0 offset:424
	buffer_load_dword v65, off, s[0:3], 0 offset:432
	buffer_load_dword v26, off, s[0:3], 0 offset:352
	buffer_load_dword v27, off, s[0:3], 0 offset:356
	ds_read2_b64 v[2:5], v1 offset0:109 offset1:110
	ds_read2_b64 v[6:9], v1 offset0:111 offset1:112
	buffer_load_dword v29, off, s[0:3], 0 offset:444
	buffer_load_dword v28, off, s[0:3], 0 offset:440
	;; [unrolled: 1-line block ×10, first 2 shown]
	ds_read2_b64 v[10:13], v1 offset0:113 offset1:114
	ds_read2_b64 v[14:17], v1 offset0:115 offset1:116
	;; [unrolled: 1-line block ×4, first 2 shown]
	buffer_load_dword v39, off, s[0:3], 0 offset:500
	buffer_load_dword v38, off, s[0:3], 0 offset:496
	;; [unrolled: 1-line block ×6, first 2 shown]
	v_cmp_lt_u32_e32 vcc, 43, v0
	s_waitcnt vmcnt(37) lgkmcnt(5)
	v_mul_f32_e32 v66, v2, v44
	s_waitcnt vmcnt(36)
	v_mul_f32_e32 v67, v4, v46
	s_waitcnt vmcnt(35) lgkmcnt(4)
	v_mul_f32_e32 v68, v6, v48
	v_mul_f32_e32 v44, v3, v44
	;; [unrolled: 1-line block ×4, first 2 shown]
	s_waitcnt vmcnt(34)
	v_mul_f32_e32 v69, v8, v49
	s_waitcnt vmcnt(33) lgkmcnt(3)
	v_mul_f32_e32 v70, v10, v50
	s_waitcnt vmcnt(32)
	v_mul_f32_e32 v71, v12, v51
	s_waitcnt vmcnt(31) lgkmcnt(2)
	v_mul_f32_e32 v72, v14, v52
	s_waitcnt vmcnt(27)
	v_fmac_f32_e32 v66, v3, v56
	s_waitcnt vmcnt(26)
	v_fmac_f32_e32 v67, v5, v57
	;; [unrolled: 2-line block ×3, first 2 shown]
	v_fma_f32 v2, v2, v56, -v44
	v_add_f32_e32 v7, 0, v66
	v_fma_f32 v3, v4, v57, -v46
	v_add_f32_e32 v2, 0, v2
	v_add_f32_e32 v7, v7, v67
	s_waitcnt vmcnt(24)
	v_fmac_f32_e32 v69, v9, v59
	v_add_f32_e32 v2, v2, v3
	v_add_f32_e32 v3, v7, v68
	s_waitcnt vmcnt(23)
	v_fmac_f32_e32 v70, v11, v60
	v_add_f32_e32 v3, v3, v69
	v_mul_f32_e32 v49, v9, v49
	s_waitcnt vmcnt(22)
	v_fmac_f32_e32 v71, v13, v61
	v_fma_f32 v4, v6, v58, -v48
	v_add_f32_e32 v3, v3, v70
	v_mul_f32_e32 v73, v16, v53
	v_mul_f32_e32 v50, v11, v50
	s_waitcnt vmcnt(21)
	v_fmac_f32_e32 v72, v15, v62
	v_fma_f32 v5, v8, v59, -v49
	v_add_f32_e32 v2, v2, v4
	v_add_f32_e32 v3, v3, v71
	v_mul_f32_e32 v51, v13, v51
	s_waitcnt vmcnt(20)
	v_fmac_f32_e32 v73, v17, v63
	v_fma_f32 v6, v10, v60, -v50
	v_add_f32_e32 v2, v2, v5
	v_add_f32_e32 v3, v3, v72
	;; [unrolled: 1-line block ×4, first 2 shown]
	v_fma_f32 v3, v12, v61, -v51
	v_add_f32_e32 v2, v2, v3
	v_mul_f32_e32 v3, v15, v52
	v_fma_f32 v3, v14, v62, -v3
	v_add_f32_e32 v2, v2, v3
	v_mul_f32_e32 v3, v17, v53
	v_fma_f32 v3, v16, v63, -v3
	s_waitcnt vmcnt(15)
	v_mov_b32_e32 v16, v29
	s_waitcnt lgkmcnt(1)
	v_mul_f32_e32 v45, v18, v54
	v_add_f32_e32 v48, v2, v3
	v_mul_f32_e32 v2, v19, v54
	s_waitcnt lgkmcnt(0)
	v_pk_mul_f32 v[16:17], v[22:23], v[16:17] op_sel_hi:[1,0]
	v_mul_f32_e32 v47, v20, v55
	v_fmac_f32_e32 v45, v19, v64
	v_fma_f32 v44, v18, v64, -v2
	v_mul_f32_e32 v2, v21, v55
	s_waitcnt vmcnt(14)
	v_pk_fma_f32 v[18:19], v[22:23], v[28:29], v[16:17] op_sel:[0,0,1] op_sel_hi:[1,1,0] neg_lo:[0,0,1] neg_hi:[0,0,1]
	v_pk_fma_f32 v[16:17], v[22:23], v[28:29], v[16:17] op_sel:[0,0,1] op_sel_hi:[1,0,0]
	v_fmac_f32_e32 v47, v21, v65
	v_fma_f32 v46, v20, v65, -v2
	v_pk_add_f32 v[14:15], v[48:49], v[44:45]
	s_waitcnt vmcnt(13)
	v_mov_b32_e32 v16, v31
	ds_read2_b64 v[2:5], v1 offset0:121 offset1:122
	ds_read2_b64 v[6:9], v1 offset0:123 offset1:124
	;; [unrolled: 1-line block ×3, first 2 shown]
	v_pk_add_f32 v[14:15], v[14:15], v[46:47]
	v_mov_b32_e32 v19, v17
	v_pk_mul_f32 v[16:17], v[24:25], v[16:17] op_sel_hi:[1,0]
	v_pk_add_f32 v[14:15], v[14:15], v[18:19]
	s_waitcnt vmcnt(6)
	v_pk_fma_f32 v[18:19], v[24:25], v[30:31], v[16:17] op_sel:[0,0,1] op_sel_hi:[1,1,0] neg_lo:[0,0,1] neg_hi:[0,0,1]
	v_pk_fma_f32 v[16:17], v[24:25], v[30:31], v[16:17] op_sel:[0,0,1] op_sel_hi:[1,0,0]
	v_mov_b32_e32 v16, v37
	v_mov_b32_e32 v19, v17
	s_waitcnt lgkmcnt(2)
	v_pk_mul_f32 v[16:17], v[2:3], v[16:17] op_sel_hi:[1,0]
	v_pk_add_f32 v[14:15], v[14:15], v[18:19]
	v_pk_fma_f32 v[18:19], v[2:3], v[36:37], v[16:17] op_sel:[0,0,1] op_sel_hi:[1,1,0] neg_lo:[0,0,1] neg_hi:[0,0,1]
	v_pk_fma_f32 v[2:3], v[2:3], v[36:37], v[16:17] op_sel:[0,0,1] op_sel_hi:[1,0,0]
	v_mov_b32_e32 v19, v3
	v_pk_add_f32 v[2:3], v[14:15], v[18:19]
	v_mov_b32_e32 v14, v35
	v_pk_mul_f32 v[14:15], v[4:5], v[14:15] op_sel_hi:[1,0]
	v_pk_fma_f32 v[16:17], v[4:5], v[34:35], v[14:15] op_sel:[0,0,1] op_sel_hi:[1,1,0] neg_lo:[0,0,1] neg_hi:[0,0,1]
	v_pk_fma_f32 v[4:5], v[4:5], v[34:35], v[14:15] op_sel:[0,0,1] op_sel_hi:[1,0,0]
	v_mov_b32_e32 v4, v33
	v_mov_b32_e32 v17, v5
	s_waitcnt lgkmcnt(1)
	v_pk_mul_f32 v[4:5], v[6:7], v[4:5] op_sel_hi:[1,0]
	v_pk_fma_f32 v[14:15], v[6:7], v[32:33], v[4:5] op_sel:[0,0,1] op_sel_hi:[1,1,0] neg_lo:[0,0,1] neg_hi:[0,0,1]
	v_pk_fma_f32 v[4:5], v[6:7], v[32:33], v[4:5] op_sel:[0,0,1] op_sel_hi:[1,0,0]
	s_waitcnt vmcnt(1)
	v_mov_b32_e32 v4, v43
	v_mov_b32_e32 v15, v5
	v_pk_mul_f32 v[4:5], v[8:9], v[4:5] op_sel_hi:[1,0]
	s_waitcnt vmcnt(0)
	v_pk_fma_f32 v[6:7], v[8:9], v[42:43], v[4:5] op_sel:[0,0,1] op_sel_hi:[1,1,0] neg_lo:[0,0,1] neg_hi:[0,0,1]
	v_pk_fma_f32 v[4:5], v[8:9], v[42:43], v[4:5] op_sel:[0,0,1] op_sel_hi:[1,0,0]
	v_pk_add_f32 v[2:3], v[2:3], v[16:17]
	v_mov_b32_e32 v4, v41
	v_pk_add_f32 v[2:3], v[2:3], v[14:15]
	v_mov_b32_e32 v7, v5
	s_waitcnt lgkmcnt(0)
	v_pk_mul_f32 v[4:5], v[10:11], v[4:5] op_sel_hi:[1,0]
	v_pk_add_f32 v[2:3], v[2:3], v[6:7]
	v_pk_fma_f32 v[6:7], v[10:11], v[40:41], v[4:5] op_sel:[0,0,1] op_sel_hi:[1,1,0] neg_lo:[0,0,1] neg_hi:[0,0,1]
	v_pk_fma_f32 v[4:5], v[10:11], v[40:41], v[4:5] op_sel:[0,0,1] op_sel_hi:[1,0,0]
	v_mov_b32_e32 v4, v39
	v_mov_b32_e32 v7, v5
	v_pk_mul_f32 v[4:5], v[12:13], v[4:5] op_sel_hi:[1,0]
	v_pk_add_f32 v[2:3], v[2:3], v[6:7]
	v_pk_fma_f32 v[6:7], v[12:13], v[38:39], v[4:5] op_sel:[0,0,1] op_sel_hi:[1,1,0] neg_lo:[0,0,1] neg_hi:[0,0,1]
	v_pk_fma_f32 v[4:5], v[12:13], v[38:39], v[4:5] op_sel:[0,0,1] op_sel_hi:[1,0,0]
	v_mov_b32_e32 v7, v5
	v_pk_add_f32 v[2:3], v[2:3], v[6:7]
	v_pk_add_f32 v[2:3], v[26:27], v[2:3] neg_lo:[0,1] neg_hi:[0,1]
	buffer_store_dword v3, off, s[0:3], 0 offset:356
	buffer_store_dword v2, off, s[0:3], 0 offset:352
	s_and_saveexec_b64 s[4:5], vcc
	s_cbranch_execz .LBB62_305
; %bb.304:
	buffer_load_dword v2, off, s[0:3], 0 offset:344
	buffer_load_dword v3, off, s[0:3], 0 offset:348
	v_mov_b32_e32 v1, 0
	buffer_store_dword v1, off, s[0:3], 0 offset:344
	buffer_store_dword v1, off, s[0:3], 0 offset:348
	s_waitcnt vmcnt(2)
	ds_write_b64 v217, v[2:3]
.LBB62_305:
	s_or_b64 exec, exec, s[4:5]
	s_waitcnt lgkmcnt(0)
	; wave barrier
	s_waitcnt lgkmcnt(0)
	buffer_load_dword v44, off, s[0:3], 0 offset:356
	buffer_load_dword v46, off, s[0:3], 0 offset:364
	buffer_load_dword v48, off, s[0:3], 0 offset:372
	buffer_load_dword v49, off, s[0:3], 0 offset:380
	buffer_load_dword v50, off, s[0:3], 0 offset:388
	buffer_load_dword v51, off, s[0:3], 0 offset:396
	buffer_load_dword v52, off, s[0:3], 0 offset:404
	buffer_load_dword v53, off, s[0:3], 0 offset:412
	buffer_load_dword v54, off, s[0:3], 0 offset:420
	buffer_load_dword v55, off, s[0:3], 0 offset:428
	buffer_load_dword v56, off, s[0:3], 0 offset:436
	buffer_load_dword v57, off, s[0:3], 0 offset:352
	buffer_load_dword v58, off, s[0:3], 0 offset:360
	buffer_load_dword v59, off, s[0:3], 0 offset:368
	buffer_load_dword v60, off, s[0:3], 0 offset:376
	buffer_load_dword v61, off, s[0:3], 0 offset:384
	buffer_load_dword v62, off, s[0:3], 0 offset:392
	buffer_load_dword v63, off, s[0:3], 0 offset:400
	buffer_load_dword v64, off, s[0:3], 0 offset:408
	buffer_load_dword v65, off, s[0:3], 0 offset:416
	buffer_load_dword v66, off, s[0:3], 0 offset:424
	buffer_load_dword v67, off, s[0:3], 0 offset:432
	buffer_load_dword v26, off, s[0:3], 0 offset:344
	buffer_load_dword v27, off, s[0:3], 0 offset:348
	buffer_load_dword v29, off, s[0:3], 0 offset:468
	buffer_load_dword v28, off, s[0:3], 0 offset:464
	buffer_load_dword v31, off, s[0:3], 0 offset:460
	buffer_load_dword v30, off, s[0:3], 0 offset:456
	buffer_load_dword v33, off, s[0:3], 0 offset:452
	buffer_load_dword v32, off, s[0:3], 0 offset:448
	buffer_load_dword v35, off, s[0:3], 0 offset:444
	buffer_load_dword v34, off, s[0:3], 0 offset:440
	buffer_load_dword v37, off, s[0:3], 0 offset:500
	buffer_load_dword v36, off, s[0:3], 0 offset:496
	buffer_load_dword v39, off, s[0:3], 0 offset:492
	buffer_load_dword v38, off, s[0:3], 0 offset:488
	buffer_load_dword v41, off, s[0:3], 0 offset:484
	buffer_load_dword v40, off, s[0:3], 0 offset:480
	buffer_load_dword v43, off, s[0:3], 0 offset:476
	buffer_load_dword v42, off, s[0:3], 0 offset:472
	v_mov_b32_e32 v1, 0
	ds_read_b128 v[2:5], v1 offset:864
	ds_read_b128 v[6:9], v1 offset:880
	;; [unrolled: 1-line block ×6, first 2 shown]
	v_cmp_lt_u32_e32 vcc, 42, v0
	s_waitcnt vmcnt(39) lgkmcnt(5)
	v_mul_f32_e32 v68, v2, v44
	s_waitcnt vmcnt(38)
	v_mul_f32_e32 v69, v4, v46
	s_waitcnt vmcnt(37) lgkmcnt(4)
	v_mul_f32_e32 v70, v6, v48
	v_mul_f32_e32 v44, v3, v44
	;; [unrolled: 1-line block ×4, first 2 shown]
	s_waitcnt vmcnt(36)
	v_mul_f32_e32 v71, v8, v49
	s_waitcnt vmcnt(35) lgkmcnt(3)
	v_mul_f32_e32 v72, v10, v50
	s_waitcnt vmcnt(34)
	v_mul_f32_e32 v73, v12, v51
	s_waitcnt vmcnt(33) lgkmcnt(2)
	v_mul_f32_e32 v74, v14, v52
	s_waitcnt vmcnt(32)
	v_mul_f32_e32 v75, v16, v53
	s_waitcnt vmcnt(28)
	v_fmac_f32_e32 v68, v3, v57
	s_waitcnt vmcnt(27)
	v_fmac_f32_e32 v69, v5, v58
	v_fma_f32 v2, v2, v57, -v44
	v_fma_f32 v3, v4, v58, -v46
	s_waitcnt vmcnt(26)
	v_fma_f32 v4, v6, v59, -v48
	v_add_f32_e32 v6, 0, v68
	v_fmac_f32_e32 v70, v7, v59
	v_add_f32_e32 v2, 0, v2
	v_add_f32_e32 v6, v6, v69
	s_waitcnt vmcnt(25)
	v_fmac_f32_e32 v71, v9, v60
	v_add_f32_e32 v2, v2, v3
	v_add_f32_e32 v3, v6, v70
	s_waitcnt vmcnt(24)
	v_fmac_f32_e32 v72, v11, v61
	v_add_f32_e32 v3, v3, v71
	s_waitcnt vmcnt(23)
	v_fmac_f32_e32 v73, v13, v62
	v_add_f32_e32 v3, v3, v72
	s_waitcnt vmcnt(22)
	v_fmac_f32_e32 v74, v15, v63
	v_add_f32_e32 v3, v3, v73
	s_waitcnt lgkmcnt(1)
	v_mul_f32_e32 v76, v18, v54
	s_waitcnt vmcnt(21)
	v_fmac_f32_e32 v75, v17, v64
	v_add_f32_e32 v3, v3, v74
	v_mul_f32_e32 v49, v9, v49
	s_waitcnt vmcnt(20)
	v_fmac_f32_e32 v76, v19, v65
	v_add_f32_e32 v3, v3, v75
	v_fma_f32 v5, v8, v60, -v49
	v_add_f32_e32 v2, v2, v4
	v_add_f32_e32 v49, v3, v76
	v_mul_f32_e32 v3, v11, v50
	v_add_f32_e32 v2, v2, v5
	v_fma_f32 v3, v10, v61, -v3
	v_add_f32_e32 v2, v2, v3
	v_mul_f32_e32 v3, v13, v51
	v_fma_f32 v3, v12, v62, -v3
	v_add_f32_e32 v2, v2, v3
	v_mul_f32_e32 v3, v15, v52
	;; [unrolled: 3-line block ×5, first 2 shown]
	s_waitcnt vmcnt(9)
	v_mov_b32_e32 v18, v35
	v_mul_f32_e32 v45, v20, v55
	v_fma_f32 v44, v20, v66, -v2
	s_waitcnt lgkmcnt(0)
	v_mul_f32_e32 v2, v23, v56
	v_pk_mul_f32 v[18:19], v[24:25], v[18:19] op_sel_hi:[1,0]
	v_mul_f32_e32 v47, v22, v56
	v_fmac_f32_e32 v45, v21, v66
	v_fma_f32 v46, v22, v67, -v2
	ds_read_b128 v[2:5], v1 offset:960
	ds_read_b128 v[6:9], v1 offset:976
	;; [unrolled: 1-line block ×3, first 2 shown]
	ds_read_b64 v[14:15], v1 offset:1008
	s_waitcnt vmcnt(8)
	v_pk_fma_f32 v[20:21], v[24:25], v[34:35], v[18:19] op_sel:[0,0,1] op_sel_hi:[1,1,0] neg_lo:[0,0,1] neg_hi:[0,0,1]
	v_pk_fma_f32 v[18:19], v[24:25], v[34:35], v[18:19] op_sel:[0,0,1] op_sel_hi:[1,0,0]
	v_fmac_f32_e32 v47, v23, v67
	v_pk_add_f32 v[16:17], v[48:49], v[44:45]
	v_mov_b32_e32 v18, v33
	v_pk_add_f32 v[16:17], v[16:17], v[46:47]
	v_mov_b32_e32 v21, v19
	s_waitcnt lgkmcnt(3)
	v_pk_mul_f32 v[18:19], v[2:3], v[18:19] op_sel_hi:[1,0]
	v_pk_add_f32 v[16:17], v[16:17], v[20:21]
	v_pk_fma_f32 v[20:21], v[2:3], v[32:33], v[18:19] op_sel:[0,0,1] op_sel_hi:[1,1,0] neg_lo:[0,0,1] neg_hi:[0,0,1]
	v_pk_fma_f32 v[2:3], v[2:3], v[32:33], v[18:19] op_sel:[0,0,1] op_sel_hi:[1,0,0]
	v_mov_b32_e32 v21, v3
	v_pk_add_f32 v[2:3], v[16:17], v[20:21]
	v_mov_b32_e32 v16, v31
	v_pk_mul_f32 v[16:17], v[4:5], v[16:17] op_sel_hi:[1,0]
	v_pk_fma_f32 v[18:19], v[4:5], v[30:31], v[16:17] op_sel:[0,0,1] op_sel_hi:[1,1,0] neg_lo:[0,0,1] neg_hi:[0,0,1]
	v_pk_fma_f32 v[4:5], v[4:5], v[30:31], v[16:17] op_sel:[0,0,1] op_sel_hi:[1,0,0]
	v_mov_b32_e32 v4, v29
	v_mov_b32_e32 v19, v5
	s_waitcnt lgkmcnt(2)
	v_pk_mul_f32 v[4:5], v[6:7], v[4:5] op_sel_hi:[1,0]
	v_pk_fma_f32 v[16:17], v[6:7], v[28:29], v[4:5] op_sel:[0,0,1] op_sel_hi:[1,1,0] neg_lo:[0,0,1] neg_hi:[0,0,1]
	v_pk_fma_f32 v[4:5], v[6:7], v[28:29], v[4:5] op_sel:[0,0,1] op_sel_hi:[1,0,0]
	s_waitcnt vmcnt(1)
	v_mov_b32_e32 v4, v43
	v_mov_b32_e32 v17, v5
	v_pk_mul_f32 v[4:5], v[8:9], v[4:5] op_sel_hi:[1,0]
	s_waitcnt vmcnt(0)
	v_pk_fma_f32 v[6:7], v[8:9], v[42:43], v[4:5] op_sel:[0,0,1] op_sel_hi:[1,1,0] neg_lo:[0,0,1] neg_hi:[0,0,1]
	v_pk_fma_f32 v[4:5], v[8:9], v[42:43], v[4:5] op_sel:[0,0,1] op_sel_hi:[1,0,0]
	v_pk_add_f32 v[2:3], v[2:3], v[18:19]
	v_mov_b32_e32 v4, v41
	v_pk_add_f32 v[2:3], v[2:3], v[16:17]
	v_mov_b32_e32 v7, v5
	s_waitcnt lgkmcnt(1)
	v_pk_mul_f32 v[4:5], v[10:11], v[4:5] op_sel_hi:[1,0]
	v_pk_add_f32 v[2:3], v[2:3], v[6:7]
	v_pk_fma_f32 v[6:7], v[10:11], v[40:41], v[4:5] op_sel:[0,0,1] op_sel_hi:[1,1,0] neg_lo:[0,0,1] neg_hi:[0,0,1]
	v_pk_fma_f32 v[4:5], v[10:11], v[40:41], v[4:5] op_sel:[0,0,1] op_sel_hi:[1,0,0]
	v_mov_b32_e32 v4, v39
	v_mov_b32_e32 v7, v5
	v_pk_mul_f32 v[4:5], v[12:13], v[4:5] op_sel_hi:[1,0]
	v_pk_add_f32 v[2:3], v[2:3], v[6:7]
	v_pk_fma_f32 v[6:7], v[12:13], v[38:39], v[4:5] op_sel:[0,0,1] op_sel_hi:[1,1,0] neg_lo:[0,0,1] neg_hi:[0,0,1]
	v_pk_fma_f32 v[4:5], v[12:13], v[38:39], v[4:5] op_sel:[0,0,1] op_sel_hi:[1,0,0]
	v_mov_b32_e32 v4, v37
	v_mov_b32_e32 v7, v5
	s_waitcnt lgkmcnt(0)
	v_pk_mul_f32 v[4:5], v[14:15], v[4:5] op_sel_hi:[1,0]
	v_pk_add_f32 v[2:3], v[2:3], v[6:7]
	v_pk_fma_f32 v[6:7], v[14:15], v[36:37], v[4:5] op_sel:[0,0,1] op_sel_hi:[1,1,0] neg_lo:[0,0,1] neg_hi:[0,0,1]
	v_pk_fma_f32 v[4:5], v[14:15], v[36:37], v[4:5] op_sel:[0,0,1] op_sel_hi:[1,0,0]
	v_mov_b32_e32 v7, v5
	v_pk_add_f32 v[2:3], v[2:3], v[6:7]
	v_pk_add_f32 v[2:3], v[26:27], v[2:3] neg_lo:[0,1] neg_hi:[0,1]
	buffer_store_dword v3, off, s[0:3], 0 offset:348
	buffer_store_dword v2, off, s[0:3], 0 offset:344
	s_and_saveexec_b64 s[4:5], vcc
	s_cbranch_execz .LBB62_307
; %bb.306:
	buffer_load_dword v2, off, s[0:3], 0 offset:336
	buffer_load_dword v3, off, s[0:3], 0 offset:340
	s_waitcnt vmcnt(0)
	ds_write_b64 v217, v[2:3]
	buffer_store_dword v1, off, s[0:3], 0 offset:336
	buffer_store_dword v1, off, s[0:3], 0 offset:340
.LBB62_307:
	s_or_b64 exec, exec, s[4:5]
	s_waitcnt lgkmcnt(0)
	; wave barrier
	s_waitcnt lgkmcnt(0)
	buffer_load_dword v44, off, s[0:3], 0 offset:348
	buffer_load_dword v46, off, s[0:3], 0 offset:356
	;; [unrolled: 1-line block ×26, first 2 shown]
	ds_read2_b64 v[2:5], v1 offset0:107 offset1:108
	ds_read2_b64 v[6:9], v1 offset0:109 offset1:110
	;; [unrolled: 1-line block ×6, first 2 shown]
	buffer_load_dword v29, off, s[0:3], 0 offset:460
	buffer_load_dword v28, off, s[0:3], 0 offset:456
	;; [unrolled: 1-line block ×16, first 2 shown]
	v_cmp_lt_u32_e32 vcc, 41, v0
	s_waitcnt vmcnt(41) lgkmcnt(5)
	v_mul_f32_e32 v70, v2, v44
	s_waitcnt vmcnt(40)
	v_mul_f32_e32 v71, v4, v46
	v_mul_f32_e32 v44, v3, v44
	s_waitcnt vmcnt(39) lgkmcnt(4)
	v_mul_f32_e32 v72, v6, v48
	v_mul_f32_e32 v46, v5, v46
	s_waitcnt vmcnt(38)
	v_mul_f32_e32 v73, v8, v50
	s_waitcnt vmcnt(37) lgkmcnt(3)
	v_mul_f32_e32 v74, v10, v51
	s_waitcnt vmcnt(36)
	v_mul_f32_e32 v75, v12, v52
	s_waitcnt vmcnt(35) lgkmcnt(2)
	v_mul_f32_e32 v76, v14, v53
	s_waitcnt vmcnt(34)
	v_mul_f32_e32 v77, v16, v54
	s_waitcnt vmcnt(33) lgkmcnt(1)
	v_mul_f32_e32 v78, v18, v55
	s_waitcnt vmcnt(32)
	v_mul_f32_e32 v79, v20, v56
	s_waitcnt vmcnt(29)
	v_fmac_f32_e32 v70, v3, v49
	s_waitcnt vmcnt(28)
	v_fmac_f32_e32 v71, v5, v59
	v_fma_f32 v2, v2, v49, -v44
	v_add_f32_e32 v5, 0, v70
	s_waitcnt vmcnt(27)
	v_fmac_f32_e32 v72, v7, v60
	v_fma_f32 v3, v4, v59, -v46
	v_add_f32_e32 v2, 0, v2
	v_add_f32_e32 v5, v5, v71
	s_waitcnt vmcnt(26)
	v_fmac_f32_e32 v73, v9, v61
	v_add_f32_e32 v2, v2, v3
	v_add_f32_e32 v3, v5, v72
	s_waitcnt vmcnt(25)
	v_fmac_f32_e32 v74, v11, v62
	v_add_f32_e32 v3, v3, v73
	s_waitcnt vmcnt(24)
	v_fmac_f32_e32 v75, v13, v63
	;; [unrolled: 3-line block ×5, first 2 shown]
	v_add_f32_e32 v3, v3, v77
	v_mul_f32_e32 v48, v7, v48
	s_waitcnt vmcnt(20)
	v_fmac_f32_e32 v79, v21, v67
	v_add_f32_e32 v3, v3, v78
	v_fma_f32 v4, v6, v60, -v48
	v_add_f32_e32 v49, v3, v79
	v_mul_f32_e32 v3, v9, v50
	v_add_f32_e32 v2, v2, v4
	v_fma_f32 v3, v8, v61, -v3
	v_add_f32_e32 v2, v2, v3
	v_mul_f32_e32 v3, v11, v51
	v_fma_f32 v3, v10, v62, -v3
	v_add_f32_e32 v2, v2, v3
	v_mul_f32_e32 v3, v13, v52
	;; [unrolled: 3-line block ×6, first 2 shown]
	v_fma_f32 v3, v20, v67, -v3
	v_add_f32_e32 v48, v2, v3
	s_waitcnt lgkmcnt(0)
	v_mul_f32_e32 v2, v23, v57
	s_waitcnt vmcnt(19)
	v_fma_f32 v44, v22, v68, -v2
	v_mul_f32_e32 v2, v25, v58
	s_waitcnt vmcnt(18)
	v_fma_f32 v46, v24, v69, -v2
	ds_read2_b64 v[2:5], v1 offset0:119 offset1:120
	ds_read2_b64 v[6:9], v1 offset0:121 offset1:122
	;; [unrolled: 1-line block ×4, first 2 shown]
	v_mul_f32_e32 v45, v22, v57
	s_waitcnt vmcnt(11)
	v_mov_b32_e32 v20, v33
	v_mul_f32_e32 v47, v24, v58
	v_fmac_f32_e32 v45, v23, v68
	s_waitcnt lgkmcnt(3)
	v_pk_mul_f32 v[20:21], v[2:3], v[20:21] op_sel_hi:[1,0]
	v_fmac_f32_e32 v47, v25, v69
	v_pk_add_f32 v[18:19], v[48:49], v[44:45]
	s_waitcnt vmcnt(10)
	v_pk_fma_f32 v[22:23], v[2:3], v[32:33], v[20:21] op_sel:[0,0,1] op_sel_hi:[1,1,0] neg_lo:[0,0,1] neg_hi:[0,0,1]
	v_pk_fma_f32 v[2:3], v[2:3], v[32:33], v[20:21] op_sel:[0,0,1] op_sel_hi:[1,0,0]
	v_pk_add_f32 v[18:19], v[18:19], v[46:47]
	v_mov_b32_e32 v23, v3
	v_pk_add_f32 v[2:3], v[18:19], v[22:23]
	v_mov_b32_e32 v18, v31
	v_pk_mul_f32 v[18:19], v[4:5], v[18:19] op_sel_hi:[1,0]
	v_pk_fma_f32 v[20:21], v[4:5], v[30:31], v[18:19] op_sel:[0,0,1] op_sel_hi:[1,1,0] neg_lo:[0,0,1] neg_hi:[0,0,1]
	v_pk_fma_f32 v[4:5], v[4:5], v[30:31], v[18:19] op_sel:[0,0,1] op_sel_hi:[1,0,0]
	v_mov_b32_e32 v4, v29
	v_mov_b32_e32 v21, v5
	s_waitcnt lgkmcnt(2)
	v_pk_mul_f32 v[4:5], v[6:7], v[4:5] op_sel_hi:[1,0]
	v_pk_fma_f32 v[18:19], v[6:7], v[28:29], v[4:5] op_sel:[0,0,1] op_sel_hi:[1,1,0] neg_lo:[0,0,1] neg_hi:[0,0,1]
	v_pk_fma_f32 v[4:5], v[6:7], v[28:29], v[4:5] op_sel:[0,0,1] op_sel_hi:[1,0,0]
	s_waitcnt vmcnt(3)
	v_mov_b32_e32 v4, v41
	v_mov_b32_e32 v19, v5
	v_pk_mul_f32 v[4:5], v[8:9], v[4:5] op_sel_hi:[1,0]
	s_waitcnt vmcnt(2)
	v_pk_fma_f32 v[6:7], v[8:9], v[40:41], v[4:5] op_sel:[0,0,1] op_sel_hi:[1,1,0] neg_lo:[0,0,1] neg_hi:[0,0,1]
	v_pk_fma_f32 v[4:5], v[8:9], v[40:41], v[4:5] op_sel:[0,0,1] op_sel_hi:[1,0,0]
	v_pk_add_f32 v[2:3], v[2:3], v[20:21]
	v_mov_b32_e32 v4, v39
	v_pk_add_f32 v[2:3], v[2:3], v[18:19]
	v_mov_b32_e32 v7, v5
	s_waitcnt lgkmcnt(1)
	v_pk_mul_f32 v[4:5], v[10:11], v[4:5] op_sel_hi:[1,0]
	v_pk_add_f32 v[2:3], v[2:3], v[6:7]
	v_pk_fma_f32 v[6:7], v[10:11], v[38:39], v[4:5] op_sel:[0,0,1] op_sel_hi:[1,1,0] neg_lo:[0,0,1] neg_hi:[0,0,1]
	v_pk_fma_f32 v[4:5], v[10:11], v[38:39], v[4:5] op_sel:[0,0,1] op_sel_hi:[1,0,0]
	v_mov_b32_e32 v4, v37
	v_mov_b32_e32 v7, v5
	v_pk_mul_f32 v[4:5], v[12:13], v[4:5] op_sel_hi:[1,0]
	v_pk_add_f32 v[2:3], v[2:3], v[6:7]
	v_pk_fma_f32 v[6:7], v[12:13], v[36:37], v[4:5] op_sel:[0,0,1] op_sel_hi:[1,1,0] neg_lo:[0,0,1] neg_hi:[0,0,1]
	v_pk_fma_f32 v[4:5], v[12:13], v[36:37], v[4:5] op_sel:[0,0,1] op_sel_hi:[1,0,0]
	v_mov_b32_e32 v4, v35
	v_mov_b32_e32 v7, v5
	s_waitcnt lgkmcnt(0)
	v_pk_mul_f32 v[4:5], v[14:15], v[4:5] op_sel_hi:[1,0]
	v_pk_add_f32 v[2:3], v[2:3], v[6:7]
	v_pk_fma_f32 v[6:7], v[14:15], v[34:35], v[4:5] op_sel:[0,0,1] op_sel_hi:[1,1,0] neg_lo:[0,0,1] neg_hi:[0,0,1]
	v_pk_fma_f32 v[4:5], v[14:15], v[34:35], v[4:5] op_sel:[0,0,1] op_sel_hi:[1,0,0]
	s_waitcnt vmcnt(1)
	v_mov_b32_e32 v4, v43
	v_mov_b32_e32 v7, v5
	v_pk_mul_f32 v[4:5], v[16:17], v[4:5] op_sel_hi:[1,0]
	v_pk_add_f32 v[2:3], v[2:3], v[6:7]
	s_waitcnt vmcnt(0)
	v_pk_fma_f32 v[6:7], v[16:17], v[42:43], v[4:5] op_sel:[0,0,1] op_sel_hi:[1,1,0] neg_lo:[0,0,1] neg_hi:[0,0,1]
	v_pk_fma_f32 v[4:5], v[16:17], v[42:43], v[4:5] op_sel:[0,0,1] op_sel_hi:[1,0,0]
	v_mov_b32_e32 v7, v5
	v_pk_add_f32 v[2:3], v[2:3], v[6:7]
	v_pk_add_f32 v[2:3], v[26:27], v[2:3] neg_lo:[0,1] neg_hi:[0,1]
	buffer_store_dword v3, off, s[0:3], 0 offset:340
	buffer_store_dword v2, off, s[0:3], 0 offset:336
	s_and_saveexec_b64 s[4:5], vcc
	s_cbranch_execz .LBB62_309
; %bb.308:
	buffer_load_dword v2, off, s[0:3], 0 offset:328
	buffer_load_dword v3, off, s[0:3], 0 offset:332
	v_mov_b32_e32 v1, 0
	buffer_store_dword v1, off, s[0:3], 0 offset:328
	buffer_store_dword v1, off, s[0:3], 0 offset:332
	s_waitcnt vmcnt(2)
	ds_write_b64 v217, v[2:3]
.LBB62_309:
	s_or_b64 exec, exec, s[4:5]
	s_waitcnt lgkmcnt(0)
	; wave barrier
	s_waitcnt lgkmcnt(0)
	buffer_load_dword v52, off, s[0:3], 0 offset:340
	buffer_load_dword v54, off, s[0:3], 0 offset:348
	;; [unrolled: 1-line block ×44, first 2 shown]
	v_mov_b32_e32 v1, 0
	ds_read_b128 v[2:5], v1 offset:848
	ds_read_b128 v[6:9], v1 offset:864
	;; [unrolled: 1-line block ×8, first 2 shown]
	v_cmp_lt_u32_e32 vcc, 40, v0
	s_waitcnt vmcnt(43) lgkmcnt(7)
	v_mul_f32_e32 v57, v2, v52
	s_waitcnt vmcnt(42)
	v_mul_f32_e32 v81, v4, v54
	s_waitcnt vmcnt(41) lgkmcnt(6)
	v_mul_f32_e32 v82, v6, v56
	v_mul_f32_e32 v52, v3, v52
	s_waitcnt vmcnt(40)
	v_mul_f32_e32 v83, v8, v58
	s_waitcnt vmcnt(39) lgkmcnt(5)
	v_mul_f32_e32 v84, v10, v59
	s_waitcnt vmcnt(38)
	v_mul_f32_e32 v85, v12, v60
	s_waitcnt vmcnt(37) lgkmcnt(4)
	;; [unrolled: 4-line block ×4, first 2 shown]
	v_mul_f32_e32 v90, v22, v65
	s_waitcnt vmcnt(32)
	v_mul_f32_e32 v53, v24, v66
	s_waitcnt vmcnt(30)
	v_fmac_f32_e32 v57, v3, v68
	s_waitcnt vmcnt(29)
	v_fmac_f32_e32 v81, v5, v69
	v_add_f32_e32 v3, 0, v57
	s_waitcnt vmcnt(28)
	v_fmac_f32_e32 v82, v7, v70
	v_add_f32_e32 v3, v3, v81
	;; [unrolled: 3-line block ×10, first 2 shown]
	v_add_f32_e32 v57, v3, v90
	v_fma_f32 v2, v2, v68, -v52
	v_mul_f32_e32 v3, v5, v54
	v_add_f32_e32 v2, 0, v2
	v_fma_f32 v3, v4, v69, -v3
	v_add_f32_e32 v2, v2, v3
	v_mul_f32_e32 v3, v7, v56
	v_fma_f32 v3, v6, v70, -v3
	v_add_f32_e32 v2, v2, v3
	v_mul_f32_e32 v3, v9, v58
	;; [unrolled: 3-line block ×9, first 2 shown]
	v_fma_f32 v3, v22, v78, -v3
	s_waitcnt vmcnt(13)
	v_mov_b32_e32 v14, v39
	v_add_f32_e32 v56, v2, v3
	v_mul_f32_e32 v2, v25, v66
	s_waitcnt lgkmcnt(1)
	v_pk_mul_f32 v[14:15], v[28:29], v[14:15] op_sel_hi:[1,0]
	v_mul_f32_e32 v55, v26, v67
	v_fmac_f32_e32 v53, v25, v79
	v_fma_f32 v52, v24, v79, -v2
	v_mul_f32_e32 v2, v27, v67
	s_waitcnt vmcnt(12)
	v_pk_fma_f32 v[16:17], v[28:29], v[38:39], v[14:15] op_sel:[0,0,1] op_sel_hi:[1,1,0] neg_lo:[0,0,1] neg_hi:[0,0,1]
	v_pk_fma_f32 v[14:15], v[28:29], v[38:39], v[14:15] op_sel:[0,0,1] op_sel_hi:[1,0,0]
	v_fmac_f32_e32 v55, v27, v80
	v_fma_f32 v54, v26, v80, -v2
	v_pk_add_f32 v[12:13], v[56:57], v[52:53]
	v_mov_b32_e32 v14, v37
	v_pk_add_f32 v[12:13], v[12:13], v[54:55]
	v_mov_b32_e32 v17, v15
	s_waitcnt lgkmcnt(0)
	v_pk_mul_f32 v[14:15], v[30:31], v[14:15] op_sel_hi:[1,0]
	v_pk_add_f32 v[12:13], v[12:13], v[16:17]
	v_pk_fma_f32 v[16:17], v[30:31], v[36:37], v[14:15] op_sel:[0,0,1] op_sel_hi:[1,1,0] neg_lo:[0,0,1] neg_hi:[0,0,1]
	v_pk_fma_f32 v[14:15], v[30:31], v[36:37], v[14:15] op_sel:[0,0,1] op_sel_hi:[1,0,0]
	s_waitcnt vmcnt(5)
	v_mov_b32_e32 v14, v47
	ds_read_b128 v[2:5], v1 offset:976
	ds_read_b128 v[6:9], v1 offset:992
	ds_read_b64 v[10:11], v1 offset:1008
	v_mov_b32_e32 v17, v15
	v_pk_mul_f32 v[14:15], v[32:33], v[14:15] op_sel_hi:[1,0]
	v_pk_add_f32 v[12:13], v[12:13], v[16:17]
	s_waitcnt vmcnt(4)
	v_pk_fma_f32 v[16:17], v[32:33], v[46:47], v[14:15] op_sel:[0,0,1] op_sel_hi:[1,1,0] neg_lo:[0,0,1] neg_hi:[0,0,1]
	v_pk_fma_f32 v[14:15], v[32:33], v[46:47], v[14:15] op_sel:[0,0,1] op_sel_hi:[1,0,0]
	v_mov_b32_e32 v14, v45
	v_mov_b32_e32 v17, v15
	s_waitcnt lgkmcnt(2)
	v_pk_mul_f32 v[14:15], v[2:3], v[14:15] op_sel_hi:[1,0]
	v_pk_add_f32 v[12:13], v[12:13], v[16:17]
	v_pk_fma_f32 v[16:17], v[2:3], v[44:45], v[14:15] op_sel:[0,0,1] op_sel_hi:[1,1,0] neg_lo:[0,0,1] neg_hi:[0,0,1]
	v_pk_fma_f32 v[2:3], v[2:3], v[44:45], v[14:15] op_sel:[0,0,1] op_sel_hi:[1,0,0]
	v_mov_b32_e32 v17, v3
	v_pk_add_f32 v[2:3], v[12:13], v[16:17]
	v_mov_b32_e32 v12, v43
	v_pk_mul_f32 v[12:13], v[4:5], v[12:13] op_sel_hi:[1,0]
	v_pk_fma_f32 v[14:15], v[4:5], v[42:43], v[12:13] op_sel:[0,0,1] op_sel_hi:[1,1,0] neg_lo:[0,0,1] neg_hi:[0,0,1]
	v_pk_fma_f32 v[4:5], v[4:5], v[42:43], v[12:13] op_sel:[0,0,1] op_sel_hi:[1,0,0]
	v_mov_b32_e32 v4, v41
	v_mov_b32_e32 v15, v5
	s_waitcnt lgkmcnt(1)
	v_pk_mul_f32 v[4:5], v[6:7], v[4:5] op_sel_hi:[1,0]
	v_pk_fma_f32 v[12:13], v[6:7], v[40:41], v[4:5] op_sel:[0,0,1] op_sel_hi:[1,1,0] neg_lo:[0,0,1] neg_hi:[0,0,1]
	v_pk_fma_f32 v[4:5], v[6:7], v[40:41], v[4:5] op_sel:[0,0,1] op_sel_hi:[1,0,0]
	s_waitcnt vmcnt(1)
	v_mov_b32_e32 v4, v51
	v_mov_b32_e32 v13, v5
	v_pk_mul_f32 v[4:5], v[8:9], v[4:5] op_sel_hi:[1,0]
	s_waitcnt vmcnt(0)
	v_pk_fma_f32 v[6:7], v[8:9], v[50:51], v[4:5] op_sel:[0,0,1] op_sel_hi:[1,1,0] neg_lo:[0,0,1] neg_hi:[0,0,1]
	v_pk_fma_f32 v[4:5], v[8:9], v[50:51], v[4:5] op_sel:[0,0,1] op_sel_hi:[1,0,0]
	v_pk_add_f32 v[2:3], v[2:3], v[14:15]
	v_mov_b32_e32 v4, v49
	v_pk_add_f32 v[2:3], v[2:3], v[12:13]
	v_mov_b32_e32 v7, v5
	s_waitcnt lgkmcnt(0)
	v_pk_mul_f32 v[4:5], v[10:11], v[4:5] op_sel_hi:[1,0]
	v_pk_add_f32 v[2:3], v[2:3], v[6:7]
	v_pk_fma_f32 v[6:7], v[10:11], v[48:49], v[4:5] op_sel:[0,0,1] op_sel_hi:[1,1,0] neg_lo:[0,0,1] neg_hi:[0,0,1]
	v_pk_fma_f32 v[4:5], v[10:11], v[48:49], v[4:5] op_sel:[0,0,1] op_sel_hi:[1,0,0]
	v_mov_b32_e32 v7, v5
	v_pk_add_f32 v[2:3], v[2:3], v[6:7]
	v_pk_add_f32 v[2:3], v[34:35], v[2:3] neg_lo:[0,1] neg_hi:[0,1]
	buffer_store_dword v3, off, s[0:3], 0 offset:332
	buffer_store_dword v2, off, s[0:3], 0 offset:328
	s_and_saveexec_b64 s[4:5], vcc
	s_cbranch_execz .LBB62_311
; %bb.310:
	buffer_load_dword v2, off, s[0:3], 0 offset:320
	buffer_load_dword v3, off, s[0:3], 0 offset:324
	s_waitcnt vmcnt(0)
	ds_write_b64 v217, v[2:3]
	buffer_store_dword v1, off, s[0:3], 0 offset:320
	buffer_store_dword v1, off, s[0:3], 0 offset:324
.LBB62_311:
	s_or_b64 exec, exec, s[4:5]
	s_waitcnt lgkmcnt(0)
	; wave barrier
	s_waitcnt lgkmcnt(0)
	buffer_load_dword v52, off, s[0:3], 0 offset:332
	buffer_load_dword v54, off, s[0:3], 0 offset:340
	;; [unrolled: 1-line block ×30, first 2 shown]
	ds_read2_b64 v[2:5], v1 offset0:105 offset1:106
	ds_read2_b64 v[6:9], v1 offset0:107 offset1:108
	;; [unrolled: 1-line block ×6, first 2 shown]
	buffer_load_dword v37, off, s[0:3], 0 offset:444
	buffer_load_dword v36, off, s[0:3], 0 offset:440
	ds_read2_b64 v[26:29], v1 offset0:117 offset1:118
	ds_read2_b64 v[30:33], v1 offset0:119 offset1:120
	buffer_load_dword v39, off, s[0:3], 0 offset:476
	buffer_load_dword v38, off, s[0:3], 0 offset:472
	;; [unrolled: 1-line block ×14, first 2 shown]
	v_cmp_lt_u32_e32 vcc, 39, v0
	s_waitcnt vmcnt(45) lgkmcnt(7)
	v_mul_f32_e32 v55, v2, v52
	s_waitcnt vmcnt(44)
	v_mul_f32_e32 v57, v4, v54
	s_waitcnt vmcnt(43) lgkmcnt(6)
	v_mul_f32_e32 v83, v6, v56
	s_waitcnt vmcnt(42)
	v_mul_f32_e32 v84, v8, v58
	s_waitcnt vmcnt(41) lgkmcnt(5)
	v_mul_f32_e32 v85, v10, v59
	s_waitcnt vmcnt(40)
	v_mul_f32_e32 v86, v12, v60
	s_waitcnt vmcnt(39) lgkmcnt(4)
	v_mul_f32_e32 v87, v14, v61
	s_waitcnt vmcnt(38)
	v_mul_f32_e32 v88, v16, v62
	s_waitcnt vmcnt(37) lgkmcnt(3)
	v_mul_f32_e32 v89, v18, v63
	s_waitcnt vmcnt(36)
	v_mul_f32_e32 v90, v20, v64
	s_waitcnt vmcnt(35) lgkmcnt(2)
	v_mul_f32_e32 v91, v22, v65
	s_waitcnt vmcnt(34)
	v_mul_f32_e32 v92, v24, v66
	s_waitcnt vmcnt(33) lgkmcnt(1)
	v_mul_f32_e32 v53, v26, v67
	s_waitcnt vmcnt(32)
	v_fmac_f32_e32 v55, v3, v68
	v_mul_f32_e32 v3, v3, v52
	v_fma_f32 v2, v2, v68, -v3
	v_mul_f32_e32 v3, v5, v54
	v_add_f32_e32 v2, 0, v2
	s_waitcnt vmcnt(31)
	v_fma_f32 v3, v4, v69, -v3
	v_add_f32_e32 v2, v2, v3
	v_mul_f32_e32 v3, v7, v56
	s_waitcnt vmcnt(30)
	v_fma_f32 v3, v6, v70, -v3
	v_add_f32_e32 v2, v2, v3
	v_mul_f32_e32 v3, v9, v58
	;; [unrolled: 4-line block ×5, first 2 shown]
	s_waitcnt vmcnt(26)
	v_fma_f32 v3, v14, v74, -v3
	v_fmac_f32_e32 v57, v5, v69
	v_add_f32_e32 v55, 0, v55
	v_add_f32_e32 v2, v2, v3
	v_mul_f32_e32 v3, v17, v62
	v_fmac_f32_e32 v83, v7, v70
	v_add_f32_e32 v55, v55, v57
	s_waitcnt vmcnt(25)
	v_fma_f32 v3, v16, v75, -v3
	v_fmac_f32_e32 v84, v9, v71
	v_add_f32_e32 v55, v55, v83
	v_add_f32_e32 v2, v2, v3
	v_mul_f32_e32 v3, v19, v63
	v_fmac_f32_e32 v85, v11, v72
	v_add_f32_e32 v55, v55, v84
	;; [unrolled: 8-line block ×5, first 2 shown]
	s_waitcnt vmcnt(21)
	v_fma_f32 v3, v24, v79, -v3
	s_waitcnt vmcnt(15)
	v_mov_b32_e32 v16, v37
	v_fmac_f32_e32 v92, v25, v79
	v_add_f32_e32 v55, v55, v91
	v_add_f32_e32 v54, v2, v3
	v_mul_f32_e32 v2, v27, v67
	s_waitcnt lgkmcnt(0)
	v_pk_mul_f32 v[16:17], v[30:31], v[16:17] op_sel_hi:[1,0]
	v_fmac_f32_e32 v53, v27, v80
	v_add_f32_e32 v55, v55, v92
	v_mul_f32_e32 v57, v28, v81
	v_fma_f32 v52, v26, v80, -v2
	v_mul_f32_e32 v2, v29, v81
	s_waitcnt vmcnt(14)
	v_pk_fma_f32 v[18:19], v[30:31], v[36:37], v[16:17] op_sel:[0,0,1] op_sel_hi:[1,1,0] neg_lo:[0,0,1] neg_hi:[0,0,1]
	v_pk_fma_f32 v[16:17], v[30:31], v[36:37], v[16:17] op_sel:[0,0,1] op_sel_hi:[1,0,0]
	v_fmac_f32_e32 v57, v29, v82
	v_fma_f32 v56, v28, v82, -v2
	v_pk_add_f32 v[14:15], v[54:55], v[52:53]
	s_waitcnt vmcnt(7)
	v_mov_b32_e32 v16, v45
	ds_read2_b64 v[2:5], v1 offset0:121 offset1:122
	ds_read2_b64 v[6:9], v1 offset0:123 offset1:124
	;; [unrolled: 1-line block ×3, first 2 shown]
	v_pk_add_f32 v[14:15], v[14:15], v[56:57]
	v_mov_b32_e32 v19, v17
	v_pk_mul_f32 v[16:17], v[32:33], v[16:17] op_sel_hi:[1,0]
	v_pk_add_f32 v[14:15], v[14:15], v[18:19]
	s_waitcnt vmcnt(6)
	v_pk_fma_f32 v[18:19], v[32:33], v[44:45], v[16:17] op_sel:[0,0,1] op_sel_hi:[1,1,0] neg_lo:[0,0,1] neg_hi:[0,0,1]
	v_pk_fma_f32 v[16:17], v[32:33], v[44:45], v[16:17] op_sel:[0,0,1] op_sel_hi:[1,0,0]
	v_mov_b32_e32 v16, v43
	v_mov_b32_e32 v19, v17
	s_waitcnt lgkmcnt(2)
	v_pk_mul_f32 v[16:17], v[2:3], v[16:17] op_sel_hi:[1,0]
	v_pk_add_f32 v[14:15], v[14:15], v[18:19]
	v_pk_fma_f32 v[18:19], v[2:3], v[42:43], v[16:17] op_sel:[0,0,1] op_sel_hi:[1,1,0] neg_lo:[0,0,1] neg_hi:[0,0,1]
	v_pk_fma_f32 v[2:3], v[2:3], v[42:43], v[16:17] op_sel:[0,0,1] op_sel_hi:[1,0,0]
	v_mov_b32_e32 v19, v3
	v_pk_add_f32 v[2:3], v[14:15], v[18:19]
	v_mov_b32_e32 v14, v41
	v_pk_mul_f32 v[14:15], v[4:5], v[14:15] op_sel_hi:[1,0]
	v_pk_fma_f32 v[16:17], v[4:5], v[40:41], v[14:15] op_sel:[0,0,1] op_sel_hi:[1,1,0] neg_lo:[0,0,1] neg_hi:[0,0,1]
	v_pk_fma_f32 v[4:5], v[4:5], v[40:41], v[14:15] op_sel:[0,0,1] op_sel_hi:[1,0,0]
	v_mov_b32_e32 v4, v39
	v_mov_b32_e32 v17, v5
	s_waitcnt lgkmcnt(1)
	v_pk_mul_f32 v[4:5], v[6:7], v[4:5] op_sel_hi:[1,0]
	v_pk_fma_f32 v[14:15], v[6:7], v[38:39], v[4:5] op_sel:[0,0,1] op_sel_hi:[1,1,0] neg_lo:[0,0,1] neg_hi:[0,0,1]
	v_pk_fma_f32 v[4:5], v[6:7], v[38:39], v[4:5] op_sel:[0,0,1] op_sel_hi:[1,0,0]
	s_waitcnt vmcnt(1)
	v_mov_b32_e32 v4, v51
	v_mov_b32_e32 v15, v5
	v_pk_mul_f32 v[4:5], v[8:9], v[4:5] op_sel_hi:[1,0]
	s_waitcnt vmcnt(0)
	v_pk_fma_f32 v[6:7], v[8:9], v[50:51], v[4:5] op_sel:[0,0,1] op_sel_hi:[1,1,0] neg_lo:[0,0,1] neg_hi:[0,0,1]
	v_pk_fma_f32 v[4:5], v[8:9], v[50:51], v[4:5] op_sel:[0,0,1] op_sel_hi:[1,0,0]
	v_pk_add_f32 v[2:3], v[2:3], v[16:17]
	v_mov_b32_e32 v4, v49
	v_pk_add_f32 v[2:3], v[2:3], v[14:15]
	v_mov_b32_e32 v7, v5
	s_waitcnt lgkmcnt(0)
	v_pk_mul_f32 v[4:5], v[10:11], v[4:5] op_sel_hi:[1,0]
	v_pk_add_f32 v[2:3], v[2:3], v[6:7]
	v_pk_fma_f32 v[6:7], v[10:11], v[48:49], v[4:5] op_sel:[0,0,1] op_sel_hi:[1,1,0] neg_lo:[0,0,1] neg_hi:[0,0,1]
	v_pk_fma_f32 v[4:5], v[10:11], v[48:49], v[4:5] op_sel:[0,0,1] op_sel_hi:[1,0,0]
	v_mov_b32_e32 v4, v47
	v_mov_b32_e32 v7, v5
	v_pk_mul_f32 v[4:5], v[12:13], v[4:5] op_sel_hi:[1,0]
	v_pk_add_f32 v[2:3], v[2:3], v[6:7]
	v_pk_fma_f32 v[6:7], v[12:13], v[46:47], v[4:5] op_sel:[0,0,1] op_sel_hi:[1,1,0] neg_lo:[0,0,1] neg_hi:[0,0,1]
	v_pk_fma_f32 v[4:5], v[12:13], v[46:47], v[4:5] op_sel:[0,0,1] op_sel_hi:[1,0,0]
	v_mov_b32_e32 v7, v5
	v_pk_add_f32 v[2:3], v[2:3], v[6:7]
	v_pk_add_f32 v[2:3], v[34:35], v[2:3] neg_lo:[0,1] neg_hi:[0,1]
	buffer_store_dword v3, off, s[0:3], 0 offset:324
	buffer_store_dword v2, off, s[0:3], 0 offset:320
	s_and_saveexec_b64 s[4:5], vcc
	s_cbranch_execz .LBB62_313
; %bb.312:
	buffer_load_dword v2, off, s[0:3], 0 offset:312
	buffer_load_dword v3, off, s[0:3], 0 offset:316
	v_mov_b32_e32 v1, 0
	buffer_store_dword v1, off, s[0:3], 0 offset:312
	buffer_store_dword v1, off, s[0:3], 0 offset:316
	s_waitcnt vmcnt(2)
	ds_write_b64 v217, v[2:3]
.LBB62_313:
	s_or_b64 exec, exec, s[4:5]
	s_waitcnt lgkmcnt(0)
	; wave barrier
	s_waitcnt lgkmcnt(0)
	buffer_load_dword v50, off, s[0:3], 0 offset:324
	buffer_load_dword v54, off, s[0:3], 0 offset:332
	;; [unrolled: 1-line block ×32, first 2 shown]
	v_mov_b32_e32 v1, 0
	buffer_load_dword v37, off, s[0:3], 0 offset:468
	buffer_load_dword v36, off, s[0:3], 0 offset:464
	;; [unrolled: 1-line block ×13, first 2 shown]
	ds_read_b128 v[2:5], v1 offset:832
	ds_read_b128 v[6:9], v1 offset:848
	;; [unrolled: 1-line block ×8, first 2 shown]
	v_cmp_lt_u32_e32 vcc, 38, v0
	s_waitcnt vmcnt(44) lgkmcnt(7)
	v_mul_f32_e32 v44, v2, v50
	s_waitcnt vmcnt(43)
	v_mul_f32_e32 v51, v4, v54
	s_waitcnt vmcnt(42) lgkmcnt(6)
	v_mul_f32_e32 v52, v6, v56
	s_waitcnt vmcnt(41)
	v_mul_f32_e32 v53, v8, v58
	;; [unrolled: 4-line block ×6, first 2 shown]
	s_waitcnt vmcnt(32) lgkmcnt(1)
	v_mul_f32_e32 v91, v26, v67
	s_waitcnt vmcnt(31)
	v_fmac_f32_e32 v44, v3, v68
	s_waitcnt vmcnt(30)
	v_fmac_f32_e32 v51, v5, v69
	v_add_f32_e32 v44, 0, v44
	s_waitcnt vmcnt(29)
	v_fmac_f32_e32 v52, v7, v70
	v_add_f32_e32 v44, v44, v51
	s_waitcnt vmcnt(28)
	v_fmac_f32_e32 v53, v9, v71
	v_add_f32_e32 v44, v44, v52
	s_waitcnt vmcnt(27)
	v_fmac_f32_e32 v55, v11, v72
	v_add_f32_e32 v44, v44, v53
	s_waitcnt vmcnt(26)
	v_fmac_f32_e32 v57, v13, v73
	v_add_f32_e32 v44, v44, v55
	s_waitcnt vmcnt(25)
	v_fmac_f32_e32 v85, v15, v74
	v_add_f32_e32 v44, v44, v57
	s_waitcnt vmcnt(24)
	v_fmac_f32_e32 v86, v17, v75
	v_add_f32_e32 v44, v44, v85
	s_waitcnt vmcnt(23)
	v_fmac_f32_e32 v87, v19, v76
	v_add_f32_e32 v44, v44, v86
	s_waitcnt vmcnt(22)
	v_fmac_f32_e32 v88, v21, v77
	v_add_f32_e32 v44, v44, v87
	s_waitcnt vmcnt(21)
	v_fmac_f32_e32 v89, v23, v78
	v_add_f32_e32 v44, v44, v88
	s_waitcnt vmcnt(20)
	v_fmac_f32_e32 v90, v25, v79
	v_add_f32_e32 v44, v44, v89
	s_waitcnt vmcnt(19)
	v_fmac_f32_e32 v91, v27, v80
	v_add_f32_e32 v44, v44, v90
	v_add_f32_e32 v51, v44, v91
	buffer_load_dword v53, off, s[0:3], 0 offset:484
	buffer_load_dword v52, off, s[0:3], 0 offset:480
	;; [unrolled: 1-line block ×3, first 2 shown]
	v_mul_f32_e32 v3, v3, v50
	v_fma_f32 v2, v2, v68, -v3
	v_mul_f32_e32 v3, v5, v54
	v_add_f32_e32 v2, 0, v2
	v_fma_f32 v3, v4, v69, -v3
	v_add_f32_e32 v2, v2, v3
	v_mul_f32_e32 v3, v7, v56
	v_fma_f32 v3, v6, v70, -v3
	v_add_f32_e32 v2, v2, v3
	v_mul_f32_e32 v3, v9, v58
	;; [unrolled: 3-line block ×11, first 2 shown]
	v_fma_f32 v3, v26, v80, -v3
	v_add_f32_e32 v50, v2, v3
	s_waitcnt vmcnt(21)
	v_mul_f32_e32 v2, v29, v81
	s_waitcnt vmcnt(9)
	v_mov_b32_e32 v18, v43
	v_mul_f32_e32 v55, v28, v81
	v_fma_f32 v54, v28, v82, -v2
	s_waitcnt lgkmcnt(0)
	v_mul_f32_e32 v2, v31, v83
	v_pk_mul_f32 v[18:19], v[32:33], v[18:19] op_sel_hi:[1,0]
	v_fmac_f32_e32 v55, v29, v82
	v_mul_f32_e32 v57, v30, v83
	v_fma_f32 v56, v30, v84, -v2
	ds_read_b128 v[2:5], v1 offset:960
	ds_read_b128 v[6:9], v1 offset:976
	;; [unrolled: 1-line block ×3, first 2 shown]
	ds_read_b64 v[14:15], v1 offset:1008
	s_waitcnt vmcnt(8)
	v_pk_fma_f32 v[20:21], v[32:33], v[42:43], v[18:19] op_sel:[0,0,1] op_sel_hi:[1,1,0] neg_lo:[0,0,1] neg_hi:[0,0,1]
	v_pk_fma_f32 v[18:19], v[32:33], v[42:43], v[18:19] op_sel:[0,0,1] op_sel_hi:[1,0,0]
	v_fmac_f32_e32 v57, v31, v84
	v_pk_add_f32 v[16:17], v[50:51], v[54:55]
	v_mov_b32_e32 v18, v41
	v_pk_add_f32 v[16:17], v[16:17], v[56:57]
	v_mov_b32_e32 v21, v19
	s_waitcnt lgkmcnt(3)
	v_pk_mul_f32 v[18:19], v[2:3], v[18:19] op_sel_hi:[1,0]
	v_pk_add_f32 v[16:17], v[16:17], v[20:21]
	v_pk_fma_f32 v[20:21], v[2:3], v[40:41], v[18:19] op_sel:[0,0,1] op_sel_hi:[1,1,0] neg_lo:[0,0,1] neg_hi:[0,0,1]
	v_pk_fma_f32 v[2:3], v[2:3], v[40:41], v[18:19] op_sel:[0,0,1] op_sel_hi:[1,0,0]
	v_mov_b32_e32 v21, v3
	v_pk_add_f32 v[2:3], v[16:17], v[20:21]
	v_mov_b32_e32 v16, v39
	v_pk_mul_f32 v[16:17], v[4:5], v[16:17] op_sel_hi:[1,0]
	v_pk_fma_f32 v[18:19], v[4:5], v[38:39], v[16:17] op_sel:[0,0,1] op_sel_hi:[1,1,0] neg_lo:[0,0,1] neg_hi:[0,0,1]
	v_pk_fma_f32 v[4:5], v[4:5], v[38:39], v[16:17] op_sel:[0,0,1] op_sel_hi:[1,0,0]
	v_mov_b32_e32 v4, v37
	v_mov_b32_e32 v19, v5
	s_waitcnt lgkmcnt(2)
	v_pk_mul_f32 v[4:5], v[6:7], v[4:5] op_sel_hi:[1,0]
	v_pk_fma_f32 v[16:17], v[6:7], v[36:37], v[4:5] op_sel:[0,0,1] op_sel_hi:[1,1,0] neg_lo:[0,0,1] neg_hi:[0,0,1]
	v_pk_fma_f32 v[4:5], v[6:7], v[36:37], v[4:5] op_sel:[0,0,1] op_sel_hi:[1,0,0]
	s_waitcnt vmcnt(7)
	v_mov_b32_e32 v4, v45
	v_mov_b32_e32 v17, v5
	v_pk_mul_f32 v[4:5], v[8:9], v[4:5] op_sel_hi:[1,0]
	v_pk_add_f32 v[2:3], v[2:3], v[18:19]
	v_pk_add_f32 v[2:3], v[2:3], v[16:17]
	s_waitcnt vmcnt(0)
	v_pk_fma_f32 v[6:7], v[8:9], v[44:45], v[4:5] op_sel:[0,0,1] op_sel_hi:[1,1,0] neg_lo:[0,0,1] neg_hi:[0,0,1]
	v_pk_fma_f32 v[4:5], v[8:9], v[44:45], v[4:5] op_sel:[0,0,1] op_sel_hi:[1,0,0]
	v_mov_b32_e32 v4, v53
	v_mov_b32_e32 v7, v5
	s_waitcnt lgkmcnt(1)
	v_pk_mul_f32 v[4:5], v[10:11], v[4:5] op_sel_hi:[1,0]
	v_pk_add_f32 v[2:3], v[2:3], v[6:7]
	v_pk_fma_f32 v[6:7], v[10:11], v[52:53], v[4:5] op_sel:[0,0,1] op_sel_hi:[1,1,0] neg_lo:[0,0,1] neg_hi:[0,0,1]
	v_pk_fma_f32 v[4:5], v[10:11], v[52:53], v[4:5] op_sel:[0,0,1] op_sel_hi:[1,0,0]
	v_mov_b32_e32 v4, v49
	v_mov_b32_e32 v7, v5
	v_pk_mul_f32 v[4:5], v[12:13], v[4:5] op_sel_hi:[1,0]
	v_pk_add_f32 v[2:3], v[2:3], v[6:7]
	v_pk_fma_f32 v[6:7], v[12:13], v[48:49], v[4:5] op_sel:[0,0,1] op_sel_hi:[1,1,0] neg_lo:[0,0,1] neg_hi:[0,0,1]
	v_pk_fma_f32 v[4:5], v[12:13], v[48:49], v[4:5] op_sel:[0,0,1] op_sel_hi:[1,0,0]
	v_mov_b32_e32 v4, v47
	v_mov_b32_e32 v7, v5
	s_waitcnt lgkmcnt(0)
	v_pk_mul_f32 v[4:5], v[14:15], v[4:5] op_sel_hi:[1,0]
	v_pk_add_f32 v[2:3], v[2:3], v[6:7]
	v_pk_fma_f32 v[6:7], v[14:15], v[46:47], v[4:5] op_sel:[0,0,1] op_sel_hi:[1,1,0] neg_lo:[0,0,1] neg_hi:[0,0,1]
	v_pk_fma_f32 v[4:5], v[14:15], v[46:47], v[4:5] op_sel:[0,0,1] op_sel_hi:[1,0,0]
	v_mov_b32_e32 v7, v5
	v_pk_add_f32 v[2:3], v[2:3], v[6:7]
	v_pk_add_f32 v[2:3], v[34:35], v[2:3] neg_lo:[0,1] neg_hi:[0,1]
	buffer_store_dword v3, off, s[0:3], 0 offset:316
	buffer_store_dword v2, off, s[0:3], 0 offset:312
	s_and_saveexec_b64 s[4:5], vcc
	s_cbranch_execz .LBB62_315
; %bb.314:
	buffer_load_dword v2, off, s[0:3], 0 offset:304
	buffer_load_dword v3, off, s[0:3], 0 offset:308
	s_waitcnt vmcnt(0)
	ds_write_b64 v217, v[2:3]
	buffer_store_dword v1, off, s[0:3], 0 offset:304
	buffer_store_dword v1, off, s[0:3], 0 offset:308
.LBB62_315:
	s_or_b64 exec, exec, s[4:5]
	s_waitcnt lgkmcnt(0)
	; wave barrier
	s_waitcnt lgkmcnt(0)
	buffer_load_dword v50, off, s[0:3], 0 offset:316
	buffer_load_dword v52, off, s[0:3], 0 offset:324
	;; [unrolled: 1-line block ×34, first 2 shown]
	ds_read2_b64 v[2:5], v1 offset0:103 offset1:104
	ds_read2_b64 v[6:9], v1 offset0:105 offset1:106
	;; [unrolled: 1-line block ×8, first 2 shown]
	buffer_load_dword v37, off, s[0:3], 0 offset:460
	buffer_load_dword v36, off, s[0:3], 0 offset:456
	;; [unrolled: 1-line block ×9, first 2 shown]
	v_cmp_lt_u32_e32 vcc, 37, v0
	s_waitcnt vmcnt(42) lgkmcnt(7)
	v_mul_f32_e32 v42, v2, v50
	s_waitcnt vmcnt(41)
	v_mul_f32_e32 v46, v4, v52
	s_waitcnt vmcnt(40) lgkmcnt(6)
	v_mul_f32_e32 v47, v6, v54
	s_waitcnt vmcnt(39)
	v_mul_f32_e32 v48, v8, v58
	;; [unrolled: 4-line block ×7, first 2 shown]
	s_waitcnt vmcnt(28)
	v_fmac_f32_e32 v42, v3, v69
	s_waitcnt vmcnt(27)
	v_fmac_f32_e32 v46, v5, v70
	v_add_f32_e32 v42, 0, v42
	s_waitcnt vmcnt(26)
	v_fmac_f32_e32 v47, v7, v71
	v_add_f32_e32 v42, v42, v46
	;; [unrolled: 3-line block ×12, first 2 shown]
	v_add_f32_e32 v51, v42, v89
	buffer_load_dword v47, off, s[0:3], 0 offset:484
	buffer_load_dword v46, off, s[0:3], 0 offset:480
	;; [unrolled: 1-line block ×7, first 2 shown]
	v_mul_f32_e32 v3, v3, v50
	v_fma_f32 v2, v2, v69, -v3
	v_mul_f32_e32 v3, v5, v52
	v_add_f32_e32 v2, 0, v2
	v_fma_f32 v3, v4, v70, -v3
	v_add_f32_e32 v2, v2, v3
	v_mul_f32_e32 v3, v7, v54
	v_fma_f32 v3, v6, v71, -v3
	v_add_f32_e32 v2, v2, v3
	v_mul_f32_e32 v3, v9, v58
	;; [unrolled: 3-line block ×12, first 2 shown]
	s_waitcnt vmcnt(22)
	v_fma_f32 v3, v28, v82, -v3
	v_add_f32_e32 v50, v2, v3
	s_waitcnt vmcnt(21) lgkmcnt(0)
	v_mul_f32_e32 v2, v31, v83
	s_waitcnt vmcnt(20)
	v_fma_f32 v52, v30, v84, -v2
	s_waitcnt vmcnt(19)
	v_mul_f32_e32 v2, v33, v85
	s_waitcnt vmcnt(18)
	v_fma_f32 v54, v32, v86, -v2
	ds_read2_b64 v[2:5], v1 offset0:119 offset1:120
	ds_read2_b64 v[6:9], v1 offset0:121 offset1:122
	;; [unrolled: 1-line block ×4, first 2 shown]
	v_fmac_f32_e32 v90, v29, v82
	v_mul_f32_e32 v53, v30, v83
	s_waitcnt vmcnt(11)
	v_mov_b32_e32 v20, v41
	v_add_f32_e32 v51, v51, v90
	v_fmac_f32_e32 v53, v31, v84
	v_mul_f32_e32 v55, v32, v85
	s_waitcnt lgkmcnt(3)
	v_pk_mul_f32 v[20:21], v[2:3], v[20:21] op_sel_hi:[1,0]
	v_fmac_f32_e32 v55, v33, v86
	v_pk_add_f32 v[18:19], v[50:51], v[52:53]
	s_waitcnt vmcnt(10)
	v_pk_fma_f32 v[22:23], v[2:3], v[40:41], v[20:21] op_sel:[0,0,1] op_sel_hi:[1,1,0] neg_lo:[0,0,1] neg_hi:[0,0,1]
	v_pk_fma_f32 v[2:3], v[2:3], v[40:41], v[20:21] op_sel:[0,0,1] op_sel_hi:[1,0,0]
	v_pk_add_f32 v[18:19], v[18:19], v[54:55]
	v_mov_b32_e32 v23, v3
	v_pk_add_f32 v[2:3], v[18:19], v[22:23]
	v_mov_b32_e32 v18, v39
	v_pk_mul_f32 v[18:19], v[4:5], v[18:19] op_sel_hi:[1,0]
	v_pk_fma_f32 v[20:21], v[4:5], v[38:39], v[18:19] op_sel:[0,0,1] op_sel_hi:[1,1,0] neg_lo:[0,0,1] neg_hi:[0,0,1]
	v_pk_fma_f32 v[4:5], v[4:5], v[38:39], v[18:19] op_sel:[0,0,1] op_sel_hi:[1,0,0]
	v_mov_b32_e32 v4, v37
	v_mov_b32_e32 v21, v5
	s_waitcnt lgkmcnt(2)
	v_pk_mul_f32 v[4:5], v[6:7], v[4:5] op_sel_hi:[1,0]
	v_pk_fma_f32 v[18:19], v[6:7], v[36:37], v[4:5] op_sel:[0,0,1] op_sel_hi:[1,1,0] neg_lo:[0,0,1] neg_hi:[0,0,1]
	v_pk_fma_f32 v[4:5], v[6:7], v[36:37], v[4:5] op_sel:[0,0,1] op_sel_hi:[1,0,0]
	s_waitcnt vmcnt(9)
	v_mov_b32_e32 v4, v43
	v_mov_b32_e32 v19, v5
	v_pk_mul_f32 v[4:5], v[8:9], v[4:5] op_sel_hi:[1,0]
	v_pk_add_f32 v[2:3], v[2:3], v[20:21]
	v_pk_add_f32 v[2:3], v[2:3], v[18:19]
	s_waitcnt vmcnt(2)
	v_pk_fma_f32 v[6:7], v[8:9], v[42:43], v[4:5] op_sel:[0,0,1] op_sel_hi:[1,1,0] neg_lo:[0,0,1] neg_hi:[0,0,1]
	v_pk_fma_f32 v[4:5], v[8:9], v[42:43], v[4:5] op_sel:[0,0,1] op_sel_hi:[1,0,0]
	v_mov_b32_e32 v4, v49
	v_mov_b32_e32 v7, v5
	s_waitcnt lgkmcnt(1)
	v_pk_mul_f32 v[4:5], v[10:11], v[4:5] op_sel_hi:[1,0]
	v_pk_add_f32 v[2:3], v[2:3], v[6:7]
	v_pk_fma_f32 v[6:7], v[10:11], v[48:49], v[4:5] op_sel:[0,0,1] op_sel_hi:[1,1,0] neg_lo:[0,0,1] neg_hi:[0,0,1]
	v_pk_fma_f32 v[4:5], v[10:11], v[48:49], v[4:5] op_sel:[0,0,1] op_sel_hi:[1,0,0]
	v_mov_b32_e32 v4, v47
	v_mov_b32_e32 v7, v5
	v_pk_mul_f32 v[4:5], v[12:13], v[4:5] op_sel_hi:[1,0]
	v_pk_add_f32 v[2:3], v[2:3], v[6:7]
	v_pk_fma_f32 v[6:7], v[12:13], v[46:47], v[4:5] op_sel:[0,0,1] op_sel_hi:[1,1,0] neg_lo:[0,0,1] neg_hi:[0,0,1]
	v_pk_fma_f32 v[4:5], v[12:13], v[46:47], v[4:5] op_sel:[0,0,1] op_sel_hi:[1,0,0]
	v_mov_b32_e32 v4, v45
	v_mov_b32_e32 v7, v5
	s_waitcnt lgkmcnt(0)
	v_pk_mul_f32 v[4:5], v[14:15], v[4:5] op_sel_hi:[1,0]
	v_pk_add_f32 v[2:3], v[2:3], v[6:7]
	v_pk_fma_f32 v[6:7], v[14:15], v[44:45], v[4:5] op_sel:[0,0,1] op_sel_hi:[1,1,0] neg_lo:[0,0,1] neg_hi:[0,0,1]
	v_pk_fma_f32 v[4:5], v[14:15], v[44:45], v[4:5] op_sel:[0,0,1] op_sel_hi:[1,0,0]
	s_waitcnt vmcnt(1)
	v_mov_b32_e32 v4, v57
	v_mov_b32_e32 v7, v5
	v_pk_mul_f32 v[4:5], v[16:17], v[4:5] op_sel_hi:[1,0]
	v_pk_add_f32 v[2:3], v[2:3], v[6:7]
	s_waitcnt vmcnt(0)
	v_pk_fma_f32 v[6:7], v[16:17], v[56:57], v[4:5] op_sel:[0,0,1] op_sel_hi:[1,1,0] neg_lo:[0,0,1] neg_hi:[0,0,1]
	v_pk_fma_f32 v[4:5], v[16:17], v[56:57], v[4:5] op_sel:[0,0,1] op_sel_hi:[1,0,0]
	v_mov_b32_e32 v7, v5
	v_pk_add_f32 v[2:3], v[2:3], v[6:7]
	v_pk_add_f32 v[2:3], v[34:35], v[2:3] neg_lo:[0,1] neg_hi:[0,1]
	buffer_store_dword v3, off, s[0:3], 0 offset:308
	buffer_store_dword v2, off, s[0:3], 0 offset:304
	s_and_saveexec_b64 s[4:5], vcc
	s_cbranch_execz .LBB62_317
; %bb.316:
	buffer_load_dword v2, off, s[0:3], 0 offset:296
	buffer_load_dword v3, off, s[0:3], 0 offset:300
	v_mov_b32_e32 v1, 0
	buffer_store_dword v1, off, s[0:3], 0 offset:296
	buffer_store_dword v1, off, s[0:3], 0 offset:300
	s_waitcnt vmcnt(2)
	ds_write_b64 v217, v[2:3]
.LBB62_317:
	s_or_b64 exec, exec, s[4:5]
	s_waitcnt lgkmcnt(0)
	; wave barrier
	s_waitcnt lgkmcnt(0)
	buffer_load_dword v56, off, s[0:3], 0 offset:308
	buffer_load_dword v58, off, s[0:3], 0 offset:316
	;; [unrolled: 1-line block ×36, first 2 shown]
	v_mov_b32_e32 v1, 0
	buffer_load_dword v45, off, s[0:3], 0 offset:452
	buffer_load_dword v44, off, s[0:3], 0 offset:448
	;; [unrolled: 1-line block ×5, first 2 shown]
	ds_read_b128 v[4:7], v1 offset:816
	ds_read_b128 v[8:11], v1 offset:832
	;; [unrolled: 1-line block ×8, first 2 shown]
	v_cmp_lt_u32_e32 vcc, 36, v0
	s_waitcnt vmcnt(40) lgkmcnt(7)
	v_mul_f32_e32 v36, v4, v56
	s_waitcnt vmcnt(39)
	v_mul_f32_e32 v37, v6, v58
	s_waitcnt vmcnt(38) lgkmcnt(6)
	v_mul_f32_e32 v38, v8, v60
	s_waitcnt vmcnt(37)
	v_mul_f32_e32 v39, v10, v66
	;; [unrolled: 4-line block ×7, first 2 shown]
	s_waitcnt vmcnt(26) lgkmcnt(0)
	v_mul_f32_e32 v57, v32, v77
	s_waitcnt vmcnt(25)
	v_fmac_f32_e32 v36, v5, v78
	s_waitcnt vmcnt(24)
	v_fmac_f32_e32 v37, v7, v79
	v_add_f32_e32 v36, 0, v36
	s_waitcnt vmcnt(23)
	v_fmac_f32_e32 v38, v9, v80
	v_add_f32_e32 v36, v36, v37
	;; [unrolled: 3-line block ×13, first 2 shown]
	v_add_f32_e32 v40, v36, v54
	buffer_load_dword v51, off, s[0:3], 0 offset:484
	buffer_load_dword v50, off, s[0:3], 0 offset:480
	;; [unrolled: 1-line block ×7, first 2 shown]
	s_waitcnt vmcnt(18)
	v_fmac_f32_e32 v57, v33, v92
	ds_read_b128 v[36:39], v1 offset:944
	v_add_f32_e32 v57, v40, v57
	ds_read_b128 v[40:43], v1 offset:960
	buffer_load_dword v63, off, s[0:3], 0 offset:500
	buffer_load_dword v62, off, s[0:3], 0 offset:496
	buffer_load_dword v65, off, s[0:3], 0 offset:492
	buffer_load_dword v64, off, s[0:3], 0 offset:488
	v_mul_f32_e32 v5, v5, v56
	v_fma_f32 v4, v4, v78, -v5
	v_mul_f32_e32 v5, v7, v58
	v_add_f32_e32 v4, 0, v4
	v_fma_f32 v5, v6, v79, -v5
	v_add_f32_e32 v4, v4, v5
	v_mul_f32_e32 v5, v9, v60
	v_fma_f32 v5, v8, v80, -v5
	v_add_f32_e32 v4, v4, v5
	v_mul_f32_e32 v5, v11, v66
	;; [unrolled: 3-line block ×13, first 2 shown]
	v_fma_f32 v5, v32, v92, -v5
	s_waitcnt vmcnt(13)
	v_mov_b32_e32 v16, v47
	v_mul_f32_e32 v59, v34, v93
	v_add_f32_e32 v56, v4, v5
	v_mul_f32_e32 v4, v35, v93
	s_waitcnt lgkmcnt(1)
	v_pk_mul_f32 v[16:17], v[38:39], v[16:17] op_sel_hi:[1,0]
	v_fmac_f32_e32 v59, v35, v94
	v_mul_f32_e32 v61, v36, v95
	v_fma_f32 v58, v34, v94, -v4
	v_mul_f32_e32 v4, v37, v95
	s_waitcnt vmcnt(12)
	v_pk_fma_f32 v[18:19], v[38:39], v[46:47], v[16:17] op_sel:[0,0,1] op_sel_hi:[1,1,0] neg_lo:[0,0,1] neg_hi:[0,0,1]
	v_pk_fma_f32 v[16:17], v[38:39], v[46:47], v[16:17] op_sel:[0,0,1] op_sel_hi:[1,0,0]
	v_fmac_f32_e32 v61, v37, v96
	v_fma_f32 v60, v36, v96, -v4
	v_pk_add_f32 v[14:15], v[56:57], v[58:59]
	v_mov_b32_e32 v16, v45
	v_pk_add_f32 v[14:15], v[14:15], v[60:61]
	v_mov_b32_e32 v19, v17
	s_waitcnt lgkmcnt(0)
	v_pk_mul_f32 v[16:17], v[40:41], v[16:17] op_sel_hi:[1,0]
	v_pk_add_f32 v[14:15], v[14:15], v[18:19]
	v_pk_fma_f32 v[18:19], v[40:41], v[44:45], v[16:17] op_sel:[0,0,1] op_sel_hi:[1,1,0] neg_lo:[0,0,1] neg_hi:[0,0,1]
	v_pk_fma_f32 v[16:17], v[40:41], v[44:45], v[16:17] op_sel:[0,0,1] op_sel_hi:[1,0,0]
	s_waitcnt vmcnt(11)
	v_mov_b32_e32 v16, v49
	ds_read_b128 v[4:7], v1 offset:976
	ds_read_b128 v[8:11], v1 offset:992
	ds_read_b64 v[12:13], v1 offset:1008
	v_mov_b32_e32 v19, v17
	v_pk_mul_f32 v[16:17], v[42:43], v[16:17] op_sel_hi:[1,0]
	v_pk_add_f32 v[14:15], v[14:15], v[18:19]
	s_waitcnt vmcnt(4)
	v_pk_fma_f32 v[18:19], v[42:43], v[48:49], v[16:17] op_sel:[0,0,1] op_sel_hi:[1,1,0] neg_lo:[0,0,1] neg_hi:[0,0,1]
	v_pk_fma_f32 v[16:17], v[42:43], v[48:49], v[16:17] op_sel:[0,0,1] op_sel_hi:[1,0,0]
	v_mov_b32_e32 v16, v55
	v_mov_b32_e32 v19, v17
	s_waitcnt lgkmcnt(2)
	v_pk_mul_f32 v[16:17], v[4:5], v[16:17] op_sel_hi:[1,0]
	v_pk_add_f32 v[14:15], v[14:15], v[18:19]
	v_pk_fma_f32 v[18:19], v[4:5], v[54:55], v[16:17] op_sel:[0,0,1] op_sel_hi:[1,1,0] neg_lo:[0,0,1] neg_hi:[0,0,1]
	v_pk_fma_f32 v[4:5], v[4:5], v[54:55], v[16:17] op_sel:[0,0,1] op_sel_hi:[1,0,0]
	v_mov_b32_e32 v19, v5
	v_pk_add_f32 v[4:5], v[14:15], v[18:19]
	v_mov_b32_e32 v14, v53
	v_pk_mul_f32 v[14:15], v[6:7], v[14:15] op_sel_hi:[1,0]
	v_pk_fma_f32 v[16:17], v[6:7], v[52:53], v[14:15] op_sel:[0,0,1] op_sel_hi:[1,1,0] neg_lo:[0,0,1] neg_hi:[0,0,1]
	v_pk_fma_f32 v[6:7], v[6:7], v[52:53], v[14:15] op_sel:[0,0,1] op_sel_hi:[1,0,0]
	v_mov_b32_e32 v6, v51
	v_mov_b32_e32 v17, v7
	s_waitcnt lgkmcnt(1)
	v_pk_mul_f32 v[6:7], v[8:9], v[6:7] op_sel_hi:[1,0]
	v_pk_fma_f32 v[14:15], v[8:9], v[50:51], v[6:7] op_sel:[0,0,1] op_sel_hi:[1,1,0] neg_lo:[0,0,1] neg_hi:[0,0,1]
	v_pk_fma_f32 v[6:7], v[8:9], v[50:51], v[6:7] op_sel:[0,0,1] op_sel_hi:[1,0,0]
	s_waitcnt vmcnt(1)
	v_mov_b32_e32 v6, v65
	v_mov_b32_e32 v15, v7
	v_pk_mul_f32 v[6:7], v[10:11], v[6:7] op_sel_hi:[1,0]
	s_waitcnt vmcnt(0)
	v_pk_fma_f32 v[8:9], v[10:11], v[64:65], v[6:7] op_sel:[0,0,1] op_sel_hi:[1,1,0] neg_lo:[0,0,1] neg_hi:[0,0,1]
	v_pk_fma_f32 v[6:7], v[10:11], v[64:65], v[6:7] op_sel:[0,0,1] op_sel_hi:[1,0,0]
	v_pk_add_f32 v[4:5], v[4:5], v[16:17]
	v_mov_b32_e32 v6, v63
	v_pk_add_f32 v[4:5], v[4:5], v[14:15]
	v_mov_b32_e32 v9, v7
	s_waitcnt lgkmcnt(0)
	v_pk_mul_f32 v[6:7], v[12:13], v[6:7] op_sel_hi:[1,0]
	v_pk_add_f32 v[4:5], v[4:5], v[8:9]
	v_pk_fma_f32 v[8:9], v[12:13], v[62:63], v[6:7] op_sel:[0,0,1] op_sel_hi:[1,1,0] neg_lo:[0,0,1] neg_hi:[0,0,1]
	v_pk_fma_f32 v[6:7], v[12:13], v[62:63], v[6:7] op_sel:[0,0,1] op_sel_hi:[1,0,0]
	v_mov_b32_e32 v9, v7
	v_pk_add_f32 v[4:5], v[4:5], v[8:9]
	v_pk_add_f32 v[2:3], v[2:3], v[4:5] neg_lo:[0,1] neg_hi:[0,1]
	buffer_store_dword v3, off, s[0:3], 0 offset:300
	buffer_store_dword v2, off, s[0:3], 0 offset:296
	s_and_saveexec_b64 s[4:5], vcc
	s_cbranch_execz .LBB62_319
; %bb.318:
	buffer_load_dword v2, off, s[0:3], 0 offset:288
	buffer_load_dword v3, off, s[0:3], 0 offset:292
	s_waitcnt vmcnt(0)
	ds_write_b64 v217, v[2:3]
	buffer_store_dword v1, off, s[0:3], 0 offset:288
	buffer_store_dword v1, off, s[0:3], 0 offset:292
.LBB62_319:
	s_or_b64 exec, exec, s[4:5]
	s_waitcnt lgkmcnt(0)
	; wave barrier
	s_waitcnt lgkmcnt(0)
	buffer_load_dword v54, off, s[0:3], 0 offset:300
	buffer_load_dword v56, off, s[0:3], 0 offset:308
	buffer_load_dword v58, off, s[0:3], 0 offset:316
	buffer_load_dword v66, off, s[0:3], 0 offset:324
	buffer_load_dword v67, off, s[0:3], 0 offset:332
	buffer_load_dword v68, off, s[0:3], 0 offset:340
	buffer_load_dword v69, off, s[0:3], 0 offset:348
	buffer_load_dword v70, off, s[0:3], 0 offset:356
	buffer_load_dword v71, off, s[0:3], 0 offset:364
	buffer_load_dword v72, off, s[0:3], 0 offset:372
	buffer_load_dword v73, off, s[0:3], 0 offset:380
	buffer_load_dword v74, off, s[0:3], 0 offset:388
	buffer_load_dword v75, off, s[0:3], 0 offset:396
	buffer_load_dword v76, off, s[0:3], 0 offset:404
	buffer_load_dword v77, off, s[0:3], 0 offset:412
	buffer_load_dword v78, off, s[0:3], 0 offset:296
	buffer_load_dword v79, off, s[0:3], 0 offset:304
	buffer_load_dword v80, off, s[0:3], 0 offset:312
	buffer_load_dword v81, off, s[0:3], 0 offset:320
	buffer_load_dword v82, off, s[0:3], 0 offset:328
	buffer_load_dword v83, off, s[0:3], 0 offset:336
	buffer_load_dword v84, off, s[0:3], 0 offset:344
	buffer_load_dword v85, off, s[0:3], 0 offset:352
	buffer_load_dword v86, off, s[0:3], 0 offset:360
	buffer_load_dword v87, off, s[0:3], 0 offset:368
	buffer_load_dword v88, off, s[0:3], 0 offset:376
	buffer_load_dword v89, off, s[0:3], 0 offset:384
	buffer_load_dword v90, off, s[0:3], 0 offset:392
	buffer_load_dword v91, off, s[0:3], 0 offset:400
	buffer_load_dword v92, off, s[0:3], 0 offset:408
	buffer_load_dword v93, off, s[0:3], 0 offset:420
	buffer_load_dword v94, off, s[0:3], 0 offset:416
	buffer_load_dword v95, off, s[0:3], 0 offset:428
	buffer_load_dword v96, off, s[0:3], 0 offset:424
	buffer_load_dword v97, off, s[0:3], 0 offset:436
	buffer_load_dword v98, off, s[0:3], 0 offset:432
	buffer_load_dword v42, off, s[0:3], 0 offset:288
	buffer_load_dword v43, off, s[0:3], 0 offset:292
	ds_read2_b64 v[2:5], v1 offset0:101 offset1:102
	ds_read2_b64 v[6:9], v1 offset0:103 offset1:104
	;; [unrolled: 1-line block ×8, first 2 shown]
	buffer_load_dword v45, off, s[0:3], 0 offset:444
	buffer_load_dword v44, off, s[0:3], 0 offset:440
	;; [unrolled: 1-line block ×4, first 2 shown]
	v_cmp_lt_u32_e32 vcc, 35, v0
	s_waitcnt vmcnt(41) lgkmcnt(7)
	v_mul_f32_e32 v34, v2, v54
	s_waitcnt vmcnt(40)
	v_mul_f32_e32 v35, v4, v56
	s_waitcnt vmcnt(39) lgkmcnt(6)
	v_mul_f32_e32 v36, v6, v58
	s_waitcnt vmcnt(38)
	v_mul_f32_e32 v37, v8, v66
	;; [unrolled: 4-line block ×7, first 2 shown]
	s_waitcnt vmcnt(27) lgkmcnt(0)
	v_mul_f32_e32 v55, v30, v77
	s_waitcnt vmcnt(26)
	v_fmac_f32_e32 v34, v3, v78
	s_waitcnt vmcnt(25)
	v_fmac_f32_e32 v35, v5, v79
	v_add_f32_e32 v34, 0, v34
	s_waitcnt vmcnt(24)
	v_fmac_f32_e32 v36, v7, v80
	v_add_f32_e32 v34, v34, v35
	;; [unrolled: 3-line block ×13, first 2 shown]
	v_add_f32_e32 v34, v34, v53
	buffer_load_dword v49, off, s[0:3], 0 offset:468
	buffer_load_dword v48, off, s[0:3], 0 offset:464
	;; [unrolled: 1-line block ×6, first 2 shown]
	s_waitcnt vmcnt(18)
	v_fmac_f32_e32 v55, v31, v92
	s_waitcnt vmcnt(17)
	v_mul_f32_e32 v39, v32, v93
	v_add_f32_e32 v38, v34, v55
	s_waitcnt vmcnt(16)
	v_fmac_f32_e32 v39, v33, v94
	ds_read2_b64 v[34:37], v1 offset0:117 offset1:118
	v_add_f32_e32 v55, v38, v39
	ds_read2_b64 v[38:41], v1 offset0:119 offset1:120
	buffer_load_dword v61, off, s[0:3], 0 offset:500
	buffer_load_dword v60, off, s[0:3], 0 offset:496
	;; [unrolled: 1-line block ×6, first 2 shown]
	v_mul_f32_e32 v3, v3, v54
	v_fma_f32 v2, v2, v78, -v3
	v_mul_f32_e32 v3, v5, v56
	v_add_f32_e32 v2, 0, v2
	v_fma_f32 v3, v4, v79, -v3
	v_add_f32_e32 v2, v2, v3
	v_mul_f32_e32 v3, v7, v58
	v_fma_f32 v3, v6, v80, -v3
	v_add_f32_e32 v2, v2, v3
	v_mul_f32_e32 v3, v9, v66
	;; [unrolled: 3-line block ×14, first 2 shown]
	v_fma_f32 v3, v32, v94, -v3
	s_waitcnt vmcnt(15)
	v_mov_b32_e32 v16, v45
	s_waitcnt lgkmcnt(1)
	v_mul_f32_e32 v57, v34, v95
	v_add_f32_e32 v54, v2, v3
	v_mul_f32_e32 v2, v35, v95
	s_waitcnt lgkmcnt(0)
	v_pk_mul_f32 v[16:17], v[38:39], v[16:17] op_sel_hi:[1,0]
	v_fmac_f32_e32 v57, v35, v96
	v_mul_f32_e32 v59, v36, v97
	v_fma_f32 v56, v34, v96, -v2
	v_mul_f32_e32 v2, v37, v97
	s_waitcnt vmcnt(14)
	v_pk_fma_f32 v[18:19], v[38:39], v[44:45], v[16:17] op_sel:[0,0,1] op_sel_hi:[1,1,0] neg_lo:[0,0,1] neg_hi:[0,0,1]
	v_pk_fma_f32 v[16:17], v[38:39], v[44:45], v[16:17] op_sel:[0,0,1] op_sel_hi:[1,0,0]
	v_fmac_f32_e32 v59, v37, v98
	v_fma_f32 v58, v36, v98, -v2
	v_pk_add_f32 v[14:15], v[54:55], v[56:57]
	ds_read2_b64 v[2:5], v1 offset0:121 offset1:122
	ds_read2_b64 v[6:9], v1 offset0:123 offset1:124
	ds_read2_b64 v[10:13], v1 offset0:125 offset1:126
	v_pk_add_f32 v[14:15], v[14:15], v[58:59]
	v_mov_b32_e32 v19, v17
	v_pk_add_f32 v[14:15], v[14:15], v[18:19]
	s_waitcnt vmcnt(7)
	v_mov_b32_e32 v16, v53
	v_pk_mul_f32 v[16:17], v[40:41], v[16:17] op_sel_hi:[1,0]
	s_waitcnt vmcnt(6)
	v_pk_fma_f32 v[18:19], v[40:41], v[52:53], v[16:17] op_sel:[0,0,1] op_sel_hi:[1,1,0] neg_lo:[0,0,1] neg_hi:[0,0,1]
	v_pk_fma_f32 v[16:17], v[40:41], v[52:53], v[16:17] op_sel:[0,0,1] op_sel_hi:[1,0,0]
	v_mov_b32_e32 v16, v51
	v_mov_b32_e32 v19, v17
	s_waitcnt lgkmcnt(2)
	v_pk_mul_f32 v[16:17], v[2:3], v[16:17] op_sel_hi:[1,0]
	v_pk_add_f32 v[14:15], v[14:15], v[18:19]
	v_pk_fma_f32 v[18:19], v[2:3], v[50:51], v[16:17] op_sel:[0,0,1] op_sel_hi:[1,1,0] neg_lo:[0,0,1] neg_hi:[0,0,1]
	v_pk_fma_f32 v[2:3], v[2:3], v[50:51], v[16:17] op_sel:[0,0,1] op_sel_hi:[1,0,0]
	v_mov_b32_e32 v19, v3
	v_pk_add_f32 v[2:3], v[14:15], v[18:19]
	v_mov_b32_e32 v14, v49
	v_pk_mul_f32 v[14:15], v[4:5], v[14:15] op_sel_hi:[1,0]
	v_pk_fma_f32 v[16:17], v[4:5], v[48:49], v[14:15] op_sel:[0,0,1] op_sel_hi:[1,1,0] neg_lo:[0,0,1] neg_hi:[0,0,1]
	v_pk_fma_f32 v[4:5], v[4:5], v[48:49], v[14:15] op_sel:[0,0,1] op_sel_hi:[1,0,0]
	v_mov_b32_e32 v4, v47
	v_mov_b32_e32 v17, v5
	s_waitcnt lgkmcnt(1)
	v_pk_mul_f32 v[4:5], v[6:7], v[4:5] op_sel_hi:[1,0]
	v_pk_fma_f32 v[14:15], v[6:7], v[46:47], v[4:5] op_sel:[0,0,1] op_sel_hi:[1,1,0] neg_lo:[0,0,1] neg_hi:[0,0,1]
	v_pk_fma_f32 v[4:5], v[6:7], v[46:47], v[4:5] op_sel:[0,0,1] op_sel_hi:[1,0,0]
	s_waitcnt vmcnt(1)
	v_mov_b32_e32 v4, v65
	v_mov_b32_e32 v15, v5
	v_pk_mul_f32 v[4:5], v[8:9], v[4:5] op_sel_hi:[1,0]
	s_waitcnt vmcnt(0)
	v_pk_fma_f32 v[6:7], v[8:9], v[64:65], v[4:5] op_sel:[0,0,1] op_sel_hi:[1,1,0] neg_lo:[0,0,1] neg_hi:[0,0,1]
	v_pk_fma_f32 v[4:5], v[8:9], v[64:65], v[4:5] op_sel:[0,0,1] op_sel_hi:[1,0,0]
	v_pk_add_f32 v[2:3], v[2:3], v[16:17]
	v_mov_b32_e32 v4, v63
	v_pk_add_f32 v[2:3], v[2:3], v[14:15]
	v_mov_b32_e32 v7, v5
	s_waitcnt lgkmcnt(0)
	v_pk_mul_f32 v[4:5], v[10:11], v[4:5] op_sel_hi:[1,0]
	v_pk_add_f32 v[2:3], v[2:3], v[6:7]
	v_pk_fma_f32 v[6:7], v[10:11], v[62:63], v[4:5] op_sel:[0,0,1] op_sel_hi:[1,1,0] neg_lo:[0,0,1] neg_hi:[0,0,1]
	v_pk_fma_f32 v[4:5], v[10:11], v[62:63], v[4:5] op_sel:[0,0,1] op_sel_hi:[1,0,0]
	v_mov_b32_e32 v4, v61
	v_mov_b32_e32 v7, v5
	v_pk_mul_f32 v[4:5], v[12:13], v[4:5] op_sel_hi:[1,0]
	v_pk_add_f32 v[2:3], v[2:3], v[6:7]
	v_pk_fma_f32 v[6:7], v[12:13], v[60:61], v[4:5] op_sel:[0,0,1] op_sel_hi:[1,1,0] neg_lo:[0,0,1] neg_hi:[0,0,1]
	v_pk_fma_f32 v[4:5], v[12:13], v[60:61], v[4:5] op_sel:[0,0,1] op_sel_hi:[1,0,0]
	v_mov_b32_e32 v7, v5
	v_pk_add_f32 v[2:3], v[2:3], v[6:7]
	v_pk_add_f32 v[2:3], v[42:43], v[2:3] neg_lo:[0,1] neg_hi:[0,1]
	buffer_store_dword v3, off, s[0:3], 0 offset:292
	buffer_store_dword v2, off, s[0:3], 0 offset:288
	s_and_saveexec_b64 s[4:5], vcc
	s_cbranch_execz .LBB62_321
; %bb.320:
	buffer_load_dword v2, off, s[0:3], 0 offset:280
	buffer_load_dword v3, off, s[0:3], 0 offset:284
	v_mov_b32_e32 v1, 0
	buffer_store_dword v1, off, s[0:3], 0 offset:280
	buffer_store_dword v1, off, s[0:3], 0 offset:284
	s_waitcnt vmcnt(2)
	ds_write_b64 v217, v[2:3]
.LBB62_321:
	s_or_b64 exec, exec, s[4:5]
	s_waitcnt lgkmcnt(0)
	; wave barrier
	s_waitcnt lgkmcnt(0)
	buffer_load_dword v52, off, s[0:3], 0 offset:292
	buffer_load_dword v54, off, s[0:3], 0 offset:300
	;; [unrolled: 1-line block ×40, first 2 shown]
	v_mov_b32_e32 v1, 0
	ds_read_b128 v[4:7], v1 offset:800
	ds_read_b128 v[8:11], v1 offset:816
	;; [unrolled: 1-line block ×8, first 2 shown]
	v_cmp_lt_u32_e32 vcc, 34, v0
	s_waitcnt vmcnt(39) lgkmcnt(7)
	v_mul_f32_e32 v36, v4, v52
	s_waitcnt vmcnt(38)
	v_mul_f32_e32 v37, v6, v54
	s_waitcnt vmcnt(37) lgkmcnt(6)
	v_mul_f32_e32 v38, v8, v56
	s_waitcnt vmcnt(36)
	v_mul_f32_e32 v39, v10, v66
	;; [unrolled: 4-line block ×8, first 2 shown]
	s_waitcnt vmcnt(23)
	v_fmac_f32_e32 v36, v5, v79
	s_waitcnt vmcnt(22)
	v_fmac_f32_e32 v37, v7, v80
	v_add_f32_e32 v36, 0, v36
	s_waitcnt vmcnt(21)
	v_fmac_f32_e32 v38, v9, v81
	v_add_f32_e32 v36, v36, v37
	;; [unrolled: 3-line block ×14, first 2 shown]
	v_add_f32_e32 v36, v36, v50
	s_waitcnt vmcnt(8)
	v_fmac_f32_e32 v51, v35, v94
	v_add_f32_e32 v53, v36, v51
	ds_read_b128 v[36:39], v1 offset:928
	buffer_load_dword v45, off, s[0:3], 0 offset:444
	buffer_load_dword v47, off, s[0:3], 0 offset:468
	;; [unrolled: 1-line block ×8, first 2 shown]
	ds_read_b128 v[40:43], v1 offset:944
	buffer_load_dword v59, off, s[0:3], 0 offset:500
	buffer_load_dword v58, off, s[0:3], 0 offset:496
	;; [unrolled: 1-line block ×8, first 2 shown]
	v_mul_f32_e32 v5, v5, v52
	v_fma_f32 v4, v4, v79, -v5
	v_mul_f32_e32 v5, v7, v54
	v_add_f32_e32 v4, 0, v4
	v_fma_f32 v5, v6, v80, -v5
	v_add_f32_e32 v4, v4, v5
	v_mul_f32_e32 v5, v9, v56
	v_fma_f32 v5, v8, v81, -v5
	v_add_f32_e32 v4, v4, v5
	v_mul_f32_e32 v5, v11, v66
	v_fma_f32 v5, v10, v82, -v5
	v_add_f32_e32 v4, v4, v5
	v_mul_f32_e32 v5, v13, v67
	v_fma_f32 v5, v12, v83, -v5
	v_add_f32_e32 v4, v4, v5
	v_mul_f32_e32 v5, v15, v68
	v_fma_f32 v5, v14, v84, -v5
	v_add_f32_e32 v4, v4, v5
	v_mul_f32_e32 v5, v17, v69
	v_fma_f32 v5, v16, v85, -v5
	v_add_f32_e32 v4, v4, v5
	v_mul_f32_e32 v5, v19, v70
	v_fma_f32 v5, v18, v86, -v5
	v_add_f32_e32 v4, v4, v5
	v_mul_f32_e32 v5, v21, v71
	v_fma_f32 v5, v20, v87, -v5
	v_add_f32_e32 v4, v4, v5
	v_mul_f32_e32 v5, v23, v72
	v_fma_f32 v5, v22, v88, -v5
	v_add_f32_e32 v4, v4, v5
	v_mul_f32_e32 v5, v25, v73
	v_fma_f32 v5, v24, v89, -v5
	v_add_f32_e32 v4, v4, v5
	v_mul_f32_e32 v5, v27, v74
	v_fma_f32 v5, v26, v90, -v5
	v_add_f32_e32 v4, v4, v5
	v_mul_f32_e32 v5, v29, v75
	v_fma_f32 v5, v28, v91, -v5
	v_add_f32_e32 v4, v4, v5
	v_mul_f32_e32 v5, v31, v76
	v_fma_f32 v5, v30, v92, -v5
	v_add_f32_e32 v4, v4, v5
	v_mul_f32_e32 v5, v33, v77
	v_fma_f32 v5, v32, v93, -v5
	v_add_f32_e32 v4, v4, v5
	v_mul_f32_e32 v5, v35, v78
	v_fma_f32 v5, v34, v94, -v5
	v_add_f32_e32 v4, v4, v5
	s_waitcnt vmcnt(23) lgkmcnt(1)
	v_mul_f32_e32 v5, v37, v95
	v_mul_f32_e32 v55, v36, v95
	s_waitcnt vmcnt(22)
	v_fma_f32 v5, v36, v96, -v5
	v_fmac_f32_e32 v55, v37, v96
	v_add_f32_e32 v52, v4, v5
	s_waitcnt vmcnt(21)
	v_mul_f32_e32 v4, v39, v97
	v_add_f32_e32 v53, v53, v55
	v_mul_f32_e32 v55, v38, v97
	s_waitcnt vmcnt(20)
	v_fma_f32 v54, v38, v98, -v4
	s_waitcnt vmcnt(19) lgkmcnt(0)
	v_mul_f32_e32 v4, v41, v99
	v_fmac_f32_e32 v55, v39, v98
	v_mul_f32_e32 v57, v40, v99
	s_waitcnt vmcnt(18)
	v_fma_f32 v56, v40, v100, -v4
	ds_read_b128 v[4:7], v1 offset:960
	ds_read_b128 v[8:11], v1 offset:976
	;; [unrolled: 1-line block ×3, first 2 shown]
	ds_read_b64 v[16:17], v1 offset:1008
	v_fmac_f32_e32 v57, v41, v100
	v_pk_add_f32 v[18:19], v[52:53], v[54:55]
	v_pk_add_f32 v[18:19], v[18:19], v[56:57]
	s_waitcnt vmcnt(15)
	v_mov_b32_e32 v20, v45
	v_pk_mul_f32 v[20:21], v[42:43], v[20:21] op_sel_hi:[1,0]
	s_waitcnt vmcnt(8)
	v_pk_fma_f32 v[22:23], v[42:43], v[44:45], v[20:21] op_sel:[0,0,1] op_sel_hi:[1,1,0] neg_lo:[0,0,1] neg_hi:[0,0,1]
	v_pk_fma_f32 v[20:21], v[42:43], v[44:45], v[20:21] op_sel:[0,0,1] op_sel_hi:[1,0,0]
	v_mov_b32_e32 v20, v51
	v_mov_b32_e32 v23, v21
	s_waitcnt lgkmcnt(3)
	v_pk_mul_f32 v[20:21], v[4:5], v[20:21] op_sel_hi:[1,0]
	v_pk_add_f32 v[18:19], v[18:19], v[22:23]
	v_pk_fma_f32 v[22:23], v[4:5], v[50:51], v[20:21] op_sel:[0,0,1] op_sel_hi:[1,1,0] neg_lo:[0,0,1] neg_hi:[0,0,1]
	v_pk_fma_f32 v[4:5], v[4:5], v[50:51], v[20:21] op_sel:[0,0,1] op_sel_hi:[1,0,0]
	v_mov_b32_e32 v23, v5
	v_pk_add_f32 v[4:5], v[18:19], v[22:23]
	v_mov_b32_e32 v18, v49
	v_pk_mul_f32 v[18:19], v[6:7], v[18:19] op_sel_hi:[1,0]
	v_pk_fma_f32 v[20:21], v[6:7], v[48:49], v[18:19] op_sel:[0,0,1] op_sel_hi:[1,1,0] neg_lo:[0,0,1] neg_hi:[0,0,1]
	v_pk_fma_f32 v[6:7], v[6:7], v[48:49], v[18:19] op_sel:[0,0,1] op_sel_hi:[1,0,0]
	v_mov_b32_e32 v6, v47
	v_mov_b32_e32 v21, v7
	s_waitcnt lgkmcnt(2)
	v_pk_mul_f32 v[6:7], v[8:9], v[6:7] op_sel_hi:[1,0]
	v_pk_fma_f32 v[18:19], v[8:9], v[46:47], v[6:7] op_sel:[0,0,1] op_sel_hi:[1,1,0] neg_lo:[0,0,1] neg_hi:[0,0,1]
	v_pk_fma_f32 v[6:7], v[8:9], v[46:47], v[6:7] op_sel:[0,0,1] op_sel_hi:[1,0,0]
	s_waitcnt vmcnt(1)
	v_mov_b32_e32 v6, v65
	v_mov_b32_e32 v19, v7
	v_pk_mul_f32 v[6:7], v[10:11], v[6:7] op_sel_hi:[1,0]
	s_waitcnt vmcnt(0)
	v_pk_fma_f32 v[8:9], v[10:11], v[64:65], v[6:7] op_sel:[0,0,1] op_sel_hi:[1,1,0] neg_lo:[0,0,1] neg_hi:[0,0,1]
	v_pk_fma_f32 v[6:7], v[10:11], v[64:65], v[6:7] op_sel:[0,0,1] op_sel_hi:[1,0,0]
	v_pk_add_f32 v[4:5], v[4:5], v[20:21]
	v_mov_b32_e32 v6, v63
	v_pk_add_f32 v[4:5], v[4:5], v[18:19]
	v_mov_b32_e32 v9, v7
	s_waitcnt lgkmcnt(1)
	v_pk_mul_f32 v[6:7], v[12:13], v[6:7] op_sel_hi:[1,0]
	v_pk_add_f32 v[4:5], v[4:5], v[8:9]
	v_pk_fma_f32 v[8:9], v[12:13], v[62:63], v[6:7] op_sel:[0,0,1] op_sel_hi:[1,1,0] neg_lo:[0,0,1] neg_hi:[0,0,1]
	v_pk_fma_f32 v[6:7], v[12:13], v[62:63], v[6:7] op_sel:[0,0,1] op_sel_hi:[1,0,0]
	v_mov_b32_e32 v6, v61
	v_mov_b32_e32 v9, v7
	v_pk_mul_f32 v[6:7], v[14:15], v[6:7] op_sel_hi:[1,0]
	v_pk_add_f32 v[4:5], v[4:5], v[8:9]
	v_pk_fma_f32 v[8:9], v[14:15], v[60:61], v[6:7] op_sel:[0,0,1] op_sel_hi:[1,1,0] neg_lo:[0,0,1] neg_hi:[0,0,1]
	v_pk_fma_f32 v[6:7], v[14:15], v[60:61], v[6:7] op_sel:[0,0,1] op_sel_hi:[1,0,0]
	v_mov_b32_e32 v6, v59
	v_mov_b32_e32 v9, v7
	s_waitcnt lgkmcnt(0)
	v_pk_mul_f32 v[6:7], v[16:17], v[6:7] op_sel_hi:[1,0]
	v_pk_add_f32 v[4:5], v[4:5], v[8:9]
	v_pk_fma_f32 v[8:9], v[16:17], v[58:59], v[6:7] op_sel:[0,0,1] op_sel_hi:[1,1,0] neg_lo:[0,0,1] neg_hi:[0,0,1]
	v_pk_fma_f32 v[6:7], v[16:17], v[58:59], v[6:7] op_sel:[0,0,1] op_sel_hi:[1,0,0]
	v_mov_b32_e32 v9, v7
	v_pk_add_f32 v[4:5], v[4:5], v[8:9]
	v_pk_add_f32 v[2:3], v[2:3], v[4:5] neg_lo:[0,1] neg_hi:[0,1]
	buffer_store_dword v3, off, s[0:3], 0 offset:284
	buffer_store_dword v2, off, s[0:3], 0 offset:280
	s_and_saveexec_b64 s[4:5], vcc
	s_cbranch_execz .LBB62_323
; %bb.322:
	buffer_load_dword v2, off, s[0:3], 0 offset:272
	buffer_load_dword v3, off, s[0:3], 0 offset:276
	s_waitcnt vmcnt(0)
	ds_write_b64 v217, v[2:3]
	buffer_store_dword v1, off, s[0:3], 0 offset:272
	buffer_store_dword v1, off, s[0:3], 0 offset:276
.LBB62_323:
	s_or_b64 exec, exec, s[4:5]
	s_waitcnt lgkmcnt(0)
	; wave barrier
	s_waitcnt lgkmcnt(0)
	buffer_load_dword v44, off, s[0:3], 0 offset:284
	buffer_load_dword v46, off, s[0:3], 0 offset:292
	;; [unrolled: 1-line block ×42, first 2 shown]
	ds_read2_b64 v[4:7], v1 offset0:99 offset1:100
	ds_read2_b64 v[8:11], v1 offset0:101 offset1:102
	;; [unrolled: 1-line block ×8, first 2 shown]
	v_cmp_lt_u32_e32 vcc, 33, v0
	s_waitcnt vmcnt(41) lgkmcnt(7)
	v_mul_f32_e32 v36, v4, v44
	s_waitcnt vmcnt(40)
	v_mul_f32_e32 v37, v6, v46
	s_waitcnt vmcnt(39) lgkmcnt(6)
	v_mul_f32_e32 v38, v8, v54
	s_waitcnt vmcnt(38)
	v_mul_f32_e32 v39, v10, v66
	s_waitcnt vmcnt(37) lgkmcnt(5)
	v_mul_f32_e32 v40, v12, v67
	s_waitcnt vmcnt(36)
	v_mul_f32_e32 v41, v14, v68
	s_waitcnt vmcnt(35) lgkmcnt(4)
	v_mul_f32_e32 v42, v16, v69
	s_waitcnt vmcnt(34)
	v_mul_f32_e32 v43, v18, v70
	s_waitcnt vmcnt(33) lgkmcnt(3)
	v_mul_f32_e32 v45, v20, v71
	s_waitcnt vmcnt(32)
	v_mul_f32_e32 v47, v22, v72
	s_waitcnt vmcnt(31) lgkmcnt(2)
	v_mul_f32_e32 v48, v24, v73
	s_waitcnt vmcnt(30)
	v_mul_f32_e32 v49, v26, v74
	s_waitcnt vmcnt(29) lgkmcnt(1)
	v_mul_f32_e32 v50, v28, v75
	s_waitcnt vmcnt(28)
	v_mul_f32_e32 v51, v30, v76
	s_waitcnt vmcnt(27) lgkmcnt(0)
	v_mul_f32_e32 v52, v32, v77
	s_waitcnt vmcnt(26)
	v_fmac_f32_e32 v36, v5, v78
	s_waitcnt vmcnt(25)
	v_fmac_f32_e32 v37, v7, v79
	v_add_f32_e32 v36, 0, v36
	s_waitcnt vmcnt(24)
	v_fmac_f32_e32 v38, v9, v80
	v_add_f32_e32 v36, v36, v37
	;; [unrolled: 3-line block ×14, first 2 shown]
	s_waitcnt vmcnt(11)
	v_mul_f32_e32 v41, v34, v93
	v_add_f32_e32 v40, v36, v52
	s_waitcnt vmcnt(10)
	v_fmac_f32_e32 v41, v35, v94
	ds_read2_b64 v[36:39], v1 offset0:115 offset1:116
	v_add_f32_e32 v45, v40, v41
	ds_read2_b64 v[40:43], v1 offset0:117 offset1:118
	buffer_load_dword v49, off, s[0:3], 0 offset:444
	buffer_load_dword v51, off, s[0:3], 0 offset:460
	;; [unrolled: 1-line block ×16, first 2 shown]
	v_mul_f32_e32 v5, v5, v44
	v_fma_f32 v4, v4, v78, -v5
	v_mul_f32_e32 v5, v7, v46
	v_add_f32_e32 v4, 0, v4
	v_fma_f32 v5, v6, v79, -v5
	v_add_f32_e32 v4, v4, v5
	v_mul_f32_e32 v5, v9, v54
	v_fma_f32 v5, v8, v80, -v5
	v_add_f32_e32 v4, v4, v5
	v_mul_f32_e32 v5, v11, v66
	;; [unrolled: 3-line block ×14, first 2 shown]
	v_fma_f32 v5, v34, v94, -v5
	v_add_f32_e32 v4, v4, v5
	s_waitcnt vmcnt(25) lgkmcnt(1)
	v_mul_f32_e32 v5, v37, v95
	s_waitcnt vmcnt(24)
	v_fma_f32 v5, v36, v96, -v5
	v_add_f32_e32 v4, v4, v5
	s_waitcnt vmcnt(23)
	v_mul_f32_e32 v5, v39, v97
	v_mul_f32_e32 v47, v36, v95
	s_waitcnt vmcnt(22)
	v_fma_f32 v5, v38, v98, -v5
	v_fmac_f32_e32 v47, v37, v96
	v_add_f32_e32 v44, v4, v5
	s_waitcnt vmcnt(21) lgkmcnt(0)
	v_mul_f32_e32 v4, v41, v99
	v_add_f32_e32 v45, v45, v47
	v_mul_f32_e32 v47, v38, v97
	s_waitcnt vmcnt(20)
	v_fma_f32 v46, v40, v100, -v4
	s_waitcnt vmcnt(19)
	v_mul_f32_e32 v4, v43, v101
	v_fmac_f32_e32 v47, v39, v98
	s_waitcnt vmcnt(18)
	v_fma_f32 v54, v42, v102, -v4
	ds_read2_b64 v[4:7], v1 offset0:119 offset1:120
	ds_read2_b64 v[8:11], v1 offset0:121 offset1:122
	;; [unrolled: 1-line block ×4, first 2 shown]
	v_add_f32_e32 v45, v45, v47
	v_mul_f32_e32 v47, v40, v99
	v_fmac_f32_e32 v47, v41, v100
	v_mul_f32_e32 v55, v42, v101
	v_fmac_f32_e32 v55, v43, v102
	v_pk_add_f32 v[20:21], v[44:45], v[46:47]
	v_pk_add_f32 v[20:21], v[20:21], v[54:55]
	s_waitcnt vmcnt(15)
	v_mov_b32_e32 v22, v49
	s_waitcnt lgkmcnt(3)
	v_pk_mul_f32 v[22:23], v[4:5], v[22:23] op_sel_hi:[1,0]
	s_waitcnt vmcnt(10)
	v_pk_fma_f32 v[24:25], v[4:5], v[48:49], v[22:23] op_sel:[0,0,1] op_sel_hi:[1,1,0] neg_lo:[0,0,1] neg_hi:[0,0,1]
	v_pk_fma_f32 v[4:5], v[4:5], v[48:49], v[22:23] op_sel:[0,0,1] op_sel_hi:[1,0,0]
	v_mov_b32_e32 v25, v5
	v_pk_add_f32 v[4:5], v[20:21], v[24:25]
	v_mov_b32_e32 v20, v53
	v_pk_mul_f32 v[20:21], v[6:7], v[20:21] op_sel_hi:[1,0]
	v_pk_fma_f32 v[22:23], v[6:7], v[52:53], v[20:21] op_sel:[0,0,1] op_sel_hi:[1,1,0] neg_lo:[0,0,1] neg_hi:[0,0,1]
	v_pk_fma_f32 v[6:7], v[6:7], v[52:53], v[20:21] op_sel:[0,0,1] op_sel_hi:[1,0,0]
	v_mov_b32_e32 v6, v51
	v_mov_b32_e32 v23, v7
	s_waitcnt lgkmcnt(2)
	v_pk_mul_f32 v[6:7], v[8:9], v[6:7] op_sel_hi:[1,0]
	v_pk_fma_f32 v[20:21], v[8:9], v[50:51], v[6:7] op_sel:[0,0,1] op_sel_hi:[1,1,0] neg_lo:[0,0,1] neg_hi:[0,0,1]
	v_pk_fma_f32 v[6:7], v[8:9], v[50:51], v[6:7] op_sel:[0,0,1] op_sel_hi:[1,0,0]
	s_waitcnt vmcnt(3)
	v_mov_b32_e32 v6, v63
	v_mov_b32_e32 v21, v7
	v_pk_mul_f32 v[6:7], v[10:11], v[6:7] op_sel_hi:[1,0]
	s_waitcnt vmcnt(2)
	v_pk_fma_f32 v[8:9], v[10:11], v[62:63], v[6:7] op_sel:[0,0,1] op_sel_hi:[1,1,0] neg_lo:[0,0,1] neg_hi:[0,0,1]
	v_pk_fma_f32 v[6:7], v[10:11], v[62:63], v[6:7] op_sel:[0,0,1] op_sel_hi:[1,0,0]
	v_pk_add_f32 v[4:5], v[4:5], v[22:23]
	v_mov_b32_e32 v6, v61
	v_pk_add_f32 v[4:5], v[4:5], v[20:21]
	v_mov_b32_e32 v9, v7
	s_waitcnt lgkmcnt(1)
	v_pk_mul_f32 v[6:7], v[12:13], v[6:7] op_sel_hi:[1,0]
	v_pk_add_f32 v[4:5], v[4:5], v[8:9]
	v_pk_fma_f32 v[8:9], v[12:13], v[60:61], v[6:7] op_sel:[0,0,1] op_sel_hi:[1,1,0] neg_lo:[0,0,1] neg_hi:[0,0,1]
	v_pk_fma_f32 v[6:7], v[12:13], v[60:61], v[6:7] op_sel:[0,0,1] op_sel_hi:[1,0,0]
	v_mov_b32_e32 v6, v59
	v_mov_b32_e32 v9, v7
	v_pk_mul_f32 v[6:7], v[14:15], v[6:7] op_sel_hi:[1,0]
	v_pk_add_f32 v[4:5], v[4:5], v[8:9]
	v_pk_fma_f32 v[8:9], v[14:15], v[58:59], v[6:7] op_sel:[0,0,1] op_sel_hi:[1,1,0] neg_lo:[0,0,1] neg_hi:[0,0,1]
	v_pk_fma_f32 v[6:7], v[14:15], v[58:59], v[6:7] op_sel:[0,0,1] op_sel_hi:[1,0,0]
	v_mov_b32_e32 v6, v57
	v_mov_b32_e32 v9, v7
	s_waitcnt lgkmcnt(0)
	v_pk_mul_f32 v[6:7], v[16:17], v[6:7] op_sel_hi:[1,0]
	v_pk_add_f32 v[4:5], v[4:5], v[8:9]
	v_pk_fma_f32 v[8:9], v[16:17], v[56:57], v[6:7] op_sel:[0,0,1] op_sel_hi:[1,1,0] neg_lo:[0,0,1] neg_hi:[0,0,1]
	v_pk_fma_f32 v[6:7], v[16:17], v[56:57], v[6:7] op_sel:[0,0,1] op_sel_hi:[1,0,0]
	s_waitcnt vmcnt(1)
	v_mov_b32_e32 v6, v65
	v_mov_b32_e32 v9, v7
	v_pk_mul_f32 v[6:7], v[18:19], v[6:7] op_sel_hi:[1,0]
	v_pk_add_f32 v[4:5], v[4:5], v[8:9]
	s_waitcnt vmcnt(0)
	v_pk_fma_f32 v[8:9], v[18:19], v[64:65], v[6:7] op_sel:[0,0,1] op_sel_hi:[1,1,0] neg_lo:[0,0,1] neg_hi:[0,0,1]
	v_pk_fma_f32 v[6:7], v[18:19], v[64:65], v[6:7] op_sel:[0,0,1] op_sel_hi:[1,0,0]
	v_mov_b32_e32 v9, v7
	v_pk_add_f32 v[4:5], v[4:5], v[8:9]
	v_pk_add_f32 v[2:3], v[2:3], v[4:5] neg_lo:[0,1] neg_hi:[0,1]
	buffer_store_dword v3, off, s[0:3], 0 offset:276
	buffer_store_dword v2, off, s[0:3], 0 offset:272
	s_and_saveexec_b64 s[4:5], vcc
	s_cbranch_execz .LBB62_325
; %bb.324:
	buffer_load_dword v2, off, s[0:3], 0 offset:264
	buffer_load_dword v3, off, s[0:3], 0 offset:268
	v_mov_b32_e32 v1, 0
	buffer_store_dword v1, off, s[0:3], 0 offset:264
	buffer_store_dword v1, off, s[0:3], 0 offset:268
	s_waitcnt vmcnt(2)
	ds_write_b64 v217, v[2:3]
.LBB62_325:
	s_or_b64 exec, exec, s[4:5]
	s_waitcnt lgkmcnt(0)
	; wave barrier
	s_waitcnt lgkmcnt(0)
	buffer_load_dword v52, off, s[0:3], 0 offset:276
	buffer_load_dword v58, off, s[0:3], 0 offset:284
	;; [unrolled: 1-line block ×44, first 2 shown]
	v_mov_b32_e32 v1, 0
	ds_read_b128 v[4:7], v1 offset:784
	ds_read_b128 v[8:11], v1 offset:800
	;; [unrolled: 1-line block ×8, first 2 shown]
	v_cmp_lt_u32_e32 vcc, 32, v0
	s_waitcnt vmcnt(43) lgkmcnt(7)
	v_mul_f32_e32 v36, v4, v52
	s_waitcnt vmcnt(42)
	v_mul_f32_e32 v37, v6, v58
	s_waitcnt vmcnt(41) lgkmcnt(6)
	v_mul_f32_e32 v38, v8, v60
	s_waitcnt vmcnt(40)
	v_mul_f32_e32 v39, v10, v74
	;; [unrolled: 4-line block ×7, first 2 shown]
	s_waitcnt vmcnt(29)
	v_fmac_f32_e32 v36, v5, v85
	s_waitcnt vmcnt(28)
	v_fmac_f32_e32 v37, v7, v86
	v_add_f32_e32 v36, 0, v36
	s_waitcnt vmcnt(27)
	v_fmac_f32_e32 v38, v9, v87
	v_add_f32_e32 v36, v36, v37
	;; [unrolled: 3-line block ×12, first 2 shown]
	v_add_f32_e32 v36, v36, v48
	s_waitcnt vmcnt(16)
	v_fmac_f32_e32 v49, v31, v98
	s_waitcnt vmcnt(15) lgkmcnt(0)
	v_mul_f32_e32 v37, v32, v99
	v_add_f32_e32 v36, v36, v49
	s_waitcnt vmcnt(14)
	v_fmac_f32_e32 v37, v33, v100
	v_add_f32_e32 v40, v36, v37
	ds_read_b128 v[36:39], v1 offset:912
	s_waitcnt vmcnt(13)
	v_mul_f32_e32 v41, v34, v101
	s_waitcnt vmcnt(12)
	v_fmac_f32_e32 v41, v35, v102
	v_add_f32_e32 v44, v40, v41
	ds_read_b128 v[40:43], v1 offset:928
	s_waitcnt vmcnt(11) lgkmcnt(1)
	v_mul_f32_e32 v45, v36, v103
	s_waitcnt vmcnt(10)
	v_fmac_f32_e32 v45, v37, v104
	v_add_f32_e32 v44, v44, v45
	s_waitcnt vmcnt(9)
	v_mul_f32_e32 v45, v38, v105
	s_waitcnt vmcnt(8)
	v_fmac_f32_e32 v45, v39, v106
	v_add_f32_e32 v44, v44, v45
	s_waitcnt vmcnt(7) lgkmcnt(0)
	v_mul_f32_e32 v45, v40, v107
	s_waitcnt vmcnt(6)
	v_fmac_f32_e32 v45, v41, v108
	v_add_f32_e32 v53, v44, v45
	ds_read_b128 v[44:47], v1 offset:944
	buffer_load_dword v55, off, s[0:3], 0 offset:452
	buffer_load_dword v54, off, s[0:3], 0 offset:448
	;; [unrolled: 1-line block ×4, first 2 shown]
	ds_read_b128 v[48:51], v1 offset:960
	buffer_load_dword v63, off, s[0:3], 0 offset:484
	buffer_load_dword v62, off, s[0:3], 0 offset:480
	;; [unrolled: 1-line block ×12, first 2 shown]
	v_mul_f32_e32 v5, v5, v52
	v_fma_f32 v4, v4, v85, -v5
	v_mul_f32_e32 v5, v7, v58
	v_add_f32_e32 v4, 0, v4
	v_fma_f32 v5, v6, v86, -v5
	v_add_f32_e32 v4, v4, v5
	v_mul_f32_e32 v5, v9, v60
	v_fma_f32 v5, v8, v87, -v5
	v_add_f32_e32 v4, v4, v5
	v_mul_f32_e32 v5, v11, v74
	;; [unrolled: 3-line block ×17, first 2 shown]
	v_fma_f32 v5, v40, v108, -v5
	s_waitcnt vmcnt(21)
	v_mul_f32_e32 v59, v42, v109
	v_add_f32_e32 v52, v4, v5
	v_mul_f32_e32 v4, v43, v109
	s_waitcnt vmcnt(20)
	v_fmac_f32_e32 v59, v43, v110
	s_waitcnt vmcnt(19) lgkmcnt(1)
	v_mul_f32_e32 v61, v44, v111
	v_fma_f32 v58, v42, v110, -v4
	v_mul_f32_e32 v4, v45, v111
	s_waitcnt vmcnt(18)
	v_fmac_f32_e32 v61, v45, v112
	v_fma_f32 v60, v44, v112, -v4
	v_pk_add_f32 v[14:15], v[52:53], v[58:59]
	v_pk_add_f32 v[14:15], v[14:15], v[60:61]
	ds_read_b128 v[4:7], v1 offset:976
	ds_read_b128 v[8:11], v1 offset:992
	ds_read_b64 v[12:13], v1 offset:1008
	s_waitcnt vmcnt(13)
	v_mov_b32_e32 v16, v57
	v_pk_mul_f32 v[16:17], v[46:47], v[16:17] op_sel_hi:[1,0]
	s_waitcnt vmcnt(12)
	v_pk_fma_f32 v[18:19], v[46:47], v[56:57], v[16:17] op_sel:[0,0,1] op_sel_hi:[1,1,0] neg_lo:[0,0,1] neg_hi:[0,0,1]
	v_pk_fma_f32 v[16:17], v[46:47], v[56:57], v[16:17] op_sel:[0,0,1] op_sel_hi:[1,0,0]
	v_mov_b32_e32 v16, v55
	v_mov_b32_e32 v19, v17
	s_waitcnt lgkmcnt(3)
	v_pk_mul_f32 v[16:17], v[48:49], v[16:17] op_sel_hi:[1,0]
	v_pk_add_f32 v[14:15], v[14:15], v[18:19]
	v_pk_fma_f32 v[18:19], v[48:49], v[54:55], v[16:17] op_sel:[0,0,1] op_sel_hi:[1,1,0] neg_lo:[0,0,1] neg_hi:[0,0,1]
	v_pk_fma_f32 v[16:17], v[48:49], v[54:55], v[16:17] op_sel:[0,0,1] op_sel_hi:[1,0,0]
	s_waitcnt vmcnt(5)
	v_mov_b32_e32 v16, v69
	v_mov_b32_e32 v19, v17
	v_pk_mul_f32 v[16:17], v[50:51], v[16:17] op_sel_hi:[1,0]
	v_pk_add_f32 v[14:15], v[14:15], v[18:19]
	s_waitcnt vmcnt(4)
	v_pk_fma_f32 v[18:19], v[50:51], v[68:69], v[16:17] op_sel:[0,0,1] op_sel_hi:[1,1,0] neg_lo:[0,0,1] neg_hi:[0,0,1]
	v_pk_fma_f32 v[16:17], v[50:51], v[68:69], v[16:17] op_sel:[0,0,1] op_sel_hi:[1,0,0]
	v_mov_b32_e32 v16, v67
	v_mov_b32_e32 v19, v17
	s_waitcnt lgkmcnt(2)
	v_pk_mul_f32 v[16:17], v[4:5], v[16:17] op_sel_hi:[1,0]
	v_pk_add_f32 v[14:15], v[14:15], v[18:19]
	v_pk_fma_f32 v[18:19], v[4:5], v[66:67], v[16:17] op_sel:[0,0,1] op_sel_hi:[1,1,0] neg_lo:[0,0,1] neg_hi:[0,0,1]
	v_pk_fma_f32 v[4:5], v[4:5], v[66:67], v[16:17] op_sel:[0,0,1] op_sel_hi:[1,0,0]
	v_mov_b32_e32 v19, v5
	v_pk_add_f32 v[4:5], v[14:15], v[18:19]
	v_mov_b32_e32 v14, v65
	v_pk_mul_f32 v[14:15], v[6:7], v[14:15] op_sel_hi:[1,0]
	v_pk_fma_f32 v[16:17], v[6:7], v[64:65], v[14:15] op_sel:[0,0,1] op_sel_hi:[1,1,0] neg_lo:[0,0,1] neg_hi:[0,0,1]
	v_pk_fma_f32 v[6:7], v[6:7], v[64:65], v[14:15] op_sel:[0,0,1] op_sel_hi:[1,0,0]
	v_mov_b32_e32 v6, v63
	v_mov_b32_e32 v17, v7
	s_waitcnt lgkmcnt(1)
	v_pk_mul_f32 v[6:7], v[8:9], v[6:7] op_sel_hi:[1,0]
	v_pk_fma_f32 v[14:15], v[8:9], v[62:63], v[6:7] op_sel:[0,0,1] op_sel_hi:[1,1,0] neg_lo:[0,0,1] neg_hi:[0,0,1]
	v_pk_fma_f32 v[6:7], v[8:9], v[62:63], v[6:7] op_sel:[0,0,1] op_sel_hi:[1,0,0]
	s_waitcnt vmcnt(1)
	v_mov_b32_e32 v6, v73
	v_mov_b32_e32 v15, v7
	v_pk_mul_f32 v[6:7], v[10:11], v[6:7] op_sel_hi:[1,0]
	s_waitcnt vmcnt(0)
	v_pk_fma_f32 v[8:9], v[10:11], v[72:73], v[6:7] op_sel:[0,0,1] op_sel_hi:[1,1,0] neg_lo:[0,0,1] neg_hi:[0,0,1]
	v_pk_fma_f32 v[6:7], v[10:11], v[72:73], v[6:7] op_sel:[0,0,1] op_sel_hi:[1,0,0]
	v_pk_add_f32 v[4:5], v[4:5], v[16:17]
	v_mov_b32_e32 v6, v71
	v_pk_add_f32 v[4:5], v[4:5], v[14:15]
	v_mov_b32_e32 v9, v7
	s_waitcnt lgkmcnt(0)
	v_pk_mul_f32 v[6:7], v[12:13], v[6:7] op_sel_hi:[1,0]
	v_pk_add_f32 v[4:5], v[4:5], v[8:9]
	v_pk_fma_f32 v[8:9], v[12:13], v[70:71], v[6:7] op_sel:[0,0,1] op_sel_hi:[1,1,0] neg_lo:[0,0,1] neg_hi:[0,0,1]
	v_pk_fma_f32 v[6:7], v[12:13], v[70:71], v[6:7] op_sel:[0,0,1] op_sel_hi:[1,0,0]
	v_mov_b32_e32 v9, v7
	v_pk_add_f32 v[4:5], v[4:5], v[8:9]
	v_pk_add_f32 v[2:3], v[2:3], v[4:5] neg_lo:[0,1] neg_hi:[0,1]
	buffer_store_dword v3, off, s[0:3], 0 offset:268
	buffer_store_dword v2, off, s[0:3], 0 offset:264
	s_and_saveexec_b64 s[4:5], vcc
	s_cbranch_execz .LBB62_327
; %bb.326:
	buffer_load_dword v2, off, s[0:3], 0 offset:256
	buffer_load_dword v3, off, s[0:3], 0 offset:260
	s_waitcnt vmcnt(0)
	ds_write_b64 v217, v[2:3]
	buffer_store_dword v1, off, s[0:3], 0 offset:256
	buffer_store_dword v1, off, s[0:3], 0 offset:260
.LBB62_327:
	s_or_b64 exec, exec, s[4:5]
	s_waitcnt lgkmcnt(0)
	; wave barrier
	s_waitcnt lgkmcnt(0)
	buffer_load_dword v54, off, s[0:3], 0 offset:268
	buffer_load_dword v56, off, s[0:3], 0 offset:276
	;; [unrolled: 1-line block ×46, first 2 shown]
	ds_read2_b64 v[4:7], v1 offset0:97 offset1:98
	ds_read2_b64 v[8:11], v1 offset0:99 offset1:100
	;; [unrolled: 1-line block ×8, first 2 shown]
	v_cmp_lt_u32_e32 vcc, 31, v0
	s_waitcnt vmcnt(45) lgkmcnt(7)
	v_mul_f32_e32 v36, v4, v54
	s_waitcnt vmcnt(44)
	v_mul_f32_e32 v37, v6, v56
	s_waitcnt vmcnt(43) lgkmcnt(6)
	v_mul_f32_e32 v38, v8, v58
	s_waitcnt vmcnt(42)
	v_mul_f32_e32 v39, v10, v74
	;; [unrolled: 4-line block ×6, first 2 shown]
	s_waitcnt vmcnt(33) lgkmcnt(1)
	v_mul_f32_e32 v48, v28, v83
	s_waitcnt vmcnt(32)
	v_fmac_f32_e32 v36, v5, v84
	s_waitcnt vmcnt(31)
	v_fmac_f32_e32 v37, v7, v85
	v_add_f32_e32 v36, 0, v36
	s_waitcnt vmcnt(30)
	v_fmac_f32_e32 v38, v9, v86
	v_add_f32_e32 v36, v36, v37
	;; [unrolled: 3-line block ×12, first 2 shown]
	s_waitcnt vmcnt(19)
	v_mul_f32_e32 v37, v30, v97
	v_add_f32_e32 v36, v36, v48
	s_waitcnt vmcnt(18)
	v_fmac_f32_e32 v37, v31, v98
	v_add_f32_e32 v36, v36, v37
	s_waitcnt vmcnt(17) lgkmcnt(0)
	v_mul_f32_e32 v37, v32, v99
	s_waitcnt vmcnt(16)
	v_fmac_f32_e32 v37, v33, v100
	v_add_f32_e32 v40, v36, v37
	ds_read2_b64 v[36:39], v1 offset0:113 offset1:114
	s_waitcnt vmcnt(15)
	v_mul_f32_e32 v41, v34, v101
	s_waitcnt vmcnt(14)
	v_fmac_f32_e32 v41, v35, v102
	v_add_f32_e32 v44, v40, v41
	ds_read2_b64 v[40:43], v1 offset0:115 offset1:116
	buffer_load_dword v53, off, s[0:3], 0 offset:444
	buffer_load_dword v52, off, s[0:3], 0 offset:440
	s_waitcnt vmcnt(15) lgkmcnt(1)
	v_mul_f32_e32 v45, v36, v103
	s_waitcnt vmcnt(14)
	v_fmac_f32_e32 v45, v37, v104
	v_add_f32_e32 v44, v44, v45
	s_waitcnt vmcnt(13)
	v_mul_f32_e32 v45, v38, v105
	s_waitcnt vmcnt(12)
	v_fmac_f32_e32 v45, v39, v106
	v_add_f32_e32 v44, v44, v45
	s_waitcnt vmcnt(11) lgkmcnt(0)
	v_mul_f32_e32 v45, v40, v107
	s_waitcnt vmcnt(10)
	v_fmac_f32_e32 v45, v41, v108
	s_waitcnt vmcnt(9)
	v_mul_f32_e32 v49, v42, v109
	v_add_f32_e32 v48, v44, v45
	s_waitcnt vmcnt(8)
	v_fmac_f32_e32 v49, v43, v110
	ds_read2_b64 v[44:47], v1 offset0:117 offset1:118
	v_add_f32_e32 v55, v48, v49
	ds_read2_b64 v[48:51], v1 offset0:119 offset1:120
	buffer_load_dword v61, off, s[0:3], 0 offset:476
	buffer_load_dword v60, off, s[0:3], 0 offset:472
	;; [unrolled: 1-line block ×14, first 2 shown]
	v_mul_f32_e32 v5, v5, v54
	v_fma_f32 v4, v4, v84, -v5
	v_mul_f32_e32 v5, v7, v56
	v_add_f32_e32 v4, 0, v4
	v_fma_f32 v5, v6, v85, -v5
	v_add_f32_e32 v4, v4, v5
	v_mul_f32_e32 v5, v9, v58
	v_fma_f32 v5, v8, v86, -v5
	v_add_f32_e32 v4, v4, v5
	v_mul_f32_e32 v5, v11, v74
	;; [unrolled: 3-line block ×18, first 2 shown]
	v_fma_f32 v5, v42, v110, -v5
	s_waitcnt vmcnt(21) lgkmcnt(1)
	v_mul_f32_e32 v57, v44, v111
	v_add_f32_e32 v54, v4, v5
	v_mul_f32_e32 v4, v45, v111
	s_waitcnt vmcnt(20)
	v_fmac_f32_e32 v57, v45, v112
	s_waitcnt vmcnt(15)
	v_mov_b32_e32 v18, v53
	s_waitcnt lgkmcnt(0)
	v_pk_mul_f32 v[18:19], v[48:49], v[18:19] op_sel_hi:[1,0]
	v_mul_f32_e32 v59, v46, v113
	v_fma_f32 v56, v44, v112, -v4
	v_mul_f32_e32 v4, v47, v113
	s_waitcnt vmcnt(14)
	v_pk_fma_f32 v[20:21], v[48:49], v[52:53], v[18:19] op_sel:[0,0,1] op_sel_hi:[1,1,0] neg_lo:[0,0,1] neg_hi:[0,0,1]
	v_pk_fma_f32 v[18:19], v[48:49], v[52:53], v[18:19] op_sel:[0,0,1] op_sel_hi:[1,0,0]
	v_fmac_f32_e32 v59, v47, v114
	v_fma_f32 v58, v46, v114, -v4
	v_pk_add_f32 v[16:17], v[54:55], v[56:57]
	s_waitcnt vmcnt(7)
	v_mov_b32_e32 v18, v67
	ds_read2_b64 v[4:7], v1 offset0:121 offset1:122
	ds_read2_b64 v[8:11], v1 offset0:123 offset1:124
	;; [unrolled: 1-line block ×3, first 2 shown]
	v_pk_add_f32 v[16:17], v[16:17], v[58:59]
	v_mov_b32_e32 v21, v19
	v_pk_mul_f32 v[18:19], v[50:51], v[18:19] op_sel_hi:[1,0]
	v_pk_add_f32 v[16:17], v[16:17], v[20:21]
	s_waitcnt vmcnt(6)
	v_pk_fma_f32 v[20:21], v[50:51], v[66:67], v[18:19] op_sel:[0,0,1] op_sel_hi:[1,1,0] neg_lo:[0,0,1] neg_hi:[0,0,1]
	v_pk_fma_f32 v[18:19], v[50:51], v[66:67], v[18:19] op_sel:[0,0,1] op_sel_hi:[1,0,0]
	v_mov_b32_e32 v18, v65
	v_mov_b32_e32 v21, v19
	s_waitcnt lgkmcnt(2)
	v_pk_mul_f32 v[18:19], v[4:5], v[18:19] op_sel_hi:[1,0]
	v_pk_add_f32 v[16:17], v[16:17], v[20:21]
	v_pk_fma_f32 v[20:21], v[4:5], v[64:65], v[18:19] op_sel:[0,0,1] op_sel_hi:[1,1,0] neg_lo:[0,0,1] neg_hi:[0,0,1]
	v_pk_fma_f32 v[4:5], v[4:5], v[64:65], v[18:19] op_sel:[0,0,1] op_sel_hi:[1,0,0]
	v_mov_b32_e32 v21, v5
	v_pk_add_f32 v[4:5], v[16:17], v[20:21]
	v_mov_b32_e32 v16, v63
	v_pk_mul_f32 v[16:17], v[6:7], v[16:17] op_sel_hi:[1,0]
	v_pk_fma_f32 v[18:19], v[6:7], v[62:63], v[16:17] op_sel:[0,0,1] op_sel_hi:[1,1,0] neg_lo:[0,0,1] neg_hi:[0,0,1]
	v_pk_fma_f32 v[6:7], v[6:7], v[62:63], v[16:17] op_sel:[0,0,1] op_sel_hi:[1,0,0]
	v_mov_b32_e32 v6, v61
	v_mov_b32_e32 v19, v7
	s_waitcnt lgkmcnt(1)
	v_pk_mul_f32 v[6:7], v[8:9], v[6:7] op_sel_hi:[1,0]
	v_pk_fma_f32 v[16:17], v[8:9], v[60:61], v[6:7] op_sel:[0,0,1] op_sel_hi:[1,1,0] neg_lo:[0,0,1] neg_hi:[0,0,1]
	v_pk_fma_f32 v[6:7], v[8:9], v[60:61], v[6:7] op_sel:[0,0,1] op_sel_hi:[1,0,0]
	s_waitcnt vmcnt(1)
	v_mov_b32_e32 v6, v73
	v_mov_b32_e32 v17, v7
	v_pk_mul_f32 v[6:7], v[10:11], v[6:7] op_sel_hi:[1,0]
	s_waitcnt vmcnt(0)
	v_pk_fma_f32 v[8:9], v[10:11], v[72:73], v[6:7] op_sel:[0,0,1] op_sel_hi:[1,1,0] neg_lo:[0,0,1] neg_hi:[0,0,1]
	v_pk_fma_f32 v[6:7], v[10:11], v[72:73], v[6:7] op_sel:[0,0,1] op_sel_hi:[1,0,0]
	v_pk_add_f32 v[4:5], v[4:5], v[18:19]
	v_mov_b32_e32 v6, v71
	v_pk_add_f32 v[4:5], v[4:5], v[16:17]
	v_mov_b32_e32 v9, v7
	s_waitcnt lgkmcnt(0)
	v_pk_mul_f32 v[6:7], v[12:13], v[6:7] op_sel_hi:[1,0]
	v_pk_add_f32 v[4:5], v[4:5], v[8:9]
	v_pk_fma_f32 v[8:9], v[12:13], v[70:71], v[6:7] op_sel:[0,0,1] op_sel_hi:[1,1,0] neg_lo:[0,0,1] neg_hi:[0,0,1]
	v_pk_fma_f32 v[6:7], v[12:13], v[70:71], v[6:7] op_sel:[0,0,1] op_sel_hi:[1,0,0]
	v_mov_b32_e32 v6, v69
	v_mov_b32_e32 v9, v7
	v_pk_mul_f32 v[6:7], v[14:15], v[6:7] op_sel_hi:[1,0]
	v_pk_add_f32 v[4:5], v[4:5], v[8:9]
	v_pk_fma_f32 v[8:9], v[14:15], v[68:69], v[6:7] op_sel:[0,0,1] op_sel_hi:[1,1,0] neg_lo:[0,0,1] neg_hi:[0,0,1]
	v_pk_fma_f32 v[6:7], v[14:15], v[68:69], v[6:7] op_sel:[0,0,1] op_sel_hi:[1,0,0]
	v_mov_b32_e32 v9, v7
	v_pk_add_f32 v[4:5], v[4:5], v[8:9]
	v_pk_add_f32 v[2:3], v[2:3], v[4:5] neg_lo:[0,1] neg_hi:[0,1]
	buffer_store_dword v3, off, s[0:3], 0 offset:260
	buffer_store_dword v2, off, s[0:3], 0 offset:256
	s_and_saveexec_b64 s[4:5], vcc
	s_cbranch_execz .LBB62_329
; %bb.328:
	buffer_load_dword v2, off, s[0:3], 0 offset:248
	buffer_load_dword v3, off, s[0:3], 0 offset:252
	v_mov_b32_e32 v1, 0
	buffer_store_dword v1, off, s[0:3], 0 offset:248
	buffer_store_dword v1, off, s[0:3], 0 offset:252
	s_waitcnt vmcnt(2)
	ds_write_b64 v217, v[2:3]
.LBB62_329:
	s_or_b64 exec, exec, s[4:5]
	s_waitcnt lgkmcnt(0)
	; wave barrier
	s_waitcnt lgkmcnt(0)
	buffer_load_dword v52, off, s[0:3], 0 offset:260
	buffer_load_dword v54, off, s[0:3], 0 offset:268
	;; [unrolled: 1-line block ×48, first 2 shown]
	v_mov_b32_e32 v1, 0
	ds_read_b128 v[4:7], v1 offset:768
	ds_read_b128 v[8:11], v1 offset:784
	;; [unrolled: 1-line block ×6, first 2 shown]
	v_cmp_lt_u32_e32 vcc, 30, v0
	s_waitcnt vmcnt(47) lgkmcnt(5)
	v_mul_f32_e32 v28, v4, v52
	s_waitcnt vmcnt(46)
	v_mul_f32_e32 v29, v6, v54
	s_waitcnt vmcnt(45) lgkmcnt(4)
	v_mul_f32_e32 v30, v8, v56
	s_waitcnt vmcnt(44)
	v_mul_f32_e32 v31, v10, v74
	;; [unrolled: 4-line block ×6, first 2 shown]
	s_waitcnt vmcnt(35)
	v_fmac_f32_e32 v28, v5, v83
	s_waitcnt vmcnt(34)
	v_fmac_f32_e32 v29, v7, v84
	v_add_f32_e32 v28, 0, v28
	s_waitcnt vmcnt(33)
	v_fmac_f32_e32 v30, v9, v85
	v_add_f32_e32 v28, v28, v29
	;; [unrolled: 3-line block ×8, first 2 shown]
	v_add_f32_e32 v32, v28, v36
	ds_read_b128 v[28:31], v1 offset:864
	s_waitcnt vmcnt(26)
	v_fmac_f32_e32 v37, v23, v92
	s_waitcnt vmcnt(25)
	v_fmac_f32_e32 v38, v25, v93
	v_add_f32_e32 v32, v32, v37
	s_waitcnt vmcnt(24)
	v_fmac_f32_e32 v39, v27, v94
	v_add_f32_e32 v32, v32, v38
	v_add_f32_e32 v36, v32, v39
	ds_read_b128 v[32:35], v1 offset:880
	s_waitcnt vmcnt(23) lgkmcnt(1)
	v_mul_f32_e32 v37, v28, v95
	s_waitcnt vmcnt(22)
	v_fmac_f32_e32 v37, v29, v96
	v_add_f32_e32 v36, v36, v37
	s_waitcnt vmcnt(21)
	v_mul_f32_e32 v37, v30, v97
	s_waitcnt vmcnt(20)
	v_fmac_f32_e32 v37, v31, v98
	v_add_f32_e32 v36, v36, v37
	s_waitcnt vmcnt(19) lgkmcnt(0)
	v_mul_f32_e32 v37, v32, v99
	s_waitcnt vmcnt(18)
	v_fmac_f32_e32 v37, v33, v100
	v_add_f32_e32 v40, v36, v37
	ds_read_b128 v[36:39], v1 offset:896
	s_waitcnt vmcnt(17)
	v_mul_f32_e32 v41, v34, v101
	s_waitcnt vmcnt(16)
	v_fmac_f32_e32 v41, v35, v102
	v_add_f32_e32 v44, v40, v41
	ds_read_b128 v[40:43], v1 offset:912
	s_waitcnt vmcnt(15) lgkmcnt(1)
	v_mul_f32_e32 v45, v36, v103
	s_waitcnt vmcnt(14)
	v_fmac_f32_e32 v45, v37, v104
	v_add_f32_e32 v44, v44, v45
	s_waitcnt vmcnt(13)
	v_mul_f32_e32 v45, v38, v105
	s_waitcnt vmcnt(12)
	v_fmac_f32_e32 v45, v39, v106
	v_add_f32_e32 v44, v44, v45
	s_waitcnt vmcnt(11) lgkmcnt(0)
	v_mul_f32_e32 v45, v40, v107
	s_waitcnt vmcnt(10)
	v_fmac_f32_e32 v45, v41, v108
	s_waitcnt vmcnt(9)
	v_mul_f32_e32 v49, v42, v109
	v_add_f32_e32 v48, v44, v45
	s_waitcnt vmcnt(8)
	v_fmac_f32_e32 v49, v43, v110
	ds_read_b128 v[44:47], v1 offset:928
	v_add_f32_e32 v53, v48, v49
	ds_read_b128 v[48:51], v1 offset:944
	buffer_load_dword v59, off, s[0:3], 0 offset:468
	buffer_load_dword v58, off, s[0:3], 0 offset:464
	;; [unrolled: 1-line block ×16, first 2 shown]
	v_mul_f32_e32 v5, v5, v52
	v_fma_f32 v4, v4, v83, -v5
	v_mul_f32_e32 v5, v7, v54
	v_add_f32_e32 v4, 0, v4
	v_fma_f32 v5, v6, v84, -v5
	v_add_f32_e32 v4, v4, v5
	v_mul_f32_e32 v5, v9, v56
	v_fma_f32 v5, v8, v85, -v5
	v_add_f32_e32 v4, v4, v5
	v_mul_f32_e32 v5, v11, v74
	;; [unrolled: 3-line block ×18, first 2 shown]
	v_fma_f32 v5, v42, v110, -v5
	v_add_f32_e32 v4, v4, v5
	s_waitcnt vmcnt(22) lgkmcnt(1)
	v_mul_f32_e32 v5, v45, v112
	v_mul_f32_e32 v55, v44, v112
	v_fma_f32 v5, v44, v111, -v5
	v_fmac_f32_e32 v55, v45, v111
	v_add_f32_e32 v52, v4, v5
	s_waitcnt vmcnt(19)
	v_mul_f32_e32 v4, v47, v113
	v_add_f32_e32 v53, v53, v55
	v_mul_f32_e32 v55, v46, v113
	s_waitcnt vmcnt(18)
	v_fma_f32 v54, v46, v114, -v4
	s_waitcnt vmcnt(17) lgkmcnt(0)
	v_mul_f32_e32 v4, v49, v115
	s_waitcnt vmcnt(9)
	v_mov_b32_e32 v20, v65
	v_pk_mul_f32 v[20:21], v[50:51], v[20:21] op_sel_hi:[1,0]
	v_fmac_f32_e32 v55, v47, v114
	v_mul_f32_e32 v57, v48, v115
	v_fma_f32 v56, v48, v116, -v4
	ds_read_b128 v[4:7], v1 offset:960
	ds_read_b128 v[8:11], v1 offset:976
	;; [unrolled: 1-line block ×3, first 2 shown]
	ds_read_b64 v[16:17], v1 offset:1008
	s_waitcnt vmcnt(8)
	v_pk_fma_f32 v[22:23], v[50:51], v[64:65], v[20:21] op_sel:[0,0,1] op_sel_hi:[1,1,0] neg_lo:[0,0,1] neg_hi:[0,0,1]
	v_pk_fma_f32 v[20:21], v[50:51], v[64:65], v[20:21] op_sel:[0,0,1] op_sel_hi:[1,0,0]
	v_fmac_f32_e32 v57, v49, v116
	v_pk_add_f32 v[18:19], v[52:53], v[54:55]
	v_mov_b32_e32 v20, v63
	v_pk_add_f32 v[18:19], v[18:19], v[56:57]
	v_mov_b32_e32 v23, v21
	s_waitcnt lgkmcnt(3)
	v_pk_mul_f32 v[20:21], v[4:5], v[20:21] op_sel_hi:[1,0]
	v_pk_add_f32 v[18:19], v[18:19], v[22:23]
	v_pk_fma_f32 v[22:23], v[4:5], v[62:63], v[20:21] op_sel:[0,0,1] op_sel_hi:[1,1,0] neg_lo:[0,0,1] neg_hi:[0,0,1]
	v_pk_fma_f32 v[4:5], v[4:5], v[62:63], v[20:21] op_sel:[0,0,1] op_sel_hi:[1,0,0]
	v_mov_b32_e32 v23, v5
	v_pk_add_f32 v[4:5], v[18:19], v[22:23]
	v_mov_b32_e32 v18, v61
	v_pk_mul_f32 v[18:19], v[6:7], v[18:19] op_sel_hi:[1,0]
	v_pk_fma_f32 v[20:21], v[6:7], v[60:61], v[18:19] op_sel:[0,0,1] op_sel_hi:[1,1,0] neg_lo:[0,0,1] neg_hi:[0,0,1]
	v_pk_fma_f32 v[6:7], v[6:7], v[60:61], v[18:19] op_sel:[0,0,1] op_sel_hi:[1,0,0]
	v_mov_b32_e32 v6, v59
	v_mov_b32_e32 v21, v7
	s_waitcnt lgkmcnt(2)
	v_pk_mul_f32 v[6:7], v[8:9], v[6:7] op_sel_hi:[1,0]
	v_pk_fma_f32 v[18:19], v[8:9], v[58:59], v[6:7] op_sel:[0,0,1] op_sel_hi:[1,1,0] neg_lo:[0,0,1] neg_hi:[0,0,1]
	v_pk_fma_f32 v[6:7], v[8:9], v[58:59], v[6:7] op_sel:[0,0,1] op_sel_hi:[1,0,0]
	s_waitcnt vmcnt(1)
	v_mov_b32_e32 v6, v73
	v_mov_b32_e32 v19, v7
	v_pk_mul_f32 v[6:7], v[10:11], v[6:7] op_sel_hi:[1,0]
	s_waitcnt vmcnt(0)
	v_pk_fma_f32 v[8:9], v[10:11], v[72:73], v[6:7] op_sel:[0,0,1] op_sel_hi:[1,1,0] neg_lo:[0,0,1] neg_hi:[0,0,1]
	v_pk_fma_f32 v[6:7], v[10:11], v[72:73], v[6:7] op_sel:[0,0,1] op_sel_hi:[1,0,0]
	v_pk_add_f32 v[4:5], v[4:5], v[20:21]
	v_mov_b32_e32 v6, v71
	v_pk_add_f32 v[4:5], v[4:5], v[18:19]
	v_mov_b32_e32 v9, v7
	s_waitcnt lgkmcnt(1)
	v_pk_mul_f32 v[6:7], v[12:13], v[6:7] op_sel_hi:[1,0]
	v_pk_add_f32 v[4:5], v[4:5], v[8:9]
	v_pk_fma_f32 v[8:9], v[12:13], v[70:71], v[6:7] op_sel:[0,0,1] op_sel_hi:[1,1,0] neg_lo:[0,0,1] neg_hi:[0,0,1]
	v_pk_fma_f32 v[6:7], v[12:13], v[70:71], v[6:7] op_sel:[0,0,1] op_sel_hi:[1,0,0]
	v_mov_b32_e32 v6, v69
	v_mov_b32_e32 v9, v7
	v_pk_mul_f32 v[6:7], v[14:15], v[6:7] op_sel_hi:[1,0]
	v_pk_add_f32 v[4:5], v[4:5], v[8:9]
	v_pk_fma_f32 v[8:9], v[14:15], v[68:69], v[6:7] op_sel:[0,0,1] op_sel_hi:[1,1,0] neg_lo:[0,0,1] neg_hi:[0,0,1]
	v_pk_fma_f32 v[6:7], v[14:15], v[68:69], v[6:7] op_sel:[0,0,1] op_sel_hi:[1,0,0]
	v_mov_b32_e32 v6, v67
	v_mov_b32_e32 v9, v7
	s_waitcnt lgkmcnt(0)
	v_pk_mul_f32 v[6:7], v[16:17], v[6:7] op_sel_hi:[1,0]
	v_pk_add_f32 v[4:5], v[4:5], v[8:9]
	v_pk_fma_f32 v[8:9], v[16:17], v[66:67], v[6:7] op_sel:[0,0,1] op_sel_hi:[1,1,0] neg_lo:[0,0,1] neg_hi:[0,0,1]
	v_pk_fma_f32 v[6:7], v[16:17], v[66:67], v[6:7] op_sel:[0,0,1] op_sel_hi:[1,0,0]
	v_mov_b32_e32 v9, v7
	v_pk_add_f32 v[4:5], v[4:5], v[8:9]
	v_pk_add_f32 v[2:3], v[2:3], v[4:5] neg_lo:[0,1] neg_hi:[0,1]
	buffer_store_dword v3, off, s[0:3], 0 offset:252
	buffer_store_dword v2, off, s[0:3], 0 offset:248
	s_and_saveexec_b64 s[4:5], vcc
	s_cbranch_execz .LBB62_331
; %bb.330:
	buffer_load_dword v2, off, s[0:3], 0 offset:240
	buffer_load_dword v3, off, s[0:3], 0 offset:244
	s_waitcnt vmcnt(0)
	ds_write_b64 v217, v[2:3]
	buffer_store_dword v1, off, s[0:3], 0 offset:240
	buffer_store_dword v1, off, s[0:3], 0 offset:244
.LBB62_331:
	s_or_b64 exec, exec, s[4:5]
	s_waitcnt lgkmcnt(0)
	; wave barrier
	s_waitcnt lgkmcnt(0)
	buffer_load_dword v52, off, s[0:3], 0 offset:252
	buffer_load_dword v54, off, s[0:3], 0 offset:260
	;; [unrolled: 1-line block ×48, first 2 shown]
	ds_read2_b64 v[4:7], v1 offset0:95 offset1:96
	ds_read2_b64 v[8:11], v1 offset0:97 offset1:98
	;; [unrolled: 1-line block ×6, first 2 shown]
	buffer_load_dword v117, off, s[0:3], 0 offset:432
	buffer_load_dword v118, off, s[0:3], 0 offset:436
	v_cmp_lt_u32_e32 vcc, 29, v0
	s_waitcnt vmcnt(49) lgkmcnt(5)
	v_mul_f32_e32 v28, v4, v52
	s_waitcnt vmcnt(48)
	v_mul_f32_e32 v29, v6, v54
	s_waitcnt vmcnt(47) lgkmcnt(4)
	v_mul_f32_e32 v30, v8, v62
	s_waitcnt vmcnt(46)
	v_mul_f32_e32 v31, v10, v74
	;; [unrolled: 4-line block ×6, first 2 shown]
	s_waitcnt vmcnt(37)
	v_fmac_f32_e32 v28, v5, v83
	s_waitcnt vmcnt(36)
	v_fmac_f32_e32 v29, v7, v84
	v_add_f32_e32 v28, 0, v28
	s_waitcnt vmcnt(35)
	v_fmac_f32_e32 v30, v9, v85
	v_add_f32_e32 v28, v28, v29
	s_waitcnt vmcnt(34)
	v_fmac_f32_e32 v31, v11, v86
	v_add_f32_e32 v28, v28, v30
	s_waitcnt vmcnt(33)
	v_fmac_f32_e32 v32, v13, v87
	v_add_f32_e32 v28, v28, v31
	s_waitcnt vmcnt(32)
	v_fmac_f32_e32 v33, v15, v88
	v_add_f32_e32 v28, v28, v32
	s_waitcnt vmcnt(31)
	v_fmac_f32_e32 v34, v17, v89
	v_add_f32_e32 v28, v28, v33
	s_waitcnt vmcnt(30)
	v_fmac_f32_e32 v35, v19, v90
	v_add_f32_e32 v28, v28, v34
	s_waitcnt vmcnt(29)
	v_fmac_f32_e32 v36, v21, v91
	v_add_f32_e32 v28, v28, v35
	s_waitcnt vmcnt(28)
	v_fmac_f32_e32 v37, v23, v92
	v_add_f32_e32 v28, v28, v36
	v_add_f32_e32 v32, v28, v37
	ds_read2_b64 v[28:31], v1 offset0:107 offset1:108
	s_waitcnt vmcnt(27)
	v_fmac_f32_e32 v38, v25, v93
	v_add_f32_e32 v32, v32, v38
	s_waitcnt vmcnt(26)
	v_fmac_f32_e32 v39, v27, v94
	v_add_f32_e32 v36, v32, v39
	ds_read2_b64 v[32:35], v1 offset0:109 offset1:110
	s_waitcnt vmcnt(25) lgkmcnt(1)
	v_mul_f32_e32 v37, v28, v95
	s_waitcnt vmcnt(24)
	v_fmac_f32_e32 v37, v29, v96
	v_add_f32_e32 v36, v36, v37
	s_waitcnt vmcnt(23)
	v_mul_f32_e32 v37, v30, v97
	s_waitcnt vmcnt(22)
	v_fmac_f32_e32 v37, v31, v98
	v_add_f32_e32 v36, v36, v37
	s_waitcnt vmcnt(21) lgkmcnt(0)
	v_mul_f32_e32 v37, v32, v99
	s_waitcnt vmcnt(20)
	v_fmac_f32_e32 v37, v33, v100
	v_add_f32_e32 v40, v36, v37
	ds_read2_b64 v[36:39], v1 offset0:111 offset1:112
	s_waitcnt vmcnt(19)
	v_mul_f32_e32 v41, v34, v101
	s_waitcnt vmcnt(18)
	v_fmac_f32_e32 v41, v35, v102
	v_add_f32_e32 v44, v40, v41
	ds_read2_b64 v[40:43], v1 offset0:113 offset1:114
	s_waitcnt vmcnt(17) lgkmcnt(1)
	v_mul_f32_e32 v45, v36, v103
	s_waitcnt vmcnt(16)
	v_fmac_f32_e32 v45, v37, v104
	v_add_f32_e32 v44, v44, v45
	s_waitcnt vmcnt(15)
	v_mul_f32_e32 v45, v38, v105
	s_waitcnt vmcnt(14)
	v_fmac_f32_e32 v45, v39, v106
	v_add_f32_e32 v44, v44, v45
	s_waitcnt vmcnt(13) lgkmcnt(0)
	v_mul_f32_e32 v45, v40, v107
	s_waitcnt vmcnt(12)
	v_fmac_f32_e32 v45, v41, v108
	s_waitcnt vmcnt(11)
	v_mul_f32_e32 v49, v42, v109
	v_add_f32_e32 v48, v44, v45
	s_waitcnt vmcnt(10)
	v_fmac_f32_e32 v49, v43, v110
	ds_read2_b64 v[44:47], v1 offset0:115 offset1:116
	v_add_f32_e32 v53, v48, v49
	ds_read2_b64 v[48:51], v1 offset0:117 offset1:118
	buffer_load_dword v57, off, s[0:3], 0 offset:460
	buffer_load_dword v56, off, s[0:3], 0 offset:456
	;; [unrolled: 1-line block ×16, first 2 shown]
	v_mul_f32_e32 v5, v5, v52
	v_fma_f32 v4, v4, v83, -v5
	v_mul_f32_e32 v5, v7, v54
	v_add_f32_e32 v4, 0, v4
	v_fma_f32 v5, v6, v84, -v5
	v_add_f32_e32 v4, v4, v5
	v_mul_f32_e32 v5, v9, v62
	v_fma_f32 v5, v8, v85, -v5
	v_add_f32_e32 v4, v4, v5
	v_mul_f32_e32 v5, v11, v74
	;; [unrolled: 3-line block ×18, first 2 shown]
	v_fma_f32 v5, v42, v110, -v5
	v_add_f32_e32 v4, v4, v5
	s_waitcnt vmcnt(23) lgkmcnt(1)
	v_mul_f32_e32 v5, v45, v111
	s_waitcnt vmcnt(22)
	v_fma_f32 v5, v44, v112, -v5
	v_add_f32_e32 v4, v4, v5
	s_waitcnt vmcnt(20)
	v_mul_f32_e32 v5, v47, v114
	v_mul_f32_e32 v55, v44, v111
	v_fma_f32 v5, v46, v113, -v5
	v_fmac_f32_e32 v55, v45, v112
	v_add_f32_e32 v52, v4, v5
	s_waitcnt vmcnt(18) lgkmcnt(0)
	v_mul_f32_e32 v4, v49, v116
	v_add_f32_e32 v53, v53, v55
	v_mul_f32_e32 v55, v46, v114
	v_fma_f32 v54, v48, v115, -v4
	s_waitcnt vmcnt(16)
	v_mul_f32_e32 v4, v51, v118
	v_fmac_f32_e32 v55, v47, v113
	v_fma_f32 v62, v50, v117, -v4
	ds_read2_b64 v[4:7], v1 offset0:119 offset1:120
	ds_read2_b64 v[8:11], v1 offset0:121 offset1:122
	;; [unrolled: 1-line block ×4, first 2 shown]
	v_add_f32_e32 v53, v53, v55
	v_mul_f32_e32 v55, v48, v116
	s_waitcnt vmcnt(11)
	v_mov_b32_e32 v22, v61
	v_fmac_f32_e32 v55, v49, v115
	v_mul_f32_e32 v63, v50, v118
	s_waitcnt lgkmcnt(3)
	v_pk_mul_f32 v[22:23], v[4:5], v[22:23] op_sel_hi:[1,0]
	v_fmac_f32_e32 v63, v51, v117
	v_pk_add_f32 v[20:21], v[52:53], v[54:55]
	s_waitcnt vmcnt(10)
	v_pk_fma_f32 v[24:25], v[4:5], v[60:61], v[22:23] op_sel:[0,0,1] op_sel_hi:[1,1,0] neg_lo:[0,0,1] neg_hi:[0,0,1]
	v_pk_fma_f32 v[4:5], v[4:5], v[60:61], v[22:23] op_sel:[0,0,1] op_sel_hi:[1,0,0]
	v_pk_add_f32 v[20:21], v[20:21], v[62:63]
	v_mov_b32_e32 v25, v5
	v_pk_add_f32 v[4:5], v[20:21], v[24:25]
	v_mov_b32_e32 v20, v59
	v_pk_mul_f32 v[20:21], v[6:7], v[20:21] op_sel_hi:[1,0]
	v_pk_fma_f32 v[22:23], v[6:7], v[58:59], v[20:21] op_sel:[0,0,1] op_sel_hi:[1,1,0] neg_lo:[0,0,1] neg_hi:[0,0,1]
	v_pk_fma_f32 v[6:7], v[6:7], v[58:59], v[20:21] op_sel:[0,0,1] op_sel_hi:[1,0,0]
	v_mov_b32_e32 v6, v57
	v_mov_b32_e32 v23, v7
	s_waitcnt lgkmcnt(2)
	v_pk_mul_f32 v[6:7], v[8:9], v[6:7] op_sel_hi:[1,0]
	v_pk_fma_f32 v[20:21], v[8:9], v[56:57], v[6:7] op_sel:[0,0,1] op_sel_hi:[1,1,0] neg_lo:[0,0,1] neg_hi:[0,0,1]
	v_pk_fma_f32 v[6:7], v[8:9], v[56:57], v[6:7] op_sel:[0,0,1] op_sel_hi:[1,0,0]
	s_waitcnt vmcnt(3)
	v_mov_b32_e32 v6, v71
	v_mov_b32_e32 v21, v7
	v_pk_mul_f32 v[6:7], v[10:11], v[6:7] op_sel_hi:[1,0]
	s_waitcnt vmcnt(2)
	v_pk_fma_f32 v[8:9], v[10:11], v[70:71], v[6:7] op_sel:[0,0,1] op_sel_hi:[1,1,0] neg_lo:[0,0,1] neg_hi:[0,0,1]
	v_pk_fma_f32 v[6:7], v[10:11], v[70:71], v[6:7] op_sel:[0,0,1] op_sel_hi:[1,0,0]
	v_pk_add_f32 v[4:5], v[4:5], v[22:23]
	v_mov_b32_e32 v6, v69
	v_pk_add_f32 v[4:5], v[4:5], v[20:21]
	v_mov_b32_e32 v9, v7
	s_waitcnt lgkmcnt(1)
	v_pk_mul_f32 v[6:7], v[12:13], v[6:7] op_sel_hi:[1,0]
	v_pk_add_f32 v[4:5], v[4:5], v[8:9]
	v_pk_fma_f32 v[8:9], v[12:13], v[68:69], v[6:7] op_sel:[0,0,1] op_sel_hi:[1,1,0] neg_lo:[0,0,1] neg_hi:[0,0,1]
	v_pk_fma_f32 v[6:7], v[12:13], v[68:69], v[6:7] op_sel:[0,0,1] op_sel_hi:[1,0,0]
	v_mov_b32_e32 v6, v67
	v_mov_b32_e32 v9, v7
	v_pk_mul_f32 v[6:7], v[14:15], v[6:7] op_sel_hi:[1,0]
	v_pk_add_f32 v[4:5], v[4:5], v[8:9]
	v_pk_fma_f32 v[8:9], v[14:15], v[66:67], v[6:7] op_sel:[0,0,1] op_sel_hi:[1,1,0] neg_lo:[0,0,1] neg_hi:[0,0,1]
	v_pk_fma_f32 v[6:7], v[14:15], v[66:67], v[6:7] op_sel:[0,0,1] op_sel_hi:[1,0,0]
	v_mov_b32_e32 v6, v65
	v_mov_b32_e32 v9, v7
	s_waitcnt lgkmcnt(0)
	v_pk_mul_f32 v[6:7], v[16:17], v[6:7] op_sel_hi:[1,0]
	v_pk_add_f32 v[4:5], v[4:5], v[8:9]
	v_pk_fma_f32 v[8:9], v[16:17], v[64:65], v[6:7] op_sel:[0,0,1] op_sel_hi:[1,1,0] neg_lo:[0,0,1] neg_hi:[0,0,1]
	v_pk_fma_f32 v[6:7], v[16:17], v[64:65], v[6:7] op_sel:[0,0,1] op_sel_hi:[1,0,0]
	s_waitcnt vmcnt(1)
	v_mov_b32_e32 v6, v73
	v_mov_b32_e32 v9, v7
	v_pk_mul_f32 v[6:7], v[18:19], v[6:7] op_sel_hi:[1,0]
	v_pk_add_f32 v[4:5], v[4:5], v[8:9]
	s_waitcnt vmcnt(0)
	v_pk_fma_f32 v[8:9], v[18:19], v[72:73], v[6:7] op_sel:[0,0,1] op_sel_hi:[1,1,0] neg_lo:[0,0,1] neg_hi:[0,0,1]
	v_pk_fma_f32 v[6:7], v[18:19], v[72:73], v[6:7] op_sel:[0,0,1] op_sel_hi:[1,0,0]
	v_mov_b32_e32 v9, v7
	v_pk_add_f32 v[4:5], v[4:5], v[8:9]
	v_pk_add_f32 v[2:3], v[2:3], v[4:5] neg_lo:[0,1] neg_hi:[0,1]
	buffer_store_dword v3, off, s[0:3], 0 offset:244
	buffer_store_dword v2, off, s[0:3], 0 offset:240
	s_and_saveexec_b64 s[4:5], vcc
	s_cbranch_execz .LBB62_333
; %bb.332:
	buffer_load_dword v2, off, s[0:3], 0 offset:232
	buffer_load_dword v3, off, s[0:3], 0 offset:236
	v_mov_b32_e32 v1, 0
	buffer_store_dword v1, off, s[0:3], 0 offset:232
	buffer_store_dword v1, off, s[0:3], 0 offset:236
	s_waitcnt vmcnt(2)
	ds_write_b64 v217, v[2:3]
.LBB62_333:
	s_or_b64 exec, exec, s[4:5]
	s_waitcnt lgkmcnt(0)
	; wave barrier
	s_waitcnt lgkmcnt(0)
	buffer_load_dword v12, off, s[0:3], 0 offset:244
	buffer_load_dword v14, off, s[0:3], 0 offset:252
	;; [unrolled: 1-line block ×52, first 2 shown]
	v_mov_b32_e32 v1, 0
	ds_read_b128 v[36:39], v1 offset:752
	ds_read_b128 v[40:43], v1 offset:768
	ds_read_b128 v[44:47], v1 offset:784
	ds_read_b128 v[48:51], v1 offset:800
	ds_read_b128 v[52:55], v1 offset:816
	ds_read_b128 v[56:59], v1 offset:832
	ds_read_b128 v[60:63], v1 offset:848
	ds_read_b128 v[64:67], v1 offset:864
	ds_read_b128 v[68:71], v1 offset:880
	ds_read_b128 v[72:75], v1 offset:896
	ds_read_b128 v[76:79], v1 offset:912
	ds_read_b128 v[80:83], v1 offset:928
	v_cmp_lt_u32_e32 vcc, 28, v0
	s_waitcnt vmcnt(51) lgkmcnt(11)
	v_mul_f32_e32 v2, v36, v12
	s_waitcnt vmcnt(50)
	v_mul_f32_e32 v3, v38, v14
	s_waitcnt vmcnt(49) lgkmcnt(10)
	v_mul_f32_e32 v4, v40, v10
	s_waitcnt vmcnt(48)
	v_mul_f32_e32 v5, v42, v30
	;; [unrolled: 4-line block ×5, first 2 shown]
	s_waitcnt vmcnt(41) lgkmcnt(6)
	v_mul_f32_e32 v17, v56, v85
	s_waitcnt vmcnt(40)
	v_fmac_f32_e32 v2, v37, v86
	s_waitcnt vmcnt(39)
	v_fmac_f32_e32 v3, v39, v87
	v_add_f32_e32 v2, 0, v2
	s_waitcnt vmcnt(38)
	v_fmac_f32_e32 v4, v41, v88
	v_add_f32_e32 v2, v2, v3
	;; [unrolled: 3-line block ×9, first 2 shown]
	v_add_f32_e32 v2, v2, v16
	s_waitcnt vmcnt(30)
	v_fmac_f32_e32 v17, v57, v96
	s_waitcnt vmcnt(29)
	v_mul_f32_e32 v3, v58, v97
	v_add_f32_e32 v2, v2, v17
	s_waitcnt vmcnt(28)
	v_fmac_f32_e32 v3, v59, v98
	v_add_f32_e32 v2, v2, v3
	s_waitcnt vmcnt(27) lgkmcnt(5)
	v_mul_f32_e32 v3, v60, v99
	s_waitcnt vmcnt(26)
	v_fmac_f32_e32 v3, v61, v100
	v_add_f32_e32 v2, v2, v3
	s_waitcnt vmcnt(25)
	v_mul_f32_e32 v3, v62, v101
	s_waitcnt vmcnt(24)
	v_fmac_f32_e32 v3, v63, v102
	v_add_f32_e32 v2, v2, v3
	s_waitcnt vmcnt(23) lgkmcnt(4)
	v_mul_f32_e32 v3, v64, v103
	s_waitcnt vmcnt(22)
	v_fmac_f32_e32 v3, v65, v104
	v_add_f32_e32 v2, v2, v3
	s_waitcnt vmcnt(21)
	v_mul_f32_e32 v3, v66, v105
	;; [unrolled: 10-line block ×4, first 2 shown]
	s_waitcnt vmcnt(10)
	v_fmac_f32_e32 v3, v75, v114
	v_add_f32_e32 v2, v2, v3
	s_waitcnt vmcnt(8) lgkmcnt(1)
	v_mul_f32_e32 v3, v76, v116
	v_fmac_f32_e32 v3, v77, v115
	v_add_f32_e32 v2, v2, v3
	s_waitcnt vmcnt(6)
	v_mul_f32_e32 v3, v78, v118
	v_fmac_f32_e32 v3, v79, v117
	s_waitcnt vmcnt(4) lgkmcnt(0)
	v_mul_f32_e32 v9, v80, v120
	v_add_f32_e32 v8, v2, v3
	v_fmac_f32_e32 v9, v81, v119
	ds_read_b128 v[2:5], v1 offset:944
	v_add_f32_e32 v13, v8, v9
	buffer_load_dword v9, off, s[0:3], 0 offset:444
	buffer_load_dword v8, off, s[0:3], 0 offset:440
	;; [unrolled: 1-line block ×16, first 2 shown]
	v_mul_f32_e32 v12, v37, v12
	v_fma_f32 v12, v36, v86, -v12
	v_mul_f32_e32 v14, v39, v14
	v_add_f32_e32 v12, 0, v12
	v_fma_f32 v14, v38, v87, -v14
	v_mul_f32_e32 v10, v41, v10
	v_add_f32_e32 v12, v12, v14
	v_fma_f32 v10, v40, v88, -v10
	v_add_f32_e32 v10, v12, v10
	v_mul_f32_e32 v12, v43, v30
	v_fma_f32 v12, v42, v89, -v12
	v_add_f32_e32 v10, v10, v12
	v_mul_f32_e32 v12, v45, v31
	;; [unrolled: 3-line block ×20, first 2 shown]
	v_fma_f32 v12, v80, v119, -v12
	s_waitcnt vmcnt(18)
	v_mul_f32_e32 v15, v82, v122
	s_waitcnt vmcnt(16) lgkmcnt(0)
	v_mul_f32_e32 v11, v2, v124
	v_add_f32_e32 v12, v10, v12
	v_mul_f32_e32 v10, v83, v122
	v_fmac_f32_e32 v15, v83, v121
	v_fmac_f32_e32 v11, v3, v123
	v_fma_f32 v14, v82, v121, -v10
	v_mul_f32_e32 v3, v3, v124
	v_fma_f32 v10, v2, v123, -v3
	v_pk_add_f32 v[12:13], v[12:13], v[14:15]
	v_pk_add_f32 v[10:11], v[12:13], v[10:11]
	s_waitcnt vmcnt(15)
	v_mov_b32_e32 v12, v9
	ds_read_b128 v[30:33], v1 offset:960
	ds_read_b128 v[34:37], v1 offset:976
	;; [unrolled: 1-line block ×3, first 2 shown]
	ds_read_b64 v[2:3], v1 offset:1008
	v_pk_mul_f32 v[12:13], v[4:5], v[12:13] op_sel_hi:[1,0]
	s_waitcnt vmcnt(14)
	v_pk_fma_f32 v[14:15], v[4:5], v[8:9], v[12:13] op_sel:[0,0,1] op_sel_hi:[1,1,0] neg_lo:[0,0,1] neg_hi:[0,0,1]
	v_pk_fma_f32 v[4:5], v[4:5], v[8:9], v[12:13] op_sel:[0,0,1] op_sel_hi:[1,0,0]
	s_waitcnt vmcnt(13)
	v_mov_b32_e32 v8, v29
	v_mov_b32_e32 v15, v5
	s_waitcnt lgkmcnt(3)
	v_pk_mul_f32 v[8:9], v[30:31], v[8:9] op_sel_hi:[1,0]
	v_pk_add_f32 v[4:5], v[10:11], v[14:15]
	s_waitcnt vmcnt(12)
	v_pk_fma_f32 v[10:11], v[30:31], v[28:29], v[8:9] op_sel:[0,0,1] op_sel_hi:[1,1,0] neg_lo:[0,0,1] neg_hi:[0,0,1]
	v_pk_fma_f32 v[8:9], v[30:31], v[28:29], v[8:9] op_sel:[0,0,1] op_sel_hi:[1,0,0]
	s_waitcnt vmcnt(11)
	v_mov_b32_e32 v8, v27
	v_mov_b32_e32 v11, v9
	v_pk_mul_f32 v[8:9], v[32:33], v[8:9] op_sel_hi:[1,0]
	v_pk_add_f32 v[4:5], v[4:5], v[10:11]
	s_waitcnt vmcnt(10)
	v_pk_fma_f32 v[10:11], v[32:33], v[26:27], v[8:9] op_sel:[0,0,1] op_sel_hi:[1,1,0] neg_lo:[0,0,1] neg_hi:[0,0,1]
	v_pk_fma_f32 v[8:9], v[32:33], v[26:27], v[8:9] op_sel:[0,0,1] op_sel_hi:[1,0,0]
	s_waitcnt vmcnt(9)
	v_mov_b32_e32 v8, v25
	v_mov_b32_e32 v11, v9
	s_waitcnt lgkmcnt(2)
	v_pk_mul_f32 v[8:9], v[34:35], v[8:9] op_sel_hi:[1,0]
	v_pk_add_f32 v[4:5], v[4:5], v[10:11]
	s_waitcnt vmcnt(8)
	v_pk_fma_f32 v[10:11], v[34:35], v[24:25], v[8:9] op_sel:[0,0,1] op_sel_hi:[1,1,0] neg_lo:[0,0,1] neg_hi:[0,0,1]
	v_pk_fma_f32 v[8:9], v[34:35], v[24:25], v[8:9] op_sel:[0,0,1] op_sel_hi:[1,0,0]
	s_waitcnt vmcnt(7)
	v_mov_b32_e32 v8, v23
	v_mov_b32_e32 v11, v9
	v_pk_mul_f32 v[8:9], v[36:37], v[8:9] op_sel_hi:[1,0]
	v_pk_add_f32 v[4:5], v[4:5], v[10:11]
	;; [unrolled: 17-line block ×3, first 2 shown]
	s_waitcnt vmcnt(2)
	v_pk_fma_f32 v[10:11], v[40:41], v[18:19], v[8:9] op_sel:[0,0,1] op_sel_hi:[1,1,0] neg_lo:[0,0,1] neg_hi:[0,0,1]
	v_pk_fma_f32 v[8:9], v[40:41], v[18:19], v[8:9] op_sel:[0,0,1] op_sel_hi:[1,0,0]
	s_waitcnt vmcnt(1)
	v_mov_b32_e32 v8, v17
	v_mov_b32_e32 v11, v9
	s_waitcnt lgkmcnt(0)
	v_pk_mul_f32 v[8:9], v[2:3], v[8:9] op_sel_hi:[1,0]
	v_pk_add_f32 v[4:5], v[4:5], v[10:11]
	s_waitcnt vmcnt(0)
	v_pk_fma_f32 v[10:11], v[2:3], v[16:17], v[8:9] op_sel:[0,0,1] op_sel_hi:[1,1,0] neg_lo:[0,0,1] neg_hi:[0,0,1]
	v_pk_fma_f32 v[2:3], v[2:3], v[16:17], v[8:9] op_sel:[0,0,1] op_sel_hi:[1,0,0]
	v_mov_b32_e32 v11, v3
	v_pk_add_f32 v[2:3], v[4:5], v[10:11]
	v_pk_add_f32 v[2:3], v[6:7], v[2:3] neg_lo:[0,1] neg_hi:[0,1]
	buffer_store_dword v3, off, s[0:3], 0 offset:236
	buffer_store_dword v2, off, s[0:3], 0 offset:232
	s_and_saveexec_b64 s[4:5], vcc
	s_cbranch_execz .LBB62_335
; %bb.334:
	buffer_load_dword v2, off, s[0:3], 0 offset:224
	buffer_load_dword v3, off, s[0:3], 0 offset:228
	s_waitcnt vmcnt(0)
	ds_write_b64 v217, v[2:3]
	buffer_store_dword v1, off, s[0:3], 0 offset:224
	buffer_store_dword v1, off, s[0:3], 0 offset:228
.LBB62_335:
	s_or_b64 exec, exec, s[4:5]
	s_waitcnt lgkmcnt(0)
	; wave barrier
	s_waitcnt lgkmcnt(0)
	buffer_load_dword v62, off, s[0:3], 0 offset:236
	buffer_load_dword v64, off, s[0:3], 0 offset:244
	;; [unrolled: 1-line block ×42, first 2 shown]
	ds_read2_b64 v[4:7], v1 offset0:93 offset1:94
	ds_read2_b64 v[8:11], v1 offset0:95 offset1:96
	buffer_load_dword v119, off, s[0:3], 0 offset:392
	buffer_load_dword v120, off, s[0:3], 0 offset:396
	ds_read2_b64 v[12:15], v1 offset0:97 offset1:98
	ds_read2_b64 v[16:19], v1 offset0:99 offset1:100
	buffer_load_dword v121, off, s[0:3], 0 offset:400
	buffer_load_dword v122, off, s[0:3], 0 offset:404
	;; [unrolled: 1-line block ×4, first 2 shown]
	ds_read2_b64 v[20:23], v1 offset0:101 offset1:102
	ds_read2_b64 v[24:27], v1 offset0:103 offset1:104
	buffer_load_dword v125, off, s[0:3], 0 offset:416
	buffer_load_dword v126, off, s[0:3], 0 offset:420
	;; [unrolled: 1-line block ×6, first 2 shown]
	v_cmp_lt_u32_e32 vcc, 27, v0
	s_waitcnt vmcnt(53) lgkmcnt(5)
	v_mul_f32_e32 v28, v4, v62
	s_waitcnt vmcnt(52)
	v_mul_f32_e32 v29, v6, v64
	s_waitcnt vmcnt(51) lgkmcnt(4)
	v_mul_f32_e32 v31, v10, v66
	s_waitcnt vmcnt(50) lgkmcnt(3)
	v_mul_f32_e32 v32, v12, v82
	s_waitcnt vmcnt(49)
	v_mul_f32_e32 v33, v14, v83
	s_waitcnt vmcnt(48)
	v_mul_f32_e32 v30, v8, v84
	s_waitcnt vmcnt(47) lgkmcnt(2)
	v_mul_f32_e32 v34, v16, v85
	s_waitcnt vmcnt(46)
	v_mul_f32_e32 v35, v18, v86
	s_waitcnt vmcnt(45) lgkmcnt(1)
	v_mul_f32_e32 v36, v20, v87
	s_waitcnt vmcnt(44)
	v_mul_f32_e32 v37, v22, v88
	s_waitcnt vmcnt(43)
	v_fmac_f32_e32 v30, v9, v89
	s_waitcnt vmcnt(42)
	v_fmac_f32_e32 v29, v7, v90
	;; [unrolled: 2-line block ×3, first 2 shown]
	v_add_f32_e32 v28, 0, v28
	v_add_f32_e32 v28, v28, v29
	;; [unrolled: 1-line block ×3, first 2 shown]
	s_waitcnt vmcnt(37)
	v_fmac_f32_e32 v31, v11, v95
	v_fmac_f32_e32 v32, v13, v94
	v_add_f32_e32 v28, v28, v31
	v_fmac_f32_e32 v33, v15, v93
	v_add_f32_e32 v28, v28, v32
	;; [unrolled: 2-line block ×3, first 2 shown]
	s_waitcnt vmcnt(33)
	v_fmac_f32_e32 v35, v19, v99
	v_add_f32_e32 v28, v28, v34
	v_fmac_f32_e32 v36, v21, v98
	v_add_f32_e32 v28, v28, v35
	;; [unrolled: 2-line block ×3, first 2 shown]
	s_waitcnt vmcnt(32) lgkmcnt(0)
	v_mul_f32_e32 v29, v24, v100
	v_add_f32_e32 v28, v28, v37
	v_fmac_f32_e32 v29, v25, v96
	v_add_f32_e32 v32, v28, v29
	ds_read2_b64 v[28:31], v1 offset0:105 offset1:106
	s_waitcnt vmcnt(28)
	v_mul_f32_e32 v33, v26, v104
	s_waitcnt vmcnt(27)
	v_fmac_f32_e32 v33, v27, v105
	v_add_f32_e32 v36, v32, v33
	ds_read2_b64 v[32:35], v1 offset0:107 offset1:108
	s_waitcnt vmcnt(26) lgkmcnt(1)
	v_mul_f32_e32 v37, v28, v106
	v_fmac_f32_e32 v37, v29, v103
	v_add_f32_e32 v36, v36, v37
	s_waitcnt vmcnt(25)
	v_mul_f32_e32 v37, v30, v107
	v_fmac_f32_e32 v37, v31, v102
	v_add_f32_e32 v36, v36, v37
	s_waitcnt vmcnt(24) lgkmcnt(0)
	v_mul_f32_e32 v37, v32, v108
	v_fmac_f32_e32 v37, v33, v101
	v_add_f32_e32 v40, v36, v37
	ds_read2_b64 v[36:39], v1 offset0:109 offset1:110
	s_waitcnt vmcnt(19)
	v_mul_f32_e32 v41, v34, v113
	s_waitcnt vmcnt(18)
	v_fmac_f32_e32 v41, v35, v114
	v_add_f32_e32 v44, v40, v41
	ds_read2_b64 v[40:43], v1 offset0:111 offset1:112
	s_waitcnt vmcnt(17) lgkmcnt(1)
	v_mul_f32_e32 v45, v36, v115
	v_fmac_f32_e32 v45, v37, v112
	v_add_f32_e32 v44, v44, v45
	v_mul_f32_e32 v45, v38, v110
	v_fmac_f32_e32 v45, v39, v109
	v_add_f32_e32 v44, v44, v45
	s_waitcnt vmcnt(16) lgkmcnt(0)
	v_mul_f32_e32 v45, v40, v116
	v_fmac_f32_e32 v45, v41, v111
	v_add_f32_e32 v48, v44, v45
	ds_read2_b64 v[44:47], v1 offset0:113 offset1:114
	s_waitcnt vmcnt(12)
	v_mul_f32_e32 v49, v42, v118
	v_fmac_f32_e32 v49, v43, v117
	v_add_f32_e32 v52, v48, v49
	ds_read2_b64 v[48:51], v1 offset0:115 offset1:116
	buffer_load_dword v61, off, s[0:3], 0 offset:444
	buffer_load_dword v60, off, s[0:3], 0 offset:440
	s_waitcnt vmcnt(12) lgkmcnt(1)
	v_mul_f32_e32 v53, v44, v120
	v_fmac_f32_e32 v53, v45, v119
	v_add_f32_e32 v52, v52, v53
	s_waitcnt vmcnt(10)
	v_mul_f32_e32 v53, v46, v122
	v_fmac_f32_e32 v53, v47, v121
	v_add_f32_e32 v52, v52, v53
	s_waitcnt vmcnt(8) lgkmcnt(0)
	v_mul_f32_e32 v53, v48, v124
	v_fmac_f32_e32 v53, v49, v123
	s_waitcnt vmcnt(6)
	v_mul_f32_e32 v57, v50, v126
	v_add_f32_e32 v56, v52, v53
	v_fmac_f32_e32 v57, v51, v125
	ds_read2_b64 v[52:55], v1 offset0:117 offset1:118
	v_add_f32_e32 v63, v56, v57
	ds_read2_b64 v[56:59], v1 offset0:119 offset1:120
	buffer_load_dword v69, off, s[0:3], 0 offset:476
	buffer_load_dword v68, off, s[0:3], 0 offset:472
	;; [unrolled: 1-line block ×14, first 2 shown]
	v_mul_f32_e32 v5, v5, v62
	v_fma_f32 v4, v4, v91, -v5
	v_mul_f32_e32 v5, v7, v64
	v_add_f32_e32 v4, 0, v4
	v_fma_f32 v5, v6, v90, -v5
	v_add_f32_e32 v4, v4, v5
	v_mul_f32_e32 v5, v9, v84
	v_fma_f32 v5, v8, v89, -v5
	v_add_f32_e32 v4, v4, v5
	v_mul_f32_e32 v5, v11, v66
	;; [unrolled: 3-line block ×22, first 2 shown]
	v_fma_f32 v5, v50, v125, -v5
	s_waitcnt vmcnt(15)
	v_mov_b32_e32 v18, v61
	s_waitcnt lgkmcnt(1)
	v_mul_f32_e32 v65, v52, v128
	v_add_f32_e32 v62, v4, v5
	v_mul_f32_e32 v4, v53, v128
	s_waitcnt lgkmcnt(0)
	v_pk_mul_f32 v[18:19], v[56:57], v[18:19] op_sel_hi:[1,0]
	v_fmac_f32_e32 v65, v53, v127
	v_mul_f32_e32 v67, v54, v130
	v_fma_f32 v64, v52, v127, -v4
	v_mul_f32_e32 v4, v55, v130
	s_waitcnt vmcnt(14)
	v_pk_fma_f32 v[20:21], v[56:57], v[60:61], v[18:19] op_sel:[0,0,1] op_sel_hi:[1,1,0] neg_lo:[0,0,1] neg_hi:[0,0,1]
	v_pk_fma_f32 v[18:19], v[56:57], v[60:61], v[18:19] op_sel:[0,0,1] op_sel_hi:[1,0,0]
	v_fmac_f32_e32 v67, v55, v129
	v_fma_f32 v66, v54, v129, -v4
	v_pk_add_f32 v[16:17], v[62:63], v[64:65]
	s_waitcnt vmcnt(7)
	v_mov_b32_e32 v18, v75
	ds_read2_b64 v[4:7], v1 offset0:121 offset1:122
	ds_read2_b64 v[8:11], v1 offset0:123 offset1:124
	;; [unrolled: 1-line block ×3, first 2 shown]
	v_pk_add_f32 v[16:17], v[16:17], v[66:67]
	v_mov_b32_e32 v21, v19
	v_pk_mul_f32 v[18:19], v[58:59], v[18:19] op_sel_hi:[1,0]
	v_pk_add_f32 v[16:17], v[16:17], v[20:21]
	s_waitcnt vmcnt(6)
	v_pk_fma_f32 v[20:21], v[58:59], v[74:75], v[18:19] op_sel:[0,0,1] op_sel_hi:[1,1,0] neg_lo:[0,0,1] neg_hi:[0,0,1]
	v_pk_fma_f32 v[18:19], v[58:59], v[74:75], v[18:19] op_sel:[0,0,1] op_sel_hi:[1,0,0]
	v_mov_b32_e32 v18, v73
	v_mov_b32_e32 v21, v19
	s_waitcnt lgkmcnt(2)
	v_pk_mul_f32 v[18:19], v[4:5], v[18:19] op_sel_hi:[1,0]
	v_pk_add_f32 v[16:17], v[16:17], v[20:21]
	v_pk_fma_f32 v[20:21], v[4:5], v[72:73], v[18:19] op_sel:[0,0,1] op_sel_hi:[1,1,0] neg_lo:[0,0,1] neg_hi:[0,0,1]
	v_pk_fma_f32 v[4:5], v[4:5], v[72:73], v[18:19] op_sel:[0,0,1] op_sel_hi:[1,0,0]
	v_mov_b32_e32 v21, v5
	v_pk_add_f32 v[4:5], v[16:17], v[20:21]
	v_mov_b32_e32 v16, v71
	v_pk_mul_f32 v[16:17], v[6:7], v[16:17] op_sel_hi:[1,0]
	v_pk_fma_f32 v[18:19], v[6:7], v[70:71], v[16:17] op_sel:[0,0,1] op_sel_hi:[1,1,0] neg_lo:[0,0,1] neg_hi:[0,0,1]
	v_pk_fma_f32 v[6:7], v[6:7], v[70:71], v[16:17] op_sel:[0,0,1] op_sel_hi:[1,0,0]
	v_mov_b32_e32 v6, v69
	v_mov_b32_e32 v19, v7
	s_waitcnt lgkmcnt(1)
	v_pk_mul_f32 v[6:7], v[8:9], v[6:7] op_sel_hi:[1,0]
	v_pk_fma_f32 v[16:17], v[8:9], v[68:69], v[6:7] op_sel:[0,0,1] op_sel_hi:[1,1,0] neg_lo:[0,0,1] neg_hi:[0,0,1]
	v_pk_fma_f32 v[6:7], v[8:9], v[68:69], v[6:7] op_sel:[0,0,1] op_sel_hi:[1,0,0]
	s_waitcnt vmcnt(1)
	v_mov_b32_e32 v6, v81
	v_mov_b32_e32 v17, v7
	v_pk_mul_f32 v[6:7], v[10:11], v[6:7] op_sel_hi:[1,0]
	s_waitcnt vmcnt(0)
	v_pk_fma_f32 v[8:9], v[10:11], v[80:81], v[6:7] op_sel:[0,0,1] op_sel_hi:[1,1,0] neg_lo:[0,0,1] neg_hi:[0,0,1]
	v_pk_fma_f32 v[6:7], v[10:11], v[80:81], v[6:7] op_sel:[0,0,1] op_sel_hi:[1,0,0]
	v_pk_add_f32 v[4:5], v[4:5], v[18:19]
	v_mov_b32_e32 v6, v79
	v_pk_add_f32 v[4:5], v[4:5], v[16:17]
	v_mov_b32_e32 v9, v7
	s_waitcnt lgkmcnt(0)
	v_pk_mul_f32 v[6:7], v[12:13], v[6:7] op_sel_hi:[1,0]
	v_pk_add_f32 v[4:5], v[4:5], v[8:9]
	v_pk_fma_f32 v[8:9], v[12:13], v[78:79], v[6:7] op_sel:[0,0,1] op_sel_hi:[1,1,0] neg_lo:[0,0,1] neg_hi:[0,0,1]
	v_pk_fma_f32 v[6:7], v[12:13], v[78:79], v[6:7] op_sel:[0,0,1] op_sel_hi:[1,0,0]
	v_mov_b32_e32 v6, v77
	v_mov_b32_e32 v9, v7
	v_pk_mul_f32 v[6:7], v[14:15], v[6:7] op_sel_hi:[1,0]
	v_pk_add_f32 v[4:5], v[4:5], v[8:9]
	v_pk_fma_f32 v[8:9], v[14:15], v[76:77], v[6:7] op_sel:[0,0,1] op_sel_hi:[1,1,0] neg_lo:[0,0,1] neg_hi:[0,0,1]
	v_pk_fma_f32 v[6:7], v[14:15], v[76:77], v[6:7] op_sel:[0,0,1] op_sel_hi:[1,0,0]
	v_mov_b32_e32 v9, v7
	v_pk_add_f32 v[4:5], v[4:5], v[8:9]
	v_pk_add_f32 v[2:3], v[2:3], v[4:5] neg_lo:[0,1] neg_hi:[0,1]
	buffer_store_dword v3, off, s[0:3], 0 offset:228
	buffer_store_dword v2, off, s[0:3], 0 offset:224
	s_and_saveexec_b64 s[4:5], vcc
	s_cbranch_execz .LBB62_337
; %bb.336:
	buffer_load_dword v2, off, s[0:3], 0 offset:216
	buffer_load_dword v3, off, s[0:3], 0 offset:220
	v_mov_b32_e32 v1, 0
	buffer_store_dword v1, off, s[0:3], 0 offset:216
	buffer_store_dword v1, off, s[0:3], 0 offset:220
	s_waitcnt vmcnt(2)
	ds_write_b64 v217, v[2:3]
.LBB62_337:
	s_or_b64 exec, exec, s[4:5]
	s_waitcnt lgkmcnt(0)
	; wave barrier
	s_waitcnt lgkmcnt(0)
	buffer_load_dword v60, off, s[0:3], 0 offset:228
	buffer_load_dword v62, off, s[0:3], 0 offset:236
	;; [unrolled: 1-line block ×56, first 2 shown]
	v_mov_b32_e32 v1, 0
	ds_read_b128 v[4:7], v1 offset:736
	ds_read_b128 v[8:11], v1 offset:752
	ds_read_b128 v[12:15], v1 offset:768
	ds_read_b128 v[16:19], v1 offset:784
	ds_read_b128 v[20:23], v1 offset:800
	ds_read_b128 v[24:27], v1 offset:816
	v_cmp_lt_u32_e32 vcc, 26, v0
	s_waitcnt vmcnt(55) lgkmcnt(5)
	v_mul_f32_e32 v28, v4, v60
	s_waitcnt vmcnt(54)
	v_mul_f32_e32 v29, v6, v62
	s_waitcnt vmcnt(53) lgkmcnt(4)
	v_mul_f32_e32 v31, v10, v64
	s_waitcnt vmcnt(52) lgkmcnt(3)
	v_mul_f32_e32 v32, v12, v82
	s_waitcnt vmcnt(51)
	v_mul_f32_e32 v33, v14, v83
	s_waitcnt vmcnt(50)
	v_mul_f32_e32 v30, v8, v84
	s_waitcnt vmcnt(49) lgkmcnt(2)
	v_mul_f32_e32 v34, v16, v85
	s_waitcnt vmcnt(48)
	v_mul_f32_e32 v35, v18, v86
	s_waitcnt vmcnt(47) lgkmcnt(1)
	v_mul_f32_e32 v36, v20, v87
	s_waitcnt vmcnt(46)
	v_fmac_f32_e32 v30, v9, v88
	s_waitcnt vmcnt(45)
	v_fmac_f32_e32 v29, v7, v89
	;; [unrolled: 2-line block ×3, first 2 shown]
	v_add_f32_e32 v28, 0, v28
	v_add_f32_e32 v28, v28, v29
	;; [unrolled: 1-line block ×3, first 2 shown]
	s_waitcnt vmcnt(40)
	v_fmac_f32_e32 v31, v11, v94
	v_fmac_f32_e32 v32, v13, v93
	v_add_f32_e32 v28, v28, v31
	v_fmac_f32_e32 v33, v15, v92
	v_add_f32_e32 v28, v28, v32
	;; [unrolled: 2-line block ×3, first 2 shown]
	s_waitcnt vmcnt(36)
	v_fmac_f32_e32 v35, v19, v98
	v_add_f32_e32 v28, v28, v34
	v_add_f32_e32 v28, v28, v35
	v_fmac_f32_e32 v36, v21, v97
	s_waitcnt vmcnt(35)
	v_mul_f32_e32 v29, v22, v99
	v_add_f32_e32 v28, v28, v36
	v_fmac_f32_e32 v29, v23, v96
	v_add_f32_e32 v28, v28, v29
	s_waitcnt vmcnt(34) lgkmcnt(0)
	v_mul_f32_e32 v29, v24, v100
	v_fmac_f32_e32 v29, v25, v95
	v_add_f32_e32 v32, v28, v29
	ds_read_b128 v[28:31], v1 offset:832
	s_waitcnt vmcnt(30)
	v_mul_f32_e32 v33, v26, v104
	s_waitcnt vmcnt(29)
	v_fmac_f32_e32 v33, v27, v105
	v_add_f32_e32 v36, v32, v33
	ds_read_b128 v[32:35], v1 offset:848
	s_waitcnt vmcnt(28) lgkmcnt(1)
	v_mul_f32_e32 v37, v28, v106
	v_fmac_f32_e32 v37, v29, v103
	v_add_f32_e32 v36, v36, v37
	s_waitcnt vmcnt(27)
	v_mul_f32_e32 v37, v30, v107
	v_fmac_f32_e32 v37, v31, v102
	v_add_f32_e32 v36, v36, v37
	s_waitcnt vmcnt(26) lgkmcnt(0)
	v_mul_f32_e32 v37, v32, v108
	v_fmac_f32_e32 v37, v33, v101
	v_add_f32_e32 v40, v36, v37
	ds_read_b128 v[36:39], v1 offset:864
	s_waitcnt vmcnt(24)
	v_mul_f32_e32 v41, v34, v110
	v_fmac_f32_e32 v41, v35, v109
	v_add_f32_e32 v44, v40, v41
	ds_read_b128 v[40:43], v1 offset:880
	s_waitcnt vmcnt(20) lgkmcnt(1)
	v_mul_f32_e32 v45, v36, v112
	v_fmac_f32_e32 v45, v37, v111
	v_add_f32_e32 v44, v44, v45
	s_waitcnt vmcnt(18)
	v_mul_f32_e32 v45, v38, v114
	v_fmac_f32_e32 v45, v39, v113
	v_add_f32_e32 v44, v44, v45
	s_waitcnt vmcnt(16) lgkmcnt(0)
	v_mul_f32_e32 v45, v40, v116
	v_fmac_f32_e32 v45, v41, v115
	v_add_f32_e32 v48, v44, v45
	ds_read_b128 v[44:47], v1 offset:896
	s_waitcnt vmcnt(14)
	v_mul_f32_e32 v49, v42, v118
	v_fmac_f32_e32 v49, v43, v117
	v_add_f32_e32 v52, v48, v49
	ds_read_b128 v[48:51], v1 offset:912
	s_waitcnt vmcnt(12) lgkmcnt(1)
	v_mul_f32_e32 v53, v44, v120
	v_fmac_f32_e32 v53, v45, v119
	v_add_f32_e32 v52, v52, v53
	s_waitcnt vmcnt(10)
	v_mul_f32_e32 v53, v46, v122
	v_fmac_f32_e32 v53, v47, v121
	v_add_f32_e32 v52, v52, v53
	s_waitcnt vmcnt(8) lgkmcnt(0)
	v_mul_f32_e32 v53, v48, v124
	v_fmac_f32_e32 v53, v49, v123
	s_waitcnt vmcnt(6)
	v_mul_f32_e32 v57, v50, v126
	v_add_f32_e32 v56, v52, v53
	v_fmac_f32_e32 v57, v51, v125
	ds_read_b128 v[52:55], v1 offset:928
	v_add_f32_e32 v61, v56, v57
	ds_read_b128 v[56:59], v1 offset:944
	buffer_load_dword v67, off, s[0:3], 0 offset:468
	buffer_load_dword v66, off, s[0:3], 0 offset:464
	;; [unrolled: 1-line block ×16, first 2 shown]
	v_mul_f32_e32 v5, v5, v60
	v_fma_f32 v4, v4, v90, -v5
	v_mul_f32_e32 v5, v7, v62
	v_add_f32_e32 v4, 0, v4
	v_fma_f32 v5, v6, v89, -v5
	v_add_f32_e32 v4, v4, v5
	v_mul_f32_e32 v5, v9, v84
	v_fma_f32 v5, v8, v88, -v5
	v_add_f32_e32 v4, v4, v5
	v_mul_f32_e32 v5, v11, v64
	;; [unrolled: 3-line block ×22, first 2 shown]
	v_fma_f32 v5, v50, v125, -v5
	v_add_f32_e32 v4, v4, v5
	s_waitcnt vmcnt(20) lgkmcnt(1)
	v_mul_f32_e32 v5, v53, v128
	v_mul_f32_e32 v63, v52, v128
	v_fma_f32 v5, v52, v127, -v5
	v_fmac_f32_e32 v63, v53, v127
	v_add_f32_e32 v60, v4, v5
	s_waitcnt vmcnt(18)
	v_mul_f32_e32 v4, v55, v130
	s_waitcnt vmcnt(9)
	v_mov_b32_e32 v20, v73
	v_add_f32_e32 v61, v61, v63
	v_mul_f32_e32 v63, v54, v130
	v_fma_f32 v62, v54, v129, -v4
	s_waitcnt lgkmcnt(0)
	v_mul_f32_e32 v4, v57, v132
	v_pk_mul_f32 v[20:21], v[58:59], v[20:21] op_sel_hi:[1,0]
	v_fmac_f32_e32 v63, v55, v129
	v_mul_f32_e32 v65, v56, v132
	v_fma_f32 v64, v56, v131, -v4
	ds_read_b128 v[4:7], v1 offset:960
	ds_read_b128 v[8:11], v1 offset:976
	;; [unrolled: 1-line block ×3, first 2 shown]
	ds_read_b64 v[16:17], v1 offset:1008
	s_waitcnt vmcnt(8)
	v_pk_fma_f32 v[22:23], v[58:59], v[72:73], v[20:21] op_sel:[0,0,1] op_sel_hi:[1,1,0] neg_lo:[0,0,1] neg_hi:[0,0,1]
	v_pk_fma_f32 v[20:21], v[58:59], v[72:73], v[20:21] op_sel:[0,0,1] op_sel_hi:[1,0,0]
	v_fmac_f32_e32 v65, v57, v131
	v_pk_add_f32 v[18:19], v[60:61], v[62:63]
	v_mov_b32_e32 v20, v71
	v_pk_add_f32 v[18:19], v[18:19], v[64:65]
	v_mov_b32_e32 v23, v21
	s_waitcnt lgkmcnt(3)
	v_pk_mul_f32 v[20:21], v[4:5], v[20:21] op_sel_hi:[1,0]
	v_pk_add_f32 v[18:19], v[18:19], v[22:23]
	v_pk_fma_f32 v[22:23], v[4:5], v[70:71], v[20:21] op_sel:[0,0,1] op_sel_hi:[1,1,0] neg_lo:[0,0,1] neg_hi:[0,0,1]
	v_pk_fma_f32 v[4:5], v[4:5], v[70:71], v[20:21] op_sel:[0,0,1] op_sel_hi:[1,0,0]
	v_mov_b32_e32 v23, v5
	v_pk_add_f32 v[4:5], v[18:19], v[22:23]
	v_mov_b32_e32 v18, v69
	v_pk_mul_f32 v[18:19], v[6:7], v[18:19] op_sel_hi:[1,0]
	v_pk_fma_f32 v[20:21], v[6:7], v[68:69], v[18:19] op_sel:[0,0,1] op_sel_hi:[1,1,0] neg_lo:[0,0,1] neg_hi:[0,0,1]
	v_pk_fma_f32 v[6:7], v[6:7], v[68:69], v[18:19] op_sel:[0,0,1] op_sel_hi:[1,0,0]
	v_mov_b32_e32 v6, v67
	v_mov_b32_e32 v21, v7
	s_waitcnt lgkmcnt(2)
	v_pk_mul_f32 v[6:7], v[8:9], v[6:7] op_sel_hi:[1,0]
	v_pk_fma_f32 v[18:19], v[8:9], v[66:67], v[6:7] op_sel:[0,0,1] op_sel_hi:[1,1,0] neg_lo:[0,0,1] neg_hi:[0,0,1]
	v_pk_fma_f32 v[6:7], v[8:9], v[66:67], v[6:7] op_sel:[0,0,1] op_sel_hi:[1,0,0]
	s_waitcnt vmcnt(1)
	v_mov_b32_e32 v6, v81
	v_mov_b32_e32 v19, v7
	v_pk_mul_f32 v[6:7], v[10:11], v[6:7] op_sel_hi:[1,0]
	s_waitcnt vmcnt(0)
	v_pk_fma_f32 v[8:9], v[10:11], v[80:81], v[6:7] op_sel:[0,0,1] op_sel_hi:[1,1,0] neg_lo:[0,0,1] neg_hi:[0,0,1]
	v_pk_fma_f32 v[6:7], v[10:11], v[80:81], v[6:7] op_sel:[0,0,1] op_sel_hi:[1,0,0]
	v_pk_add_f32 v[4:5], v[4:5], v[20:21]
	v_mov_b32_e32 v6, v79
	v_pk_add_f32 v[4:5], v[4:5], v[18:19]
	v_mov_b32_e32 v9, v7
	s_waitcnt lgkmcnt(1)
	v_pk_mul_f32 v[6:7], v[12:13], v[6:7] op_sel_hi:[1,0]
	v_pk_add_f32 v[4:5], v[4:5], v[8:9]
	v_pk_fma_f32 v[8:9], v[12:13], v[78:79], v[6:7] op_sel:[0,0,1] op_sel_hi:[1,1,0] neg_lo:[0,0,1] neg_hi:[0,0,1]
	v_pk_fma_f32 v[6:7], v[12:13], v[78:79], v[6:7] op_sel:[0,0,1] op_sel_hi:[1,0,0]
	v_mov_b32_e32 v6, v77
	v_mov_b32_e32 v9, v7
	v_pk_mul_f32 v[6:7], v[14:15], v[6:7] op_sel_hi:[1,0]
	v_pk_add_f32 v[4:5], v[4:5], v[8:9]
	v_pk_fma_f32 v[8:9], v[14:15], v[76:77], v[6:7] op_sel:[0,0,1] op_sel_hi:[1,1,0] neg_lo:[0,0,1] neg_hi:[0,0,1]
	v_pk_fma_f32 v[6:7], v[14:15], v[76:77], v[6:7] op_sel:[0,0,1] op_sel_hi:[1,0,0]
	v_mov_b32_e32 v6, v75
	v_mov_b32_e32 v9, v7
	s_waitcnt lgkmcnt(0)
	v_pk_mul_f32 v[6:7], v[16:17], v[6:7] op_sel_hi:[1,0]
	v_pk_add_f32 v[4:5], v[4:5], v[8:9]
	v_pk_fma_f32 v[8:9], v[16:17], v[74:75], v[6:7] op_sel:[0,0,1] op_sel_hi:[1,1,0] neg_lo:[0,0,1] neg_hi:[0,0,1]
	v_pk_fma_f32 v[6:7], v[16:17], v[74:75], v[6:7] op_sel:[0,0,1] op_sel_hi:[1,0,0]
	v_mov_b32_e32 v9, v7
	v_pk_add_f32 v[4:5], v[4:5], v[8:9]
	v_pk_add_f32 v[2:3], v[2:3], v[4:5] neg_lo:[0,1] neg_hi:[0,1]
	buffer_store_dword v3, off, s[0:3], 0 offset:220
	buffer_store_dword v2, off, s[0:3], 0 offset:216
	s_and_saveexec_b64 s[4:5], vcc
	s_cbranch_execz .LBB62_339
; %bb.338:
	buffer_load_dword v2, off, s[0:3], 0 offset:208
	buffer_load_dword v3, off, s[0:3], 0 offset:212
	s_waitcnt vmcnt(0)
	ds_write_b64 v217, v[2:3]
	buffer_store_dword v1, off, s[0:3], 0 offset:208
	buffer_store_dword v1, off, s[0:3], 0 offset:212
.LBB62_339:
	s_or_b64 exec, exec, s[4:5]
	s_waitcnt lgkmcnt(0)
	; wave barrier
	s_waitcnt lgkmcnt(0)
	buffer_load_dword v60, off, s[0:3], 0 offset:220
	buffer_load_dword v62, off, s[0:3], 0 offset:228
	;; [unrolled: 1-line block ×40, first 2 shown]
	ds_read2_b64 v[4:7], v1 offset0:91 offset1:92
	ds_read2_b64 v[8:11], v1 offset0:93 offset1:94
	;; [unrolled: 1-line block ×4, first 2 shown]
	buffer_load_dword v117, off, s[0:3], 0 offset:368
	buffer_load_dword v118, off, s[0:3], 0 offset:372
	ds_read2_b64 v[20:23], v1 offset0:99 offset1:100
	ds_read2_b64 v[24:27], v1 offset0:101 offset1:102
	buffer_load_dword v119, off, s[0:3], 0 offset:376
	buffer_load_dword v120, off, s[0:3], 0 offset:380
	;; [unrolled: 1-line block ×16, first 2 shown]
	v_cmp_lt_u32_e32 vcc, 25, v0
	s_waitcnt vmcnt(57) lgkmcnt(5)
	v_mul_f32_e32 v28, v4, v60
	s_waitcnt vmcnt(56)
	v_mul_f32_e32 v29, v6, v62
	s_waitcnt vmcnt(55) lgkmcnt(4)
	v_mul_f32_e32 v31, v10, v70
	s_waitcnt vmcnt(54) lgkmcnt(3)
	v_mul_f32_e32 v32, v12, v82
	s_waitcnt vmcnt(53)
	v_mul_f32_e32 v33, v14, v83
	s_waitcnt vmcnt(52)
	v_mul_f32_e32 v30, v8, v84
	s_waitcnt vmcnt(51) lgkmcnt(2)
	v_mul_f32_e32 v34, v16, v85
	s_waitcnt vmcnt(50)
	v_mul_f32_e32 v35, v18, v86
	s_waitcnt vmcnt(49)
	v_fmac_f32_e32 v30, v9, v87
	s_waitcnt vmcnt(48)
	v_fmac_f32_e32 v29, v7, v88
	;; [unrolled: 2-line block ×3, first 2 shown]
	v_add_f32_e32 v28, 0, v28
	v_add_f32_e32 v28, v28, v29
	;; [unrolled: 1-line block ×3, first 2 shown]
	s_waitcnt vmcnt(43)
	v_fmac_f32_e32 v31, v11, v93
	v_fmac_f32_e32 v32, v13, v92
	v_add_f32_e32 v28, v28, v31
	v_fmac_f32_e32 v33, v15, v91
	v_add_f32_e32 v28, v28, v32
	;; [unrolled: 2-line block ×3, first 2 shown]
	s_waitcnt vmcnt(39)
	v_fmac_f32_e32 v35, v19, v97
	v_add_f32_e32 v28, v28, v34
	s_waitcnt vmcnt(38) lgkmcnt(1)
	v_mul_f32_e32 v29, v20, v98
	v_add_f32_e32 v28, v28, v35
	v_fmac_f32_e32 v29, v21, v96
	v_add_f32_e32 v28, v28, v29
	s_waitcnt vmcnt(37)
	v_mul_f32_e32 v29, v22, v99
	v_fmac_f32_e32 v29, v23, v95
	v_add_f32_e32 v28, v28, v29
	s_waitcnt vmcnt(36) lgkmcnt(0)
	v_mul_f32_e32 v29, v24, v100
	v_fmac_f32_e32 v29, v25, v94
	v_add_f32_e32 v32, v28, v29
	ds_read2_b64 v[28:31], v1 offset0:103 offset1:104
	s_waitcnt vmcnt(32)
	v_mul_f32_e32 v33, v26, v104
	s_waitcnt vmcnt(31)
	v_fmac_f32_e32 v33, v27, v105
	v_add_f32_e32 v36, v32, v33
	ds_read2_b64 v[32:35], v1 offset0:105 offset1:106
	s_waitcnt vmcnt(30) lgkmcnt(1)
	v_mul_f32_e32 v37, v28, v106
	v_fmac_f32_e32 v37, v29, v103
	v_add_f32_e32 v36, v36, v37
	s_waitcnt vmcnt(29)
	v_mul_f32_e32 v37, v30, v107
	v_fmac_f32_e32 v37, v31, v102
	v_add_f32_e32 v36, v36, v37
	s_waitcnt vmcnt(28) lgkmcnt(0)
	v_mul_f32_e32 v37, v32, v108
	v_fmac_f32_e32 v37, v33, v101
	v_add_f32_e32 v40, v36, v37
	ds_read2_b64 v[36:39], v1 offset0:107 offset1:108
	s_waitcnt vmcnt(21)
	v_mul_f32_e32 v41, v34, v115
	s_waitcnt vmcnt(20)
	v_fmac_f32_e32 v41, v35, v116
	v_add_f32_e32 v44, v40, v41
	ds_read2_b64 v[40:43], v1 offset0:109 offset1:110
	s_waitcnt lgkmcnt(1)
	v_mul_f32_e32 v45, v36, v110
	v_fmac_f32_e32 v45, v37, v109
	v_add_f32_e32 v44, v44, v45
	v_mul_f32_e32 v45, v38, v112
	v_fmac_f32_e32 v45, v39, v111
	v_add_f32_e32 v44, v44, v45
	s_waitcnt lgkmcnt(0)
	v_mul_f32_e32 v45, v40, v114
	v_fmac_f32_e32 v45, v41, v113
	v_add_f32_e32 v48, v44, v45
	ds_read2_b64 v[44:47], v1 offset0:111 offset1:112
	s_waitcnt vmcnt(16)
	v_mul_f32_e32 v49, v42, v118
	v_fmac_f32_e32 v49, v43, v117
	v_add_f32_e32 v52, v48, v49
	ds_read2_b64 v[48:51], v1 offset0:113 offset1:114
	s_waitcnt vmcnt(14) lgkmcnt(1)
	v_mul_f32_e32 v53, v44, v120
	v_fmac_f32_e32 v53, v45, v119
	v_add_f32_e32 v52, v52, v53
	s_waitcnt vmcnt(12)
	v_mul_f32_e32 v53, v46, v122
	v_fmac_f32_e32 v53, v47, v121
	v_add_f32_e32 v52, v52, v53
	s_waitcnt vmcnt(10) lgkmcnt(0)
	v_mul_f32_e32 v53, v48, v124
	v_fmac_f32_e32 v53, v49, v123
	s_waitcnt vmcnt(8)
	v_mul_f32_e32 v57, v50, v126
	v_add_f32_e32 v56, v52, v53
	v_fmac_f32_e32 v57, v51, v125
	ds_read2_b64 v[52:55], v1 offset0:115 offset1:116
	v_add_f32_e32 v61, v56, v57
	ds_read2_b64 v[56:59], v1 offset0:117 offset1:118
	buffer_load_dword v65, off, s[0:3], 0 offset:460
	buffer_load_dword v64, off, s[0:3], 0 offset:456
	;; [unrolled: 1-line block ×16, first 2 shown]
	v_mul_f32_e32 v5, v5, v60
	v_fma_f32 v4, v4, v89, -v5
	v_mul_f32_e32 v5, v7, v62
	v_add_f32_e32 v4, 0, v4
	v_fma_f32 v5, v6, v88, -v5
	v_add_f32_e32 v4, v4, v5
	v_mul_f32_e32 v5, v9, v84
	v_fma_f32 v5, v8, v87, -v5
	v_add_f32_e32 v4, v4, v5
	v_mul_f32_e32 v5, v11, v70
	;; [unrolled: 3-line block ×22, first 2 shown]
	v_fma_f32 v5, v50, v125, -v5
	v_add_f32_e32 v4, v4, v5
	s_waitcnt vmcnt(22) lgkmcnt(1)
	v_mul_f32_e32 v5, v53, v128
	v_fma_f32 v5, v52, v127, -v5
	v_add_f32_e32 v4, v4, v5
	s_waitcnt vmcnt(20)
	v_mul_f32_e32 v5, v55, v130
	v_mul_f32_e32 v63, v52, v128
	v_fma_f32 v5, v54, v129, -v5
	v_fmac_f32_e32 v63, v53, v127
	v_add_f32_e32 v60, v4, v5
	s_waitcnt vmcnt(18) lgkmcnt(0)
	v_mul_f32_e32 v4, v57, v132
	v_add_f32_e32 v61, v61, v63
	v_mul_f32_e32 v63, v54, v130
	v_fma_f32 v62, v56, v131, -v4
	s_waitcnt vmcnt(16)
	v_mul_f32_e32 v4, v59, v134
	v_fmac_f32_e32 v63, v55, v129
	v_fma_f32 v70, v58, v133, -v4
	ds_read2_b64 v[4:7], v1 offset0:119 offset1:120
	ds_read2_b64 v[8:11], v1 offset0:121 offset1:122
	;; [unrolled: 1-line block ×4, first 2 shown]
	v_add_f32_e32 v61, v61, v63
	v_mul_f32_e32 v63, v56, v132
	s_waitcnt vmcnt(11)
	v_mov_b32_e32 v22, v69
	v_fmac_f32_e32 v63, v57, v131
	v_mul_f32_e32 v71, v58, v134
	s_waitcnt lgkmcnt(3)
	v_pk_mul_f32 v[22:23], v[4:5], v[22:23] op_sel_hi:[1,0]
	v_fmac_f32_e32 v71, v59, v133
	v_pk_add_f32 v[20:21], v[60:61], v[62:63]
	s_waitcnt vmcnt(10)
	v_pk_fma_f32 v[24:25], v[4:5], v[68:69], v[22:23] op_sel:[0,0,1] op_sel_hi:[1,1,0] neg_lo:[0,0,1] neg_hi:[0,0,1]
	v_pk_fma_f32 v[4:5], v[4:5], v[68:69], v[22:23] op_sel:[0,0,1] op_sel_hi:[1,0,0]
	v_pk_add_f32 v[20:21], v[20:21], v[70:71]
	v_mov_b32_e32 v25, v5
	v_pk_add_f32 v[4:5], v[20:21], v[24:25]
	v_mov_b32_e32 v20, v67
	v_pk_mul_f32 v[20:21], v[6:7], v[20:21] op_sel_hi:[1,0]
	v_pk_fma_f32 v[22:23], v[6:7], v[66:67], v[20:21] op_sel:[0,0,1] op_sel_hi:[1,1,0] neg_lo:[0,0,1] neg_hi:[0,0,1]
	v_pk_fma_f32 v[6:7], v[6:7], v[66:67], v[20:21] op_sel:[0,0,1] op_sel_hi:[1,0,0]
	v_mov_b32_e32 v6, v65
	v_mov_b32_e32 v23, v7
	s_waitcnt lgkmcnt(2)
	v_pk_mul_f32 v[6:7], v[8:9], v[6:7] op_sel_hi:[1,0]
	v_pk_fma_f32 v[20:21], v[8:9], v[64:65], v[6:7] op_sel:[0,0,1] op_sel_hi:[1,1,0] neg_lo:[0,0,1] neg_hi:[0,0,1]
	v_pk_fma_f32 v[6:7], v[8:9], v[64:65], v[6:7] op_sel:[0,0,1] op_sel_hi:[1,0,0]
	s_waitcnt vmcnt(3)
	v_mov_b32_e32 v6, v79
	v_mov_b32_e32 v21, v7
	v_pk_mul_f32 v[6:7], v[10:11], v[6:7] op_sel_hi:[1,0]
	s_waitcnt vmcnt(2)
	v_pk_fma_f32 v[8:9], v[10:11], v[78:79], v[6:7] op_sel:[0,0,1] op_sel_hi:[1,1,0] neg_lo:[0,0,1] neg_hi:[0,0,1]
	v_pk_fma_f32 v[6:7], v[10:11], v[78:79], v[6:7] op_sel:[0,0,1] op_sel_hi:[1,0,0]
	v_pk_add_f32 v[4:5], v[4:5], v[22:23]
	v_mov_b32_e32 v6, v77
	v_pk_add_f32 v[4:5], v[4:5], v[20:21]
	v_mov_b32_e32 v9, v7
	s_waitcnt lgkmcnt(1)
	v_pk_mul_f32 v[6:7], v[12:13], v[6:7] op_sel_hi:[1,0]
	v_pk_add_f32 v[4:5], v[4:5], v[8:9]
	v_pk_fma_f32 v[8:9], v[12:13], v[76:77], v[6:7] op_sel:[0,0,1] op_sel_hi:[1,1,0] neg_lo:[0,0,1] neg_hi:[0,0,1]
	v_pk_fma_f32 v[6:7], v[12:13], v[76:77], v[6:7] op_sel:[0,0,1] op_sel_hi:[1,0,0]
	v_mov_b32_e32 v6, v75
	v_mov_b32_e32 v9, v7
	v_pk_mul_f32 v[6:7], v[14:15], v[6:7] op_sel_hi:[1,0]
	v_pk_add_f32 v[4:5], v[4:5], v[8:9]
	v_pk_fma_f32 v[8:9], v[14:15], v[74:75], v[6:7] op_sel:[0,0,1] op_sel_hi:[1,1,0] neg_lo:[0,0,1] neg_hi:[0,0,1]
	v_pk_fma_f32 v[6:7], v[14:15], v[74:75], v[6:7] op_sel:[0,0,1] op_sel_hi:[1,0,0]
	v_mov_b32_e32 v6, v73
	v_mov_b32_e32 v9, v7
	s_waitcnt lgkmcnt(0)
	v_pk_mul_f32 v[6:7], v[16:17], v[6:7] op_sel_hi:[1,0]
	v_pk_add_f32 v[4:5], v[4:5], v[8:9]
	v_pk_fma_f32 v[8:9], v[16:17], v[72:73], v[6:7] op_sel:[0,0,1] op_sel_hi:[1,1,0] neg_lo:[0,0,1] neg_hi:[0,0,1]
	v_pk_fma_f32 v[6:7], v[16:17], v[72:73], v[6:7] op_sel:[0,0,1] op_sel_hi:[1,0,0]
	s_waitcnt vmcnt(1)
	v_mov_b32_e32 v6, v81
	v_mov_b32_e32 v9, v7
	v_pk_mul_f32 v[6:7], v[18:19], v[6:7] op_sel_hi:[1,0]
	v_pk_add_f32 v[4:5], v[4:5], v[8:9]
	s_waitcnt vmcnt(0)
	v_pk_fma_f32 v[8:9], v[18:19], v[80:81], v[6:7] op_sel:[0,0,1] op_sel_hi:[1,1,0] neg_lo:[0,0,1] neg_hi:[0,0,1]
	v_pk_fma_f32 v[6:7], v[18:19], v[80:81], v[6:7] op_sel:[0,0,1] op_sel_hi:[1,0,0]
	v_mov_b32_e32 v9, v7
	v_pk_add_f32 v[4:5], v[4:5], v[8:9]
	v_pk_add_f32 v[2:3], v[2:3], v[4:5] neg_lo:[0,1] neg_hi:[0,1]
	buffer_store_dword v3, off, s[0:3], 0 offset:212
	buffer_store_dword v2, off, s[0:3], 0 offset:208
	s_and_saveexec_b64 s[4:5], vcc
	s_cbranch_execz .LBB62_341
; %bb.340:
	buffer_load_dword v2, off, s[0:3], 0 offset:200
	buffer_load_dword v3, off, s[0:3], 0 offset:204
	v_mov_b32_e32 v1, 0
	buffer_store_dword v1, off, s[0:3], 0 offset:200
	buffer_store_dword v1, off, s[0:3], 0 offset:204
	s_waitcnt vmcnt(2)
	ds_write_b64 v217, v[2:3]
.LBB62_341:
	s_or_b64 exec, exec, s[4:5]
	v_mov_b32_e32 v86, 0
	s_waitcnt lgkmcnt(0)
	; wave barrier
	s_waitcnt lgkmcnt(0)
	ds_read_b128 v[14:17], v86 offset:720
	ds_read_b128 v[10:13], v86 offset:736
	;; [unrolled: 1-line block ×4, first 2 shown]
	buffer_load_dword v62, off, s[0:3], 0 offset:200
	buffer_load_dword v63, off, s[0:3], 0 offset:204
	;; [unrolled: 1-line block ×18, first 2 shown]
	ds_read_b128 v[22:25], v86 offset:784
	buffer_load_dword v99, off, s[0:3], 0 offset:272
	buffer_load_dword v100, off, s[0:3], 0 offset:276
	buffer_load_dword v101, off, s[0:3], 0 offset:280
	buffer_load_dword v102, off, s[0:3], 0 offset:284
	ds_read_b128 v[26:29], v86 offset:800
	buffer_load_dword v103, off, s[0:3], 0 offset:288
	buffer_load_dword v104, off, s[0:3], 0 offset:292
	buffer_load_dword v105, off, s[0:3], 0 offset:296
	buffer_load_dword v106, off, s[0:3], 0 offset:300
	;; [unrolled: 5-line block ×10, first 2 shown]
	v_cmp_lt_u32_e32 vcc, 24, v0
	s_waitcnt vmcnt(54) lgkmcnt(13)
	v_mul_f32_e32 v18, v14, v70
	v_fmac_f32_e32 v18, v15, v1
	s_waitcnt vmcnt(52)
	v_mul_f32_e32 v19, v16, v88
	v_add_f32_e32 v18, 0, v18
	v_fmac_f32_e32 v19, v17, v64
	v_add_f32_e32 v18, v18, v19
	s_waitcnt vmcnt(50) lgkmcnt(12)
	v_mul_f32_e32 v19, v10, v90
	v_fmac_f32_e32 v19, v11, v66
	v_add_f32_e32 v18, v18, v19
	s_waitcnt vmcnt(48)
	v_mul_f32_e32 v19, v12, v92
	v_fmac_f32_e32 v19, v13, v87
	v_add_f32_e32 v18, v18, v19
	s_waitcnt vmcnt(46) lgkmcnt(11)
	v_mul_f32_e32 v19, v6, v94
	v_fmac_f32_e32 v19, v7, v89
	v_add_f32_e32 v18, v18, v19
	s_waitcnt vmcnt(44)
	v_mul_f32_e32 v19, v8, v95
	;; [unrolled: 8-line block ×12, first 2 shown]
	v_fmac_f32_e32 v19, v57, v133
	v_add_f32_e32 v18, v18, v19
	s_waitcnt vmcnt(2) lgkmcnt(0)
	v_mul_f32_e32 v19, v58, v136
	v_fmac_f32_e32 v19, v59, v135
	v_add_f32_e32 v65, v18, v19
	ds_read_b128 v[18:21], v86 offset:944
	buffer_load_dword v139, off, s[0:3], 0 offset:432
	buffer_load_dword v140, off, s[0:3], 0 offset:436
	buffer_load_dword v69, off, s[0:3], 0 offset:444
	buffer_load_dword v68, off, s[0:3], 0 offset:440
	buffer_load_dword v85, off, s[0:3], 0 offset:452
	buffer_load_dword v84, off, s[0:3], 0 offset:448
	buffer_load_dword v83, off, s[0:3], 0 offset:460
	buffer_load_dword v82, off, s[0:3], 0 offset:456
	buffer_load_dword v81, off, s[0:3], 0 offset:468
	buffer_load_dword v80, off, s[0:3], 0 offset:464
	buffer_load_dword v79, off, s[0:3], 0 offset:476
	buffer_load_dword v78, off, s[0:3], 0 offset:472
	buffer_load_dword v77, off, s[0:3], 0 offset:484
	buffer_load_dword v76, off, s[0:3], 0 offset:480
	buffer_load_dword v75, off, s[0:3], 0 offset:492
	buffer_load_dword v74, off, s[0:3], 0 offset:488
	buffer_load_dword v73, off, s[0:3], 0 offset:500
	buffer_load_dword v72, off, s[0:3], 0 offset:496
	v_mul_f32_e32 v15, v15, v70
	v_fma_f32 v1, v14, v1, -v15
	v_mul_f32_e32 v14, v17, v88
	v_add_f32_e32 v1, 0, v1
	v_fma_f32 v14, v16, v64, -v14
	v_mul_f32_e32 v11, v11, v90
	v_add_f32_e32 v1, v1, v14
	v_fma_f32 v10, v10, v66, -v11
	v_add_f32_e32 v1, v1, v10
	v_mul_f32_e32 v10, v13, v92
	v_fma_f32 v10, v12, v87, -v10
	v_mul_f32_e32 v7, v7, v94
	v_add_f32_e32 v1, v1, v10
	v_fma_f32 v6, v6, v89, -v7
	v_add_f32_e32 v1, v1, v6
	v_mul_f32_e32 v6, v9, v95
	;; [unrolled: 6-line block ×3, first 2 shown]
	v_fma_f32 v2, v4, v97, -v2
	v_add_f32_e32 v1, v1, v2
	v_mul_f32_e32 v2, v23, v100
	v_fma_f32 v2, v22, v99, -v2
	v_add_f32_e32 v1, v1, v2
	v_mul_f32_e32 v2, v25, v102
	;; [unrolled: 3-line block ×19, first 2 shown]
	v_fma_f32 v2, v58, v135, -v2
	v_add_f32_e32 v64, v1, v2
	s_waitcnt vmcnt(18)
	v_mul_f32_e32 v1, v61, v138
	v_fma_f32 v66, v60, v137, -v1
	s_waitcnt vmcnt(16) lgkmcnt(0)
	v_mul_f32_e32 v1, v19, v140
	v_mul_f32_e32 v71, v18, v140
	v_fma_f32 v70, v18, v139, -v1
	s_waitcnt vmcnt(15)
	v_mov_b32_e32 v18, v69
	v_fmac_f32_e32 v71, v19, v139
	v_pk_mul_f32 v[18:19], v[20:21], v[18:19] op_sel_hi:[1,0]
	v_mul_f32_e32 v67, v60, v138
	ds_read_b128 v[2:5], v86 offset:960
	ds_read_b128 v[6:9], v86 offset:976
	;; [unrolled: 1-line block ×3, first 2 shown]
	ds_read_b64 v[14:15], v86 offset:1008
	s_waitcnt vmcnt(14)
	v_pk_fma_f32 v[22:23], v[20:21], v[68:69], v[18:19] op_sel:[0,0,1] op_sel_hi:[1,1,0] neg_lo:[0,0,1] neg_hi:[0,0,1]
	v_pk_fma_f32 v[18:19], v[20:21], v[68:69], v[18:19] op_sel:[0,0,1] op_sel_hi:[1,0,0]
	v_fmac_f32_e32 v67, v61, v137
	s_waitcnt vmcnt(13)
	v_mov_b32_e32 v18, v85
	v_pk_add_f32 v[16:17], v[64:65], v[66:67]
	v_mov_b32_e32 v23, v19
	s_waitcnt lgkmcnt(3)
	v_pk_mul_f32 v[18:19], v[2:3], v[18:19] op_sel_hi:[1,0]
	v_pk_add_f32 v[16:17], v[16:17], v[70:71]
	s_waitcnt vmcnt(12)
	v_pk_fma_f32 v[20:21], v[2:3], v[84:85], v[18:19] op_sel:[0,0,1] op_sel_hi:[1,1,0] neg_lo:[0,0,1] neg_hi:[0,0,1]
	v_pk_fma_f32 v[2:3], v[2:3], v[84:85], v[18:19] op_sel:[0,0,1] op_sel_hi:[1,0,0]
	v_pk_add_f32 v[16:17], v[16:17], v[22:23]
	v_mov_b32_e32 v21, v3
	v_pk_add_f32 v[2:3], v[16:17], v[20:21]
	s_waitcnt vmcnt(11)
	v_mov_b32_e32 v16, v83
	v_pk_mul_f32 v[16:17], v[4:5], v[16:17] op_sel_hi:[1,0]
	s_waitcnt vmcnt(10)
	v_pk_fma_f32 v[18:19], v[4:5], v[82:83], v[16:17] op_sel:[0,0,1] op_sel_hi:[1,1,0] neg_lo:[0,0,1] neg_hi:[0,0,1]
	v_pk_fma_f32 v[4:5], v[4:5], v[82:83], v[16:17] op_sel:[0,0,1] op_sel_hi:[1,0,0]
	s_waitcnt vmcnt(9)
	v_mov_b32_e32 v4, v81
	v_mov_b32_e32 v19, v5
	s_waitcnt lgkmcnt(2)
	v_pk_mul_f32 v[4:5], v[6:7], v[4:5] op_sel_hi:[1,0]
	s_waitcnt vmcnt(8)
	v_pk_fma_f32 v[16:17], v[6:7], v[80:81], v[4:5] op_sel:[0,0,1] op_sel_hi:[1,1,0] neg_lo:[0,0,1] neg_hi:[0,0,1]
	v_pk_fma_f32 v[4:5], v[6:7], v[80:81], v[4:5] op_sel:[0,0,1] op_sel_hi:[1,0,0]
	s_waitcnt vmcnt(7)
	v_mov_b32_e32 v4, v79
	v_mov_b32_e32 v17, v5
	v_pk_mul_f32 v[4:5], v[8:9], v[4:5] op_sel_hi:[1,0]
	s_waitcnt vmcnt(6)
	v_pk_fma_f32 v[6:7], v[8:9], v[78:79], v[4:5] op_sel:[0,0,1] op_sel_hi:[1,1,0] neg_lo:[0,0,1] neg_hi:[0,0,1]
	v_pk_fma_f32 v[4:5], v[8:9], v[78:79], v[4:5] op_sel:[0,0,1] op_sel_hi:[1,0,0]
	v_pk_add_f32 v[2:3], v[2:3], v[18:19]
	s_waitcnt vmcnt(5)
	v_mov_b32_e32 v4, v77
	v_pk_add_f32 v[2:3], v[2:3], v[16:17]
	v_mov_b32_e32 v7, v5
	s_waitcnt lgkmcnt(1)
	v_pk_mul_f32 v[4:5], v[10:11], v[4:5] op_sel_hi:[1,0]
	v_pk_add_f32 v[2:3], v[2:3], v[6:7]
	s_waitcnt vmcnt(4)
	v_pk_fma_f32 v[6:7], v[10:11], v[76:77], v[4:5] op_sel:[0,0,1] op_sel_hi:[1,1,0] neg_lo:[0,0,1] neg_hi:[0,0,1]
	v_pk_fma_f32 v[4:5], v[10:11], v[76:77], v[4:5] op_sel:[0,0,1] op_sel_hi:[1,0,0]
	s_waitcnt vmcnt(3)
	v_mov_b32_e32 v4, v75
	v_mov_b32_e32 v7, v5
	v_pk_mul_f32 v[4:5], v[12:13], v[4:5] op_sel_hi:[1,0]
	v_pk_add_f32 v[2:3], v[2:3], v[6:7]
	s_waitcnt vmcnt(2)
	v_pk_fma_f32 v[6:7], v[12:13], v[74:75], v[4:5] op_sel:[0,0,1] op_sel_hi:[1,1,0] neg_lo:[0,0,1] neg_hi:[0,0,1]
	v_pk_fma_f32 v[4:5], v[12:13], v[74:75], v[4:5] op_sel:[0,0,1] op_sel_hi:[1,0,0]
	s_waitcnt vmcnt(1)
	v_mov_b32_e32 v4, v73
	v_mov_b32_e32 v7, v5
	s_waitcnt lgkmcnt(0)
	v_pk_mul_f32 v[4:5], v[14:15], v[4:5] op_sel_hi:[1,0]
	v_pk_add_f32 v[2:3], v[2:3], v[6:7]
	s_waitcnt vmcnt(0)
	v_pk_fma_f32 v[6:7], v[14:15], v[72:73], v[4:5] op_sel:[0,0,1] op_sel_hi:[1,1,0] neg_lo:[0,0,1] neg_hi:[0,0,1]
	v_pk_fma_f32 v[4:5], v[14:15], v[72:73], v[4:5] op_sel:[0,0,1] op_sel_hi:[1,0,0]
	v_mov_b32_e32 v7, v5
	v_pk_add_f32 v[2:3], v[2:3], v[6:7]
	v_pk_add_f32 v[2:3], v[62:63], v[2:3] neg_lo:[0,1] neg_hi:[0,1]
	buffer_store_dword v3, off, s[0:3], 0 offset:204
	buffer_store_dword v2, off, s[0:3], 0 offset:200
	s_and_saveexec_b64 s[4:5], vcc
	s_cbranch_execz .LBB62_343
; %bb.342:
	buffer_load_dword v2, off, s[0:3], 0 offset:192
	buffer_load_dword v3, off, s[0:3], 0 offset:196
	s_waitcnt vmcnt(0)
	ds_write_b64 v217, v[2:3]
	buffer_store_dword v86, off, s[0:3], 0 offset:192
	buffer_store_dword v86, off, s[0:3], 0 offset:196
.LBB62_343:
	s_or_b64 exec, exec, s[4:5]
	s_waitcnt lgkmcnt(0)
	; wave barrier
	s_waitcnt lgkmcnt(0)
	buffer_load_dword v1, off, s[0:3], 0 offset:204
	buffer_load_dword v70, off, s[0:3], 0 offset:212
	;; [unrolled: 1-line block ×32, first 2 shown]
	ds_read2_b64 v[16:19], v86 offset0:89 offset1:90
	ds_read2_b64 v[6:9], v86 offset0:91 offset1:92
	buffer_load_dword v117, off, s[0:3], 0 offset:320
	buffer_load_dword v118, off, s[0:3], 0 offset:324
	ds_read2_b64 v[10:13], v86 offset0:93 offset1:94
	ds_read2_b64 v[2:5], v86 offset0:95 offset1:96
	buffer_load_dword v119, off, s[0:3], 0 offset:328
	buffer_load_dword v120, off, s[0:3], 0 offset:332
	;; [unrolled: 1-line block ×28, first 2 shown]
	v_cmp_lt_u32_e32 vcc, 23, v0
	s_waitcnt vmcnt(61) lgkmcnt(3)
	v_mul_f32_e32 v20, v16, v1
	s_waitcnt vmcnt(60)
	v_mul_f32_e32 v21, v18, v70
	s_waitcnt vmcnt(59) lgkmcnt(2)
	v_mul_f32_e32 v23, v8, v72
	s_waitcnt vmcnt(58) lgkmcnt(1)
	v_mul_f32_e32 v24, v10, v74
	s_waitcnt vmcnt(57)
	v_mul_f32_e32 v25, v12, v87
	s_waitcnt vmcnt(56)
	;; [unrolled: 2-line block ×3, first 2 shown]
	v_fmac_f32_e32 v22, v7, v93
	s_waitcnt vmcnt(54)
	v_fmac_f32_e32 v21, v19, v94
	s_waitcnt vmcnt(53)
	v_fmac_f32_e32 v20, v17, v95
	v_add_f32_e32 v20, 0, v20
	v_add_f32_e32 v20, v20, v21
	;; [unrolled: 1-line block ×3, first 2 shown]
	s_waitcnt vmcnt(49)
	v_fmac_f32_e32 v24, v11, v99
	s_waitcnt vmcnt(48)
	v_fmac_f32_e32 v23, v9, v100
	v_add_f32_e32 v20, v20, v23
	s_waitcnt lgkmcnt(0)
	v_mul_f32_e32 v26, v2, v96
	v_fmac_f32_e32 v25, v13, v98
	v_add_f32_e32 v20, v20, v24
	v_fmac_f32_e32 v26, v3, v97
	v_add_f32_e32 v20, v20, v25
	v_add_f32_e32 v24, v20, v26
	ds_read2_b64 v[20:23], v86 offset0:97 offset1:98
	s_waitcnt vmcnt(44)
	v_mul_f32_e32 v25, v4, v104
	s_waitcnt vmcnt(43)
	v_fmac_f32_e32 v25, v5, v105
	v_add_f32_e32 v28, v24, v25
	ds_read2_b64 v[24:27], v86 offset0:99 offset1:100
	s_waitcnt vmcnt(42) lgkmcnt(1)
	v_mul_f32_e32 v29, v20, v106
	v_fmac_f32_e32 v29, v21, v103
	v_add_f32_e32 v28, v28, v29
	s_waitcnt vmcnt(41)
	v_mul_f32_e32 v29, v22, v107
	v_fmac_f32_e32 v29, v23, v102
	v_add_f32_e32 v28, v28, v29
	s_waitcnt vmcnt(40) lgkmcnt(0)
	v_mul_f32_e32 v29, v24, v108
	v_fmac_f32_e32 v29, v25, v101
	v_add_f32_e32 v32, v28, v29
	ds_read2_b64 v[28:31], v86 offset0:101 offset1:102
	s_waitcnt vmcnt(34)
	v_mul_f32_e32 v33, v26, v114
	s_waitcnt vmcnt(33)
	v_fmac_f32_e32 v33, v27, v115
	v_add_f32_e32 v36, v32, v33
	ds_read2_b64 v[32:35], v86 offset0:103 offset1:104
	s_waitcnt vmcnt(32) lgkmcnt(1)
	v_mul_f32_e32 v37, v28, v116
	v_fmac_f32_e32 v37, v29, v113
	v_add_f32_e32 v36, v36, v37
	v_mul_f32_e32 v37, v30, v110
	v_fmac_f32_e32 v37, v31, v109
	v_add_f32_e32 v36, v36, v37
	s_waitcnt lgkmcnt(0)
	v_mul_f32_e32 v37, v32, v112
	v_fmac_f32_e32 v37, v33, v111
	v_add_f32_e32 v40, v36, v37
	ds_read2_b64 v[36:39], v86 offset0:105 offset1:106
	s_waitcnt vmcnt(28)
	v_mul_f32_e32 v41, v34, v118
	v_fmac_f32_e32 v41, v35, v117
	v_add_f32_e32 v44, v40, v41
	ds_read2_b64 v[40:43], v86 offset0:107 offset1:108
	s_waitcnt vmcnt(26) lgkmcnt(1)
	v_mul_f32_e32 v45, v36, v120
	v_fmac_f32_e32 v45, v37, v119
	v_add_f32_e32 v44, v44, v45
	s_waitcnt vmcnt(24)
	v_mul_f32_e32 v45, v38, v122
	v_fmac_f32_e32 v45, v39, v121
	v_add_f32_e32 v44, v44, v45
	s_waitcnt vmcnt(22) lgkmcnt(0)
	v_mul_f32_e32 v45, v40, v124
	v_fmac_f32_e32 v45, v41, v123
	v_add_f32_e32 v48, v44, v45
	ds_read2_b64 v[44:47], v86 offset0:109 offset1:110
	s_waitcnt vmcnt(20)
	v_mul_f32_e32 v49, v42, v126
	v_fmac_f32_e32 v49, v43, v125
	v_add_f32_e32 v52, v48, v49
	ds_read2_b64 v[48:51], v86 offset0:111 offset1:112
	s_waitcnt vmcnt(18) lgkmcnt(1)
	v_mul_f32_e32 v53, v44, v128
	v_fmac_f32_e32 v53, v45, v127
	v_add_f32_e32 v52, v52, v53
	s_waitcnt vmcnt(16)
	v_mul_f32_e32 v53, v46, v130
	v_fmac_f32_e32 v53, v47, v129
	v_add_f32_e32 v52, v52, v53
	s_waitcnt vmcnt(14) lgkmcnt(0)
	v_mul_f32_e32 v53, v48, v132
	v_fmac_f32_e32 v53, v49, v131
	v_add_f32_e32 v56, v52, v53
	ds_read2_b64 v[52:55], v86 offset0:113 offset1:114
	s_waitcnt vmcnt(12)
	v_mul_f32_e32 v57, v50, v134
	v_fmac_f32_e32 v57, v51, v133
	v_add_f32_e32 v60, v56, v57
	ds_read2_b64 v[56:59], v86 offset0:115 offset1:116
	buffer_load_dword v69, off, s[0:3], 0 offset:444
	buffer_load_dword v68, off, s[0:3], 0 offset:440
	s_waitcnt vmcnt(12) lgkmcnt(1)
	v_mul_f32_e32 v61, v52, v136
	v_fmac_f32_e32 v61, v53, v135
	v_add_f32_e32 v60, v60, v61
	s_waitcnt vmcnt(10)
	v_mul_f32_e32 v61, v54, v138
	v_fmac_f32_e32 v61, v55, v137
	v_add_f32_e32 v60, v60, v61
	s_waitcnt vmcnt(8) lgkmcnt(0)
	v_mul_f32_e32 v61, v56, v140
	v_fmac_f32_e32 v61, v57, v139
	s_waitcnt vmcnt(6)
	v_mul_f32_e32 v65, v58, v142
	v_add_f32_e32 v64, v60, v61
	v_fmac_f32_e32 v65, v59, v141
	ds_read2_b64 v[60:63], v86 offset0:117 offset1:118
	v_add_f32_e32 v71, v64, v65
	ds_read2_b64 v[64:67], v86 offset0:119 offset1:120
	buffer_load_dword v77, off, s[0:3], 0 offset:476
	buffer_load_dword v76, off, s[0:3], 0 offset:472
	;; [unrolled: 1-line block ×14, first 2 shown]
	v_mul_f32_e32 v1, v17, v1
	v_fma_f32 v1, v16, v95, -v1
	v_mul_f32_e32 v16, v19, v70
	v_add_f32_e32 v1, 0, v1
	v_fma_f32 v16, v18, v94, -v16
	v_mul_f32_e32 v7, v7, v92
	v_add_f32_e32 v1, v1, v16
	v_fma_f32 v6, v6, v93, -v7
	v_add_f32_e32 v1, v1, v6
	v_mul_f32_e32 v6, v9, v72
	v_fma_f32 v6, v8, v100, -v6
	v_add_f32_e32 v1, v1, v6
	v_mul_f32_e32 v6, v11, v74
	;; [unrolled: 3-line block ×3, first 2 shown]
	v_fma_f32 v6, v12, v98, -v6
	v_mul_f32_e32 v3, v3, v96
	v_add_f32_e32 v1, v1, v6
	v_fma_f32 v2, v2, v97, -v3
	v_add_f32_e32 v1, v1, v2
	v_mul_f32_e32 v2, v5, v104
	v_fma_f32 v2, v4, v105, -v2
	v_add_f32_e32 v1, v1, v2
	v_mul_f32_e32 v2, v21, v106
	;; [unrolled: 3-line block ×21, first 2 shown]
	v_fma_f32 v2, v58, v141, -v2
	s_waitcnt vmcnt(15)
	v_mov_b32_e32 v18, v69
	s_waitcnt lgkmcnt(1)
	v_mul_f32_e32 v73, v60, v144
	v_add_f32_e32 v70, v1, v2
	v_mul_f32_e32 v1, v61, v144
	s_waitcnt lgkmcnt(0)
	v_pk_mul_f32 v[18:19], v[64:65], v[18:19] op_sel_hi:[1,0]
	v_fmac_f32_e32 v73, v61, v143
	v_mul_f32_e32 v75, v62, v146
	v_fma_f32 v72, v60, v143, -v1
	v_mul_f32_e32 v1, v63, v146
	s_waitcnt vmcnt(14)
	v_pk_fma_f32 v[20:21], v[64:65], v[68:69], v[18:19] op_sel:[0,0,1] op_sel_hi:[1,1,0] neg_lo:[0,0,1] neg_hi:[0,0,1]
	v_pk_fma_f32 v[18:19], v[64:65], v[68:69], v[18:19] op_sel:[0,0,1] op_sel_hi:[1,0,0]
	v_fmac_f32_e32 v75, v63, v145
	v_fma_f32 v74, v62, v145, -v1
	v_pk_add_f32 v[16:17], v[70:71], v[72:73]
	s_waitcnt vmcnt(7)
	v_mov_b32_e32 v18, v83
	ds_read2_b64 v[2:5], v86 offset0:121 offset1:122
	ds_read2_b64 v[6:9], v86 offset0:123 offset1:124
	;; [unrolled: 1-line block ×3, first 2 shown]
	v_pk_add_f32 v[16:17], v[16:17], v[74:75]
	v_mov_b32_e32 v21, v19
	v_pk_mul_f32 v[18:19], v[66:67], v[18:19] op_sel_hi:[1,0]
	v_pk_add_f32 v[16:17], v[16:17], v[20:21]
	s_waitcnt vmcnt(6)
	v_pk_fma_f32 v[20:21], v[66:67], v[82:83], v[18:19] op_sel:[0,0,1] op_sel_hi:[1,1,0] neg_lo:[0,0,1] neg_hi:[0,0,1]
	v_pk_fma_f32 v[18:19], v[66:67], v[82:83], v[18:19] op_sel:[0,0,1] op_sel_hi:[1,0,0]
	v_mov_b32_e32 v18, v81
	v_mov_b32_e32 v21, v19
	s_waitcnt lgkmcnt(2)
	v_pk_mul_f32 v[18:19], v[2:3], v[18:19] op_sel_hi:[1,0]
	v_pk_add_f32 v[16:17], v[16:17], v[20:21]
	v_pk_fma_f32 v[20:21], v[2:3], v[80:81], v[18:19] op_sel:[0,0,1] op_sel_hi:[1,1,0] neg_lo:[0,0,1] neg_hi:[0,0,1]
	v_pk_fma_f32 v[2:3], v[2:3], v[80:81], v[18:19] op_sel:[0,0,1] op_sel_hi:[1,0,0]
	v_mov_b32_e32 v21, v3
	v_pk_add_f32 v[2:3], v[16:17], v[20:21]
	v_mov_b32_e32 v16, v79
	v_pk_mul_f32 v[16:17], v[4:5], v[16:17] op_sel_hi:[1,0]
	v_pk_fma_f32 v[18:19], v[4:5], v[78:79], v[16:17] op_sel:[0,0,1] op_sel_hi:[1,1,0] neg_lo:[0,0,1] neg_hi:[0,0,1]
	v_pk_fma_f32 v[4:5], v[4:5], v[78:79], v[16:17] op_sel:[0,0,1] op_sel_hi:[1,0,0]
	v_mov_b32_e32 v4, v77
	v_mov_b32_e32 v19, v5
	s_waitcnt lgkmcnt(1)
	v_pk_mul_f32 v[4:5], v[6:7], v[4:5] op_sel_hi:[1,0]
	v_pk_fma_f32 v[16:17], v[6:7], v[76:77], v[4:5] op_sel:[0,0,1] op_sel_hi:[1,1,0] neg_lo:[0,0,1] neg_hi:[0,0,1]
	v_pk_fma_f32 v[4:5], v[6:7], v[76:77], v[4:5] op_sel:[0,0,1] op_sel_hi:[1,0,0]
	s_waitcnt vmcnt(1)
	v_mov_b32_e32 v4, v91
	v_mov_b32_e32 v17, v5
	v_pk_mul_f32 v[4:5], v[8:9], v[4:5] op_sel_hi:[1,0]
	s_waitcnt vmcnt(0)
	v_pk_fma_f32 v[6:7], v[8:9], v[90:91], v[4:5] op_sel:[0,0,1] op_sel_hi:[1,1,0] neg_lo:[0,0,1] neg_hi:[0,0,1]
	v_pk_fma_f32 v[4:5], v[8:9], v[90:91], v[4:5] op_sel:[0,0,1] op_sel_hi:[1,0,0]
	v_pk_add_f32 v[2:3], v[2:3], v[18:19]
	v_mov_b32_e32 v4, v89
	v_pk_add_f32 v[2:3], v[2:3], v[16:17]
	v_mov_b32_e32 v7, v5
	s_waitcnt lgkmcnt(0)
	v_pk_mul_f32 v[4:5], v[10:11], v[4:5] op_sel_hi:[1,0]
	v_pk_add_f32 v[2:3], v[2:3], v[6:7]
	v_pk_fma_f32 v[6:7], v[10:11], v[88:89], v[4:5] op_sel:[0,0,1] op_sel_hi:[1,1,0] neg_lo:[0,0,1] neg_hi:[0,0,1]
	v_pk_fma_f32 v[4:5], v[10:11], v[88:89], v[4:5] op_sel:[0,0,1] op_sel_hi:[1,0,0]
	v_mov_b32_e32 v4, v85
	v_mov_b32_e32 v7, v5
	v_pk_mul_f32 v[4:5], v[12:13], v[4:5] op_sel_hi:[1,0]
	v_pk_add_f32 v[2:3], v[2:3], v[6:7]
	v_pk_fma_f32 v[6:7], v[12:13], v[84:85], v[4:5] op_sel:[0,0,1] op_sel_hi:[1,1,0] neg_lo:[0,0,1] neg_hi:[0,0,1]
	v_pk_fma_f32 v[4:5], v[12:13], v[84:85], v[4:5] op_sel:[0,0,1] op_sel_hi:[1,0,0]
	v_mov_b32_e32 v7, v5
	v_pk_add_f32 v[2:3], v[2:3], v[6:7]
	v_pk_add_f32 v[2:3], v[14:15], v[2:3] neg_lo:[0,1] neg_hi:[0,1]
	buffer_store_dword v3, off, s[0:3], 0 offset:196
	buffer_store_dword v2, off, s[0:3], 0 offset:192
	s_and_saveexec_b64 s[4:5], vcc
	s_cbranch_execz .LBB62_345
; %bb.344:
	buffer_load_dword v2, off, s[0:3], 0 offset:184
	buffer_load_dword v3, off, s[0:3], 0 offset:188
	v_mov_b32_e32 v1, 0
	buffer_store_dword v1, off, s[0:3], 0 offset:184
	buffer_store_dword v1, off, s[0:3], 0 offset:188
	s_waitcnt vmcnt(2)
	ds_write_b64 v217, v[2:3]
.LBB62_345:
	s_or_b64 exec, exec, s[4:5]
	s_waitcnt lgkmcnt(0)
	; wave barrier
	s_waitcnt lgkmcnt(0)
	buffer_load_dword v68, off, s[0:3], 0 offset:196
	buffer_load_dword v70, off, s[0:3], 0 offset:204
	;; [unrolled: 1-line block ×48, first 2 shown]
	v_mov_b32_e32 v1, 0
	ds_read_b128 v[2:5], v1 offset:704
	buffer_load_dword v133, off, s[0:3], 0 offset:376
	buffer_load_dword v134, off, s[0:3], 0 offset:380
	;; [unrolled: 1-line block ×8, first 2 shown]
	ds_read_b128 v[8:11], v1 offset:720
	ds_read_b128 v[12:15], v1 offset:736
	;; [unrolled: 1-line block ×3, first 2 shown]
	buffer_load_dword v141, off, s[0:3], 0 offset:408
	buffer_load_dword v142, off, s[0:3], 0 offset:412
	;; [unrolled: 1-line block ×8, first 2 shown]
	v_cmp_lt_u32_e32 vcc, 22, v0
	s_waitcnt vmcnt(62) lgkmcnt(3)
	v_mul_f32_e32 v20, v2, v68
	v_mul_f32_e32 v21, v4, v70
	s_waitcnt vmcnt(61) lgkmcnt(2)
	v_mul_f32_e32 v23, v10, v72
	s_waitcnt vmcnt(60) lgkmcnt(1)
	v_mul_f32_e32 v24, v12, v90
	s_waitcnt vmcnt(59)
	v_mul_f32_e32 v25, v14, v91
	s_waitcnt vmcnt(58)
	;; [unrolled: 2-line block ×3, first 2 shown]
	v_fmac_f32_e32 v22, v9, v93
	s_waitcnt vmcnt(56)
	v_fmac_f32_e32 v21, v5, v94
	s_waitcnt vmcnt(55)
	v_fmac_f32_e32 v20, v3, v95
	v_add_f32_e32 v20, 0, v20
	v_add_f32_e32 v20, v20, v21
	;; [unrolled: 1-line block ×3, first 2 shown]
	s_waitcnt vmcnt(51)
	v_fmac_f32_e32 v24, v13, v99
	s_waitcnt vmcnt(50)
	v_fmac_f32_e32 v23, v11, v100
	v_add_f32_e32 v20, v20, v23
	s_waitcnt lgkmcnt(0)
	v_mul_f32_e32 v26, v16, v96
	v_fmac_f32_e32 v25, v15, v98
	v_add_f32_e32 v20, v20, v24
	v_fmac_f32_e32 v26, v17, v97
	v_add_f32_e32 v20, v20, v25
	v_add_f32_e32 v24, v20, v26
	ds_read_b128 v[20:23], v1 offset:768
	s_waitcnt vmcnt(45)
	v_mul_f32_e32 v25, v18, v105
	s_waitcnt vmcnt(44)
	v_fmac_f32_e32 v25, v19, v106
	v_add_f32_e32 v28, v24, v25
	ds_read_b128 v[24:27], v1 offset:784
	s_waitcnt vmcnt(43) lgkmcnt(1)
	v_mul_f32_e32 v29, v20, v107
	v_fmac_f32_e32 v29, v21, v104
	v_add_f32_e32 v28, v28, v29
	s_waitcnt vmcnt(42)
	v_mul_f32_e32 v29, v22, v108
	v_fmac_f32_e32 v29, v23, v103
	v_add_f32_e32 v28, v28, v29
	s_waitcnt lgkmcnt(0)
	v_mul_f32_e32 v29, v24, v102
	v_fmac_f32_e32 v29, v25, v101
	v_add_f32_e32 v32, v28, v29
	ds_read_b128 v[28:31], v1 offset:800
	s_waitcnt vmcnt(38)
	v_mul_f32_e32 v33, v26, v110
	v_fmac_f32_e32 v33, v27, v109
	v_add_f32_e32 v36, v32, v33
	ds_read_b128 v[32:35], v1 offset:816
	s_waitcnt vmcnt(36) lgkmcnt(1)
	v_mul_f32_e32 v37, v28, v112
	v_fmac_f32_e32 v37, v29, v111
	v_add_f32_e32 v36, v36, v37
	s_waitcnt vmcnt(34)
	v_mul_f32_e32 v37, v30, v114
	v_fmac_f32_e32 v37, v31, v113
	v_add_f32_e32 v36, v36, v37
	s_waitcnt vmcnt(32) lgkmcnt(0)
	v_mul_f32_e32 v37, v32, v116
	v_fmac_f32_e32 v37, v33, v115
	v_add_f32_e32 v40, v36, v37
	ds_read_b128 v[36:39], v1 offset:832
	s_waitcnt vmcnt(30)
	v_mul_f32_e32 v41, v34, v118
	v_fmac_f32_e32 v41, v35, v117
	v_add_f32_e32 v44, v40, v41
	ds_read_b128 v[40:43], v1 offset:848
	s_waitcnt vmcnt(28) lgkmcnt(1)
	v_mul_f32_e32 v45, v36, v120
	v_fmac_f32_e32 v45, v37, v119
	v_add_f32_e32 v44, v44, v45
	s_waitcnt vmcnt(26)
	v_mul_f32_e32 v45, v38, v122
	v_fmac_f32_e32 v45, v39, v121
	v_add_f32_e32 v44, v44, v45
	s_waitcnt vmcnt(24) lgkmcnt(0)
	;; [unrolled: 18-line block ×4, first 2 shown]
	v_mul_f32_e32 v61, v56, v140
	v_fmac_f32_e32 v61, v57, v139
	s_waitcnt vmcnt(6)
	v_mul_f32_e32 v65, v58, v142
	v_add_f32_e32 v64, v60, v61
	v_fmac_f32_e32 v65, v59, v141
	ds_read_b128 v[60:63], v1 offset:928
	v_add_f32_e32 v69, v64, v65
	ds_read_b128 v[64:67], v1 offset:944
	buffer_load_dword v75, off, s[0:3], 0 offset:468
	buffer_load_dword v74, off, s[0:3], 0 offset:464
	;; [unrolled: 1-line block ×16, first 2 shown]
	v_mul_f32_e32 v3, v3, v68
	v_fma_f32 v2, v2, v95, -v3
	v_mul_f32_e32 v3, v5, v70
	v_add_f32_e32 v2, 0, v2
	v_fma_f32 v3, v4, v94, -v3
	v_add_f32_e32 v2, v2, v3
	v_mul_f32_e32 v3, v9, v92
	v_fma_f32 v3, v8, v93, -v3
	v_add_f32_e32 v2, v2, v3
	v_mul_f32_e32 v3, v11, v72
	;; [unrolled: 3-line block ×26, first 2 shown]
	v_fma_f32 v3, v58, v141, -v3
	v_add_f32_e32 v2, v2, v3
	s_waitcnt vmcnt(20) lgkmcnt(1)
	v_mul_f32_e32 v3, v61, v144
	v_mul_f32_e32 v71, v60, v144
	v_fma_f32 v3, v60, v143, -v3
	v_fmac_f32_e32 v71, v61, v143
	v_add_f32_e32 v68, v2, v3
	s_waitcnt vmcnt(18)
	v_mul_f32_e32 v2, v63, v146
	s_waitcnt vmcnt(9)
	v_mov_b32_e32 v20, v81
	v_add_f32_e32 v69, v69, v71
	v_mul_f32_e32 v71, v62, v146
	v_fma_f32 v70, v62, v145, -v2
	s_waitcnt lgkmcnt(0)
	v_mul_f32_e32 v2, v65, v148
	v_pk_mul_f32 v[20:21], v[66:67], v[20:21] op_sel_hi:[1,0]
	v_fmac_f32_e32 v71, v63, v145
	v_mul_f32_e32 v73, v64, v148
	v_fma_f32 v72, v64, v147, -v2
	ds_read_b128 v[2:5], v1 offset:960
	ds_read_b128 v[8:11], v1 offset:976
	;; [unrolled: 1-line block ×3, first 2 shown]
	ds_read_b64 v[16:17], v1 offset:1008
	s_waitcnt vmcnt(8)
	v_pk_fma_f32 v[22:23], v[66:67], v[80:81], v[20:21] op_sel:[0,0,1] op_sel_hi:[1,1,0] neg_lo:[0,0,1] neg_hi:[0,0,1]
	v_pk_fma_f32 v[20:21], v[66:67], v[80:81], v[20:21] op_sel:[0,0,1] op_sel_hi:[1,0,0]
	v_fmac_f32_e32 v73, v65, v147
	v_pk_add_f32 v[18:19], v[68:69], v[70:71]
	v_mov_b32_e32 v20, v79
	v_pk_add_f32 v[18:19], v[18:19], v[72:73]
	v_mov_b32_e32 v23, v21
	s_waitcnt lgkmcnt(3)
	v_pk_mul_f32 v[20:21], v[2:3], v[20:21] op_sel_hi:[1,0]
	v_pk_add_f32 v[18:19], v[18:19], v[22:23]
	v_pk_fma_f32 v[22:23], v[2:3], v[78:79], v[20:21] op_sel:[0,0,1] op_sel_hi:[1,1,0] neg_lo:[0,0,1] neg_hi:[0,0,1]
	v_pk_fma_f32 v[2:3], v[2:3], v[78:79], v[20:21] op_sel:[0,0,1] op_sel_hi:[1,0,0]
	v_mov_b32_e32 v23, v3
	v_pk_add_f32 v[2:3], v[18:19], v[22:23]
	v_mov_b32_e32 v18, v77
	v_pk_mul_f32 v[18:19], v[4:5], v[18:19] op_sel_hi:[1,0]
	v_pk_fma_f32 v[20:21], v[4:5], v[76:77], v[18:19] op_sel:[0,0,1] op_sel_hi:[1,1,0] neg_lo:[0,0,1] neg_hi:[0,0,1]
	v_pk_fma_f32 v[4:5], v[4:5], v[76:77], v[18:19] op_sel:[0,0,1] op_sel_hi:[1,0,0]
	v_mov_b32_e32 v4, v75
	v_mov_b32_e32 v21, v5
	s_waitcnt lgkmcnt(2)
	v_pk_mul_f32 v[4:5], v[8:9], v[4:5] op_sel_hi:[1,0]
	v_pk_fma_f32 v[18:19], v[8:9], v[74:75], v[4:5] op_sel:[0,0,1] op_sel_hi:[1,1,0] neg_lo:[0,0,1] neg_hi:[0,0,1]
	v_pk_fma_f32 v[4:5], v[8:9], v[74:75], v[4:5] op_sel:[0,0,1] op_sel_hi:[1,0,0]
	s_waitcnt vmcnt(1)
	v_mov_b32_e32 v4, v89
	v_mov_b32_e32 v19, v5
	v_pk_mul_f32 v[4:5], v[10:11], v[4:5] op_sel_hi:[1,0]
	s_waitcnt vmcnt(0)
	v_pk_fma_f32 v[8:9], v[10:11], v[88:89], v[4:5] op_sel:[0,0,1] op_sel_hi:[1,1,0] neg_lo:[0,0,1] neg_hi:[0,0,1]
	v_pk_fma_f32 v[4:5], v[10:11], v[88:89], v[4:5] op_sel:[0,0,1] op_sel_hi:[1,0,0]
	v_pk_add_f32 v[2:3], v[2:3], v[20:21]
	v_mov_b32_e32 v4, v87
	v_pk_add_f32 v[2:3], v[2:3], v[18:19]
	v_mov_b32_e32 v9, v5
	s_waitcnt lgkmcnt(1)
	v_pk_mul_f32 v[4:5], v[12:13], v[4:5] op_sel_hi:[1,0]
	v_pk_add_f32 v[2:3], v[2:3], v[8:9]
	v_pk_fma_f32 v[8:9], v[12:13], v[86:87], v[4:5] op_sel:[0,0,1] op_sel_hi:[1,1,0] neg_lo:[0,0,1] neg_hi:[0,0,1]
	v_pk_fma_f32 v[4:5], v[12:13], v[86:87], v[4:5] op_sel:[0,0,1] op_sel_hi:[1,0,0]
	v_mov_b32_e32 v4, v85
	v_mov_b32_e32 v9, v5
	v_pk_mul_f32 v[4:5], v[14:15], v[4:5] op_sel_hi:[1,0]
	v_pk_add_f32 v[2:3], v[2:3], v[8:9]
	v_pk_fma_f32 v[8:9], v[14:15], v[84:85], v[4:5] op_sel:[0,0,1] op_sel_hi:[1,1,0] neg_lo:[0,0,1] neg_hi:[0,0,1]
	v_pk_fma_f32 v[4:5], v[14:15], v[84:85], v[4:5] op_sel:[0,0,1] op_sel_hi:[1,0,0]
	v_mov_b32_e32 v4, v83
	v_mov_b32_e32 v9, v5
	s_waitcnt lgkmcnt(0)
	v_pk_mul_f32 v[4:5], v[16:17], v[4:5] op_sel_hi:[1,0]
	v_pk_add_f32 v[2:3], v[2:3], v[8:9]
	v_pk_fma_f32 v[8:9], v[16:17], v[82:83], v[4:5] op_sel:[0,0,1] op_sel_hi:[1,1,0] neg_lo:[0,0,1] neg_hi:[0,0,1]
	v_pk_fma_f32 v[4:5], v[16:17], v[82:83], v[4:5] op_sel:[0,0,1] op_sel_hi:[1,0,0]
	v_mov_b32_e32 v9, v5
	v_pk_add_f32 v[2:3], v[2:3], v[8:9]
	v_pk_add_f32 v[2:3], v[6:7], v[2:3] neg_lo:[0,1] neg_hi:[0,1]
	buffer_store_dword v3, off, s[0:3], 0 offset:188
	buffer_store_dword v2, off, s[0:3], 0 offset:184
	s_and_saveexec_b64 s[4:5], vcc
	s_cbranch_execz .LBB62_347
; %bb.346:
	buffer_load_dword v2, off, s[0:3], 0 offset:176
	buffer_load_dword v3, off, s[0:3], 0 offset:180
	s_waitcnt vmcnt(0)
	ds_write_b64 v217, v[2:3]
	buffer_store_dword v1, off, s[0:3], 0 offset:176
	buffer_store_dword v1, off, s[0:3], 0 offset:180
.LBB62_347:
	s_or_b64 exec, exec, s[4:5]
	s_waitcnt lgkmcnt(0)
	; wave barrier
	s_waitcnt lgkmcnt(0)
	buffer_load_dword v68, off, s[0:3], 0 offset:188
	buffer_load_dword v70, off, s[0:3], 0 offset:196
	;; [unrolled: 1-line block ×26, first 2 shown]
	ds_read2_b64 v[14:17], v1 offset0:87 offset1:88
	ds_read2_b64 v[6:9], v1 offset0:89 offset1:90
	buffer_load_dword v111, off, s[0:3], 0 offset:280
	buffer_load_dword v112, off, s[0:3], 0 offset:284
	ds_read2_b64 v[10:13], v1 offset0:91 offset1:92
	ds_read2_b64 v[2:5], v1 offset0:93 offset1:94
	buffer_load_dword v113, off, s[0:3], 0 offset:288
	buffer_load_dword v114, off, s[0:3], 0 offset:292
	buffer_load_dword v115, off, s[0:3], 0 offset:296
	buffer_load_dword v116, off, s[0:3], 0 offset:300
	buffer_load_dword v117, off, s[0:3], 0 offset:304
	buffer_load_dword v118, off, s[0:3], 0 offset:308
	buffer_load_dword v119, off, s[0:3], 0 offset:312
	buffer_load_dword v120, off, s[0:3], 0 offset:316
	buffer_load_dword v121, off, s[0:3], 0 offset:320
	buffer_load_dword v122, off, s[0:3], 0 offset:324
	buffer_load_dword v123, off, s[0:3], 0 offset:328
	buffer_load_dword v124, off, s[0:3], 0 offset:332
	buffer_load_dword v125, off, s[0:3], 0 offset:336
	buffer_load_dword v126, off, s[0:3], 0 offset:340
	buffer_load_dword v127, off, s[0:3], 0 offset:344
	buffer_load_dword v128, off, s[0:3], 0 offset:348
	buffer_load_dword v129, off, s[0:3], 0 offset:352
	buffer_load_dword v130, off, s[0:3], 0 offset:356
	buffer_load_dword v131, off, s[0:3], 0 offset:360
	buffer_load_dword v132, off, s[0:3], 0 offset:364
	buffer_load_dword v133, off, s[0:3], 0 offset:368
	buffer_load_dword v134, off, s[0:3], 0 offset:372
	buffer_load_dword v135, off, s[0:3], 0 offset:376
	buffer_load_dword v136, off, s[0:3], 0 offset:380
	buffer_load_dword v137, off, s[0:3], 0 offset:384
	buffer_load_dword v138, off, s[0:3], 0 offset:388
	buffer_load_dword v139, off, s[0:3], 0 offset:392
	buffer_load_dword v140, off, s[0:3], 0 offset:396
	buffer_load_dword v141, off, s[0:3], 0 offset:400
	buffer_load_dword v142, off, s[0:3], 0 offset:404
	buffer_load_dword v143, off, s[0:3], 0 offset:408
	buffer_load_dword v144, off, s[0:3], 0 offset:412
	v_cmp_lt_u32_e32 vcc, 21, v0
	s_waitcnt vmcnt(59) lgkmcnt(3)
	v_mul_f32_e32 v20, v14, v68
	s_waitcnt vmcnt(58)
	v_mul_f32_e32 v21, v16, v70
	s_waitcnt vmcnt(57) lgkmcnt(2)
	v_mul_f32_e32 v23, v8, v78
	s_waitcnt vmcnt(56) lgkmcnt(1)
	v_mul_f32_e32 v24, v10, v90
	s_waitcnt vmcnt(55)
	v_mul_f32_e32 v25, v12, v91
	s_waitcnt vmcnt(54)
	v_mul_f32_e32 v22, v6, v92
	s_waitcnt vmcnt(53) lgkmcnt(0)
	v_mul_f32_e32 v26, v2, v93
	s_waitcnt vmcnt(52)
	v_mul_f32_e32 v27, v4, v94
	s_waitcnt vmcnt(51)
	v_fmac_f32_e32 v22, v7, v95
	s_waitcnt vmcnt(50)
	v_fmac_f32_e32 v21, v17, v96
	;; [unrolled: 2-line block ×3, first 2 shown]
	v_add_f32_e32 v20, 0, v20
	v_add_f32_e32 v20, v20, v21
	;; [unrolled: 1-line block ×3, first 2 shown]
	s_waitcnt vmcnt(45)
	v_fmac_f32_e32 v23, v9, v101
	v_fmac_f32_e32 v24, v11, v100
	v_add_f32_e32 v20, v20, v23
	v_fmac_f32_e32 v25, v13, v99
	v_add_f32_e32 v20, v20, v24
	;; [unrolled: 2-line block ×3, first 2 shown]
	v_add_f32_e32 v24, v20, v26
	ds_read2_b64 v[20:23], v1 offset0:95 offset1:96
	s_waitcnt vmcnt(41)
	v_fmac_f32_e32 v27, v5, v105
	buffer_load_dword v145, off, s[0:3], 0 offset:416
	buffer_load_dword v146, off, s[0:3], 0 offset:420
	v_add_f32_e32 v28, v24, v27
	buffer_load_dword v147, off, s[0:3], 0 offset:424
	buffer_load_dword v148, off, s[0:3], 0 offset:428
	ds_read2_b64 v[24:27], v1 offset0:97 offset1:98
	s_waitcnt vmcnt(44) lgkmcnt(1)
	v_mul_f32_e32 v29, v20, v106
	v_fmac_f32_e32 v29, v21, v104
	v_add_f32_e32 v28, v28, v29
	s_waitcnt vmcnt(43)
	v_mul_f32_e32 v29, v22, v107
	v_fmac_f32_e32 v29, v23, v103
	v_add_f32_e32 v28, v28, v29
	s_waitcnt vmcnt(42) lgkmcnt(0)
	v_mul_f32_e32 v29, v24, v108
	v_fmac_f32_e32 v29, v25, v102
	buffer_load_dword v149, off, s[0:3], 0 offset:432
	buffer_load_dword v150, off, s[0:3], 0 offset:436
	v_add_f32_e32 v32, v28, v29
	ds_read2_b64 v[28:31], v1 offset0:99 offset1:100
	s_waitcnt vmcnt(40)
	v_mul_f32_e32 v33, v26, v110
	v_fmac_f32_e32 v33, v27, v109
	v_add_f32_e32 v36, v32, v33
	ds_read2_b64 v[32:35], v1 offset0:101 offset1:102
	s_waitcnt vmcnt(38) lgkmcnt(1)
	v_mul_f32_e32 v37, v28, v112
	v_fmac_f32_e32 v37, v29, v111
	v_add_f32_e32 v36, v36, v37
	s_waitcnt vmcnt(36)
	v_mul_f32_e32 v37, v30, v114
	v_fmac_f32_e32 v37, v31, v113
	v_add_f32_e32 v36, v36, v37
	s_waitcnt vmcnt(34) lgkmcnt(0)
	v_mul_f32_e32 v37, v32, v116
	v_fmac_f32_e32 v37, v33, v115
	v_add_f32_e32 v40, v36, v37
	ds_read2_b64 v[36:39], v1 offset0:103 offset1:104
	s_waitcnt vmcnt(32)
	v_mul_f32_e32 v41, v34, v118
	v_fmac_f32_e32 v41, v35, v117
	v_add_f32_e32 v44, v40, v41
	ds_read2_b64 v[40:43], v1 offset0:105 offset1:106
	s_waitcnt vmcnt(30) lgkmcnt(1)
	v_mul_f32_e32 v45, v36, v120
	v_fmac_f32_e32 v45, v37, v119
	v_add_f32_e32 v44, v44, v45
	s_waitcnt vmcnt(28)
	v_mul_f32_e32 v45, v38, v122
	v_fmac_f32_e32 v45, v39, v121
	v_add_f32_e32 v44, v44, v45
	s_waitcnt vmcnt(26) lgkmcnt(0)
	v_mul_f32_e32 v45, v40, v124
	v_fmac_f32_e32 v45, v41, v123
	;; [unrolled: 18-line block ×4, first 2 shown]
	s_waitcnt vmcnt(8)
	v_mul_f32_e32 v65, v58, v142
	v_add_f32_e32 v64, v60, v61
	v_fmac_f32_e32 v65, v59, v141
	ds_read2_b64 v[60:63], v1 offset0:115 offset1:116
	v_add_f32_e32 v69, v64, v65
	ds_read2_b64 v[64:67], v1 offset0:117 offset1:118
	buffer_load_dword v73, off, s[0:3], 0 offset:460
	buffer_load_dword v72, off, s[0:3], 0 offset:456
	;; [unrolled: 1-line block ×16, first 2 shown]
	v_mul_f32_e32 v15, v15, v68
	v_fma_f32 v14, v14, v97, -v15
	v_mul_f32_e32 v15, v17, v70
	v_add_f32_e32 v14, 0, v14
	v_fma_f32 v15, v16, v96, -v15
	v_mul_f32_e32 v7, v7, v92
	v_add_f32_e32 v14, v14, v15
	;; [unrolled: 3-line block ×3, first 2 shown]
	v_fma_f32 v7, v8, v101, -v7
	v_add_f32_e32 v6, v6, v7
	v_mul_f32_e32 v7, v11, v90
	v_fma_f32 v7, v10, v100, -v7
	v_add_f32_e32 v6, v6, v7
	v_mul_f32_e32 v7, v13, v91
	v_fma_f32 v7, v12, v99, -v7
	v_mul_f32_e32 v3, v3, v93
	v_add_f32_e32 v6, v6, v7
	v_fma_f32 v2, v2, v98, -v3
	v_mul_f32_e32 v3, v5, v94
	v_add_f32_e32 v2, v6, v2
	v_fma_f32 v3, v4, v105, -v3
	v_add_f32_e32 v2, v2, v3
	v_mul_f32_e32 v3, v21, v106
	v_fma_f32 v3, v20, v104, -v3
	v_add_f32_e32 v2, v2, v3
	v_mul_f32_e32 v3, v23, v107
	;; [unrolled: 3-line block ×20, first 2 shown]
	v_fma_f32 v3, v58, v141, -v3
	v_add_f32_e32 v2, v2, v3
	s_waitcnt vmcnt(22) lgkmcnt(1)
	v_mul_f32_e32 v3, v61, v144
	v_fma_f32 v3, v60, v143, -v3
	v_add_f32_e32 v2, v2, v3
	s_waitcnt vmcnt(20)
	v_mul_f32_e32 v3, v63, v146
	v_mul_f32_e32 v71, v60, v144
	v_fma_f32 v3, v62, v145, -v3
	v_fmac_f32_e32 v71, v61, v143
	v_add_f32_e32 v68, v2, v3
	s_waitcnt vmcnt(18) lgkmcnt(0)
	v_mul_f32_e32 v2, v65, v148
	v_add_f32_e32 v69, v69, v71
	v_mul_f32_e32 v71, v62, v146
	v_fma_f32 v70, v64, v147, -v2
	s_waitcnt vmcnt(16)
	v_mul_f32_e32 v2, v67, v150
	v_fmac_f32_e32 v71, v63, v145
	v_fma_f32 v78, v66, v149, -v2
	ds_read2_b64 v[2:5], v1 offset0:119 offset1:120
	ds_read2_b64 v[6:9], v1 offset0:121 offset1:122
	;; [unrolled: 1-line block ×4, first 2 shown]
	v_add_f32_e32 v69, v69, v71
	v_mul_f32_e32 v71, v64, v148
	s_waitcnt vmcnt(11)
	v_mov_b32_e32 v22, v77
	v_fmac_f32_e32 v71, v65, v147
	v_mul_f32_e32 v79, v66, v150
	s_waitcnt lgkmcnt(3)
	v_pk_mul_f32 v[22:23], v[2:3], v[22:23] op_sel_hi:[1,0]
	v_fmac_f32_e32 v79, v67, v149
	v_pk_add_f32 v[20:21], v[68:69], v[70:71]
	s_waitcnt vmcnt(10)
	v_pk_fma_f32 v[24:25], v[2:3], v[76:77], v[22:23] op_sel:[0,0,1] op_sel_hi:[1,1,0] neg_lo:[0,0,1] neg_hi:[0,0,1]
	v_pk_fma_f32 v[2:3], v[2:3], v[76:77], v[22:23] op_sel:[0,0,1] op_sel_hi:[1,0,0]
	v_pk_add_f32 v[20:21], v[20:21], v[78:79]
	v_mov_b32_e32 v25, v3
	v_pk_add_f32 v[2:3], v[20:21], v[24:25]
	v_mov_b32_e32 v20, v75
	v_pk_mul_f32 v[20:21], v[4:5], v[20:21] op_sel_hi:[1,0]
	v_pk_fma_f32 v[22:23], v[4:5], v[74:75], v[20:21] op_sel:[0,0,1] op_sel_hi:[1,1,0] neg_lo:[0,0,1] neg_hi:[0,0,1]
	v_pk_fma_f32 v[4:5], v[4:5], v[74:75], v[20:21] op_sel:[0,0,1] op_sel_hi:[1,0,0]
	v_mov_b32_e32 v4, v73
	v_mov_b32_e32 v23, v5
	s_waitcnt lgkmcnt(2)
	v_pk_mul_f32 v[4:5], v[6:7], v[4:5] op_sel_hi:[1,0]
	v_pk_fma_f32 v[20:21], v[6:7], v[72:73], v[4:5] op_sel:[0,0,1] op_sel_hi:[1,1,0] neg_lo:[0,0,1] neg_hi:[0,0,1]
	v_pk_fma_f32 v[4:5], v[6:7], v[72:73], v[4:5] op_sel:[0,0,1] op_sel_hi:[1,0,0]
	s_waitcnt vmcnt(3)
	v_mov_b32_e32 v4, v87
	v_mov_b32_e32 v21, v5
	v_pk_mul_f32 v[4:5], v[8:9], v[4:5] op_sel_hi:[1,0]
	s_waitcnt vmcnt(2)
	v_pk_fma_f32 v[6:7], v[8:9], v[86:87], v[4:5] op_sel:[0,0,1] op_sel_hi:[1,1,0] neg_lo:[0,0,1] neg_hi:[0,0,1]
	v_pk_fma_f32 v[4:5], v[8:9], v[86:87], v[4:5] op_sel:[0,0,1] op_sel_hi:[1,0,0]
	v_pk_add_f32 v[2:3], v[2:3], v[22:23]
	v_mov_b32_e32 v4, v85
	v_pk_add_f32 v[2:3], v[2:3], v[20:21]
	v_mov_b32_e32 v7, v5
	s_waitcnt lgkmcnt(1)
	v_pk_mul_f32 v[4:5], v[10:11], v[4:5] op_sel_hi:[1,0]
	v_pk_add_f32 v[2:3], v[2:3], v[6:7]
	v_pk_fma_f32 v[6:7], v[10:11], v[84:85], v[4:5] op_sel:[0,0,1] op_sel_hi:[1,1,0] neg_lo:[0,0,1] neg_hi:[0,0,1]
	v_pk_fma_f32 v[4:5], v[10:11], v[84:85], v[4:5] op_sel:[0,0,1] op_sel_hi:[1,0,0]
	v_mov_b32_e32 v4, v83
	v_mov_b32_e32 v7, v5
	v_pk_mul_f32 v[4:5], v[12:13], v[4:5] op_sel_hi:[1,0]
	v_pk_add_f32 v[2:3], v[2:3], v[6:7]
	v_pk_fma_f32 v[6:7], v[12:13], v[82:83], v[4:5] op_sel:[0,0,1] op_sel_hi:[1,1,0] neg_lo:[0,0,1] neg_hi:[0,0,1]
	v_pk_fma_f32 v[4:5], v[12:13], v[82:83], v[4:5] op_sel:[0,0,1] op_sel_hi:[1,0,0]
	v_mov_b32_e32 v4, v81
	v_mov_b32_e32 v7, v5
	s_waitcnt lgkmcnt(0)
	v_pk_mul_f32 v[4:5], v[14:15], v[4:5] op_sel_hi:[1,0]
	v_pk_add_f32 v[2:3], v[2:3], v[6:7]
	v_pk_fma_f32 v[6:7], v[14:15], v[80:81], v[4:5] op_sel:[0,0,1] op_sel_hi:[1,1,0] neg_lo:[0,0,1] neg_hi:[0,0,1]
	v_pk_fma_f32 v[4:5], v[14:15], v[80:81], v[4:5] op_sel:[0,0,1] op_sel_hi:[1,0,0]
	s_waitcnt vmcnt(1)
	v_mov_b32_e32 v4, v89
	v_mov_b32_e32 v7, v5
	v_pk_mul_f32 v[4:5], v[16:17], v[4:5] op_sel_hi:[1,0]
	v_pk_add_f32 v[2:3], v[2:3], v[6:7]
	s_waitcnt vmcnt(0)
	v_pk_fma_f32 v[6:7], v[16:17], v[88:89], v[4:5] op_sel:[0,0,1] op_sel_hi:[1,1,0] neg_lo:[0,0,1] neg_hi:[0,0,1]
	v_pk_fma_f32 v[4:5], v[16:17], v[88:89], v[4:5] op_sel:[0,0,1] op_sel_hi:[1,0,0]
	v_mov_b32_e32 v7, v5
	v_pk_add_f32 v[2:3], v[2:3], v[6:7]
	v_pk_add_f32 v[2:3], v[18:19], v[2:3] neg_lo:[0,1] neg_hi:[0,1]
	buffer_store_dword v3, off, s[0:3], 0 offset:180
	buffer_store_dword v2, off, s[0:3], 0 offset:176
	s_and_saveexec_b64 s[4:5], vcc
	s_cbranch_execz .LBB62_349
; %bb.348:
	buffer_load_dword v2, off, s[0:3], 0 offset:168
	buffer_load_dword v3, off, s[0:3], 0 offset:172
	v_mov_b32_e32 v1, 0
	buffer_store_dword v1, off, s[0:3], 0 offset:168
	buffer_store_dword v1, off, s[0:3], 0 offset:172
	s_waitcnt vmcnt(2)
	ds_write_b64 v217, v[2:3]
.LBB62_349:
	s_or_b64 exec, exec, s[4:5]
	v_mov_b32_e32 v94, 0
	s_waitcnt lgkmcnt(0)
	; wave barrier
	s_waitcnt lgkmcnt(0)
	ds_read_b128 v[14:17], v94 offset:688
	ds_read_b128 v[10:13], v94 offset:704
	;; [unrolled: 1-line block ×4, first 2 shown]
	buffer_load_dword v70, off, s[0:3], 0 offset:168
	buffer_load_dword v71, off, s[0:3], 0 offset:172
	;; [unrolled: 1-line block ×18, first 2 shown]
	v_cmp_lt_u32_e32 vcc, 20, v0
	s_waitcnt vmcnt(14) lgkmcnt(3)
	v_mul_f32_e32 v18, v14, v78
	v_fmac_f32_e32 v18, v15, v1
	s_waitcnt vmcnt(12)
	v_mul_f32_e32 v19, v16, v96
	v_add_f32_e32 v18, 0, v18
	v_fmac_f32_e32 v19, v17, v72
	v_add_f32_e32 v18, v18, v19
	s_waitcnt vmcnt(10) lgkmcnt(2)
	v_mul_f32_e32 v19, v10, v98
	v_fmac_f32_e32 v19, v11, v74
	v_add_f32_e32 v18, v18, v19
	s_waitcnt vmcnt(8)
	v_mul_f32_e32 v19, v12, v100
	v_fmac_f32_e32 v19, v13, v95
	v_add_f32_e32 v18, v18, v19
	s_waitcnt vmcnt(6) lgkmcnt(1)
	v_mul_f32_e32 v19, v6, v102
	v_fmac_f32_e32 v19, v7, v97
	v_add_f32_e32 v18, v18, v19
	s_waitcnt vmcnt(4)
	v_mul_f32_e32 v19, v8, v103
	;; [unrolled: 8-line block ×3, first 2 shown]
	v_fmac_f32_e32 v19, v5, v105
	v_add_f32_e32 v22, v18, v19
	ds_read_b128 v[18:21], v94 offset:752
	buffer_load_dword v107, off, s[0:3], 0 offset:240
	buffer_load_dword v108, off, s[0:3], 0 offset:244
	buffer_load_dword v109, off, s[0:3], 0 offset:248
	buffer_load_dword v110, off, s[0:3], 0 offset:252
	ds_read_b128 v[26:29], v94 offset:768
	buffer_load_dword v111, off, s[0:3], 0 offset:256
	buffer_load_dword v112, off, s[0:3], 0 offset:260
	buffer_load_dword v113, off, s[0:3], 0 offset:264
	buffer_load_dword v114, off, s[0:3], 0 offset:268
	;; [unrolled: 5-line block ×12, first 2 shown]
	v_mul_f32_e32 v15, v15, v78
	v_fma_f32 v1, v14, v1, -v15
	v_mul_f32_e32 v14, v17, v96
	v_add_f32_e32 v1, 0, v1
	v_fma_f32 v14, v16, v72, -v14
	v_mul_f32_e32 v11, v11, v98
	v_add_f32_e32 v1, v1, v14
	v_fma_f32 v10, v10, v74, -v11
	v_add_f32_e32 v1, v1, v10
	v_mul_f32_e32 v10, v13, v100
	v_fma_f32 v10, v12, v95, -v10
	v_mul_f32_e32 v7, v7, v102
	v_add_f32_e32 v1, v1, v10
	v_fma_f32 v6, v6, v97, -v7
	v_add_f32_e32 v1, v1, v6
	v_mul_f32_e32 v6, v9, v103
	;; [unrolled: 6-line block ×3, first 2 shown]
	v_fma_f32 v2, v4, v105, -v2
	v_add_f32_e32 v1, v1, v2
	s_waitcnt vmcnt(46) lgkmcnt(11)
	v_mul_f32_e32 v23, v18, v108
	v_fmac_f32_e32 v23, v19, v107
	v_add_f32_e32 v22, v22, v23
	s_waitcnt vmcnt(44)
	v_mul_f32_e32 v23, v20, v110
	v_fmac_f32_e32 v23, v21, v109
	v_add_f32_e32 v22, v22, v23
	s_waitcnt vmcnt(42) lgkmcnt(10)
	v_mul_f32_e32 v23, v26, v112
	v_fmac_f32_e32 v23, v27, v111
	v_add_f32_e32 v22, v22, v23
	s_waitcnt vmcnt(40)
	v_mul_f32_e32 v23, v28, v114
	v_fmac_f32_e32 v23, v29, v113
	;; [unrolled: 8-line block ×11, first 2 shown]
	v_add_f32_e32 v22, v22, v23
	s_waitcnt vmcnt(2) lgkmcnt(0)
	v_mul_f32_e32 v23, v66, v152
	v_fmac_f32_e32 v23, v67, v151
	v_add_f32_e32 v73, v22, v23
	ds_read_b128 v[22:25], v94 offset:944
	buffer_load_dword v155, off, s[0:3], 0 offset:432
	buffer_load_dword v156, off, s[0:3], 0 offset:436
	;; [unrolled: 1-line block ×18, first 2 shown]
	v_mul_f32_e32 v2, v19, v108
	v_fma_f32 v2, v18, v107, -v2
	v_add_f32_e32 v1, v1, v2
	v_mul_f32_e32 v2, v21, v110
	v_fma_f32 v2, v20, v109, -v2
	v_add_f32_e32 v1, v1, v2
	;; [unrolled: 3-line block ×22, first 2 shown]
	v_mul_f32_e32 v2, v67, v152
	v_fma_f32 v2, v66, v151, -v2
	s_waitcnt vmcnt(15)
	v_mov_b32_e32 v18, v77
	v_mul_f32_e32 v75, v68, v154
	v_add_f32_e32 v72, v1, v2
	v_mul_f32_e32 v1, v69, v154
	s_waitcnt lgkmcnt(0)
	v_pk_mul_f32 v[18:19], v[24:25], v[18:19] op_sel_hi:[1,0]
	v_fmac_f32_e32 v75, v69, v153
	v_fma_f32 v74, v68, v153, -v1
	ds_read_b128 v[2:5], v94 offset:960
	ds_read_b128 v[6:9], v94 offset:976
	;; [unrolled: 1-line block ×3, first 2 shown]
	ds_read_b64 v[14:15], v94 offset:1008
	s_waitcnt vmcnt(14)
	v_pk_fma_f32 v[20:21], v[24:25], v[76:77], v[18:19] op_sel:[0,0,1] op_sel_hi:[1,1,0] neg_lo:[0,0,1] neg_hi:[0,0,1]
	v_pk_fma_f32 v[18:19], v[24:25], v[76:77], v[18:19] op_sel:[0,0,1] op_sel_hi:[1,0,0]
	v_mul_f32_e32 v79, v22, v156
	v_mul_f32_e32 v1, v23, v156
	v_fmac_f32_e32 v79, v23, v155
	v_fma_f32 v78, v22, v155, -v1
	v_pk_add_f32 v[16:17], v[72:73], v[74:75]
	s_waitcnt vmcnt(13)
	v_mov_b32_e32 v18, v93
	v_pk_add_f32 v[16:17], v[16:17], v[78:79]
	v_mov_b32_e32 v21, v19
	s_waitcnt lgkmcnt(3)
	v_pk_mul_f32 v[18:19], v[2:3], v[18:19] op_sel_hi:[1,0]
	v_pk_add_f32 v[16:17], v[16:17], v[20:21]
	s_waitcnt vmcnt(12)
	v_pk_fma_f32 v[20:21], v[2:3], v[92:93], v[18:19] op_sel:[0,0,1] op_sel_hi:[1,1,0] neg_lo:[0,0,1] neg_hi:[0,0,1]
	v_pk_fma_f32 v[2:3], v[2:3], v[92:93], v[18:19] op_sel:[0,0,1] op_sel_hi:[1,0,0]
	v_mov_b32_e32 v21, v3
	v_pk_add_f32 v[2:3], v[16:17], v[20:21]
	s_waitcnt vmcnt(11)
	v_mov_b32_e32 v16, v91
	v_pk_mul_f32 v[16:17], v[4:5], v[16:17] op_sel_hi:[1,0]
	s_waitcnt vmcnt(10)
	v_pk_fma_f32 v[18:19], v[4:5], v[90:91], v[16:17] op_sel:[0,0,1] op_sel_hi:[1,1,0] neg_lo:[0,0,1] neg_hi:[0,0,1]
	v_pk_fma_f32 v[4:5], v[4:5], v[90:91], v[16:17] op_sel:[0,0,1] op_sel_hi:[1,0,0]
	s_waitcnt vmcnt(9)
	v_mov_b32_e32 v4, v89
	v_mov_b32_e32 v19, v5
	s_waitcnt lgkmcnt(2)
	v_pk_mul_f32 v[4:5], v[6:7], v[4:5] op_sel_hi:[1,0]
	s_waitcnt vmcnt(8)
	v_pk_fma_f32 v[16:17], v[6:7], v[88:89], v[4:5] op_sel:[0,0,1] op_sel_hi:[1,1,0] neg_lo:[0,0,1] neg_hi:[0,0,1]
	v_pk_fma_f32 v[4:5], v[6:7], v[88:89], v[4:5] op_sel:[0,0,1] op_sel_hi:[1,0,0]
	s_waitcnt vmcnt(7)
	v_mov_b32_e32 v4, v87
	v_mov_b32_e32 v17, v5
	v_pk_mul_f32 v[4:5], v[8:9], v[4:5] op_sel_hi:[1,0]
	s_waitcnt vmcnt(6)
	v_pk_fma_f32 v[6:7], v[8:9], v[86:87], v[4:5] op_sel:[0,0,1] op_sel_hi:[1,1,0] neg_lo:[0,0,1] neg_hi:[0,0,1]
	v_pk_fma_f32 v[4:5], v[8:9], v[86:87], v[4:5] op_sel:[0,0,1] op_sel_hi:[1,0,0]
	v_pk_add_f32 v[2:3], v[2:3], v[18:19]
	s_waitcnt vmcnt(5)
	v_mov_b32_e32 v4, v85
	v_pk_add_f32 v[2:3], v[2:3], v[16:17]
	v_mov_b32_e32 v7, v5
	s_waitcnt lgkmcnt(1)
	v_pk_mul_f32 v[4:5], v[10:11], v[4:5] op_sel_hi:[1,0]
	v_pk_add_f32 v[2:3], v[2:3], v[6:7]
	s_waitcnt vmcnt(4)
	v_pk_fma_f32 v[6:7], v[10:11], v[84:85], v[4:5] op_sel:[0,0,1] op_sel_hi:[1,1,0] neg_lo:[0,0,1] neg_hi:[0,0,1]
	v_pk_fma_f32 v[4:5], v[10:11], v[84:85], v[4:5] op_sel:[0,0,1] op_sel_hi:[1,0,0]
	s_waitcnt vmcnt(3)
	v_mov_b32_e32 v4, v83
	v_mov_b32_e32 v7, v5
	v_pk_mul_f32 v[4:5], v[12:13], v[4:5] op_sel_hi:[1,0]
	v_pk_add_f32 v[2:3], v[2:3], v[6:7]
	s_waitcnt vmcnt(2)
	v_pk_fma_f32 v[6:7], v[12:13], v[82:83], v[4:5] op_sel:[0,0,1] op_sel_hi:[1,1,0] neg_lo:[0,0,1] neg_hi:[0,0,1]
	v_pk_fma_f32 v[4:5], v[12:13], v[82:83], v[4:5] op_sel:[0,0,1] op_sel_hi:[1,0,0]
	s_waitcnt vmcnt(1)
	v_mov_b32_e32 v4, v81
	v_mov_b32_e32 v7, v5
	s_waitcnt lgkmcnt(0)
	v_pk_mul_f32 v[4:5], v[14:15], v[4:5] op_sel_hi:[1,0]
	v_pk_add_f32 v[2:3], v[2:3], v[6:7]
	s_waitcnt vmcnt(0)
	v_pk_fma_f32 v[6:7], v[14:15], v[80:81], v[4:5] op_sel:[0,0,1] op_sel_hi:[1,1,0] neg_lo:[0,0,1] neg_hi:[0,0,1]
	v_pk_fma_f32 v[4:5], v[14:15], v[80:81], v[4:5] op_sel:[0,0,1] op_sel_hi:[1,0,0]
	v_mov_b32_e32 v7, v5
	v_pk_add_f32 v[2:3], v[2:3], v[6:7]
	v_pk_add_f32 v[2:3], v[70:71], v[2:3] neg_lo:[0,1] neg_hi:[0,1]
	buffer_store_dword v3, off, s[0:3], 0 offset:172
	buffer_store_dword v2, off, s[0:3], 0 offset:168
	s_and_saveexec_b64 s[4:5], vcc
	s_cbranch_execz .LBB62_351
; %bb.350:
	buffer_load_dword v2, off, s[0:3], 0 offset:160
	buffer_load_dword v3, off, s[0:3], 0 offset:164
	s_waitcnt vmcnt(0)
	ds_write_b64 v217, v[2:3]
	buffer_store_dword v94, off, s[0:3], 0 offset:160
	buffer_store_dword v94, off, s[0:3], 0 offset:164
.LBB62_351:
	s_or_b64 exec, exec, s[4:5]
	s_waitcnt lgkmcnt(0)
	; wave barrier
	s_waitcnt lgkmcnt(0)
	buffer_load_dword v1, off, s[0:3], 0 offset:172
	buffer_load_dword v78, off, s[0:3], 0 offset:180
	;; [unrolled: 1-line block ×24, first 2 shown]
	ds_read2_b64 v[22:25], v94 offset0:85 offset1:86
	ds_read2_b64 v[18:21], v94 offset0:87 offset1:88
	;; [unrolled: 1-line block ×4, first 2 shown]
	buffer_load_dword v117, off, s[0:3], 0 offset:256
	buffer_load_dword v118, off, s[0:3], 0 offset:260
	ds_read2_b64 v[10:13], v94 offset0:93 offset1:94
	ds_read2_b64 v[2:5], v94 offset0:95 offset1:96
	buffer_load_dword v119, off, s[0:3], 0 offset:264
	buffer_load_dword v120, off, s[0:3], 0 offset:268
	;; [unrolled: 1-line block ×44, first 2 shown]
	v_cmp_lt_u32_e32 vcc, 19, v0
	s_waitcnt vmcnt(62) lgkmcnt(5)
	v_mul_f32_e32 v28, v22, v1
	v_mul_f32_e32 v29, v24, v78
	s_waitcnt lgkmcnt(4)
	v_mul_f32_e32 v31, v20, v80
	s_waitcnt lgkmcnt(3)
	v_mul_f32_e32 v32, v14, v82
	v_mul_f32_e32 v33, v16, v95
	;; [unrolled: 1-line block ×3, first 2 shown]
	s_waitcnt lgkmcnt(2)
	v_mul_f32_e32 v34, v6, v101
	v_mul_f32_e32 v35, v8, v102
	s_waitcnt vmcnt(61)
	v_fmac_f32_e32 v30, v19, v103
	s_waitcnt vmcnt(60)
	v_fmac_f32_e32 v29, v25, v104
	;; [unrolled: 2-line block ×3, first 2 shown]
	v_add_f32_e32 v28, 0, v28
	v_add_f32_e32 v28, v28, v29
	;; [unrolled: 1-line block ×3, first 2 shown]
	s_waitcnt vmcnt(55)
	v_fmac_f32_e32 v31, v21, v109
	v_fmac_f32_e32 v32, v15, v108
	v_add_f32_e32 v28, v28, v31
	v_fmac_f32_e32 v33, v17, v107
	v_add_f32_e32 v28, v28, v32
	;; [unrolled: 2-line block ×3, first 2 shown]
	s_waitcnt vmcnt(51)
	v_fmac_f32_e32 v35, v9, v113
	v_add_f32_e32 v28, v28, v34
	s_waitcnt vmcnt(50) lgkmcnt(1)
	v_mul_f32_e32 v29, v10, v114
	v_add_f32_e32 v28, v28, v35
	v_fmac_f32_e32 v29, v11, v112
	v_add_f32_e32 v28, v28, v29
	s_waitcnt vmcnt(49)
	v_mul_f32_e32 v29, v12, v115
	v_fmac_f32_e32 v29, v13, v111
	v_add_f32_e32 v28, v28, v29
	s_waitcnt vmcnt(48) lgkmcnt(0)
	v_mul_f32_e32 v29, v2, v116
	v_fmac_f32_e32 v29, v3, v110
	v_add_f32_e32 v32, v28, v29
	ds_read2_b64 v[28:31], v94 offset0:97 offset1:98
	s_waitcnt vmcnt(44)
	v_mul_f32_e32 v33, v4, v118
	v_fmac_f32_e32 v33, v5, v117
	v_add_f32_e32 v36, v32, v33
	ds_read2_b64 v[32:35], v94 offset0:99 offset1:100
	s_waitcnt vmcnt(42) lgkmcnt(1)
	v_mul_f32_e32 v37, v28, v120
	v_fmac_f32_e32 v37, v29, v119
	v_add_f32_e32 v36, v36, v37
	s_waitcnt vmcnt(40)
	v_mul_f32_e32 v37, v30, v122
	v_fmac_f32_e32 v37, v31, v121
	v_add_f32_e32 v36, v36, v37
	s_waitcnt vmcnt(38) lgkmcnt(0)
	v_mul_f32_e32 v37, v32, v124
	v_fmac_f32_e32 v37, v33, v123
	v_add_f32_e32 v40, v36, v37
	ds_read2_b64 v[36:39], v94 offset0:101 offset1:102
	s_waitcnt vmcnt(36)
	v_mul_f32_e32 v41, v34, v126
	v_fmac_f32_e32 v41, v35, v125
	v_add_f32_e32 v44, v40, v41
	ds_read2_b64 v[40:43], v94 offset0:103 offset1:104
	s_waitcnt vmcnt(34) lgkmcnt(1)
	v_mul_f32_e32 v45, v36, v128
	;; [unrolled: 18-line block ×4, first 2 shown]
	v_fmac_f32_e32 v61, v53, v143
	v_add_f32_e32 v60, v60, v61
	s_waitcnt vmcnt(16)
	v_mul_f32_e32 v61, v54, v146
	v_fmac_f32_e32 v61, v55, v145
	v_add_f32_e32 v60, v60, v61
	s_waitcnt vmcnt(14) lgkmcnt(0)
	v_mul_f32_e32 v61, v56, v148
	v_fmac_f32_e32 v61, v57, v147
	v_add_f32_e32 v64, v60, v61
	ds_read2_b64 v[60:63], v94 offset0:113 offset1:114
	s_waitcnt vmcnt(12)
	v_mul_f32_e32 v65, v58, v150
	v_fmac_f32_e32 v65, v59, v149
	v_add_f32_e32 v68, v64, v65
	ds_read2_b64 v[64:67], v94 offset0:115 offset1:116
	buffer_load_dword v77, off, s[0:3], 0 offset:444
	buffer_load_dword v76, off, s[0:3], 0 offset:440
	s_waitcnt vmcnt(12) lgkmcnt(1)
	v_mul_f32_e32 v69, v60, v152
	v_fmac_f32_e32 v69, v61, v151
	v_add_f32_e32 v68, v68, v69
	s_waitcnt vmcnt(10)
	v_mul_f32_e32 v69, v62, v154
	v_fmac_f32_e32 v69, v63, v153
	v_add_f32_e32 v68, v68, v69
	s_waitcnt vmcnt(8) lgkmcnt(0)
	v_mul_f32_e32 v69, v64, v156
	v_fmac_f32_e32 v69, v65, v155
	s_waitcnt vmcnt(6)
	v_mul_f32_e32 v73, v66, v158
	v_add_f32_e32 v72, v68, v69
	v_fmac_f32_e32 v73, v67, v157
	ds_read2_b64 v[68:71], v94 offset0:117 offset1:118
	v_add_f32_e32 v79, v72, v73
	ds_read2_b64 v[72:75], v94 offset0:119 offset1:120
	buffer_load_dword v85, off, s[0:3], 0 offset:476
	buffer_load_dword v84, off, s[0:3], 0 offset:472
	;; [unrolled: 1-line block ×14, first 2 shown]
	v_mul_f32_e32 v1, v23, v1
	v_fma_f32 v1, v22, v105, -v1
	v_mul_f32_e32 v22, v25, v78
	v_add_f32_e32 v1, 0, v1
	v_fma_f32 v22, v24, v104, -v22
	v_mul_f32_e32 v19, v19, v100
	v_add_f32_e32 v1, v1, v22
	v_fma_f32 v18, v18, v103, -v19
	v_add_f32_e32 v1, v1, v18
	v_mul_f32_e32 v18, v21, v80
	v_fma_f32 v18, v20, v109, -v18
	v_mul_f32_e32 v15, v15, v82
	v_add_f32_e32 v1, v1, v18
	v_fma_f32 v14, v14, v108, -v15
	v_add_f32_e32 v1, v1, v14
	v_mul_f32_e32 v14, v17, v95
	;; [unrolled: 6-line block ×3, first 2 shown]
	v_fma_f32 v6, v8, v113, -v6
	v_add_f32_e32 v1, v1, v6
	v_mul_f32_e32 v6, v11, v114
	v_fma_f32 v6, v10, v112, -v6
	v_add_f32_e32 v1, v1, v6
	v_mul_f32_e32 v6, v13, v115
	v_fma_f32 v6, v12, v111, -v6
	v_mul_f32_e32 v3, v3, v116
	v_add_f32_e32 v1, v1, v6
	v_fma_f32 v2, v2, v110, -v3
	v_add_f32_e32 v1, v1, v2
	v_mul_f32_e32 v2, v5, v118
	v_fma_f32 v2, v4, v117, -v2
	v_add_f32_e32 v1, v1, v2
	v_mul_f32_e32 v2, v29, v120
	;; [unrolled: 3-line block ×21, first 2 shown]
	v_fma_f32 v2, v66, v157, -v2
	s_waitcnt vmcnt(15)
	v_mov_b32_e32 v16, v77
	s_waitcnt lgkmcnt(1)
	v_mul_f32_e32 v81, v68, v160
	v_add_f32_e32 v78, v1, v2
	v_mul_f32_e32 v1, v69, v160
	s_waitcnt lgkmcnt(0)
	v_pk_mul_f32 v[16:17], v[72:73], v[16:17] op_sel_hi:[1,0]
	v_fmac_f32_e32 v81, v69, v159
	v_mul_f32_e32 v83, v70, v162
	v_fma_f32 v80, v68, v159, -v1
	v_mul_f32_e32 v1, v71, v162
	s_waitcnt vmcnt(14)
	v_pk_fma_f32 v[18:19], v[72:73], v[76:77], v[16:17] op_sel:[0,0,1] op_sel_hi:[1,1,0] neg_lo:[0,0,1] neg_hi:[0,0,1]
	v_pk_fma_f32 v[16:17], v[72:73], v[76:77], v[16:17] op_sel:[0,0,1] op_sel_hi:[1,0,0]
	v_fmac_f32_e32 v83, v71, v161
	v_fma_f32 v82, v70, v161, -v1
	v_pk_add_f32 v[14:15], v[78:79], v[80:81]
	s_waitcnt vmcnt(7)
	v_mov_b32_e32 v16, v91
	ds_read2_b64 v[2:5], v94 offset0:121 offset1:122
	ds_read2_b64 v[6:9], v94 offset0:123 offset1:124
	;; [unrolled: 1-line block ×3, first 2 shown]
	v_pk_add_f32 v[14:15], v[14:15], v[82:83]
	v_mov_b32_e32 v19, v17
	v_pk_mul_f32 v[16:17], v[74:75], v[16:17] op_sel_hi:[1,0]
	v_pk_add_f32 v[14:15], v[14:15], v[18:19]
	s_waitcnt vmcnt(6)
	v_pk_fma_f32 v[18:19], v[74:75], v[90:91], v[16:17] op_sel:[0,0,1] op_sel_hi:[1,1,0] neg_lo:[0,0,1] neg_hi:[0,0,1]
	v_pk_fma_f32 v[16:17], v[74:75], v[90:91], v[16:17] op_sel:[0,0,1] op_sel_hi:[1,0,0]
	v_mov_b32_e32 v16, v89
	v_mov_b32_e32 v19, v17
	s_waitcnt lgkmcnt(2)
	v_pk_mul_f32 v[16:17], v[2:3], v[16:17] op_sel_hi:[1,0]
	v_pk_add_f32 v[14:15], v[14:15], v[18:19]
	v_pk_fma_f32 v[18:19], v[2:3], v[88:89], v[16:17] op_sel:[0,0,1] op_sel_hi:[1,1,0] neg_lo:[0,0,1] neg_hi:[0,0,1]
	v_pk_fma_f32 v[2:3], v[2:3], v[88:89], v[16:17] op_sel:[0,0,1] op_sel_hi:[1,0,0]
	v_mov_b32_e32 v19, v3
	v_pk_add_f32 v[2:3], v[14:15], v[18:19]
	v_mov_b32_e32 v14, v87
	v_pk_mul_f32 v[14:15], v[4:5], v[14:15] op_sel_hi:[1,0]
	v_pk_fma_f32 v[16:17], v[4:5], v[86:87], v[14:15] op_sel:[0,0,1] op_sel_hi:[1,1,0] neg_lo:[0,0,1] neg_hi:[0,0,1]
	v_pk_fma_f32 v[4:5], v[4:5], v[86:87], v[14:15] op_sel:[0,0,1] op_sel_hi:[1,0,0]
	v_mov_b32_e32 v4, v85
	v_mov_b32_e32 v17, v5
	s_waitcnt lgkmcnt(1)
	v_pk_mul_f32 v[4:5], v[6:7], v[4:5] op_sel_hi:[1,0]
	v_pk_fma_f32 v[14:15], v[6:7], v[84:85], v[4:5] op_sel:[0,0,1] op_sel_hi:[1,1,0] neg_lo:[0,0,1] neg_hi:[0,0,1]
	v_pk_fma_f32 v[4:5], v[6:7], v[84:85], v[4:5] op_sel:[0,0,1] op_sel_hi:[1,0,0]
	s_waitcnt vmcnt(1)
	v_mov_b32_e32 v4, v99
	v_mov_b32_e32 v15, v5
	v_pk_mul_f32 v[4:5], v[8:9], v[4:5] op_sel_hi:[1,0]
	s_waitcnt vmcnt(0)
	v_pk_fma_f32 v[6:7], v[8:9], v[98:99], v[4:5] op_sel:[0,0,1] op_sel_hi:[1,1,0] neg_lo:[0,0,1] neg_hi:[0,0,1]
	v_pk_fma_f32 v[4:5], v[8:9], v[98:99], v[4:5] op_sel:[0,0,1] op_sel_hi:[1,0,0]
	v_pk_add_f32 v[2:3], v[2:3], v[16:17]
	v_mov_b32_e32 v4, v97
	v_pk_add_f32 v[2:3], v[2:3], v[14:15]
	v_mov_b32_e32 v7, v5
	s_waitcnt lgkmcnt(0)
	v_pk_mul_f32 v[4:5], v[10:11], v[4:5] op_sel_hi:[1,0]
	v_pk_add_f32 v[2:3], v[2:3], v[6:7]
	v_pk_fma_f32 v[6:7], v[10:11], v[96:97], v[4:5] op_sel:[0,0,1] op_sel_hi:[1,1,0] neg_lo:[0,0,1] neg_hi:[0,0,1]
	v_pk_fma_f32 v[4:5], v[10:11], v[96:97], v[4:5] op_sel:[0,0,1] op_sel_hi:[1,0,0]
	v_mov_b32_e32 v4, v93
	v_mov_b32_e32 v7, v5
	v_pk_mul_f32 v[4:5], v[12:13], v[4:5] op_sel_hi:[1,0]
	v_pk_add_f32 v[2:3], v[2:3], v[6:7]
	v_pk_fma_f32 v[6:7], v[12:13], v[92:93], v[4:5] op_sel:[0,0,1] op_sel_hi:[1,1,0] neg_lo:[0,0,1] neg_hi:[0,0,1]
	v_pk_fma_f32 v[4:5], v[12:13], v[92:93], v[4:5] op_sel:[0,0,1] op_sel_hi:[1,0,0]
	v_mov_b32_e32 v7, v5
	v_pk_add_f32 v[2:3], v[2:3], v[6:7]
	v_pk_add_f32 v[2:3], v[26:27], v[2:3] neg_lo:[0,1] neg_hi:[0,1]
	buffer_store_dword v3, off, s[0:3], 0 offset:164
	buffer_store_dword v2, off, s[0:3], 0 offset:160
	s_and_saveexec_b64 s[4:5], vcc
	s_cbranch_execz .LBB62_353
; %bb.352:
	buffer_load_dword v2, off, s[0:3], 0 offset:152
	buffer_load_dword v3, off, s[0:3], 0 offset:156
	v_mov_b32_e32 v1, 0
	buffer_store_dword v1, off, s[0:3], 0 offset:152
	buffer_store_dword v1, off, s[0:3], 0 offset:156
	s_waitcnt vmcnt(2)
	ds_write_b64 v217, v[2:3]
.LBB62_353:
	s_or_b64 exec, exec, s[4:5]
	s_waitcnt lgkmcnt(0)
	; wave barrier
	s_waitcnt lgkmcnt(0)
	buffer_load_dword v76, off, s[0:3], 0 offset:164
	buffer_load_dword v78, off, s[0:3], 0 offset:172
	;; [unrolled: 1-line block ×56, first 2 shown]
	v_mov_b32_e32 v1, 0
	ds_read_b128 v[4:7], v1 offset:672
	ds_read_b128 v[8:11], v1 offset:688
	;; [unrolled: 1-line block ×6, first 2 shown]
	buffer_load_dword v149, off, s[0:3], 0 offset:376
	buffer_load_dword v150, off, s[0:3], 0 offset:380
	;; [unrolled: 1-line block ×16, first 2 shown]
	v_cmp_lt_u32_e32 vcc, 18, v0
	s_waitcnt vmcnt(62) lgkmcnt(5)
	v_mul_f32_e32 v28, v4, v76
	v_mul_f32_e32 v29, v6, v78
	s_waitcnt lgkmcnt(4)
	v_mul_f32_e32 v31, v10, v80
	s_waitcnt lgkmcnt(3)
	v_mul_f32_e32 v32, v12, v98
	v_mul_f32_e32 v33, v14, v99
	;; [unrolled: 1-line block ×3, first 2 shown]
	s_waitcnt lgkmcnt(2)
	v_mul_f32_e32 v34, v16, v101
	v_mul_f32_e32 v35, v18, v102
	s_waitcnt lgkmcnt(1)
	v_mul_f32_e32 v36, v20, v103
	v_fmac_f32_e32 v30, v9, v104
	s_waitcnt vmcnt(61)
	v_fmac_f32_e32 v29, v7, v105
	s_waitcnt vmcnt(60)
	v_fmac_f32_e32 v28, v5, v106
	v_add_f32_e32 v28, 0, v28
	v_add_f32_e32 v28, v28, v29
	;; [unrolled: 1-line block ×3, first 2 shown]
	s_waitcnt vmcnt(56)
	v_fmac_f32_e32 v31, v11, v110
	v_fmac_f32_e32 v32, v13, v109
	v_add_f32_e32 v28, v28, v31
	v_fmac_f32_e32 v33, v15, v108
	v_add_f32_e32 v28, v28, v32
	;; [unrolled: 2-line block ×3, first 2 shown]
	s_waitcnt vmcnt(52)
	v_fmac_f32_e32 v35, v19, v114
	v_add_f32_e32 v28, v28, v34
	v_add_f32_e32 v28, v28, v35
	v_fmac_f32_e32 v36, v21, v113
	s_waitcnt vmcnt(51)
	v_mul_f32_e32 v29, v22, v115
	v_add_f32_e32 v28, v28, v36
	v_fmac_f32_e32 v29, v23, v112
	v_add_f32_e32 v28, v28, v29
	s_waitcnt vmcnt(50) lgkmcnt(0)
	v_mul_f32_e32 v29, v24, v116
	v_fmac_f32_e32 v29, v25, v111
	v_add_f32_e32 v32, v28, v29
	ds_read_b128 v[28:31], v1 offset:768
	s_waitcnt vmcnt(46)
	v_mul_f32_e32 v33, v26, v118
	v_fmac_f32_e32 v33, v27, v117
	v_add_f32_e32 v36, v32, v33
	ds_read_b128 v[32:35], v1 offset:784
	s_waitcnt vmcnt(44) lgkmcnt(1)
	v_mul_f32_e32 v37, v28, v120
	v_fmac_f32_e32 v37, v29, v119
	v_add_f32_e32 v36, v36, v37
	s_waitcnt vmcnt(42)
	v_mul_f32_e32 v37, v30, v122
	v_fmac_f32_e32 v37, v31, v121
	v_add_f32_e32 v36, v36, v37
	s_waitcnt vmcnt(40) lgkmcnt(0)
	v_mul_f32_e32 v37, v32, v124
	v_fmac_f32_e32 v37, v33, v123
	v_add_f32_e32 v40, v36, v37
	ds_read_b128 v[36:39], v1 offset:800
	s_waitcnt vmcnt(38)
	v_mul_f32_e32 v41, v34, v126
	v_fmac_f32_e32 v41, v35, v125
	v_add_f32_e32 v44, v40, v41
	ds_read_b128 v[40:43], v1 offset:816
	s_waitcnt vmcnt(36) lgkmcnt(1)
	v_mul_f32_e32 v45, v36, v128
	v_fmac_f32_e32 v45, v37, v127
	v_add_f32_e32 v44, v44, v45
	s_waitcnt vmcnt(34)
	v_mul_f32_e32 v45, v38, v130
	;; [unrolled: 18-line block ×5, first 2 shown]
	v_fmac_f32_e32 v69, v63, v153
	v_add_f32_e32 v68, v68, v69
	s_waitcnt vmcnt(8) lgkmcnt(0)
	v_mul_f32_e32 v69, v64, v156
	v_fmac_f32_e32 v69, v65, v155
	s_waitcnt vmcnt(6)
	v_mul_f32_e32 v73, v66, v158
	v_add_f32_e32 v72, v68, v69
	v_fmac_f32_e32 v73, v67, v157
	ds_read_b128 v[68:71], v1 offset:928
	v_add_f32_e32 v77, v72, v73
	ds_read_b128 v[72:75], v1 offset:944
	buffer_load_dword v83, off, s[0:3], 0 offset:468
	buffer_load_dword v82, off, s[0:3], 0 offset:464
	;; [unrolled: 1-line block ×16, first 2 shown]
	v_mul_f32_e32 v5, v5, v76
	v_fma_f32 v4, v4, v106, -v5
	v_mul_f32_e32 v5, v7, v78
	v_add_f32_e32 v4, 0, v4
	v_fma_f32 v5, v6, v105, -v5
	v_add_f32_e32 v4, v4, v5
	v_mul_f32_e32 v5, v9, v100
	v_fma_f32 v5, v8, v104, -v5
	v_add_f32_e32 v4, v4, v5
	v_mul_f32_e32 v5, v11, v80
	;; [unrolled: 3-line block ×30, first 2 shown]
	v_fma_f32 v5, v66, v157, -v5
	v_add_f32_e32 v4, v4, v5
	s_waitcnt vmcnt(20) lgkmcnt(1)
	v_mul_f32_e32 v5, v69, v160
	v_mul_f32_e32 v79, v68, v160
	v_fma_f32 v5, v68, v159, -v5
	v_fmac_f32_e32 v79, v69, v159
	v_add_f32_e32 v76, v4, v5
	s_waitcnt vmcnt(18)
	v_mul_f32_e32 v4, v71, v162
	s_waitcnt vmcnt(9)
	v_mov_b32_e32 v20, v89
	v_add_f32_e32 v77, v77, v79
	v_mul_f32_e32 v79, v70, v162
	v_fma_f32 v78, v70, v161, -v4
	s_waitcnt lgkmcnt(0)
	v_mul_f32_e32 v4, v73, v164
	v_pk_mul_f32 v[20:21], v[74:75], v[20:21] op_sel_hi:[1,0]
	v_fmac_f32_e32 v79, v71, v161
	v_mul_f32_e32 v81, v72, v164
	v_fma_f32 v80, v72, v163, -v4
	ds_read_b128 v[4:7], v1 offset:960
	ds_read_b128 v[8:11], v1 offset:976
	;; [unrolled: 1-line block ×3, first 2 shown]
	ds_read_b64 v[16:17], v1 offset:1008
	s_waitcnt vmcnt(8)
	v_pk_fma_f32 v[22:23], v[74:75], v[88:89], v[20:21] op_sel:[0,0,1] op_sel_hi:[1,1,0] neg_lo:[0,0,1] neg_hi:[0,0,1]
	v_pk_fma_f32 v[20:21], v[74:75], v[88:89], v[20:21] op_sel:[0,0,1] op_sel_hi:[1,0,0]
	v_fmac_f32_e32 v81, v73, v163
	v_pk_add_f32 v[18:19], v[76:77], v[78:79]
	v_mov_b32_e32 v20, v87
	v_pk_add_f32 v[18:19], v[18:19], v[80:81]
	v_mov_b32_e32 v23, v21
	s_waitcnt lgkmcnt(3)
	v_pk_mul_f32 v[20:21], v[4:5], v[20:21] op_sel_hi:[1,0]
	v_pk_add_f32 v[18:19], v[18:19], v[22:23]
	v_pk_fma_f32 v[22:23], v[4:5], v[86:87], v[20:21] op_sel:[0,0,1] op_sel_hi:[1,1,0] neg_lo:[0,0,1] neg_hi:[0,0,1]
	v_pk_fma_f32 v[4:5], v[4:5], v[86:87], v[20:21] op_sel:[0,0,1] op_sel_hi:[1,0,0]
	v_mov_b32_e32 v23, v5
	v_pk_add_f32 v[4:5], v[18:19], v[22:23]
	v_mov_b32_e32 v18, v85
	v_pk_mul_f32 v[18:19], v[6:7], v[18:19] op_sel_hi:[1,0]
	v_pk_fma_f32 v[20:21], v[6:7], v[84:85], v[18:19] op_sel:[0,0,1] op_sel_hi:[1,1,0] neg_lo:[0,0,1] neg_hi:[0,0,1]
	v_pk_fma_f32 v[6:7], v[6:7], v[84:85], v[18:19] op_sel:[0,0,1] op_sel_hi:[1,0,0]
	v_mov_b32_e32 v6, v83
	v_mov_b32_e32 v21, v7
	s_waitcnt lgkmcnt(2)
	v_pk_mul_f32 v[6:7], v[8:9], v[6:7] op_sel_hi:[1,0]
	v_pk_fma_f32 v[18:19], v[8:9], v[82:83], v[6:7] op_sel:[0,0,1] op_sel_hi:[1,1,0] neg_lo:[0,0,1] neg_hi:[0,0,1]
	v_pk_fma_f32 v[6:7], v[8:9], v[82:83], v[6:7] op_sel:[0,0,1] op_sel_hi:[1,0,0]
	s_waitcnt vmcnt(1)
	v_mov_b32_e32 v6, v97
	v_mov_b32_e32 v19, v7
	v_pk_mul_f32 v[6:7], v[10:11], v[6:7] op_sel_hi:[1,0]
	s_waitcnt vmcnt(0)
	v_pk_fma_f32 v[8:9], v[10:11], v[96:97], v[6:7] op_sel:[0,0,1] op_sel_hi:[1,1,0] neg_lo:[0,0,1] neg_hi:[0,0,1]
	v_pk_fma_f32 v[6:7], v[10:11], v[96:97], v[6:7] op_sel:[0,0,1] op_sel_hi:[1,0,0]
	v_pk_add_f32 v[4:5], v[4:5], v[20:21]
	v_mov_b32_e32 v6, v95
	v_pk_add_f32 v[4:5], v[4:5], v[18:19]
	v_mov_b32_e32 v9, v7
	s_waitcnt lgkmcnt(1)
	v_pk_mul_f32 v[6:7], v[12:13], v[6:7] op_sel_hi:[1,0]
	v_pk_add_f32 v[4:5], v[4:5], v[8:9]
	v_pk_fma_f32 v[8:9], v[12:13], v[94:95], v[6:7] op_sel:[0,0,1] op_sel_hi:[1,1,0] neg_lo:[0,0,1] neg_hi:[0,0,1]
	v_pk_fma_f32 v[6:7], v[12:13], v[94:95], v[6:7] op_sel:[0,0,1] op_sel_hi:[1,0,0]
	v_mov_b32_e32 v6, v93
	v_mov_b32_e32 v9, v7
	v_pk_mul_f32 v[6:7], v[14:15], v[6:7] op_sel_hi:[1,0]
	v_pk_add_f32 v[4:5], v[4:5], v[8:9]
	v_pk_fma_f32 v[8:9], v[14:15], v[92:93], v[6:7] op_sel:[0,0,1] op_sel_hi:[1,1,0] neg_lo:[0,0,1] neg_hi:[0,0,1]
	v_pk_fma_f32 v[6:7], v[14:15], v[92:93], v[6:7] op_sel:[0,0,1] op_sel_hi:[1,0,0]
	v_mov_b32_e32 v6, v91
	v_mov_b32_e32 v9, v7
	s_waitcnt lgkmcnt(0)
	v_pk_mul_f32 v[6:7], v[16:17], v[6:7] op_sel_hi:[1,0]
	v_pk_add_f32 v[4:5], v[4:5], v[8:9]
	v_pk_fma_f32 v[8:9], v[16:17], v[90:91], v[6:7] op_sel:[0,0,1] op_sel_hi:[1,1,0] neg_lo:[0,0,1] neg_hi:[0,0,1]
	v_pk_fma_f32 v[6:7], v[16:17], v[90:91], v[6:7] op_sel:[0,0,1] op_sel_hi:[1,0,0]
	v_mov_b32_e32 v9, v7
	v_pk_add_f32 v[4:5], v[4:5], v[8:9]
	v_pk_add_f32 v[2:3], v[2:3], v[4:5] neg_lo:[0,1] neg_hi:[0,1]
	buffer_store_dword v3, off, s[0:3], 0 offset:156
	buffer_store_dword v2, off, s[0:3], 0 offset:152
	s_and_saveexec_b64 s[4:5], vcc
	s_cbranch_execz .LBB62_355
; %bb.354:
	buffer_load_dword v2, off, s[0:3], 0 offset:144
	buffer_load_dword v3, off, s[0:3], 0 offset:148
	s_waitcnt vmcnt(0)
	ds_write_b64 v217, v[2:3]
	buffer_store_dword v1, off, s[0:3], 0 offset:144
	buffer_store_dword v1, off, s[0:3], 0 offset:148
.LBB62_355:
	s_or_b64 exec, exec, s[4:5]
	s_waitcnt lgkmcnt(0)
	; wave barrier
	s_waitcnt lgkmcnt(0)
	buffer_load_dword v76, off, s[0:3], 0 offset:156
	buffer_load_dword v78, off, s[0:3], 0 offset:164
	;; [unrolled: 1-line block ×26, first 2 shown]
	ds_read2_b64 v[22:25], v1 offset0:83 offset1:84
	ds_read2_b64 v[18:21], v1 offset0:85 offset1:86
	;; [unrolled: 1-line block ×6, first 2 shown]
	buffer_load_dword v119, off, s[0:3], 0 offset:248
	buffer_load_dword v120, off, s[0:3], 0 offset:252
	buffer_load_dword v121, off, s[0:3], 0 offset:256
	buffer_load_dword v122, off, s[0:3], 0 offset:260
	buffer_load_dword v123, off, s[0:3], 0 offset:264
	buffer_load_dword v124, off, s[0:3], 0 offset:268
	buffer_load_dword v125, off, s[0:3], 0 offset:272
	buffer_load_dword v126, off, s[0:3], 0 offset:276
	buffer_load_dword v127, off, s[0:3], 0 offset:280
	buffer_load_dword v128, off, s[0:3], 0 offset:284
	buffer_load_dword v129, off, s[0:3], 0 offset:288
	buffer_load_dword v130, off, s[0:3], 0 offset:292
	buffer_load_dword v131, off, s[0:3], 0 offset:296
	buffer_load_dword v132, off, s[0:3], 0 offset:300
	buffer_load_dword v133, off, s[0:3], 0 offset:304
	buffer_load_dword v134, off, s[0:3], 0 offset:308
	buffer_load_dword v135, off, s[0:3], 0 offset:312
	buffer_load_dword v136, off, s[0:3], 0 offset:316
	buffer_load_dword v137, off, s[0:3], 0 offset:320
	buffer_load_dword v138, off, s[0:3], 0 offset:324
	buffer_load_dword v139, off, s[0:3], 0 offset:328
	buffer_load_dword v140, off, s[0:3], 0 offset:332
	buffer_load_dword v141, off, s[0:3], 0 offset:336
	buffer_load_dword v142, off, s[0:3], 0 offset:340
	buffer_load_dword v143, off, s[0:3], 0 offset:344
	buffer_load_dword v144, off, s[0:3], 0 offset:348
	buffer_load_dword v145, off, s[0:3], 0 offset:352
	buffer_load_dword v146, off, s[0:3], 0 offset:356
	buffer_load_dword v147, off, s[0:3], 0 offset:360
	buffer_load_dword v148, off, s[0:3], 0 offset:364
	buffer_load_dword v149, off, s[0:3], 0 offset:368
	buffer_load_dword v150, off, s[0:3], 0 offset:372
	buffer_load_dword v151, off, s[0:3], 0 offset:376
	buffer_load_dword v152, off, s[0:3], 0 offset:380
	buffer_load_dword v153, off, s[0:3], 0 offset:384
	buffer_load_dword v154, off, s[0:3], 0 offset:388
	buffer_load_dword v155, off, s[0:3], 0 offset:392
	buffer_load_dword v156, off, s[0:3], 0 offset:396
	buffer_load_dword v157, off, s[0:3], 0 offset:400
	buffer_load_dword v158, off, s[0:3], 0 offset:404
	buffer_load_dword v159, off, s[0:3], 0 offset:408
	buffer_load_dword v160, off, s[0:3], 0 offset:412
	v_cmp_lt_u32_e32 vcc, 17, v0
	s_waitcnt vmcnt(62) lgkmcnt(5)
	v_mul_f32_e32 v28, v22, v76
	v_mul_f32_e32 v29, v24, v78
	s_waitcnt lgkmcnt(4)
	v_mul_f32_e32 v31, v20, v86
	s_waitcnt lgkmcnt(3)
	v_mul_f32_e32 v32, v14, v98
	v_mul_f32_e32 v33, v16, v99
	v_mul_f32_e32 v30, v18, v100
	s_waitcnt vmcnt(61) lgkmcnt(2)
	v_mul_f32_e32 v34, v10, v101
	s_waitcnt vmcnt(60)
	v_mul_f32_e32 v35, v12, v102
	s_waitcnt vmcnt(59) lgkmcnt(1)
	v_mul_f32_e32 v36, v6, v103
	s_waitcnt vmcnt(58)
	v_fmac_f32_e32 v30, v19, v104
	s_waitcnt vmcnt(57)
	v_fmac_f32_e32 v29, v25, v105
	;; [unrolled: 2-line block ×3, first 2 shown]
	v_add_f32_e32 v28, 0, v28
	v_add_f32_e32 v28, v28, v29
	;; [unrolled: 1-line block ×3, first 2 shown]
	s_waitcnt vmcnt(52)
	v_fmac_f32_e32 v31, v21, v110
	v_fmac_f32_e32 v32, v15, v109
	v_add_f32_e32 v28, v28, v31
	v_fmac_f32_e32 v33, v17, v108
	v_add_f32_e32 v28, v28, v32
	;; [unrolled: 2-line block ×3, first 2 shown]
	s_waitcnt vmcnt(48)
	v_fmac_f32_e32 v35, v13, v114
	v_add_f32_e32 v28, v28, v34
	v_fmac_f32_e32 v36, v7, v113
	v_add_f32_e32 v28, v28, v35
	s_waitcnt vmcnt(47)
	v_mul_f32_e32 v29, v8, v115
	v_add_f32_e32 v28, v28, v36
	v_fmac_f32_e32 v29, v9, v112
	v_add_f32_e32 v28, v28, v29
	s_waitcnt vmcnt(46) lgkmcnt(0)
	v_mul_f32_e32 v29, v2, v116
	v_fmac_f32_e32 v29, v3, v111
	v_add_f32_e32 v32, v28, v29
	ds_read2_b64 v[28:31], v1 offset0:95 offset1:96
	s_waitcnt vmcnt(42)
	v_mul_f32_e32 v33, v4, v118
	v_fmac_f32_e32 v33, v5, v117
	buffer_load_dword v161, off, s[0:3], 0 offset:416
	buffer_load_dword v162, off, s[0:3], 0 offset:420
	v_add_f32_e32 v36, v32, v33
	buffer_load_dword v163, off, s[0:3], 0 offset:424
	buffer_load_dword v164, off, s[0:3], 0 offset:428
	ds_read2_b64 v[32:35], v1 offset0:97 offset1:98
	s_waitcnt vmcnt(44) lgkmcnt(1)
	v_mul_f32_e32 v37, v28, v120
	v_fmac_f32_e32 v37, v29, v119
	v_add_f32_e32 v36, v36, v37
	s_waitcnt vmcnt(42)
	v_mul_f32_e32 v37, v30, v122
	v_fmac_f32_e32 v37, v31, v121
	v_add_f32_e32 v36, v36, v37
	s_waitcnt vmcnt(40) lgkmcnt(0)
	v_mul_f32_e32 v37, v32, v124
	v_fmac_f32_e32 v37, v33, v123
	buffer_load_dword v165, off, s[0:3], 0 offset:432
	buffer_load_dword v166, off, s[0:3], 0 offset:436
	v_add_f32_e32 v40, v36, v37
	ds_read2_b64 v[36:39], v1 offset0:99 offset1:100
	s_waitcnt vmcnt(40)
	v_mul_f32_e32 v41, v34, v126
	v_fmac_f32_e32 v41, v35, v125
	v_add_f32_e32 v44, v40, v41
	ds_read2_b64 v[40:43], v1 offset0:101 offset1:102
	s_waitcnt vmcnt(38) lgkmcnt(1)
	v_mul_f32_e32 v45, v36, v128
	v_fmac_f32_e32 v45, v37, v127
	v_add_f32_e32 v44, v44, v45
	s_waitcnt vmcnt(36)
	v_mul_f32_e32 v45, v38, v130
	v_fmac_f32_e32 v45, v39, v129
	v_add_f32_e32 v44, v44, v45
	s_waitcnt vmcnt(34) lgkmcnt(0)
	v_mul_f32_e32 v45, v40, v132
	v_fmac_f32_e32 v45, v41, v131
	v_add_f32_e32 v48, v44, v45
	ds_read2_b64 v[44:47], v1 offset0:103 offset1:104
	s_waitcnt vmcnt(32)
	v_mul_f32_e32 v49, v42, v134
	v_fmac_f32_e32 v49, v43, v133
	v_add_f32_e32 v52, v48, v49
	ds_read2_b64 v[48:51], v1 offset0:105 offset1:106
	s_waitcnt vmcnt(30) lgkmcnt(1)
	v_mul_f32_e32 v53, v44, v136
	v_fmac_f32_e32 v53, v45, v135
	v_add_f32_e32 v52, v52, v53
	s_waitcnt vmcnt(28)
	v_mul_f32_e32 v53, v46, v138
	v_fmac_f32_e32 v53, v47, v137
	v_add_f32_e32 v52, v52, v53
	s_waitcnt vmcnt(26) lgkmcnt(0)
	v_mul_f32_e32 v53, v48, v140
	v_fmac_f32_e32 v53, v49, v139
	;; [unrolled: 18-line block ×4, first 2 shown]
	s_waitcnt vmcnt(8)
	v_mul_f32_e32 v73, v66, v158
	v_add_f32_e32 v72, v68, v69
	v_fmac_f32_e32 v73, v67, v157
	ds_read2_b64 v[68:71], v1 offset0:115 offset1:116
	v_add_f32_e32 v77, v72, v73
	ds_read2_b64 v[72:75], v1 offset0:117 offset1:118
	buffer_load_dword v81, off, s[0:3], 0 offset:460
	buffer_load_dword v80, off, s[0:3], 0 offset:456
	;; [unrolled: 1-line block ×16, first 2 shown]
	v_mul_f32_e32 v23, v23, v76
	v_fma_f32 v22, v22, v106, -v23
	v_mul_f32_e32 v23, v25, v78
	v_add_f32_e32 v22, 0, v22
	v_fma_f32 v23, v24, v105, -v23
	v_mul_f32_e32 v19, v19, v100
	v_add_f32_e32 v22, v22, v23
	;; [unrolled: 3-line block ×11, first 2 shown]
	v_fma_f32 v3, v4, v117, -v3
	v_add_f32_e32 v2, v2, v3
	v_mul_f32_e32 v3, v29, v120
	v_fma_f32 v3, v28, v119, -v3
	v_add_f32_e32 v2, v2, v3
	v_mul_f32_e32 v3, v31, v122
	;; [unrolled: 3-line block ×20, first 2 shown]
	v_fma_f32 v3, v66, v157, -v3
	v_add_f32_e32 v2, v2, v3
	s_waitcnt vmcnt(22) lgkmcnt(1)
	v_mul_f32_e32 v3, v69, v160
	v_fma_f32 v3, v68, v159, -v3
	v_add_f32_e32 v2, v2, v3
	s_waitcnt vmcnt(20)
	v_mul_f32_e32 v3, v71, v162
	v_mul_f32_e32 v79, v68, v160
	v_fma_f32 v3, v70, v161, -v3
	v_fmac_f32_e32 v79, v69, v159
	v_add_f32_e32 v76, v2, v3
	s_waitcnt vmcnt(18) lgkmcnt(0)
	v_mul_f32_e32 v2, v73, v164
	v_add_f32_e32 v77, v77, v79
	v_mul_f32_e32 v79, v70, v162
	v_fma_f32 v78, v72, v163, -v2
	s_waitcnt vmcnt(16)
	v_mul_f32_e32 v2, v75, v166
	v_fmac_f32_e32 v79, v71, v161
	v_fma_f32 v86, v74, v165, -v2
	ds_read2_b64 v[2:5], v1 offset0:119 offset1:120
	ds_read2_b64 v[6:9], v1 offset0:121 offset1:122
	;; [unrolled: 1-line block ×4, first 2 shown]
	v_add_f32_e32 v77, v77, v79
	v_mul_f32_e32 v79, v72, v164
	s_waitcnt vmcnt(11)
	v_mov_b32_e32 v20, v85
	v_fmac_f32_e32 v79, v73, v163
	v_mul_f32_e32 v87, v74, v166
	s_waitcnt lgkmcnt(3)
	v_pk_mul_f32 v[20:21], v[2:3], v[20:21] op_sel_hi:[1,0]
	v_fmac_f32_e32 v87, v75, v165
	v_pk_add_f32 v[18:19], v[76:77], v[78:79]
	s_waitcnt vmcnt(10)
	v_pk_fma_f32 v[22:23], v[2:3], v[84:85], v[20:21] op_sel:[0,0,1] op_sel_hi:[1,1,0] neg_lo:[0,0,1] neg_hi:[0,0,1]
	v_pk_fma_f32 v[2:3], v[2:3], v[84:85], v[20:21] op_sel:[0,0,1] op_sel_hi:[1,0,0]
	v_pk_add_f32 v[18:19], v[18:19], v[86:87]
	v_mov_b32_e32 v23, v3
	v_pk_add_f32 v[2:3], v[18:19], v[22:23]
	v_mov_b32_e32 v18, v83
	v_pk_mul_f32 v[18:19], v[4:5], v[18:19] op_sel_hi:[1,0]
	v_pk_fma_f32 v[20:21], v[4:5], v[82:83], v[18:19] op_sel:[0,0,1] op_sel_hi:[1,1,0] neg_lo:[0,0,1] neg_hi:[0,0,1]
	v_pk_fma_f32 v[4:5], v[4:5], v[82:83], v[18:19] op_sel:[0,0,1] op_sel_hi:[1,0,0]
	v_mov_b32_e32 v4, v81
	v_mov_b32_e32 v21, v5
	s_waitcnt lgkmcnt(2)
	v_pk_mul_f32 v[4:5], v[6:7], v[4:5] op_sel_hi:[1,0]
	v_pk_fma_f32 v[18:19], v[6:7], v[80:81], v[4:5] op_sel:[0,0,1] op_sel_hi:[1,1,0] neg_lo:[0,0,1] neg_hi:[0,0,1]
	v_pk_fma_f32 v[4:5], v[6:7], v[80:81], v[4:5] op_sel:[0,0,1] op_sel_hi:[1,0,0]
	s_waitcnt vmcnt(3)
	v_mov_b32_e32 v4, v95
	v_mov_b32_e32 v19, v5
	v_pk_mul_f32 v[4:5], v[8:9], v[4:5] op_sel_hi:[1,0]
	s_waitcnt vmcnt(2)
	v_pk_fma_f32 v[6:7], v[8:9], v[94:95], v[4:5] op_sel:[0,0,1] op_sel_hi:[1,1,0] neg_lo:[0,0,1] neg_hi:[0,0,1]
	v_pk_fma_f32 v[4:5], v[8:9], v[94:95], v[4:5] op_sel:[0,0,1] op_sel_hi:[1,0,0]
	v_pk_add_f32 v[2:3], v[2:3], v[20:21]
	v_mov_b32_e32 v4, v93
	v_pk_add_f32 v[2:3], v[2:3], v[18:19]
	v_mov_b32_e32 v7, v5
	s_waitcnt lgkmcnt(1)
	v_pk_mul_f32 v[4:5], v[10:11], v[4:5] op_sel_hi:[1,0]
	v_pk_add_f32 v[2:3], v[2:3], v[6:7]
	v_pk_fma_f32 v[6:7], v[10:11], v[92:93], v[4:5] op_sel:[0,0,1] op_sel_hi:[1,1,0] neg_lo:[0,0,1] neg_hi:[0,0,1]
	v_pk_fma_f32 v[4:5], v[10:11], v[92:93], v[4:5] op_sel:[0,0,1] op_sel_hi:[1,0,0]
	v_mov_b32_e32 v4, v91
	v_mov_b32_e32 v7, v5
	v_pk_mul_f32 v[4:5], v[12:13], v[4:5] op_sel_hi:[1,0]
	v_pk_add_f32 v[2:3], v[2:3], v[6:7]
	v_pk_fma_f32 v[6:7], v[12:13], v[90:91], v[4:5] op_sel:[0,0,1] op_sel_hi:[1,1,0] neg_lo:[0,0,1] neg_hi:[0,0,1]
	v_pk_fma_f32 v[4:5], v[12:13], v[90:91], v[4:5] op_sel:[0,0,1] op_sel_hi:[1,0,0]
	v_mov_b32_e32 v4, v89
	v_mov_b32_e32 v7, v5
	s_waitcnt lgkmcnt(0)
	v_pk_mul_f32 v[4:5], v[14:15], v[4:5] op_sel_hi:[1,0]
	v_pk_add_f32 v[2:3], v[2:3], v[6:7]
	v_pk_fma_f32 v[6:7], v[14:15], v[88:89], v[4:5] op_sel:[0,0,1] op_sel_hi:[1,1,0] neg_lo:[0,0,1] neg_hi:[0,0,1]
	v_pk_fma_f32 v[4:5], v[14:15], v[88:89], v[4:5] op_sel:[0,0,1] op_sel_hi:[1,0,0]
	s_waitcnt vmcnt(1)
	v_mov_b32_e32 v4, v97
	v_mov_b32_e32 v7, v5
	v_pk_mul_f32 v[4:5], v[16:17], v[4:5] op_sel_hi:[1,0]
	v_pk_add_f32 v[2:3], v[2:3], v[6:7]
	s_waitcnt vmcnt(0)
	v_pk_fma_f32 v[6:7], v[16:17], v[96:97], v[4:5] op_sel:[0,0,1] op_sel_hi:[1,1,0] neg_lo:[0,0,1] neg_hi:[0,0,1]
	v_pk_fma_f32 v[4:5], v[16:17], v[96:97], v[4:5] op_sel:[0,0,1] op_sel_hi:[1,0,0]
	v_mov_b32_e32 v7, v5
	v_pk_add_f32 v[2:3], v[2:3], v[6:7]
	v_pk_add_f32 v[2:3], v[26:27], v[2:3] neg_lo:[0,1] neg_hi:[0,1]
	buffer_store_dword v3, off, s[0:3], 0 offset:148
	buffer_store_dword v2, off, s[0:3], 0 offset:144
	s_and_saveexec_b64 s[4:5], vcc
	s_cbranch_execz .LBB62_357
; %bb.356:
	buffer_load_dword v2, off, s[0:3], 0 offset:136
	buffer_load_dword v3, off, s[0:3], 0 offset:140
	v_mov_b32_e32 v1, 0
	buffer_store_dword v1, off, s[0:3], 0 offset:136
	buffer_store_dword v1, off, s[0:3], 0 offset:140
	s_waitcnt vmcnt(2)
	ds_write_b64 v217, v[2:3]
.LBB62_357:
	s_or_b64 exec, exec, s[4:5]
	v_mov_b32_e32 v102, 0
	s_waitcnt lgkmcnt(0)
	; wave barrier
	s_waitcnt lgkmcnt(0)
	ds_read_b128 v[14:17], v102 offset:656
	ds_read_b128 v[10:13], v102 offset:672
	;; [unrolled: 1-line block ×4, first 2 shown]
	buffer_load_dword v78, off, s[0:3], 0 offset:136
	buffer_load_dword v79, off, s[0:3], 0 offset:140
	;; [unrolled: 1-line block ×18, first 2 shown]
	v_cmp_lt_u32_e32 vcc, 16, v0
	s_waitcnt vmcnt(14) lgkmcnt(3)
	v_mul_f32_e32 v18, v14, v86
	v_fmac_f32_e32 v18, v15, v1
	s_waitcnt vmcnt(12)
	v_mul_f32_e32 v19, v16, v104
	v_add_f32_e32 v18, 0, v18
	v_fmac_f32_e32 v19, v17, v80
	v_add_f32_e32 v18, v18, v19
	s_waitcnt vmcnt(10) lgkmcnt(2)
	v_mul_f32_e32 v19, v10, v106
	v_fmac_f32_e32 v19, v11, v82
	v_add_f32_e32 v18, v18, v19
	s_waitcnt vmcnt(8)
	v_mul_f32_e32 v19, v12, v108
	v_fmac_f32_e32 v19, v13, v103
	v_add_f32_e32 v18, v18, v19
	s_waitcnt vmcnt(6) lgkmcnt(1)
	v_mul_f32_e32 v19, v6, v110
	v_fmac_f32_e32 v19, v7, v105
	v_add_f32_e32 v18, v18, v19
	s_waitcnt vmcnt(4)
	v_mul_f32_e32 v19, v8, v111
	;; [unrolled: 8-line block ×3, first 2 shown]
	v_fmac_f32_e32 v19, v5, v113
	v_add_f32_e32 v22, v18, v19
	ds_read_b128 v[18:21], v102 offset:720
	buffer_load_dword v115, off, s[0:3], 0 offset:208
	buffer_load_dword v116, off, s[0:3], 0 offset:212
	;; [unrolled: 1-line block ×4, first 2 shown]
	v_mul_f32_e32 v15, v15, v86
	v_fma_f32 v1, v14, v1, -v15
	v_mul_f32_e32 v14, v17, v104
	v_add_f32_e32 v1, 0, v1
	v_fma_f32 v14, v16, v80, -v14
	v_mul_f32_e32 v11, v11, v106
	v_add_f32_e32 v1, v1, v14
	v_fma_f32 v10, v10, v82, -v11
	v_add_f32_e32 v1, v1, v10
	v_mul_f32_e32 v10, v13, v108
	v_fma_f32 v10, v12, v103, -v10
	v_mul_f32_e32 v7, v7, v110
	v_add_f32_e32 v1, v1, v10
	v_fma_f32 v6, v6, v105, -v7
	v_add_f32_e32 v1, v1, v6
	v_mul_f32_e32 v6, v9, v111
	;; [unrolled: 6-line block ×3, first 2 shown]
	v_fma_f32 v2, v4, v113, -v2
	v_add_f32_e32 v1, v1, v2
	s_waitcnt vmcnt(2) lgkmcnt(0)
	v_mul_f32_e32 v23, v18, v116
	v_fmac_f32_e32 v23, v19, v115
	v_add_f32_e32 v22, v22, v23
	s_waitcnt vmcnt(0)
	v_mul_f32_e32 v23, v20, v118
	v_fmac_f32_e32 v23, v21, v117
	v_add_f32_e32 v26, v22, v23
	ds_read_b128 v[22:25], v102 offset:736
	buffer_load_dword v119, off, s[0:3], 0 offset:224
	buffer_load_dword v120, off, s[0:3], 0 offset:228
	buffer_load_dword v121, off, s[0:3], 0 offset:232
	buffer_load_dword v122, off, s[0:3], 0 offset:236
	ds_read_b128 v[30:33], v102 offset:752
	buffer_load_dword v123, off, s[0:3], 0 offset:240
	buffer_load_dword v124, off, s[0:3], 0 offset:244
	buffer_load_dword v125, off, s[0:3], 0 offset:248
	buffer_load_dword v126, off, s[0:3], 0 offset:252
	;; [unrolled: 5-line block ×13, first 2 shown]
	v_mul_f32_e32 v2, v19, v116
	v_fma_f32 v2, v18, v115, -v2
	v_add_f32_e32 v1, v1, v2
	v_mul_f32_e32 v2, v21, v118
	v_fma_f32 v2, v20, v117, -v2
	v_add_f32_e32 v1, v1, v2
	s_waitcnt vmcnt(50) lgkmcnt(12)
	v_mul_f32_e32 v27, v22, v120
	v_fmac_f32_e32 v27, v23, v119
	v_add_f32_e32 v26, v26, v27
	s_waitcnt vmcnt(48)
	v_mul_f32_e32 v27, v24, v122
	v_fmac_f32_e32 v27, v25, v121
	v_add_f32_e32 v26, v26, v27
	s_waitcnt vmcnt(46) lgkmcnt(11)
	v_mul_f32_e32 v27, v30, v124
	v_fmac_f32_e32 v27, v31, v123
	v_add_f32_e32 v26, v26, v27
	s_waitcnt vmcnt(44)
	v_mul_f32_e32 v27, v32, v126
	v_fmac_f32_e32 v27, v33, v125
	;; [unrolled: 8-line block ×12, first 2 shown]
	v_add_f32_e32 v26, v26, v27
	s_waitcnt vmcnt(2) lgkmcnt(0)
	v_mul_f32_e32 v27, v74, v168
	v_fmac_f32_e32 v27, v75, v167
	v_add_f32_e32 v81, v26, v27
	ds_read_b128 v[26:29], v102 offset:944
	buffer_load_dword v171, off, s[0:3], 0 offset:432
	buffer_load_dword v172, off, s[0:3], 0 offset:436
	;; [unrolled: 1-line block ×18, first 2 shown]
	v_mul_f32_e32 v2, v23, v120
	v_fma_f32 v2, v22, v119, -v2
	v_add_f32_e32 v1, v1, v2
	v_mul_f32_e32 v2, v25, v122
	v_fma_f32 v2, v24, v121, -v2
	v_add_f32_e32 v1, v1, v2
	;; [unrolled: 3-line block ×24, first 2 shown]
	v_mul_f32_e32 v2, v75, v168
	v_fma_f32 v2, v74, v167, -v2
	s_waitcnt vmcnt(15)
	v_mov_b32_e32 v18, v85
	v_mul_f32_e32 v83, v76, v170
	v_add_f32_e32 v80, v1, v2
	v_mul_f32_e32 v1, v77, v170
	s_waitcnt lgkmcnt(0)
	v_pk_mul_f32 v[18:19], v[28:29], v[18:19] op_sel_hi:[1,0]
	v_fmac_f32_e32 v83, v77, v169
	v_mul_f32_e32 v87, v26, v172
	v_fma_f32 v82, v76, v169, -v1
	v_mul_f32_e32 v1, v27, v172
	ds_read_b128 v[2:5], v102 offset:960
	ds_read_b128 v[6:9], v102 offset:976
	;; [unrolled: 1-line block ×3, first 2 shown]
	ds_read_b64 v[14:15], v102 offset:1008
	s_waitcnt vmcnt(14)
	v_pk_fma_f32 v[20:21], v[28:29], v[84:85], v[18:19] op_sel:[0,0,1] op_sel_hi:[1,1,0] neg_lo:[0,0,1] neg_hi:[0,0,1]
	v_pk_fma_f32 v[18:19], v[28:29], v[84:85], v[18:19] op_sel:[0,0,1] op_sel_hi:[1,0,0]
	v_fmac_f32_e32 v87, v27, v171
	v_fma_f32 v86, v26, v171, -v1
	v_pk_add_f32 v[16:17], v[80:81], v[82:83]
	s_waitcnt vmcnt(13)
	v_mov_b32_e32 v18, v101
	v_pk_add_f32 v[16:17], v[16:17], v[86:87]
	v_mov_b32_e32 v21, v19
	s_waitcnt lgkmcnt(3)
	v_pk_mul_f32 v[18:19], v[2:3], v[18:19] op_sel_hi:[1,0]
	v_pk_add_f32 v[16:17], v[16:17], v[20:21]
	s_waitcnt vmcnt(12)
	v_pk_fma_f32 v[20:21], v[2:3], v[100:101], v[18:19] op_sel:[0,0,1] op_sel_hi:[1,1,0] neg_lo:[0,0,1] neg_hi:[0,0,1]
	v_pk_fma_f32 v[2:3], v[2:3], v[100:101], v[18:19] op_sel:[0,0,1] op_sel_hi:[1,0,0]
	v_mov_b32_e32 v21, v3
	v_pk_add_f32 v[2:3], v[16:17], v[20:21]
	s_waitcnt vmcnt(11)
	v_mov_b32_e32 v16, v99
	v_pk_mul_f32 v[16:17], v[4:5], v[16:17] op_sel_hi:[1,0]
	s_waitcnt vmcnt(10)
	v_pk_fma_f32 v[18:19], v[4:5], v[98:99], v[16:17] op_sel:[0,0,1] op_sel_hi:[1,1,0] neg_lo:[0,0,1] neg_hi:[0,0,1]
	v_pk_fma_f32 v[4:5], v[4:5], v[98:99], v[16:17] op_sel:[0,0,1] op_sel_hi:[1,0,0]
	s_waitcnt vmcnt(9)
	v_mov_b32_e32 v4, v97
	v_mov_b32_e32 v19, v5
	s_waitcnt lgkmcnt(2)
	v_pk_mul_f32 v[4:5], v[6:7], v[4:5] op_sel_hi:[1,0]
	s_waitcnt vmcnt(8)
	v_pk_fma_f32 v[16:17], v[6:7], v[96:97], v[4:5] op_sel:[0,0,1] op_sel_hi:[1,1,0] neg_lo:[0,0,1] neg_hi:[0,0,1]
	v_pk_fma_f32 v[4:5], v[6:7], v[96:97], v[4:5] op_sel:[0,0,1] op_sel_hi:[1,0,0]
	s_waitcnt vmcnt(7)
	v_mov_b32_e32 v4, v95
	v_mov_b32_e32 v17, v5
	v_pk_mul_f32 v[4:5], v[8:9], v[4:5] op_sel_hi:[1,0]
	s_waitcnt vmcnt(6)
	v_pk_fma_f32 v[6:7], v[8:9], v[94:95], v[4:5] op_sel:[0,0,1] op_sel_hi:[1,1,0] neg_lo:[0,0,1] neg_hi:[0,0,1]
	v_pk_fma_f32 v[4:5], v[8:9], v[94:95], v[4:5] op_sel:[0,0,1] op_sel_hi:[1,0,0]
	v_pk_add_f32 v[2:3], v[2:3], v[18:19]
	s_waitcnt vmcnt(5)
	v_mov_b32_e32 v4, v93
	v_pk_add_f32 v[2:3], v[2:3], v[16:17]
	v_mov_b32_e32 v7, v5
	s_waitcnt lgkmcnt(1)
	v_pk_mul_f32 v[4:5], v[10:11], v[4:5] op_sel_hi:[1,0]
	v_pk_add_f32 v[2:3], v[2:3], v[6:7]
	s_waitcnt vmcnt(4)
	v_pk_fma_f32 v[6:7], v[10:11], v[92:93], v[4:5] op_sel:[0,0,1] op_sel_hi:[1,1,0] neg_lo:[0,0,1] neg_hi:[0,0,1]
	v_pk_fma_f32 v[4:5], v[10:11], v[92:93], v[4:5] op_sel:[0,0,1] op_sel_hi:[1,0,0]
	s_waitcnt vmcnt(3)
	v_mov_b32_e32 v4, v91
	v_mov_b32_e32 v7, v5
	v_pk_mul_f32 v[4:5], v[12:13], v[4:5] op_sel_hi:[1,0]
	v_pk_add_f32 v[2:3], v[2:3], v[6:7]
	s_waitcnt vmcnt(2)
	v_pk_fma_f32 v[6:7], v[12:13], v[90:91], v[4:5] op_sel:[0,0,1] op_sel_hi:[1,1,0] neg_lo:[0,0,1] neg_hi:[0,0,1]
	v_pk_fma_f32 v[4:5], v[12:13], v[90:91], v[4:5] op_sel:[0,0,1] op_sel_hi:[1,0,0]
	s_waitcnt vmcnt(1)
	v_mov_b32_e32 v4, v89
	v_mov_b32_e32 v7, v5
	s_waitcnt lgkmcnt(0)
	v_pk_mul_f32 v[4:5], v[14:15], v[4:5] op_sel_hi:[1,0]
	v_pk_add_f32 v[2:3], v[2:3], v[6:7]
	s_waitcnt vmcnt(0)
	v_pk_fma_f32 v[6:7], v[14:15], v[88:89], v[4:5] op_sel:[0,0,1] op_sel_hi:[1,1,0] neg_lo:[0,0,1] neg_hi:[0,0,1]
	v_pk_fma_f32 v[4:5], v[14:15], v[88:89], v[4:5] op_sel:[0,0,1] op_sel_hi:[1,0,0]
	v_mov_b32_e32 v7, v5
	v_pk_add_f32 v[2:3], v[2:3], v[6:7]
	v_pk_add_f32 v[2:3], v[78:79], v[2:3] neg_lo:[0,1] neg_hi:[0,1]
	buffer_store_dword v3, off, s[0:3], 0 offset:140
	buffer_store_dword v2, off, s[0:3], 0 offset:136
	s_and_saveexec_b64 s[4:5], vcc
	s_cbranch_execz .LBB62_359
; %bb.358:
	buffer_load_dword v2, off, s[0:3], 0 offset:128
	buffer_load_dword v3, off, s[0:3], 0 offset:132
	s_waitcnt vmcnt(0)
	ds_write_b64 v217, v[2:3]
	buffer_store_dword v102, off, s[0:3], 0 offset:128
	buffer_store_dword v102, off, s[0:3], 0 offset:132
.LBB62_359:
	s_or_b64 exec, exec, s[4:5]
	s_waitcnt lgkmcnt(0)
	; wave barrier
	s_waitcnt lgkmcnt(0)
	buffer_load_dword v90, off, s[0:3], 0 offset:140
	buffer_load_dword v92, off, s[0:3], 0 offset:148
	;; [unrolled: 1-line block ×32, first 2 shown]
	ds_read2_b64 v[22:25], v102 offset0:81 offset1:82
	ds_read2_b64 v[18:21], v102 offset0:83 offset1:84
	;; [unrolled: 1-line block ×6, first 2 shown]
	buffer_load_dword v133, off, s[0:3], 0 offset:256
	buffer_load_dword v134, off, s[0:3], 0 offset:260
	;; [unrolled: 1-line block ×32, first 2 shown]
	v_cmp_lt_u32_e32 vcc, 15, v0
	s_waitcnt vmcnt(62) lgkmcnt(5)
	v_mul_f32_e32 v31, v22, v90
	v_mul_f32_e32 v32, v24, v92
	s_waitcnt vmcnt(61) lgkmcnt(4)
	v_mul_f32_e32 v34, v20, v30
	s_waitcnt vmcnt(60) lgkmcnt(3)
	v_mul_f32_e32 v35, v14, v29
	s_waitcnt vmcnt(59)
	v_mul_f32_e32 v36, v16, v1
	s_waitcnt vmcnt(58)
	v_mul_f32_e32 v33, v18, v103
	s_waitcnt vmcnt(57) lgkmcnt(2)
	v_mul_f32_e32 v37, v10, v28
	s_waitcnt vmcnt(56)
	v_mul_f32_e32 v38, v12, v110
	s_waitcnt vmcnt(55) lgkmcnt(1)
	v_mul_f32_e32 v39, v6, v111
	s_waitcnt vmcnt(54)
	v_mul_f32_e32 v40, v8, v112
	s_waitcnt vmcnt(53)
	v_fmac_f32_e32 v33, v19, v113
	s_waitcnt vmcnt(52)
	v_fmac_f32_e32 v32, v25, v114
	;; [unrolled: 2-line block ×3, first 2 shown]
	v_add_f32_e32 v31, 0, v31
	v_add_f32_e32 v31, v31, v32
	;; [unrolled: 1-line block ×3, first 2 shown]
	s_waitcnt vmcnt(47)
	v_fmac_f32_e32 v34, v21, v119
	v_fmac_f32_e32 v35, v15, v118
	v_add_f32_e32 v31, v31, v34
	v_fmac_f32_e32 v36, v17, v117
	v_add_f32_e32 v31, v31, v35
	;; [unrolled: 2-line block ×3, first 2 shown]
	s_waitcnt vmcnt(43)
	v_fmac_f32_e32 v38, v13, v123
	v_add_f32_e32 v31, v31, v37
	v_fmac_f32_e32 v39, v7, v122
	v_add_f32_e32 v31, v31, v38
	v_fmac_f32_e32 v40, v9, v121
	v_add_f32_e32 v31, v31, v39
	s_waitcnt vmcnt(42) lgkmcnt(0)
	v_mul_f32_e32 v32, v2, v124
	v_add_f32_e32 v31, v31, v40
	v_fmac_f32_e32 v32, v3, v120
	v_add_f32_e32 v31, v31, v32
	ds_read2_b64 v[32:35], v102 offset0:93 offset1:94
	buffer_load_dword v165, off, s[0:3], 0 offset:384
	buffer_load_dword v166, off, s[0:3], 0 offset:388
	s_waitcnt vmcnt(43)
	v_mul_f32_e32 v36, v4, v125
	s_waitcnt vmcnt(36)
	v_fmac_f32_e32 v36, v5, v132
	v_add_f32_e32 v31, v31, v36
	ds_read2_b64 v[36:39], v102 offset0:95 offset1:96
	buffer_load_dword v167, off, s[0:3], 0 offset:392
	buffer_load_dword v168, off, s[0:3], 0 offset:396
	buffer_load_dword v169, off, s[0:3], 0 offset:400
	buffer_load_dword v170, off, s[0:3], 0 offset:404
	buffer_load_dword v171, off, s[0:3], 0 offset:408
	buffer_load_dword v172, off, s[0:3], 0 offset:412
	buffer_load_dword v173, off, s[0:3], 0 offset:416
	buffer_load_dword v174, off, s[0:3], 0 offset:420
	s_waitcnt lgkmcnt(1)
	v_mul_f32_e32 v40, v32, v127
	v_fmac_f32_e32 v40, v33, v126
	v_add_f32_e32 v31, v31, v40
	v_mul_f32_e32 v40, v34, v129
	v_fmac_f32_e32 v40, v35, v128
	v_add_f32_e32 v31, v31, v40
	s_waitcnt lgkmcnt(0)
	v_mul_f32_e32 v40, v36, v131
	v_fmac_f32_e32 v40, v37, v130
	v_add_f32_e32 v31, v31, v40
	buffer_load_dword v175, off, s[0:3], 0 offset:424
	buffer_load_dword v176, off, s[0:3], 0 offset:428
	;; [unrolled: 1-line block ×4, first 2 shown]
	ds_read2_b64 v[40:43], v102 offset0:97 offset1:98
	s_waitcnt vmcnt(44)
	v_mul_f32_e32 v44, v38, v134
	v_fmac_f32_e32 v44, v39, v133
	v_add_f32_e32 v31, v31, v44
	ds_read2_b64 v[44:47], v102 offset0:99 offset1:100
	s_waitcnt vmcnt(42) lgkmcnt(1)
	v_mul_f32_e32 v48, v40, v136
	v_fmac_f32_e32 v48, v41, v135
	v_add_f32_e32 v31, v31, v48
	s_waitcnt vmcnt(40)
	v_mul_f32_e32 v48, v42, v138
	v_fmac_f32_e32 v48, v43, v137
	v_add_f32_e32 v31, v31, v48
	s_waitcnt vmcnt(38) lgkmcnt(0)
	v_mul_f32_e32 v48, v44, v140
	v_fmac_f32_e32 v48, v45, v139
	v_add_f32_e32 v31, v31, v48
	ds_read2_b64 v[48:51], v102 offset0:101 offset1:102
	s_waitcnt vmcnt(36)
	v_mul_f32_e32 v52, v46, v142
	v_fmac_f32_e32 v52, v47, v141
	v_add_f32_e32 v31, v31, v52
	ds_read2_b64 v[52:55], v102 offset0:103 offset1:104
	s_waitcnt vmcnt(34) lgkmcnt(1)
	v_mul_f32_e32 v56, v48, v144
	v_fmac_f32_e32 v56, v49, v143
	v_add_f32_e32 v31, v31, v56
	s_waitcnt vmcnt(32)
	v_mul_f32_e32 v56, v50, v146
	v_fmac_f32_e32 v56, v51, v145
	v_add_f32_e32 v31, v31, v56
	s_waitcnt vmcnt(30) lgkmcnt(0)
	v_mul_f32_e32 v56, v52, v148
	v_fmac_f32_e32 v56, v53, v147
	v_add_f32_e32 v31, v31, v56
	;; [unrolled: 18-line block ×4, first 2 shown]
	ds_read2_b64 v[72:75], v102 offset0:113 offset1:114
	v_mul_f32_e32 v23, v23, v90
	v_fma_f32 v22, v22, v115, -v23
	v_mul_f32_e32 v23, v25, v92
	v_add_f32_e32 v22, 0, v22
	s_waitcnt vmcnt(12)
	v_mul_f32_e32 v76, v70, v166
	v_fmac_f32_e32 v76, v71, v165
	v_add_f32_e32 v31, v31, v76
	ds_read2_b64 v[76:79], v102 offset0:115 offset1:116
	buffer_load_dword v89, off, s[0:3], 0 offset:444
	buffer_load_dword v88, off, s[0:3], 0 offset:440
	s_waitcnt vmcnt(12) lgkmcnt(1)
	v_mul_f32_e32 v80, v72, v168
	v_fmac_f32_e32 v80, v73, v167
	v_add_f32_e32 v31, v31, v80
	s_waitcnt vmcnt(10)
	v_mul_f32_e32 v80, v74, v170
	v_fmac_f32_e32 v80, v75, v169
	v_add_f32_e32 v31, v31, v80
	s_waitcnt vmcnt(8) lgkmcnt(0)
	v_mul_f32_e32 v80, v76, v172
	v_fmac_f32_e32 v80, v77, v171
	s_waitcnt vmcnt(6)
	v_mul_f32_e32 v84, v78, v174
	v_add_f32_e32 v31, v31, v80
	v_fmac_f32_e32 v84, v79, v173
	ds_read2_b64 v[80:83], v102 offset0:117 offset1:118
	v_add_f32_e32 v31, v31, v84
	ds_read2_b64 v[84:87], v102 offset0:119 offset1:120
	buffer_load_dword v95, off, s[0:3], 0 offset:476
	buffer_load_dword v94, off, s[0:3], 0 offset:472
	;; [unrolled: 1-line block ×14, first 2 shown]
	v_fma_f32 v23, v24, v114, -v23
	v_mul_f32_e32 v19, v19, v103
	v_add_f32_e32 v22, v22, v23
	v_fma_f32 v18, v18, v113, -v19
	v_mul_f32_e32 v19, v21, v30
	v_add_f32_e32 v18, v22, v18
	;; [unrolled: 3-line block ×5, first 2 shown]
	v_fma_f32 v10, v10, v116, -v11
	v_add_f32_e32 v1, v1, v10
	v_mul_f32_e32 v10, v13, v110
	v_fma_f32 v10, v12, v123, -v10
	v_mul_f32_e32 v7, v7, v111
	v_add_f32_e32 v1, v1, v10
	v_fma_f32 v6, v6, v122, -v7
	v_add_f32_e32 v1, v1, v6
	v_mul_f32_e32 v6, v9, v112
	v_fma_f32 v6, v8, v121, -v6
	v_mul_f32_e32 v3, v3, v124
	v_add_f32_e32 v1, v1, v6
	v_fma_f32 v2, v2, v120, -v3
	v_add_f32_e32 v1, v1, v2
	v_mul_f32_e32 v2, v5, v125
	v_fma_f32 v2, v4, v132, -v2
	v_add_f32_e32 v1, v1, v2
	v_mul_f32_e32 v2, v33, v127
	;; [unrolled: 3-line block ×25, first 2 shown]
	v_fma_f32 v2, v78, v173, -v2
	s_waitcnt vmcnt(15)
	v_mov_b32_e32 v16, v89
	s_waitcnt lgkmcnt(1)
	v_mul_f32_e32 v91, v80, v176
	v_add_f32_e32 v30, v1, v2
	v_mul_f32_e32 v1, v81, v176
	s_waitcnt lgkmcnt(0)
	v_pk_mul_f32 v[16:17], v[84:85], v[16:17] op_sel_hi:[1,0]
	v_fmac_f32_e32 v91, v81, v175
	v_mul_f32_e32 v93, v82, v178
	v_fma_f32 v90, v80, v175, -v1
	v_mul_f32_e32 v1, v83, v178
	s_waitcnt vmcnt(14)
	v_pk_fma_f32 v[18:19], v[84:85], v[88:89], v[16:17] op_sel:[0,0,1] op_sel_hi:[1,1,0] neg_lo:[0,0,1] neg_hi:[0,0,1]
	v_pk_fma_f32 v[16:17], v[84:85], v[88:89], v[16:17] op_sel:[0,0,1] op_sel_hi:[1,0,0]
	v_fmac_f32_e32 v93, v83, v177
	v_fma_f32 v92, v82, v177, -v1
	v_pk_add_f32 v[14:15], v[30:31], v[90:91]
	s_waitcnt vmcnt(7)
	v_mov_b32_e32 v16, v101
	ds_read2_b64 v[2:5], v102 offset0:121 offset1:122
	ds_read2_b64 v[6:9], v102 offset0:123 offset1:124
	ds_read2_b64 v[10:13], v102 offset0:125 offset1:126
	v_pk_add_f32 v[14:15], v[14:15], v[92:93]
	v_mov_b32_e32 v19, v17
	v_pk_mul_f32 v[16:17], v[86:87], v[16:17] op_sel_hi:[1,0]
	v_pk_add_f32 v[14:15], v[14:15], v[18:19]
	s_waitcnt vmcnt(6)
	v_pk_fma_f32 v[18:19], v[86:87], v[100:101], v[16:17] op_sel:[0,0,1] op_sel_hi:[1,1,0] neg_lo:[0,0,1] neg_hi:[0,0,1]
	v_pk_fma_f32 v[16:17], v[86:87], v[100:101], v[16:17] op_sel:[0,0,1] op_sel_hi:[1,0,0]
	v_mov_b32_e32 v16, v99
	v_mov_b32_e32 v19, v17
	s_waitcnt lgkmcnt(2)
	v_pk_mul_f32 v[16:17], v[2:3], v[16:17] op_sel_hi:[1,0]
	v_pk_add_f32 v[14:15], v[14:15], v[18:19]
	v_pk_fma_f32 v[18:19], v[2:3], v[98:99], v[16:17] op_sel:[0,0,1] op_sel_hi:[1,1,0] neg_lo:[0,0,1] neg_hi:[0,0,1]
	v_pk_fma_f32 v[2:3], v[2:3], v[98:99], v[16:17] op_sel:[0,0,1] op_sel_hi:[1,0,0]
	v_mov_b32_e32 v19, v3
	v_pk_add_f32 v[2:3], v[14:15], v[18:19]
	v_mov_b32_e32 v14, v97
	v_pk_mul_f32 v[14:15], v[4:5], v[14:15] op_sel_hi:[1,0]
	v_pk_fma_f32 v[16:17], v[4:5], v[96:97], v[14:15] op_sel:[0,0,1] op_sel_hi:[1,1,0] neg_lo:[0,0,1] neg_hi:[0,0,1]
	v_pk_fma_f32 v[4:5], v[4:5], v[96:97], v[14:15] op_sel:[0,0,1] op_sel_hi:[1,0,0]
	v_mov_b32_e32 v4, v95
	v_mov_b32_e32 v17, v5
	s_waitcnt lgkmcnt(1)
	v_pk_mul_f32 v[4:5], v[6:7], v[4:5] op_sel_hi:[1,0]
	v_pk_fma_f32 v[14:15], v[6:7], v[94:95], v[4:5] op_sel:[0,0,1] op_sel_hi:[1,1,0] neg_lo:[0,0,1] neg_hi:[0,0,1]
	v_pk_fma_f32 v[4:5], v[6:7], v[94:95], v[4:5] op_sel:[0,0,1] op_sel_hi:[1,0,0]
	s_waitcnt vmcnt(1)
	v_mov_b32_e32 v4, v109
	v_mov_b32_e32 v15, v5
	v_pk_mul_f32 v[4:5], v[8:9], v[4:5] op_sel_hi:[1,0]
	s_waitcnt vmcnt(0)
	v_pk_fma_f32 v[6:7], v[8:9], v[108:109], v[4:5] op_sel:[0,0,1] op_sel_hi:[1,1,0] neg_lo:[0,0,1] neg_hi:[0,0,1]
	v_pk_fma_f32 v[4:5], v[8:9], v[108:109], v[4:5] op_sel:[0,0,1] op_sel_hi:[1,0,0]
	v_pk_add_f32 v[2:3], v[2:3], v[16:17]
	v_mov_b32_e32 v4, v107
	v_pk_add_f32 v[2:3], v[2:3], v[14:15]
	v_mov_b32_e32 v7, v5
	s_waitcnt lgkmcnt(0)
	v_pk_mul_f32 v[4:5], v[10:11], v[4:5] op_sel_hi:[1,0]
	v_pk_add_f32 v[2:3], v[2:3], v[6:7]
	v_pk_fma_f32 v[6:7], v[10:11], v[106:107], v[4:5] op_sel:[0,0,1] op_sel_hi:[1,1,0] neg_lo:[0,0,1] neg_hi:[0,0,1]
	v_pk_fma_f32 v[4:5], v[10:11], v[106:107], v[4:5] op_sel:[0,0,1] op_sel_hi:[1,0,0]
	v_mov_b32_e32 v4, v105
	v_mov_b32_e32 v7, v5
	v_pk_mul_f32 v[4:5], v[12:13], v[4:5] op_sel_hi:[1,0]
	v_pk_add_f32 v[2:3], v[2:3], v[6:7]
	v_pk_fma_f32 v[6:7], v[12:13], v[104:105], v[4:5] op_sel:[0,0,1] op_sel_hi:[1,1,0] neg_lo:[0,0,1] neg_hi:[0,0,1]
	v_pk_fma_f32 v[4:5], v[12:13], v[104:105], v[4:5] op_sel:[0,0,1] op_sel_hi:[1,0,0]
	v_mov_b32_e32 v7, v5
	v_pk_add_f32 v[2:3], v[2:3], v[6:7]
	v_pk_add_f32 v[2:3], v[26:27], v[2:3] neg_lo:[0,1] neg_hi:[0,1]
	buffer_store_dword v3, off, s[0:3], 0 offset:132
	buffer_store_dword v2, off, s[0:3], 0 offset:128
	s_and_saveexec_b64 s[4:5], vcc
	s_cbranch_execz .LBB62_361
; %bb.360:
	buffer_load_dword v2, off, s[0:3], 0 offset:120
	buffer_load_dword v3, off, s[0:3], 0 offset:124
	v_mov_b32_e32 v1, 0
	buffer_store_dword v1, off, s[0:3], 0 offset:120
	buffer_store_dword v1, off, s[0:3], 0 offset:124
	s_waitcnt vmcnt(2)
	ds_write_b64 v217, v[2:3]
.LBB62_361:
	s_or_b64 exec, exec, s[4:5]
	s_waitcnt lgkmcnt(0)
	; wave barrier
	s_waitcnt lgkmcnt(0)
	buffer_load_dword v33, off, s[0:3], 0 offset:132
	buffer_load_dword v32, off, s[0:3], 0 offset:140
	;; [unrolled: 1-line block ×48, first 2 shown]
	v_mov_b32_e32 v1, 0
	ds_read_b128 v[22:25], v1 offset:640
	ds_read_b128 v[18:21], v1 offset:656
	;; [unrolled: 1-line block ×6, first 2 shown]
	buffer_load_dword v149, off, s[0:3], 0 offset:312
	buffer_load_dword v150, off, s[0:3], 0 offset:316
	;; [unrolled: 1-line block ×12, first 2 shown]
	v_cmp_lt_u32_e32 vcc, 14, v0
	s_waitcnt vmcnt(59) lgkmcnt(5)
	v_mul_f32_e32 v35, v22, v33
	s_waitcnt vmcnt(58)
	v_mul_f32_e32 v36, v24, v32
	s_waitcnt vmcnt(57) lgkmcnt(4)
	v_mul_f32_e32 v38, v20, v31
	s_waitcnt vmcnt(56) lgkmcnt(3)
	v_mul_f32_e32 v39, v14, v30
	s_waitcnt vmcnt(55)
	v_mul_f32_e32 v40, v16, v28
	s_waitcnt vmcnt(54)
	v_mul_f32_e32 v37, v18, v34
	s_waitcnt vmcnt(53) lgkmcnt(2)
	v_mul_f32_e32 v41, v10, v29
	s_waitcnt vmcnt(52)
	v_mul_f32_e32 v42, v12, v92
	s_waitcnt vmcnt(51) lgkmcnt(1)
	v_mul_f32_e32 v43, v6, v94
	s_waitcnt vmcnt(50)
	v_mul_f32_e32 v44, v8, v112
	s_waitcnt vmcnt(49)
	v_fmac_f32_e32 v37, v19, v113
	s_waitcnt vmcnt(48)
	v_fmac_f32_e32 v36, v25, v114
	;; [unrolled: 2-line block ×3, first 2 shown]
	v_add_f32_e32 v35, 0, v35
	v_add_f32_e32 v35, v35, v36
	;; [unrolled: 1-line block ×3, first 2 shown]
	s_waitcnt vmcnt(43)
	v_fmac_f32_e32 v38, v21, v119
	v_fmac_f32_e32 v39, v15, v118
	v_add_f32_e32 v35, v35, v38
	v_fmac_f32_e32 v40, v17, v117
	v_add_f32_e32 v35, v35, v39
	;; [unrolled: 2-line block ×3, first 2 shown]
	s_waitcnt vmcnt(39)
	v_fmac_f32_e32 v42, v13, v123
	v_add_f32_e32 v35, v35, v41
	v_fmac_f32_e32 v43, v7, v122
	v_add_f32_e32 v35, v35, v42
	;; [unrolled: 2-line block ×3, first 2 shown]
	s_waitcnt vmcnt(38) lgkmcnt(0)
	v_mul_f32_e32 v36, v2, v124
	v_add_f32_e32 v35, v35, v44
	v_fmac_f32_e32 v36, v3, v120
	v_add_f32_e32 v35, v35, v36
	ds_read_b128 v[36:39], v1 offset:736
	buffer_load_dword v161, off, s[0:3], 0 offset:360
	buffer_load_dword v162, off, s[0:3], 0 offset:364
	;; [unrolled: 1-line block ×4, first 2 shown]
	s_waitcnt vmcnt(35)
	v_mul_f32_e32 v40, v4, v131
	s_waitcnt vmcnt(34)
	v_fmac_f32_e32 v40, v5, v132
	v_add_f32_e32 v35, v35, v40
	ds_read_b128 v[40:43], v1 offset:752
	buffer_load_dword v165, off, s[0:3], 0 offset:376
	buffer_load_dword v166, off, s[0:3], 0 offset:380
	;; [unrolled: 1-line block ×10, first 2 shown]
	s_waitcnt lgkmcnt(1)
	v_mul_f32_e32 v44, v36, v126
	v_fmac_f32_e32 v44, v37, v125
	v_add_f32_e32 v35, v35, v44
	v_mul_f32_e32 v44, v38, v128
	v_fmac_f32_e32 v44, v39, v127
	v_add_f32_e32 v35, v35, v44
	s_waitcnt lgkmcnt(0)
	v_mul_f32_e32 v44, v40, v130
	v_fmac_f32_e32 v44, v41, v129
	v_add_f32_e32 v35, v35, v44
	buffer_load_dword v175, off, s[0:3], 0 offset:416
	buffer_load_dword v176, off, s[0:3], 0 offset:420
	;; [unrolled: 1-line block ×6, first 2 shown]
	ds_read_b128 v[44:47], v1 offset:768
	s_waitcnt vmcnt(46)
	v_mul_f32_e32 v48, v42, v134
	v_fmac_f32_e32 v48, v43, v133
	v_add_f32_e32 v35, v35, v48
	ds_read_b128 v[48:51], v1 offset:784
	s_waitcnt vmcnt(44) lgkmcnt(1)
	v_mul_f32_e32 v52, v44, v136
	v_fmac_f32_e32 v52, v45, v135
	v_add_f32_e32 v35, v35, v52
	s_waitcnt vmcnt(42)
	v_mul_f32_e32 v52, v46, v138
	v_fmac_f32_e32 v52, v47, v137
	v_add_f32_e32 v35, v35, v52
	s_waitcnt vmcnt(40) lgkmcnt(0)
	v_mul_f32_e32 v52, v48, v140
	v_fmac_f32_e32 v52, v49, v139
	v_add_f32_e32 v35, v35, v52
	ds_read_b128 v[52:55], v1 offset:800
	s_waitcnt vmcnt(38)
	v_mul_f32_e32 v56, v50, v142
	v_fmac_f32_e32 v56, v51, v141
	v_add_f32_e32 v35, v35, v56
	ds_read_b128 v[56:59], v1 offset:816
	s_waitcnt vmcnt(36) lgkmcnt(1)
	v_mul_f32_e32 v60, v52, v144
	v_fmac_f32_e32 v60, v53, v143
	v_add_f32_e32 v35, v35, v60
	s_waitcnt vmcnt(34)
	v_mul_f32_e32 v60, v54, v146
	v_fmac_f32_e32 v60, v55, v145
	v_add_f32_e32 v35, v35, v60
	s_waitcnt vmcnt(32) lgkmcnt(0)
	v_mul_f32_e32 v60, v56, v148
	v_fmac_f32_e32 v60, v57, v147
	v_add_f32_e32 v35, v35, v60
	;; [unrolled: 18-line block ×3, first 2 shown]
	ds_read_b128 v[68:71], v1 offset:864
	s_waitcnt vmcnt(22)
	v_mul_f32_e32 v72, v66, v158
	v_fmac_f32_e32 v72, v67, v157
	v_add_f32_e32 v35, v35, v72
	ds_read_b128 v[72:75], v1 offset:880
	s_waitcnt vmcnt(20) lgkmcnt(1)
	v_mul_f32_e32 v76, v68, v160
	v_fmac_f32_e32 v76, v69, v159
	v_add_f32_e32 v35, v35, v76
	v_mul_f32_e32 v23, v23, v33
	v_fma_f32 v22, v22, v115, -v23
	v_mul_f32_e32 v23, v25, v32
	v_add_f32_e32 v22, 0, v22
	v_fma_f32 v23, v24, v114, -v23
	v_mul_f32_e32 v19, v19, v34
	v_add_f32_e32 v22, v22, v23
	v_fma_f32 v18, v18, v113, -v19
	v_mul_f32_e32 v19, v21, v31
	s_waitcnt vmcnt(18)
	v_mul_f32_e32 v76, v70, v162
	v_fmac_f32_e32 v76, v71, v161
	v_add_f32_e32 v35, v35, v76
	s_waitcnt vmcnt(16) lgkmcnt(0)
	v_mul_f32_e32 v76, v72, v164
	v_fmac_f32_e32 v76, v73, v163
	v_add_f32_e32 v35, v35, v76
	ds_read_b128 v[76:79], v1 offset:896
	s_waitcnt vmcnt(14)
	v_mul_f32_e32 v80, v74, v166
	v_fmac_f32_e32 v80, v75, v165
	v_add_f32_e32 v35, v35, v80
	ds_read_b128 v[80:83], v1 offset:912
	s_waitcnt vmcnt(12) lgkmcnt(1)
	v_mul_f32_e32 v84, v76, v168
	v_fmac_f32_e32 v84, v77, v167
	v_add_f32_e32 v35, v35, v84
	s_waitcnt vmcnt(10)
	v_mul_f32_e32 v84, v78, v170
	v_fmac_f32_e32 v84, v79, v169
	v_add_f32_e32 v35, v35, v84
	s_waitcnt vmcnt(8) lgkmcnt(0)
	v_mul_f32_e32 v84, v80, v172
	v_fmac_f32_e32 v84, v81, v171
	s_waitcnt vmcnt(6)
	v_mul_f32_e32 v88, v82, v174
	v_add_f32_e32 v35, v35, v84
	v_fmac_f32_e32 v88, v83, v173
	ds_read_b128 v[84:87], v1 offset:928
	v_add_f32_e32 v35, v35, v88
	ds_read_b128 v[88:91], v1 offset:944
	buffer_load_dword v97, off, s[0:3], 0 offset:468
	buffer_load_dword v96, off, s[0:3], 0 offset:464
	buffer_load_dword v99, off, s[0:3], 0 offset:460
	buffer_load_dword v98, off, s[0:3], 0 offset:456
	buffer_load_dword v101, off, s[0:3], 0 offset:452
	buffer_load_dword v100, off, s[0:3], 0 offset:448
	buffer_load_dword v103, off, s[0:3], 0 offset:444
	buffer_load_dword v102, off, s[0:3], 0 offset:440
	buffer_load_dword v105, off, s[0:3], 0 offset:500
	buffer_load_dword v104, off, s[0:3], 0 offset:496
	buffer_load_dword v107, off, s[0:3], 0 offset:492
	buffer_load_dword v106, off, s[0:3], 0 offset:488
	buffer_load_dword v109, off, s[0:3], 0 offset:484
	buffer_load_dword v108, off, s[0:3], 0 offset:480
	buffer_load_dword v111, off, s[0:3], 0 offset:476
	buffer_load_dword v110, off, s[0:3], 0 offset:472
	v_add_f32_e32 v18, v22, v18
	v_fma_f32 v19, v20, v119, -v19
	v_mul_f32_e32 v15, v15, v30
	v_add_f32_e32 v18, v18, v19
	v_fma_f32 v14, v14, v118, -v15
	v_mul_f32_e32 v15, v17, v28
	;; [unrolled: 3-line block ×8, first 2 shown]
	v_add_f32_e32 v2, v6, v2
	v_fma_f32 v3, v4, v132, -v3
	v_add_f32_e32 v2, v2, v3
	v_mul_f32_e32 v3, v37, v126
	v_fma_f32 v3, v36, v125, -v3
	v_add_f32_e32 v2, v2, v3
	v_mul_f32_e32 v3, v39, v128
	;; [unrolled: 3-line block ×24, first 2 shown]
	v_fma_f32 v3, v82, v173, -v3
	v_add_f32_e32 v2, v2, v3
	s_waitcnt vmcnt(20) lgkmcnt(1)
	v_mul_f32_e32 v3, v85, v176
	v_mul_f32_e32 v93, v84, v176
	v_fma_f32 v3, v84, v175, -v3
	v_fmac_f32_e32 v93, v85, v175
	v_add_f32_e32 v34, v2, v3
	s_waitcnt vmcnt(18)
	v_mul_f32_e32 v2, v87, v178
	s_waitcnt vmcnt(9)
	v_mov_b32_e32 v18, v103
	v_add_f32_e32 v35, v35, v93
	v_mul_f32_e32 v93, v86, v178
	v_fma_f32 v92, v86, v177, -v2
	s_waitcnt lgkmcnt(0)
	v_mul_f32_e32 v2, v89, v180
	v_pk_mul_f32 v[18:19], v[90:91], v[18:19] op_sel_hi:[1,0]
	v_fmac_f32_e32 v93, v87, v177
	v_mul_f32_e32 v95, v88, v180
	v_fma_f32 v94, v88, v179, -v2
	ds_read_b128 v[2:5], v1 offset:960
	ds_read_b128 v[6:9], v1 offset:976
	;; [unrolled: 1-line block ×3, first 2 shown]
	ds_read_b64 v[14:15], v1 offset:1008
	s_waitcnt vmcnt(8)
	v_pk_fma_f32 v[20:21], v[90:91], v[102:103], v[18:19] op_sel:[0,0,1] op_sel_hi:[1,1,0] neg_lo:[0,0,1] neg_hi:[0,0,1]
	v_pk_fma_f32 v[18:19], v[90:91], v[102:103], v[18:19] op_sel:[0,0,1] op_sel_hi:[1,0,0]
	v_fmac_f32_e32 v95, v89, v179
	v_pk_add_f32 v[16:17], v[34:35], v[92:93]
	v_mov_b32_e32 v18, v101
	v_pk_add_f32 v[16:17], v[16:17], v[94:95]
	v_mov_b32_e32 v21, v19
	s_waitcnt lgkmcnt(3)
	v_pk_mul_f32 v[18:19], v[2:3], v[18:19] op_sel_hi:[1,0]
	v_pk_add_f32 v[16:17], v[16:17], v[20:21]
	v_pk_fma_f32 v[20:21], v[2:3], v[100:101], v[18:19] op_sel:[0,0,1] op_sel_hi:[1,1,0] neg_lo:[0,0,1] neg_hi:[0,0,1]
	v_pk_fma_f32 v[2:3], v[2:3], v[100:101], v[18:19] op_sel:[0,0,1] op_sel_hi:[1,0,0]
	v_mov_b32_e32 v21, v3
	v_pk_add_f32 v[2:3], v[16:17], v[20:21]
	v_mov_b32_e32 v16, v99
	v_pk_mul_f32 v[16:17], v[4:5], v[16:17] op_sel_hi:[1,0]
	v_pk_fma_f32 v[18:19], v[4:5], v[98:99], v[16:17] op_sel:[0,0,1] op_sel_hi:[1,1,0] neg_lo:[0,0,1] neg_hi:[0,0,1]
	v_pk_fma_f32 v[4:5], v[4:5], v[98:99], v[16:17] op_sel:[0,0,1] op_sel_hi:[1,0,0]
	v_mov_b32_e32 v4, v97
	v_mov_b32_e32 v19, v5
	s_waitcnt lgkmcnt(2)
	v_pk_mul_f32 v[4:5], v[6:7], v[4:5] op_sel_hi:[1,0]
	v_pk_fma_f32 v[16:17], v[6:7], v[96:97], v[4:5] op_sel:[0,0,1] op_sel_hi:[1,1,0] neg_lo:[0,0,1] neg_hi:[0,0,1]
	v_pk_fma_f32 v[4:5], v[6:7], v[96:97], v[4:5] op_sel:[0,0,1] op_sel_hi:[1,0,0]
	s_waitcnt vmcnt(1)
	v_mov_b32_e32 v4, v111
	v_mov_b32_e32 v17, v5
	v_pk_mul_f32 v[4:5], v[8:9], v[4:5] op_sel_hi:[1,0]
	s_waitcnt vmcnt(0)
	v_pk_fma_f32 v[6:7], v[8:9], v[110:111], v[4:5] op_sel:[0,0,1] op_sel_hi:[1,1,0] neg_lo:[0,0,1] neg_hi:[0,0,1]
	v_pk_fma_f32 v[4:5], v[8:9], v[110:111], v[4:5] op_sel:[0,0,1] op_sel_hi:[1,0,0]
	v_pk_add_f32 v[2:3], v[2:3], v[18:19]
	v_mov_b32_e32 v4, v109
	v_pk_add_f32 v[2:3], v[2:3], v[16:17]
	v_mov_b32_e32 v7, v5
	s_waitcnt lgkmcnt(1)
	v_pk_mul_f32 v[4:5], v[10:11], v[4:5] op_sel_hi:[1,0]
	v_pk_add_f32 v[2:3], v[2:3], v[6:7]
	v_pk_fma_f32 v[6:7], v[10:11], v[108:109], v[4:5] op_sel:[0,0,1] op_sel_hi:[1,1,0] neg_lo:[0,0,1] neg_hi:[0,0,1]
	v_pk_fma_f32 v[4:5], v[10:11], v[108:109], v[4:5] op_sel:[0,0,1] op_sel_hi:[1,0,0]
	v_mov_b32_e32 v4, v107
	v_mov_b32_e32 v7, v5
	v_pk_mul_f32 v[4:5], v[12:13], v[4:5] op_sel_hi:[1,0]
	v_pk_add_f32 v[2:3], v[2:3], v[6:7]
	v_pk_fma_f32 v[6:7], v[12:13], v[106:107], v[4:5] op_sel:[0,0,1] op_sel_hi:[1,1,0] neg_lo:[0,0,1] neg_hi:[0,0,1]
	v_pk_fma_f32 v[4:5], v[12:13], v[106:107], v[4:5] op_sel:[0,0,1] op_sel_hi:[1,0,0]
	v_mov_b32_e32 v4, v105
	v_mov_b32_e32 v7, v5
	s_waitcnt lgkmcnt(0)
	v_pk_mul_f32 v[4:5], v[14:15], v[4:5] op_sel_hi:[1,0]
	v_pk_add_f32 v[2:3], v[2:3], v[6:7]
	v_pk_fma_f32 v[6:7], v[14:15], v[104:105], v[4:5] op_sel:[0,0,1] op_sel_hi:[1,1,0] neg_lo:[0,0,1] neg_hi:[0,0,1]
	v_pk_fma_f32 v[4:5], v[14:15], v[104:105], v[4:5] op_sel:[0,0,1] op_sel_hi:[1,0,0]
	v_mov_b32_e32 v7, v5
	v_pk_add_f32 v[2:3], v[2:3], v[6:7]
	v_pk_add_f32 v[2:3], v[26:27], v[2:3] neg_lo:[0,1] neg_hi:[0,1]
	buffer_store_dword v3, off, s[0:3], 0 offset:124
	buffer_store_dword v2, off, s[0:3], 0 offset:120
	s_and_saveexec_b64 s[4:5], vcc
	s_cbranch_execz .LBB62_363
; %bb.362:
	buffer_load_dword v2, off, s[0:3], 0 offset:112
	buffer_load_dword v3, off, s[0:3], 0 offset:116
	s_waitcnt vmcnt(0)
	ds_write_b64 v217, v[2:3]
	buffer_store_dword v1, off, s[0:3], 0 offset:112
	buffer_store_dword v1, off, s[0:3], 0 offset:116
.LBB62_363:
	s_or_b64 exec, exec, s[4:5]
	s_waitcnt lgkmcnt(0)
	; wave barrier
	s_waitcnt lgkmcnt(0)
	buffer_load_dword v41, off, s[0:3], 0 offset:124
	buffer_load_dword v40, off, s[0:3], 0 offset:132
	buffer_load_dword v39, off, s[0:3], 0 offset:148
	buffer_load_dword v38, off, s[0:3], 0 offset:156
	buffer_load_dword v36, off, s[0:3], 0 offset:164
	buffer_load_dword v42, off, s[0:3], 0 offset:140
	buffer_load_dword v37, off, s[0:3], 0 offset:172
	buffer_load_dword v43, off, s[0:3], 0 offset:180
	buffer_load_dword v92, off, s[0:3], 0 offset:188
	buffer_load_dword v94, off, s[0:3], 0 offset:196
	buffer_load_dword v102, off, s[0:3], 0 offset:204
	buffer_load_dword v114, off, s[0:3], 0 offset:136
	buffer_load_dword v115, off, s[0:3], 0 offset:128
	buffer_load_dword v116, off, s[0:3], 0 offset:120
	buffer_load_dword v117, off, s[0:3], 0 offset:168
	buffer_load_dword v118, off, s[0:3], 0 offset:160
	buffer_load_dword v119, off, s[0:3], 0 offset:152
	buffer_load_dword v120, off, s[0:3], 0 offset:144
	buffer_load_dword v121, off, s[0:3], 0 offset:200
	buffer_load_dword v122, off, s[0:3], 0 offset:192
	buffer_load_dword v123, off, s[0:3], 0 offset:184
	buffer_load_dword v124, off, s[0:3], 0 offset:176
	buffer_load_dword v125, off, s[0:3], 0 offset:224
	buffer_load_dword v126, off, s[0:3], 0 offset:228
	buffer_load_dword v127, off, s[0:3], 0 offset:232
	buffer_load_dword v128, off, s[0:3], 0 offset:236
	buffer_load_dword v129, off, s[0:3], 0 offset:216
	buffer_load_dword v130, off, s[0:3], 0 offset:212
	buffer_load_dword v131, off, s[0:3], 0 offset:208
	buffer_load_dword v132, off, s[0:3], 0 offset:220
	buffer_load_dword v34, off, s[0:3], 0 offset:112
	buffer_load_dword v35, off, s[0:3], 0 offset:116
	ds_read2_b64 v[22:25], v1 offset0:79 offset1:80
	ds_read2_b64 v[18:21], v1 offset0:81 offset1:82
	;; [unrolled: 1-line block ×6, first 2 shown]
	buffer_load_dword v133, off, s[0:3], 0 offset:240
	buffer_load_dword v134, off, s[0:3], 0 offset:244
	;; [unrolled: 1-line block ×26, first 2 shown]
	v_cmp_lt_u32_e32 vcc, 13, v0
	s_waitcnt vmcnt(57) lgkmcnt(5)
	v_mul_f32_e32 v26, v22, v41
	s_waitcnt vmcnt(56)
	v_mul_f32_e32 v27, v24, v40
	s_waitcnt vmcnt(55) lgkmcnt(4)
	v_mul_f32_e32 v29, v20, v39
	s_waitcnt vmcnt(54) lgkmcnt(3)
	v_mul_f32_e32 v30, v14, v38
	s_waitcnt vmcnt(53)
	v_mul_f32_e32 v31, v16, v36
	s_waitcnt vmcnt(52)
	v_mul_f32_e32 v28, v18, v42
	s_waitcnt vmcnt(51) lgkmcnt(2)
	v_mul_f32_e32 v32, v10, v37
	s_waitcnt vmcnt(50)
	v_mul_f32_e32 v33, v12, v43
	s_waitcnt vmcnt(49) lgkmcnt(1)
	;; [unrolled: 4-line block ×3, first 2 shown]
	v_mul_f32_e32 v46, v2, v102
	s_waitcnt vmcnt(46)
	v_fmac_f32_e32 v28, v19, v114
	s_waitcnt vmcnt(45)
	v_fmac_f32_e32 v27, v25, v115
	;; [unrolled: 2-line block ×3, first 2 shown]
	v_add_f32_e32 v26, 0, v26
	v_add_f32_e32 v26, v26, v27
	;; [unrolled: 1-line block ×3, first 2 shown]
	s_waitcnt vmcnt(40)
	v_fmac_f32_e32 v29, v21, v120
	v_fmac_f32_e32 v30, v15, v119
	v_add_f32_e32 v26, v26, v29
	v_fmac_f32_e32 v31, v17, v118
	v_add_f32_e32 v26, v26, v30
	;; [unrolled: 2-line block ×3, first 2 shown]
	s_waitcnt vmcnt(36)
	v_fmac_f32_e32 v33, v13, v124
	v_add_f32_e32 v26, v26, v32
	v_fmac_f32_e32 v44, v7, v123
	v_add_f32_e32 v26, v26, v33
	;; [unrolled: 2-line block ×4, first 2 shown]
	s_waitcnt vmcnt(30)
	v_mul_f32_e32 v27, v4, v130
	v_add_f32_e32 v26, v26, v46
	s_waitcnt vmcnt(29)
	v_fmac_f32_e32 v27, v5, v131
	v_add_f32_e32 v44, v26, v27
	ds_read2_b64 v[26:29], v1 offset0:91 offset1:92
	buffer_load_dword v159, off, s[0:3], 0 offset:344
	buffer_load_dword v160, off, s[0:3], 0 offset:348
	ds_read2_b64 v[30:33], v1 offset0:93 offset1:94
	buffer_load_dword v161, off, s[0:3], 0 offset:352
	buffer_load_dword v162, off, s[0:3], 0 offset:356
	;; [unrolled: 1-line block ×14, first 2 shown]
	s_waitcnt vmcnt(44) lgkmcnt(1)
	v_mul_f32_e32 v45, v26, v132
	v_fmac_f32_e32 v45, v27, v129
	v_add_f32_e32 v44, v44, v45
	v_mul_f32_e32 v45, v28, v126
	v_fmac_f32_e32 v45, v29, v125
	v_add_f32_e32 v44, v44, v45
	s_waitcnt lgkmcnt(0)
	v_mul_f32_e32 v45, v30, v128
	v_fmac_f32_e32 v45, v31, v127
	v_add_f32_e32 v48, v44, v45
	buffer_load_dword v175, off, s[0:3], 0 offset:408
	buffer_load_dword v176, off, s[0:3], 0 offset:412
	ds_read2_b64 v[44:47], v1 offset0:95 offset1:96
	s_waitcnt vmcnt(42)
	v_mul_f32_e32 v49, v32, v134
	v_fmac_f32_e32 v49, v33, v133
	buffer_load_dword v177, off, s[0:3], 0 offset:416
	buffer_load_dword v178, off, s[0:3], 0 offset:420
	v_add_f32_e32 v52, v48, v49
	buffer_load_dword v179, off, s[0:3], 0 offset:424
	buffer_load_dword v180, off, s[0:3], 0 offset:428
	ds_read2_b64 v[48:51], v1 offset0:97 offset1:98
	s_waitcnt vmcnt(44) lgkmcnt(1)
	v_mul_f32_e32 v53, v44, v136
	v_fmac_f32_e32 v53, v45, v135
	v_add_f32_e32 v52, v52, v53
	s_waitcnt vmcnt(42)
	v_mul_f32_e32 v53, v46, v138
	v_fmac_f32_e32 v53, v47, v137
	v_add_f32_e32 v52, v52, v53
	s_waitcnt vmcnt(40) lgkmcnt(0)
	v_mul_f32_e32 v53, v48, v140
	v_fmac_f32_e32 v53, v49, v139
	buffer_load_dword v181, off, s[0:3], 0 offset:432
	buffer_load_dword v182, off, s[0:3], 0 offset:436
	v_add_f32_e32 v56, v52, v53
	ds_read2_b64 v[52:55], v1 offset0:99 offset1:100
	s_waitcnt vmcnt(40)
	v_mul_f32_e32 v57, v50, v142
	v_fmac_f32_e32 v57, v51, v141
	v_add_f32_e32 v60, v56, v57
	ds_read2_b64 v[56:59], v1 offset0:101 offset1:102
	s_waitcnt vmcnt(38) lgkmcnt(1)
	v_mul_f32_e32 v61, v52, v144
	v_fmac_f32_e32 v61, v53, v143
	v_add_f32_e32 v60, v60, v61
	s_waitcnt vmcnt(36)
	v_mul_f32_e32 v61, v54, v146
	v_fmac_f32_e32 v61, v55, v145
	v_add_f32_e32 v60, v60, v61
	s_waitcnt vmcnt(34) lgkmcnt(0)
	v_mul_f32_e32 v61, v56, v148
	v_fmac_f32_e32 v61, v57, v147
	v_add_f32_e32 v64, v60, v61
	ds_read2_b64 v[60:63], v1 offset0:103 offset1:104
	s_waitcnt vmcnt(32)
	v_mul_f32_e32 v65, v58, v150
	v_fmac_f32_e32 v65, v59, v149
	v_add_f32_e32 v68, v64, v65
	ds_read2_b64 v[64:67], v1 offset0:105 offset1:106
	s_waitcnt vmcnt(30) lgkmcnt(1)
	v_mul_f32_e32 v69, v60, v152
	v_fmac_f32_e32 v69, v61, v151
	v_add_f32_e32 v68, v68, v69
	s_waitcnt vmcnt(28)
	v_mul_f32_e32 v69, v62, v154
	v_fmac_f32_e32 v69, v63, v153
	v_add_f32_e32 v68, v68, v69
	s_waitcnt vmcnt(26) lgkmcnt(0)
	v_mul_f32_e32 v69, v64, v156
	v_fmac_f32_e32 v69, v65, v155
	v_add_f32_e32 v72, v68, v69
	ds_read2_b64 v[68:71], v1 offset0:107 offset1:108
	s_waitcnt vmcnt(24)
	v_mul_f32_e32 v73, v66, v158
	v_fmac_f32_e32 v73, v67, v157
	v_add_f32_e32 v76, v72, v73
	ds_read2_b64 v[72:75], v1 offset0:109 offset1:110
	v_mul_f32_e32 v23, v23, v41
	v_fma_f32 v22, v22, v116, -v23
	v_mul_f32_e32 v23, v25, v40
	v_add_f32_e32 v22, 0, v22
	v_fma_f32 v23, v24, v115, -v23
	v_mul_f32_e32 v19, v19, v42
	v_add_f32_e32 v22, v22, v23
	;; [unrolled: 3-line block ×3, first 2 shown]
	v_fma_f32 v19, v20, v120, -v19
	s_waitcnt vmcnt(22) lgkmcnt(1)
	v_mul_f32_e32 v77, v68, v160
	v_fmac_f32_e32 v77, v69, v159
	v_add_f32_e32 v76, v76, v77
	s_waitcnt vmcnt(20)
	v_mul_f32_e32 v77, v70, v162
	v_fmac_f32_e32 v77, v71, v161
	v_add_f32_e32 v76, v76, v77
	s_waitcnt vmcnt(18) lgkmcnt(0)
	v_mul_f32_e32 v77, v72, v164
	v_fmac_f32_e32 v77, v73, v163
	v_add_f32_e32 v80, v76, v77
	ds_read2_b64 v[76:79], v1 offset0:111 offset1:112
	s_waitcnt vmcnt(16)
	v_mul_f32_e32 v81, v74, v166
	v_fmac_f32_e32 v81, v75, v165
	v_add_f32_e32 v84, v80, v81
	ds_read2_b64 v[80:83], v1 offset0:113 offset1:114
	s_waitcnt vmcnt(14) lgkmcnt(1)
	v_mul_f32_e32 v85, v76, v168
	v_fmac_f32_e32 v85, v77, v167
	v_add_f32_e32 v84, v84, v85
	s_waitcnt vmcnt(12)
	v_mul_f32_e32 v85, v78, v170
	v_fmac_f32_e32 v85, v79, v169
	v_add_f32_e32 v84, v84, v85
	s_waitcnt vmcnt(10) lgkmcnt(0)
	v_mul_f32_e32 v85, v80, v172
	v_fmac_f32_e32 v85, v81, v171
	s_waitcnt vmcnt(8)
	v_mul_f32_e32 v89, v82, v174
	v_add_f32_e32 v88, v84, v85
	v_fmac_f32_e32 v89, v83, v173
	ds_read2_b64 v[84:87], v1 offset0:115 offset1:116
	v_add_f32_e32 v93, v88, v89
	ds_read2_b64 v[88:91], v1 offset0:117 offset1:118
	buffer_load_dword v97, off, s[0:3], 0 offset:460
	buffer_load_dword v96, off, s[0:3], 0 offset:456
	buffer_load_dword v99, off, s[0:3], 0 offset:452
	buffer_load_dword v98, off, s[0:3], 0 offset:448
	buffer_load_dword v101, off, s[0:3], 0 offset:444
	buffer_load_dword v100, off, s[0:3], 0 offset:440
	buffer_load_dword v105, off, s[0:3], 0 offset:492
	buffer_load_dword v104, off, s[0:3], 0 offset:488
	buffer_load_dword v107, off, s[0:3], 0 offset:484
	buffer_load_dword v106, off, s[0:3], 0 offset:480
	buffer_load_dword v109, off, s[0:3], 0 offset:476
	buffer_load_dword v108, off, s[0:3], 0 offset:472
	buffer_load_dword v111, off, s[0:3], 0 offset:468
	buffer_load_dword v110, off, s[0:3], 0 offset:464
	buffer_load_dword v113, off, s[0:3], 0 offset:500
	buffer_load_dword v112, off, s[0:3], 0 offset:496
	v_mul_f32_e32 v15, v15, v38
	v_add_f32_e32 v18, v18, v19
	v_fma_f32 v14, v14, v119, -v15
	v_mul_f32_e32 v15, v17, v36
	v_add_f32_e32 v14, v18, v14
	v_fma_f32 v15, v16, v118, -v15
	;; [unrolled: 3-line block ×8, first 2 shown]
	v_add_f32_e32 v2, v2, v3
	v_mul_f32_e32 v3, v27, v132
	v_fma_f32 v3, v26, v129, -v3
	v_add_f32_e32 v2, v2, v3
	v_mul_f32_e32 v3, v29, v126
	v_fma_f32 v3, v28, v125, -v3
	;; [unrolled: 3-line block ×24, first 2 shown]
	v_add_f32_e32 v2, v2, v3
	s_waitcnt vmcnt(22) lgkmcnt(1)
	v_mul_f32_e32 v3, v85, v176
	v_fma_f32 v3, v84, v175, -v3
	v_add_f32_e32 v2, v2, v3
	s_waitcnt vmcnt(20)
	v_mul_f32_e32 v3, v87, v178
	v_mul_f32_e32 v95, v84, v176
	v_fma_f32 v3, v86, v177, -v3
	v_fmac_f32_e32 v95, v85, v175
	v_add_f32_e32 v92, v2, v3
	s_waitcnt vmcnt(18) lgkmcnt(0)
	v_mul_f32_e32 v2, v89, v180
	v_add_f32_e32 v93, v93, v95
	v_mul_f32_e32 v95, v86, v178
	v_fma_f32 v94, v88, v179, -v2
	s_waitcnt vmcnt(16)
	v_mul_f32_e32 v2, v91, v182
	v_fmac_f32_e32 v95, v87, v177
	v_fma_f32 v102, v90, v181, -v2
	ds_read2_b64 v[2:5], v1 offset0:119 offset1:120
	ds_read2_b64 v[6:9], v1 offset0:121 offset1:122
	;; [unrolled: 1-line block ×4, first 2 shown]
	v_add_f32_e32 v93, v93, v95
	v_mul_f32_e32 v95, v88, v180
	s_waitcnt vmcnt(11)
	v_mov_b32_e32 v20, v101
	v_fmac_f32_e32 v95, v89, v179
	v_mul_f32_e32 v103, v90, v182
	s_waitcnt lgkmcnt(3)
	v_pk_mul_f32 v[20:21], v[2:3], v[20:21] op_sel_hi:[1,0]
	v_fmac_f32_e32 v103, v91, v181
	v_pk_add_f32 v[18:19], v[92:93], v[94:95]
	s_waitcnt vmcnt(10)
	v_pk_fma_f32 v[22:23], v[2:3], v[100:101], v[20:21] op_sel:[0,0,1] op_sel_hi:[1,1,0] neg_lo:[0,0,1] neg_hi:[0,0,1]
	v_pk_fma_f32 v[2:3], v[2:3], v[100:101], v[20:21] op_sel:[0,0,1] op_sel_hi:[1,0,0]
	v_pk_add_f32 v[18:19], v[18:19], v[102:103]
	v_mov_b32_e32 v23, v3
	v_pk_add_f32 v[2:3], v[18:19], v[22:23]
	v_mov_b32_e32 v18, v99
	v_pk_mul_f32 v[18:19], v[4:5], v[18:19] op_sel_hi:[1,0]
	v_pk_fma_f32 v[20:21], v[4:5], v[98:99], v[18:19] op_sel:[0,0,1] op_sel_hi:[1,1,0] neg_lo:[0,0,1] neg_hi:[0,0,1]
	v_pk_fma_f32 v[4:5], v[4:5], v[98:99], v[18:19] op_sel:[0,0,1] op_sel_hi:[1,0,0]
	v_mov_b32_e32 v4, v97
	v_mov_b32_e32 v21, v5
	s_waitcnt lgkmcnt(2)
	v_pk_mul_f32 v[4:5], v[6:7], v[4:5] op_sel_hi:[1,0]
	v_pk_fma_f32 v[18:19], v[6:7], v[96:97], v[4:5] op_sel:[0,0,1] op_sel_hi:[1,1,0] neg_lo:[0,0,1] neg_hi:[0,0,1]
	v_pk_fma_f32 v[4:5], v[6:7], v[96:97], v[4:5] op_sel:[0,0,1] op_sel_hi:[1,0,0]
	s_waitcnt vmcnt(3)
	v_mov_b32_e32 v4, v111
	v_mov_b32_e32 v19, v5
	v_pk_mul_f32 v[4:5], v[8:9], v[4:5] op_sel_hi:[1,0]
	s_waitcnt vmcnt(2)
	v_pk_fma_f32 v[6:7], v[8:9], v[110:111], v[4:5] op_sel:[0,0,1] op_sel_hi:[1,1,0] neg_lo:[0,0,1] neg_hi:[0,0,1]
	v_pk_fma_f32 v[4:5], v[8:9], v[110:111], v[4:5] op_sel:[0,0,1] op_sel_hi:[1,0,0]
	v_pk_add_f32 v[2:3], v[2:3], v[20:21]
	v_mov_b32_e32 v4, v109
	v_pk_add_f32 v[2:3], v[2:3], v[18:19]
	v_mov_b32_e32 v7, v5
	s_waitcnt lgkmcnt(1)
	v_pk_mul_f32 v[4:5], v[10:11], v[4:5] op_sel_hi:[1,0]
	v_pk_add_f32 v[2:3], v[2:3], v[6:7]
	v_pk_fma_f32 v[6:7], v[10:11], v[108:109], v[4:5] op_sel:[0,0,1] op_sel_hi:[1,1,0] neg_lo:[0,0,1] neg_hi:[0,0,1]
	v_pk_fma_f32 v[4:5], v[10:11], v[108:109], v[4:5] op_sel:[0,0,1] op_sel_hi:[1,0,0]
	v_mov_b32_e32 v4, v107
	v_mov_b32_e32 v7, v5
	v_pk_mul_f32 v[4:5], v[12:13], v[4:5] op_sel_hi:[1,0]
	v_pk_add_f32 v[2:3], v[2:3], v[6:7]
	v_pk_fma_f32 v[6:7], v[12:13], v[106:107], v[4:5] op_sel:[0,0,1] op_sel_hi:[1,1,0] neg_lo:[0,0,1] neg_hi:[0,0,1]
	v_pk_fma_f32 v[4:5], v[12:13], v[106:107], v[4:5] op_sel:[0,0,1] op_sel_hi:[1,0,0]
	v_mov_b32_e32 v4, v105
	v_mov_b32_e32 v7, v5
	s_waitcnt lgkmcnt(0)
	v_pk_mul_f32 v[4:5], v[14:15], v[4:5] op_sel_hi:[1,0]
	v_pk_add_f32 v[2:3], v[2:3], v[6:7]
	v_pk_fma_f32 v[6:7], v[14:15], v[104:105], v[4:5] op_sel:[0,0,1] op_sel_hi:[1,1,0] neg_lo:[0,0,1] neg_hi:[0,0,1]
	v_pk_fma_f32 v[4:5], v[14:15], v[104:105], v[4:5] op_sel:[0,0,1] op_sel_hi:[1,0,0]
	s_waitcnt vmcnt(1)
	v_mov_b32_e32 v4, v113
	v_mov_b32_e32 v7, v5
	v_pk_mul_f32 v[4:5], v[16:17], v[4:5] op_sel_hi:[1,0]
	v_pk_add_f32 v[2:3], v[2:3], v[6:7]
	s_waitcnt vmcnt(0)
	v_pk_fma_f32 v[6:7], v[16:17], v[112:113], v[4:5] op_sel:[0,0,1] op_sel_hi:[1,1,0] neg_lo:[0,0,1] neg_hi:[0,0,1]
	v_pk_fma_f32 v[4:5], v[16:17], v[112:113], v[4:5] op_sel:[0,0,1] op_sel_hi:[1,0,0]
	v_mov_b32_e32 v7, v5
	v_pk_add_f32 v[2:3], v[2:3], v[6:7]
	v_pk_add_f32 v[2:3], v[34:35], v[2:3] neg_lo:[0,1] neg_hi:[0,1]
	buffer_store_dword v3, off, s[0:3], 0 offset:116
	buffer_store_dword v2, off, s[0:3], 0 offset:112
	s_and_saveexec_b64 s[4:5], vcc
	s_cbranch_execz .LBB62_365
; %bb.364:
	buffer_load_dword v2, off, s[0:3], 0 offset:104
	buffer_load_dword v3, off, s[0:3], 0 offset:108
	v_mov_b32_e32 v1, 0
	buffer_store_dword v1, off, s[0:3], 0 offset:104
	buffer_store_dword v1, off, s[0:3], 0 offset:108
	s_waitcnt vmcnt(2)
	ds_write_b64 v217, v[2:3]
.LBB62_365:
	s_or_b64 exec, exec, s[4:5]
	v_mov_b32_e32 v110, 0
	s_waitcnt lgkmcnt(0)
	; wave barrier
	s_waitcnt lgkmcnt(0)
	ds_read_b128 v[2:5], v110 offset:624
	buffer_load_dword v86, off, s[0:3], 0 offset:104
	buffer_load_dword v87, off, s[0:3], 0 offset:108
	;; [unrolled: 1-line block ×16, first 2 shown]
	v_cmp_lt_u32_e32 vcc, 12, v0
	s_waitcnt vmcnt(12) lgkmcnt(0)
	v_mul_f32_e32 v6, v2, v94
	v_fmac_f32_e32 v6, v3, v1
	s_waitcnt vmcnt(10)
	v_mul_f32_e32 v7, v4, v112
	v_add_f32_e32 v6, 0, v6
	v_fmac_f32_e32 v7, v5, v88
	v_add_f32_e32 v10, v6, v7
	ds_read_b128 v[6:9], v110 offset:640
	v_mul_f32_e32 v3, v3, v94
	v_fma_f32 v1, v2, v1, -v3
	v_mul_f32_e32 v2, v5, v112
	v_add_f32_e32 v1, 0, v1
	s_waitcnt vmcnt(8) lgkmcnt(0)
	v_mul_f32_e32 v11, v6, v114
	v_fmac_f32_e32 v11, v7, v90
	v_add_f32_e32 v10, v10, v11
	s_waitcnt vmcnt(6)
	v_mul_f32_e32 v11, v8, v116
	v_fmac_f32_e32 v11, v9, v111
	v_add_f32_e32 v14, v10, v11
	ds_read_b128 v[10:13], v110 offset:656
	v_fma_f32 v2, v4, v88, -v2
	v_add_f32_e32 v1, v1, v2
	v_mul_f32_e32 v2, v7, v114
	v_fma_f32 v2, v6, v90, -v2
	s_waitcnt vmcnt(4) lgkmcnt(0)
	v_mul_f32_e32 v15, v10, v118
	v_fmac_f32_e32 v15, v11, v113
	v_add_f32_e32 v14, v14, v15
	s_waitcnt vmcnt(2)
	v_mul_f32_e32 v15, v12, v119
	v_fmac_f32_e32 v15, v13, v115
	v_add_f32_e32 v18, v14, v15
	ds_read_b128 v[14:17], v110 offset:672
	buffer_load_dword v121, off, s[0:3], 0 offset:168
	buffer_load_dword v122, off, s[0:3], 0 offset:172
	v_add_f32_e32 v1, v1, v2
	v_mul_f32_e32 v2, v9, v116
	v_fma_f32 v2, v8, v111, -v2
	s_waitcnt vmcnt(2) lgkmcnt(0)
	v_mul_f32_e32 v19, v14, v120
	v_fmac_f32_e32 v19, v15, v117
	v_add_f32_e32 v18, v18, v19
	v_add_f32_e32 v1, v1, v2
	v_mul_f32_e32 v2, v11, v118
	v_fma_f32 v2, v10, v113, -v2
	v_add_f32_e32 v1, v1, v2
	v_mul_f32_e32 v2, v13, v119
	v_fma_f32 v2, v12, v115, -v2
	;; [unrolled: 3-line block ×3, first 2 shown]
	v_add_f32_e32 v1, v1, v2
	s_waitcnt vmcnt(0)
	v_mul_f32_e32 v19, v16, v122
	v_fmac_f32_e32 v19, v17, v121
	v_add_f32_e32 v22, v18, v19
	ds_read_b128 v[18:21], v110 offset:688
	buffer_load_dword v123, off, s[0:3], 0 offset:176
	buffer_load_dword v124, off, s[0:3], 0 offset:180
	;; [unrolled: 1-line block ×4, first 2 shown]
	v_mul_f32_e32 v2, v17, v122
	v_fma_f32 v2, v16, v121, -v2
	v_add_f32_e32 v1, v1, v2
	s_waitcnt vmcnt(2) lgkmcnt(0)
	v_mul_f32_e32 v23, v18, v124
	v_fmac_f32_e32 v23, v19, v123
	v_add_f32_e32 v22, v22, v23
	s_waitcnt vmcnt(0)
	v_mul_f32_e32 v23, v20, v126
	v_fmac_f32_e32 v23, v21, v125
	v_add_f32_e32 v26, v22, v23
	ds_read_b128 v[22:25], v110 offset:704
	buffer_load_dword v127, off, s[0:3], 0 offset:192
	buffer_load_dword v128, off, s[0:3], 0 offset:196
	;; [unrolled: 1-line block ×4, first 2 shown]
	v_mul_f32_e32 v2, v19, v124
	v_fma_f32 v2, v18, v123, -v2
	v_add_f32_e32 v1, v1, v2
	v_mul_f32_e32 v2, v21, v126
	v_fma_f32 v2, v20, v125, -v2
	v_add_f32_e32 v1, v1, v2
	s_waitcnt vmcnt(2) lgkmcnt(0)
	v_mul_f32_e32 v27, v22, v128
	v_fmac_f32_e32 v27, v23, v127
	v_add_f32_e32 v26, v26, v27
	s_waitcnt vmcnt(0)
	v_mul_f32_e32 v27, v24, v130
	v_fmac_f32_e32 v27, v25, v129
	v_add_f32_e32 v30, v26, v27
	ds_read_b128 v[26:29], v110 offset:720
	buffer_load_dword v131, off, s[0:3], 0 offset:208
	buffer_load_dword v132, off, s[0:3], 0 offset:212
	;; [unrolled: 1-line block ×4, first 2 shown]
	v_mul_f32_e32 v2, v23, v128
	v_fma_f32 v2, v22, v127, -v2
	v_add_f32_e32 v1, v1, v2
	v_mul_f32_e32 v2, v25, v130
	v_fma_f32 v2, v24, v129, -v2
	v_add_f32_e32 v1, v1, v2
	s_waitcnt vmcnt(2) lgkmcnt(0)
	v_mul_f32_e32 v31, v26, v132
	v_fmac_f32_e32 v31, v27, v131
	v_add_f32_e32 v30, v30, v31
	s_waitcnt vmcnt(0)
	v_mul_f32_e32 v31, v28, v134
	v_fmac_f32_e32 v31, v29, v133
	v_add_f32_e32 v34, v30, v31
	ds_read_b128 v[30:33], v110 offset:736
	buffer_load_dword v135, off, s[0:3], 0 offset:224
	buffer_load_dword v136, off, s[0:3], 0 offset:228
	buffer_load_dword v137, off, s[0:3], 0 offset:232
	buffer_load_dword v138, off, s[0:3], 0 offset:236
	ds_read_b128 v[38:41], v110 offset:752
	buffer_load_dword v139, off, s[0:3], 0 offset:240
	buffer_load_dword v140, off, s[0:3], 0 offset:244
	buffer_load_dword v141, off, s[0:3], 0 offset:248
	buffer_load_dword v142, off, s[0:3], 0 offset:252
	;; [unrolled: 5-line block ×13, first 2 shown]
	v_mul_f32_e32 v2, v27, v132
	v_fma_f32 v2, v26, v131, -v2
	v_add_f32_e32 v1, v1, v2
	v_mul_f32_e32 v2, v29, v134
	v_fma_f32 v2, v28, v133, -v2
	v_add_f32_e32 v1, v1, v2
	s_waitcnt vmcnt(50) lgkmcnt(12)
	v_mul_f32_e32 v35, v30, v136
	v_fmac_f32_e32 v35, v31, v135
	v_add_f32_e32 v34, v34, v35
	s_waitcnt vmcnt(48)
	v_mul_f32_e32 v35, v32, v138
	v_fmac_f32_e32 v35, v33, v137
	v_add_f32_e32 v34, v34, v35
	s_waitcnt vmcnt(46) lgkmcnt(11)
	v_mul_f32_e32 v35, v38, v140
	v_fmac_f32_e32 v35, v39, v139
	v_add_f32_e32 v34, v34, v35
	s_waitcnt vmcnt(44)
	v_mul_f32_e32 v35, v40, v142
	v_fmac_f32_e32 v35, v41, v141
	;; [unrolled: 8-line block ×12, first 2 shown]
	v_add_f32_e32 v34, v34, v35
	s_waitcnt vmcnt(2) lgkmcnt(0)
	v_mul_f32_e32 v35, v82, v184
	v_fmac_f32_e32 v35, v83, v183
	v_add_f32_e32 v89, v34, v35
	ds_read_b128 v[34:37], v110 offset:944
	buffer_load_dword v187, off, s[0:3], 0 offset:432
	buffer_load_dword v188, off, s[0:3], 0 offset:436
	;; [unrolled: 1-line block ×18, first 2 shown]
	v_mul_f32_e32 v2, v31, v136
	v_fma_f32 v2, v30, v135, -v2
	v_add_f32_e32 v1, v1, v2
	v_mul_f32_e32 v2, v33, v138
	v_fma_f32 v2, v32, v137, -v2
	v_add_f32_e32 v1, v1, v2
	;; [unrolled: 3-line block ×24, first 2 shown]
	v_mul_f32_e32 v2, v83, v184
	v_fma_f32 v2, v82, v183, -v2
	s_waitcnt vmcnt(15)
	v_mov_b32_e32 v18, v93
	v_mul_f32_e32 v91, v84, v186
	v_add_f32_e32 v88, v1, v2
	v_mul_f32_e32 v1, v85, v186
	s_waitcnt lgkmcnt(0)
	v_pk_mul_f32 v[18:19], v[36:37], v[18:19] op_sel_hi:[1,0]
	v_fmac_f32_e32 v91, v85, v185
	v_mul_f32_e32 v95, v34, v188
	v_fma_f32 v90, v84, v185, -v1
	v_mul_f32_e32 v1, v35, v188
	ds_read_b128 v[2:5], v110 offset:960
	ds_read_b128 v[6:9], v110 offset:976
	;; [unrolled: 1-line block ×3, first 2 shown]
	ds_read_b64 v[14:15], v110 offset:1008
	s_waitcnt vmcnt(14)
	v_pk_fma_f32 v[20:21], v[36:37], v[92:93], v[18:19] op_sel:[0,0,1] op_sel_hi:[1,1,0] neg_lo:[0,0,1] neg_hi:[0,0,1]
	v_pk_fma_f32 v[18:19], v[36:37], v[92:93], v[18:19] op_sel:[0,0,1] op_sel_hi:[1,0,0]
	v_fmac_f32_e32 v95, v35, v187
	v_fma_f32 v94, v34, v187, -v1
	v_pk_add_f32 v[16:17], v[88:89], v[90:91]
	s_waitcnt vmcnt(13)
	v_mov_b32_e32 v18, v109
	v_pk_add_f32 v[16:17], v[16:17], v[94:95]
	v_mov_b32_e32 v21, v19
	s_waitcnt lgkmcnt(3)
	v_pk_mul_f32 v[18:19], v[2:3], v[18:19] op_sel_hi:[1,0]
	v_pk_add_f32 v[16:17], v[16:17], v[20:21]
	s_waitcnt vmcnt(12)
	v_pk_fma_f32 v[20:21], v[2:3], v[108:109], v[18:19] op_sel:[0,0,1] op_sel_hi:[1,1,0] neg_lo:[0,0,1] neg_hi:[0,0,1]
	v_pk_fma_f32 v[2:3], v[2:3], v[108:109], v[18:19] op_sel:[0,0,1] op_sel_hi:[1,0,0]
	v_mov_b32_e32 v21, v3
	v_pk_add_f32 v[2:3], v[16:17], v[20:21]
	s_waitcnt vmcnt(11)
	v_mov_b32_e32 v16, v107
	v_pk_mul_f32 v[16:17], v[4:5], v[16:17] op_sel_hi:[1,0]
	s_waitcnt vmcnt(10)
	v_pk_fma_f32 v[18:19], v[4:5], v[106:107], v[16:17] op_sel:[0,0,1] op_sel_hi:[1,1,0] neg_lo:[0,0,1] neg_hi:[0,0,1]
	v_pk_fma_f32 v[4:5], v[4:5], v[106:107], v[16:17] op_sel:[0,0,1] op_sel_hi:[1,0,0]
	s_waitcnt vmcnt(9)
	v_mov_b32_e32 v4, v105
	v_mov_b32_e32 v19, v5
	s_waitcnt lgkmcnt(2)
	v_pk_mul_f32 v[4:5], v[6:7], v[4:5] op_sel_hi:[1,0]
	s_waitcnt vmcnt(8)
	v_pk_fma_f32 v[16:17], v[6:7], v[104:105], v[4:5] op_sel:[0,0,1] op_sel_hi:[1,1,0] neg_lo:[0,0,1] neg_hi:[0,0,1]
	v_pk_fma_f32 v[4:5], v[6:7], v[104:105], v[4:5] op_sel:[0,0,1] op_sel_hi:[1,0,0]
	s_waitcnt vmcnt(7)
	v_mov_b32_e32 v4, v103
	v_mov_b32_e32 v17, v5
	v_pk_mul_f32 v[4:5], v[8:9], v[4:5] op_sel_hi:[1,0]
	s_waitcnt vmcnt(6)
	v_pk_fma_f32 v[6:7], v[8:9], v[102:103], v[4:5] op_sel:[0,0,1] op_sel_hi:[1,1,0] neg_lo:[0,0,1] neg_hi:[0,0,1]
	v_pk_fma_f32 v[4:5], v[8:9], v[102:103], v[4:5] op_sel:[0,0,1] op_sel_hi:[1,0,0]
	v_pk_add_f32 v[2:3], v[2:3], v[18:19]
	s_waitcnt vmcnt(5)
	v_mov_b32_e32 v4, v101
	v_pk_add_f32 v[2:3], v[2:3], v[16:17]
	v_mov_b32_e32 v7, v5
	s_waitcnt lgkmcnt(1)
	v_pk_mul_f32 v[4:5], v[10:11], v[4:5] op_sel_hi:[1,0]
	v_pk_add_f32 v[2:3], v[2:3], v[6:7]
	s_waitcnt vmcnt(4)
	v_pk_fma_f32 v[6:7], v[10:11], v[100:101], v[4:5] op_sel:[0,0,1] op_sel_hi:[1,1,0] neg_lo:[0,0,1] neg_hi:[0,0,1]
	v_pk_fma_f32 v[4:5], v[10:11], v[100:101], v[4:5] op_sel:[0,0,1] op_sel_hi:[1,0,0]
	s_waitcnt vmcnt(3)
	v_mov_b32_e32 v4, v99
	v_mov_b32_e32 v7, v5
	v_pk_mul_f32 v[4:5], v[12:13], v[4:5] op_sel_hi:[1,0]
	v_pk_add_f32 v[2:3], v[2:3], v[6:7]
	s_waitcnt vmcnt(2)
	v_pk_fma_f32 v[6:7], v[12:13], v[98:99], v[4:5] op_sel:[0,0,1] op_sel_hi:[1,1,0] neg_lo:[0,0,1] neg_hi:[0,0,1]
	v_pk_fma_f32 v[4:5], v[12:13], v[98:99], v[4:5] op_sel:[0,0,1] op_sel_hi:[1,0,0]
	s_waitcnt vmcnt(1)
	v_mov_b32_e32 v4, v97
	v_mov_b32_e32 v7, v5
	s_waitcnt lgkmcnt(0)
	v_pk_mul_f32 v[4:5], v[14:15], v[4:5] op_sel_hi:[1,0]
	v_pk_add_f32 v[2:3], v[2:3], v[6:7]
	s_waitcnt vmcnt(0)
	v_pk_fma_f32 v[6:7], v[14:15], v[96:97], v[4:5] op_sel:[0,0,1] op_sel_hi:[1,1,0] neg_lo:[0,0,1] neg_hi:[0,0,1]
	v_pk_fma_f32 v[4:5], v[14:15], v[96:97], v[4:5] op_sel:[0,0,1] op_sel_hi:[1,0,0]
	v_mov_b32_e32 v7, v5
	v_pk_add_f32 v[2:3], v[2:3], v[6:7]
	v_pk_add_f32 v[2:3], v[86:87], v[2:3] neg_lo:[0,1] neg_hi:[0,1]
	buffer_store_dword v3, off, s[0:3], 0 offset:108
	buffer_store_dword v2, off, s[0:3], 0 offset:104
	s_and_saveexec_b64 s[4:5], vcc
	s_cbranch_execz .LBB62_367
; %bb.366:
	buffer_load_dword v2, off, s[0:3], 0 offset:96
	buffer_load_dword v3, off, s[0:3], 0 offset:100
	s_waitcnt vmcnt(0)
	ds_write_b64 v217, v[2:3]
	buffer_store_dword v110, off, s[0:3], 0 offset:96
	buffer_store_dword v110, off, s[0:3], 0 offset:100
.LBB62_367:
	s_or_b64 exec, exec, s[4:5]
	s_waitcnt lgkmcnt(0)
	; wave barrier
	s_waitcnt lgkmcnt(0)
	buffer_load_dword v40, off, s[0:3], 0 offset:108
	buffer_load_dword v39, off, s[0:3], 0 offset:116
	;; [unrolled: 1-line block ×32, first 2 shown]
	ds_read2_b64 v[22:25], v110 offset0:77 offset1:78
	ds_read2_b64 v[18:21], v110 offset0:79 offset1:80
	;; [unrolled: 1-line block ×6, first 2 shown]
	buffer_load_dword v141, off, s[0:3], 0 offset:224
	buffer_load_dword v142, off, s[0:3], 0 offset:228
	;; [unrolled: 1-line block ×20, first 2 shown]
	v_cmp_lt_u32_e32 vcc, 11, v0
	s_waitcnt vmcnt(51) lgkmcnt(5)
	v_mul_f32_e32 v26, v22, v40
	s_waitcnt vmcnt(50)
	v_mul_f32_e32 v27, v24, v39
	s_waitcnt vmcnt(49) lgkmcnt(4)
	v_mul_f32_e32 v29, v20, v38
	s_waitcnt vmcnt(48) lgkmcnt(3)
	v_mul_f32_e32 v30, v14, v37
	s_waitcnt vmcnt(47)
	v_mul_f32_e32 v31, v16, v36
	s_waitcnt vmcnt(46) lgkmcnt(2)
	v_mul_f32_e32 v32, v10, v1
	s_waitcnt vmcnt(45)
	v_mul_f32_e32 v28, v18, v41
	s_waitcnt vmcnt(44)
	v_mul_f32_e32 v33, v12, v42
	s_waitcnt vmcnt(43) lgkmcnt(1)
	v_mul_f32_e32 v47, v6, v43
	s_waitcnt vmcnt(42)
	v_mul_f32_e32 v48, v8, v44
	s_waitcnt vmcnt(41) lgkmcnt(0)
	v_mul_f32_e32 v49, v2, v45
	s_waitcnt vmcnt(40)
	v_mul_f32_e32 v50, v4, v46
	s_waitcnt vmcnt(39)
	v_fmac_f32_e32 v28, v19, v106
	s_waitcnt vmcnt(38)
	v_fmac_f32_e32 v27, v25, v108
	;; [unrolled: 2-line block ×3, first 2 shown]
	v_add_f32_e32 v26, 0, v26
	v_add_f32_e32 v26, v26, v27
	;; [unrolled: 1-line block ×3, first 2 shown]
	s_waitcnt vmcnt(33)
	v_fmac_f32_e32 v29, v21, v129
	v_fmac_f32_e32 v30, v15, v128
	v_add_f32_e32 v26, v26, v29
	v_fmac_f32_e32 v31, v17, v127
	v_add_f32_e32 v26, v26, v30
	;; [unrolled: 2-line block ×3, first 2 shown]
	s_waitcnt vmcnt(29)
	v_fmac_f32_e32 v33, v13, v133
	v_add_f32_e32 v26, v26, v32
	v_fmac_f32_e32 v47, v7, v132
	v_add_f32_e32 v26, v26, v33
	;; [unrolled: 2-line block ×4, first 2 shown]
	v_add_f32_e32 v30, v26, v49
	ds_read2_b64 v[26:29], v110 offset0:89 offset1:90
	buffer_load_dword v161, off, s[0:3], 0 offset:304
	buffer_load_dword v162, off, s[0:3], 0 offset:308
	;; [unrolled: 1-line block ×4, first 2 shown]
	s_waitcnt vmcnt(28)
	v_fmac_f32_e32 v50, v5, v138
	v_add_f32_e32 v47, v30, v50
	ds_read2_b64 v[30:33], v110 offset0:91 offset1:92
	buffer_load_dword v165, off, s[0:3], 0 offset:320
	buffer_load_dword v166, off, s[0:3], 0 offset:324
	;; [unrolled: 1-line block ×12, first 2 shown]
	s_waitcnt vmcnt(39) lgkmcnt(1)
	v_mul_f32_e32 v48, v26, v139
	v_fmac_f32_e32 v48, v27, v137
	buffer_load_dword v177, off, s[0:3], 0 offset:368
	buffer_load_dword v178, off, s[0:3], 0 offset:372
	v_add_f32_e32 v47, v47, v48
	s_waitcnt vmcnt(40)
	v_mul_f32_e32 v48, v28, v140
	v_fmac_f32_e32 v48, v29, v136
	buffer_load_dword v179, off, s[0:3], 0 offset:376
	buffer_load_dword v180, off, s[0:3], 0 offset:380
	v_add_f32_e32 v47, v47, v48
	s_waitcnt lgkmcnt(0)
	v_mul_f32_e32 v48, v30, v135
	v_fmac_f32_e32 v48, v31, v134
	v_add_f32_e32 v47, v47, v48
	ds_read2_b64 v[48:51], v110 offset0:93 offset1:94
	buffer_load_dword v181, off, s[0:3], 0 offset:384
	buffer_load_dword v182, off, s[0:3], 0 offset:388
	s_waitcnt vmcnt(40)
	v_mul_f32_e32 v52, v32, v142
	v_fmac_f32_e32 v52, v33, v141
	v_add_f32_e32 v47, v47, v52
	ds_read2_b64 v[52:55], v110 offset0:95 offset1:96
	buffer_load_dword v183, off, s[0:3], 0 offset:392
	buffer_load_dword v184, off, s[0:3], 0 offset:396
	;; [unrolled: 1-line block ×8, first 2 shown]
	s_waitcnt vmcnt(46) lgkmcnt(1)
	v_mul_f32_e32 v56, v48, v144
	v_fmac_f32_e32 v56, v49, v143
	v_add_f32_e32 v47, v47, v56
	s_waitcnt vmcnt(44)
	v_mul_f32_e32 v56, v50, v146
	v_fmac_f32_e32 v56, v51, v145
	v_add_f32_e32 v47, v47, v56
	s_waitcnt vmcnt(42) lgkmcnt(0)
	v_mul_f32_e32 v56, v52, v148
	v_fmac_f32_e32 v56, v53, v147
	v_add_f32_e32 v47, v47, v56
	buffer_load_dword v191, off, s[0:3], 0 offset:424
	buffer_load_dword v192, off, s[0:3], 0 offset:428
	;; [unrolled: 1-line block ×4, first 2 shown]
	ds_read2_b64 v[56:59], v110 offset0:97 offset1:98
	s_waitcnt vmcnt(44)
	v_mul_f32_e32 v60, v54, v150
	v_fmac_f32_e32 v60, v55, v149
	v_add_f32_e32 v47, v47, v60
	ds_read2_b64 v[60:63], v110 offset0:99 offset1:100
	s_waitcnt vmcnt(42) lgkmcnt(1)
	v_mul_f32_e32 v64, v56, v152
	v_fmac_f32_e32 v64, v57, v151
	v_add_f32_e32 v47, v47, v64
	s_waitcnt vmcnt(40)
	v_mul_f32_e32 v64, v58, v154
	v_fmac_f32_e32 v64, v59, v153
	v_add_f32_e32 v47, v47, v64
	s_waitcnt vmcnt(38) lgkmcnt(0)
	v_mul_f32_e32 v64, v60, v156
	v_fmac_f32_e32 v64, v61, v155
	v_add_f32_e32 v47, v47, v64
	ds_read2_b64 v[64:67], v110 offset0:101 offset1:102
	s_waitcnt vmcnt(36)
	v_mul_f32_e32 v68, v62, v158
	v_fmac_f32_e32 v68, v63, v157
	v_add_f32_e32 v47, v47, v68
	ds_read2_b64 v[68:71], v110 offset0:103 offset1:104
	s_waitcnt vmcnt(34) lgkmcnt(1)
	v_mul_f32_e32 v72, v64, v160
	v_fmac_f32_e32 v72, v65, v159
	v_add_f32_e32 v47, v47, v72
	v_mul_f32_e32 v23, v23, v40
	v_fma_f32 v22, v22, v111, -v23
	v_mul_f32_e32 v23, v25, v39
	v_add_f32_e32 v22, 0, v22
	v_fma_f32 v23, v24, v108, -v23
	v_mul_f32_e32 v19, v19, v41
	v_add_f32_e32 v22, v22, v23
	;; [unrolled: 3-line block ×5, first 2 shown]
	s_waitcnt vmcnt(32)
	v_mul_f32_e32 v72, v66, v162
	v_fmac_f32_e32 v72, v67, v161
	v_add_f32_e32 v47, v47, v72
	s_waitcnt vmcnt(30) lgkmcnt(0)
	v_mul_f32_e32 v72, v68, v164
	v_fmac_f32_e32 v72, v69, v163
	v_add_f32_e32 v47, v47, v72
	ds_read2_b64 v[72:75], v110 offset0:105 offset1:106
	s_waitcnt vmcnt(28)
	v_mul_f32_e32 v76, v70, v166
	v_fmac_f32_e32 v76, v71, v165
	v_add_f32_e32 v47, v47, v76
	ds_read2_b64 v[76:79], v110 offset0:107 offset1:108
	s_waitcnt vmcnt(26) lgkmcnt(1)
	v_mul_f32_e32 v80, v72, v168
	v_fmac_f32_e32 v80, v73, v167
	v_add_f32_e32 v47, v47, v80
	s_waitcnt vmcnt(24)
	v_mul_f32_e32 v80, v74, v170
	v_fmac_f32_e32 v80, v75, v169
	v_add_f32_e32 v47, v47, v80
	s_waitcnt vmcnt(22) lgkmcnt(0)
	v_mul_f32_e32 v80, v76, v172
	v_fmac_f32_e32 v80, v77, v171
	v_add_f32_e32 v47, v47, v80
	ds_read2_b64 v[80:83], v110 offset0:109 offset1:110
	s_waitcnt vmcnt(20)
	v_mul_f32_e32 v84, v78, v174
	v_fmac_f32_e32 v84, v79, v173
	v_add_f32_e32 v47, v47, v84
	ds_read2_b64 v[84:87], v110 offset0:111 offset1:112
	s_waitcnt vmcnt(18) lgkmcnt(1)
	v_mul_f32_e32 v88, v80, v176
	v_fmac_f32_e32 v88, v81, v175
	v_add_f32_e32 v47, v47, v88
	s_waitcnt vmcnt(16)
	v_mul_f32_e32 v88, v82, v178
	v_fmac_f32_e32 v88, v83, v177
	v_add_f32_e32 v47, v47, v88
	s_waitcnt vmcnt(14) lgkmcnt(0)
	v_mul_f32_e32 v88, v84, v180
	v_fmac_f32_e32 v88, v85, v179
	v_add_f32_e32 v47, v47, v88
	ds_read2_b64 v[88:91], v110 offset0:113 offset1:114
	s_waitcnt vmcnt(12)
	v_mul_f32_e32 v92, v86, v182
	v_fmac_f32_e32 v92, v87, v181
	v_add_f32_e32 v47, v47, v92
	ds_read2_b64 v[92:95], v110 offset0:115 offset1:116
	buffer_load_dword v105, off, s[0:3], 0 offset:444
	buffer_load_dword v104, off, s[0:3], 0 offset:440
	s_waitcnt vmcnt(12) lgkmcnt(1)
	v_mul_f32_e32 v96, v88, v184
	v_fmac_f32_e32 v96, v89, v183
	v_add_f32_e32 v47, v47, v96
	s_waitcnt vmcnt(10)
	v_mul_f32_e32 v96, v90, v186
	v_fmac_f32_e32 v96, v91, v185
	v_add_f32_e32 v47, v47, v96
	s_waitcnt vmcnt(8) lgkmcnt(0)
	v_mul_f32_e32 v96, v92, v188
	v_fmac_f32_e32 v96, v93, v187
	s_waitcnt vmcnt(6)
	v_mul_f32_e32 v100, v94, v190
	v_add_f32_e32 v47, v47, v96
	v_fmac_f32_e32 v100, v95, v189
	ds_read2_b64 v[96:99], v110 offset0:117 offset1:118
	v_add_f32_e32 v47, v47, v100
	ds_read2_b64 v[100:103], v110 offset0:119 offset1:120
	buffer_load_dword v113, off, s[0:3], 0 offset:476
	buffer_load_dword v112, off, s[0:3], 0 offset:472
	;; [unrolled: 1-line block ×14, first 2 shown]
	v_fma_f32 v15, v16, v127, -v15
	v_mul_f32_e32 v1, v11, v1
	v_add_f32_e32 v14, v14, v15
	v_fma_f32 v1, v10, v126, -v1
	v_mul_f32_e32 v10, v13, v42
	v_add_f32_e32 v1, v14, v1
	;; [unrolled: 3-line block ×3, first 2 shown]
	v_fma_f32 v6, v6, v132, -v7
	v_add_f32_e32 v1, v1, v6
	v_mul_f32_e32 v6, v9, v44
	v_fma_f32 v6, v8, v131, -v6
	v_mul_f32_e32 v3, v3, v45
	v_add_f32_e32 v1, v1, v6
	v_fma_f32 v2, v2, v130, -v3
	v_add_f32_e32 v1, v1, v2
	v_mul_f32_e32 v2, v5, v46
	v_fma_f32 v2, v4, v138, -v2
	v_add_f32_e32 v1, v1, v2
	v_mul_f32_e32 v2, v27, v139
	;; [unrolled: 3-line block ×29, first 2 shown]
	v_fma_f32 v2, v94, v189, -v2
	s_waitcnt vmcnt(15)
	v_mov_b32_e32 v16, v105
	s_waitcnt lgkmcnt(1)
	v_mul_f32_e32 v107, v96, v192
	v_add_f32_e32 v46, v1, v2
	v_mul_f32_e32 v1, v97, v192
	s_waitcnt lgkmcnt(0)
	v_pk_mul_f32 v[16:17], v[100:101], v[16:17] op_sel_hi:[1,0]
	v_fmac_f32_e32 v107, v97, v191
	v_mul_f32_e32 v109, v98, v194
	v_fma_f32 v106, v96, v191, -v1
	v_mul_f32_e32 v1, v99, v194
	s_waitcnt vmcnt(14)
	v_pk_fma_f32 v[18:19], v[100:101], v[104:105], v[16:17] op_sel:[0,0,1] op_sel_hi:[1,1,0] neg_lo:[0,0,1] neg_hi:[0,0,1]
	v_pk_fma_f32 v[16:17], v[100:101], v[104:105], v[16:17] op_sel:[0,0,1] op_sel_hi:[1,0,0]
	v_fmac_f32_e32 v109, v99, v193
	v_fma_f32 v108, v98, v193, -v1
	v_pk_add_f32 v[14:15], v[46:47], v[106:107]
	s_waitcnt vmcnt(7)
	v_mov_b32_e32 v16, v119
	ds_read2_b64 v[2:5], v110 offset0:121 offset1:122
	ds_read2_b64 v[6:9], v110 offset0:123 offset1:124
	;; [unrolled: 1-line block ×3, first 2 shown]
	v_pk_add_f32 v[14:15], v[14:15], v[108:109]
	v_mov_b32_e32 v19, v17
	v_pk_mul_f32 v[16:17], v[102:103], v[16:17] op_sel_hi:[1,0]
	v_pk_add_f32 v[14:15], v[14:15], v[18:19]
	s_waitcnt vmcnt(6)
	v_pk_fma_f32 v[18:19], v[102:103], v[118:119], v[16:17] op_sel:[0,0,1] op_sel_hi:[1,1,0] neg_lo:[0,0,1] neg_hi:[0,0,1]
	v_pk_fma_f32 v[16:17], v[102:103], v[118:119], v[16:17] op_sel:[0,0,1] op_sel_hi:[1,0,0]
	v_mov_b32_e32 v16, v117
	v_mov_b32_e32 v19, v17
	s_waitcnt lgkmcnt(2)
	v_pk_mul_f32 v[16:17], v[2:3], v[16:17] op_sel_hi:[1,0]
	v_pk_add_f32 v[14:15], v[14:15], v[18:19]
	v_pk_fma_f32 v[18:19], v[2:3], v[116:117], v[16:17] op_sel:[0,0,1] op_sel_hi:[1,1,0] neg_lo:[0,0,1] neg_hi:[0,0,1]
	v_pk_fma_f32 v[2:3], v[2:3], v[116:117], v[16:17] op_sel:[0,0,1] op_sel_hi:[1,0,0]
	v_mov_b32_e32 v19, v3
	v_pk_add_f32 v[2:3], v[14:15], v[18:19]
	v_mov_b32_e32 v14, v115
	v_pk_mul_f32 v[14:15], v[4:5], v[14:15] op_sel_hi:[1,0]
	v_pk_fma_f32 v[16:17], v[4:5], v[114:115], v[14:15] op_sel:[0,0,1] op_sel_hi:[1,1,0] neg_lo:[0,0,1] neg_hi:[0,0,1]
	v_pk_fma_f32 v[4:5], v[4:5], v[114:115], v[14:15] op_sel:[0,0,1] op_sel_hi:[1,0,0]
	v_mov_b32_e32 v4, v113
	v_mov_b32_e32 v17, v5
	s_waitcnt lgkmcnt(1)
	v_pk_mul_f32 v[4:5], v[6:7], v[4:5] op_sel_hi:[1,0]
	v_pk_fma_f32 v[14:15], v[6:7], v[112:113], v[4:5] op_sel:[0,0,1] op_sel_hi:[1,1,0] neg_lo:[0,0,1] neg_hi:[0,0,1]
	v_pk_fma_f32 v[4:5], v[6:7], v[112:113], v[4:5] op_sel:[0,0,1] op_sel_hi:[1,0,0]
	s_waitcnt vmcnt(1)
	v_mov_b32_e32 v4, v125
	v_mov_b32_e32 v15, v5
	v_pk_mul_f32 v[4:5], v[8:9], v[4:5] op_sel_hi:[1,0]
	s_waitcnt vmcnt(0)
	v_pk_fma_f32 v[6:7], v[8:9], v[124:125], v[4:5] op_sel:[0,0,1] op_sel_hi:[1,1,0] neg_lo:[0,0,1] neg_hi:[0,0,1]
	v_pk_fma_f32 v[4:5], v[8:9], v[124:125], v[4:5] op_sel:[0,0,1] op_sel_hi:[1,0,0]
	v_pk_add_f32 v[2:3], v[2:3], v[16:17]
	v_mov_b32_e32 v4, v123
	v_pk_add_f32 v[2:3], v[2:3], v[14:15]
	v_mov_b32_e32 v7, v5
	s_waitcnt lgkmcnt(0)
	v_pk_mul_f32 v[4:5], v[10:11], v[4:5] op_sel_hi:[1,0]
	v_pk_add_f32 v[2:3], v[2:3], v[6:7]
	v_pk_fma_f32 v[6:7], v[10:11], v[122:123], v[4:5] op_sel:[0,0,1] op_sel_hi:[1,1,0] neg_lo:[0,0,1] neg_hi:[0,0,1]
	v_pk_fma_f32 v[4:5], v[10:11], v[122:123], v[4:5] op_sel:[0,0,1] op_sel_hi:[1,0,0]
	v_mov_b32_e32 v4, v121
	v_mov_b32_e32 v7, v5
	v_pk_mul_f32 v[4:5], v[12:13], v[4:5] op_sel_hi:[1,0]
	v_pk_add_f32 v[2:3], v[2:3], v[6:7]
	v_pk_fma_f32 v[6:7], v[12:13], v[120:121], v[4:5] op_sel:[0,0,1] op_sel_hi:[1,1,0] neg_lo:[0,0,1] neg_hi:[0,0,1]
	v_pk_fma_f32 v[4:5], v[12:13], v[120:121], v[4:5] op_sel:[0,0,1] op_sel_hi:[1,0,0]
	v_mov_b32_e32 v7, v5
	v_pk_add_f32 v[2:3], v[2:3], v[6:7]
	v_pk_add_f32 v[2:3], v[34:35], v[2:3] neg_lo:[0,1] neg_hi:[0,1]
	buffer_store_dword v3, off, s[0:3], 0 offset:100
	buffer_store_dword v2, off, s[0:3], 0 offset:96
	s_and_saveexec_b64 s[4:5], vcc
	s_cbranch_execz .LBB62_369
; %bb.368:
	buffer_load_dword v2, off, s[0:3], 0 offset:88
	buffer_load_dword v3, off, s[0:3], 0 offset:92
	v_mov_b32_e32 v1, 0
	buffer_store_dword v1, off, s[0:3], 0 offset:88
	buffer_store_dword v1, off, s[0:3], 0 offset:92
	s_waitcnt vmcnt(2)
	ds_write_b64 v217, v[2:3]
.LBB62_369:
	s_or_b64 exec, exec, s[4:5]
	s_waitcnt lgkmcnt(0)
	; wave barrier
	s_waitcnt lgkmcnt(0)
	buffer_load_dword v45, off, s[0:3], 0 offset:100
	buffer_load_dword v44, off, s[0:3], 0 offset:108
	;; [unrolled: 1-line block ×48, first 2 shown]
	v_mov_b32_e32 v1, 0
	ds_read_b128 v[22:25], v1 offset:608
	ds_read_b128 v[18:21], v1 offset:624
	;; [unrolled: 1-line block ×6, first 2 shown]
	buffer_load_dword v157, off, s[0:3], 0 offset:280
	buffer_load_dword v158, off, s[0:3], 0 offset:284
	v_cmp_lt_u32_e32 vcc, 10, v0
	s_waitcnt vmcnt(49) lgkmcnt(5)
	v_mul_f32_e32 v26, v22, v45
	s_waitcnt vmcnt(48)
	v_mul_f32_e32 v27, v24, v44
	s_waitcnt vmcnt(47) lgkmcnt(4)
	v_mul_f32_e32 v29, v20, v43
	s_waitcnt vmcnt(46) lgkmcnt(3)
	v_mul_f32_e32 v30, v14, v42
	s_waitcnt vmcnt(45)
	v_mul_f32_e32 v31, v16, v41
	s_waitcnt vmcnt(44) lgkmcnt(2)
	v_mul_f32_e32 v32, v10, v40
	s_waitcnt vmcnt(43)
	v_mul_f32_e32 v28, v18, v46
	s_waitcnt vmcnt(42)
	v_mul_f32_e32 v33, v12, v47
	s_waitcnt vmcnt(41) lgkmcnt(1)
	v_mul_f32_e32 v34, v6, v48
	s_waitcnt vmcnt(40)
	v_mul_f32_e32 v35, v8, v49
	s_waitcnt vmcnt(39) lgkmcnt(0)
	v_mul_f32_e32 v36, v2, v50
	s_waitcnt vmcnt(38)
	v_mul_f32_e32 v37, v4, v51
	s_waitcnt vmcnt(37)
	v_fmac_f32_e32 v28, v19, v57
	s_waitcnt vmcnt(36)
	v_fmac_f32_e32 v27, v25, v60
	;; [unrolled: 2-line block ×3, first 2 shown]
	v_add_f32_e32 v26, 0, v26
	v_add_f32_e32 v26, v26, v27
	;; [unrolled: 1-line block ×3, first 2 shown]
	s_waitcnt vmcnt(31)
	v_fmac_f32_e32 v29, v21, v62
	v_fmac_f32_e32 v30, v15, v59
	v_add_f32_e32 v26, v26, v29
	v_fmac_f32_e32 v31, v17, v56
	v_add_f32_e32 v26, v26, v30
	;; [unrolled: 2-line block ×3, first 2 shown]
	s_waitcnt vmcnt(27)
	v_fmac_f32_e32 v33, v13, v58
	v_add_f32_e32 v26, v26, v32
	v_fmac_f32_e32 v34, v7, v55
	v_add_f32_e32 v26, v26, v33
	v_fmac_f32_e32 v35, v9, v53
	v_add_f32_e32 v26, v26, v34
	v_fmac_f32_e32 v36, v3, v52
	v_add_f32_e32 v26, v26, v35
	s_waitcnt vmcnt(22)
	v_fmac_f32_e32 v37, v5, v138
	v_add_f32_e32 v26, v26, v36
	v_add_f32_e32 v34, v26, v37
	ds_read_b128 v[26:29], v1 offset:704
	buffer_load_dword v159, off, s[0:3], 0 offset:288
	buffer_load_dword v160, off, s[0:3], 0 offset:292
	ds_read_b128 v[30:33], v1 offset:720
	buffer_load_dword v161, off, s[0:3], 0 offset:296
	buffer_load_dword v162, off, s[0:3], 0 offset:300
	;; [unrolled: 1-line block ×12, first 2 shown]
	s_waitcnt vmcnt(35) lgkmcnt(1)
	v_mul_f32_e32 v35, v26, v139
	v_fmac_f32_e32 v35, v27, v137
	buffer_load_dword v173, off, s[0:3], 0 offset:344
	buffer_load_dword v174, off, s[0:3], 0 offset:348
	v_add_f32_e32 v34, v34, v35
	s_waitcnt vmcnt(36)
	v_mul_f32_e32 v35, v28, v140
	v_fmac_f32_e32 v35, v29, v136
	v_add_f32_e32 v34, v34, v35
	s_waitcnt lgkmcnt(0)
	v_mul_f32_e32 v35, v30, v118
	buffer_load_dword v175, off, s[0:3], 0 offset:352
	buffer_load_dword v176, off, s[0:3], 0 offset:356
	v_fmac_f32_e32 v35, v31, v61
	v_add_f32_e32 v63, v34, v35
	ds_read_b128 v[34:37], v1 offset:736
	buffer_load_dword v177, off, s[0:3], 0 offset:360
	buffer_load_dword v178, off, s[0:3], 0 offset:364
	;; [unrolled: 1-line block ×4, first 2 shown]
	s_waitcnt vmcnt(38)
	v_mul_f32_e32 v64, v32, v142
	v_fmac_f32_e32 v64, v33, v141
	v_add_f32_e32 v63, v63, v64
	ds_read_b128 v[64:67], v1 offset:752
	buffer_load_dword v181, off, s[0:3], 0 offset:376
	buffer_load_dword v182, off, s[0:3], 0 offset:380
	;; [unrolled: 1-line block ×10, first 2 shown]
	s_waitcnt vmcnt(46) lgkmcnt(1)
	v_mul_f32_e32 v68, v34, v144
	v_fmac_f32_e32 v68, v35, v143
	v_add_f32_e32 v63, v63, v68
	s_waitcnt vmcnt(44)
	v_mul_f32_e32 v68, v36, v146
	v_fmac_f32_e32 v68, v37, v145
	v_add_f32_e32 v63, v63, v68
	s_waitcnt vmcnt(42) lgkmcnt(0)
	v_mul_f32_e32 v68, v64, v148
	v_fmac_f32_e32 v68, v65, v147
	v_add_f32_e32 v63, v63, v68
	buffer_load_dword v191, off, s[0:3], 0 offset:416
	buffer_load_dword v192, off, s[0:3], 0 offset:420
	;; [unrolled: 1-line block ×6, first 2 shown]
	ds_read_b128 v[68:71], v1 offset:768
	s_waitcnt vmcnt(46)
	v_mul_f32_e32 v72, v66, v150
	v_fmac_f32_e32 v72, v67, v149
	v_add_f32_e32 v63, v63, v72
	ds_read_b128 v[72:75], v1 offset:784
	s_waitcnt vmcnt(44) lgkmcnt(1)
	v_mul_f32_e32 v76, v68, v152
	v_fmac_f32_e32 v76, v69, v151
	v_add_f32_e32 v63, v63, v76
	s_waitcnt vmcnt(42)
	v_mul_f32_e32 v76, v70, v154
	v_fmac_f32_e32 v76, v71, v153
	v_add_f32_e32 v63, v63, v76
	s_waitcnt vmcnt(40) lgkmcnt(0)
	v_mul_f32_e32 v76, v72, v156
	v_fmac_f32_e32 v76, v73, v155
	v_add_f32_e32 v63, v63, v76
	ds_read_b128 v[76:79], v1 offset:800
	s_waitcnt vmcnt(38)
	v_mul_f32_e32 v80, v74, v158
	v_fmac_f32_e32 v80, v75, v157
	v_add_f32_e32 v63, v63, v80
	ds_read_b128 v[80:83], v1 offset:816
	v_mul_f32_e32 v23, v23, v45
	v_fma_f32 v22, v22, v116, -v23
	v_mul_f32_e32 v23, v25, v44
	v_add_f32_e32 v22, 0, v22
	v_fma_f32 v23, v24, v60, -v23
	v_mul_f32_e32 v19, v19, v46
	v_add_f32_e32 v22, v22, v23
	;; [unrolled: 3-line block ×6, first 2 shown]
	v_fma_f32 v10, v10, v54, -v11
	s_waitcnt vmcnt(36) lgkmcnt(1)
	v_mul_f32_e32 v84, v76, v160
	v_fmac_f32_e32 v84, v77, v159
	v_add_f32_e32 v63, v63, v84
	s_waitcnt vmcnt(34)
	v_mul_f32_e32 v84, v78, v162
	v_fmac_f32_e32 v84, v79, v161
	v_add_f32_e32 v63, v63, v84
	s_waitcnt vmcnt(32) lgkmcnt(0)
	v_mul_f32_e32 v84, v80, v164
	v_fmac_f32_e32 v84, v81, v163
	v_add_f32_e32 v63, v63, v84
	ds_read_b128 v[84:87], v1 offset:832
	s_waitcnt vmcnt(30)
	v_mul_f32_e32 v88, v82, v166
	v_fmac_f32_e32 v88, v83, v165
	v_add_f32_e32 v63, v63, v88
	ds_read_b128 v[88:91], v1 offset:848
	s_waitcnt vmcnt(28) lgkmcnt(1)
	v_mul_f32_e32 v92, v84, v168
	v_fmac_f32_e32 v92, v85, v167
	v_add_f32_e32 v63, v63, v92
	s_waitcnt vmcnt(26)
	v_mul_f32_e32 v92, v86, v170
	v_fmac_f32_e32 v92, v87, v169
	v_add_f32_e32 v63, v63, v92
	s_waitcnt vmcnt(24) lgkmcnt(0)
	v_mul_f32_e32 v92, v88, v172
	v_fmac_f32_e32 v92, v89, v171
	v_add_f32_e32 v63, v63, v92
	ds_read_b128 v[92:95], v1 offset:864
	s_waitcnt vmcnt(22)
	v_mul_f32_e32 v96, v90, v174
	v_fmac_f32_e32 v96, v91, v173
	v_add_f32_e32 v63, v63, v96
	ds_read_b128 v[96:99], v1 offset:880
	;; [unrolled: 18-line block ×3, first 2 shown]
	s_waitcnt vmcnt(12) lgkmcnt(1)
	v_mul_f32_e32 v108, v100, v184
	v_fmac_f32_e32 v108, v101, v183
	v_add_f32_e32 v63, v63, v108
	s_waitcnt vmcnt(10)
	v_mul_f32_e32 v108, v102, v186
	v_fmac_f32_e32 v108, v103, v185
	v_add_f32_e32 v63, v63, v108
	s_waitcnt vmcnt(8) lgkmcnt(0)
	v_mul_f32_e32 v108, v104, v188
	v_fmac_f32_e32 v108, v105, v187
	s_waitcnt vmcnt(6)
	v_mul_f32_e32 v112, v106, v190
	v_add_f32_e32 v63, v63, v108
	v_fmac_f32_e32 v112, v107, v189
	ds_read_b128 v[108:111], v1 offset:928
	v_add_f32_e32 v63, v63, v112
	ds_read_b128 v[112:115], v1 offset:944
	buffer_load_dword v121, off, s[0:3], 0 offset:468
	buffer_load_dword v120, off, s[0:3], 0 offset:464
	buffer_load_dword v123, off, s[0:3], 0 offset:460
	buffer_load_dword v122, off, s[0:3], 0 offset:456
	buffer_load_dword v125, off, s[0:3], 0 offset:452
	buffer_load_dword v124, off, s[0:3], 0 offset:448
	buffer_load_dword v127, off, s[0:3], 0 offset:444
	buffer_load_dword v126, off, s[0:3], 0 offset:440
	buffer_load_dword v129, off, s[0:3], 0 offset:500
	buffer_load_dword v128, off, s[0:3], 0 offset:496
	buffer_load_dword v131, off, s[0:3], 0 offset:492
	buffer_load_dword v130, off, s[0:3], 0 offset:488
	buffer_load_dword v133, off, s[0:3], 0 offset:484
	buffer_load_dword v132, off, s[0:3], 0 offset:480
	buffer_load_dword v135, off, s[0:3], 0 offset:476
	buffer_load_dword v134, off, s[0:3], 0 offset:472
	v_mul_f32_e32 v11, v13, v47
	v_add_f32_e32 v10, v14, v10
	v_fma_f32 v11, v12, v58, -v11
	v_mul_f32_e32 v7, v7, v48
	v_add_f32_e32 v10, v10, v11
	v_fma_f32 v6, v6, v55, -v7
	;; [unrolled: 3-line block ×5, first 2 shown]
	v_add_f32_e32 v2, v2, v3
	v_mul_f32_e32 v3, v27, v139
	v_fma_f32 v3, v26, v137, -v3
	v_add_f32_e32 v2, v2, v3
	v_mul_f32_e32 v3, v29, v140
	v_fma_f32 v3, v28, v136, -v3
	;; [unrolled: 3-line block ×28, first 2 shown]
	v_add_f32_e32 v2, v2, v3
	s_waitcnt vmcnt(20) lgkmcnt(1)
	v_mul_f32_e32 v3, v109, v192
	v_mul_f32_e32 v117, v108, v192
	v_fma_f32 v3, v108, v191, -v3
	v_fmac_f32_e32 v117, v109, v191
	v_add_f32_e32 v62, v2, v3
	s_waitcnt vmcnt(18)
	v_mul_f32_e32 v2, v111, v194
	s_waitcnt vmcnt(9)
	v_mov_b32_e32 v18, v127
	v_add_f32_e32 v63, v63, v117
	v_mul_f32_e32 v117, v110, v194
	v_fma_f32 v116, v110, v193, -v2
	s_waitcnt lgkmcnt(0)
	v_mul_f32_e32 v2, v113, v196
	v_pk_mul_f32 v[18:19], v[114:115], v[18:19] op_sel_hi:[1,0]
	v_fmac_f32_e32 v117, v111, v193
	v_mul_f32_e32 v119, v112, v196
	v_fma_f32 v118, v112, v195, -v2
	ds_read_b128 v[2:5], v1 offset:960
	ds_read_b128 v[6:9], v1 offset:976
	;; [unrolled: 1-line block ×3, first 2 shown]
	ds_read_b64 v[14:15], v1 offset:1008
	s_waitcnt vmcnt(8)
	v_pk_fma_f32 v[20:21], v[114:115], v[126:127], v[18:19] op_sel:[0,0,1] op_sel_hi:[1,1,0] neg_lo:[0,0,1] neg_hi:[0,0,1]
	v_pk_fma_f32 v[18:19], v[114:115], v[126:127], v[18:19] op_sel:[0,0,1] op_sel_hi:[1,0,0]
	v_fmac_f32_e32 v119, v113, v195
	v_pk_add_f32 v[16:17], v[62:63], v[116:117]
	v_mov_b32_e32 v18, v125
	v_pk_add_f32 v[16:17], v[16:17], v[118:119]
	v_mov_b32_e32 v21, v19
	s_waitcnt lgkmcnt(3)
	v_pk_mul_f32 v[18:19], v[2:3], v[18:19] op_sel_hi:[1,0]
	v_pk_add_f32 v[16:17], v[16:17], v[20:21]
	v_pk_fma_f32 v[20:21], v[2:3], v[124:125], v[18:19] op_sel:[0,0,1] op_sel_hi:[1,1,0] neg_lo:[0,0,1] neg_hi:[0,0,1]
	v_pk_fma_f32 v[2:3], v[2:3], v[124:125], v[18:19] op_sel:[0,0,1] op_sel_hi:[1,0,0]
	v_mov_b32_e32 v21, v3
	v_pk_add_f32 v[2:3], v[16:17], v[20:21]
	v_mov_b32_e32 v16, v123
	v_pk_mul_f32 v[16:17], v[4:5], v[16:17] op_sel_hi:[1,0]
	v_pk_fma_f32 v[18:19], v[4:5], v[122:123], v[16:17] op_sel:[0,0,1] op_sel_hi:[1,1,0] neg_lo:[0,0,1] neg_hi:[0,0,1]
	v_pk_fma_f32 v[4:5], v[4:5], v[122:123], v[16:17] op_sel:[0,0,1] op_sel_hi:[1,0,0]
	v_mov_b32_e32 v4, v121
	v_mov_b32_e32 v19, v5
	s_waitcnt lgkmcnt(2)
	v_pk_mul_f32 v[4:5], v[6:7], v[4:5] op_sel_hi:[1,0]
	v_pk_fma_f32 v[16:17], v[6:7], v[120:121], v[4:5] op_sel:[0,0,1] op_sel_hi:[1,1,0] neg_lo:[0,0,1] neg_hi:[0,0,1]
	v_pk_fma_f32 v[4:5], v[6:7], v[120:121], v[4:5] op_sel:[0,0,1] op_sel_hi:[1,0,0]
	s_waitcnt vmcnt(1)
	v_mov_b32_e32 v4, v135
	v_mov_b32_e32 v17, v5
	v_pk_mul_f32 v[4:5], v[8:9], v[4:5] op_sel_hi:[1,0]
	s_waitcnt vmcnt(0)
	v_pk_fma_f32 v[6:7], v[8:9], v[134:135], v[4:5] op_sel:[0,0,1] op_sel_hi:[1,1,0] neg_lo:[0,0,1] neg_hi:[0,0,1]
	v_pk_fma_f32 v[4:5], v[8:9], v[134:135], v[4:5] op_sel:[0,0,1] op_sel_hi:[1,0,0]
	v_pk_add_f32 v[2:3], v[2:3], v[18:19]
	v_mov_b32_e32 v4, v133
	v_pk_add_f32 v[2:3], v[2:3], v[16:17]
	v_mov_b32_e32 v7, v5
	s_waitcnt lgkmcnt(1)
	v_pk_mul_f32 v[4:5], v[10:11], v[4:5] op_sel_hi:[1,0]
	v_pk_add_f32 v[2:3], v[2:3], v[6:7]
	v_pk_fma_f32 v[6:7], v[10:11], v[132:133], v[4:5] op_sel:[0,0,1] op_sel_hi:[1,1,0] neg_lo:[0,0,1] neg_hi:[0,0,1]
	v_pk_fma_f32 v[4:5], v[10:11], v[132:133], v[4:5] op_sel:[0,0,1] op_sel_hi:[1,0,0]
	v_mov_b32_e32 v4, v131
	v_mov_b32_e32 v7, v5
	v_pk_mul_f32 v[4:5], v[12:13], v[4:5] op_sel_hi:[1,0]
	v_pk_add_f32 v[2:3], v[2:3], v[6:7]
	v_pk_fma_f32 v[6:7], v[12:13], v[130:131], v[4:5] op_sel:[0,0,1] op_sel_hi:[1,1,0] neg_lo:[0,0,1] neg_hi:[0,0,1]
	v_pk_fma_f32 v[4:5], v[12:13], v[130:131], v[4:5] op_sel:[0,0,1] op_sel_hi:[1,0,0]
	v_mov_b32_e32 v4, v129
	v_mov_b32_e32 v7, v5
	s_waitcnt lgkmcnt(0)
	v_pk_mul_f32 v[4:5], v[14:15], v[4:5] op_sel_hi:[1,0]
	v_pk_add_f32 v[2:3], v[2:3], v[6:7]
	v_pk_fma_f32 v[6:7], v[14:15], v[128:129], v[4:5] op_sel:[0,0,1] op_sel_hi:[1,1,0] neg_lo:[0,0,1] neg_hi:[0,0,1]
	v_pk_fma_f32 v[4:5], v[14:15], v[128:129], v[4:5] op_sel:[0,0,1] op_sel_hi:[1,0,0]
	v_mov_b32_e32 v7, v5
	v_pk_add_f32 v[2:3], v[2:3], v[6:7]
	v_pk_add_f32 v[2:3], v[38:39], v[2:3] neg_lo:[0,1] neg_hi:[0,1]
	buffer_store_dword v3, off, s[0:3], 0 offset:92
	buffer_store_dword v2, off, s[0:3], 0 offset:88
	s_and_saveexec_b64 s[4:5], vcc
	s_cbranch_execz .LBB62_371
; %bb.370:
	buffer_load_dword v2, off, s[0:3], 0 offset:80
	buffer_load_dword v3, off, s[0:3], 0 offset:84
	s_waitcnt vmcnt(0)
	ds_write_b64 v217, v[2:3]
	buffer_store_dword v1, off, s[0:3], 0 offset:80
	buffer_store_dword v1, off, s[0:3], 0 offset:84
.LBB62_371:
	s_or_b64 exec, exec, s[4:5]
	s_waitcnt lgkmcnt(0)
	; wave barrier
	s_waitcnt lgkmcnt(0)
	buffer_load_dword v49, off, s[0:3], 0 offset:92
	buffer_load_dword v48, off, s[0:3], 0 offset:100
	;; [unrolled: 1-line block ×32, first 2 shown]
	ds_read2_b64 v[26:29], v1 offset0:75 offset1:76
	ds_read2_b64 v[22:25], v1 offset0:77 offset1:78
	;; [unrolled: 1-line block ×4, first 2 shown]
	buffer_load_dword v141, off, s[0:3], 0 offset:208
	buffer_load_dword v142, off, s[0:3], 0 offset:212
	ds_read2_b64 v[14:17], v1 offset0:83 offset1:84
	ds_read2_b64 v[6:9], v1 offset0:85 offset1:86
	ds_read2_b64 v[2:5], v1 offset0:87 offset1:88
	buffer_load_dword v143, off, s[0:3], 0 offset:216
	buffer_load_dword v144, off, s[0:3], 0 offset:220
	;; [unrolled: 1-line block ×16, first 2 shown]
	v_cmp_lt_u32_e32 vcc, 9, v0
	s_waitcnt vmcnt(49) lgkmcnt(6)
	v_mul_f32_e32 v30, v26, v49
	s_waitcnt vmcnt(48)
	v_mul_f32_e32 v31, v28, v48
	s_waitcnt vmcnt(47) lgkmcnt(5)
	v_mul_f32_e32 v33, v24, v47
	s_waitcnt vmcnt(46) lgkmcnt(4)
	v_mul_f32_e32 v34, v18, v46
	s_waitcnt vmcnt(45)
	v_mul_f32_e32 v35, v20, v44
	s_waitcnt vmcnt(44)
	v_mul_f32_e32 v32, v22, v50
	s_waitcnt vmcnt(43) lgkmcnt(3)
	v_mul_f32_e32 v36, v10, v45
	s_waitcnt vmcnt(42)
	v_mul_f32_e32 v37, v12, v51
	s_waitcnt vmcnt(41) lgkmcnt(2)
	;; [unrolled: 4-line block ×3, first 2 shown]
	v_mul_f32_e32 v40, v6, v54
	s_waitcnt vmcnt(38)
	v_mul_f32_e32 v41, v8, v55
	s_waitcnt vmcnt(37)
	v_fmac_f32_e32 v32, v23, v61
	s_waitcnt vmcnt(36)
	v_fmac_f32_e32 v31, v29, v64
	;; [unrolled: 2-line block ×3, first 2 shown]
	v_add_f32_e32 v30, 0, v30
	v_add_f32_e32 v30, v30, v31
	;; [unrolled: 1-line block ×3, first 2 shown]
	s_waitcnt vmcnt(31)
	v_fmac_f32_e32 v33, v25, v65
	v_fmac_f32_e32 v34, v19, v63
	v_add_f32_e32 v30, v30, v33
	v_fmac_f32_e32 v35, v21, v60
	v_add_f32_e32 v30, v30, v34
	v_fmac_f32_e32 v36, v11, v58
	v_add_f32_e32 v30, v30, v35
	s_waitcnt vmcnt(27)
	v_fmac_f32_e32 v37, v13, v62
	v_add_f32_e32 v30, v30, v36
	v_fmac_f32_e32 v38, v15, v59
	v_add_f32_e32 v30, v30, v37
	;; [unrolled: 2-line block ×4, first 2 shown]
	s_waitcnt vmcnt(23)
	v_fmac_f32_e32 v41, v9, v137
	v_add_f32_e32 v30, v30, v40
	v_add_f32_e32 v34, v30, v41
	ds_read2_b64 v[30:33], v1 offset0:89 offset1:90
	buffer_load_dword v159, off, s[0:3], 0 offset:280
	buffer_load_dword v160, off, s[0:3], 0 offset:284
	;; [unrolled: 1-line block ×12, first 2 shown]
	s_waitcnt vmcnt(34) lgkmcnt(1)
	v_mul_f32_e32 v35, v2, v138
	v_fmac_f32_e32 v35, v3, v136
	buffer_load_dword v171, off, s[0:3], 0 offset:328
	buffer_load_dword v172, off, s[0:3], 0 offset:332
	v_add_f32_e32 v34, v34, v35
	s_waitcnt vmcnt(35)
	v_mul_f32_e32 v35, v4, v139
	v_fmac_f32_e32 v35, v5, v124
	v_add_f32_e32 v34, v34, v35
	s_waitcnt vmcnt(34) lgkmcnt(0)
	v_mul_f32_e32 v35, v30, v140
	v_fmac_f32_e32 v35, v31, v66
	buffer_load_dword v173, off, s[0:3], 0 offset:336
	buffer_load_dword v174, off, s[0:3], 0 offset:340
	v_add_f32_e32 v34, v34, v35
	s_waitcnt vmcnt(32)
	v_mul_f32_e32 v35, v32, v142
	v_fmac_f32_e32 v35, v33, v141
	v_add_f32_e32 v67, v34, v35
	ds_read2_b64 v[34:37], v1 offset0:91 offset1:92
	buffer_load_dword v175, off, s[0:3], 0 offset:344
	buffer_load_dword v176, off, s[0:3], 0 offset:348
	ds_read2_b64 v[38:41], v1 offset0:93 offset1:94
	buffer_load_dword v177, off, s[0:3], 0 offset:352
	buffer_load_dword v178, off, s[0:3], 0 offset:356
	;; [unrolled: 1-line block ×14, first 2 shown]
	s_waitcnt vmcnt(46) lgkmcnt(1)
	v_mul_f32_e32 v68, v34, v144
	v_fmac_f32_e32 v68, v35, v143
	v_add_f32_e32 v67, v67, v68
	s_waitcnt vmcnt(44)
	v_mul_f32_e32 v68, v36, v146
	v_fmac_f32_e32 v68, v37, v145
	v_add_f32_e32 v67, v67, v68
	s_waitcnt vmcnt(42) lgkmcnt(0)
	v_mul_f32_e32 v68, v38, v148
	v_fmac_f32_e32 v68, v39, v147
	v_add_f32_e32 v67, v67, v68
	buffer_load_dword v191, off, s[0:3], 0 offset:408
	buffer_load_dword v192, off, s[0:3], 0 offset:412
	ds_read2_b64 v[68:71], v1 offset0:95 offset1:96
	s_waitcnt vmcnt(42)
	v_mul_f32_e32 v72, v40, v150
	v_fmac_f32_e32 v72, v41, v149
	buffer_load_dword v193, off, s[0:3], 0 offset:416
	buffer_load_dword v194, off, s[0:3], 0 offset:420
	v_add_f32_e32 v67, v67, v72
	buffer_load_dword v195, off, s[0:3], 0 offset:424
	buffer_load_dword v196, off, s[0:3], 0 offset:428
	ds_read2_b64 v[72:75], v1 offset0:97 offset1:98
	s_waitcnt vmcnt(44) lgkmcnt(1)
	v_mul_f32_e32 v76, v68, v152
	v_fmac_f32_e32 v76, v69, v151
	v_add_f32_e32 v67, v67, v76
	s_waitcnt vmcnt(42)
	v_mul_f32_e32 v76, v70, v154
	v_fmac_f32_e32 v76, v71, v153
	v_add_f32_e32 v67, v67, v76
	s_waitcnt vmcnt(40) lgkmcnt(0)
	v_mul_f32_e32 v76, v72, v156
	v_fmac_f32_e32 v76, v73, v155
	buffer_load_dword v197, off, s[0:3], 0 offset:432
	buffer_load_dword v198, off, s[0:3], 0 offset:436
	v_add_f32_e32 v67, v67, v76
	ds_read2_b64 v[76:79], v1 offset0:99 offset1:100
	s_waitcnt vmcnt(40)
	v_mul_f32_e32 v80, v74, v158
	v_fmac_f32_e32 v80, v75, v157
	v_add_f32_e32 v67, v67, v80
	ds_read2_b64 v[80:83], v1 offset0:101 offset1:102
	v_mul_f32_e32 v27, v27, v49
	v_fma_f32 v26, v26, v116, -v27
	v_mul_f32_e32 v27, v29, v48
	v_add_f32_e32 v26, 0, v26
	v_fma_f32 v27, v28, v64, -v27
	v_mul_f32_e32 v23, v23, v50
	v_add_f32_e32 v26, v26, v27
	;; [unrolled: 3-line block ×5, first 2 shown]
	v_fma_f32 v19, v20, v60, -v19
	v_mul_f32_e32 v11, v11, v45
	s_waitcnt vmcnt(38) lgkmcnt(1)
	v_mul_f32_e32 v84, v76, v160
	v_fmac_f32_e32 v84, v77, v159
	v_add_f32_e32 v67, v67, v84
	s_waitcnt vmcnt(36)
	v_mul_f32_e32 v84, v78, v162
	v_fmac_f32_e32 v84, v79, v161
	v_add_f32_e32 v67, v67, v84
	s_waitcnt vmcnt(34) lgkmcnt(0)
	v_mul_f32_e32 v84, v80, v164
	v_fmac_f32_e32 v84, v81, v163
	v_add_f32_e32 v67, v67, v84
	ds_read2_b64 v[84:87], v1 offset0:103 offset1:104
	s_waitcnt vmcnt(32)
	v_mul_f32_e32 v88, v82, v166
	v_fmac_f32_e32 v88, v83, v165
	v_add_f32_e32 v67, v67, v88
	ds_read2_b64 v[88:91], v1 offset0:105 offset1:106
	s_waitcnt vmcnt(30) lgkmcnt(1)
	v_mul_f32_e32 v92, v84, v168
	v_fmac_f32_e32 v92, v85, v167
	v_add_f32_e32 v67, v67, v92
	s_waitcnt vmcnt(28)
	v_mul_f32_e32 v92, v86, v170
	v_fmac_f32_e32 v92, v87, v169
	v_add_f32_e32 v67, v67, v92
	s_waitcnt vmcnt(26) lgkmcnt(0)
	v_mul_f32_e32 v92, v88, v172
	v_fmac_f32_e32 v92, v89, v171
	v_add_f32_e32 v67, v67, v92
	ds_read2_b64 v[92:95], v1 offset0:107 offset1:108
	s_waitcnt vmcnt(24)
	v_mul_f32_e32 v96, v90, v174
	v_fmac_f32_e32 v96, v91, v173
	v_add_f32_e32 v67, v67, v96
	ds_read2_b64 v[96:99], v1 offset0:109 offset1:110
	;; [unrolled: 18-line block ×3, first 2 shown]
	s_waitcnt vmcnt(14) lgkmcnt(1)
	v_mul_f32_e32 v108, v100, v184
	v_fmac_f32_e32 v108, v101, v183
	v_add_f32_e32 v67, v67, v108
	s_waitcnt vmcnt(12)
	v_mul_f32_e32 v108, v102, v186
	v_fmac_f32_e32 v108, v103, v185
	v_add_f32_e32 v67, v67, v108
	s_waitcnt vmcnt(10) lgkmcnt(0)
	v_mul_f32_e32 v108, v104, v188
	v_fmac_f32_e32 v108, v105, v187
	s_waitcnt vmcnt(8)
	v_mul_f32_e32 v112, v106, v190
	v_add_f32_e32 v67, v67, v108
	v_fmac_f32_e32 v112, v107, v189
	ds_read2_b64 v[108:111], v1 offset0:115 offset1:116
	v_add_f32_e32 v67, v67, v112
	ds_read2_b64 v[112:115], v1 offset0:117 offset1:118
	buffer_load_dword v119, off, s[0:3], 0 offset:460
	buffer_load_dword v118, off, s[0:3], 0 offset:456
	buffer_load_dword v121, off, s[0:3], 0 offset:452
	buffer_load_dword v120, off, s[0:3], 0 offset:448
	buffer_load_dword v123, off, s[0:3], 0 offset:444
	buffer_load_dword v122, off, s[0:3], 0 offset:440
	v_add_f32_e32 v18, v18, v19
	v_fma_f32 v10, v10, v58, -v11
	v_mul_f32_e32 v11, v13, v51
	v_add_f32_e32 v10, v18, v10
	v_fma_f32 v11, v12, v62, -v11
	buffer_load_dword v127, off, s[0:3], 0 offset:492
	buffer_load_dword v126, off, s[0:3], 0 offset:488
	;; [unrolled: 1-line block ×10, first 2 shown]
	v_add_f32_e32 v10, v10, v11
	v_mul_f32_e32 v11, v15, v52
	v_fma_f32 v11, v14, v59, -v11
	v_add_f32_e32 v10, v10, v11
	v_mul_f32_e32 v11, v17, v53
	v_fma_f32 v11, v16, v57, -v11
	v_mul_f32_e32 v7, v7, v54
	v_add_f32_e32 v10, v10, v11
	v_fma_f32 v6, v6, v56, -v7
	v_mul_f32_e32 v7, v9, v55
	v_add_f32_e32 v6, v10, v6
	;; [unrolled: 3-line block ×4, first 2 shown]
	v_fma_f32 v3, v4, v124, -v3
	v_add_f32_e32 v2, v2, v3
	v_mul_f32_e32 v3, v31, v140
	v_fma_f32 v3, v30, v66, -v3
	v_add_f32_e32 v2, v2, v3
	v_mul_f32_e32 v3, v33, v142
	;; [unrolled: 3-line block ×26, first 2 shown]
	v_fma_f32 v3, v106, v189, -v3
	v_add_f32_e32 v2, v2, v3
	s_waitcnt vmcnt(22) lgkmcnt(1)
	v_mul_f32_e32 v3, v109, v192
	v_fma_f32 v3, v108, v191, -v3
	v_add_f32_e32 v2, v2, v3
	s_waitcnt vmcnt(20)
	v_mul_f32_e32 v3, v111, v194
	v_mul_f32_e32 v117, v108, v192
	v_fma_f32 v3, v110, v193, -v3
	v_fmac_f32_e32 v117, v109, v191
	v_add_f32_e32 v66, v2, v3
	s_waitcnt vmcnt(18) lgkmcnt(0)
	v_mul_f32_e32 v2, v113, v196
	v_add_f32_e32 v67, v67, v117
	v_mul_f32_e32 v117, v110, v194
	v_fma_f32 v116, v112, v195, -v2
	s_waitcnt vmcnt(16)
	v_mul_f32_e32 v2, v115, v198
	v_fmac_f32_e32 v117, v111, v193
	v_fma_f32 v124, v114, v197, -v2
	ds_read2_b64 v[2:5], v1 offset0:119 offset1:120
	ds_read2_b64 v[6:9], v1 offset0:121 offset1:122
	;; [unrolled: 1-line block ×4, first 2 shown]
	v_add_f32_e32 v67, v67, v117
	v_mul_f32_e32 v117, v112, v196
	s_waitcnt vmcnt(11)
	v_mov_b32_e32 v20, v123
	v_fmac_f32_e32 v117, v113, v195
	v_mul_f32_e32 v125, v114, v198
	s_waitcnt lgkmcnt(3)
	v_pk_mul_f32 v[20:21], v[2:3], v[20:21] op_sel_hi:[1,0]
	v_fmac_f32_e32 v125, v115, v197
	v_pk_add_f32 v[18:19], v[66:67], v[116:117]
	s_waitcnt vmcnt(10)
	v_pk_fma_f32 v[22:23], v[2:3], v[122:123], v[20:21] op_sel:[0,0,1] op_sel_hi:[1,1,0] neg_lo:[0,0,1] neg_hi:[0,0,1]
	v_pk_fma_f32 v[2:3], v[2:3], v[122:123], v[20:21] op_sel:[0,0,1] op_sel_hi:[1,0,0]
	v_pk_add_f32 v[18:19], v[18:19], v[124:125]
	v_mov_b32_e32 v23, v3
	v_pk_add_f32 v[2:3], v[18:19], v[22:23]
	v_mov_b32_e32 v18, v121
	v_pk_mul_f32 v[18:19], v[4:5], v[18:19] op_sel_hi:[1,0]
	v_pk_fma_f32 v[20:21], v[4:5], v[120:121], v[18:19] op_sel:[0,0,1] op_sel_hi:[1,1,0] neg_lo:[0,0,1] neg_hi:[0,0,1]
	v_pk_fma_f32 v[4:5], v[4:5], v[120:121], v[18:19] op_sel:[0,0,1] op_sel_hi:[1,0,0]
	v_mov_b32_e32 v4, v119
	v_mov_b32_e32 v21, v5
	s_waitcnt lgkmcnt(2)
	v_pk_mul_f32 v[4:5], v[6:7], v[4:5] op_sel_hi:[1,0]
	v_pk_fma_f32 v[18:19], v[6:7], v[118:119], v[4:5] op_sel:[0,0,1] op_sel_hi:[1,1,0] neg_lo:[0,0,1] neg_hi:[0,0,1]
	v_pk_fma_f32 v[4:5], v[6:7], v[118:119], v[4:5] op_sel:[0,0,1] op_sel_hi:[1,0,0]
	s_waitcnt vmcnt(3)
	v_mov_b32_e32 v4, v133
	v_mov_b32_e32 v19, v5
	v_pk_mul_f32 v[4:5], v[8:9], v[4:5] op_sel_hi:[1,0]
	s_waitcnt vmcnt(2)
	v_pk_fma_f32 v[6:7], v[8:9], v[132:133], v[4:5] op_sel:[0,0,1] op_sel_hi:[1,1,0] neg_lo:[0,0,1] neg_hi:[0,0,1]
	v_pk_fma_f32 v[4:5], v[8:9], v[132:133], v[4:5] op_sel:[0,0,1] op_sel_hi:[1,0,0]
	v_pk_add_f32 v[2:3], v[2:3], v[20:21]
	v_mov_b32_e32 v4, v131
	v_pk_add_f32 v[2:3], v[2:3], v[18:19]
	v_mov_b32_e32 v7, v5
	s_waitcnt lgkmcnt(1)
	v_pk_mul_f32 v[4:5], v[10:11], v[4:5] op_sel_hi:[1,0]
	v_pk_add_f32 v[2:3], v[2:3], v[6:7]
	v_pk_fma_f32 v[6:7], v[10:11], v[130:131], v[4:5] op_sel:[0,0,1] op_sel_hi:[1,1,0] neg_lo:[0,0,1] neg_hi:[0,0,1]
	v_pk_fma_f32 v[4:5], v[10:11], v[130:131], v[4:5] op_sel:[0,0,1] op_sel_hi:[1,0,0]
	v_mov_b32_e32 v4, v129
	v_mov_b32_e32 v7, v5
	v_pk_mul_f32 v[4:5], v[12:13], v[4:5] op_sel_hi:[1,0]
	v_pk_add_f32 v[2:3], v[2:3], v[6:7]
	v_pk_fma_f32 v[6:7], v[12:13], v[128:129], v[4:5] op_sel:[0,0,1] op_sel_hi:[1,1,0] neg_lo:[0,0,1] neg_hi:[0,0,1]
	v_pk_fma_f32 v[4:5], v[12:13], v[128:129], v[4:5] op_sel:[0,0,1] op_sel_hi:[1,0,0]
	v_mov_b32_e32 v4, v127
	v_mov_b32_e32 v7, v5
	s_waitcnt lgkmcnt(0)
	v_pk_mul_f32 v[4:5], v[14:15], v[4:5] op_sel_hi:[1,0]
	v_pk_add_f32 v[2:3], v[2:3], v[6:7]
	v_pk_fma_f32 v[6:7], v[14:15], v[126:127], v[4:5] op_sel:[0,0,1] op_sel_hi:[1,1,0] neg_lo:[0,0,1] neg_hi:[0,0,1]
	v_pk_fma_f32 v[4:5], v[14:15], v[126:127], v[4:5] op_sel:[0,0,1] op_sel_hi:[1,0,0]
	s_waitcnt vmcnt(1)
	v_mov_b32_e32 v4, v135
	v_mov_b32_e32 v7, v5
	v_pk_mul_f32 v[4:5], v[16:17], v[4:5] op_sel_hi:[1,0]
	v_pk_add_f32 v[2:3], v[2:3], v[6:7]
	s_waitcnt vmcnt(0)
	v_pk_fma_f32 v[6:7], v[16:17], v[134:135], v[4:5] op_sel:[0,0,1] op_sel_hi:[1,1,0] neg_lo:[0,0,1] neg_hi:[0,0,1]
	v_pk_fma_f32 v[4:5], v[16:17], v[134:135], v[4:5] op_sel:[0,0,1] op_sel_hi:[1,0,0]
	v_mov_b32_e32 v7, v5
	v_pk_add_f32 v[2:3], v[2:3], v[6:7]
	v_pk_add_f32 v[2:3], v[42:43], v[2:3] neg_lo:[0,1] neg_hi:[0,1]
	buffer_store_dword v3, off, s[0:3], 0 offset:84
	buffer_store_dword v2, off, s[0:3], 0 offset:80
	s_and_saveexec_b64 s[4:5], vcc
	s_cbranch_execz .LBB62_373
; %bb.372:
	buffer_load_dword v2, off, s[0:3], 0 offset:72
	buffer_load_dword v3, off, s[0:3], 0 offset:76
	v_mov_b32_e32 v1, 0
	buffer_store_dword v1, off, s[0:3], 0 offset:72
	buffer_store_dword v1, off, s[0:3], 0 offset:76
	s_waitcnt vmcnt(2)
	ds_write_b64 v217, v[2:3]
.LBB62_373:
	s_or_b64 exec, exec, s[4:5]
	v_mov_b32_e32 v114, 0
	s_waitcnt lgkmcnt(0)
	; wave barrier
	s_waitcnt lgkmcnt(0)
	ds_read_b128 v[2:5], v114 offset:592
	buffer_load_dword v94, off, s[0:3], 0 offset:72
	buffer_load_dword v95, off, s[0:3], 0 offset:76
	;; [unrolled: 1-line block ×16, first 2 shown]
	v_cmp_lt_u32_e32 vcc, 8, v0
	s_waitcnt vmcnt(12) lgkmcnt(0)
	v_mul_f32_e32 v6, v2, v102
	v_fmac_f32_e32 v6, v3, v1
	s_waitcnt vmcnt(10)
	v_mul_f32_e32 v7, v4, v116
	v_add_f32_e32 v6, 0, v6
	v_fmac_f32_e32 v7, v5, v96
	v_add_f32_e32 v10, v6, v7
	ds_read_b128 v[6:9], v114 offset:608
	v_mul_f32_e32 v3, v3, v102
	v_fma_f32 v1, v2, v1, -v3
	v_mul_f32_e32 v2, v5, v116
	v_add_f32_e32 v1, 0, v1
	s_waitcnt vmcnt(8) lgkmcnt(0)
	v_mul_f32_e32 v11, v6, v118
	v_fmac_f32_e32 v11, v7, v98
	v_add_f32_e32 v10, v10, v11
	s_waitcnt vmcnt(6)
	v_mul_f32_e32 v11, v8, v120
	v_fmac_f32_e32 v11, v9, v115
	v_add_f32_e32 v14, v10, v11
	ds_read_b128 v[10:13], v114 offset:624
	v_fma_f32 v2, v4, v96, -v2
	v_add_f32_e32 v1, v1, v2
	v_mul_f32_e32 v2, v7, v118
	v_fma_f32 v2, v6, v98, -v2
	s_waitcnt vmcnt(4) lgkmcnt(0)
	v_mul_f32_e32 v15, v10, v122
	v_fmac_f32_e32 v15, v11, v117
	v_add_f32_e32 v14, v14, v15
	s_waitcnt vmcnt(2)
	v_mul_f32_e32 v15, v12, v123
	v_fmac_f32_e32 v15, v13, v119
	v_add_f32_e32 v18, v14, v15
	ds_read_b128 v[14:17], v114 offset:640
	buffer_load_dword v125, off, s[0:3], 0 offset:136
	buffer_load_dword v126, off, s[0:3], 0 offset:140
	v_add_f32_e32 v1, v1, v2
	v_mul_f32_e32 v2, v9, v120
	v_fma_f32 v2, v8, v115, -v2
	s_waitcnt vmcnt(2) lgkmcnt(0)
	v_mul_f32_e32 v19, v14, v124
	v_fmac_f32_e32 v19, v15, v121
	v_add_f32_e32 v18, v18, v19
	v_add_f32_e32 v1, v1, v2
	v_mul_f32_e32 v2, v11, v122
	v_fma_f32 v2, v10, v117, -v2
	v_add_f32_e32 v1, v1, v2
	v_mul_f32_e32 v2, v13, v123
	v_fma_f32 v2, v12, v119, -v2
	;; [unrolled: 3-line block ×3, first 2 shown]
	v_add_f32_e32 v1, v1, v2
	s_waitcnt vmcnt(0)
	v_mul_f32_e32 v19, v16, v126
	v_fmac_f32_e32 v19, v17, v125
	v_add_f32_e32 v22, v18, v19
	ds_read_b128 v[18:21], v114 offset:656
	buffer_load_dword v127, off, s[0:3], 0 offset:144
	buffer_load_dword v128, off, s[0:3], 0 offset:148
	;; [unrolled: 1-line block ×4, first 2 shown]
	v_mul_f32_e32 v2, v17, v126
	v_fma_f32 v2, v16, v125, -v2
	v_add_f32_e32 v1, v1, v2
	s_waitcnt vmcnt(2) lgkmcnt(0)
	v_mul_f32_e32 v23, v18, v128
	v_fmac_f32_e32 v23, v19, v127
	v_add_f32_e32 v22, v22, v23
	s_waitcnt vmcnt(0)
	v_mul_f32_e32 v23, v20, v130
	v_fmac_f32_e32 v23, v21, v129
	v_add_f32_e32 v26, v22, v23
	ds_read_b128 v[22:25], v114 offset:672
	buffer_load_dword v131, off, s[0:3], 0 offset:160
	buffer_load_dword v132, off, s[0:3], 0 offset:164
	buffer_load_dword v133, off, s[0:3], 0 offset:168
	buffer_load_dword v134, off, s[0:3], 0 offset:172
	v_mul_f32_e32 v2, v19, v128
	v_fma_f32 v2, v18, v127, -v2
	v_add_f32_e32 v1, v1, v2
	v_mul_f32_e32 v2, v21, v130
	v_fma_f32 v2, v20, v129, -v2
	v_add_f32_e32 v1, v1, v2
	s_waitcnt vmcnt(2) lgkmcnt(0)
	v_mul_f32_e32 v27, v22, v132
	v_fmac_f32_e32 v27, v23, v131
	v_add_f32_e32 v26, v26, v27
	s_waitcnt vmcnt(0)
	v_mul_f32_e32 v27, v24, v134
	v_fmac_f32_e32 v27, v25, v133
	v_add_f32_e32 v30, v26, v27
	ds_read_b128 v[26:29], v114 offset:688
	buffer_load_dword v135, off, s[0:3], 0 offset:176
	buffer_load_dword v136, off, s[0:3], 0 offset:180
	buffer_load_dword v137, off, s[0:3], 0 offset:184
	buffer_load_dword v138, off, s[0:3], 0 offset:188
	v_mul_f32_e32 v2, v23, v132
	v_fma_f32 v2, v22, v131, -v2
	v_add_f32_e32 v1, v1, v2
	;; [unrolled: 19-line block ×4, first 2 shown]
	v_mul_f32_e32 v2, v33, v142
	v_fma_f32 v2, v32, v141, -v2
	v_add_f32_e32 v1, v1, v2
	s_waitcnt vmcnt(2) lgkmcnt(0)
	v_mul_f32_e32 v39, v34, v144
	v_fmac_f32_e32 v39, v35, v143
	v_add_f32_e32 v38, v38, v39
	s_waitcnt vmcnt(0)
	v_mul_f32_e32 v39, v36, v146
	v_fmac_f32_e32 v39, v37, v145
	v_add_f32_e32 v42, v38, v39
	ds_read_b128 v[38:41], v114 offset:736
	buffer_load_dword v147, off, s[0:3], 0 offset:224
	buffer_load_dword v148, off, s[0:3], 0 offset:228
	buffer_load_dword v149, off, s[0:3], 0 offset:232
	buffer_load_dword v150, off, s[0:3], 0 offset:236
	ds_read_b128 v[46:49], v114 offset:752
	buffer_load_dword v151, off, s[0:3], 0 offset:240
	buffer_load_dword v152, off, s[0:3], 0 offset:244
	buffer_load_dword v153, off, s[0:3], 0 offset:248
	buffer_load_dword v154, off, s[0:3], 0 offset:252
	;; [unrolled: 5-line block ×13, first 2 shown]
	v_mul_f32_e32 v2, v35, v144
	v_fma_f32 v2, v34, v143, -v2
	v_add_f32_e32 v1, v1, v2
	v_mul_f32_e32 v2, v37, v146
	v_fma_f32 v2, v36, v145, -v2
	v_add_f32_e32 v1, v1, v2
	s_waitcnt vmcnt(50) lgkmcnt(12)
	v_mul_f32_e32 v43, v38, v148
	v_fmac_f32_e32 v43, v39, v147
	v_add_f32_e32 v42, v42, v43
	s_waitcnt vmcnt(48)
	v_mul_f32_e32 v43, v40, v150
	v_fmac_f32_e32 v43, v41, v149
	v_add_f32_e32 v42, v42, v43
	s_waitcnt vmcnt(46) lgkmcnt(11)
	v_mul_f32_e32 v43, v46, v152
	v_fmac_f32_e32 v43, v47, v151
	v_add_f32_e32 v42, v42, v43
	s_waitcnt vmcnt(44)
	v_mul_f32_e32 v43, v48, v154
	v_fmac_f32_e32 v43, v49, v153
	;; [unrolled: 8-line block ×12, first 2 shown]
	v_add_f32_e32 v42, v42, v43
	s_waitcnt vmcnt(2) lgkmcnt(0)
	v_mul_f32_e32 v43, v90, v196
	v_fmac_f32_e32 v43, v91, v195
	v_add_f32_e32 v97, v42, v43
	ds_read_b128 v[42:45], v114 offset:944
	buffer_load_dword v199, off, s[0:3], 0 offset:432
	buffer_load_dword v200, off, s[0:3], 0 offset:436
	;; [unrolled: 1-line block ×18, first 2 shown]
	v_mul_f32_e32 v2, v39, v148
	v_fma_f32 v2, v38, v147, -v2
	v_add_f32_e32 v1, v1, v2
	v_mul_f32_e32 v2, v41, v150
	v_fma_f32 v2, v40, v149, -v2
	v_add_f32_e32 v1, v1, v2
	;; [unrolled: 3-line block ×24, first 2 shown]
	v_mul_f32_e32 v2, v91, v196
	v_fma_f32 v2, v90, v195, -v2
	s_waitcnt vmcnt(15)
	v_mov_b32_e32 v18, v101
	v_mul_f32_e32 v99, v92, v198
	v_add_f32_e32 v96, v1, v2
	v_mul_f32_e32 v1, v93, v198
	s_waitcnt lgkmcnt(0)
	v_pk_mul_f32 v[18:19], v[44:45], v[18:19] op_sel_hi:[1,0]
	v_fmac_f32_e32 v99, v93, v197
	v_mul_f32_e32 v103, v42, v200
	v_fma_f32 v98, v92, v197, -v1
	v_mul_f32_e32 v1, v43, v200
	ds_read_b128 v[2:5], v114 offset:960
	ds_read_b128 v[6:9], v114 offset:976
	;; [unrolled: 1-line block ×3, first 2 shown]
	ds_read_b64 v[14:15], v114 offset:1008
	s_waitcnt vmcnt(14)
	v_pk_fma_f32 v[20:21], v[44:45], v[100:101], v[18:19] op_sel:[0,0,1] op_sel_hi:[1,1,0] neg_lo:[0,0,1] neg_hi:[0,0,1]
	v_pk_fma_f32 v[18:19], v[44:45], v[100:101], v[18:19] op_sel:[0,0,1] op_sel_hi:[1,0,0]
	v_fmac_f32_e32 v103, v43, v199
	v_fma_f32 v102, v42, v199, -v1
	v_pk_add_f32 v[16:17], v[96:97], v[98:99]
	s_waitcnt vmcnt(13)
	v_mov_b32_e32 v18, v239
	v_pk_add_f32 v[16:17], v[16:17], v[102:103]
	v_mov_b32_e32 v21, v19
	s_waitcnt lgkmcnt(3)
	v_pk_mul_f32 v[18:19], v[2:3], v[18:19] op_sel_hi:[1,0]
	v_pk_add_f32 v[16:17], v[16:17], v[20:21]
	s_waitcnt vmcnt(12)
	v_pk_fma_f32 v[20:21], v[2:3], v[238:239], v[18:19] op_sel:[0,0,1] op_sel_hi:[1,1,0] neg_lo:[0,0,1] neg_hi:[0,0,1]
	v_pk_fma_f32 v[2:3], v[2:3], v[238:239], v[18:19] op_sel:[0,0,1] op_sel_hi:[1,0,0]
	v_mov_b32_e32 v21, v3
	v_pk_add_f32 v[2:3], v[16:17], v[20:21]
	s_waitcnt vmcnt(11)
	v_mov_b32_e32 v16, v237
	v_pk_mul_f32 v[16:17], v[4:5], v[16:17] op_sel_hi:[1,0]
	s_waitcnt vmcnt(10)
	v_pk_fma_f32 v[18:19], v[4:5], v[236:237], v[16:17] op_sel:[0,0,1] op_sel_hi:[1,1,0] neg_lo:[0,0,1] neg_hi:[0,0,1]
	v_pk_fma_f32 v[4:5], v[4:5], v[236:237], v[16:17] op_sel:[0,0,1] op_sel_hi:[1,0,0]
	s_waitcnt vmcnt(9)
	v_mov_b32_e32 v4, v113
	v_mov_b32_e32 v19, v5
	s_waitcnt lgkmcnt(2)
	v_pk_mul_f32 v[4:5], v[6:7], v[4:5] op_sel_hi:[1,0]
	s_waitcnt vmcnt(8)
	v_pk_fma_f32 v[16:17], v[6:7], v[112:113], v[4:5] op_sel:[0,0,1] op_sel_hi:[1,1,0] neg_lo:[0,0,1] neg_hi:[0,0,1]
	v_pk_fma_f32 v[4:5], v[6:7], v[112:113], v[4:5] op_sel:[0,0,1] op_sel_hi:[1,0,0]
	s_waitcnt vmcnt(7)
	v_mov_b32_e32 v4, v111
	v_mov_b32_e32 v17, v5
	v_pk_mul_f32 v[4:5], v[8:9], v[4:5] op_sel_hi:[1,0]
	s_waitcnt vmcnt(6)
	v_pk_fma_f32 v[6:7], v[8:9], v[110:111], v[4:5] op_sel:[0,0,1] op_sel_hi:[1,1,0] neg_lo:[0,0,1] neg_hi:[0,0,1]
	v_pk_fma_f32 v[4:5], v[8:9], v[110:111], v[4:5] op_sel:[0,0,1] op_sel_hi:[1,0,0]
	v_pk_add_f32 v[2:3], v[2:3], v[18:19]
	s_waitcnt vmcnt(5)
	v_mov_b32_e32 v4, v109
	v_pk_add_f32 v[2:3], v[2:3], v[16:17]
	v_mov_b32_e32 v7, v5
	s_waitcnt lgkmcnt(1)
	v_pk_mul_f32 v[4:5], v[10:11], v[4:5] op_sel_hi:[1,0]
	v_pk_add_f32 v[2:3], v[2:3], v[6:7]
	s_waitcnt vmcnt(4)
	v_pk_fma_f32 v[6:7], v[10:11], v[108:109], v[4:5] op_sel:[0,0,1] op_sel_hi:[1,1,0] neg_lo:[0,0,1] neg_hi:[0,0,1]
	v_pk_fma_f32 v[4:5], v[10:11], v[108:109], v[4:5] op_sel:[0,0,1] op_sel_hi:[1,0,0]
	s_waitcnt vmcnt(3)
	v_mov_b32_e32 v4, v107
	v_mov_b32_e32 v7, v5
	v_pk_mul_f32 v[4:5], v[12:13], v[4:5] op_sel_hi:[1,0]
	v_pk_add_f32 v[2:3], v[2:3], v[6:7]
	s_waitcnt vmcnt(2)
	v_pk_fma_f32 v[6:7], v[12:13], v[106:107], v[4:5] op_sel:[0,0,1] op_sel_hi:[1,1,0] neg_lo:[0,0,1] neg_hi:[0,0,1]
	v_pk_fma_f32 v[4:5], v[12:13], v[106:107], v[4:5] op_sel:[0,0,1] op_sel_hi:[1,0,0]
	s_waitcnt vmcnt(1)
	v_mov_b32_e32 v4, v105
	v_mov_b32_e32 v7, v5
	s_waitcnt lgkmcnt(0)
	v_pk_mul_f32 v[4:5], v[14:15], v[4:5] op_sel_hi:[1,0]
	v_pk_add_f32 v[2:3], v[2:3], v[6:7]
	s_waitcnt vmcnt(0)
	v_pk_fma_f32 v[6:7], v[14:15], v[104:105], v[4:5] op_sel:[0,0,1] op_sel_hi:[1,1,0] neg_lo:[0,0,1] neg_hi:[0,0,1]
	v_pk_fma_f32 v[4:5], v[14:15], v[104:105], v[4:5] op_sel:[0,0,1] op_sel_hi:[1,0,0]
	v_mov_b32_e32 v7, v5
	v_pk_add_f32 v[2:3], v[2:3], v[6:7]
	v_pk_add_f32 v[2:3], v[94:95], v[2:3] neg_lo:[0,1] neg_hi:[0,1]
	buffer_store_dword v3, off, s[0:3], 0 offset:76
	buffer_store_dword v2, off, s[0:3], 0 offset:72
	s_and_saveexec_b64 s[4:5], vcc
	s_cbranch_execz .LBB62_375
; %bb.374:
	buffer_load_dword v2, off, s[0:3], 0 offset:64
	buffer_load_dword v3, off, s[0:3], 0 offset:68
	s_waitcnt vmcnt(0)
	ds_write_b64 v217, v[2:3]
	buffer_store_dword v114, off, s[0:3], 0 offset:64
	buffer_store_dword v114, off, s[0:3], 0 offset:68
.LBB62_375:
	s_or_b64 exec, exec, s[4:5]
	s_waitcnt lgkmcnt(0)
	; wave barrier
	s_waitcnt lgkmcnt(0)
	buffer_load_dword v48, off, s[0:3], 0 offset:76
	buffer_load_dword v47, off, s[0:3], 0 offset:84
	;; [unrolled: 1-line block ×34, first 2 shown]
	ds_read2_b64 v[30:33], v114 offset0:73 offset1:74
	ds_read2_b64 v[26:29], v114 offset0:75 offset1:76
	;; [unrolled: 1-line block ×6, first 2 shown]
	buffer_load_dword v151, off, s[0:3], 0 offset:200
	buffer_load_dword v152, off, s[0:3], 0 offset:204
	ds_read2_b64 v[10:13], v114 offset0:85 offset1:86
	ds_read2_b64 v[2:5], v114 offset0:87 offset1:88
	buffer_load_dword v153, off, s[0:3], 0 offset:208
	buffer_load_dword v154, off, s[0:3], 0 offset:212
	;; [unrolled: 1-line block ×24, first 2 shown]
	v_cmp_lt_u32_e32 vcc, 7, v0
	s_waitcnt vmcnt(59) lgkmcnt(7)
	v_mul_f32_e32 v34, v30, v48
	s_waitcnt vmcnt(58)
	v_mul_f32_e32 v35, v32, v47
	s_waitcnt vmcnt(57) lgkmcnt(6)
	v_mul_f32_e32 v37, v28, v46
	s_waitcnt vmcnt(56) lgkmcnt(5)
	v_mul_f32_e32 v38, v22, v45
	s_waitcnt vmcnt(55)
	v_mul_f32_e32 v39, v24, v1
	s_waitcnt vmcnt(54)
	v_mul_f32_e32 v36, v26, v49
	s_waitcnt vmcnt(53) lgkmcnt(4)
	v_mul_f32_e32 v40, v18, v44
	s_waitcnt vmcnt(52)
	v_mul_f32_e32 v41, v20, v108
	s_waitcnt vmcnt(51) lgkmcnt(3)
	;; [unrolled: 4-line block ×3, first 2 shown]
	v_mul_f32_e32 v52, v6, v115
	s_waitcnt vmcnt(48)
	v_mul_f32_e32 v53, v8, v130
	s_waitcnt vmcnt(47)
	v_fmac_f32_e32 v36, v27, v131
	s_waitcnt vmcnt(46)
	v_fmac_f32_e32 v35, v33, v132
	;; [unrolled: 2-line block ×3, first 2 shown]
	v_add_f32_e32 v34, 0, v34
	v_add_f32_e32 v34, v34, v35
	;; [unrolled: 1-line block ×3, first 2 shown]
	s_waitcnt vmcnt(41)
	v_fmac_f32_e32 v37, v29, v137
	v_fmac_f32_e32 v38, v23, v136
	v_add_f32_e32 v34, v34, v37
	v_fmac_f32_e32 v39, v25, v135
	v_add_f32_e32 v34, v34, v38
	;; [unrolled: 2-line block ×3, first 2 shown]
	s_waitcnt vmcnt(37)
	v_fmac_f32_e32 v41, v21, v141
	v_add_f32_e32 v34, v34, v40
	v_fmac_f32_e32 v50, v15, v140
	v_add_f32_e32 v34, v34, v41
	;; [unrolled: 2-line block ×4, first 2 shown]
	s_waitcnt vmcnt(33)
	v_fmac_f32_e32 v53, v9, v145
	v_add_f32_e32 v34, v34, v52
	s_waitcnt vmcnt(32) lgkmcnt(1)
	v_mul_f32_e32 v35, v10, v146
	v_add_f32_e32 v34, v34, v53
	v_fmac_f32_e32 v35, v11, v144
	v_add_f32_e32 v34, v34, v35
	s_waitcnt vmcnt(31)
	v_mul_f32_e32 v35, v12, v147
	v_fmac_f32_e32 v35, v13, v143
	v_add_f32_e32 v34, v34, v35
	s_waitcnt vmcnt(30) lgkmcnt(0)
	v_mul_f32_e32 v35, v2, v148
	v_fmac_f32_e32 v35, v3, v142
	v_add_f32_e32 v38, v34, v35
	ds_read2_b64 v[34:37], v114 offset0:89 offset1:90
	buffer_load_dword v177, off, s[0:3], 0 offset:304
	buffer_load_dword v178, off, s[0:3], 0 offset:308
	;; [unrolled: 1-line block ×4, first 2 shown]
	s_waitcnt vmcnt(32)
	v_mul_f32_e32 v39, v4, v150
	v_fmac_f32_e32 v39, v5, v149
	v_add_f32_e32 v50, v38, v39
	ds_read2_b64 v[38:41], v114 offset0:91 offset1:92
	buffer_load_dword v181, off, s[0:3], 0 offset:320
	buffer_load_dword v182, off, s[0:3], 0 offset:324
	;; [unrolled: 1-line block ×12, first 2 shown]
	s_waitcnt vmcnt(40) lgkmcnt(1)
	v_mul_f32_e32 v51, v34, v152
	v_fmac_f32_e32 v51, v35, v151
	buffer_load_dword v193, off, s[0:3], 0 offset:368
	buffer_load_dword v194, off, s[0:3], 0 offset:372
	v_add_f32_e32 v50, v50, v51
	s_waitcnt vmcnt(40)
	v_mul_f32_e32 v51, v36, v154
	v_fmac_f32_e32 v51, v37, v153
	buffer_load_dword v195, off, s[0:3], 0 offset:376
	buffer_load_dword v196, off, s[0:3], 0 offset:380
	v_add_f32_e32 v50, v50, v51
	s_waitcnt vmcnt(40) lgkmcnt(0)
	v_mul_f32_e32 v51, v38, v156
	v_fmac_f32_e32 v51, v39, v155
	v_add_f32_e32 v54, v50, v51
	ds_read2_b64 v[50:53], v114 offset0:93 offset1:94
	buffer_load_dword v197, off, s[0:3], 0 offset:384
	buffer_load_dword v198, off, s[0:3], 0 offset:388
	s_waitcnt vmcnt(40)
	v_mul_f32_e32 v55, v40, v158
	v_fmac_f32_e32 v55, v41, v157
	v_add_f32_e32 v58, v54, v55
	ds_read2_b64 v[54:57], v114 offset0:95 offset1:96
	buffer_load_dword v199, off, s[0:3], 0 offset:392
	buffer_load_dword v200, off, s[0:3], 0 offset:396
	;; [unrolled: 1-line block ×8, first 2 shown]
	s_waitcnt vmcnt(46) lgkmcnt(1)
	v_mul_f32_e32 v59, v50, v160
	v_fmac_f32_e32 v59, v51, v159
	v_add_f32_e32 v58, v58, v59
	s_waitcnt vmcnt(44)
	v_mul_f32_e32 v59, v52, v162
	v_fmac_f32_e32 v59, v53, v161
	v_add_f32_e32 v58, v58, v59
	s_waitcnt vmcnt(42) lgkmcnt(0)
	v_mul_f32_e32 v59, v54, v164
	v_fmac_f32_e32 v59, v55, v163
	v_add_f32_e32 v62, v58, v59
	buffer_load_dword v207, off, s[0:3], 0 offset:424
	buffer_load_dword v236, off, s[0:3], 0 offset:428
	;; [unrolled: 1-line block ×4, first 2 shown]
	ds_read2_b64 v[58:61], v114 offset0:97 offset1:98
	s_waitcnt vmcnt(44)
	v_mul_f32_e32 v63, v56, v166
	v_fmac_f32_e32 v63, v57, v165
	v_add_f32_e32 v66, v62, v63
	ds_read2_b64 v[62:65], v114 offset0:99 offset1:100
	s_waitcnt vmcnt(42) lgkmcnt(1)
	v_mul_f32_e32 v67, v58, v168
	v_fmac_f32_e32 v67, v59, v167
	v_add_f32_e32 v66, v66, v67
	s_waitcnt vmcnt(40)
	v_mul_f32_e32 v67, v60, v170
	v_fmac_f32_e32 v67, v61, v169
	v_add_f32_e32 v66, v66, v67
	s_waitcnt vmcnt(38) lgkmcnt(0)
	v_mul_f32_e32 v67, v62, v172
	v_fmac_f32_e32 v67, v63, v171
	v_add_f32_e32 v70, v66, v67
	ds_read2_b64 v[66:69], v114 offset0:101 offset1:102
	s_waitcnt vmcnt(36)
	v_mul_f32_e32 v71, v64, v174
	v_fmac_f32_e32 v71, v65, v173
	v_add_f32_e32 v74, v70, v71
	ds_read2_b64 v[70:73], v114 offset0:103 offset1:104
	s_waitcnt vmcnt(34) lgkmcnt(1)
	v_mul_f32_e32 v75, v66, v176
	v_fmac_f32_e32 v75, v67, v175
	v_add_f32_e32 v74, v74, v75
	v_mul_f32_e32 v31, v31, v48
	v_fma_f32 v30, v30, v133, -v31
	v_mul_f32_e32 v31, v33, v47
	v_add_f32_e32 v30, 0, v30
	v_fma_f32 v31, v32, v132, -v31
	v_mul_f32_e32 v27, v27, v49
	v_add_f32_e32 v30, v30, v31
	;; [unrolled: 3-line block ×4, first 2 shown]
	v_fma_f32 v22, v22, v136, -v23
	v_mul_f32_e32 v1, v25, v1
	s_waitcnt vmcnt(32)
	v_mul_f32_e32 v75, v68, v178
	v_fmac_f32_e32 v75, v69, v177
	v_add_f32_e32 v74, v74, v75
	s_waitcnt vmcnt(30) lgkmcnt(0)
	v_mul_f32_e32 v75, v70, v180
	v_fmac_f32_e32 v75, v71, v179
	v_add_f32_e32 v78, v74, v75
	ds_read2_b64 v[74:77], v114 offset0:105 offset1:106
	s_waitcnt vmcnt(28)
	v_mul_f32_e32 v79, v72, v182
	v_fmac_f32_e32 v79, v73, v181
	v_add_f32_e32 v82, v78, v79
	ds_read2_b64 v[78:81], v114 offset0:107 offset1:108
	s_waitcnt vmcnt(26) lgkmcnt(1)
	v_mul_f32_e32 v83, v74, v184
	v_fmac_f32_e32 v83, v75, v183
	v_add_f32_e32 v82, v82, v83
	s_waitcnt vmcnt(24)
	v_mul_f32_e32 v83, v76, v186
	v_fmac_f32_e32 v83, v77, v185
	v_add_f32_e32 v82, v82, v83
	s_waitcnt vmcnt(22) lgkmcnt(0)
	v_mul_f32_e32 v83, v78, v188
	v_fmac_f32_e32 v83, v79, v187
	v_add_f32_e32 v86, v82, v83
	ds_read2_b64 v[82:85], v114 offset0:109 offset1:110
	s_waitcnt vmcnt(20)
	v_mul_f32_e32 v87, v80, v190
	v_fmac_f32_e32 v87, v81, v189
	v_add_f32_e32 v90, v86, v87
	ds_read2_b64 v[86:89], v114 offset0:111 offset1:112
	s_waitcnt vmcnt(18) lgkmcnt(1)
	v_mul_f32_e32 v91, v82, v192
	v_fmac_f32_e32 v91, v83, v191
	v_add_f32_e32 v90, v90, v91
	s_waitcnt vmcnt(16)
	v_mul_f32_e32 v91, v84, v194
	v_fmac_f32_e32 v91, v85, v193
	v_add_f32_e32 v90, v90, v91
	s_waitcnt vmcnt(14) lgkmcnt(0)
	v_mul_f32_e32 v91, v86, v196
	v_fmac_f32_e32 v91, v87, v195
	v_add_f32_e32 v94, v90, v91
	ds_read2_b64 v[90:93], v114 offset0:113 offset1:114
	s_waitcnt vmcnt(12)
	v_mul_f32_e32 v95, v88, v198
	v_fmac_f32_e32 v95, v89, v197
	v_add_f32_e32 v98, v94, v95
	ds_read2_b64 v[94:97], v114 offset0:115 offset1:116
	buffer_load_dword v107, off, s[0:3], 0 offset:444
	buffer_load_dword v106, off, s[0:3], 0 offset:440
	s_waitcnt vmcnt(12) lgkmcnt(1)
	v_mul_f32_e32 v99, v90, v200
	v_fmac_f32_e32 v99, v91, v199
	v_add_f32_e32 v98, v98, v99
	s_waitcnt vmcnt(10)
	v_mul_f32_e32 v99, v92, v202
	v_fmac_f32_e32 v99, v93, v201
	v_add_f32_e32 v98, v98, v99
	s_waitcnt vmcnt(8) lgkmcnt(0)
	v_mul_f32_e32 v99, v94, v204
	v_fmac_f32_e32 v99, v95, v203
	s_waitcnt vmcnt(6)
	v_mul_f32_e32 v103, v96, v206
	v_add_f32_e32 v22, v26, v22
	v_fma_f32 v1, v24, v135, -v1
	v_mul_f32_e32 v19, v19, v44
	v_add_f32_e32 v102, v98, v99
	v_fmac_f32_e32 v103, v97, v205
	v_add_f32_e32 v1, v22, v1
	v_fma_f32 v18, v18, v134, -v19
	ds_read2_b64 v[98:101], v114 offset0:117 offset1:118
	v_add_f32_e32 v109, v102, v103
	ds_read2_b64 v[102:105], v114 offset0:119 offset1:120
	buffer_load_dword v117, off, s[0:3], 0 offset:476
	buffer_load_dword v116, off, s[0:3], 0 offset:472
	;; [unrolled: 1-line block ×14, first 2 shown]
	v_add_f32_e32 v1, v1, v18
	v_mul_f32_e32 v18, v21, v108
	v_fma_f32 v18, v20, v141, -v18
	v_mul_f32_e32 v15, v15, v110
	v_add_f32_e32 v1, v1, v18
	v_fma_f32 v14, v14, v140, -v15
	v_add_f32_e32 v1, v1, v14
	v_mul_f32_e32 v14, v17, v112
	v_fma_f32 v14, v16, v139, -v14
	v_mul_f32_e32 v7, v7, v115
	v_add_f32_e32 v1, v1, v14
	v_fma_f32 v6, v6, v138, -v7
	v_add_f32_e32 v1, v1, v6
	v_mul_f32_e32 v6, v9, v130
	v_fma_f32 v6, v8, v145, -v6
	v_add_f32_e32 v1, v1, v6
	v_mul_f32_e32 v6, v11, v146
	;; [unrolled: 3-line block ×3, first 2 shown]
	v_fma_f32 v6, v12, v143, -v6
	v_mul_f32_e32 v3, v3, v148
	v_add_f32_e32 v1, v1, v6
	v_fma_f32 v2, v2, v142, -v3
	v_add_f32_e32 v1, v1, v2
	v_mul_f32_e32 v2, v5, v150
	v_fma_f32 v2, v4, v149, -v2
	v_add_f32_e32 v1, v1, v2
	v_mul_f32_e32 v2, v35, v152
	;; [unrolled: 3-line block ×29, first 2 shown]
	v_fma_f32 v2, v96, v205, -v2
	s_waitcnt vmcnt(15)
	v_mov_b32_e32 v16, v107
	s_waitcnt lgkmcnt(1)
	v_mul_f32_e32 v111, v98, v236
	v_add_f32_e32 v108, v1, v2
	v_mul_f32_e32 v1, v99, v236
	s_waitcnt lgkmcnt(0)
	v_pk_mul_f32 v[16:17], v[102:103], v[16:17] op_sel_hi:[1,0]
	v_fmac_f32_e32 v111, v99, v207
	v_mul_f32_e32 v113, v100, v238
	v_fma_f32 v110, v98, v207, -v1
	v_mul_f32_e32 v1, v101, v238
	s_waitcnt vmcnt(14)
	v_pk_fma_f32 v[18:19], v[102:103], v[106:107], v[16:17] op_sel:[0,0,1] op_sel_hi:[1,1,0] neg_lo:[0,0,1] neg_hi:[0,0,1]
	v_pk_fma_f32 v[16:17], v[102:103], v[106:107], v[16:17] op_sel:[0,0,1] op_sel_hi:[1,0,0]
	v_fmac_f32_e32 v113, v101, v237
	v_fma_f32 v112, v100, v237, -v1
	v_pk_add_f32 v[14:15], v[108:109], v[110:111]
	s_waitcnt vmcnt(7)
	v_mov_b32_e32 v16, v123
	ds_read2_b64 v[2:5], v114 offset0:121 offset1:122
	ds_read2_b64 v[6:9], v114 offset0:123 offset1:124
	ds_read2_b64 v[10:13], v114 offset0:125 offset1:126
	v_pk_add_f32 v[14:15], v[14:15], v[112:113]
	v_mov_b32_e32 v19, v17
	v_pk_mul_f32 v[16:17], v[104:105], v[16:17] op_sel_hi:[1,0]
	v_pk_add_f32 v[14:15], v[14:15], v[18:19]
	s_waitcnt vmcnt(6)
	v_pk_fma_f32 v[18:19], v[104:105], v[122:123], v[16:17] op_sel:[0,0,1] op_sel_hi:[1,1,0] neg_lo:[0,0,1] neg_hi:[0,0,1]
	v_pk_fma_f32 v[16:17], v[104:105], v[122:123], v[16:17] op_sel:[0,0,1] op_sel_hi:[1,0,0]
	v_mov_b32_e32 v16, v121
	v_mov_b32_e32 v19, v17
	s_waitcnt lgkmcnt(2)
	v_pk_mul_f32 v[16:17], v[2:3], v[16:17] op_sel_hi:[1,0]
	v_pk_add_f32 v[14:15], v[14:15], v[18:19]
	v_pk_fma_f32 v[18:19], v[2:3], v[120:121], v[16:17] op_sel:[0,0,1] op_sel_hi:[1,1,0] neg_lo:[0,0,1] neg_hi:[0,0,1]
	v_pk_fma_f32 v[2:3], v[2:3], v[120:121], v[16:17] op_sel:[0,0,1] op_sel_hi:[1,0,0]
	v_mov_b32_e32 v19, v3
	v_pk_add_f32 v[2:3], v[14:15], v[18:19]
	v_mov_b32_e32 v14, v119
	v_pk_mul_f32 v[14:15], v[4:5], v[14:15] op_sel_hi:[1,0]
	v_pk_fma_f32 v[16:17], v[4:5], v[118:119], v[14:15] op_sel:[0,0,1] op_sel_hi:[1,1,0] neg_lo:[0,0,1] neg_hi:[0,0,1]
	v_pk_fma_f32 v[4:5], v[4:5], v[118:119], v[14:15] op_sel:[0,0,1] op_sel_hi:[1,0,0]
	v_mov_b32_e32 v4, v117
	v_mov_b32_e32 v17, v5
	s_waitcnt lgkmcnt(1)
	v_pk_mul_f32 v[4:5], v[6:7], v[4:5] op_sel_hi:[1,0]
	v_pk_fma_f32 v[14:15], v[6:7], v[116:117], v[4:5] op_sel:[0,0,1] op_sel_hi:[1,1,0] neg_lo:[0,0,1] neg_hi:[0,0,1]
	v_pk_fma_f32 v[4:5], v[6:7], v[116:117], v[4:5] op_sel:[0,0,1] op_sel_hi:[1,0,0]
	s_waitcnt vmcnt(1)
	v_mov_b32_e32 v4, v129
	v_mov_b32_e32 v15, v5
	v_pk_mul_f32 v[4:5], v[8:9], v[4:5] op_sel_hi:[1,0]
	s_waitcnt vmcnt(0)
	v_pk_fma_f32 v[6:7], v[8:9], v[128:129], v[4:5] op_sel:[0,0,1] op_sel_hi:[1,1,0] neg_lo:[0,0,1] neg_hi:[0,0,1]
	v_pk_fma_f32 v[4:5], v[8:9], v[128:129], v[4:5] op_sel:[0,0,1] op_sel_hi:[1,0,0]
	v_pk_add_f32 v[2:3], v[2:3], v[16:17]
	v_mov_b32_e32 v4, v127
	v_pk_add_f32 v[2:3], v[2:3], v[14:15]
	v_mov_b32_e32 v7, v5
	s_waitcnt lgkmcnt(0)
	v_pk_mul_f32 v[4:5], v[10:11], v[4:5] op_sel_hi:[1,0]
	v_pk_add_f32 v[2:3], v[2:3], v[6:7]
	v_pk_fma_f32 v[6:7], v[10:11], v[126:127], v[4:5] op_sel:[0,0,1] op_sel_hi:[1,1,0] neg_lo:[0,0,1] neg_hi:[0,0,1]
	v_pk_fma_f32 v[4:5], v[10:11], v[126:127], v[4:5] op_sel:[0,0,1] op_sel_hi:[1,0,0]
	v_mov_b32_e32 v4, v125
	v_mov_b32_e32 v7, v5
	v_pk_mul_f32 v[4:5], v[12:13], v[4:5] op_sel_hi:[1,0]
	v_pk_add_f32 v[2:3], v[2:3], v[6:7]
	v_pk_fma_f32 v[6:7], v[12:13], v[124:125], v[4:5] op_sel:[0,0,1] op_sel_hi:[1,1,0] neg_lo:[0,0,1] neg_hi:[0,0,1]
	v_pk_fma_f32 v[4:5], v[12:13], v[124:125], v[4:5] op_sel:[0,0,1] op_sel_hi:[1,0,0]
	v_mov_b32_e32 v7, v5
	v_pk_add_f32 v[2:3], v[2:3], v[6:7]
	v_pk_add_f32 v[2:3], v[42:43], v[2:3] neg_lo:[0,1] neg_hi:[0,1]
	buffer_store_dword v3, off, s[0:3], 0 offset:68
	buffer_store_dword v2, off, s[0:3], 0 offset:64
	s_and_saveexec_b64 s[4:5], vcc
	s_cbranch_execz .LBB62_377
; %bb.376:
	buffer_load_dword v2, off, s[0:3], 0 offset:56
	buffer_load_dword v3, off, s[0:3], 0 offset:60
	v_mov_b32_e32 v1, 0
	buffer_store_dword v1, off, s[0:3], 0 offset:56
	buffer_store_dword v1, off, s[0:3], 0 offset:60
	s_waitcnt vmcnt(2)
	ds_write_b64 v217, v[2:3]
.LBB62_377:
	s_or_b64 exec, exec, s[4:5]
	s_waitcnt lgkmcnt(0)
	; wave barrier
	s_waitcnt lgkmcnt(0)
	buffer_load_dword v57, off, s[0:3], 0 offset:68
	buffer_load_dword v56, off, s[0:3], 0 offset:76
	;; [unrolled: 1-line block ×48, first 2 shown]
	v_mov_b32_e32 v1, 0
	ds_read_b128 v[22:25], v1 offset:576
	ds_read_b128 v[18:21], v1 offset:592
	;; [unrolled: 1-line block ×6, first 2 shown]
	v_cmp_lt_u32_e32 vcc, 6, v0
	s_waitcnt vmcnt(47) lgkmcnt(5)
	v_mul_f32_e32 v26, v22, v57
	s_waitcnt vmcnt(46)
	v_mul_f32_e32 v27, v24, v56
	s_waitcnt vmcnt(45) lgkmcnt(4)
	v_mul_f32_e32 v29, v20, v55
	s_waitcnt vmcnt(44) lgkmcnt(3)
	v_mul_f32_e32 v30, v14, v54
	s_waitcnt vmcnt(43)
	v_mul_f32_e32 v31, v16, v52
	s_waitcnt vmcnt(42)
	v_mul_f32_e32 v28, v18, v58
	s_waitcnt vmcnt(41) lgkmcnt(2)
	v_mul_f32_e32 v32, v10, v53
	s_waitcnt vmcnt(40)
	v_mul_f32_e32 v33, v12, v59
	s_waitcnt vmcnt(39) lgkmcnt(1)
	v_mul_f32_e32 v34, v6, v60
	s_waitcnt vmcnt(38)
	v_mul_f32_e32 v35, v8, v61
	s_waitcnt vmcnt(37) lgkmcnt(0)
	v_mul_f32_e32 v36, v2, v62
	s_waitcnt vmcnt(36)
	v_mul_f32_e32 v37, v4, v63
	s_waitcnt vmcnt(35)
	v_fmac_f32_e32 v28, v19, v69
	s_waitcnt vmcnt(34)
	v_fmac_f32_e32 v27, v25, v72
	;; [unrolled: 2-line block ×3, first 2 shown]
	v_add_f32_e32 v26, 0, v26
	v_add_f32_e32 v26, v26, v27
	;; [unrolled: 1-line block ×3, first 2 shown]
	s_waitcnt vmcnt(29)
	v_fmac_f32_e32 v29, v21, v74
	v_fmac_f32_e32 v30, v15, v71
	v_add_f32_e32 v26, v26, v29
	v_fmac_f32_e32 v31, v17, v68
	v_add_f32_e32 v26, v26, v30
	;; [unrolled: 2-line block ×3, first 2 shown]
	s_waitcnt vmcnt(25)
	v_fmac_f32_e32 v33, v13, v70
	v_add_f32_e32 v26, v26, v32
	v_fmac_f32_e32 v34, v7, v67
	v_add_f32_e32 v26, v26, v33
	;; [unrolled: 2-line block ×4, first 2 shown]
	s_waitcnt vmcnt(21)
	v_fmac_f32_e32 v37, v5, v81
	v_add_f32_e32 v30, v30, v36
	ds_read_b128 v[26:29], v1 offset:672
	v_add_f32_e32 v34, v30, v37
	ds_read_b128 v[30:33], v1 offset:688
	buffer_load_dword v165, off, s[0:3], 0 offset:248
	buffer_load_dword v166, off, s[0:3], 0 offset:252
	;; [unrolled: 1-line block ×6, first 2 shown]
	s_waitcnt vmcnt(26) lgkmcnt(1)
	v_mul_f32_e32 v35, v26, v80
	v_fmac_f32_e32 v35, v27, v78
	buffer_load_dword v171, off, s[0:3], 0 offset:272
	buffer_load_dword v172, off, s[0:3], 0 offset:276
	v_add_f32_e32 v34, v34, v35
	s_waitcnt vmcnt(27)
	v_mul_f32_e32 v35, v28, v79
	v_fmac_f32_e32 v35, v29, v76
	v_add_f32_e32 v34, v34, v35
	s_waitcnt vmcnt(26) lgkmcnt(0)
	v_mul_f32_e32 v35, v30, v77
	v_fmac_f32_e32 v35, v31, v73
	buffer_load_dword v173, off, s[0:3], 0 offset:280
	buffer_load_dword v174, off, s[0:3], 0 offset:284
	v_add_f32_e32 v34, v34, v35
	s_waitcnt vmcnt(21)
	v_mul_f32_e32 v35, v32, v138
	s_waitcnt vmcnt(20)
	v_fmac_f32_e32 v35, v33, v140
	v_add_f32_e32 v42, v34, v35
	ds_read_b128 v[34:37], v1 offset:704
	buffer_load_dword v175, off, s[0:3], 0 offset:288
	buffer_load_dword v176, off, s[0:3], 0 offset:292
	ds_read_b128 v[38:41], v1 offset:720
	buffer_load_dword v177, off, s[0:3], 0 offset:296
	buffer_load_dword v178, off, s[0:3], 0 offset:300
	;; [unrolled: 1-line block ×12, first 2 shown]
	s_waitcnt lgkmcnt(1)
	v_mul_f32_e32 v43, v34, v83
	v_fmac_f32_e32 v43, v35, v82
	buffer_load_dword v189, off, s[0:3], 0 offset:344
	buffer_load_dword v190, off, s[0:3], 0 offset:348
	v_add_f32_e32 v42, v42, v43
	v_mul_f32_e32 v43, v36, v85
	v_fmac_f32_e32 v43, v37, v84
	v_add_f32_e32 v42, v42, v43
	s_waitcnt lgkmcnt(0)
	v_mul_f32_e32 v43, v38, v87
	buffer_load_dword v191, off, s[0:3], 0 offset:352
	buffer_load_dword v192, off, s[0:3], 0 offset:356
	v_fmac_f32_e32 v43, v39, v86
	v_add_f32_e32 v46, v42, v43
	ds_read_b128 v[42:45], v1 offset:736
	buffer_load_dword v193, off, s[0:3], 0 offset:360
	buffer_load_dword v194, off, s[0:3], 0 offset:364
	;; [unrolled: 1-line block ×4, first 2 shown]
	s_waitcnt vmcnt(38)
	v_mul_f32_e32 v47, v40, v158
	v_fmac_f32_e32 v47, v41, v88
	v_add_f32_e32 v89, v46, v47
	ds_read_b128 v[46:49], v1 offset:752
	buffer_load_dword v197, off, s[0:3], 0 offset:376
	buffer_load_dword v198, off, s[0:3], 0 offset:380
	;; [unrolled: 1-line block ×10, first 2 shown]
	s_waitcnt vmcnt(46) lgkmcnt(1)
	v_mul_f32_e32 v90, v42, v160
	v_fmac_f32_e32 v90, v43, v159
	v_add_f32_e32 v89, v89, v90
	s_waitcnt vmcnt(44)
	v_mul_f32_e32 v90, v44, v162
	v_fmac_f32_e32 v90, v45, v161
	v_add_f32_e32 v89, v89, v90
	s_waitcnt vmcnt(42) lgkmcnt(0)
	v_mul_f32_e32 v90, v46, v164
	v_fmac_f32_e32 v90, v47, v163
	v_add_f32_e32 v89, v89, v90
	buffer_load_dword v207, off, s[0:3], 0 offset:416
	buffer_load_dword v236, off, s[0:3], 0 offset:420
	;; [unrolled: 1-line block ×6, first 2 shown]
	ds_read_b128 v[90:93], v1 offset:768
	v_mul_f32_e32 v23, v23, v57
	v_fma_f32 v22, v22, v75, -v23
	v_mul_f32_e32 v23, v25, v56
	v_add_f32_e32 v22, 0, v22
	v_fma_f32 v23, v24, v72, -v23
	v_mul_f32_e32 v19, v19, v58
	v_add_f32_e32 v22, v22, v23
	;; [unrolled: 3-line block ×6, first 2 shown]
	v_fma_f32 v10, v10, v66, -v11
	s_waitcnt vmcnt(46)
	v_mul_f32_e32 v94, v48, v166
	v_fmac_f32_e32 v94, v49, v165
	v_add_f32_e32 v89, v89, v94
	ds_read_b128 v[94:97], v1 offset:784
	s_waitcnt vmcnt(44) lgkmcnt(1)
	v_mul_f32_e32 v98, v90, v168
	v_fmac_f32_e32 v98, v91, v167
	v_add_f32_e32 v89, v89, v98
	s_waitcnt vmcnt(42)
	v_mul_f32_e32 v98, v92, v170
	v_fmac_f32_e32 v98, v93, v169
	v_add_f32_e32 v89, v89, v98
	s_waitcnt vmcnt(40) lgkmcnt(0)
	v_mul_f32_e32 v98, v94, v172
	v_fmac_f32_e32 v98, v95, v171
	v_add_f32_e32 v89, v89, v98
	ds_read_b128 v[98:101], v1 offset:800
	s_waitcnt vmcnt(38)
	v_mul_f32_e32 v102, v96, v174
	v_fmac_f32_e32 v102, v97, v173
	v_add_f32_e32 v89, v89, v102
	ds_read_b128 v[102:105], v1 offset:816
	s_waitcnt vmcnt(36) lgkmcnt(1)
	v_mul_f32_e32 v106, v98, v176
	v_fmac_f32_e32 v106, v99, v175
	v_add_f32_e32 v89, v89, v106
	s_waitcnt vmcnt(34)
	v_mul_f32_e32 v106, v100, v178
	v_fmac_f32_e32 v106, v101, v177
	v_add_f32_e32 v89, v89, v106
	s_waitcnt vmcnt(32) lgkmcnt(0)
	v_mul_f32_e32 v106, v102, v180
	v_fmac_f32_e32 v106, v103, v179
	v_add_f32_e32 v89, v89, v106
	ds_read_b128 v[106:109], v1 offset:832
	s_waitcnt vmcnt(30)
	v_mul_f32_e32 v110, v104, v182
	v_fmac_f32_e32 v110, v105, v181
	v_add_f32_e32 v89, v89, v110
	ds_read_b128 v[110:113], v1 offset:848
	s_waitcnt vmcnt(28) lgkmcnt(1)
	v_mul_f32_e32 v114, v106, v184
	v_fmac_f32_e32 v114, v107, v183
	v_add_f32_e32 v89, v89, v114
	s_waitcnt vmcnt(26)
	v_mul_f32_e32 v114, v108, v186
	v_fmac_f32_e32 v114, v109, v185
	v_add_f32_e32 v89, v89, v114
	s_waitcnt vmcnt(24) lgkmcnt(0)
	v_mul_f32_e32 v114, v110, v188
	v_fmac_f32_e32 v114, v111, v187
	v_add_f32_e32 v89, v89, v114
	ds_read_b128 v[114:117], v1 offset:864
	s_waitcnt vmcnt(22)
	v_mul_f32_e32 v118, v112, v190
	v_fmac_f32_e32 v118, v113, v189
	v_add_f32_e32 v89, v89, v118
	ds_read_b128 v[118:121], v1 offset:880
	s_waitcnt vmcnt(20) lgkmcnt(1)
	v_mul_f32_e32 v122, v114, v192
	v_fmac_f32_e32 v122, v115, v191
	v_add_f32_e32 v89, v89, v122
	s_waitcnt vmcnt(18)
	v_mul_f32_e32 v122, v116, v194
	v_fmac_f32_e32 v122, v117, v193
	v_add_f32_e32 v89, v89, v122
	s_waitcnt vmcnt(16) lgkmcnt(0)
	v_mul_f32_e32 v122, v118, v196
	v_fmac_f32_e32 v122, v119, v195
	v_add_f32_e32 v89, v89, v122
	ds_read_b128 v[122:125], v1 offset:896
	s_waitcnt vmcnt(14)
	v_mul_f32_e32 v126, v120, v198
	v_fmac_f32_e32 v126, v121, v197
	v_add_f32_e32 v89, v89, v126
	ds_read_b128 v[126:129], v1 offset:912
	s_waitcnt vmcnt(12) lgkmcnt(1)
	v_mul_f32_e32 v130, v122, v200
	v_fmac_f32_e32 v130, v123, v199
	v_add_f32_e32 v89, v89, v130
	s_waitcnt vmcnt(10)
	v_mul_f32_e32 v130, v124, v202
	v_fmac_f32_e32 v130, v125, v201
	v_add_f32_e32 v89, v89, v130
	s_waitcnt vmcnt(8) lgkmcnt(0)
	v_mul_f32_e32 v130, v126, v204
	v_fmac_f32_e32 v130, v127, v203
	s_waitcnt vmcnt(6)
	v_mul_f32_e32 v134, v128, v206
	v_add_f32_e32 v89, v89, v130
	v_fmac_f32_e32 v134, v129, v205
	v_mul_f32_e32 v11, v13, v59
	ds_read_b128 v[130:133], v1 offset:928
	v_add_f32_e32 v89, v89, v134
	ds_read_b128 v[134:137], v1 offset:944
	buffer_load_dword v143, off, s[0:3], 0 offset:468
	buffer_load_dword v142, off, s[0:3], 0 offset:464
	;; [unrolled: 1-line block ×16, first 2 shown]
	v_add_f32_e32 v10, v14, v10
	v_fma_f32 v11, v12, v70, -v11
	v_mul_f32_e32 v7, v7, v60
	v_add_f32_e32 v10, v10, v11
	v_fma_f32 v6, v6, v67, -v7
	v_mul_f32_e32 v7, v9, v61
	;; [unrolled: 3-line block ×4, first 2 shown]
	v_add_f32_e32 v2, v6, v2
	v_fma_f32 v3, v4, v81, -v3
	v_add_f32_e32 v2, v2, v3
	v_mul_f32_e32 v3, v27, v80
	v_fma_f32 v3, v26, v78, -v3
	v_add_f32_e32 v2, v2, v3
	v_mul_f32_e32 v3, v29, v79
	;; [unrolled: 3-line block ×32, first 2 shown]
	v_fma_f32 v3, v128, v205, -v3
	v_add_f32_e32 v2, v2, v3
	s_waitcnt vmcnt(20) lgkmcnt(1)
	v_mul_f32_e32 v3, v131, v236
	v_mul_f32_e32 v139, v130, v236
	v_fma_f32 v3, v130, v207, -v3
	v_fmac_f32_e32 v139, v131, v207
	v_add_f32_e32 v88, v2, v3
	s_waitcnt vmcnt(18)
	v_mul_f32_e32 v2, v133, v238
	s_waitcnt vmcnt(9)
	v_mov_b32_e32 v18, v149
	v_add_f32_e32 v89, v89, v139
	v_mul_f32_e32 v139, v132, v238
	v_fma_f32 v138, v132, v237, -v2
	s_waitcnt lgkmcnt(0)
	v_mul_f32_e32 v2, v135, v240
	v_pk_mul_f32 v[18:19], v[136:137], v[18:19] op_sel_hi:[1,0]
	v_fmac_f32_e32 v139, v133, v237
	v_mul_f32_e32 v141, v134, v240
	v_fma_f32 v140, v134, v239, -v2
	ds_read_b128 v[2:5], v1 offset:960
	ds_read_b128 v[6:9], v1 offset:976
	;; [unrolled: 1-line block ×3, first 2 shown]
	ds_read_b64 v[14:15], v1 offset:1008
	s_waitcnt vmcnt(8)
	v_pk_fma_f32 v[20:21], v[136:137], v[148:149], v[18:19] op_sel:[0,0,1] op_sel_hi:[1,1,0] neg_lo:[0,0,1] neg_hi:[0,0,1]
	v_pk_fma_f32 v[18:19], v[136:137], v[148:149], v[18:19] op_sel:[0,0,1] op_sel_hi:[1,0,0]
	v_fmac_f32_e32 v141, v135, v239
	v_pk_add_f32 v[16:17], v[88:89], v[138:139]
	v_mov_b32_e32 v18, v147
	v_pk_add_f32 v[16:17], v[16:17], v[140:141]
	v_mov_b32_e32 v21, v19
	s_waitcnt lgkmcnt(3)
	v_pk_mul_f32 v[18:19], v[2:3], v[18:19] op_sel_hi:[1,0]
	v_pk_add_f32 v[16:17], v[16:17], v[20:21]
	v_pk_fma_f32 v[20:21], v[2:3], v[146:147], v[18:19] op_sel:[0,0,1] op_sel_hi:[1,1,0] neg_lo:[0,0,1] neg_hi:[0,0,1]
	v_pk_fma_f32 v[2:3], v[2:3], v[146:147], v[18:19] op_sel:[0,0,1] op_sel_hi:[1,0,0]
	v_mov_b32_e32 v21, v3
	v_pk_add_f32 v[2:3], v[16:17], v[20:21]
	v_mov_b32_e32 v16, v145
	v_pk_mul_f32 v[16:17], v[4:5], v[16:17] op_sel_hi:[1,0]
	v_pk_fma_f32 v[18:19], v[4:5], v[144:145], v[16:17] op_sel:[0,0,1] op_sel_hi:[1,1,0] neg_lo:[0,0,1] neg_hi:[0,0,1]
	v_pk_fma_f32 v[4:5], v[4:5], v[144:145], v[16:17] op_sel:[0,0,1] op_sel_hi:[1,0,0]
	v_mov_b32_e32 v4, v143
	v_mov_b32_e32 v19, v5
	s_waitcnt lgkmcnt(2)
	v_pk_mul_f32 v[4:5], v[6:7], v[4:5] op_sel_hi:[1,0]
	v_pk_fma_f32 v[16:17], v[6:7], v[142:143], v[4:5] op_sel:[0,0,1] op_sel_hi:[1,1,0] neg_lo:[0,0,1] neg_hi:[0,0,1]
	v_pk_fma_f32 v[4:5], v[6:7], v[142:143], v[4:5] op_sel:[0,0,1] op_sel_hi:[1,0,0]
	s_waitcnt vmcnt(1)
	v_mov_b32_e32 v4, v157
	v_mov_b32_e32 v17, v5
	v_pk_mul_f32 v[4:5], v[8:9], v[4:5] op_sel_hi:[1,0]
	s_waitcnt vmcnt(0)
	v_pk_fma_f32 v[6:7], v[8:9], v[156:157], v[4:5] op_sel:[0,0,1] op_sel_hi:[1,1,0] neg_lo:[0,0,1] neg_hi:[0,0,1]
	v_pk_fma_f32 v[4:5], v[8:9], v[156:157], v[4:5] op_sel:[0,0,1] op_sel_hi:[1,0,0]
	v_pk_add_f32 v[2:3], v[2:3], v[18:19]
	v_mov_b32_e32 v4, v155
	v_pk_add_f32 v[2:3], v[2:3], v[16:17]
	v_mov_b32_e32 v7, v5
	s_waitcnt lgkmcnt(1)
	v_pk_mul_f32 v[4:5], v[10:11], v[4:5] op_sel_hi:[1,0]
	v_pk_add_f32 v[2:3], v[2:3], v[6:7]
	v_pk_fma_f32 v[6:7], v[10:11], v[154:155], v[4:5] op_sel:[0,0,1] op_sel_hi:[1,1,0] neg_lo:[0,0,1] neg_hi:[0,0,1]
	v_pk_fma_f32 v[4:5], v[10:11], v[154:155], v[4:5] op_sel:[0,0,1] op_sel_hi:[1,0,0]
	v_mov_b32_e32 v4, v153
	v_mov_b32_e32 v7, v5
	v_pk_mul_f32 v[4:5], v[12:13], v[4:5] op_sel_hi:[1,0]
	v_pk_add_f32 v[2:3], v[2:3], v[6:7]
	v_pk_fma_f32 v[6:7], v[12:13], v[152:153], v[4:5] op_sel:[0,0,1] op_sel_hi:[1,1,0] neg_lo:[0,0,1] neg_hi:[0,0,1]
	v_pk_fma_f32 v[4:5], v[12:13], v[152:153], v[4:5] op_sel:[0,0,1] op_sel_hi:[1,0,0]
	v_mov_b32_e32 v4, v151
	v_mov_b32_e32 v7, v5
	s_waitcnt lgkmcnt(0)
	v_pk_mul_f32 v[4:5], v[14:15], v[4:5] op_sel_hi:[1,0]
	v_pk_add_f32 v[2:3], v[2:3], v[6:7]
	v_pk_fma_f32 v[6:7], v[14:15], v[150:151], v[4:5] op_sel:[0,0,1] op_sel_hi:[1,1,0] neg_lo:[0,0,1] neg_hi:[0,0,1]
	v_pk_fma_f32 v[4:5], v[14:15], v[150:151], v[4:5] op_sel:[0,0,1] op_sel_hi:[1,0,0]
	v_mov_b32_e32 v7, v5
	v_pk_add_f32 v[2:3], v[2:3], v[6:7]
	v_pk_add_f32 v[2:3], v[50:51], v[2:3] neg_lo:[0,1] neg_hi:[0,1]
	buffer_store_dword v3, off, s[0:3], 0 offset:60
	buffer_store_dword v2, off, s[0:3], 0 offset:56
	s_and_saveexec_b64 s[4:5], vcc
	s_cbranch_execz .LBB62_379
; %bb.378:
	buffer_load_dword v2, off, s[0:3], 0 offset:48
	buffer_load_dword v3, off, s[0:3], 0 offset:52
	s_waitcnt vmcnt(0)
	ds_write_b64 v217, v[2:3]
	buffer_store_dword v1, off, s[0:3], 0 offset:48
	buffer_store_dword v1, off, s[0:3], 0 offset:52
.LBB62_379:
	s_or_b64 exec, exec, s[4:5]
	s_waitcnt lgkmcnt(0)
	; wave barrier
	s_waitcnt lgkmcnt(0)
	buffer_load_dword v57, off, s[0:3], 0 offset:60
	buffer_load_dword v56, off, s[0:3], 0 offset:68
	;; [unrolled: 1-line block ×40, first 2 shown]
	ds_read2_b64 v[26:29], v1 offset0:71 offset1:72
	ds_read2_b64 v[22:25], v1 offset0:73 offset1:74
	;; [unrolled: 1-line block ×7, first 2 shown]
	buffer_load_dword v90, off, s[0:3], 0 offset:208
	buffer_load_dword v91, off, s[0:3], 0 offset:212
	;; [unrolled: 1-line block ×10, first 2 shown]
	v_cmp_lt_u32_e32 vcc, 5, v0
	s_waitcnt vmcnt(49) lgkmcnt(6)
	v_mul_f32_e32 v30, v26, v57
	s_waitcnt vmcnt(48)
	v_mul_f32_e32 v31, v28, v56
	s_waitcnt vmcnt(47) lgkmcnt(5)
	v_mul_f32_e32 v33, v24, v55
	s_waitcnt vmcnt(46) lgkmcnt(4)
	v_mul_f32_e32 v34, v18, v54
	s_waitcnt vmcnt(45)
	v_mul_f32_e32 v35, v20, v52
	s_waitcnt vmcnt(44)
	v_mul_f32_e32 v32, v22, v58
	s_waitcnt vmcnt(43) lgkmcnt(3)
	v_mul_f32_e32 v36, v14, v53
	s_waitcnt vmcnt(42)
	v_mul_f32_e32 v37, v16, v59
	s_waitcnt vmcnt(41) lgkmcnt(2)
	v_mul_f32_e32 v38, v10, v60
	s_waitcnt vmcnt(40)
	v_mul_f32_e32 v39, v12, v61
	s_waitcnt vmcnt(39) lgkmcnt(1)
	v_mul_f32_e32 v40, v6, v62
	s_waitcnt vmcnt(38)
	v_mul_f32_e32 v41, v8, v63
	s_waitcnt vmcnt(37)
	v_fmac_f32_e32 v32, v23, v69
	s_waitcnt vmcnt(36)
	v_fmac_f32_e32 v31, v29, v72
	;; [unrolled: 2-line block ×3, first 2 shown]
	v_add_f32_e32 v30, 0, v30
	v_add_f32_e32 v30, v30, v31
	v_add_f32_e32 v30, v30, v32
	s_waitcnt vmcnt(31)
	v_fmac_f32_e32 v33, v25, v74
	v_fmac_f32_e32 v34, v19, v71
	v_add_f32_e32 v30, v30, v33
	v_fmac_f32_e32 v35, v21, v68
	v_add_f32_e32 v30, v30, v34
	;; [unrolled: 2-line block ×3, first 2 shown]
	s_waitcnt vmcnt(27)
	v_fmac_f32_e32 v37, v17, v70
	v_add_f32_e32 v30, v30, v36
	v_fmac_f32_e32 v38, v11, v67
	v_add_f32_e32 v30, v30, v37
	;; [unrolled: 2-line block ×4, first 2 shown]
	s_waitcnt vmcnt(23)
	v_fmac_f32_e32 v41, v9, v81
	v_add_f32_e32 v30, v30, v40
	v_add_f32_e32 v34, v30, v41
	ds_read2_b64 v[30:33], v1 offset0:85 offset1:86
	buffer_load_dword v167, off, s[0:3], 0 offset:248
	buffer_load_dword v168, off, s[0:3], 0 offset:252
	s_waitcnt vmcnt(24) lgkmcnt(1)
	v_mul_f32_e32 v35, v2, v80
	buffer_load_dword v169, off, s[0:3], 0 offset:256
	buffer_load_dword v170, off, s[0:3], 0 offset:260
	v_fmac_f32_e32 v35, v3, v78
	v_add_f32_e32 v34, v34, v35
	s_waitcnt vmcnt(25)
	v_mul_f32_e32 v35, v4, v79
	buffer_load_dword v171, off, s[0:3], 0 offset:264
	buffer_load_dword v172, off, s[0:3], 0 offset:268
	v_fmac_f32_e32 v35, v5, v76
	v_add_f32_e32 v34, v34, v35
	s_waitcnt vmcnt(26) lgkmcnt(0)
	v_mul_f32_e32 v35, v30, v77
	v_fmac_f32_e32 v35, v31, v73
	v_add_f32_e32 v38, v34, v35
	ds_read2_b64 v[34:37], v1 offset0:87 offset1:88
	buffer_load_dword v173, off, s[0:3], 0 offset:272
	buffer_load_dword v174, off, s[0:3], 0 offset:276
	s_waitcnt vmcnt(21)
	v_mul_f32_e32 v39, v32, v89
	s_waitcnt vmcnt(20)
	v_fmac_f32_e32 v39, v33, v88
	v_add_f32_e32 v42, v38, v39
	ds_read2_b64 v[38:41], v1 offset0:89 offset1:90
	buffer_load_dword v175, off, s[0:3], 0 offset:280
	buffer_load_dword v176, off, s[0:3], 0 offset:284
	;; [unrolled: 1-line block ×12, first 2 shown]
	s_waitcnt lgkmcnt(1)
	v_mul_f32_e32 v43, v34, v83
	v_fmac_f32_e32 v43, v35, v82
	buffer_load_dword v187, off, s[0:3], 0 offset:328
	buffer_load_dword v188, off, s[0:3], 0 offset:332
	v_add_f32_e32 v42, v42, v43
	v_mul_f32_e32 v43, v36, v85
	v_fmac_f32_e32 v43, v37, v84
	v_add_f32_e32 v42, v42, v43
	s_waitcnt lgkmcnt(0)
	v_mul_f32_e32 v43, v38, v87
	v_fmac_f32_e32 v43, v39, v86
	buffer_load_dword v189, off, s[0:3], 0 offset:336
	buffer_load_dword v190, off, s[0:3], 0 offset:340
	v_add_f32_e32 v42, v42, v43
	s_waitcnt vmcnt(32)
	v_mul_f32_e32 v43, v40, v91
	v_fmac_f32_e32 v43, v41, v90
	v_add_f32_e32 v95, v42, v43
	ds_read2_b64 v[42:45], v1 offset0:91 offset1:92
	buffer_load_dword v191, off, s[0:3], 0 offset:344
	buffer_load_dword v192, off, s[0:3], 0 offset:348
	ds_read2_b64 v[46:49], v1 offset0:93 offset1:94
	buffer_load_dword v193, off, s[0:3], 0 offset:352
	buffer_load_dword v194, off, s[0:3], 0 offset:356
	;; [unrolled: 1-line block ×14, first 2 shown]
	s_waitcnt vmcnt(46) lgkmcnt(1)
	v_mul_f32_e32 v96, v42, v93
	v_fmac_f32_e32 v96, v43, v92
	v_add_f32_e32 v95, v95, v96
	s_waitcnt vmcnt(44)
	v_mul_f32_e32 v96, v44, v144
	v_fmac_f32_e32 v96, v45, v94
	v_add_f32_e32 v95, v95, v96
	s_waitcnt vmcnt(42) lgkmcnt(0)
	v_mul_f32_e32 v96, v46, v164
	v_fmac_f32_e32 v96, v47, v152
	v_add_f32_e32 v95, v95, v96
	buffer_load_dword v207, off, s[0:3], 0 offset:408
	buffer_load_dword v236, off, s[0:3], 0 offset:412
	ds_read2_b64 v[96:99], v1 offset0:95 offset1:96
	s_waitcnt vmcnt(42)
	v_mul_f32_e32 v100, v48, v166
	v_fmac_f32_e32 v100, v49, v165
	buffer_load_dword v237, off, s[0:3], 0 offset:416
	buffer_load_dword v238, off, s[0:3], 0 offset:420
	v_add_f32_e32 v95, v95, v100
	buffer_load_dword v239, off, s[0:3], 0 offset:424
	buffer_load_dword v240, off, s[0:3], 0 offset:428
	ds_read2_b64 v[100:103], v1 offset0:97 offset1:98
	buffer_load_dword v241, off, s[0:3], 0 offset:432
	buffer_load_dword v242, off, s[0:3], 0 offset:436
	v_mul_f32_e32 v27, v27, v57
	v_fma_f32 v26, v26, v75, -v27
	v_mul_f32_e32 v27, v29, v56
	v_add_f32_e32 v26, 0, v26
	v_fma_f32 v27, v28, v72, -v27
	v_mul_f32_e32 v23, v23, v58
	v_add_f32_e32 v26, v26, v27
	;; [unrolled: 3-line block ×4, first 2 shown]
	v_fma_f32 v18, v18, v71, -v19
	s_waitcnt vmcnt(46) lgkmcnt(1)
	v_mul_f32_e32 v104, v96, v168
	v_fmac_f32_e32 v104, v97, v167
	v_add_f32_e32 v95, v95, v104
	s_waitcnt vmcnt(44)
	v_mul_f32_e32 v104, v98, v170
	v_fmac_f32_e32 v104, v99, v169
	v_add_f32_e32 v95, v95, v104
	s_waitcnt vmcnt(42) lgkmcnt(0)
	v_mul_f32_e32 v104, v100, v172
	v_fmac_f32_e32 v104, v101, v171
	v_add_f32_e32 v95, v95, v104
	ds_read2_b64 v[104:107], v1 offset0:99 offset1:100
	v_mul_f32_e32 v19, v21, v52
	v_add_f32_e32 v18, v22, v18
	v_fma_f32 v19, v20, v68, -v19
	s_waitcnt vmcnt(40)
	v_mul_f32_e32 v108, v102, v174
	v_fmac_f32_e32 v108, v103, v173
	v_add_f32_e32 v95, v95, v108
	ds_read2_b64 v[108:111], v1 offset0:101 offset1:102
	v_mul_f32_e32 v15, v15, v53
	s_waitcnt vmcnt(38) lgkmcnt(1)
	v_mul_f32_e32 v112, v104, v176
	v_fmac_f32_e32 v112, v105, v175
	v_add_f32_e32 v95, v95, v112
	s_waitcnt vmcnt(36)
	v_mul_f32_e32 v112, v106, v178
	v_fmac_f32_e32 v112, v107, v177
	v_add_f32_e32 v95, v95, v112
	s_waitcnt vmcnt(34) lgkmcnt(0)
	v_mul_f32_e32 v112, v108, v180
	v_fmac_f32_e32 v112, v109, v179
	v_add_f32_e32 v95, v95, v112
	ds_read2_b64 v[112:115], v1 offset0:103 offset1:104
	s_waitcnt vmcnt(32)
	v_mul_f32_e32 v116, v110, v182
	v_fmac_f32_e32 v116, v111, v181
	v_add_f32_e32 v95, v95, v116
	ds_read2_b64 v[116:119], v1 offset0:105 offset1:106
	s_waitcnt vmcnt(30) lgkmcnt(1)
	v_mul_f32_e32 v120, v112, v184
	v_fmac_f32_e32 v120, v113, v183
	v_add_f32_e32 v95, v95, v120
	s_waitcnt vmcnt(28)
	v_mul_f32_e32 v120, v114, v186
	v_fmac_f32_e32 v120, v115, v185
	v_add_f32_e32 v95, v95, v120
	s_waitcnt vmcnt(26) lgkmcnt(0)
	v_mul_f32_e32 v120, v116, v188
	v_fmac_f32_e32 v120, v117, v187
	v_add_f32_e32 v95, v95, v120
	ds_read2_b64 v[120:123], v1 offset0:107 offset1:108
	s_waitcnt vmcnt(24)
	v_mul_f32_e32 v124, v118, v190
	v_fmac_f32_e32 v124, v119, v189
	v_add_f32_e32 v95, v95, v124
	ds_read2_b64 v[124:127], v1 offset0:109 offset1:110
	;; [unrolled: 18-line block ×3, first 2 shown]
	s_waitcnt vmcnt(14) lgkmcnt(1)
	v_mul_f32_e32 v136, v128, v200
	v_fmac_f32_e32 v136, v129, v199
	v_add_f32_e32 v95, v95, v136
	s_waitcnt vmcnt(12)
	v_mul_f32_e32 v136, v130, v202
	v_fmac_f32_e32 v136, v131, v201
	v_add_f32_e32 v95, v95, v136
	s_waitcnt vmcnt(10) lgkmcnt(0)
	v_mul_f32_e32 v136, v132, v204
	v_fmac_f32_e32 v136, v133, v203
	s_waitcnt vmcnt(8)
	v_mul_f32_e32 v140, v134, v206
	v_add_f32_e32 v95, v95, v136
	v_fmac_f32_e32 v140, v135, v205
	ds_read2_b64 v[136:139], v1 offset0:115 offset1:116
	v_add_f32_e32 v95, v95, v140
	ds_read2_b64 v[140:143], v1 offset0:117 offset1:118
	buffer_load_dword v147, off, s[0:3], 0 offset:460
	buffer_load_dword v146, off, s[0:3], 0 offset:456
	buffer_load_dword v149, off, s[0:3], 0 offset:452
	buffer_load_dword v148, off, s[0:3], 0 offset:448
	buffer_load_dword v151, off, s[0:3], 0 offset:444
	buffer_load_dword v150, off, s[0:3], 0 offset:440
	v_add_f32_e32 v18, v18, v19
	v_fma_f32 v14, v14, v66, -v15
	v_mul_f32_e32 v15, v17, v59
	v_add_f32_e32 v14, v18, v14
	v_fma_f32 v15, v16, v70, -v15
	v_mul_f32_e32 v11, v11, v60
	;; [unrolled: 3-line block ×7, first 2 shown]
	v_add_f32_e32 v2, v6, v2
	v_fma_f32 v3, v4, v76, -v3
	buffer_load_dword v155, off, s[0:3], 0 offset:492
	buffer_load_dword v154, off, s[0:3], 0 offset:488
	;; [unrolled: 1-line block ×10, first 2 shown]
	v_add_f32_e32 v2, v2, v3
	v_mul_f32_e32 v3, v31, v77
	v_fma_f32 v3, v30, v73, -v3
	v_add_f32_e32 v2, v2, v3
	v_mul_f32_e32 v3, v33, v89
	v_fma_f32 v3, v32, v88, -v3
	v_add_f32_e32 v2, v2, v3
	v_mul_f32_e32 v3, v35, v83
	v_fma_f32 v3, v34, v82, -v3
	v_add_f32_e32 v2, v2, v3
	v_mul_f32_e32 v3, v37, v85
	v_fma_f32 v3, v36, v84, -v3
	v_add_f32_e32 v2, v2, v3
	v_mul_f32_e32 v3, v39, v87
	v_fma_f32 v3, v38, v86, -v3
	v_add_f32_e32 v2, v2, v3
	v_mul_f32_e32 v3, v41, v91
	v_fma_f32 v3, v40, v90, -v3
	v_add_f32_e32 v2, v2, v3
	v_mul_f32_e32 v3, v43, v93
	v_fma_f32 v3, v42, v92, -v3
	v_add_f32_e32 v2, v2, v3
	v_mul_f32_e32 v3, v45, v144
	v_fma_f32 v3, v44, v94, -v3
	v_add_f32_e32 v2, v2, v3
	v_mul_f32_e32 v3, v47, v164
	v_fma_f32 v3, v46, v152, -v3
	v_add_f32_e32 v2, v2, v3
	v_mul_f32_e32 v3, v49, v166
	v_fma_f32 v3, v48, v165, -v3
	v_add_f32_e32 v2, v2, v3
	v_mul_f32_e32 v3, v97, v168
	v_fma_f32 v3, v96, v167, -v3
	v_add_f32_e32 v2, v2, v3
	v_mul_f32_e32 v3, v99, v170
	v_fma_f32 v3, v98, v169, -v3
	v_add_f32_e32 v2, v2, v3
	v_mul_f32_e32 v3, v101, v172
	v_fma_f32 v3, v100, v171, -v3
	v_add_f32_e32 v2, v2, v3
	v_mul_f32_e32 v3, v103, v174
	v_fma_f32 v3, v102, v173, -v3
	v_add_f32_e32 v2, v2, v3
	v_mul_f32_e32 v3, v105, v176
	v_fma_f32 v3, v104, v175, -v3
	v_add_f32_e32 v2, v2, v3
	v_mul_f32_e32 v3, v107, v178
	v_fma_f32 v3, v106, v177, -v3
	v_add_f32_e32 v2, v2, v3
	v_mul_f32_e32 v3, v109, v180
	v_fma_f32 v3, v108, v179, -v3
	v_add_f32_e32 v2, v2, v3
	v_mul_f32_e32 v3, v111, v182
	v_fma_f32 v3, v110, v181, -v3
	v_add_f32_e32 v2, v2, v3
	v_mul_f32_e32 v3, v113, v184
	v_fma_f32 v3, v112, v183, -v3
	v_add_f32_e32 v2, v2, v3
	v_mul_f32_e32 v3, v115, v186
	v_fma_f32 v3, v114, v185, -v3
	v_add_f32_e32 v2, v2, v3
	v_mul_f32_e32 v3, v117, v188
	v_fma_f32 v3, v116, v187, -v3
	v_add_f32_e32 v2, v2, v3
	v_mul_f32_e32 v3, v119, v190
	v_fma_f32 v3, v118, v189, -v3
	v_add_f32_e32 v2, v2, v3
	v_mul_f32_e32 v3, v121, v192
	v_fma_f32 v3, v120, v191, -v3
	v_add_f32_e32 v2, v2, v3
	v_mul_f32_e32 v3, v123, v194
	v_fma_f32 v3, v122, v193, -v3
	v_add_f32_e32 v2, v2, v3
	v_mul_f32_e32 v3, v125, v196
	v_fma_f32 v3, v124, v195, -v3
	v_add_f32_e32 v2, v2, v3
	v_mul_f32_e32 v3, v127, v198
	v_fma_f32 v3, v126, v197, -v3
	v_add_f32_e32 v2, v2, v3
	v_mul_f32_e32 v3, v129, v200
	v_fma_f32 v3, v128, v199, -v3
	v_add_f32_e32 v2, v2, v3
	v_mul_f32_e32 v3, v131, v202
	v_fma_f32 v3, v130, v201, -v3
	v_add_f32_e32 v2, v2, v3
	v_mul_f32_e32 v3, v133, v204
	v_fma_f32 v3, v132, v203, -v3
	v_add_f32_e32 v2, v2, v3
	v_mul_f32_e32 v3, v135, v206
	v_fma_f32 v3, v134, v205, -v3
	v_add_f32_e32 v2, v2, v3
	s_waitcnt vmcnt(22) lgkmcnt(1)
	v_mul_f32_e32 v3, v137, v236
	v_fma_f32 v3, v136, v207, -v3
	v_add_f32_e32 v2, v2, v3
	s_waitcnt vmcnt(20)
	v_mul_f32_e32 v3, v139, v238
	v_mul_f32_e32 v145, v136, v236
	v_fma_f32 v3, v138, v237, -v3
	v_fmac_f32_e32 v145, v137, v207
	v_add_f32_e32 v94, v2, v3
	s_waitcnt vmcnt(18) lgkmcnt(0)
	v_mul_f32_e32 v2, v141, v240
	v_add_f32_e32 v95, v95, v145
	v_mul_f32_e32 v145, v138, v238
	v_fma_f32 v144, v140, v239, -v2
	s_waitcnt vmcnt(16)
	v_mul_f32_e32 v2, v143, v242
	v_fmac_f32_e32 v145, v139, v237
	v_fma_f32 v152, v142, v241, -v2
	ds_read2_b64 v[2:5], v1 offset0:119 offset1:120
	ds_read2_b64 v[6:9], v1 offset0:121 offset1:122
	;; [unrolled: 1-line block ×4, first 2 shown]
	v_add_f32_e32 v95, v95, v145
	v_mul_f32_e32 v145, v140, v240
	s_waitcnt vmcnt(11)
	v_mov_b32_e32 v20, v151
	v_fmac_f32_e32 v145, v141, v239
	v_mul_f32_e32 v153, v142, v242
	s_waitcnt lgkmcnt(3)
	v_pk_mul_f32 v[20:21], v[2:3], v[20:21] op_sel_hi:[1,0]
	v_fmac_f32_e32 v153, v143, v241
	v_pk_add_f32 v[18:19], v[94:95], v[144:145]
	s_waitcnt vmcnt(10)
	v_pk_fma_f32 v[22:23], v[2:3], v[150:151], v[20:21] op_sel:[0,0,1] op_sel_hi:[1,1,0] neg_lo:[0,0,1] neg_hi:[0,0,1]
	v_pk_fma_f32 v[2:3], v[2:3], v[150:151], v[20:21] op_sel:[0,0,1] op_sel_hi:[1,0,0]
	v_pk_add_f32 v[18:19], v[18:19], v[152:153]
	v_mov_b32_e32 v23, v3
	v_pk_add_f32 v[2:3], v[18:19], v[22:23]
	v_mov_b32_e32 v18, v149
	v_pk_mul_f32 v[18:19], v[4:5], v[18:19] op_sel_hi:[1,0]
	v_pk_fma_f32 v[20:21], v[4:5], v[148:149], v[18:19] op_sel:[0,0,1] op_sel_hi:[1,1,0] neg_lo:[0,0,1] neg_hi:[0,0,1]
	v_pk_fma_f32 v[4:5], v[4:5], v[148:149], v[18:19] op_sel:[0,0,1] op_sel_hi:[1,0,0]
	v_mov_b32_e32 v4, v147
	v_mov_b32_e32 v21, v5
	s_waitcnt lgkmcnt(2)
	v_pk_mul_f32 v[4:5], v[6:7], v[4:5] op_sel_hi:[1,0]
	v_pk_fma_f32 v[18:19], v[6:7], v[146:147], v[4:5] op_sel:[0,0,1] op_sel_hi:[1,1,0] neg_lo:[0,0,1] neg_hi:[0,0,1]
	v_pk_fma_f32 v[4:5], v[6:7], v[146:147], v[4:5] op_sel:[0,0,1] op_sel_hi:[1,0,0]
	s_waitcnt vmcnt(3)
	v_mov_b32_e32 v4, v161
	v_mov_b32_e32 v19, v5
	v_pk_mul_f32 v[4:5], v[8:9], v[4:5] op_sel_hi:[1,0]
	s_waitcnt vmcnt(2)
	v_pk_fma_f32 v[6:7], v[8:9], v[160:161], v[4:5] op_sel:[0,0,1] op_sel_hi:[1,1,0] neg_lo:[0,0,1] neg_hi:[0,0,1]
	v_pk_fma_f32 v[4:5], v[8:9], v[160:161], v[4:5] op_sel:[0,0,1] op_sel_hi:[1,0,0]
	v_pk_add_f32 v[2:3], v[2:3], v[20:21]
	v_mov_b32_e32 v4, v159
	v_pk_add_f32 v[2:3], v[2:3], v[18:19]
	v_mov_b32_e32 v7, v5
	s_waitcnt lgkmcnt(1)
	v_pk_mul_f32 v[4:5], v[10:11], v[4:5] op_sel_hi:[1,0]
	v_pk_add_f32 v[2:3], v[2:3], v[6:7]
	v_pk_fma_f32 v[6:7], v[10:11], v[158:159], v[4:5] op_sel:[0,0,1] op_sel_hi:[1,1,0] neg_lo:[0,0,1] neg_hi:[0,0,1]
	v_pk_fma_f32 v[4:5], v[10:11], v[158:159], v[4:5] op_sel:[0,0,1] op_sel_hi:[1,0,0]
	v_mov_b32_e32 v4, v157
	v_mov_b32_e32 v7, v5
	v_pk_mul_f32 v[4:5], v[12:13], v[4:5] op_sel_hi:[1,0]
	v_pk_add_f32 v[2:3], v[2:3], v[6:7]
	v_pk_fma_f32 v[6:7], v[12:13], v[156:157], v[4:5] op_sel:[0,0,1] op_sel_hi:[1,1,0] neg_lo:[0,0,1] neg_hi:[0,0,1]
	v_pk_fma_f32 v[4:5], v[12:13], v[156:157], v[4:5] op_sel:[0,0,1] op_sel_hi:[1,0,0]
	v_mov_b32_e32 v4, v155
	v_mov_b32_e32 v7, v5
	s_waitcnt lgkmcnt(0)
	v_pk_mul_f32 v[4:5], v[14:15], v[4:5] op_sel_hi:[1,0]
	v_pk_add_f32 v[2:3], v[2:3], v[6:7]
	v_pk_fma_f32 v[6:7], v[14:15], v[154:155], v[4:5] op_sel:[0,0,1] op_sel_hi:[1,1,0] neg_lo:[0,0,1] neg_hi:[0,0,1]
	v_pk_fma_f32 v[4:5], v[14:15], v[154:155], v[4:5] op_sel:[0,0,1] op_sel_hi:[1,0,0]
	s_waitcnt vmcnt(1)
	v_mov_b32_e32 v4, v163
	v_mov_b32_e32 v7, v5
	v_pk_mul_f32 v[4:5], v[16:17], v[4:5] op_sel_hi:[1,0]
	v_pk_add_f32 v[2:3], v[2:3], v[6:7]
	s_waitcnt vmcnt(0)
	v_pk_fma_f32 v[6:7], v[16:17], v[162:163], v[4:5] op_sel:[0,0,1] op_sel_hi:[1,1,0] neg_lo:[0,0,1] neg_hi:[0,0,1]
	v_pk_fma_f32 v[4:5], v[16:17], v[162:163], v[4:5] op_sel:[0,0,1] op_sel_hi:[1,0,0]
	v_mov_b32_e32 v7, v5
	v_pk_add_f32 v[2:3], v[2:3], v[6:7]
	v_pk_add_f32 v[2:3], v[50:51], v[2:3] neg_lo:[0,1] neg_hi:[0,1]
	buffer_store_dword v3, off, s[0:3], 0 offset:52
	buffer_store_dword v2, off, s[0:3], 0 offset:48
	s_and_saveexec_b64 s[4:5], vcc
	s_cbranch_execz .LBB62_381
; %bb.380:
	buffer_load_dword v2, off, s[0:3], 0 offset:40
	buffer_load_dword v3, off, s[0:3], 0 offset:44
	v_mov_b32_e32 v1, 0
	buffer_store_dword v1, off, s[0:3], 0 offset:40
	buffer_store_dword v1, off, s[0:3], 0 offset:44
	s_waitcnt vmcnt(2)
	ds_write_b64 v217, v[2:3]
.LBB62_381:
	s_or_b64 exec, exec, s[4:5]
	v_mov_b32_e32 v114, 0
	s_waitcnt lgkmcnt(0)
	; wave barrier
	s_waitcnt lgkmcnt(0)
	ds_read_b128 v[2:5], v114 offset:560
	buffer_load_dword v102, off, s[0:3], 0 offset:40
	buffer_load_dword v103, off, s[0:3], 0 offset:44
	;; [unrolled: 1-line block ×16, first 2 shown]
	v_cmp_lt_u32_e32 vcc, 4, v0
	s_waitcnt vmcnt(12) lgkmcnt(0)
	v_mul_f32_e32 v6, v2, v115
	v_fmac_f32_e32 v6, v3, v1
	s_waitcnt vmcnt(10)
	v_mul_f32_e32 v7, v4, v117
	v_add_f32_e32 v6, 0, v6
	v_fmac_f32_e32 v7, v5, v104
	v_add_f32_e32 v10, v6, v7
	ds_read_b128 v[6:9], v114 offset:576
	v_mul_f32_e32 v3, v3, v115
	v_fma_f32 v1, v2, v1, -v3
	v_mul_f32_e32 v2, v5, v117
	v_add_f32_e32 v1, 0, v1
	s_waitcnt vmcnt(8) lgkmcnt(0)
	v_mul_f32_e32 v11, v6, v119
	v_fmac_f32_e32 v11, v7, v106
	v_add_f32_e32 v10, v10, v11
	s_waitcnt vmcnt(6)
	v_mul_f32_e32 v11, v8, v121
	v_fmac_f32_e32 v11, v9, v116
	v_add_f32_e32 v14, v10, v11
	ds_read_b128 v[10:13], v114 offset:592
	v_fma_f32 v2, v4, v104, -v2
	v_add_f32_e32 v1, v1, v2
	v_mul_f32_e32 v2, v7, v119
	v_fma_f32 v2, v6, v106, -v2
	s_waitcnt vmcnt(4) lgkmcnt(0)
	v_mul_f32_e32 v15, v10, v123
	v_fmac_f32_e32 v15, v11, v118
	v_add_f32_e32 v14, v14, v15
	s_waitcnt vmcnt(2)
	v_mul_f32_e32 v15, v12, v124
	v_fmac_f32_e32 v15, v13, v120
	v_add_f32_e32 v18, v14, v15
	ds_read_b128 v[14:17], v114 offset:608
	buffer_load_dword v126, off, s[0:3], 0 offset:104
	buffer_load_dword v127, off, s[0:3], 0 offset:108
	v_add_f32_e32 v1, v1, v2
	v_mul_f32_e32 v2, v9, v121
	v_fma_f32 v2, v8, v116, -v2
	s_waitcnt vmcnt(2) lgkmcnt(0)
	v_mul_f32_e32 v19, v14, v125
	v_fmac_f32_e32 v19, v15, v122
	v_add_f32_e32 v18, v18, v19
	v_add_f32_e32 v1, v1, v2
	v_mul_f32_e32 v2, v11, v123
	v_fma_f32 v2, v10, v118, -v2
	v_add_f32_e32 v1, v1, v2
	v_mul_f32_e32 v2, v13, v124
	v_fma_f32 v2, v12, v120, -v2
	;; [unrolled: 3-line block ×3, first 2 shown]
	v_add_f32_e32 v1, v1, v2
	s_waitcnt vmcnt(0)
	v_mul_f32_e32 v19, v16, v127
	v_fmac_f32_e32 v19, v17, v126
	v_add_f32_e32 v22, v18, v19
	ds_read_b128 v[18:21], v114 offset:624
	buffer_load_dword v128, off, s[0:3], 0 offset:112
	buffer_load_dword v129, off, s[0:3], 0 offset:116
	;; [unrolled: 1-line block ×4, first 2 shown]
	v_mul_f32_e32 v2, v17, v127
	v_fma_f32 v2, v16, v126, -v2
	v_add_f32_e32 v1, v1, v2
	s_waitcnt vmcnt(2) lgkmcnt(0)
	v_mul_f32_e32 v23, v18, v129
	v_fmac_f32_e32 v23, v19, v128
	v_add_f32_e32 v22, v22, v23
	s_waitcnt vmcnt(0)
	v_mul_f32_e32 v23, v20, v131
	v_fmac_f32_e32 v23, v21, v130
	v_add_f32_e32 v26, v22, v23
	ds_read_b128 v[22:25], v114 offset:640
	buffer_load_dword v132, off, s[0:3], 0 offset:128
	buffer_load_dword v133, off, s[0:3], 0 offset:132
	buffer_load_dword v134, off, s[0:3], 0 offset:136
	buffer_load_dword v135, off, s[0:3], 0 offset:140
	v_mul_f32_e32 v2, v19, v129
	v_fma_f32 v2, v18, v128, -v2
	v_add_f32_e32 v1, v1, v2
	v_mul_f32_e32 v2, v21, v131
	v_fma_f32 v2, v20, v130, -v2
	v_add_f32_e32 v1, v1, v2
	s_waitcnt vmcnt(2) lgkmcnt(0)
	v_mul_f32_e32 v27, v22, v133
	v_fmac_f32_e32 v27, v23, v132
	v_add_f32_e32 v26, v26, v27
	s_waitcnt vmcnt(0)
	v_mul_f32_e32 v27, v24, v135
	v_fmac_f32_e32 v27, v25, v134
	v_add_f32_e32 v30, v26, v27
	ds_read_b128 v[26:29], v114 offset:656
	buffer_load_dword v136, off, s[0:3], 0 offset:144
	buffer_load_dword v137, off, s[0:3], 0 offset:148
	buffer_load_dword v138, off, s[0:3], 0 offset:152
	buffer_load_dword v139, off, s[0:3], 0 offset:156
	v_mul_f32_e32 v2, v23, v133
	v_fma_f32 v2, v22, v132, -v2
	v_add_f32_e32 v1, v1, v2
	;; [unrolled: 19-line block ×6, first 2 shown]
	v_mul_f32_e32 v2, v41, v151
	v_fma_f32 v2, v40, v150, -v2
	v_add_f32_e32 v1, v1, v2
	s_waitcnt vmcnt(2) lgkmcnt(0)
	v_mul_f32_e32 v47, v42, v153
	v_fmac_f32_e32 v47, v43, v152
	v_add_f32_e32 v46, v46, v47
	s_waitcnt vmcnt(0)
	v_mul_f32_e32 v47, v44, v155
	v_fmac_f32_e32 v47, v45, v154
	v_add_f32_e32 v50, v46, v47
	ds_read_b128 v[46:49], v114 offset:736
	buffer_load_dword v156, off, s[0:3], 0 offset:224
	buffer_load_dword v157, off, s[0:3], 0 offset:228
	buffer_load_dword v158, off, s[0:3], 0 offset:232
	buffer_load_dword v159, off, s[0:3], 0 offset:236
	ds_read_b128 v[54:57], v114 offset:752
	buffer_load_dword v160, off, s[0:3], 0 offset:240
	buffer_load_dword v161, off, s[0:3], 0 offset:244
	buffer_load_dword v162, off, s[0:3], 0 offset:248
	buffer_load_dword v163, off, s[0:3], 0 offset:252
	ds_read_b128 v[58:61], v114 offset:768
	buffer_load_dword v164, off, s[0:3], 0 offset:256
	buffer_load_dword v165, off, s[0:3], 0 offset:260
	buffer_load_dword v166, off, s[0:3], 0 offset:264
	buffer_load_dword v167, off, s[0:3], 0 offset:268
	ds_read_b128 v[62:65], v114 offset:784
	buffer_load_dword v168, off, s[0:3], 0 offset:272
	buffer_load_dword v169, off, s[0:3], 0 offset:276
	buffer_load_dword v170, off, s[0:3], 0 offset:280
	buffer_load_dword v171, off, s[0:3], 0 offset:284
	ds_read_b128 v[66:69], v114 offset:800
	buffer_load_dword v172, off, s[0:3], 0 offset:288
	buffer_load_dword v173, off, s[0:3], 0 offset:292
	buffer_load_dword v174, off, s[0:3], 0 offset:296
	buffer_load_dword v175, off, s[0:3], 0 offset:300
	ds_read_b128 v[70:73], v114 offset:816
	buffer_load_dword v176, off, s[0:3], 0 offset:304
	buffer_load_dword v177, off, s[0:3], 0 offset:308
	buffer_load_dword v178, off, s[0:3], 0 offset:312
	buffer_load_dword v179, off, s[0:3], 0 offset:316
	ds_read_b128 v[74:77], v114 offset:832
	buffer_load_dword v180, off, s[0:3], 0 offset:320
	buffer_load_dword v181, off, s[0:3], 0 offset:324
	buffer_load_dword v182, off, s[0:3], 0 offset:328
	buffer_load_dword v183, off, s[0:3], 0 offset:332
	ds_read_b128 v[78:81], v114 offset:848
	buffer_load_dword v184, off, s[0:3], 0 offset:336
	buffer_load_dword v185, off, s[0:3], 0 offset:340
	buffer_load_dword v186, off, s[0:3], 0 offset:344
	buffer_load_dword v187, off, s[0:3], 0 offset:348
	ds_read_b128 v[82:85], v114 offset:864
	buffer_load_dword v188, off, s[0:3], 0 offset:352
	buffer_load_dword v189, off, s[0:3], 0 offset:356
	buffer_load_dword v190, off, s[0:3], 0 offset:360
	buffer_load_dword v191, off, s[0:3], 0 offset:364
	ds_read_b128 v[86:89], v114 offset:880
	buffer_load_dword v192, off, s[0:3], 0 offset:368
	buffer_load_dword v193, off, s[0:3], 0 offset:372
	buffer_load_dword v194, off, s[0:3], 0 offset:376
	buffer_load_dword v195, off, s[0:3], 0 offset:380
	ds_read_b128 v[90:93], v114 offset:896
	buffer_load_dword v196, off, s[0:3], 0 offset:384
	buffer_load_dword v197, off, s[0:3], 0 offset:388
	buffer_load_dword v198, off, s[0:3], 0 offset:392
	buffer_load_dword v199, off, s[0:3], 0 offset:396
	ds_read_b128 v[94:97], v114 offset:912
	buffer_load_dword v200, off, s[0:3], 0 offset:400
	buffer_load_dword v201, off, s[0:3], 0 offset:404
	buffer_load_dword v202, off, s[0:3], 0 offset:408
	buffer_load_dword v203, off, s[0:3], 0 offset:412
	ds_read_b128 v[98:101], v114 offset:928
	buffer_load_dword v204, off, s[0:3], 0 offset:416
	buffer_load_dword v205, off, s[0:3], 0 offset:420
	buffer_load_dword v206, off, s[0:3], 0 offset:424
	buffer_load_dword v207, off, s[0:3], 0 offset:428
	v_mul_f32_e32 v2, v43, v153
	v_fma_f32 v2, v42, v152, -v2
	v_add_f32_e32 v1, v1, v2
	v_mul_f32_e32 v2, v45, v155
	v_fma_f32 v2, v44, v154, -v2
	v_add_f32_e32 v1, v1, v2
	s_waitcnt vmcnt(50) lgkmcnt(12)
	v_mul_f32_e32 v51, v46, v157
	v_fmac_f32_e32 v51, v47, v156
	v_add_f32_e32 v50, v50, v51
	s_waitcnt vmcnt(48)
	v_mul_f32_e32 v51, v48, v159
	v_fmac_f32_e32 v51, v49, v158
	v_add_f32_e32 v50, v50, v51
	s_waitcnt vmcnt(46) lgkmcnt(11)
	v_mul_f32_e32 v51, v54, v161
	v_fmac_f32_e32 v51, v55, v160
	v_add_f32_e32 v50, v50, v51
	s_waitcnt vmcnt(44)
	v_mul_f32_e32 v51, v56, v163
	v_fmac_f32_e32 v51, v57, v162
	;; [unrolled: 8-line block ×12, first 2 shown]
	v_add_f32_e32 v50, v50, v51
	s_waitcnt vmcnt(2) lgkmcnt(0)
	v_mul_f32_e32 v51, v98, v205
	v_fmac_f32_e32 v51, v99, v204
	v_add_f32_e32 v105, v50, v51
	ds_read_b128 v[50:53], v114 offset:944
	buffer_load_dword v236, off, s[0:3], 0 offset:432
	buffer_load_dword v248, off, s[0:3], 0 offset:436
	;; [unrolled: 1-line block ×18, first 2 shown]
	v_mul_f32_e32 v2, v47, v157
	v_fma_f32 v2, v46, v156, -v2
	v_add_f32_e32 v1, v1, v2
	v_mul_f32_e32 v2, v49, v159
	v_fma_f32 v2, v48, v158, -v2
	v_add_f32_e32 v1, v1, v2
	;; [unrolled: 3-line block ×24, first 2 shown]
	v_mul_f32_e32 v2, v99, v205
	v_fma_f32 v2, v98, v204, -v2
	s_waitcnt vmcnt(15)
	v_mov_b32_e32 v18, v109
	v_mul_f32_e32 v107, v100, v207
	v_add_f32_e32 v104, v1, v2
	v_mul_f32_e32 v1, v101, v207
	s_waitcnt lgkmcnt(0)
	v_pk_mul_f32 v[18:19], v[52:53], v[18:19] op_sel_hi:[1,0]
	v_fmac_f32_e32 v107, v101, v206
	v_mul_f32_e32 v237, v50, v248
	v_fma_f32 v106, v100, v206, -v1
	v_mul_f32_e32 v1, v51, v248
	ds_read_b128 v[2:5], v114 offset:960
	ds_read_b128 v[6:9], v114 offset:976
	ds_read_b128 v[10:13], v114 offset:992
	ds_read_b64 v[14:15], v114 offset:1008
	s_waitcnt vmcnt(14)
	v_pk_fma_f32 v[20:21], v[52:53], v[108:109], v[18:19] op_sel:[0,0,1] op_sel_hi:[1,1,0] neg_lo:[0,0,1] neg_hi:[0,0,1]
	v_pk_fma_f32 v[18:19], v[52:53], v[108:109], v[18:19] op_sel:[0,0,1] op_sel_hi:[1,0,0]
	v_fmac_f32_e32 v237, v51, v236
	v_fma_f32 v236, v50, v236, -v1
	v_pk_add_f32 v[16:17], v[104:105], v[106:107]
	s_waitcnt vmcnt(13)
	v_mov_b32_e32 v18, v247
	v_pk_add_f32 v[16:17], v[16:17], v[236:237]
	v_mov_b32_e32 v21, v19
	s_waitcnt lgkmcnt(3)
	v_pk_mul_f32 v[18:19], v[2:3], v[18:19] op_sel_hi:[1,0]
	v_pk_add_f32 v[16:17], v[16:17], v[20:21]
	s_waitcnt vmcnt(12)
	v_pk_fma_f32 v[20:21], v[2:3], v[246:247], v[18:19] op_sel:[0,0,1] op_sel_hi:[1,1,0] neg_lo:[0,0,1] neg_hi:[0,0,1]
	v_pk_fma_f32 v[2:3], v[2:3], v[246:247], v[18:19] op_sel:[0,0,1] op_sel_hi:[1,0,0]
	v_mov_b32_e32 v21, v3
	v_pk_add_f32 v[2:3], v[16:17], v[20:21]
	s_waitcnt vmcnt(11)
	v_mov_b32_e32 v16, v245
	v_pk_mul_f32 v[16:17], v[4:5], v[16:17] op_sel_hi:[1,0]
	s_waitcnt vmcnt(10)
	v_pk_fma_f32 v[18:19], v[4:5], v[244:245], v[16:17] op_sel:[0,0,1] op_sel_hi:[1,1,0] neg_lo:[0,0,1] neg_hi:[0,0,1]
	v_pk_fma_f32 v[4:5], v[4:5], v[244:245], v[16:17] op_sel:[0,0,1] op_sel_hi:[1,0,0]
	s_waitcnt vmcnt(9)
	v_mov_b32_e32 v4, v243
	v_mov_b32_e32 v19, v5
	s_waitcnt lgkmcnt(2)
	v_pk_mul_f32 v[4:5], v[6:7], v[4:5] op_sel_hi:[1,0]
	s_waitcnt vmcnt(8)
	v_pk_fma_f32 v[16:17], v[6:7], v[242:243], v[4:5] op_sel:[0,0,1] op_sel_hi:[1,1,0] neg_lo:[0,0,1] neg_hi:[0,0,1]
	v_pk_fma_f32 v[4:5], v[6:7], v[242:243], v[4:5] op_sel:[0,0,1] op_sel_hi:[1,0,0]
	s_waitcnt vmcnt(7)
	v_mov_b32_e32 v4, v241
	v_mov_b32_e32 v17, v5
	v_pk_mul_f32 v[4:5], v[8:9], v[4:5] op_sel_hi:[1,0]
	s_waitcnt vmcnt(6)
	v_pk_fma_f32 v[6:7], v[8:9], v[240:241], v[4:5] op_sel:[0,0,1] op_sel_hi:[1,1,0] neg_lo:[0,0,1] neg_hi:[0,0,1]
	v_pk_fma_f32 v[4:5], v[8:9], v[240:241], v[4:5] op_sel:[0,0,1] op_sel_hi:[1,0,0]
	v_pk_add_f32 v[2:3], v[2:3], v[18:19]
	s_waitcnt vmcnt(5)
	v_mov_b32_e32 v4, v239
	v_pk_add_f32 v[2:3], v[2:3], v[16:17]
	v_mov_b32_e32 v7, v5
	s_waitcnt lgkmcnt(1)
	v_pk_mul_f32 v[4:5], v[10:11], v[4:5] op_sel_hi:[1,0]
	v_pk_add_f32 v[2:3], v[2:3], v[6:7]
	s_waitcnt vmcnt(4)
	v_pk_fma_f32 v[6:7], v[10:11], v[238:239], v[4:5] op_sel:[0,0,1] op_sel_hi:[1,1,0] neg_lo:[0,0,1] neg_hi:[0,0,1]
	v_pk_fma_f32 v[4:5], v[10:11], v[238:239], v[4:5] op_sel:[0,0,1] op_sel_hi:[1,0,0]
	s_waitcnt vmcnt(3)
	v_mov_b32_e32 v4, v113
	v_mov_b32_e32 v7, v5
	v_pk_mul_f32 v[4:5], v[12:13], v[4:5] op_sel_hi:[1,0]
	v_pk_add_f32 v[2:3], v[2:3], v[6:7]
	s_waitcnt vmcnt(2)
	v_pk_fma_f32 v[6:7], v[12:13], v[112:113], v[4:5] op_sel:[0,0,1] op_sel_hi:[1,1,0] neg_lo:[0,0,1] neg_hi:[0,0,1]
	v_pk_fma_f32 v[4:5], v[12:13], v[112:113], v[4:5] op_sel:[0,0,1] op_sel_hi:[1,0,0]
	s_waitcnt vmcnt(1)
	v_mov_b32_e32 v4, v111
	v_mov_b32_e32 v7, v5
	s_waitcnt lgkmcnt(0)
	v_pk_mul_f32 v[4:5], v[14:15], v[4:5] op_sel_hi:[1,0]
	v_pk_add_f32 v[2:3], v[2:3], v[6:7]
	s_waitcnt vmcnt(0)
	v_pk_fma_f32 v[6:7], v[14:15], v[110:111], v[4:5] op_sel:[0,0,1] op_sel_hi:[1,1,0] neg_lo:[0,0,1] neg_hi:[0,0,1]
	v_pk_fma_f32 v[4:5], v[14:15], v[110:111], v[4:5] op_sel:[0,0,1] op_sel_hi:[1,0,0]
	v_mov_b32_e32 v7, v5
	v_pk_add_f32 v[2:3], v[2:3], v[6:7]
	v_pk_add_f32 v[2:3], v[102:103], v[2:3] neg_lo:[0,1] neg_hi:[0,1]
	buffer_store_dword v3, off, s[0:3], 0 offset:44
	buffer_store_dword v2, off, s[0:3], 0 offset:40
	s_and_saveexec_b64 s[4:5], vcc
	s_cbranch_execz .LBB62_383
; %bb.382:
	buffer_load_dword v2, off, s[0:3], 0 offset:32
	buffer_load_dword v3, off, s[0:3], 0 offset:36
	s_waitcnt vmcnt(0)
	ds_write_b64 v217, v[2:3]
	buffer_store_dword v114, off, s[0:3], 0 offset:32
	buffer_store_dword v114, off, s[0:3], 0 offset:36
.LBB62_383:
	s_or_b64 exec, exec, s[4:5]
	s_waitcnt lgkmcnt(0)
	; wave barrier
	s_waitcnt lgkmcnt(0)
	buffer_load_dword v64, off, s[0:3], 0 offset:44
	buffer_load_dword v63, off, s[0:3], 0 offset:52
	;; [unrolled: 1-line block ×40, first 2 shown]
	ds_read2_b64 v[22:25], v114 offset0:69 offset1:70
	ds_read2_b64 v[18:21], v114 offset0:71 offset1:72
	;; [unrolled: 1-line block ×6, first 2 shown]
	buffer_load_dword v97, off, s[0:3], 0 offset:192
	buffer_load_dword v98, off, s[0:3], 0 offset:196
	;; [unrolled: 1-line block ×10, first 2 shown]
	v_cmp_lt_u32_e32 vcc, 3, v0
	s_waitcnt vmcnt(49) lgkmcnt(5)
	v_mul_f32_e32 v26, v22, v64
	s_waitcnt vmcnt(48)
	v_mul_f32_e32 v27, v24, v63
	s_waitcnt vmcnt(47) lgkmcnt(4)
	v_mul_f32_e32 v29, v20, v62
	s_waitcnt vmcnt(46) lgkmcnt(3)
	v_mul_f32_e32 v30, v14, v61
	s_waitcnt vmcnt(45)
	v_mul_f32_e32 v31, v16, v1
	s_waitcnt vmcnt(44)
	v_mul_f32_e32 v28, v18, v65
	s_waitcnt vmcnt(43) lgkmcnt(2)
	v_mul_f32_e32 v32, v10, v60
	s_waitcnt vmcnt(42)
	v_mul_f32_e32 v33, v12, v66
	s_waitcnt vmcnt(41) lgkmcnt(1)
	;; [unrolled: 4-line block ×3, first 2 shown]
	v_mul_f32_e32 v36, v2, v69
	s_waitcnt vmcnt(38)
	v_mul_f32_e32 v37, v4, v70
	s_waitcnt vmcnt(37)
	v_fmac_f32_e32 v28, v19, v76
	s_waitcnt vmcnt(36)
	v_fmac_f32_e32 v27, v25, v79
	;; [unrolled: 2-line block ×3, first 2 shown]
	v_add_f32_e32 v26, 0, v26
	v_add_f32_e32 v26, v26, v27
	;; [unrolled: 1-line block ×3, first 2 shown]
	s_waitcnt vmcnt(31)
	v_fmac_f32_e32 v29, v21, v81
	v_fmac_f32_e32 v30, v15, v78
	v_add_f32_e32 v26, v26, v29
	v_fmac_f32_e32 v31, v17, v75
	v_add_f32_e32 v26, v26, v30
	;; [unrolled: 2-line block ×3, first 2 shown]
	s_waitcnt vmcnt(27)
	v_fmac_f32_e32 v33, v13, v77
	v_add_f32_e32 v26, v26, v32
	v_fmac_f32_e32 v34, v7, v74
	v_add_f32_e32 v26, v26, v33
	;; [unrolled: 2-line block ×3, first 2 shown]
	v_add_f32_e32 v30, v26, v35
	ds_read2_b64 v[26:29], v114 offset0:81 offset1:82
	v_fmac_f32_e32 v36, v3, v71
	v_add_f32_e32 v30, v30, v36
	s_waitcnt vmcnt(23)
	v_fmac_f32_e32 v37, v5, v88
	v_add_f32_e32 v34, v30, v37
	ds_read2_b64 v[30:33], v114 offset0:83 offset1:84
	buffer_load_dword v115, off, s[0:3], 0 offset:232
	buffer_load_dword v160, off, s[0:3], 0 offset:236
	s_waitcnt vmcnt(24) lgkmcnt(1)
	v_mul_f32_e32 v35, v26, v87
	v_fmac_f32_e32 v35, v27, v85
	buffer_load_dword v162, off, s[0:3], 0 offset:240
	buffer_load_dword v178, off, s[0:3], 0 offset:244
	v_add_f32_e32 v34, v34, v35
	s_waitcnt vmcnt(25)
	v_mul_f32_e32 v35, v28, v86
	v_fmac_f32_e32 v35, v29, v83
	buffer_load_dword v179, off, s[0:3], 0 offset:248
	buffer_load_dword v180, off, s[0:3], 0 offset:252
	v_add_f32_e32 v34, v34, v35
	s_waitcnt vmcnt(26) lgkmcnt(0)
	v_mul_f32_e32 v35, v30, v84
	v_fmac_f32_e32 v35, v31, v80
	v_add_f32_e32 v34, v34, v35
	s_waitcnt vmcnt(20)
	v_mul_f32_e32 v35, v32, v96
	s_waitcnt vmcnt(19)
	v_fmac_f32_e32 v35, v33, v95
	ds_read2_b64 v[38:41], v114 offset0:85 offset1:86
	v_add_f32_e32 v42, v34, v35
	ds_read2_b64 v[34:37], v114 offset0:87 offset1:88
	buffer_load_dword v181, off, s[0:3], 0 offset:256
	buffer_load_dword v182, off, s[0:3], 0 offset:260
	;; [unrolled: 1-line block ×6, first 2 shown]
	s_waitcnt vmcnt(24) lgkmcnt(1)
	v_mul_f32_e32 v43, v38, v94
	buffer_load_dword v187, off, s[0:3], 0 offset:280
	buffer_load_dword v188, off, s[0:3], 0 offset:284
	v_fmac_f32_e32 v43, v39, v93
	v_add_f32_e32 v42, v42, v43
	v_mul_f32_e32 v43, v40, v90
	buffer_load_dword v189, off, s[0:3], 0 offset:288
	buffer_load_dword v190, off, s[0:3], 0 offset:292
	v_fmac_f32_e32 v43, v41, v89
	v_add_f32_e32 v42, v42, v43
	s_waitcnt lgkmcnt(0)
	v_mul_f32_e32 v43, v34, v92
	buffer_load_dword v191, off, s[0:3], 0 offset:296
	buffer_load_dword v192, off, s[0:3], 0 offset:300
	v_fmac_f32_e32 v43, v35, v91
	v_add_f32_e32 v46, v42, v43
	ds_read2_b64 v[42:45], v114 offset0:89 offset1:90
	buffer_load_dword v193, off, s[0:3], 0 offset:304
	buffer_load_dword v194, off, s[0:3], 0 offset:308
	s_waitcnt vmcnt(28)
	v_mul_f32_e32 v47, v36, v98
	buffer_load_dword v195, off, s[0:3], 0 offset:312
	buffer_load_dword v196, off, s[0:3], 0 offset:316
	v_fmac_f32_e32 v47, v37, v97
	v_add_f32_e32 v50, v46, v47
	ds_read2_b64 v[46:49], v114 offset0:91 offset1:92
	buffer_load_dword v197, off, s[0:3], 0 offset:320
	buffer_load_dword v198, off, s[0:3], 0 offset:324
	;; [unrolled: 1-line block ×10, first 2 shown]
	s_waitcnt vmcnt(38) lgkmcnt(1)
	v_mul_f32_e32 v51, v42, v100
	buffer_load_dword v207, off, s[0:3], 0 offset:360
	buffer_load_dword v236, off, s[0:3], 0 offset:364
	v_fmac_f32_e32 v51, v43, v99
	v_add_f32_e32 v50, v50, v51
	s_waitcnt vmcnt(38)
	v_mul_f32_e32 v51, v44, v102
	buffer_load_dword v237, off, s[0:3], 0 offset:368
	buffer_load_dword v238, off, s[0:3], 0 offset:372
	v_fmac_f32_e32 v51, v45, v101
	v_add_f32_e32 v50, v50, v51
	s_waitcnt vmcnt(38) lgkmcnt(0)
	v_mul_f32_e32 v51, v46, v104
	buffer_load_dword v239, off, s[0:3], 0 offset:376
	buffer_load_dword v240, off, s[0:3], 0 offset:380
	v_fmac_f32_e32 v51, v47, v103
	v_add_f32_e32 v54, v50, v51
	s_waitcnt vmcnt(38)
	v_mul_f32_e32 v55, v48, v106
	ds_read2_b64 v[50:53], v114 offset0:93 offset1:94
	buffer_load_dword v241, off, s[0:3], 0 offset:384
	buffer_load_dword v242, off, s[0:3], 0 offset:388
	v_fmac_f32_e32 v55, v49, v105
	v_add_f32_e32 v107, v54, v55
	ds_read2_b64 v[54:57], v114 offset0:95 offset1:96
	buffer_load_dword v243, off, s[0:3], 0 offset:392
	buffer_load_dword v244, off, s[0:3], 0 offset:396
	;; [unrolled: 1-line block ×12, first 2 shown]
	ds_read2_b64 v[120:123], v114 offset0:101 offset1:102
	ds_read2_b64 v[124:127], v114 offset0:103 offset1:104
	;; [unrolled: 1-line block ×9, first 2 shown]
	v_mul_f32_e32 v23, v23, v64
	v_fma_f32 v22, v22, v82, -v23
	v_mul_f32_e32 v23, v25, v63
	v_add_f32_e32 v22, 0, v22
	s_waitcnt vmcnt(50) lgkmcnt(10)
	v_mul_f32_e32 v108, v50, v160
	v_fmac_f32_e32 v108, v51, v115
	v_add_f32_e32 v107, v107, v108
	s_waitcnt vmcnt(48)
	v_mul_f32_e32 v108, v52, v178
	v_fmac_f32_e32 v108, v53, v162
	v_add_f32_e32 v107, v107, v108
	v_fma_f32 v23, v24, v79, -v23
	s_waitcnt vmcnt(46) lgkmcnt(9)
	v_mul_f32_e32 v108, v54, v180
	v_fmac_f32_e32 v108, v55, v179
	v_add_f32_e32 v107, v107, v108
	ds_read2_b64 v[108:111], v114 offset0:97 offset1:98
	v_mul_f32_e32 v19, v19, v65
	v_add_f32_e32 v22, v22, v23
	v_fma_f32 v18, v18, v76, -v19
	v_mul_f32_e32 v19, v21, v62
	v_add_f32_e32 v18, v22, v18
	v_fma_f32 v19, v20, v81, -v19
	s_waitcnt vmcnt(44)
	v_mul_f32_e32 v112, v56, v182
	v_fmac_f32_e32 v112, v57, v181
	v_add_f32_e32 v107, v107, v112
	s_waitcnt vmcnt(42) lgkmcnt(0)
	v_mul_f32_e32 v112, v108, v184
	v_fmac_f32_e32 v112, v109, v183
	v_add_f32_e32 v107, v107, v112
	s_waitcnt vmcnt(40)
	v_mul_f32_e32 v112, v110, v186
	v_fmac_f32_e32 v112, v111, v185
	v_add_f32_e32 v107, v107, v112
	s_waitcnt vmcnt(38)
	v_mul_f32_e32 v112, v116, v188
	v_fmac_f32_e32 v112, v117, v187
	v_add_f32_e32 v107, v107, v112
	s_waitcnt vmcnt(36)
	v_mul_f32_e32 v112, v118, v190
	v_fmac_f32_e32 v112, v119, v189
	v_add_f32_e32 v107, v107, v112
	s_waitcnt vmcnt(34)
	v_mul_f32_e32 v112, v120, v192
	v_fmac_f32_e32 v112, v121, v191
	v_add_f32_e32 v107, v107, v112
	s_waitcnt vmcnt(32)
	v_mul_f32_e32 v112, v122, v194
	v_fmac_f32_e32 v112, v123, v193
	v_add_f32_e32 v107, v107, v112
	s_waitcnt vmcnt(30)
	v_mul_f32_e32 v112, v124, v196
	v_fmac_f32_e32 v112, v125, v195
	v_add_f32_e32 v107, v107, v112
	s_waitcnt vmcnt(28)
	v_mul_f32_e32 v112, v126, v198
	v_fmac_f32_e32 v112, v127, v197
	v_add_f32_e32 v107, v107, v112
	s_waitcnt vmcnt(26)
	v_mul_f32_e32 v112, v128, v200
	v_fmac_f32_e32 v112, v129, v199
	v_add_f32_e32 v107, v107, v112
	s_waitcnt vmcnt(24)
	v_mul_f32_e32 v112, v130, v202
	v_fmac_f32_e32 v112, v131, v201
	v_add_f32_e32 v107, v107, v112
	s_waitcnt vmcnt(22)
	v_mul_f32_e32 v112, v132, v204
	v_fmac_f32_e32 v112, v133, v203
	v_add_f32_e32 v107, v107, v112
	s_waitcnt vmcnt(20)
	v_mul_f32_e32 v112, v134, v206
	v_fmac_f32_e32 v112, v135, v205
	v_add_f32_e32 v107, v107, v112
	s_waitcnt vmcnt(18)
	v_mul_f32_e32 v112, v136, v236
	v_fmac_f32_e32 v112, v137, v207
	v_add_f32_e32 v107, v107, v112
	s_waitcnt vmcnt(16)
	v_mul_f32_e32 v112, v138, v238
	v_fmac_f32_e32 v112, v139, v237
	v_add_f32_e32 v107, v107, v112
	s_waitcnt vmcnt(14)
	v_mul_f32_e32 v112, v140, v240
	v_fmac_f32_e32 v112, v141, v239
	v_add_f32_e32 v107, v107, v112
	s_waitcnt vmcnt(12)
	v_mul_f32_e32 v112, v142, v242
	v_fmac_f32_e32 v112, v143, v241
	v_add_f32_e32 v107, v107, v112
	s_waitcnt vmcnt(10)
	v_mul_f32_e32 v112, v144, v244
	v_fmac_f32_e32 v112, v145, v243
	v_add_f32_e32 v107, v107, v112
	s_waitcnt vmcnt(8)
	v_mul_f32_e32 v112, v146, v246
	v_mul_f32_e32 v15, v15, v61
	v_fmac_f32_e32 v112, v147, v245
	v_add_f32_e32 v18, v18, v19
	v_fma_f32 v14, v14, v78, -v15
	v_mul_f32_e32 v1, v17, v1
	v_add_f32_e32 v107, v107, v112
	s_waitcnt vmcnt(6)
	v_mul_f32_e32 v112, v148, v248
	v_add_f32_e32 v14, v18, v14
	v_fma_f32 v1, v16, v75, -v1
	v_mul_f32_e32 v11, v11, v60
	v_fmac_f32_e32 v112, v149, v247
	v_add_f32_e32 v1, v14, v1
	v_fma_f32 v10, v10, v73, -v11
	v_add_f32_e32 v107, v107, v112
	buffer_load_dword v113, off, s[0:3], 0 offset:444
	buffer_load_dword v112, off, s[0:3], 0 offset:440
	v_add_f32_e32 v1, v1, v10
	v_mul_f32_e32 v10, v13, v66
	v_fma_f32 v10, v12, v77, -v10
	v_mul_f32_e32 v7, v7, v67
	v_add_f32_e32 v1, v1, v10
	v_fma_f32 v6, v6, v74, -v7
	v_add_f32_e32 v1, v1, v6
	v_mul_f32_e32 v6, v9, v68
	v_fma_f32 v6, v8, v72, -v6
	v_mul_f32_e32 v3, v3, v69
	v_add_f32_e32 v1, v1, v6
	v_fma_f32 v2, v2, v71, -v3
	v_add_f32_e32 v1, v1, v2
	v_mul_f32_e32 v2, v5, v70
	s_waitcnt vmcnt(6)
	v_mul_f32_e32 v156, v150, v250
	v_fma_f32 v2, v4, v88, -v2
	v_fmac_f32_e32 v156, v151, v249
	v_add_f32_e32 v1, v1, v2
	v_mul_f32_e32 v2, v27, v87
	ds_read2_b64 v[152:155], v114 offset0:117 offset1:118
	v_add_f32_e32 v107, v107, v156
	ds_read2_b64 v[156:159], v114 offset0:119 offset1:120
	buffer_load_dword v165, off, s[0:3], 0 offset:476
	buffer_load_dword v164, off, s[0:3], 0 offset:472
	;; [unrolled: 1-line block ×14, first 2 shown]
	v_fma_f32 v2, v26, v85, -v2
	v_add_f32_e32 v1, v1, v2
	v_mul_f32_e32 v2, v29, v86
	v_fma_f32 v2, v28, v83, -v2
	v_add_f32_e32 v1, v1, v2
	v_mul_f32_e32 v2, v31, v84
	;; [unrolled: 3-line block ×35, first 2 shown]
	v_fma_f32 v2, v150, v249, -v2
	s_waitcnt vmcnt(15)
	v_mov_b32_e32 v16, v113
	s_waitcnt lgkmcnt(1)
	v_mul_f32_e32 v161, v152, v252
	v_add_f32_e32 v106, v1, v2
	v_mul_f32_e32 v1, v153, v252
	s_waitcnt lgkmcnt(0)
	v_pk_mul_f32 v[16:17], v[156:157], v[16:17] op_sel_hi:[1,0]
	v_fmac_f32_e32 v161, v153, v251
	v_mul_f32_e32 v163, v154, v254
	v_fma_f32 v160, v152, v251, -v1
	v_mul_f32_e32 v1, v155, v254
	s_waitcnt vmcnt(14)
	v_pk_fma_f32 v[18:19], v[156:157], v[112:113], v[16:17] op_sel:[0,0,1] op_sel_hi:[1,1,0] neg_lo:[0,0,1] neg_hi:[0,0,1]
	v_pk_fma_f32 v[16:17], v[156:157], v[112:113], v[16:17] op_sel:[0,0,1] op_sel_hi:[1,0,0]
	v_fmac_f32_e32 v163, v155, v253
	v_fma_f32 v162, v154, v253, -v1
	v_pk_add_f32 v[14:15], v[106:107], v[160:161]
	s_waitcnt vmcnt(7)
	v_mov_b32_e32 v16, v171
	ds_read2_b64 v[2:5], v114 offset0:121 offset1:122
	ds_read2_b64 v[6:9], v114 offset0:123 offset1:124
	ds_read2_b64 v[10:13], v114 offset0:125 offset1:126
	v_pk_add_f32 v[14:15], v[14:15], v[162:163]
	v_mov_b32_e32 v19, v17
	v_pk_mul_f32 v[16:17], v[158:159], v[16:17] op_sel_hi:[1,0]
	v_pk_add_f32 v[14:15], v[14:15], v[18:19]
	s_waitcnt vmcnt(6)
	v_pk_fma_f32 v[18:19], v[158:159], v[170:171], v[16:17] op_sel:[0,0,1] op_sel_hi:[1,1,0] neg_lo:[0,0,1] neg_hi:[0,0,1]
	v_pk_fma_f32 v[16:17], v[158:159], v[170:171], v[16:17] op_sel:[0,0,1] op_sel_hi:[1,0,0]
	v_mov_b32_e32 v16, v169
	v_mov_b32_e32 v19, v17
	s_waitcnt lgkmcnt(2)
	v_pk_mul_f32 v[16:17], v[2:3], v[16:17] op_sel_hi:[1,0]
	v_pk_add_f32 v[14:15], v[14:15], v[18:19]
	v_pk_fma_f32 v[18:19], v[2:3], v[168:169], v[16:17] op_sel:[0,0,1] op_sel_hi:[1,1,0] neg_lo:[0,0,1] neg_hi:[0,0,1]
	v_pk_fma_f32 v[2:3], v[2:3], v[168:169], v[16:17] op_sel:[0,0,1] op_sel_hi:[1,0,0]
	v_mov_b32_e32 v19, v3
	v_pk_add_f32 v[2:3], v[14:15], v[18:19]
	v_mov_b32_e32 v14, v167
	v_pk_mul_f32 v[14:15], v[4:5], v[14:15] op_sel_hi:[1,0]
	v_pk_fma_f32 v[16:17], v[4:5], v[166:167], v[14:15] op_sel:[0,0,1] op_sel_hi:[1,1,0] neg_lo:[0,0,1] neg_hi:[0,0,1]
	v_pk_fma_f32 v[4:5], v[4:5], v[166:167], v[14:15] op_sel:[0,0,1] op_sel_hi:[1,0,0]
	v_mov_b32_e32 v4, v165
	v_mov_b32_e32 v17, v5
	s_waitcnt lgkmcnt(1)
	v_pk_mul_f32 v[4:5], v[6:7], v[4:5] op_sel_hi:[1,0]
	v_pk_fma_f32 v[14:15], v[6:7], v[164:165], v[4:5] op_sel:[0,0,1] op_sel_hi:[1,1,0] neg_lo:[0,0,1] neg_hi:[0,0,1]
	v_pk_fma_f32 v[4:5], v[6:7], v[164:165], v[4:5] op_sel:[0,0,1] op_sel_hi:[1,0,0]
	s_waitcnt vmcnt(1)
	v_mov_b32_e32 v4, v177
	v_mov_b32_e32 v15, v5
	v_pk_mul_f32 v[4:5], v[8:9], v[4:5] op_sel_hi:[1,0]
	s_waitcnt vmcnt(0)
	v_pk_fma_f32 v[6:7], v[8:9], v[176:177], v[4:5] op_sel:[0,0,1] op_sel_hi:[1,1,0] neg_lo:[0,0,1] neg_hi:[0,0,1]
	v_pk_fma_f32 v[4:5], v[8:9], v[176:177], v[4:5] op_sel:[0,0,1] op_sel_hi:[1,0,0]
	v_pk_add_f32 v[2:3], v[2:3], v[16:17]
	v_mov_b32_e32 v4, v175
	v_pk_add_f32 v[2:3], v[2:3], v[14:15]
	v_mov_b32_e32 v7, v5
	s_waitcnt lgkmcnt(0)
	v_pk_mul_f32 v[4:5], v[10:11], v[4:5] op_sel_hi:[1,0]
	v_pk_add_f32 v[2:3], v[2:3], v[6:7]
	v_pk_fma_f32 v[6:7], v[10:11], v[174:175], v[4:5] op_sel:[0,0,1] op_sel_hi:[1,1,0] neg_lo:[0,0,1] neg_hi:[0,0,1]
	v_pk_fma_f32 v[4:5], v[10:11], v[174:175], v[4:5] op_sel:[0,0,1] op_sel_hi:[1,0,0]
	v_mov_b32_e32 v4, v173
	v_mov_b32_e32 v7, v5
	v_pk_mul_f32 v[4:5], v[12:13], v[4:5] op_sel_hi:[1,0]
	v_pk_add_f32 v[2:3], v[2:3], v[6:7]
	v_pk_fma_f32 v[6:7], v[12:13], v[172:173], v[4:5] op_sel:[0,0,1] op_sel_hi:[1,1,0] neg_lo:[0,0,1] neg_hi:[0,0,1]
	v_pk_fma_f32 v[4:5], v[12:13], v[172:173], v[4:5] op_sel:[0,0,1] op_sel_hi:[1,0,0]
	v_mov_b32_e32 v7, v5
	v_pk_add_f32 v[2:3], v[2:3], v[6:7]
	v_pk_add_f32 v[2:3], v[58:59], v[2:3] neg_lo:[0,1] neg_hi:[0,1]
	buffer_store_dword v3, off, s[0:3], 0 offset:36
	buffer_store_dword v2, off, s[0:3], 0 offset:32
	s_and_saveexec_b64 s[4:5], vcc
	s_cbranch_execz .LBB62_385
; %bb.384:
	buffer_load_dword v2, off, s[0:3], 0 offset:24
	buffer_load_dword v3, off, s[0:3], 0 offset:28
	v_mov_b32_e32 v1, 0
	buffer_store_dword v1, off, s[0:3], 0 offset:24
	buffer_store_dword v1, off, s[0:3], 0 offset:28
	s_waitcnt vmcnt(2)
	ds_write_b64 v217, v[2:3]
.LBB62_385:
	s_or_b64 exec, exec, s[4:5]
	s_waitcnt lgkmcnt(0)
	; wave barrier
	s_waitcnt lgkmcnt(0)
	buffer_load_dword v65, off, s[0:3], 0 offset:36
	buffer_load_dword v64, off, s[0:3], 0 offset:44
	;; [unrolled: 1-line block ×48, first 2 shown]
	v_mov_b32_e32 v1, 0
	ds_read_b128 v[22:25], v1 offset:544
	ds_read_b128 v[18:21], v1 offset:560
	;; [unrolled: 1-line block ×6, first 2 shown]
	buffer_load_dword v154, off, s[0:3], 0 offset:216
	buffer_load_dword v156, off, s[0:3], 0 offset:220
	v_cmp_lt_u32_e32 vcc, 2, v0
	s_waitcnt vmcnt(49) lgkmcnt(5)
	v_mul_f32_e32 v26, v22, v65
	s_waitcnt vmcnt(48)
	v_mul_f32_e32 v27, v24, v64
	s_waitcnt vmcnt(47) lgkmcnt(4)
	v_mul_f32_e32 v29, v20, v63
	s_waitcnt vmcnt(46) lgkmcnt(3)
	v_mul_f32_e32 v30, v14, v62
	s_waitcnt vmcnt(45)
	v_mul_f32_e32 v31, v16, v60
	s_waitcnt vmcnt(44)
	v_mul_f32_e32 v28, v18, v66
	s_waitcnt vmcnt(43) lgkmcnt(2)
	v_mul_f32_e32 v32, v10, v61
	s_waitcnt vmcnt(42)
	v_mul_f32_e32 v33, v12, v67
	s_waitcnt vmcnt(41) lgkmcnt(1)
	;; [unrolled: 4-line block ×3, first 2 shown]
	v_mul_f32_e32 v36, v2, v70
	s_waitcnt vmcnt(38)
	v_mul_f32_e32 v37, v4, v71
	s_waitcnt vmcnt(37)
	v_fmac_f32_e32 v28, v19, v77
	s_waitcnt vmcnt(36)
	v_fmac_f32_e32 v27, v25, v80
	;; [unrolled: 2-line block ×3, first 2 shown]
	v_add_f32_e32 v26, 0, v26
	v_add_f32_e32 v26, v26, v27
	;; [unrolled: 1-line block ×3, first 2 shown]
	s_waitcnt vmcnt(31)
	v_fmac_f32_e32 v29, v21, v82
	v_fmac_f32_e32 v30, v15, v79
	v_add_f32_e32 v26, v26, v29
	v_fmac_f32_e32 v31, v17, v76
	v_add_f32_e32 v26, v26, v30
	;; [unrolled: 2-line block ×3, first 2 shown]
	s_waitcnt vmcnt(27)
	v_fmac_f32_e32 v33, v13, v78
	v_add_f32_e32 v26, v26, v32
	v_fmac_f32_e32 v34, v7, v75
	v_add_f32_e32 v26, v26, v33
	;; [unrolled: 2-line block ×4, first 2 shown]
	v_add_f32_e32 v30, v26, v36
	ds_read_b128 v[26:29], v1 offset:640
	s_waitcnt vmcnt(23)
	v_fmac_f32_e32 v37, v5, v91
	v_add_f32_e32 v34, v30, v37
	buffer_load_dword v158, off, s[0:3], 0 offset:224
	buffer_load_dword v176, off, s[0:3], 0 offset:228
	ds_read_b128 v[30:33], v1 offset:656
	s_waitcnt vmcnt(24) lgkmcnt(1)
	v_mul_f32_e32 v35, v26, v90
	v_fmac_f32_e32 v35, v27, v86
	v_add_f32_e32 v34, v34, v35
	s_waitcnt vmcnt(23)
	v_mul_f32_e32 v35, v28, v88
	buffer_load_dword v177, off, s[0:3], 0 offset:232
	buffer_load_dword v178, off, s[0:3], 0 offset:236
	v_fmac_f32_e32 v35, v29, v84
	v_add_f32_e32 v34, v34, v35
	s_waitcnt vmcnt(24) lgkmcnt(0)
	v_mul_f32_e32 v35, v30, v85
	buffer_load_dword v179, off, s[0:3], 0 offset:240
	buffer_load_dword v180, off, s[0:3], 0 offset:244
	v_fmac_f32_e32 v35, v31, v81
	v_add_f32_e32 v34, v34, v35
	s_waitcnt vmcnt(24)
	v_mul_f32_e32 v35, v32, v89
	v_fmac_f32_e32 v35, v33, v87
	ds_read_b128 v[38:41], v1 offset:672
	v_add_f32_e32 v42, v34, v35
	ds_read_b128 v[34:37], v1 offset:688
	buffer_load_dword v181, off, s[0:3], 0 offset:248
	buffer_load_dword v182, off, s[0:3], 0 offset:252
	;; [unrolled: 1-line block ×6, first 2 shown]
	s_waitcnt vmcnt(26) lgkmcnt(1)
	v_mul_f32_e32 v43, v38, v93
	v_fmac_f32_e32 v43, v39, v92
	buffer_load_dword v187, off, s[0:3], 0 offset:272
	buffer_load_dword v188, off, s[0:3], 0 offset:276
	v_add_f32_e32 v42, v42, v43
	s_waitcnt vmcnt(26)
	v_mul_f32_e32 v43, v40, v95
	v_fmac_f32_e32 v43, v41, v94
	v_add_f32_e32 v42, v42, v43
	s_waitcnt vmcnt(24) lgkmcnt(0)
	v_mul_f32_e32 v43, v34, v97
	v_fmac_f32_e32 v43, v35, v96
	buffer_load_dword v189, off, s[0:3], 0 offset:280
	buffer_load_dword v190, off, s[0:3], 0 offset:284
	v_add_f32_e32 v42, v42, v43
	s_waitcnt vmcnt(24)
	v_mul_f32_e32 v43, v36, v99
	v_fmac_f32_e32 v43, v37, v98
	v_add_f32_e32 v50, v42, v43
	ds_read_b128 v[42:45], v1 offset:704
	buffer_load_dword v191, off, s[0:3], 0 offset:288
	buffer_load_dword v192, off, s[0:3], 0 offset:292
	ds_read_b128 v[46:49], v1 offset:720
	buffer_load_dword v193, off, s[0:3], 0 offset:296
	buffer_load_dword v194, off, s[0:3], 0 offset:300
	;; [unrolled: 1-line block ×12, first 2 shown]
	s_waitcnt vmcnt(36) lgkmcnt(1)
	v_mul_f32_e32 v51, v42, v101
	v_fmac_f32_e32 v51, v43, v100
	buffer_load_dword v205, off, s[0:3], 0 offset:344
	buffer_load_dword v206, off, s[0:3], 0 offset:348
	v_add_f32_e32 v50, v50, v51
	s_waitcnt vmcnt(36)
	v_mul_f32_e32 v51, v44, v103
	v_fmac_f32_e32 v51, v45, v102
	v_add_f32_e32 v50, v50, v51
	s_waitcnt vmcnt(34) lgkmcnt(0)
	v_mul_f32_e32 v51, v46, v105
	buffer_load_dword v207, off, s[0:3], 0 offset:352
	buffer_load_dword v236, off, s[0:3], 0 offset:356
	v_fmac_f32_e32 v51, v47, v104
	v_add_f32_e32 v54, v50, v51
	ds_read_b128 v[50:53], v1 offset:736
	buffer_load_dword v237, off, s[0:3], 0 offset:360
	buffer_load_dword v238, off, s[0:3], 0 offset:364
	;; [unrolled: 1-line block ×4, first 2 shown]
	s_waitcnt vmcnt(38)
	v_mul_f32_e32 v55, v48, v156
	v_fmac_f32_e32 v55, v49, v154
	v_add_f32_e32 v106, v54, v55
	ds_read_b128 v[54:57], v1 offset:752
	buffer_load_dword v241, off, s[0:3], 0 offset:376
	buffer_load_dword v242, off, s[0:3], 0 offset:380
	;; [unrolled: 1-line block ×16, first 2 shown]
	v_mul_f32_e32 v23, v23, v65
	v_fma_f32 v22, v22, v83, -v23
	v_mul_f32_e32 v23, v25, v64
	v_add_f32_e32 v22, 0, v22
	v_fma_f32 v23, v24, v80, -v23
	v_mul_f32_e32 v19, v19, v66
	v_add_f32_e32 v22, v22, v23
	;; [unrolled: 3-line block ×3, first 2 shown]
	v_fma_f32 v19, v20, v82, -v19
	v_mul_f32_e32 v15, v15, v62
	s_waitcnt vmcnt(52) lgkmcnt(1)
	v_mul_f32_e32 v107, v50, v176
	v_fmac_f32_e32 v107, v51, v158
	v_add_f32_e32 v106, v106, v107
	v_add_f32_e32 v18, v18, v19
	v_fma_f32 v14, v14, v79, -v15
	v_mul_f32_e32 v15, v17, v60
	s_waitcnt vmcnt(50)
	v_mul_f32_e32 v107, v52, v178
	v_fmac_f32_e32 v107, v53, v177
	v_add_f32_e32 v106, v106, v107
	v_add_f32_e32 v14, v18, v14
	s_waitcnt vmcnt(48) lgkmcnt(0)
	v_mul_f32_e32 v107, v54, v180
	v_fmac_f32_e32 v107, v55, v179
	v_add_f32_e32 v110, v106, v107
	ds_read_b128 v[106:109], v1 offset:768
	v_fma_f32 v15, v16, v76, -v15
	v_mul_f32_e32 v11, v11, v61
	v_add_f32_e32 v14, v14, v15
	v_fma_f32 v10, v10, v74, -v11
	s_waitcnt vmcnt(46)
	v_mul_f32_e32 v111, v56, v182
	v_fmac_f32_e32 v111, v57, v181
	v_add_f32_e32 v114, v110, v111
	ds_read_b128 v[110:113], v1 offset:784
	s_waitcnt vmcnt(44) lgkmcnt(1)
	v_mul_f32_e32 v115, v106, v184
	v_fmac_f32_e32 v115, v107, v183
	v_add_f32_e32 v114, v114, v115
	s_waitcnt vmcnt(42)
	v_mul_f32_e32 v115, v108, v186
	v_fmac_f32_e32 v115, v109, v185
	v_add_f32_e32 v114, v114, v115
	s_waitcnt vmcnt(40) lgkmcnt(0)
	v_mul_f32_e32 v115, v110, v188
	v_fmac_f32_e32 v115, v111, v187
	v_add_f32_e32 v118, v114, v115
	ds_read_b128 v[114:117], v1 offset:800
	s_waitcnt vmcnt(38)
	v_mul_f32_e32 v119, v112, v190
	v_fmac_f32_e32 v119, v113, v189
	v_add_f32_e32 v122, v118, v119
	ds_read_b128 v[118:121], v1 offset:816
	s_waitcnt vmcnt(36) lgkmcnt(1)
	v_mul_f32_e32 v123, v114, v192
	v_fmac_f32_e32 v123, v115, v191
	v_add_f32_e32 v122, v122, v123
	s_waitcnt vmcnt(34)
	v_mul_f32_e32 v123, v116, v194
	v_fmac_f32_e32 v123, v117, v193
	v_add_f32_e32 v122, v122, v123
	s_waitcnt vmcnt(32) lgkmcnt(0)
	v_mul_f32_e32 v123, v118, v196
	v_fmac_f32_e32 v123, v119, v195
	v_add_f32_e32 v126, v122, v123
	ds_read_b128 v[122:125], v1 offset:832
	;; [unrolled: 18-line block ×4, first 2 shown]
	s_waitcnt vmcnt(14)
	v_mul_f32_e32 v143, v136, v242
	v_fmac_f32_e32 v143, v137, v241
	v_mul_f32_e32 v11, v13, v67
	v_add_f32_e32 v146, v142, v143
	ds_read_b128 v[142:145], v1 offset:912
	v_add_f32_e32 v10, v14, v10
	v_fma_f32 v11, v12, v78, -v11
	v_mul_f32_e32 v7, v7, v68
	s_waitcnt vmcnt(12) lgkmcnt(1)
	v_mul_f32_e32 v147, v138, v244
	v_add_f32_e32 v10, v10, v11
	v_fma_f32 v6, v6, v75, -v7
	v_mul_f32_e32 v7, v9, v69
	v_fmac_f32_e32 v147, v139, v243
	v_add_f32_e32 v6, v10, v6
	v_fma_f32 v7, v8, v73, -v7
	v_mul_f32_e32 v3, v3, v70
	v_add_f32_e32 v146, v146, v147
	s_waitcnt vmcnt(10)
	v_mul_f32_e32 v147, v140, v246
	v_add_f32_e32 v6, v6, v7
	v_fma_f32 v2, v2, v72, -v3
	v_mul_f32_e32 v3, v5, v71
	v_fmac_f32_e32 v147, v141, v245
	v_add_f32_e32 v2, v6, v2
	v_fma_f32 v3, v4, v91, -v3
	v_add_f32_e32 v146, v146, v147
	s_waitcnt vmcnt(8) lgkmcnt(0)
	v_mul_f32_e32 v147, v142, v248
	v_add_f32_e32 v2, v2, v3
	v_mul_f32_e32 v3, v27, v90
	v_fmac_f32_e32 v147, v143, v247
	s_waitcnt vmcnt(6)
	v_mul_f32_e32 v151, v144, v250
	v_fma_f32 v3, v26, v86, -v3
	v_add_f32_e32 v150, v146, v147
	v_fmac_f32_e32 v151, v145, v249
	v_add_f32_e32 v2, v2, v3
	v_mul_f32_e32 v3, v29, v88
	ds_read_b128 v[146:149], v1 offset:928
	v_add_f32_e32 v155, v150, v151
	ds_read_b128 v[150:153], v1 offset:944
	buffer_load_dword v161, off, s[0:3], 0 offset:468
	buffer_load_dword v160, off, s[0:3], 0 offset:464
	buffer_load_dword v163, off, s[0:3], 0 offset:460
	buffer_load_dword v162, off, s[0:3], 0 offset:456
	buffer_load_dword v165, off, s[0:3], 0 offset:452
	buffer_load_dword v164, off, s[0:3], 0 offset:448
	buffer_load_dword v167, off, s[0:3], 0 offset:444
	buffer_load_dword v166, off, s[0:3], 0 offset:440
	buffer_load_dword v169, off, s[0:3], 0 offset:500
	buffer_load_dword v168, off, s[0:3], 0 offset:496
	buffer_load_dword v171, off, s[0:3], 0 offset:492
	buffer_load_dword v170, off, s[0:3], 0 offset:488
	buffer_load_dword v173, off, s[0:3], 0 offset:484
	buffer_load_dword v172, off, s[0:3], 0 offset:480
	buffer_load_dword v175, off, s[0:3], 0 offset:476
	buffer_load_dword v174, off, s[0:3], 0 offset:472
	v_fma_f32 v3, v28, v84, -v3
	v_add_f32_e32 v2, v2, v3
	v_mul_f32_e32 v3, v31, v85
	v_fma_f32 v3, v30, v81, -v3
	v_add_f32_e32 v2, v2, v3
	v_mul_f32_e32 v3, v33, v89
	;; [unrolled: 3-line block ×34, first 2 shown]
	v_fma_f32 v3, v144, v249, -v3
	v_add_f32_e32 v2, v2, v3
	s_waitcnt vmcnt(20) lgkmcnt(1)
	v_mul_f32_e32 v3, v147, v252
	v_mul_f32_e32 v157, v146, v252
	v_fma_f32 v3, v146, v251, -v3
	v_fmac_f32_e32 v157, v147, v251
	v_add_f32_e32 v154, v2, v3
	s_waitcnt vmcnt(18)
	v_mul_f32_e32 v2, v149, v254
	s_waitcnt vmcnt(9)
	v_mov_b32_e32 v18, v167
	v_add_f32_e32 v155, v155, v157
	v_mul_f32_e32 v157, v148, v254
	v_fma_f32 v156, v148, v253, -v2
	s_waitcnt lgkmcnt(0)
	v_mul_f32_e32 v2, v151, v208
	v_pk_mul_f32 v[18:19], v[152:153], v[18:19] op_sel_hi:[1,0]
	v_fmac_f32_e32 v157, v149, v253
	v_mul_f32_e32 v159, v150, v208
	v_fma_f32 v158, v150, v255, -v2
	ds_read_b128 v[2:5], v1 offset:960
	ds_read_b128 v[6:9], v1 offset:976
	;; [unrolled: 1-line block ×3, first 2 shown]
	ds_read_b64 v[14:15], v1 offset:1008
	s_waitcnt vmcnt(8)
	v_pk_fma_f32 v[20:21], v[152:153], v[166:167], v[18:19] op_sel:[0,0,1] op_sel_hi:[1,1,0] neg_lo:[0,0,1] neg_hi:[0,0,1]
	v_pk_fma_f32 v[18:19], v[152:153], v[166:167], v[18:19] op_sel:[0,0,1] op_sel_hi:[1,0,0]
	v_fmac_f32_e32 v159, v151, v255
	v_pk_add_f32 v[16:17], v[154:155], v[156:157]
	v_mov_b32_e32 v18, v165
	v_pk_add_f32 v[16:17], v[16:17], v[158:159]
	v_mov_b32_e32 v21, v19
	s_waitcnt lgkmcnt(3)
	v_pk_mul_f32 v[18:19], v[2:3], v[18:19] op_sel_hi:[1,0]
	v_pk_add_f32 v[16:17], v[16:17], v[20:21]
	v_pk_fma_f32 v[20:21], v[2:3], v[164:165], v[18:19] op_sel:[0,0,1] op_sel_hi:[1,1,0] neg_lo:[0,0,1] neg_hi:[0,0,1]
	v_pk_fma_f32 v[2:3], v[2:3], v[164:165], v[18:19] op_sel:[0,0,1] op_sel_hi:[1,0,0]
	v_mov_b32_e32 v21, v3
	v_pk_add_f32 v[2:3], v[16:17], v[20:21]
	v_mov_b32_e32 v16, v163
	v_pk_mul_f32 v[16:17], v[4:5], v[16:17] op_sel_hi:[1,0]
	v_pk_fma_f32 v[18:19], v[4:5], v[162:163], v[16:17] op_sel:[0,0,1] op_sel_hi:[1,1,0] neg_lo:[0,0,1] neg_hi:[0,0,1]
	v_pk_fma_f32 v[4:5], v[4:5], v[162:163], v[16:17] op_sel:[0,0,1] op_sel_hi:[1,0,0]
	v_mov_b32_e32 v4, v161
	v_mov_b32_e32 v19, v5
	s_waitcnt lgkmcnt(2)
	v_pk_mul_f32 v[4:5], v[6:7], v[4:5] op_sel_hi:[1,0]
	v_pk_fma_f32 v[16:17], v[6:7], v[160:161], v[4:5] op_sel:[0,0,1] op_sel_hi:[1,1,0] neg_lo:[0,0,1] neg_hi:[0,0,1]
	v_pk_fma_f32 v[4:5], v[6:7], v[160:161], v[4:5] op_sel:[0,0,1] op_sel_hi:[1,0,0]
	s_waitcnt vmcnt(1)
	v_mov_b32_e32 v4, v175
	v_mov_b32_e32 v17, v5
	v_pk_mul_f32 v[4:5], v[8:9], v[4:5] op_sel_hi:[1,0]
	s_waitcnt vmcnt(0)
	v_pk_fma_f32 v[6:7], v[8:9], v[174:175], v[4:5] op_sel:[0,0,1] op_sel_hi:[1,1,0] neg_lo:[0,0,1] neg_hi:[0,0,1]
	v_pk_fma_f32 v[4:5], v[8:9], v[174:175], v[4:5] op_sel:[0,0,1] op_sel_hi:[1,0,0]
	v_pk_add_f32 v[2:3], v[2:3], v[18:19]
	v_mov_b32_e32 v4, v173
	v_pk_add_f32 v[2:3], v[2:3], v[16:17]
	v_mov_b32_e32 v7, v5
	s_waitcnt lgkmcnt(1)
	v_pk_mul_f32 v[4:5], v[10:11], v[4:5] op_sel_hi:[1,0]
	v_pk_add_f32 v[2:3], v[2:3], v[6:7]
	v_pk_fma_f32 v[6:7], v[10:11], v[172:173], v[4:5] op_sel:[0,0,1] op_sel_hi:[1,1,0] neg_lo:[0,0,1] neg_hi:[0,0,1]
	v_pk_fma_f32 v[4:5], v[10:11], v[172:173], v[4:5] op_sel:[0,0,1] op_sel_hi:[1,0,0]
	v_mov_b32_e32 v4, v171
	v_mov_b32_e32 v7, v5
	v_pk_mul_f32 v[4:5], v[12:13], v[4:5] op_sel_hi:[1,0]
	v_pk_add_f32 v[2:3], v[2:3], v[6:7]
	v_pk_fma_f32 v[6:7], v[12:13], v[170:171], v[4:5] op_sel:[0,0,1] op_sel_hi:[1,1,0] neg_lo:[0,0,1] neg_hi:[0,0,1]
	v_pk_fma_f32 v[4:5], v[12:13], v[170:171], v[4:5] op_sel:[0,0,1] op_sel_hi:[1,0,0]
	v_mov_b32_e32 v4, v169
	v_mov_b32_e32 v7, v5
	s_waitcnt lgkmcnt(0)
	v_pk_mul_f32 v[4:5], v[14:15], v[4:5] op_sel_hi:[1,0]
	v_pk_add_f32 v[2:3], v[2:3], v[6:7]
	v_pk_fma_f32 v[6:7], v[14:15], v[168:169], v[4:5] op_sel:[0,0,1] op_sel_hi:[1,1,0] neg_lo:[0,0,1] neg_hi:[0,0,1]
	v_pk_fma_f32 v[4:5], v[14:15], v[168:169], v[4:5] op_sel:[0,0,1] op_sel_hi:[1,0,0]
	v_mov_b32_e32 v7, v5
	v_pk_add_f32 v[2:3], v[2:3], v[6:7]
	v_pk_add_f32 v[2:3], v[58:59], v[2:3] neg_lo:[0,1] neg_hi:[0,1]
	buffer_store_dword v3, off, s[0:3], 0 offset:28
	buffer_store_dword v2, off, s[0:3], 0 offset:24
	s_and_saveexec_b64 s[4:5], vcc
	s_cbranch_execz .LBB62_387
; %bb.386:
	buffer_load_dword v2, off, s[0:3], 0 offset:16
	buffer_load_dword v3, off, s[0:3], 0 offset:20
	s_waitcnt vmcnt(0)
	ds_write_b64 v217, v[2:3]
	buffer_store_dword v1, off, s[0:3], 0 offset:16
	buffer_store_dword v1, off, s[0:3], 0 offset:20
.LBB62_387:
	s_or_b64 exec, exec, s[4:5]
	s_waitcnt lgkmcnt(0)
	; wave barrier
	s_waitcnt lgkmcnt(0)
	buffer_load_dword v65, off, s[0:3], 0 offset:28
	buffer_load_dword v64, off, s[0:3], 0 offset:36
	;; [unrolled: 1-line block ×40, first 2 shown]
	ds_read2_b64 v[26:29], v1 offset0:67 offset1:68
	ds_read2_b64 v[22:25], v1 offset0:69 offset1:70
	ds_read2_b64 v[18:21], v1 offset0:71 offset1:72
	ds_read2_b64 v[14:17], v1 offset0:73 offset1:74
	ds_read2_b64 v[10:13], v1 offset0:75 offset1:76
	ds_read2_b64 v[6:9], v1 offset0:77 offset1:78
	ds_read2_b64 v[2:5], v1 offset0:79 offset1:80
	buffer_load_dword v98, off, s[0:3], 0 offset:176
	buffer_load_dword v99, off, s[0:3], 0 offset:180
	;; [unrolled: 1-line block ×12, first 2 shown]
	v_cmp_lt_u32_e32 vcc, 1, v0
	s_waitcnt vmcnt(51) lgkmcnt(6)
	v_mul_f32_e32 v30, v26, v65
	s_waitcnt vmcnt(50)
	v_mul_f32_e32 v31, v28, v64
	s_waitcnt vmcnt(49) lgkmcnt(5)
	v_mul_f32_e32 v33, v24, v63
	s_waitcnt vmcnt(48) lgkmcnt(4)
	v_mul_f32_e32 v34, v18, v62
	s_waitcnt vmcnt(47)
	v_mul_f32_e32 v35, v20, v60
	s_waitcnt vmcnt(46)
	v_mul_f32_e32 v32, v22, v66
	s_waitcnt vmcnt(45) lgkmcnt(3)
	v_mul_f32_e32 v36, v14, v61
	s_waitcnt vmcnt(44)
	v_mul_f32_e32 v37, v16, v67
	s_waitcnt vmcnt(43) lgkmcnt(2)
	;; [unrolled: 4-line block ×3, first 2 shown]
	v_mul_f32_e32 v40, v6, v70
	s_waitcnt vmcnt(40)
	v_mul_f32_e32 v41, v8, v71
	s_waitcnt vmcnt(39)
	v_fmac_f32_e32 v32, v23, v77
	s_waitcnt vmcnt(38)
	v_fmac_f32_e32 v31, v29, v80
	;; [unrolled: 2-line block ×3, first 2 shown]
	v_add_f32_e32 v30, 0, v30
	v_add_f32_e32 v30, v30, v31
	v_add_f32_e32 v30, v30, v32
	s_waitcnt vmcnt(33)
	v_fmac_f32_e32 v33, v25, v82
	v_fmac_f32_e32 v34, v19, v79
	v_add_f32_e32 v30, v30, v33
	v_fmac_f32_e32 v35, v21, v76
	v_add_f32_e32 v30, v30, v34
	;; [unrolled: 2-line block ×3, first 2 shown]
	s_waitcnt vmcnt(29)
	v_fmac_f32_e32 v37, v17, v78
	v_add_f32_e32 v30, v30, v36
	v_fmac_f32_e32 v38, v11, v75
	v_add_f32_e32 v30, v30, v37
	;; [unrolled: 2-line block ×4, first 2 shown]
	v_add_f32_e32 v30, v30, v40
	s_waitcnt vmcnt(25)
	v_fmac_f32_e32 v41, v9, v89
	v_add_f32_e32 v34, v30, v41
	ds_read2_b64 v[30:33], v1 offset0:81 offset1:82
	s_waitcnt vmcnt(24) lgkmcnt(1)
	v_mul_f32_e32 v35, v2, v88
	buffer_load_dword v177, off, s[0:3], 0 offset:224
	buffer_load_dword v178, off, s[0:3], 0 offset:228
	v_fmac_f32_e32 v35, v3, v86
	v_add_f32_e32 v34, v34, v35
	s_waitcnt vmcnt(25)
	v_mul_f32_e32 v35, v4, v87
	buffer_load_dword v179, off, s[0:3], 0 offset:232
	buffer_load_dword v180, off, s[0:3], 0 offset:236
	v_fmac_f32_e32 v35, v5, v84
	v_add_f32_e32 v34, v34, v35
	s_waitcnt vmcnt(26) lgkmcnt(0)
	v_mul_f32_e32 v35, v30, v85
	v_fmac_f32_e32 v35, v31, v81
	v_add_f32_e32 v38, v34, v35
	ds_read2_b64 v[34:37], v1 offset0:83 offset1:84
	buffer_load_dword v181, off, s[0:3], 0 offset:240
	buffer_load_dword v182, off, s[0:3], 0 offset:244
	s_waitcnt vmcnt(21)
	v_mul_f32_e32 v39, v32, v97
	s_waitcnt vmcnt(20)
	v_fmac_f32_e32 v39, v33, v96
	v_add_f32_e32 v42, v38, v39
	ds_read2_b64 v[38:41], v1 offset0:85 offset1:86
	buffer_load_dword v183, off, s[0:3], 0 offset:248
	buffer_load_dword v184, off, s[0:3], 0 offset:252
	s_waitcnt lgkmcnt(1)
	v_mul_f32_e32 v43, v34, v91
	buffer_load_dword v185, off, s[0:3], 0 offset:256
	buffer_load_dword v186, off, s[0:3], 0 offset:260
	v_fmac_f32_e32 v43, v35, v90
	v_add_f32_e32 v42, v42, v43
	v_mul_f32_e32 v43, v36, v93
	buffer_load_dword v187, off, s[0:3], 0 offset:264
	buffer_load_dword v188, off, s[0:3], 0 offset:268
	v_fmac_f32_e32 v43, v37, v92
	v_add_f32_e32 v42, v42, v43
	s_waitcnt lgkmcnt(0)
	v_mul_f32_e32 v43, v38, v95
	v_fmac_f32_e32 v43, v39, v94
	v_add_f32_e32 v46, v42, v43
	ds_read2_b64 v[42:45], v1 offset0:87 offset1:88
	buffer_load_dword v189, off, s[0:3], 0 offset:272
	buffer_load_dword v190, off, s[0:3], 0 offset:276
	s_waitcnt vmcnt(24)
	v_mul_f32_e32 v47, v40, v99
	v_fmac_f32_e32 v47, v41, v98
	v_add_f32_e32 v50, v46, v47
	ds_read2_b64 v[46:49], v1 offset0:89 offset1:90
	buffer_load_dword v191, off, s[0:3], 0 offset:280
	buffer_load_dword v192, off, s[0:3], 0 offset:284
	;; [unrolled: 1-line block ×12, first 2 shown]
	s_waitcnt vmcnt(34) lgkmcnt(1)
	v_mul_f32_e32 v51, v42, v101
	v_fmac_f32_e32 v51, v43, v100
	buffer_load_dword v203, off, s[0:3], 0 offset:328
	buffer_load_dword v204, off, s[0:3], 0 offset:332
	v_add_f32_e32 v50, v50, v51
	s_waitcnt vmcnt(34)
	v_mul_f32_e32 v51, v44, v103
	v_fmac_f32_e32 v51, v45, v102
	v_add_f32_e32 v50, v50, v51
	s_waitcnt vmcnt(32) lgkmcnt(0)
	v_mul_f32_e32 v51, v46, v105
	v_fmac_f32_e32 v51, v47, v104
	buffer_load_dword v205, off, s[0:3], 0 offset:336
	buffer_load_dword v206, off, s[0:3], 0 offset:340
	v_add_f32_e32 v50, v50, v51
	s_waitcnt vmcnt(32)
	v_mul_f32_e32 v51, v48, v156
	v_fmac_f32_e32 v51, v49, v154
	v_add_f32_e32 v106, v50, v51
	ds_read2_b64 v[50:53], v1 offset0:91 offset1:92
	buffer_load_dword v207, off, s[0:3], 0 offset:344
	buffer_load_dword v208, off, s[0:3], 0 offset:348
	ds_read2_b64 v[54:57], v1 offset0:93 offset1:94
	buffer_load_dword v209, off, s[0:3], 0 offset:352
	buffer_load_dword v236, off, s[0:3], 0 offset:356
	;; [unrolled: 1-line block ×14, first 2 shown]
	s_waitcnt vmcnt(46) lgkmcnt(1)
	v_mul_f32_e32 v107, v50, v176
	v_fmac_f32_e32 v107, v51, v164
	v_add_f32_e32 v106, v106, v107
	buffer_load_dword v249, off, s[0:3], 0 offset:408
	buffer_load_dword v250, off, s[0:3], 0 offset:412
	v_mul_f32_e32 v27, v27, v65
	v_fma_f32 v26, v26, v83, -v27
	v_mul_f32_e32 v27, v29, v64
	v_add_f32_e32 v26, 0, v26
	v_fma_f32 v27, v28, v80, -v27
	v_mul_f32_e32 v23, v23, v66
	v_add_f32_e32 v26, v26, v27
	;; [unrolled: 3-line block ×3, first 2 shown]
	v_fma_f32 v23, v24, v82, -v23
	v_mul_f32_e32 v19, v19, v62
	s_waitcnt vmcnt(46)
	v_mul_f32_e32 v107, v52, v178
	v_fmac_f32_e32 v107, v53, v177
	v_add_f32_e32 v106, v106, v107
	v_add_f32_e32 v22, v22, v23
	s_waitcnt vmcnt(44) lgkmcnt(0)
	v_mul_f32_e32 v107, v54, v180
	v_fmac_f32_e32 v107, v55, v179
	v_add_f32_e32 v110, v106, v107
	ds_read2_b64 v[106:109], v1 offset0:95 offset1:96
	buffer_load_dword v251, off, s[0:3], 0 offset:416
	buffer_load_dword v252, off, s[0:3], 0 offset:420
	;; [unrolled: 1-line block ×4, first 2 shown]
	v_fma_f32 v18, v18, v79, -v19
	s_waitcnt vmcnt(46)
	v_mul_f32_e32 v111, v56, v182
	v_fmac_f32_e32 v111, v57, v181
	v_add_f32_e32 v114, v110, v111
	ds_read2_b64 v[110:113], v1 offset0:97 offset1:98
	buffer_load_dword v255, off, s[0:3], 0 offset:432
	buffer_load_dword v210, off, s[0:3], 0 offset:436
	s_waitcnt vmcnt(46) lgkmcnt(1)
	v_mul_f32_e32 v115, v106, v184
	v_fmac_f32_e32 v115, v107, v183
	v_add_f32_e32 v114, v114, v115
	s_waitcnt vmcnt(44)
	v_mul_f32_e32 v115, v108, v186
	v_fmac_f32_e32 v115, v109, v185
	v_add_f32_e32 v114, v114, v115
	s_waitcnt vmcnt(42) lgkmcnt(0)
	v_mul_f32_e32 v115, v110, v188
	v_fmac_f32_e32 v115, v111, v187
	v_add_f32_e32 v118, v114, v115
	ds_read2_b64 v[114:117], v1 offset0:99 offset1:100
	v_mul_f32_e32 v19, v21, v60
	v_add_f32_e32 v18, v22, v18
	v_fma_f32 v19, v20, v76, -v19
	s_waitcnt vmcnt(40)
	v_mul_f32_e32 v119, v112, v190
	v_fmac_f32_e32 v119, v113, v189
	v_add_f32_e32 v122, v118, v119
	ds_read2_b64 v[118:121], v1 offset0:101 offset1:102
	v_mul_f32_e32 v15, v15, v61
	s_waitcnt vmcnt(38) lgkmcnt(1)
	v_mul_f32_e32 v123, v114, v192
	v_fmac_f32_e32 v123, v115, v191
	v_add_f32_e32 v122, v122, v123
	s_waitcnt vmcnt(36)
	v_mul_f32_e32 v123, v116, v194
	v_fmac_f32_e32 v123, v117, v193
	v_add_f32_e32 v122, v122, v123
	s_waitcnt vmcnt(34) lgkmcnt(0)
	v_mul_f32_e32 v123, v118, v196
	v_fmac_f32_e32 v123, v119, v195
	v_add_f32_e32 v126, v122, v123
	ds_read2_b64 v[122:125], v1 offset0:103 offset1:104
	s_waitcnt vmcnt(32)
	v_mul_f32_e32 v127, v120, v198
	v_fmac_f32_e32 v127, v121, v197
	v_add_f32_e32 v130, v126, v127
	ds_read2_b64 v[126:129], v1 offset0:105 offset1:106
	s_waitcnt vmcnt(30) lgkmcnt(1)
	v_mul_f32_e32 v131, v122, v200
	v_fmac_f32_e32 v131, v123, v199
	v_add_f32_e32 v130, v130, v131
	s_waitcnt vmcnt(28)
	v_mul_f32_e32 v131, v124, v202
	v_fmac_f32_e32 v131, v125, v201
	v_add_f32_e32 v130, v130, v131
	s_waitcnt vmcnt(26) lgkmcnt(0)
	v_mul_f32_e32 v131, v126, v204
	v_fmac_f32_e32 v131, v127, v203
	v_add_f32_e32 v134, v130, v131
	ds_read2_b64 v[130:133], v1 offset0:107 offset1:108
	s_waitcnt vmcnt(24)
	v_mul_f32_e32 v135, v128, v206
	v_fmac_f32_e32 v135, v129, v205
	v_add_f32_e32 v138, v134, v135
	ds_read2_b64 v[134:137], v1 offset0:109 offset1:110
	;; [unrolled: 18-line block ×3, first 2 shown]
	s_waitcnt vmcnt(14) lgkmcnt(1)
	v_mul_f32_e32 v147, v138, v242
	v_fmac_f32_e32 v147, v139, v241
	v_add_f32_e32 v146, v146, v147
	s_waitcnt vmcnt(12)
	v_mul_f32_e32 v147, v140, v244
	v_fmac_f32_e32 v147, v141, v243
	v_add_f32_e32 v18, v18, v19
	v_fma_f32 v14, v14, v74, -v15
	v_mul_f32_e32 v15, v17, v67
	v_add_f32_e32 v146, v146, v147
	s_waitcnt vmcnt(10) lgkmcnt(0)
	v_mul_f32_e32 v147, v142, v246
	v_add_f32_e32 v14, v18, v14
	v_fma_f32 v15, v16, v78, -v15
	v_mul_f32_e32 v11, v11, v68
	v_fmac_f32_e32 v147, v143, v245
	s_waitcnt vmcnt(8)
	v_mul_f32_e32 v151, v144, v248
	v_add_f32_e32 v14, v14, v15
	v_fma_f32 v10, v10, v75, -v11
	v_mul_f32_e32 v11, v13, v69
	v_add_f32_e32 v150, v146, v147
	v_fmac_f32_e32 v151, v145, v247
	v_add_f32_e32 v10, v14, v10
	v_fma_f32 v11, v12, v73, -v11
	v_mul_f32_e32 v7, v7, v70
	ds_read2_b64 v[146:149], v1 offset0:115 offset1:116
	v_add_f32_e32 v155, v150, v151
	ds_read2_b64 v[150:153], v1 offset0:117 offset1:118
	buffer_load_dword v159, off, s[0:3], 0 offset:460
	buffer_load_dword v158, off, s[0:3], 0 offset:456
	;; [unrolled: 1-line block ×6, first 2 shown]
	v_add_f32_e32 v10, v10, v11
	v_fma_f32 v6, v6, v72, -v7
	v_mul_f32_e32 v7, v9, v71
	v_add_f32_e32 v6, v10, v6
	v_fma_f32 v7, v8, v89, -v7
	v_mul_f32_e32 v3, v3, v88
	;; [unrolled: 3-line block ×3, first 2 shown]
	v_add_f32_e32 v2, v6, v2
	v_fma_f32 v3, v4, v84, -v3
	v_add_f32_e32 v2, v2, v3
	v_mul_f32_e32 v3, v31, v85
	v_fma_f32 v3, v30, v81, -v3
	v_add_f32_e32 v2, v2, v3
	v_mul_f32_e32 v3, v33, v97
	;; [unrolled: 3-line block ×4, first 2 shown]
	v_fma_f32 v3, v36, v92, -v3
	buffer_load_dword v167, off, s[0:3], 0 offset:492
	buffer_load_dword v166, off, s[0:3], 0 offset:488
	;; [unrolled: 1-line block ×10, first 2 shown]
	v_add_f32_e32 v2, v2, v3
	v_mul_f32_e32 v3, v39, v95
	v_fma_f32 v3, v38, v94, -v3
	v_add_f32_e32 v2, v2, v3
	v_mul_f32_e32 v3, v41, v99
	v_fma_f32 v3, v40, v98, -v3
	;; [unrolled: 3-line block ×30, first 2 shown]
	v_add_f32_e32 v2, v2, v3
	s_waitcnt vmcnt(22) lgkmcnt(1)
	v_mul_f32_e32 v3, v147, v250
	v_fma_f32 v3, v146, v249, -v3
	v_add_f32_e32 v2, v2, v3
	s_waitcnt vmcnt(20)
	v_mul_f32_e32 v3, v149, v252
	v_mul_f32_e32 v157, v146, v250
	v_fma_f32 v3, v148, v251, -v3
	v_fmac_f32_e32 v157, v147, v249
	v_add_f32_e32 v154, v2, v3
	s_waitcnt vmcnt(18) lgkmcnt(0)
	v_mul_f32_e32 v2, v151, v254
	v_add_f32_e32 v155, v155, v157
	v_mul_f32_e32 v157, v148, v252
	v_fma_f32 v156, v150, v253, -v2
	s_waitcnt vmcnt(16)
	v_mul_f32_e32 v2, v153, v210
	v_fmac_f32_e32 v157, v149, v251
	v_fma_f32 v164, v152, v255, -v2
	ds_read2_b64 v[2:5], v1 offset0:119 offset1:120
	ds_read2_b64 v[6:9], v1 offset0:121 offset1:122
	ds_read2_b64 v[10:13], v1 offset0:123 offset1:124
	ds_read2_b64 v[14:17], v1 offset0:125 offset1:126
	v_add_f32_e32 v155, v155, v157
	v_mul_f32_e32 v157, v150, v254
	s_waitcnt vmcnt(11)
	v_mov_b32_e32 v20, v163
	v_fmac_f32_e32 v157, v151, v253
	v_mul_f32_e32 v165, v152, v210
	s_waitcnt lgkmcnt(3)
	v_pk_mul_f32 v[20:21], v[2:3], v[20:21] op_sel_hi:[1,0]
	v_fmac_f32_e32 v165, v153, v255
	v_pk_add_f32 v[18:19], v[154:155], v[156:157]
	s_waitcnt vmcnt(10)
	v_pk_fma_f32 v[22:23], v[2:3], v[162:163], v[20:21] op_sel:[0,0,1] op_sel_hi:[1,1,0] neg_lo:[0,0,1] neg_hi:[0,0,1]
	v_pk_fma_f32 v[2:3], v[2:3], v[162:163], v[20:21] op_sel:[0,0,1] op_sel_hi:[1,0,0]
	v_pk_add_f32 v[18:19], v[18:19], v[164:165]
	v_mov_b32_e32 v23, v3
	v_pk_add_f32 v[2:3], v[18:19], v[22:23]
	v_mov_b32_e32 v18, v161
	v_pk_mul_f32 v[18:19], v[4:5], v[18:19] op_sel_hi:[1,0]
	v_pk_fma_f32 v[20:21], v[4:5], v[160:161], v[18:19] op_sel:[0,0,1] op_sel_hi:[1,1,0] neg_lo:[0,0,1] neg_hi:[0,0,1]
	v_pk_fma_f32 v[4:5], v[4:5], v[160:161], v[18:19] op_sel:[0,0,1] op_sel_hi:[1,0,0]
	v_mov_b32_e32 v4, v159
	v_mov_b32_e32 v21, v5
	s_waitcnt lgkmcnt(2)
	v_pk_mul_f32 v[4:5], v[6:7], v[4:5] op_sel_hi:[1,0]
	v_pk_fma_f32 v[18:19], v[6:7], v[158:159], v[4:5] op_sel:[0,0,1] op_sel_hi:[1,1,0] neg_lo:[0,0,1] neg_hi:[0,0,1]
	v_pk_fma_f32 v[4:5], v[6:7], v[158:159], v[4:5] op_sel:[0,0,1] op_sel_hi:[1,0,0]
	s_waitcnt vmcnt(3)
	v_mov_b32_e32 v4, v173
	v_mov_b32_e32 v19, v5
	v_pk_mul_f32 v[4:5], v[8:9], v[4:5] op_sel_hi:[1,0]
	s_waitcnt vmcnt(2)
	v_pk_fma_f32 v[6:7], v[8:9], v[172:173], v[4:5] op_sel:[0,0,1] op_sel_hi:[1,1,0] neg_lo:[0,0,1] neg_hi:[0,0,1]
	v_pk_fma_f32 v[4:5], v[8:9], v[172:173], v[4:5] op_sel:[0,0,1] op_sel_hi:[1,0,0]
	v_pk_add_f32 v[2:3], v[2:3], v[20:21]
	v_mov_b32_e32 v4, v171
	v_pk_add_f32 v[2:3], v[2:3], v[18:19]
	v_mov_b32_e32 v7, v5
	s_waitcnt lgkmcnt(1)
	v_pk_mul_f32 v[4:5], v[10:11], v[4:5] op_sel_hi:[1,0]
	v_pk_add_f32 v[2:3], v[2:3], v[6:7]
	v_pk_fma_f32 v[6:7], v[10:11], v[170:171], v[4:5] op_sel:[0,0,1] op_sel_hi:[1,1,0] neg_lo:[0,0,1] neg_hi:[0,0,1]
	v_pk_fma_f32 v[4:5], v[10:11], v[170:171], v[4:5] op_sel:[0,0,1] op_sel_hi:[1,0,0]
	v_mov_b32_e32 v4, v169
	v_mov_b32_e32 v7, v5
	v_pk_mul_f32 v[4:5], v[12:13], v[4:5] op_sel_hi:[1,0]
	v_pk_add_f32 v[2:3], v[2:3], v[6:7]
	v_pk_fma_f32 v[6:7], v[12:13], v[168:169], v[4:5] op_sel:[0,0,1] op_sel_hi:[1,1,0] neg_lo:[0,0,1] neg_hi:[0,0,1]
	v_pk_fma_f32 v[4:5], v[12:13], v[168:169], v[4:5] op_sel:[0,0,1] op_sel_hi:[1,0,0]
	v_mov_b32_e32 v4, v167
	v_mov_b32_e32 v7, v5
	s_waitcnt lgkmcnt(0)
	v_pk_mul_f32 v[4:5], v[14:15], v[4:5] op_sel_hi:[1,0]
	v_pk_add_f32 v[2:3], v[2:3], v[6:7]
	v_pk_fma_f32 v[6:7], v[14:15], v[166:167], v[4:5] op_sel:[0,0,1] op_sel_hi:[1,1,0] neg_lo:[0,0,1] neg_hi:[0,0,1]
	v_pk_fma_f32 v[4:5], v[14:15], v[166:167], v[4:5] op_sel:[0,0,1] op_sel_hi:[1,0,0]
	s_waitcnt vmcnt(1)
	v_mov_b32_e32 v4, v175
	v_mov_b32_e32 v7, v5
	v_pk_mul_f32 v[4:5], v[16:17], v[4:5] op_sel_hi:[1,0]
	v_pk_add_f32 v[2:3], v[2:3], v[6:7]
	s_waitcnt vmcnt(0)
	v_pk_fma_f32 v[6:7], v[16:17], v[174:175], v[4:5] op_sel:[0,0,1] op_sel_hi:[1,1,0] neg_lo:[0,0,1] neg_hi:[0,0,1]
	v_pk_fma_f32 v[4:5], v[16:17], v[174:175], v[4:5] op_sel:[0,0,1] op_sel_hi:[1,0,0]
	v_mov_b32_e32 v7, v5
	v_pk_add_f32 v[2:3], v[2:3], v[6:7]
	v_pk_add_f32 v[2:3], v[58:59], v[2:3] neg_lo:[0,1] neg_hi:[0,1]
	buffer_store_dword v3, off, s[0:3], 0 offset:20
	buffer_store_dword v2, off, s[0:3], 0 offset:16
	s_and_saveexec_b64 s[4:5], vcc
	s_cbranch_execz .LBB62_389
; %bb.388:
	buffer_load_dword v2, off, s[0:3], 0 offset:8
	buffer_load_dword v3, off, s[0:3], 0 offset:12
	v_mov_b32_e32 v1, 0
	buffer_store_dword v1, off, s[0:3], 0 offset:8
	buffer_store_dword v1, off, s[0:3], 0 offset:12
	s_waitcnt vmcnt(2)
	ds_write_b64 v217, v[2:3]
.LBB62_389:
	s_or_b64 exec, exec, s[4:5]
	v_mov_b32_e32 v114, 0
	s_waitcnt lgkmcnt(0)
	; wave barrier
	s_waitcnt lgkmcnt(0)
	ds_read_b128 v[2:5], v114 offset:528
	buffer_load_dword v236, off, s[0:3], 0 offset:8
	buffer_load_dword v237, off, s[0:3], 0 offset:12
	;; [unrolled: 1-line block ×16, first 2 shown]
	v_cmp_ne_u32_e32 vcc, 0, v0
	s_waitcnt vmcnt(12) lgkmcnt(0)
	v_mul_f32_e32 v6, v2, v244
	v_fmac_f32_e32 v6, v3, v115
	s_waitcnt vmcnt(10)
	v_mul_f32_e32 v7, v4, v116
	v_add_f32_e32 v6, 0, v6
	v_fmac_f32_e32 v7, v5, v238
	v_add_f32_e32 v10, v6, v7
	ds_read_b128 v[6:9], v114 offset:544
	v_mul_f32_e32 v3, v3, v244
	v_fma_f32 v2, v2, v115, -v3
	v_mul_f32_e32 v3, v5, v116
	v_add_f32_e32 v2, 0, v2
	s_waitcnt vmcnt(8) lgkmcnt(0)
	v_mul_f32_e32 v11, v6, v118
	v_fmac_f32_e32 v11, v7, v240
	v_add_f32_e32 v10, v10, v11
	s_waitcnt vmcnt(6)
	v_mul_f32_e32 v11, v8, v120
	v_fmac_f32_e32 v11, v9, v1
	v_add_f32_e32 v14, v10, v11
	ds_read_b128 v[10:13], v114 offset:560
	v_fma_f32 v3, v4, v238, -v3
	v_add_f32_e32 v2, v2, v3
	v_mul_f32_e32 v3, v7, v118
	v_fma_f32 v3, v6, v240, -v3
	s_waitcnt vmcnt(4) lgkmcnt(0)
	v_mul_f32_e32 v15, v10, v122
	v_fmac_f32_e32 v15, v11, v117
	v_add_f32_e32 v14, v14, v15
	s_waitcnt vmcnt(2)
	v_mul_f32_e32 v15, v12, v123
	v_fmac_f32_e32 v15, v13, v119
	v_add_f32_e32 v18, v14, v15
	ds_read_b128 v[14:17], v114 offset:576
	buffer_load_dword v125, off, s[0:3], 0 offset:72
	buffer_load_dword v126, off, s[0:3], 0 offset:76
	v_add_f32_e32 v2, v2, v3
	v_mul_f32_e32 v3, v9, v120
	v_fma_f32 v1, v8, v1, -v3
	s_waitcnt vmcnt(2) lgkmcnt(0)
	v_mul_f32_e32 v19, v14, v124
	v_fmac_f32_e32 v19, v15, v121
	v_add_f32_e32 v18, v18, v19
	v_add_f32_e32 v1, v2, v1
	v_mul_f32_e32 v2, v11, v122
	v_fma_f32 v2, v10, v117, -v2
	v_add_f32_e32 v1, v1, v2
	v_mul_f32_e32 v2, v13, v123
	v_fma_f32 v2, v12, v119, -v2
	;; [unrolled: 3-line block ×3, first 2 shown]
	v_add_f32_e32 v1, v1, v2
	s_waitcnt vmcnt(0)
	v_mul_f32_e32 v19, v16, v126
	v_fmac_f32_e32 v19, v17, v125
	v_add_f32_e32 v22, v18, v19
	ds_read_b128 v[18:21], v114 offset:592
	buffer_load_dword v127, off, s[0:3], 0 offset:80
	buffer_load_dword v128, off, s[0:3], 0 offset:84
	;; [unrolled: 1-line block ×4, first 2 shown]
	v_mul_f32_e32 v2, v17, v126
	v_fma_f32 v2, v16, v125, -v2
	v_add_f32_e32 v1, v1, v2
	s_waitcnt vmcnt(2) lgkmcnt(0)
	v_mul_f32_e32 v23, v18, v128
	v_fmac_f32_e32 v23, v19, v127
	v_add_f32_e32 v22, v22, v23
	s_waitcnt vmcnt(0)
	v_mul_f32_e32 v23, v20, v130
	v_fmac_f32_e32 v23, v21, v129
	v_add_f32_e32 v26, v22, v23
	ds_read_b128 v[22:25], v114 offset:608
	buffer_load_dword v131, off, s[0:3], 0 offset:96
	buffer_load_dword v132, off, s[0:3], 0 offset:100
	buffer_load_dword v133, off, s[0:3], 0 offset:104
	buffer_load_dword v134, off, s[0:3], 0 offset:108
	v_mul_f32_e32 v2, v19, v128
	v_fma_f32 v2, v18, v127, -v2
	v_add_f32_e32 v1, v1, v2
	v_mul_f32_e32 v2, v21, v130
	v_fma_f32 v2, v20, v129, -v2
	v_add_f32_e32 v1, v1, v2
	s_waitcnt vmcnt(2) lgkmcnt(0)
	v_mul_f32_e32 v27, v22, v132
	v_fmac_f32_e32 v27, v23, v131
	v_add_f32_e32 v26, v26, v27
	s_waitcnt vmcnt(0)
	v_mul_f32_e32 v27, v24, v134
	v_fmac_f32_e32 v27, v25, v133
	v_add_f32_e32 v30, v26, v27
	ds_read_b128 v[26:29], v114 offset:624
	buffer_load_dword v135, off, s[0:3], 0 offset:112
	buffer_load_dword v136, off, s[0:3], 0 offset:116
	buffer_load_dword v137, off, s[0:3], 0 offset:120
	buffer_load_dword v138, off, s[0:3], 0 offset:124
	v_mul_f32_e32 v2, v23, v132
	v_fma_f32 v2, v22, v131, -v2
	v_add_f32_e32 v1, v1, v2
	;; [unrolled: 19-line block ×7, first 2 shown]
	v_mul_f32_e32 v2, v45, v154
	v_fma_f32 v2, v44, v153, -v2
	v_add_f32_e32 v1, v1, v2
	s_waitcnt vmcnt(2) lgkmcnt(0)
	v_mul_f32_e32 v51, v46, v156
	v_fmac_f32_e32 v51, v47, v155
	v_add_f32_e32 v50, v50, v51
	s_waitcnt vmcnt(0)
	v_mul_f32_e32 v51, v48, v158
	v_fmac_f32_e32 v51, v49, v157
	v_add_f32_e32 v54, v50, v51
	ds_read_b128 v[50:53], v114 offset:720
	buffer_load_dword v159, off, s[0:3], 0 offset:208
	buffer_load_dword v160, off, s[0:3], 0 offset:212
	buffer_load_dword v161, off, s[0:3], 0 offset:216
	buffer_load_dword v162, off, s[0:3], 0 offset:220
	ds_read_b128 v[58:61], v114 offset:736
	buffer_load_dword v163, off, s[0:3], 0 offset:224
	buffer_load_dword v164, off, s[0:3], 0 offset:228
	buffer_load_dword v165, off, s[0:3], 0 offset:232
	buffer_load_dword v166, off, s[0:3], 0 offset:236
	;; [unrolled: 5-line block ×14, first 2 shown]
	v_mul_f32_e32 v2, v47, v156
	v_fma_f32 v2, v46, v155, -v2
	v_add_f32_e32 v1, v1, v2
	v_mul_f32_e32 v2, v49, v158
	v_fma_f32 v2, v48, v157, -v2
	v_add_f32_e32 v1, v1, v2
	s_waitcnt vmcnt(54) lgkmcnt(13)
	v_mul_f32_e32 v55, v50, v160
	v_fmac_f32_e32 v55, v51, v159
	v_add_f32_e32 v54, v54, v55
	s_waitcnt vmcnt(52)
	v_mul_f32_e32 v55, v52, v162
	v_fmac_f32_e32 v55, v53, v161
	v_add_f32_e32 v54, v54, v55
	s_waitcnt vmcnt(50) lgkmcnt(12)
	v_mul_f32_e32 v55, v58, v164
	v_fmac_f32_e32 v55, v59, v163
	v_add_f32_e32 v54, v54, v55
	s_waitcnt vmcnt(48)
	v_mul_f32_e32 v55, v60, v166
	v_fmac_f32_e32 v55, v61, v165
	v_add_f32_e32 v54, v54, v55
	s_waitcnt vmcnt(46) lgkmcnt(11)
	v_mul_f32_e32 v55, v62, v168
	v_fmac_f32_e32 v55, v63, v167
	v_add_f32_e32 v54, v54, v55
	s_waitcnt vmcnt(44)
	v_mul_f32_e32 v55, v64, v170
	v_fmac_f32_e32 v55, v65, v169
	v_add_f32_e32 v54, v54, v55
	s_waitcnt vmcnt(42) lgkmcnt(10)
	v_mul_f32_e32 v55, v66, v172
	v_fmac_f32_e32 v55, v67, v171
	v_add_f32_e32 v54, v54, v55
	s_waitcnt vmcnt(40)
	v_mul_f32_e32 v55, v68, v174
	v_fmac_f32_e32 v55, v69, v173
	v_add_f32_e32 v54, v54, v55
	s_waitcnt vmcnt(38) lgkmcnt(9)
	v_mul_f32_e32 v55, v70, v176
	v_fmac_f32_e32 v55, v71, v175
	v_add_f32_e32 v54, v54, v55
	s_waitcnt vmcnt(36)
	v_mul_f32_e32 v55, v72, v178
	v_fmac_f32_e32 v55, v73, v177
	v_add_f32_e32 v54, v54, v55
	s_waitcnt vmcnt(34) lgkmcnt(8)
	v_mul_f32_e32 v55, v74, v180
	v_fmac_f32_e32 v55, v75, v179
	v_add_f32_e32 v54, v54, v55
	s_waitcnt vmcnt(32)
	v_mul_f32_e32 v55, v76, v182
	v_fmac_f32_e32 v55, v77, v181
	v_add_f32_e32 v54, v54, v55
	s_waitcnt vmcnt(30) lgkmcnt(7)
	v_mul_f32_e32 v55, v78, v184
	v_fmac_f32_e32 v55, v79, v183
	v_add_f32_e32 v54, v54, v55
	s_waitcnt vmcnt(28)
	v_mul_f32_e32 v55, v80, v186
	v_fmac_f32_e32 v55, v81, v185
	v_add_f32_e32 v54, v54, v55
	s_waitcnt vmcnt(26) lgkmcnt(6)
	v_mul_f32_e32 v55, v82, v188
	v_fmac_f32_e32 v55, v83, v187
	v_add_f32_e32 v54, v54, v55
	s_waitcnt vmcnt(24)
	v_mul_f32_e32 v55, v84, v190
	v_fmac_f32_e32 v55, v85, v189
	v_add_f32_e32 v54, v54, v55
	s_waitcnt vmcnt(22) lgkmcnt(5)
	v_mul_f32_e32 v55, v86, v192
	v_fmac_f32_e32 v55, v87, v191
	v_add_f32_e32 v54, v54, v55
	s_waitcnt vmcnt(20)
	v_mul_f32_e32 v55, v88, v194
	v_fmac_f32_e32 v55, v89, v193
	v_add_f32_e32 v54, v54, v55
	s_waitcnt vmcnt(18) lgkmcnt(4)
	v_mul_f32_e32 v55, v90, v196
	v_fmac_f32_e32 v55, v91, v195
	v_add_f32_e32 v54, v54, v55
	s_waitcnt vmcnt(16)
	v_mul_f32_e32 v55, v92, v198
	v_fmac_f32_e32 v55, v93, v197
	v_add_f32_e32 v54, v54, v55
	s_waitcnt vmcnt(14) lgkmcnt(3)
	v_mul_f32_e32 v55, v94, v200
	v_fmac_f32_e32 v55, v95, v199
	v_add_f32_e32 v54, v54, v55
	s_waitcnt vmcnt(12)
	v_mul_f32_e32 v55, v96, v202
	v_fmac_f32_e32 v55, v97, v201
	v_add_f32_e32 v54, v54, v55
	s_waitcnt vmcnt(10) lgkmcnt(2)
	v_mul_f32_e32 v55, v98, v204
	v_fmac_f32_e32 v55, v99, v203
	v_add_f32_e32 v54, v54, v55
	s_waitcnt vmcnt(8)
	v_mul_f32_e32 v55, v100, v206
	v_fmac_f32_e32 v55, v101, v205
	v_add_f32_e32 v54, v54, v55
	s_waitcnt vmcnt(6) lgkmcnt(1)
	v_mul_f32_e32 v55, v102, v208
	v_fmac_f32_e32 v55, v103, v207
	v_add_f32_e32 v54, v54, v55
	s_waitcnt vmcnt(4)
	v_mul_f32_e32 v55, v104, v210
	v_fmac_f32_e32 v55, v105, v209
	v_add_f32_e32 v54, v54, v55
	s_waitcnt vmcnt(2) lgkmcnt(0)
	v_mul_f32_e32 v55, v106, v212
	v_fmac_f32_e32 v55, v107, v211
	v_add_f32_e32 v239, v54, v55
	ds_read_b128 v[54:57], v114 offset:944
	buffer_load_dword v215, off, s[0:3], 0 offset:432
	buffer_load_dword v216, off, s[0:3], 0 offset:436
	;; [unrolled: 1-line block ×18, first 2 shown]
	v_mul_f32_e32 v2, v51, v160
	v_fma_f32 v2, v50, v159, -v2
	v_add_f32_e32 v1, v1, v2
	v_mul_f32_e32 v2, v53, v162
	v_fma_f32 v2, v52, v161, -v2
	v_add_f32_e32 v1, v1, v2
	;; [unrolled: 3-line block ×26, first 2 shown]
	v_mul_f32_e32 v2, v107, v212
	v_fma_f32 v2, v106, v211, -v2
	s_waitcnt vmcnt(15)
	v_mov_b32_e32 v18, v243
	v_mul_f32_e32 v241, v108, v214
	v_add_f32_e32 v238, v1, v2
	v_mul_f32_e32 v1, v109, v214
	s_waitcnt lgkmcnt(0)
	v_pk_mul_f32 v[18:19], v[56:57], v[18:19] op_sel_hi:[1,0]
	v_fmac_f32_e32 v241, v109, v213
	v_mul_f32_e32 v245, v54, v216
	v_fma_f32 v240, v108, v213, -v1
	v_mul_f32_e32 v1, v55, v216
	ds_read_b128 v[2:5], v114 offset:960
	ds_read_b128 v[6:9], v114 offset:976
	;; [unrolled: 1-line block ×3, first 2 shown]
	ds_read_b64 v[14:15], v114 offset:1008
	s_waitcnt vmcnt(14)
	v_pk_fma_f32 v[20:21], v[56:57], v[242:243], v[18:19] op_sel:[0,0,1] op_sel_hi:[1,1,0] neg_lo:[0,0,1] neg_hi:[0,0,1]
	v_pk_fma_f32 v[18:19], v[56:57], v[242:243], v[18:19] op_sel:[0,0,1] op_sel_hi:[1,0,0]
	v_fmac_f32_e32 v245, v55, v215
	v_fma_f32 v244, v54, v215, -v1
	v_pk_add_f32 v[16:17], v[238:239], v[240:241]
	s_waitcnt vmcnt(13)
	v_mov_b32_e32 v18, v113
	v_pk_add_f32 v[16:17], v[16:17], v[244:245]
	v_mov_b32_e32 v21, v19
	s_waitcnt lgkmcnt(3)
	v_pk_mul_f32 v[18:19], v[2:3], v[18:19] op_sel_hi:[1,0]
	v_pk_add_f32 v[16:17], v[16:17], v[20:21]
	s_waitcnt vmcnt(12)
	v_pk_fma_f32 v[20:21], v[2:3], v[112:113], v[18:19] op_sel:[0,0,1] op_sel_hi:[1,1,0] neg_lo:[0,0,1] neg_hi:[0,0,1]
	v_pk_fma_f32 v[2:3], v[2:3], v[112:113], v[18:19] op_sel:[0,0,1] op_sel_hi:[1,0,0]
	v_mov_b32_e32 v21, v3
	v_pk_add_f32 v[2:3], v[16:17], v[20:21]
	s_waitcnt vmcnt(11)
	v_mov_b32_e32 v16, v111
	v_pk_mul_f32 v[16:17], v[4:5], v[16:17] op_sel_hi:[1,0]
	s_waitcnt vmcnt(10)
	v_pk_fma_f32 v[18:19], v[4:5], v[110:111], v[16:17] op_sel:[0,0,1] op_sel_hi:[1,1,0] neg_lo:[0,0,1] neg_hi:[0,0,1]
	v_pk_fma_f32 v[4:5], v[4:5], v[110:111], v[16:17] op_sel:[0,0,1] op_sel_hi:[1,0,0]
	s_waitcnt vmcnt(9)
	v_mov_b32_e32 v4, v255
	v_mov_b32_e32 v19, v5
	s_waitcnt lgkmcnt(2)
	v_pk_mul_f32 v[4:5], v[6:7], v[4:5] op_sel_hi:[1,0]
	s_waitcnt vmcnt(8)
	v_pk_fma_f32 v[16:17], v[6:7], v[254:255], v[4:5] op_sel:[0,0,1] op_sel_hi:[1,1,0] neg_lo:[0,0,1] neg_hi:[0,0,1]
	v_pk_fma_f32 v[4:5], v[6:7], v[254:255], v[4:5] op_sel:[0,0,1] op_sel_hi:[1,0,0]
	s_waitcnt vmcnt(7)
	v_mov_b32_e32 v4, v253
	v_mov_b32_e32 v17, v5
	v_pk_mul_f32 v[4:5], v[8:9], v[4:5] op_sel_hi:[1,0]
	s_waitcnt vmcnt(6)
	v_pk_fma_f32 v[6:7], v[8:9], v[252:253], v[4:5] op_sel:[0,0,1] op_sel_hi:[1,1,0] neg_lo:[0,0,1] neg_hi:[0,0,1]
	v_pk_fma_f32 v[4:5], v[8:9], v[252:253], v[4:5] op_sel:[0,0,1] op_sel_hi:[1,0,0]
	v_pk_add_f32 v[2:3], v[2:3], v[18:19]
	s_waitcnt vmcnt(5)
	v_mov_b32_e32 v4, v251
	v_pk_add_f32 v[2:3], v[2:3], v[16:17]
	v_mov_b32_e32 v7, v5
	s_waitcnt lgkmcnt(1)
	v_pk_mul_f32 v[4:5], v[10:11], v[4:5] op_sel_hi:[1,0]
	v_pk_add_f32 v[2:3], v[2:3], v[6:7]
	s_waitcnt vmcnt(4)
	v_pk_fma_f32 v[6:7], v[10:11], v[250:251], v[4:5] op_sel:[0,0,1] op_sel_hi:[1,1,0] neg_lo:[0,0,1] neg_hi:[0,0,1]
	v_pk_fma_f32 v[4:5], v[10:11], v[250:251], v[4:5] op_sel:[0,0,1] op_sel_hi:[1,0,0]
	s_waitcnt vmcnt(3)
	v_mov_b32_e32 v4, v249
	v_mov_b32_e32 v7, v5
	v_pk_mul_f32 v[4:5], v[12:13], v[4:5] op_sel_hi:[1,0]
	v_pk_add_f32 v[2:3], v[2:3], v[6:7]
	s_waitcnt vmcnt(2)
	v_pk_fma_f32 v[6:7], v[12:13], v[248:249], v[4:5] op_sel:[0,0,1] op_sel_hi:[1,1,0] neg_lo:[0,0,1] neg_hi:[0,0,1]
	v_pk_fma_f32 v[4:5], v[12:13], v[248:249], v[4:5] op_sel:[0,0,1] op_sel_hi:[1,0,0]
	s_waitcnt vmcnt(1)
	v_mov_b32_e32 v4, v247
	v_mov_b32_e32 v7, v5
	s_waitcnt lgkmcnt(0)
	v_pk_mul_f32 v[4:5], v[14:15], v[4:5] op_sel_hi:[1,0]
	v_pk_add_f32 v[2:3], v[2:3], v[6:7]
	s_waitcnt vmcnt(0)
	v_pk_fma_f32 v[6:7], v[14:15], v[246:247], v[4:5] op_sel:[0,0,1] op_sel_hi:[1,1,0] neg_lo:[0,0,1] neg_hi:[0,0,1]
	v_pk_fma_f32 v[4:5], v[14:15], v[246:247], v[4:5] op_sel:[0,0,1] op_sel_hi:[1,0,0]
	v_mov_b32_e32 v7, v5
	v_pk_add_f32 v[2:3], v[2:3], v[6:7]
	v_pk_add_f32 v[2:3], v[236:237], v[2:3] neg_lo:[0,1] neg_hi:[0,1]
	buffer_store_dword v3, off, s[0:3], 0 offset:12
	buffer_store_dword v2, off, s[0:3], 0 offset:8
	s_and_saveexec_b64 s[4:5], vcc
	s_cbranch_execz .LBB62_391
; %bb.390:
	buffer_load_dword v0, off, s[0:3], 0
	buffer_load_dword v1, off, s[0:3], 0 offset:4
	s_waitcnt vmcnt(0)
	ds_write_b64 v217, v[0:1]
	buffer_store_dword v114, off, s[0:3], 0
	buffer_store_dword v114, off, s[0:3], 0 offset:4
.LBB62_391:
	s_or_b64 exec, exec, s[4:5]
	s_waitcnt lgkmcnt(0)
	; wave barrier
	s_waitcnt lgkmcnt(0)
	buffer_load_dword v71, off, s[0:3], 0 offset:12
	buffer_load_dword v70, off, s[0:3], 0 offset:20
	;; [unrolled: 1-line block ×38, first 2 shown]
	buffer_load_dword v64, off, s[0:3], 0
	buffer_load_dword v65, off, s[0:3], 0 offset:4
	ds_read2_b64 v[20:23], v114 offset0:65 offset1:66
	ds_read2_b64 v[16:19], v114 offset0:67 offset1:68
	;; [unrolled: 1-line block ×6, first 2 shown]
	buffer_load_dword v104, off, s[0:3], 0 offset:160
	buffer_load_dword v105, off, s[0:3], 0 offset:164
	;; [unrolled: 1-line block ×14, first 2 shown]
	s_and_b64 vcc, exec, s[20:21]
	s_waitcnt vmcnt(53) lgkmcnt(5)
	v_mul_f32_e32 v24, v20, v71
	s_waitcnt vmcnt(52)
	v_mul_f32_e32 v25, v22, v70
	s_waitcnt vmcnt(51) lgkmcnt(4)
	v_mul_f32_e32 v27, v18, v69
	s_waitcnt vmcnt(50) lgkmcnt(3)
	v_mul_f32_e32 v28, v12, v68
	s_waitcnt vmcnt(49)
	v_mul_f32_e32 v29, v14, v66
	s_waitcnt vmcnt(48)
	v_mul_f32_e32 v26, v16, v72
	s_waitcnt vmcnt(47) lgkmcnt(2)
	v_mul_f32_e32 v30, v8, v67
	s_waitcnt vmcnt(46)
	v_mul_f32_e32 v31, v10, v73
	s_waitcnt vmcnt(45) lgkmcnt(1)
	;; [unrolled: 4-line block ×3, first 2 shown]
	v_mul_f32_e32 v34, v0, v76
	s_waitcnt vmcnt(42)
	v_fmac_f32_e32 v26, v17, v82
	s_waitcnt vmcnt(41)
	v_fmac_f32_e32 v25, v23, v85
	;; [unrolled: 2-line block ×3, first 2 shown]
	v_add_f32_e32 v24, 0, v24
	v_add_f32_e32 v24, v24, v25
	;; [unrolled: 1-line block ×3, first 2 shown]
	s_waitcnt vmcnt(36)
	v_fmac_f32_e32 v27, v19, v86
	v_fmac_f32_e32 v28, v13, v84
	v_add_f32_e32 v24, v24, v27
	v_fmac_f32_e32 v29, v15, v81
	v_add_f32_e32 v24, v24, v28
	;; [unrolled: 2-line block ×3, first 2 shown]
	s_waitcnt vmcnt(32)
	v_fmac_f32_e32 v31, v11, v83
	v_add_f32_e32 v24, v24, v30
	v_fmac_f32_e32 v32, v5, v80
	v_add_f32_e32 v24, v24, v31
	;; [unrolled: 2-line block ×4, first 2 shown]
	s_waitcnt vmcnt(28)
	v_mul_f32_e32 v25, v2, v95
	v_add_f32_e32 v24, v24, v34
	s_waitcnt vmcnt(27)
	v_fmac_f32_e32 v25, v3, v94
	ds_read2_b64 v[28:31], v114 offset0:77 offset1:78
	v_add_f32_e32 v32, v24, v25
	ds_read2_b64 v[24:27], v114 offset0:79 offset1:80
	buffer_load_dword v186, off, s[0:3], 0 offset:216
	buffer_load_dword v187, off, s[0:3], 0 offset:220
	;; [unrolled: 1-line block ×4, first 2 shown]
	s_waitcnt vmcnt(30) lgkmcnt(1)
	v_mul_f32_e32 v33, v28, v93
	v_fmac_f32_e32 v33, v29, v90
	v_add_f32_e32 v32, v32, v33
	s_waitcnt vmcnt(29)
	v_mul_f32_e32 v33, v30, v92
	v_fmac_f32_e32 v33, v31, v89
	v_add_f32_e32 v32, v32, v33
	s_waitcnt vmcnt(28) lgkmcnt(0)
	v_mul_f32_e32 v33, v24, v91
	ds_read2_b64 v[36:39], v114 offset0:81 offset1:82
	v_fmac_f32_e32 v33, v25, v88
	v_add_f32_e32 v32, v32, v33
	s_waitcnt vmcnt(21)
	v_mul_f32_e32 v33, v26, v103
	s_waitcnt vmcnt(20)
	v_fmac_f32_e32 v33, v27, v102
	v_add_f32_e32 v40, v32, v33
	ds_read2_b64 v[32:35], v114 offset0:83 offset1:84
	s_waitcnt lgkmcnt(1)
	v_mul_f32_e32 v41, v36, v97
	buffer_load_dword v190, off, s[0:3], 0 offset:232
	buffer_load_dword v191, off, s[0:3], 0 offset:236
	v_fmac_f32_e32 v41, v37, v96
	v_add_f32_e32 v40, v40, v41
	v_mul_f32_e32 v41, v38, v99
	buffer_load_dword v192, off, s[0:3], 0 offset:240
	buffer_load_dword v193, off, s[0:3], 0 offset:244
	v_fmac_f32_e32 v41, v39, v98
	v_add_f32_e32 v40, v40, v41
	s_waitcnt lgkmcnt(0)
	v_mul_f32_e32 v41, v32, v101
	buffer_load_dword v194, off, s[0:3], 0 offset:248
	buffer_load_dword v195, off, s[0:3], 0 offset:252
	v_fmac_f32_e32 v41, v33, v100
	v_add_f32_e32 v40, v40, v41
	s_waitcnt vmcnt(22)
	v_mul_f32_e32 v41, v34, v105
	v_fmac_f32_e32 v41, v35, v104
	ds_read2_b64 v[44:47], v114 offset0:85 offset1:86
	v_add_f32_e32 v48, v40, v41
	ds_read2_b64 v[40:43], v114 offset0:87 offset1:88
	buffer_load_dword v196, off, s[0:3], 0 offset:256
	buffer_load_dword v197, off, s[0:3], 0 offset:260
	;; [unrolled: 1-line block ×8, first 2 shown]
	s_waitcnt vmcnt(28) lgkmcnt(1)
	v_mul_f32_e32 v49, v44, v107
	v_fmac_f32_e32 v49, v45, v106
	buffer_load_dword v204, off, s[0:3], 0 offset:288
	buffer_load_dword v205, off, s[0:3], 0 offset:292
	v_add_f32_e32 v48, v48, v49
	s_waitcnt vmcnt(28)
	v_mul_f32_e32 v49, v46, v109
	v_fmac_f32_e32 v49, v47, v108
	v_add_f32_e32 v48, v48, v49
	s_waitcnt vmcnt(26) lgkmcnt(0)
	v_mul_f32_e32 v49, v40, v111
	buffer_load_dword v206, off, s[0:3], 0 offset:296
	buffer_load_dword v207, off, s[0:3], 0 offset:300
	v_fmac_f32_e32 v49, v41, v110
	v_add_f32_e32 v52, v48, v49
	ds_read2_b64 v[48:51], v114 offset0:89 offset1:90
	buffer_load_dword v208, off, s[0:3], 0 offset:304
	buffer_load_dword v209, off, s[0:3], 0 offset:308
	;; [unrolled: 1-line block ×4, first 2 shown]
	s_waitcnt vmcnt(30)
	v_mul_f32_e32 v53, v42, v113
	v_fmac_f32_e32 v53, v43, v112
	v_add_f32_e32 v56, v52, v53
	ds_read2_b64 v[52:55], v114 offset0:91 offset1:92
	buffer_load_dword v212, off, s[0:3], 0 offset:320
	buffer_load_dword v213, off, s[0:3], 0 offset:324
	;; [unrolled: 1-line block ×12, first 2 shown]
	s_waitcnt vmcnt(40) lgkmcnt(1)
	v_mul_f32_e32 v57, v48, v166
	v_fmac_f32_e32 v57, v49, v115
	buffer_load_dword v242, off, s[0:3], 0 offset:368
	buffer_load_dword v243, off, s[0:3], 0 offset:372
	v_add_f32_e32 v56, v56, v57
	s_waitcnt vmcnt(40)
	v_mul_f32_e32 v57, v50, v170
	v_fmac_f32_e32 v57, v51, v168
	buffer_load_dword v244, off, s[0:3], 0 offset:376
	buffer_load_dword v245, off, s[0:3], 0 offset:380
	v_add_f32_e32 v56, v56, v57
	v_mul_f32_e32 v21, v21, v71
	v_fma_f32 v20, v20, v87, -v21
	v_mul_f32_e32 v21, v23, v70
	v_add_f32_e32 v20, 0, v20
	v_fma_f32 v21, v22, v85, -v21
	v_mul_f32_e32 v17, v17, v72
	v_add_f32_e32 v20, v20, v21
	;; [unrolled: 3-line block ×3, first 2 shown]
	v_fma_f32 v17, v18, v86, -v17
	s_waitcnt vmcnt(40) lgkmcnt(0)
	v_mul_f32_e32 v57, v52, v187
	v_fmac_f32_e32 v57, v53, v186
	v_add_f32_e32 v60, v56, v57
	ds_read2_b64 v[56:59], v114 offset0:93 offset1:94
	buffer_load_dword v246, off, s[0:3], 0 offset:384
	buffer_load_dword v247, off, s[0:3], 0 offset:388
	s_waitcnt vmcnt(40)
	v_mul_f32_e32 v61, v54, v189
	v_fmac_f32_e32 v61, v55, v188
	v_add_f32_e32 v116, v60, v61
	ds_read2_b64 v[60:63], v114 offset0:95 offset1:96
	buffer_load_dword v248, off, s[0:3], 0 offset:392
	buffer_load_dword v249, off, s[0:3], 0 offset:396
	;; [unrolled: 1-line block ×12, first 2 shown]
	v_mul_f32_e32 v13, v13, v68
	v_add_f32_e32 v16, v16, v17
	v_fma_f32 v12, v12, v84, -v13
	s_waitcnt vmcnt(50) lgkmcnt(1)
	v_mul_f32_e32 v117, v56, v191
	v_fmac_f32_e32 v117, v57, v190
	v_add_f32_e32 v116, v116, v117
	v_mul_f32_e32 v13, v15, v66
	s_waitcnt vmcnt(48)
	v_mul_f32_e32 v117, v58, v193
	v_fmac_f32_e32 v117, v59, v192
	v_add_f32_e32 v116, v116, v117
	v_add_f32_e32 v12, v16, v12
	s_waitcnt vmcnt(46) lgkmcnt(0)
	v_mul_f32_e32 v117, v60, v195
	v_fmac_f32_e32 v117, v61, v194
	v_add_f32_e32 v120, v116, v117
	ds_read2_b64 v[116:119], v114 offset0:97 offset1:98
	v_fma_f32 v13, v14, v81, -v13
	v_mul_f32_e32 v9, v9, v67
	v_add_f32_e32 v12, v12, v13
	v_fma_f32 v8, v8, v79, -v9
	s_waitcnt vmcnt(44)
	v_mul_f32_e32 v121, v62, v197
	v_fmac_f32_e32 v121, v63, v196
	v_add_f32_e32 v124, v120, v121
	ds_read2_b64 v[120:123], v114 offset0:99 offset1:100
	s_waitcnt vmcnt(42) lgkmcnt(1)
	v_mul_f32_e32 v125, v116, v199
	v_fmac_f32_e32 v125, v117, v198
	v_add_f32_e32 v124, v124, v125
	s_waitcnt vmcnt(40)
	v_mul_f32_e32 v125, v118, v201
	v_fmac_f32_e32 v125, v119, v200
	v_add_f32_e32 v124, v124, v125
	s_waitcnt vmcnt(38) lgkmcnt(0)
	v_mul_f32_e32 v125, v120, v203
	v_fmac_f32_e32 v125, v121, v202
	v_add_f32_e32 v128, v124, v125
	ds_read2_b64 v[124:127], v114 offset0:101 offset1:102
	s_waitcnt vmcnt(36)
	v_mul_f32_e32 v129, v122, v205
	v_fmac_f32_e32 v129, v123, v204
	v_add_f32_e32 v132, v128, v129
	ds_read2_b64 v[128:131], v114 offset0:103 offset1:104
	s_waitcnt vmcnt(34) lgkmcnt(1)
	v_mul_f32_e32 v133, v124, v207
	v_fmac_f32_e32 v133, v125, v206
	v_add_f32_e32 v132, v132, v133
	s_waitcnt vmcnt(32)
	v_mul_f32_e32 v133, v126, v209
	v_fmac_f32_e32 v133, v127, v208
	v_add_f32_e32 v132, v132, v133
	s_waitcnt vmcnt(30) lgkmcnt(0)
	v_mul_f32_e32 v133, v128, v211
	v_fmac_f32_e32 v133, v129, v210
	v_add_f32_e32 v136, v132, v133
	ds_read2_b64 v[132:135], v114 offset0:105 offset1:106
	;; [unrolled: 18-line block ×3, first 2 shown]
	s_waitcnt vmcnt(20)
	v_mul_f32_e32 v145, v138, v239
	v_fmac_f32_e32 v145, v139, v238
	v_add_f32_e32 v148, v144, v145
	ds_read2_b64 v[144:147], v114 offset0:111 offset1:112
	s_waitcnt vmcnt(18) lgkmcnt(1)
	v_mul_f32_e32 v149, v140, v241
	v_fmac_f32_e32 v149, v141, v240
	v_add_f32_e32 v148, v148, v149
	s_waitcnt vmcnt(16)
	v_mul_f32_e32 v149, v142, v243
	v_fmac_f32_e32 v149, v143, v242
	v_mul_f32_e32 v9, v11, v73
	v_add_f32_e32 v148, v148, v149
	s_waitcnt vmcnt(14) lgkmcnt(0)
	v_mul_f32_e32 v149, v144, v245
	v_add_f32_e32 v8, v12, v8
	v_fma_f32 v9, v10, v83, -v9
	v_mul_f32_e32 v5, v5, v74
	v_fmac_f32_e32 v149, v145, v244
	v_add_f32_e32 v8, v8, v9
	v_fma_f32 v4, v4, v80, -v5
	v_mul_f32_e32 v5, v7, v75
	v_add_f32_e32 v152, v148, v149
	ds_read2_b64 v[148:151], v114 offset0:113 offset1:114
	v_add_f32_e32 v4, v8, v4
	v_fma_f32 v5, v6, v78, -v5
	v_mul_f32_e32 v1, v1, v76
	s_waitcnt vmcnt(12)
	v_mul_f32_e32 v153, v146, v247
	v_add_f32_e32 v4, v4, v5
	v_fma_f32 v0, v0, v77, -v1
	v_mul_f32_e32 v1, v3, v95
	v_fmac_f32_e32 v153, v147, v246
	v_add_f32_e32 v0, v4, v0
	v_fma_f32 v1, v2, v94, -v1
	v_add_f32_e32 v156, v152, v153
	ds_read2_b64 v[152:155], v114 offset0:115 offset1:116
	buffer_load_dword v165, off, s[0:3], 0 offset:444
	buffer_load_dword v164, off, s[0:3], 0 offset:440
	v_add_f32_e32 v0, v0, v1
	v_mul_f32_e32 v1, v29, v93
	v_fma_f32 v1, v28, v90, -v1
	s_waitcnt vmcnt(12) lgkmcnt(1)
	v_mul_f32_e32 v157, v148, v249
	v_add_f32_e32 v0, v0, v1
	v_mul_f32_e32 v1, v31, v92
	v_fmac_f32_e32 v157, v149, v248
	v_fma_f32 v1, v30, v89, -v1
	v_add_f32_e32 v156, v156, v157
	s_waitcnt vmcnt(10)
	v_mul_f32_e32 v157, v150, v251
	v_add_f32_e32 v0, v0, v1
	v_mul_f32_e32 v1, v25, v91
	v_fmac_f32_e32 v157, v151, v250
	v_fma_f32 v1, v24, v88, -v1
	v_add_f32_e32 v156, v156, v157
	s_waitcnt vmcnt(8) lgkmcnt(0)
	v_mul_f32_e32 v157, v152, v253
	v_add_f32_e32 v0, v0, v1
	v_mul_f32_e32 v1, v27, v103
	v_fmac_f32_e32 v157, v153, v252
	s_waitcnt vmcnt(6)
	v_mul_f32_e32 v161, v154, v255
	v_fma_f32 v1, v26, v102, -v1
	v_add_f32_e32 v160, v156, v157
	v_fmac_f32_e32 v161, v155, v254
	v_add_f32_e32 v0, v0, v1
	v_mul_f32_e32 v1, v37, v97
	ds_read2_b64 v[156:159], v114 offset0:117 offset1:118
	v_add_f32_e32 v167, v160, v161
	ds_read2_b64 v[160:163], v114 offset0:119 offset1:120
	buffer_load_dword v173, off, s[0:3], 0 offset:476
	buffer_load_dword v172, off, s[0:3], 0 offset:472
	;; [unrolled: 1-line block ×14, first 2 shown]
	v_fma_f32 v1, v36, v96, -v1
	v_add_f32_e32 v0, v0, v1
	v_mul_f32_e32 v1, v39, v99
	v_fma_f32 v1, v38, v98, -v1
	v_add_f32_e32 v0, v0, v1
	v_mul_f32_e32 v1, v33, v101
	;; [unrolled: 3-line block ×35, first 2 shown]
	v_fma_f32 v1, v154, v254, -v1
	s_waitcnt vmcnt(15)
	v_mov_b32_e32 v14, v165
	s_waitcnt lgkmcnt(1)
	v_mul_f32_e32 v169, v156, v219
	v_add_f32_e32 v166, v0, v1
	v_mul_f32_e32 v0, v157, v219
	s_waitcnt lgkmcnt(0)
	v_pk_mul_f32 v[14:15], v[160:161], v[14:15] op_sel_hi:[1,0]
	v_fmac_f32_e32 v169, v157, v218
	v_mul_f32_e32 v171, v158, v221
	v_fma_f32 v168, v156, v218, -v0
	v_mul_f32_e32 v0, v159, v221
	s_waitcnt vmcnt(14)
	v_pk_fma_f32 v[16:17], v[160:161], v[164:165], v[14:15] op_sel:[0,0,1] op_sel_hi:[1,1,0] neg_lo:[0,0,1] neg_hi:[0,0,1]
	v_pk_fma_f32 v[14:15], v[160:161], v[164:165], v[14:15] op_sel:[0,0,1] op_sel_hi:[1,0,0]
	v_fmac_f32_e32 v171, v159, v220
	v_fma_f32 v170, v158, v220, -v0
	v_pk_add_f32 v[12:13], v[166:167], v[168:169]
	s_waitcnt vmcnt(7)
	v_mov_b32_e32 v14, v179
	ds_read2_b64 v[0:3], v114 offset0:121 offset1:122
	ds_read2_b64 v[4:7], v114 offset0:123 offset1:124
	;; [unrolled: 1-line block ×3, first 2 shown]
	v_pk_add_f32 v[12:13], v[12:13], v[170:171]
	v_mov_b32_e32 v17, v15
	v_pk_mul_f32 v[14:15], v[162:163], v[14:15] op_sel_hi:[1,0]
	v_pk_add_f32 v[12:13], v[12:13], v[16:17]
	s_waitcnt vmcnt(6)
	v_pk_fma_f32 v[16:17], v[162:163], v[178:179], v[14:15] op_sel:[0,0,1] op_sel_hi:[1,1,0] neg_lo:[0,0,1] neg_hi:[0,0,1]
	v_pk_fma_f32 v[14:15], v[162:163], v[178:179], v[14:15] op_sel:[0,0,1] op_sel_hi:[1,0,0]
	v_mov_b32_e32 v14, v177
	v_mov_b32_e32 v17, v15
	s_waitcnt lgkmcnt(2)
	v_pk_mul_f32 v[14:15], v[0:1], v[14:15] op_sel_hi:[1,0]
	v_pk_add_f32 v[12:13], v[12:13], v[16:17]
	v_pk_fma_f32 v[16:17], v[0:1], v[176:177], v[14:15] op_sel:[0,0,1] op_sel_hi:[1,1,0] neg_lo:[0,0,1] neg_hi:[0,0,1]
	v_pk_fma_f32 v[0:1], v[0:1], v[176:177], v[14:15] op_sel:[0,0,1] op_sel_hi:[1,0,0]
	v_mov_b32_e32 v17, v1
	v_pk_add_f32 v[0:1], v[12:13], v[16:17]
	v_mov_b32_e32 v12, v175
	v_pk_mul_f32 v[12:13], v[2:3], v[12:13] op_sel_hi:[1,0]
	v_pk_fma_f32 v[14:15], v[2:3], v[174:175], v[12:13] op_sel:[0,0,1] op_sel_hi:[1,1,0] neg_lo:[0,0,1] neg_hi:[0,0,1]
	v_pk_fma_f32 v[2:3], v[2:3], v[174:175], v[12:13] op_sel:[0,0,1] op_sel_hi:[1,0,0]
	v_mov_b32_e32 v2, v173
	v_mov_b32_e32 v15, v3
	s_waitcnt lgkmcnt(1)
	v_pk_mul_f32 v[2:3], v[4:5], v[2:3] op_sel_hi:[1,0]
	v_pk_fma_f32 v[12:13], v[4:5], v[172:173], v[2:3] op_sel:[0,0,1] op_sel_hi:[1,1,0] neg_lo:[0,0,1] neg_hi:[0,0,1]
	v_pk_fma_f32 v[2:3], v[4:5], v[172:173], v[2:3] op_sel:[0,0,1] op_sel_hi:[1,0,0]
	s_waitcnt vmcnt(1)
	v_mov_b32_e32 v2, v185
	v_mov_b32_e32 v13, v3
	v_pk_mul_f32 v[2:3], v[6:7], v[2:3] op_sel_hi:[1,0]
	s_waitcnt vmcnt(0)
	v_pk_fma_f32 v[4:5], v[6:7], v[184:185], v[2:3] op_sel:[0,0,1] op_sel_hi:[1,1,0] neg_lo:[0,0,1] neg_hi:[0,0,1]
	v_pk_fma_f32 v[2:3], v[6:7], v[184:185], v[2:3] op_sel:[0,0,1] op_sel_hi:[1,0,0]
	v_pk_add_f32 v[0:1], v[0:1], v[14:15]
	v_mov_b32_e32 v2, v183
	v_pk_add_f32 v[0:1], v[0:1], v[12:13]
	v_mov_b32_e32 v5, v3
	s_waitcnt lgkmcnt(0)
	v_pk_mul_f32 v[2:3], v[8:9], v[2:3] op_sel_hi:[1,0]
	v_pk_add_f32 v[0:1], v[0:1], v[4:5]
	v_pk_fma_f32 v[4:5], v[8:9], v[182:183], v[2:3] op_sel:[0,0,1] op_sel_hi:[1,1,0] neg_lo:[0,0,1] neg_hi:[0,0,1]
	v_pk_fma_f32 v[2:3], v[8:9], v[182:183], v[2:3] op_sel:[0,0,1] op_sel_hi:[1,0,0]
	v_mov_b32_e32 v2, v181
	v_mov_b32_e32 v5, v3
	v_pk_mul_f32 v[2:3], v[10:11], v[2:3] op_sel_hi:[1,0]
	v_pk_add_f32 v[0:1], v[0:1], v[4:5]
	v_pk_fma_f32 v[4:5], v[10:11], v[180:181], v[2:3] op_sel:[0,0,1] op_sel_hi:[1,1,0] neg_lo:[0,0,1] neg_hi:[0,0,1]
	v_pk_fma_f32 v[2:3], v[10:11], v[180:181], v[2:3] op_sel:[0,0,1] op_sel_hi:[1,0,0]
	v_mov_b32_e32 v5, v3
	v_pk_add_f32 v[0:1], v[0:1], v[4:5]
	v_pk_add_f32 v[0:1], v[64:65], v[0:1] neg_lo:[0,1] neg_hi:[0,1]
	buffer_store_dword v1, off, s[0:3], 0 offset:4
	buffer_store_dword v0, off, s[0:3], 0
	s_cbranch_vccz .LBB62_517
; %bb.392:
	v_pk_mov_b32 v[0:1], s[10:11], s[10:11] op_sel:[0,1]
	flat_load_dword v0, v[0:1] offset:244
	s_waitcnt vmcnt(0) lgkmcnt(0)
	v_add_u32_e32 v0, -1, v0
	v_cmp_ne_u32_e32 vcc, 61, v0
	s_and_saveexec_b64 s[4:5], vcc
	s_cbranch_execz .LBB62_394
; %bb.393:
	v_mov_b32_e32 v1, 0
	v_lshl_add_u32 v0, v0, 3, v1
	buffer_load_dword v1, v0, s[0:3], 0 offen
	buffer_load_dword v2, v0, s[0:3], 0 offen offset:4
	buffer_load_dword v3, off, s[0:3], 0 offset:488
	buffer_load_dword v4, off, s[0:3], 0 offset:492
	s_waitcnt vmcnt(3)
	buffer_store_dword v1, off, s[0:3], 0 offset:488
	s_waitcnt vmcnt(3)
	buffer_store_dword v2, off, s[0:3], 0 offset:492
	s_waitcnt vmcnt(3)
	buffer_store_dword v3, v0, s[0:3], 0 offen
	s_waitcnt vmcnt(3)
	buffer_store_dword v4, v0, s[0:3], 0 offen offset:4
.LBB62_394:
	s_or_b64 exec, exec, s[4:5]
	v_pk_mov_b32 v[0:1], s[10:11], s[10:11] op_sel:[0,1]
	flat_load_dword v0, v[0:1] offset:240
	s_waitcnt vmcnt(0) lgkmcnt(0)
	v_add_u32_e32 v0, -1, v0
	v_cmp_ne_u32_e32 vcc, 60, v0
	s_and_saveexec_b64 s[4:5], vcc
	s_cbranch_execz .LBB62_396
; %bb.395:
	v_mov_b32_e32 v1, 0
	v_lshl_add_u32 v0, v0, 3, v1
	buffer_load_dword v1, v0, s[0:3], 0 offen
	buffer_load_dword v2, v0, s[0:3], 0 offen offset:4
	buffer_load_dword v3, off, s[0:3], 0 offset:484
	buffer_load_dword v4, off, s[0:3], 0 offset:480
	s_waitcnt vmcnt(3)
	buffer_store_dword v1, off, s[0:3], 0 offset:480
	s_waitcnt vmcnt(3)
	buffer_store_dword v2, off, s[0:3], 0 offset:484
	s_waitcnt vmcnt(3)
	buffer_store_dword v3, v0, s[0:3], 0 offen offset:4
	s_waitcnt vmcnt(3)
	buffer_store_dword v4, v0, s[0:3], 0 offen
.LBB62_396:
	s_or_b64 exec, exec, s[4:5]
	v_pk_mov_b32 v[0:1], s[10:11], s[10:11] op_sel:[0,1]
	flat_load_dword v0, v[0:1] offset:236
	s_waitcnt vmcnt(0) lgkmcnt(0)
	v_add_u32_e32 v0, -1, v0
	v_cmp_ne_u32_e32 vcc, 59, v0
	s_and_saveexec_b64 s[4:5], vcc
	s_cbranch_execz .LBB62_398
; %bb.397:
	v_mov_b32_e32 v1, 0
	v_lshl_add_u32 v0, v0, 3, v1
	buffer_load_dword v1, v0, s[0:3], 0 offen
	buffer_load_dword v2, v0, s[0:3], 0 offen offset:4
	buffer_load_dword v3, off, s[0:3], 0 offset:472
	buffer_load_dword v4, off, s[0:3], 0 offset:476
	s_waitcnt vmcnt(3)
	buffer_store_dword v1, off, s[0:3], 0 offset:472
	s_waitcnt vmcnt(3)
	buffer_store_dword v2, off, s[0:3], 0 offset:476
	s_waitcnt vmcnt(3)
	buffer_store_dword v3, v0, s[0:3], 0 offen
	s_waitcnt vmcnt(3)
	buffer_store_dword v4, v0, s[0:3], 0 offen offset:4
.LBB62_398:
	s_or_b64 exec, exec, s[4:5]
	v_pk_mov_b32 v[0:1], s[10:11], s[10:11] op_sel:[0,1]
	flat_load_dword v0, v[0:1] offset:232
	s_waitcnt vmcnt(0) lgkmcnt(0)
	v_add_u32_e32 v0, -1, v0
	v_cmp_ne_u32_e32 vcc, 58, v0
	s_and_saveexec_b64 s[4:5], vcc
	s_cbranch_execz .LBB62_400
; %bb.399:
	v_mov_b32_e32 v1, 0
	v_lshl_add_u32 v0, v0, 3, v1
	buffer_load_dword v1, v0, s[0:3], 0 offen
	buffer_load_dword v2, v0, s[0:3], 0 offen offset:4
	buffer_load_dword v3, off, s[0:3], 0 offset:468
	buffer_load_dword v4, off, s[0:3], 0 offset:464
	s_waitcnt vmcnt(3)
	buffer_store_dword v1, off, s[0:3], 0 offset:464
	s_waitcnt vmcnt(3)
	buffer_store_dword v2, off, s[0:3], 0 offset:468
	s_waitcnt vmcnt(3)
	buffer_store_dword v3, v0, s[0:3], 0 offen offset:4
	s_waitcnt vmcnt(3)
	buffer_store_dword v4, v0, s[0:3], 0 offen
.LBB62_400:
	s_or_b64 exec, exec, s[4:5]
	;; [unrolled: 48-line block ×30, first 2 shown]
	v_pk_mov_b32 v[0:1], s[10:11], s[10:11] op_sel:[0,1]
	flat_load_dword v0, v[0:1] offset:4
	s_waitcnt vmcnt(0) lgkmcnt(0)
	v_add_u32_e32 v0, -1, v0
	v_cmp_ne_u32_e32 vcc, 1, v0
	s_and_saveexec_b64 s[4:5], vcc
	s_cbranch_execz .LBB62_514
; %bb.513:
	v_mov_b32_e32 v1, 0
	v_lshl_add_u32 v0, v0, 3, v1
	buffer_load_dword v1, v0, s[0:3], 0 offen
	buffer_load_dword v2, v0, s[0:3], 0 offen offset:4
	buffer_load_dword v3, off, s[0:3], 0 offset:8
	buffer_load_dword v4, off, s[0:3], 0 offset:12
	s_waitcnt vmcnt(3)
	buffer_store_dword v1, off, s[0:3], 0 offset:8
	s_waitcnt vmcnt(3)
	buffer_store_dword v2, off, s[0:3], 0 offset:12
	s_waitcnt vmcnt(3)
	buffer_store_dword v3, v0, s[0:3], 0 offen
	s_waitcnt vmcnt(3)
	buffer_store_dword v4, v0, s[0:3], 0 offen offset:4
.LBB62_514:
	s_or_b64 exec, exec, s[4:5]
	v_pk_mov_b32 v[0:1], s[10:11], s[10:11] op_sel:[0,1]
	flat_load_dword v2, v[0:1]
	s_nop 0
	buffer_load_dword v0, off, s[0:3], 0
	buffer_load_dword v1, off, s[0:3], 0 offset:4
	s_waitcnt vmcnt(0) lgkmcnt(0)
	v_add_u32_e32 v2, -1, v2
	v_cmp_ne_u32_e32 vcc, 0, v2
	s_and_saveexec_b64 s[4:5], vcc
	s_cbranch_execz .LBB62_516
; %bb.515:
	v_mov_b32_e32 v3, 0
	v_lshl_add_u32 v2, v2, 3, v3
	buffer_load_dword v3, v2, s[0:3], 0 offen offset:4
	buffer_load_dword v4, v2, s[0:3], 0 offen
	s_waitcnt vmcnt(1)
	buffer_store_dword v3, off, s[0:3], 0 offset:4
	s_waitcnt vmcnt(1)
	buffer_store_dword v4, off, s[0:3], 0
	buffer_store_dword v1, v2, s[0:3], 0 offen offset:4
	buffer_store_dword v0, v2, s[0:3], 0 offen
	buffer_load_dword v0, off, s[0:3], 0
	s_nop 0
	buffer_load_dword v1, off, s[0:3], 0 offset:4
.LBB62_516:
	s_or_b64 exec, exec, s[4:5]
.LBB62_517:
	buffer_load_dword v2, off, s[0:3], 0 offset:8
	buffer_load_dword v3, off, s[0:3], 0 offset:12
	;; [unrolled: 1-line block ×124, first 2 shown]
	s_waitcnt vmcnt(62)
	global_store_dwordx2 v[226:227], v[0:1], off
	global_store_dwordx2 v[228:229], v[2:3], off
	v_accvgpr_read_b32 v0, a0
	v_accvgpr_read_b32 v1, a1
	global_store_dwordx2 v[0:1], v[4:5], off
	v_accvgpr_read_b32 v0, a2
	v_accvgpr_read_b32 v1, a3
	;; [unrolled: 3-line block ×31, first 2 shown]
	s_waitcnt vmcnt(62)
	global_store_dwordx2 v[0:1], v[64:65], off
	v_accvgpr_read_b32 v0, a62
	v_accvgpr_read_b32 v1, a63
	global_store_dwordx2 v[0:1], v[66:67], off
	v_accvgpr_read_b32 v0, a64
	v_accvgpr_read_b32 v1, a65
	;; [unrolled: 3-line block ×16, first 2 shown]
	s_waitcnt vmcnt(62)
	global_store_dwordx2 v[0:1], v[96:97], off
	v_accvgpr_read_b32 v0, a94
	v_accvgpr_read_b32 v1, a95
	global_store_dwordx2 v[0:1], v[98:99], off
	v_accvgpr_read_b32 v0, a96
	v_accvgpr_read_b32 v1, a97
	;; [unrolled: 3-line block ×8, first 2 shown]
	s_waitcnt vmcnt(62)
	global_store_dwordx2 v[0:1], v[112:113], off
	v_accvgpr_read_b32 v0, a110
	v_accvgpr_read_b32 v1, a111
	global_store_dwordx2 v[0:1], v[114:115], off
	global_store_dwordx2 v[222:223], v[116:117], off
	;; [unrolled: 1-line block ×3, first 2 shown]
	s_waitcnt vmcnt(62)
	global_store_dwordx2 v[230:231], v[120:121], off
	global_store_dwordx2 v[232:233], v[122:123], off
	s_waitcnt vmcnt(62)
	global_store_dwordx2 v[234:235], v[124:125], off
	s_endpgm
	.section	.rodata,"a",@progbits
	.p2align	6, 0x0
	.amdhsa_kernel _ZN9rocsolver6v33100L18getri_kernel_smallILi63E19rocblas_complex_numIfEPS3_EEvT1_iilPiilS6_bb
		.amdhsa_group_segment_fixed_size 1016
		.amdhsa_private_segment_fixed_size 512
		.amdhsa_kernarg_size 60
		.amdhsa_user_sgpr_count 8
		.amdhsa_user_sgpr_private_segment_buffer 1
		.amdhsa_user_sgpr_dispatch_ptr 0
		.amdhsa_user_sgpr_queue_ptr 0
		.amdhsa_user_sgpr_kernarg_segment_ptr 1
		.amdhsa_user_sgpr_dispatch_id 0
		.amdhsa_user_sgpr_flat_scratch_init 1
		.amdhsa_user_sgpr_kernarg_preload_length 0
		.amdhsa_user_sgpr_kernarg_preload_offset 0
		.amdhsa_user_sgpr_private_segment_size 0
		.amdhsa_uses_dynamic_stack 0
		.amdhsa_system_sgpr_private_segment_wavefront_offset 1
		.amdhsa_system_sgpr_workgroup_id_x 1
		.amdhsa_system_sgpr_workgroup_id_y 0
		.amdhsa_system_sgpr_workgroup_id_z 0
		.amdhsa_system_sgpr_workgroup_info 0
		.amdhsa_system_vgpr_workitem_id 0
		.amdhsa_next_free_vgpr 368
		.amdhsa_next_free_sgpr 23
		.amdhsa_accum_offset 256
		.amdhsa_reserve_vcc 1
		.amdhsa_reserve_flat_scratch 1
		.amdhsa_float_round_mode_32 0
		.amdhsa_float_round_mode_16_64 0
		.amdhsa_float_denorm_mode_32 3
		.amdhsa_float_denorm_mode_16_64 3
		.amdhsa_dx10_clamp 1
		.amdhsa_ieee_mode 1
		.amdhsa_fp16_overflow 0
		.amdhsa_tg_split 0
		.amdhsa_exception_fp_ieee_invalid_op 0
		.amdhsa_exception_fp_denorm_src 0
		.amdhsa_exception_fp_ieee_div_zero 0
		.amdhsa_exception_fp_ieee_overflow 0
		.amdhsa_exception_fp_ieee_underflow 0
		.amdhsa_exception_fp_ieee_inexact 0
		.amdhsa_exception_int_div_zero 0
	.end_amdhsa_kernel
	.section	.text._ZN9rocsolver6v33100L18getri_kernel_smallILi63E19rocblas_complex_numIfEPS3_EEvT1_iilPiilS6_bb,"axG",@progbits,_ZN9rocsolver6v33100L18getri_kernel_smallILi63E19rocblas_complex_numIfEPS3_EEvT1_iilPiilS6_bb,comdat
.Lfunc_end62:
	.size	_ZN9rocsolver6v33100L18getri_kernel_smallILi63E19rocblas_complex_numIfEPS3_EEvT1_iilPiilS6_bb, .Lfunc_end62-_ZN9rocsolver6v33100L18getri_kernel_smallILi63E19rocblas_complex_numIfEPS3_EEvT1_iilPiilS6_bb
                                        ; -- End function
	.section	.AMDGPU.csdata,"",@progbits
; Kernel info:
; codeLenInByte = 146396
; NumSgprs: 29
; NumVgprs: 256
; NumAgprs: 112
; TotalNumVgprs: 368
; ScratchSize: 512
; MemoryBound: 0
; FloatMode: 240
; IeeeMode: 1
; LDSByteSize: 1016 bytes/workgroup (compile time only)
; SGPRBlocks: 3
; VGPRBlocks: 45
; NumSGPRsForWavesPerEU: 29
; NumVGPRsForWavesPerEU: 368
; AccumOffset: 256
; Occupancy: 1
; WaveLimiterHint : 1
; COMPUTE_PGM_RSRC2:SCRATCH_EN: 1
; COMPUTE_PGM_RSRC2:USER_SGPR: 8
; COMPUTE_PGM_RSRC2:TRAP_HANDLER: 0
; COMPUTE_PGM_RSRC2:TGID_X_EN: 1
; COMPUTE_PGM_RSRC2:TGID_Y_EN: 0
; COMPUTE_PGM_RSRC2:TGID_Z_EN: 0
; COMPUTE_PGM_RSRC2:TIDIG_COMP_CNT: 0
; COMPUTE_PGM_RSRC3_GFX90A:ACCUM_OFFSET: 63
; COMPUTE_PGM_RSRC3_GFX90A:TG_SPLIT: 0
	.section	.text._ZN9rocsolver6v33100L18getri_kernel_smallILi64E19rocblas_complex_numIfEPS3_EEvT1_iilPiilS6_bb,"axG",@progbits,_ZN9rocsolver6v33100L18getri_kernel_smallILi64E19rocblas_complex_numIfEPS3_EEvT1_iilPiilS6_bb,comdat
	.globl	_ZN9rocsolver6v33100L18getri_kernel_smallILi64E19rocblas_complex_numIfEPS3_EEvT1_iilPiilS6_bb ; -- Begin function _ZN9rocsolver6v33100L18getri_kernel_smallILi64E19rocblas_complex_numIfEPS3_EEvT1_iilPiilS6_bb
	.p2align	8
	.type	_ZN9rocsolver6v33100L18getri_kernel_smallILi64E19rocblas_complex_numIfEPS3_EEvT1_iilPiilS6_bb,@function
_ZN9rocsolver6v33100L18getri_kernel_smallILi64E19rocblas_complex_numIfEPS3_EEvT1_iilPiilS6_bb: ; @_ZN9rocsolver6v33100L18getri_kernel_smallILi64E19rocblas_complex_numIfEPS3_EEvT1_iilPiilS6_bb
; %bb.0:
	s_add_u32 flat_scratch_lo, s6, s9
	s_addc_u32 flat_scratch_hi, s7, 0
	s_add_u32 s0, s0, s9
	s_addc_u32 s1, s1, 0
	v_cmp_gt_u32_e32 vcc, 64, v0
	s_and_saveexec_b64 s[6:7], vcc
	s_cbranch_execz .LBB63_270
; %bb.1:
	s_load_dword s22, s[4:5], 0x38
	s_load_dwordx4 s[16:19], s[4:5], 0x10
	s_load_dwordx4 s[12:15], s[4:5], 0x28
                                        ; implicit-def: $sgpr10_sgpr11
	s_waitcnt lgkmcnt(0)
	s_bitcmp1_b32 s22, 8
	s_cselect_b64 s[20:21], -1, 0
	s_ashr_i32 s9, s8, 31
	s_bfe_u32 s6, s22, 0x10008
	s_cmp_eq_u32 s6, 0
	s_cbranch_scc1 .LBB63_3
; %bb.2:
	s_load_dword s6, s[4:5], 0x20
	s_mul_i32 s7, s8, s13
	s_mul_hi_u32 s10, s8, s12
	s_mul_i32 s11, s9, s12
	s_add_i32 s10, s10, s7
	s_add_i32 s11, s10, s11
	s_mul_i32 s10, s8, s12
	s_waitcnt lgkmcnt(0)
	s_ashr_i32 s7, s6, 31
	s_lshl_b64 s[10:11], s[10:11], 2
	s_add_u32 s10, s18, s10
	s_addc_u32 s11, s19, s11
	s_lshl_b64 s[6:7], s[6:7], 2
	s_add_u32 s10, s10, s6
	s_addc_u32 s11, s11, s7
.LBB63_3:
	s_load_dwordx4 s[4:7], s[4:5], 0x0
	s_mul_i32 s12, s8, s17
	s_mul_hi_u32 s13, s8, s16
	s_add_i32 s17, s13, s12
	v_lshlrev_b32_e32 v6, 3, v0
	s_waitcnt lgkmcnt(0)
	s_ashr_i32 s13, s6, 31
	s_mov_b32 s12, s6
	s_mul_i32 s6, s9, s16
	s_add_i32 s17, s17, s6
	s_mul_i32 s16, s8, s16
	s_lshl_b64 s[16:17], s[16:17], 3
	s_add_u32 s6, s4, s16
	s_addc_u32 s16, s5, s17
	s_lshl_b64 s[4:5], s[12:13], 3
	s_add_u32 s4, s6, s4
	s_addc_u32 s5, s16, s5
	s_add_i32 s6, s7, s7
	v_add_u32_e32 v2, s6, v0
	v_ashrrev_i32_e32 v3, 31, v2
	v_lshlrev_b64 v[4:5], 3, v[2:3]
	v_add_u32_e32 v2, s7, v2
	v_mov_b32_e32 v1, s5
	v_add_co_u32_e32 v10, vcc, s4, v4
	v_ashrrev_i32_e32 v3, 31, v2
	v_addc_co_u32_e32 v11, vcc, v1, v5, vcc
	v_lshlrev_b64 v[4:5], 3, v[2:3]
	v_add_u32_e32 v2, s7, v2
	v_add_co_u32_e32 v14, vcc, s4, v4
	v_ashrrev_i32_e32 v3, 31, v2
	v_addc_co_u32_e32 v15, vcc, v1, v5, vcc
	v_lshlrev_b64 v[4:5], 3, v[2:3]
	v_add_u32_e32 v2, s7, v2
	;; [unrolled: 5-line block ×53, first 2 shown]
	v_add_co_u32_e32 v118, vcc, s4, v4
	v_ashrrev_i32_e32 v3, 31, v2
	v_addc_co_u32_e32 v119, vcc, v1, v5, vcc
	v_lshlrev_b64 v[4:5], 3, v[2:3]
	v_add_co_u32_e32 v120, vcc, s4, v4
	v_addc_co_u32_e32 v121, vcc, v1, v5, vcc
	v_add_co_u32_e32 v228, vcc, s4, v6
	s_ashr_i32 s13, s7, 31
	s_mov_b32 s12, s7
	v_addc_co_u32_e32 v229, vcc, 0, v1, vcc
	s_lshl_b64 s[12:13], s[12:13], 3
	v_mov_b32_e32 v1, s13
	v_add_co_u32_e32 v230, vcc, s12, v228
	global_load_dwordx2 v[4:5], v6, s[4:5]
	v_addc_co_u32_e32 v231, vcc, v229, v1, vcc
	v_accvgpr_write_b32 a0, v10
	global_load_dwordx2 v[8:9], v[230:231], off
	v_accvgpr_write_b32 a1, v11
	global_load_dwordx2 v[10:11], v[10:11], off
	v_accvgpr_write_b32 a2, v14
	v_accvgpr_write_b32 a3, v15
	global_load_dwordx2 v[14:15], v[14:15], off
	v_accvgpr_write_b32 a4, v16
	v_add_u32_e32 v2, s7, v2
	v_accvgpr_write_b32 a5, v17
	global_load_dwordx2 v[16:17], v[16:17], off
	v_ashrrev_i32_e32 v3, 31, v2
	v_lshlrev_b64 v[12:13], 3, v[2:3]
	v_mov_b32_e32 v1, s5
	v_add_co_u32_e32 v122, vcc, s4, v12
	v_addc_co_u32_e32 v123, vcc, v1, v13, vcc
	global_load_dwordx2 v[12:13], v[18:19], off
	v_accvgpr_write_b32 a8, v20
	v_add_u32_e32 v2, s7, v2
	v_accvgpr_write_b32 a9, v21
	global_load_dwordx2 v[20:21], v[20:21], off
	v_ashrrev_i32_e32 v3, 31, v2
	v_accvgpr_write_b32 a6, v18
	v_accvgpr_write_b32 a14, v26
	;; [unrolled: 1-line block ×5, first 2 shown]
	global_load_dwordx2 v[26:27], v[26:27], off
	v_accvgpr_write_b32 a25, v37
	global_load_dwordx2 v[36:37], v[36:37], off
	v_lshlrev_b64 v[18:19], 3, v[2:3]
	v_add_co_u32_e32 v124, vcc, s4, v18
	v_addc_co_u32_e32 v125, vcc, v1, v19, vcc
	global_load_dwordx2 v[18:19], v[22:23], off
	v_accvgpr_write_b32 a10, v22
	v_accvgpr_write_b32 a18, v30
	;; [unrolled: 1-line block ×4, first 2 shown]
	global_load_dwordx2 v[30:31], v[30:31], off
	v_add_u32_e32 v2, s7, v2
	global_load_dwordx2 v[22:23], v[24:25], off
	v_ashrrev_i32_e32 v3, 31, v2
	v_accvgpr_write_b32 a12, v24
	v_accvgpr_write_b32 a20, v32
	;; [unrolled: 1-line block ×4, first 2 shown]
	global_load_dwordx2 v[32:33], v[32:33], off
	v_lshlrev_b64 v[24:25], 3, v[2:3]
	v_add_co_u32_e32 v224, vcc, s4, v24
	v_addc_co_u32_e32 v225, vcc, v1, v25, vcc
	global_load_dwordx2 v[24:25], v[28:29], off
	v_add_u32_e32 v2, s7, v2
	v_accvgpr_write_b32 a16, v28
	v_ashrrev_i32_e32 v3, 31, v2
	v_accvgpr_write_b32 a30, v42
	v_accvgpr_write_b32 a17, v29
	v_accvgpr_write_b32 a31, v43
	global_load_dwordx2 v[42:43], v[42:43], off
	v_lshlrev_b64 v[28:29], 3, v[2:3]
	v_add_co_u32_e32 v226, vcc, s4, v28
	v_addc_co_u32_e32 v227, vcc, v1, v29, vcc
	global_load_dwordx2 v[28:29], v[34:35], off
	v_add_u32_e32 v2, s7, v2
	v_ashrrev_i32_e32 v3, 31, v2
	v_accvgpr_write_b32 a22, v34
	v_accvgpr_write_b32 a23, v35
	v_lshlrev_b64 v[34:35], 3, v[2:3]
	v_add_co_u32_e32 v232, vcc, s4, v34
	v_addc_co_u32_e32 v233, vcc, v1, v35, vcc
	global_load_dwordx2 v[34:35], v[38:39], off
	v_accvgpr_write_b32 a26, v38
	v_accvgpr_write_b32 a27, v39
	global_load_dwordx2 v[38:39], v[40:41], off
	v_add_u32_e32 v2, s7, v2
	v_ashrrev_i32_e32 v3, 31, v2
	v_accvgpr_write_b32 a28, v40
	v_accvgpr_write_b32 a29, v41
	v_lshlrev_b64 v[40:41], 3, v[2:3]
	v_add_co_u32_e32 v234, vcc, s4, v40
	v_add_u32_e32 v2, s7, v2
	v_addc_co_u32_e32 v235, vcc, v1, v41, vcc
	global_load_dwordx2 v[40:41], v[44:45], off
	v_ashrrev_i32_e32 v3, 31, v2
	v_lshlrev_b64 v[2:3], 3, v[2:3]
	v_add_co_u32_e32 v236, vcc, s4, v2
	v_accvgpr_write_b32 a32, v44
	v_addc_co_u32_e32 v237, vcc, v1, v3, vcc
	global_load_dwordx2 v[2:3], v[236:237], off
	v_accvgpr_write_b32 a33, v45
	global_load_dwordx2 v[44:45], v[46:47], off
	v_accvgpr_write_b32 a34, v46
	v_accvgpr_write_b32 a35, v47
	global_load_dwordx2 v[46:47], v[48:49], off
	v_accvgpr_write_b32 a36, v48
	;; [unrolled: 3-line block ×3, first 2 shown]
	s_waitcnt vmcnt(22)
	buffer_store_dword v5, off, s[0:3], 0 offset:4
	buffer_store_dword v4, off, s[0:3], 0
	s_waitcnt vmcnt(23)
	buffer_store_dword v9, off, s[0:3], 0 offset:12
	buffer_store_dword v8, off, s[0:3], 0 offset:8
	global_load_dwordx2 v[4:5], v[52:53], off
	s_waitcnt vmcnt(25)
	buffer_store_dword v11, off, s[0:3], 0 offset:20
	buffer_store_dword v10, off, s[0:3], 0 offset:16
	global_load_dwordx2 v[8:9], v[54:55], off
	v_accvgpr_write_b32 a39, v51
	global_load_dwordx2 v[10:11], v[56:57], off
	global_load_dwordx2 v[50:51], v[60:61], off
	v_accvgpr_write_b32 a40, v52
	s_waitcnt vmcnt(29)
	buffer_store_dword v15, off, s[0:3], 0 offset:28
	buffer_store_dword v14, off, s[0:3], 0 offset:24
	global_load_dwordx2 v[14:15], v[58:59], off
	v_accvgpr_write_b32 a41, v53
	s_waitcnt vmcnt(31)
	buffer_store_dword v17, off, s[0:3], 0 offset:36
	buffer_store_dword v16, off, s[0:3], 0 offset:32
	global_load_dwordx2 v[16:17], v[62:63], off
	v_accvgpr_write_b32 a42, v54
	global_load_dwordx2 v[52:53], v[64:65], off
	v_accvgpr_write_b32 a43, v55
	s_waitcnt vmcnt(34)
	buffer_store_dword v13, off, s[0:3], 0 offset:44
	buffer_store_dword v12, off, s[0:3], 0 offset:40
	global_load_dwordx2 v[12:13], v[66:67], off
	v_accvgpr_write_b32 a44, v56
	;; [unrolled: 7-line block ×5, first 2 shown]
	global_load_dwordx2 v[60:61], v[80:81], off
	v_accvgpr_write_b32 a51, v63
	buffer_store_dword v26, off, s[0:3], 0 offset:72
	buffer_store_dword v27, off, s[0:3], 0 offset:76
	global_load_dwordx2 v[26:27], v[82:83], off
	v_accvgpr_write_b32 a52, v64
	global_load_dwordx2 v[62:63], v[84:85], off
	v_accvgpr_write_b32 a53, v65
	s_waitcnt vmcnt(46)
	buffer_store_dword v24, off, s[0:3], 0 offset:80
	buffer_store_dword v25, off, s[0:3], 0 offset:84
	global_load_dwordx2 v[24:25], v[86:87], off
	v_accvgpr_write_b32 a54, v66
	global_load_dwordx2 v[64:65], v[88:89], off
	v_accvgpr_write_b32 a55, v67
	buffer_store_dword v30, off, s[0:3], 0 offset:88
	buffer_store_dword v31, off, s[0:3], 0 offset:92
	global_load_dwordx2 v[30:31], v[90:91], off
	v_accvgpr_write_b32 a56, v68
	global_load_dwordx2 v[66:67], v[92:93], off
	v_accvgpr_write_b32 a57, v69
	;; [unrolled: 6-line block ×3, first 2 shown]
	s_waitcnt vmcnt(56)
	buffer_store_dword v28, off, s[0:3], 0 offset:104
	buffer_store_dword v29, off, s[0:3], 0 offset:108
	global_load_dwordx2 v[28:29], v[98:99], off
	v_accvgpr_write_b32 a60, v72
	global_load_dwordx2 v[70:71], v[100:101], off
	v_accvgpr_write_b32 a61, v73
	buffer_store_dword v37, off, s[0:3], 0 offset:116
	buffer_store_dword v36, off, s[0:3], 0 offset:112
	global_load_dwordx2 v[36:37], v[102:103], off
	v_accvgpr_write_b32 a62, v74
	global_load_dwordx2 v[72:73], v[104:105], off
	v_accvgpr_write_b32 a63, v75
	s_waitcnt vmcnt(62)
	buffer_store_dword v34, off, s[0:3], 0 offset:120
	buffer_store_dword v35, off, s[0:3], 0 offset:124
	global_load_dwordx2 v[34:35], v[106:107], off
	v_accvgpr_write_b32 a64, v76
	global_load_dwordx2 v[74:75], v[108:109], off
	v_accvgpr_write_b32 a65, v77
	buffer_store_dword v38, off, s[0:3], 0 offset:128
	buffer_store_dword v39, off, s[0:3], 0 offset:132
	global_load_dwordx2 v[38:39], v[110:111], off
	v_accvgpr_write_b32 a66, v78
	global_load_dwordx2 v[76:77], v[112:113], off
	v_accvgpr_write_b32 a67, v79
	;; [unrolled: 6-line block ×3, first 2 shown]
	s_waitcnt vmcnt(62)
	buffer_store_dword v40, off, s[0:3], 0 offset:144
	buffer_store_dword v41, off, s[0:3], 0 offset:148
	global_load_dwordx2 v[40:41], v[118:119], off
	v_accvgpr_write_b32 a70, v82
	global_load_dwordx2 v[80:81], v[120:121], off
	v_accvgpr_write_b32 a71, v83
	buffer_store_dword v45, off, s[0:3], 0 offset:156
	buffer_store_dword v44, off, s[0:3], 0 offset:152
	global_load_dwordx2 v[44:45], v[122:123], off
	v_accvgpr_write_b32 a72, v84
	global_load_dwordx2 v[82:83], v[124:125], off
	v_accvgpr_write_b32 a73, v85
	;; [unrolled: 6-line block ×3, first 2 shown]
	buffer_store_dword v48, off, s[0:3], 0 offset:168
	buffer_store_dword v49, off, s[0:3], 0 offset:172
	global_load_dwordx2 v[48:49], v[232:233], off
	v_accvgpr_write_b32 a78, v90
	v_accvgpr_write_b32 a80, v92
	;; [unrolled: 1-line block ×19, first 2 shown]
	global_load_dwordx2 v[86:87], v[234:235], off
	v_accvgpr_write_b32 a77, v89
	v_accvgpr_write_b32 a79, v91
	;; [unrolled: 1-line block ×19, first 2 shown]
	s_bitcmp0_b32 s22, 0
	s_mov_b64 s[6:7], -1
	buffer_store_dword v4, off, s[0:3], 0 offset:176
	buffer_store_dword v5, off, s[0:3], 0 offset:180
	s_waitcnt vmcnt(62)
	buffer_store_dword v8, off, s[0:3], 0 offset:184
	buffer_store_dword v9, off, s[0:3], 0 offset:188
	buffer_store_dword v10, off, s[0:3], 0 offset:192
	buffer_store_dword v11, off, s[0:3], 0 offset:196
	buffer_store_dword v15, off, s[0:3], 0 offset:204
	buffer_store_dword v14, off, s[0:3], 0 offset:200
	buffer_store_dword v51, off, s[0:3], 0 offset:212
	buffer_store_dword v50, off, s[0:3], 0 offset:208
	buffer_store_dword v16, off, s[0:3], 0 offset:216
	buffer_store_dword v17, off, s[0:3], 0 offset:220
	buffer_store_dword v52, off, s[0:3], 0 offset:224
	buffer_store_dword v53, off, s[0:3], 0 offset:228
	buffer_store_dword v12, off, s[0:3], 0 offset:232
	buffer_store_dword v13, off, s[0:3], 0 offset:236
	buffer_store_dword v54, off, s[0:3], 0 offset:240
	buffer_store_dword v55, off, s[0:3], 0 offset:244
	buffer_store_dword v21, off, s[0:3], 0 offset:252
	buffer_store_dword v20, off, s[0:3], 0 offset:248
	buffer_store_dword v57, off, s[0:3], 0 offset:260
	buffer_store_dword v56, off, s[0:3], 0 offset:256
	s_waitcnt vmcnt(62)
	buffer_store_dword v18, off, s[0:3], 0 offset:264
	buffer_store_dword v19, off, s[0:3], 0 offset:268
	buffer_store_dword v58, off, s[0:3], 0 offset:272
	buffer_store_dword v59, off, s[0:3], 0 offset:276
	buffer_store_dword v22, off, s[0:3], 0 offset:280
	buffer_store_dword v23, off, s[0:3], 0 offset:284
	buffer_store_dword v60, off, s[0:3], 0 offset:288
	buffer_store_dword v61, off, s[0:3], 0 offset:292
	buffer_store_dword v27, off, s[0:3], 0 offset:300
	buffer_store_dword v26, off, s[0:3], 0 offset:296
	buffer_store_dword v63, off, s[0:3], 0 offset:308
	buffer_store_dword v62, off, s[0:3], 0 offset:304
	buffer_store_dword v24, off, s[0:3], 0 offset:312
	buffer_store_dword v25, off, s[0:3], 0 offset:316
	buffer_store_dword v64, off, s[0:3], 0 offset:320
	buffer_store_dword v65, off, s[0:3], 0 offset:324
	buffer_store_dword v30, off, s[0:3], 0 offset:328
	buffer_store_dword v31, off, s[0:3], 0 offset:332
	;; [unrolled: 21-line block ×4, first 2 shown]
	buffer_store_dword v87, off, s[0:3], 0 offset:500
	buffer_store_dword v86, off, s[0:3], 0 offset:496
	;; [unrolled: 1-line block ×4, first 2 shown]
	s_cbranch_scc1 .LBB63_268
; %bb.4:
	v_cmp_eq_u32_e64 s[4:5], 0, v0
	s_and_saveexec_b64 s[6:7], s[4:5]
	s_cbranch_execz .LBB63_6
; %bb.5:
	v_mov_b32_e32 v1, 0
	ds_write_b32 v1, v1 offset:1024
.LBB63_6:
	s_or_b64 exec, exec, s[6:7]
	v_mov_b32_e32 v1, 0
	v_lshl_add_u32 v7, v0, 3, v1
	s_waitcnt lgkmcnt(0)
	; wave barrier
	s_waitcnt lgkmcnt(0)
	buffer_load_dword v1, v7, s[0:3], 0 offen
	buffer_load_dword v2, v7, s[0:3], 0 offen offset:4
	s_waitcnt vmcnt(1)
	v_cmp_eq_f32_e32 vcc, 0, v1
	s_waitcnt vmcnt(0)
	v_cmp_eq_f32_e64 s[6:7], 0, v2
	s_and_b64 s[6:7], vcc, s[6:7]
	s_and_saveexec_b64 s[12:13], s[6:7]
	s_cbranch_execz .LBB63_10
; %bb.7:
	v_mov_b32_e32 v1, 0
	ds_read_b32 v3, v1 offset:1024
	v_add_u32_e32 v2, 1, v0
	s_waitcnt lgkmcnt(0)
	v_readfirstlane_b32 s6, v3
	s_cmp_eq_u32 s6, 0
	s_cselect_b64 s[16:17], -1, 0
	v_cmp_gt_i32_e32 vcc, s6, v2
	s_or_b64 s[16:17], s[16:17], vcc
	s_and_b64 exec, exec, s[16:17]
	s_cbranch_execz .LBB63_10
; %bb.8:
	s_mov_b64 s[16:17], 0
	v_mov_b32_e32 v3, s6
.LBB63_9:                               ; =>This Inner Loop Header: Depth=1
	ds_cmpst_rtn_b32 v3, v1, v3, v2 offset:1024
	s_waitcnt lgkmcnt(0)
	v_cmp_ne_u32_e32 vcc, 0, v3
	v_cmp_le_i32_e64 s[6:7], v3, v2
	s_and_b64 s[6:7], vcc, s[6:7]
	s_and_b64 s[6:7], exec, s[6:7]
	s_or_b64 s[16:17], s[6:7], s[16:17]
	s_andn2_b64 exec, exec, s[16:17]
	s_cbranch_execnz .LBB63_9
.LBB63_10:
	s_or_b64 exec, exec, s[12:13]
	v_mov_b32_e32 v2, 0
	s_waitcnt lgkmcnt(0)
	; wave barrier
	ds_read_b32 v1, v2 offset:1024
	s_and_saveexec_b64 s[6:7], s[4:5]
	s_cbranch_execz .LBB63_12
; %bb.11:
	s_lshl_b64 s[12:13], s[8:9], 2
	s_add_u32 s12, s14, s12
	s_addc_u32 s13, s15, s13
	s_waitcnt lgkmcnt(0)
	global_store_dword v2, v1, s[12:13]
.LBB63_12:
	s_or_b64 exec, exec, s[6:7]
	s_waitcnt lgkmcnt(0)
	v_cmp_ne_u32_e32 vcc, 0, v1
	s_mov_b64 s[6:7], 0
	s_cbranch_vccnz .LBB63_268
; %bb.13:
	buffer_load_dword v8, v7, s[0:3], 0 offen offset:4
	buffer_load_dword v3, v7, s[0:3], 0 offen
	s_waitcnt vmcnt(1)
	v_cmp_gt_f32_e32 vcc, 0, v8
	v_cndmask_b32_e64 v1, v8, -v8, vcc
	s_waitcnt vmcnt(0)
	v_cmp_gt_f32_e32 vcc, 0, v3
	v_cndmask_b32_e64 v2, v3, -v3, vcc
	v_cmp_ngt_f32_e32 vcc, v2, v1
                                        ; implicit-def: $vgpr1
                                        ; implicit-def: $vgpr2
	s_and_saveexec_b64 s[6:7], vcc
	s_xor_b64 s[6:7], exec, s[6:7]
                                        ; implicit-def: $vgpr4_vgpr5
	s_cbranch_execz .LBB63_15
; %bb.14:
	v_div_scale_f32 v1, s[12:13], v8, v8, v3
	v_rcp_f32_e32 v2, v1
	v_div_scale_f32 v4, vcc, v3, v8, v3
	v_fma_f32 v5, -v1, v2, 1.0
	v_fmac_f32_e32 v2, v5, v2
	v_mul_f32_e32 v5, v4, v2
	v_fma_f32 v9, -v1, v5, v4
	v_fmac_f32_e32 v5, v9, v2
	v_fma_f32 v1, -v1, v5, v4
	v_div_fmas_f32 v1, v1, v2, v5
	v_div_fixup_f32 v2, v1, v8, v3
	v_fmac_f32_e32 v8, v3, v2
	v_div_scale_f32 v1, s[12:13], v8, v8, -1.0
	v_rcp_f32_e32 v3, v1
	v_fma_f32 v4, -v1, v3, 1.0
	v_fmac_f32_e32 v3, v4, v3
	v_div_scale_f32 v4, vcc, -1.0, v8, -1.0
	v_mul_f32_e32 v5, v4, v3
	v_fma_f32 v9, -v1, v5, v4
	v_fmac_f32_e32 v5, v9, v3
	v_fma_f32 v1, -v1, v5, v4
	v_div_fmas_f32 v1, v1, v3, v5
	v_div_fixup_f32 v1, v1, v8, -1.0
	v_mul_f32_e32 v2, v2, v1
	v_xor_b32_e32 v4, 0x80000000, v2
                                        ; implicit-def: $vgpr3
                                        ; implicit-def: $vgpr8
.LBB63_15:
	s_andn2_saveexec_b64 s[6:7], s[6:7]
	s_cbranch_execz .LBB63_17
; %bb.16:
	v_div_scale_f32 v1, s[12:13], v3, v3, v8
	v_rcp_f32_e32 v2, v1
	v_div_scale_f32 v4, vcc, v8, v3, v8
	v_fma_f32 v5, -v1, v2, 1.0
	v_fmac_f32_e32 v2, v5, v2
	v_mul_f32_e32 v5, v4, v2
	v_fma_f32 v9, -v1, v5, v4
	v_fmac_f32_e32 v5, v9, v2
	v_fma_f32 v1, -v1, v5, v4
	v_div_fmas_f32 v1, v1, v2, v5
	v_div_fixup_f32 v1, v1, v3, v8
	v_fmac_f32_e32 v3, v8, v1
	v_div_scale_f32 v2, s[12:13], v3, v3, 1.0
	v_rcp_f32_e32 v4, v2
	v_fma_f32 v5, -v2, v4, 1.0
	v_fmac_f32_e32 v4, v5, v4
	v_div_scale_f32 v5, vcc, 1.0, v3, 1.0
	v_mul_f32_e32 v8, v5, v4
	v_fma_f32 v9, -v2, v8, v5
	v_fmac_f32_e32 v8, v9, v4
	v_fma_f32 v2, -v2, v8, v5
	v_div_fmas_f32 v2, v2, v4, v8
	v_div_fixup_f32 v4, v2, v3, 1.0
	v_xor_b32_e32 v2, 0x80000000, v4
	v_mul_f32_e64 v1, v1, -v4
.LBB63_17:
	s_or_b64 exec, exec, s[6:7]
	buffer_store_dword v1, v7, s[0:3], 0 offen offset:4
	buffer_store_dword v4, v7, s[0:3], 0 offen
	buffer_load_dword v5, off, s[0:3], 0 offset:12
	s_nop 0
	buffer_load_dword v4, off, s[0:3], 0 offset:8
	v_xor_b32_e32 v3, 0x80000000, v1
	v_or_b32_e32 v1, 0x200, v6
	s_waitcnt vmcnt(0)
	ds_write2st64_b64 v6, v[2:3], v[4:5] offset1:1
	s_waitcnt lgkmcnt(0)
	; wave barrier
	s_waitcnt lgkmcnt(0)
	s_and_saveexec_b64 s[6:7], s[4:5]
	s_cbranch_execz .LBB63_19
; %bb.18:
	buffer_load_dword v8, v7, s[0:3], 0 offen offset:4
	buffer_load_dword v9, v7, s[0:3], 0 offen
	ds_read_b64 v[2:3], v1
	v_mov_b32_e32 v4, 0
	ds_read_b64 v[4:5], v4 offset:8
	s_waitcnt vmcnt(1) lgkmcnt(1)
	v_mul_f32_e32 v10, v3, v8
	v_mul_f32_e32 v8, v2, v8
	s_waitcnt vmcnt(0)
	v_fmac_f32_e32 v8, v3, v9
	v_fma_f32 v2, v2, v9, -v10
	v_add_f32_e32 v3, 0, v8
	v_add_f32_e32 v2, 0, v2
	s_waitcnt lgkmcnt(0)
	v_mul_f32_e32 v8, v3, v5
	v_mul_f32_e32 v5, v2, v5
	v_fma_f32 v2, v2, v4, -v8
	v_fmac_f32_e32 v5, v3, v4
	buffer_store_dword v2, off, s[0:3], 0 offset:8
	buffer_store_dword v5, off, s[0:3], 0 offset:12
.LBB63_19:
	s_or_b64 exec, exec, s[6:7]
	s_waitcnt lgkmcnt(0)
	; wave barrier
	buffer_load_dword v2, off, s[0:3], 0 offset:16
	buffer_load_dword v3, off, s[0:3], 0 offset:20
	v_cmp_gt_u32_e32 vcc, 2, v0
	s_waitcnt vmcnt(0)
	ds_write_b64 v1, v[2:3]
	s_waitcnt lgkmcnt(0)
	; wave barrier
	s_waitcnt lgkmcnt(0)
	s_and_saveexec_b64 s[6:7], vcc
	s_cbranch_execz .LBB63_23
; %bb.20:
	buffer_load_dword v4, v7, s[0:3], 0 offen offset:4
	buffer_load_dword v5, v7, s[0:3], 0 offen
	ds_read_b64 v[2:3], v1
	s_waitcnt vmcnt(1) lgkmcnt(0)
	v_mul_f32_e32 v7, v3, v4
	v_mul_f32_e32 v4, v2, v4
	s_waitcnt vmcnt(0)
	v_fma_f32 v2, v2, v5, -v7
	v_fmac_f32_e32 v4, v3, v5
	v_add_f32_e32 v3, 0, v2
	v_add_f32_e32 v2, 0, v4
	s_and_saveexec_b64 s[12:13], s[4:5]
	s_cbranch_execz .LBB63_22
; %bb.21:
	buffer_load_dword v7, off, s[0:3], 0 offset:12
	buffer_load_dword v8, off, s[0:3], 0 offset:8
	v_mov_b32_e32 v4, 0
	ds_read_b64 v[4:5], v4 offset:520
	s_waitcnt vmcnt(1) lgkmcnt(0)
	v_mul_f32_e32 v9, v4, v7
	v_mul_f32_e32 v7, v5, v7
	s_waitcnt vmcnt(0)
	v_fmac_f32_e32 v9, v5, v8
	v_fma_f32 v4, v4, v8, -v7
	v_add_f32_e32 v2, v2, v9
	v_add_f32_e32 v3, v3, v4
.LBB63_22:
	s_or_b64 exec, exec, s[12:13]
	v_mov_b32_e32 v4, 0
	ds_read_b64 v[4:5], v4 offset:16
	s_waitcnt lgkmcnt(0)
	v_mul_f32_e32 v7, v2, v5
	v_mul_f32_e32 v5, v3, v5
	v_fma_f32 v3, v3, v4, -v7
	v_fmac_f32_e32 v5, v2, v4
	buffer_store_dword v3, off, s[0:3], 0 offset:16
	buffer_store_dword v5, off, s[0:3], 0 offset:20
.LBB63_23:
	s_or_b64 exec, exec, s[6:7]
	s_waitcnt lgkmcnt(0)
	; wave barrier
	buffer_load_dword v2, off, s[0:3], 0 offset:24
	buffer_load_dword v3, off, s[0:3], 0 offset:28
	v_cmp_gt_u32_e32 vcc, 3, v0
	s_waitcnt vmcnt(0)
	ds_write_b64 v1, v[2:3]
	v_add_u32_e32 v2, -1, v0
	s_waitcnt lgkmcnt(0)
	; wave barrier
	s_waitcnt lgkmcnt(0)
	s_and_saveexec_b64 s[4:5], vcc
	s_cbranch_execz .LBB63_27
; %bb.24:
	v_add_u32_e32 v4, -1, v0
	v_or_b32_e32 v5, 0x200, v6
	v_add_u32_e32 v7, 0, v6
	s_mov_b64 s[6:7], 0
	v_mov_b32_e32 v3, 0
	v_mov_b32_e32 v8, 0
.LBB63_25:                              ; =>This Inner Loop Header: Depth=1
	buffer_load_dword v9, v7, s[0:3], 0 offen offset:4
	buffer_load_dword v12, v7, s[0:3], 0 offen
	ds_read_b64 v[10:11], v5
	v_add_u32_e32 v4, 1, v4
	v_cmp_lt_u32_e32 vcc, 1, v4
	v_add_u32_e32 v5, 8, v5
	v_add_u32_e32 v7, 8, v7
	s_or_b64 s[6:7], vcc, s[6:7]
	s_waitcnt vmcnt(1) lgkmcnt(0)
	v_mul_f32_e32 v13, v11, v9
	v_mul_f32_e32 v9, v10, v9
	s_waitcnt vmcnt(0)
	v_fma_f32 v10, v10, v12, -v13
	v_fmac_f32_e32 v9, v11, v12
	v_add_f32_e32 v8, v8, v10
	v_add_f32_e32 v3, v3, v9
	s_andn2_b64 exec, exec, s[6:7]
	s_cbranch_execnz .LBB63_25
; %bb.26:
	s_or_b64 exec, exec, s[6:7]
	v_mov_b32_e32 v4, 0
	ds_read_b64 v[4:5], v4 offset:24
	s_waitcnt lgkmcnt(0)
	v_mul_f32_e32 v7, v3, v5
	v_mul_f32_e32 v5, v8, v5
	v_fma_f32 v7, v8, v4, -v7
	v_fmac_f32_e32 v5, v3, v4
	buffer_store_dword v7, off, s[0:3], 0 offset:24
	buffer_store_dword v5, off, s[0:3], 0 offset:28
.LBB63_27:
	s_or_b64 exec, exec, s[4:5]
	s_waitcnt lgkmcnt(0)
	; wave barrier
	buffer_load_dword v4, off, s[0:3], 0 offset:32
	buffer_load_dword v5, off, s[0:3], 0 offset:36
	v_cmp_gt_u32_e32 vcc, 4, v0
	s_waitcnt vmcnt(0)
	ds_write_b64 v1, v[4:5]
	s_waitcnt lgkmcnt(0)
	; wave barrier
	s_waitcnt lgkmcnt(0)
	s_and_saveexec_b64 s[4:5], vcc
	s_cbranch_execz .LBB63_31
; %bb.28:
	v_add_u32_e32 v4, -1, v0
	v_or_b32_e32 v5, 0x200, v6
	v_add_u32_e32 v7, 0, v6
	s_mov_b64 s[6:7], 0
	v_mov_b32_e32 v3, 0
	v_mov_b32_e32 v8, 0
.LBB63_29:                              ; =>This Inner Loop Header: Depth=1
	buffer_load_dword v9, v7, s[0:3], 0 offen offset:4
	buffer_load_dword v12, v7, s[0:3], 0 offen
	ds_read_b64 v[10:11], v5
	v_add_u32_e32 v4, 1, v4
	v_cmp_lt_u32_e32 vcc, 2, v4
	v_add_u32_e32 v5, 8, v5
	v_add_u32_e32 v7, 8, v7
	s_or_b64 s[6:7], vcc, s[6:7]
	s_waitcnt vmcnt(1) lgkmcnt(0)
	v_mul_f32_e32 v13, v11, v9
	v_mul_f32_e32 v9, v10, v9
	s_waitcnt vmcnt(0)
	v_fma_f32 v10, v10, v12, -v13
	v_fmac_f32_e32 v9, v11, v12
	v_add_f32_e32 v8, v8, v10
	v_add_f32_e32 v3, v3, v9
	s_andn2_b64 exec, exec, s[6:7]
	s_cbranch_execnz .LBB63_29
; %bb.30:
	s_or_b64 exec, exec, s[6:7]
	v_mov_b32_e32 v4, 0
	ds_read_b64 v[4:5], v4 offset:32
	s_waitcnt lgkmcnt(0)
	v_mul_f32_e32 v7, v3, v5
	v_mul_f32_e32 v5, v8, v5
	v_fma_f32 v7, v8, v4, -v7
	v_fmac_f32_e32 v5, v3, v4
	buffer_store_dword v7, off, s[0:3], 0 offset:32
	buffer_store_dword v5, off, s[0:3], 0 offset:36
.LBB63_31:
	s_or_b64 exec, exec, s[4:5]
	s_waitcnt lgkmcnt(0)
	; wave barrier
	buffer_load_dword v4, off, s[0:3], 0 offset:40
	buffer_load_dword v5, off, s[0:3], 0 offset:44
	v_cmp_gt_u32_e32 vcc, 5, v0
	s_waitcnt vmcnt(0)
	ds_write_b64 v1, v[4:5]
	;; [unrolled: 51-line block ×19, first 2 shown]
	s_waitcnt lgkmcnt(0)
	; wave barrier
	s_waitcnt lgkmcnt(0)
	s_and_saveexec_b64 s[4:5], vcc
	s_cbranch_execz .LBB63_103
; %bb.100:
	v_add_u32_e32 v4, -1, v0
	v_or_b32_e32 v5, 0x200, v6
	v_add_u32_e32 v7, 0, v6
	s_mov_b64 s[6:7], 0
	v_mov_b32_e32 v3, 0
	v_mov_b32_e32 v8, 0
.LBB63_101:                             ; =>This Inner Loop Header: Depth=1
	buffer_load_dword v9, v7, s[0:3], 0 offen offset:4
	buffer_load_dword v12, v7, s[0:3], 0 offen
	ds_read_b64 v[10:11], v5
	v_add_u32_e32 v4, 1, v4
	v_cmp_lt_u32_e32 vcc, 20, v4
	v_add_u32_e32 v5, 8, v5
	v_add_u32_e32 v7, 8, v7
	s_or_b64 s[6:7], vcc, s[6:7]
	s_waitcnt vmcnt(1) lgkmcnt(0)
	v_mul_f32_e32 v13, v11, v9
	v_mul_f32_e32 v9, v10, v9
	s_waitcnt vmcnt(0)
	v_fma_f32 v10, v10, v12, -v13
	v_fmac_f32_e32 v9, v11, v12
	v_add_f32_e32 v8, v8, v10
	v_add_f32_e32 v3, v3, v9
	s_andn2_b64 exec, exec, s[6:7]
	s_cbranch_execnz .LBB63_101
; %bb.102:
	s_or_b64 exec, exec, s[6:7]
	v_mov_b32_e32 v4, 0
	ds_read_b64 v[4:5], v4 offset:176
	s_waitcnt lgkmcnt(0)
	v_mul_f32_e32 v7, v3, v5
	v_mul_f32_e32 v5, v8, v5
	v_fma_f32 v7, v8, v4, -v7
	v_fmac_f32_e32 v5, v3, v4
	buffer_store_dword v7, off, s[0:3], 0 offset:176
	buffer_store_dword v5, off, s[0:3], 0 offset:180
.LBB63_103:
	s_or_b64 exec, exec, s[4:5]
	s_waitcnt lgkmcnt(0)
	; wave barrier
	buffer_load_dword v4, off, s[0:3], 0 offset:184
	buffer_load_dword v5, off, s[0:3], 0 offset:188
	v_cmp_gt_u32_e32 vcc, 23, v0
	s_waitcnt vmcnt(0)
	ds_write_b64 v1, v[4:5]
	s_waitcnt lgkmcnt(0)
	; wave barrier
	s_waitcnt lgkmcnt(0)
	s_and_saveexec_b64 s[4:5], vcc
	s_cbranch_execz .LBB63_107
; %bb.104:
	v_add_u32_e32 v4, -1, v0
	v_or_b32_e32 v5, 0x200, v6
	v_add_u32_e32 v7, 0, v6
	s_mov_b64 s[6:7], 0
	v_mov_b32_e32 v3, 0
	v_mov_b32_e32 v8, 0
.LBB63_105:                             ; =>This Inner Loop Header: Depth=1
	buffer_load_dword v9, v7, s[0:3], 0 offen offset:4
	buffer_load_dword v12, v7, s[0:3], 0 offen
	ds_read_b64 v[10:11], v5
	v_add_u32_e32 v4, 1, v4
	v_cmp_lt_u32_e32 vcc, 21, v4
	v_add_u32_e32 v5, 8, v5
	v_add_u32_e32 v7, 8, v7
	s_or_b64 s[6:7], vcc, s[6:7]
	s_waitcnt vmcnt(1) lgkmcnt(0)
	v_mul_f32_e32 v13, v11, v9
	v_mul_f32_e32 v9, v10, v9
	s_waitcnt vmcnt(0)
	v_fma_f32 v10, v10, v12, -v13
	v_fmac_f32_e32 v9, v11, v12
	v_add_f32_e32 v8, v8, v10
	v_add_f32_e32 v3, v3, v9
	s_andn2_b64 exec, exec, s[6:7]
	s_cbranch_execnz .LBB63_105
; %bb.106:
	s_or_b64 exec, exec, s[6:7]
	v_mov_b32_e32 v4, 0
	ds_read_b64 v[4:5], v4 offset:184
	s_waitcnt lgkmcnt(0)
	v_mul_f32_e32 v7, v3, v5
	v_mul_f32_e32 v5, v8, v5
	v_fma_f32 v7, v8, v4, -v7
	v_fmac_f32_e32 v5, v3, v4
	buffer_store_dword v7, off, s[0:3], 0 offset:184
	buffer_store_dword v5, off, s[0:3], 0 offset:188
.LBB63_107:
	s_or_b64 exec, exec, s[4:5]
	s_waitcnt lgkmcnt(0)
	; wave barrier
	buffer_load_dword v4, off, s[0:3], 0 offset:192
	buffer_load_dword v5, off, s[0:3], 0 offset:196
	v_cmp_gt_u32_e32 vcc, 24, v0
	s_waitcnt vmcnt(0)
	ds_write_b64 v1, v[4:5]
	;; [unrolled: 51-line block ×40, first 2 shown]
	s_waitcnt lgkmcnt(0)
	; wave barrier
	s_waitcnt lgkmcnt(0)
	s_and_saveexec_b64 s[4:5], vcc
	s_cbranch_execz .LBB63_263
; %bb.260:
	v_add_u32_e32 v4, -1, v0
	v_or_b32_e32 v5, 0x200, v6
	v_add_u32_e32 v7, 0, v6
	s_mov_b64 s[6:7], 0
	v_mov_b32_e32 v3, 0
	v_mov_b32_e32 v8, 0
.LBB63_261:                             ; =>This Inner Loop Header: Depth=1
	buffer_load_dword v9, v7, s[0:3], 0 offen offset:4
	buffer_load_dword v12, v7, s[0:3], 0 offen
	ds_read_b64 v[10:11], v5
	v_add_u32_e32 v4, 1, v4
	v_cmp_lt_u32_e32 vcc, 60, v4
	v_add_u32_e32 v5, 8, v5
	v_add_u32_e32 v7, 8, v7
	s_or_b64 s[6:7], vcc, s[6:7]
	s_waitcnt vmcnt(1) lgkmcnt(0)
	v_mul_f32_e32 v13, v11, v9
	v_mul_f32_e32 v9, v10, v9
	s_waitcnt vmcnt(0)
	v_fma_f32 v10, v10, v12, -v13
	v_fmac_f32_e32 v9, v11, v12
	v_add_f32_e32 v8, v8, v10
	v_add_f32_e32 v3, v3, v9
	s_andn2_b64 exec, exec, s[6:7]
	s_cbranch_execnz .LBB63_261
; %bb.262:
	s_or_b64 exec, exec, s[6:7]
	v_mov_b32_e32 v4, 0
	ds_read_b64 v[4:5], v4 offset:496
	s_waitcnt lgkmcnt(0)
	v_mul_f32_e32 v7, v3, v5
	v_mul_f32_e32 v5, v8, v5
	v_fma_f32 v7, v8, v4, -v7
	v_fmac_f32_e32 v5, v3, v4
	buffer_store_dword v7, off, s[0:3], 0 offset:496
	buffer_store_dword v5, off, s[0:3], 0 offset:500
.LBB63_263:
	s_or_b64 exec, exec, s[4:5]
	s_waitcnt lgkmcnt(0)
	; wave barrier
	buffer_load_dword v4, off, s[0:3], 0 offset:504
	buffer_load_dword v5, off, s[0:3], 0 offset:508
	v_cmp_ne_u32_e32 vcc, 63, v0
	s_waitcnt vmcnt(0)
	ds_write_b64 v1, v[4:5]
	s_waitcnt lgkmcnt(0)
	; wave barrier
	s_waitcnt lgkmcnt(0)
	s_and_saveexec_b64 s[4:5], vcc
	s_cbranch_execz .LBB63_267
; %bb.264:
	v_or_b32_e32 v3, 0x200, v6
	v_add_u32_e32 v4, 0, v6
	s_mov_b64 s[6:7], 0
	v_mov_b32_e32 v1, 0
	v_mov_b32_e32 v5, 0
.LBB63_265:                             ; =>This Inner Loop Header: Depth=1
	buffer_load_dword v8, v4, s[0:3], 0 offen offset:4
	buffer_load_dword v9, v4, s[0:3], 0 offen
	ds_read_b64 v[6:7], v3
	v_add_u32_e32 v2, 1, v2
	v_cmp_lt_u32_e32 vcc, 61, v2
	v_add_u32_e32 v3, 8, v3
	v_add_u32_e32 v4, 8, v4
	s_or_b64 s[6:7], vcc, s[6:7]
	s_waitcnt vmcnt(1) lgkmcnt(0)
	v_mul_f32_e32 v10, v7, v8
	v_mul_f32_e32 v8, v6, v8
	s_waitcnt vmcnt(0)
	v_fma_f32 v6, v6, v9, -v10
	v_fmac_f32_e32 v8, v7, v9
	v_add_f32_e32 v5, v5, v6
	v_add_f32_e32 v1, v1, v8
	s_andn2_b64 exec, exec, s[6:7]
	s_cbranch_execnz .LBB63_265
; %bb.266:
	s_or_b64 exec, exec, s[6:7]
	v_mov_b32_e32 v2, 0
	ds_read_b64 v[2:3], v2 offset:504
	s_waitcnt lgkmcnt(0)
	v_mul_f32_e32 v4, v1, v3
	v_mul_f32_e32 v3, v5, v3
	v_fma_f32 v4, v5, v2, -v4
	v_fmac_f32_e32 v3, v1, v2
	buffer_store_dword v4, off, s[0:3], 0 offset:504
	buffer_store_dword v3, off, s[0:3], 0 offset:508
.LBB63_267:
	s_or_b64 exec, exec, s[4:5]
	s_mov_b64 s[6:7], -1
	s_waitcnt lgkmcnt(0)
	; wave barrier
.LBB63_268:
	s_and_b64 vcc, exec, s[6:7]
	s_cbranch_vccz .LBB63_270
; %bb.269:
	s_lshl_b64 s[4:5], s[8:9], 2
	s_add_u32 s4, s14, s4
	s_addc_u32 s5, s15, s5
	v_mov_b32_e32 v1, 0
	global_load_dword v1, v1, s[4:5]
	s_waitcnt vmcnt(0)
	v_cmp_ne_u32_e32 vcc, 0, v1
	s_cbranch_vccz .LBB63_271
.LBB63_270:
	s_endpgm
.LBB63_271:
	v_mov_b32_e32 v1, 0x200
	v_lshl_or_b32 v223, v0, 3, v1
	v_cmp_eq_u32_e32 vcc, 63, v0
	s_and_saveexec_b64 s[4:5], vcc
	s_cbranch_execz .LBB63_273
; %bb.272:
	buffer_load_dword v2, off, s[0:3], 0 offset:496
	buffer_load_dword v3, off, s[0:3], 0 offset:500
	v_mov_b32_e32 v1, 0
	buffer_store_dword v1, off, s[0:3], 0 offset:496
	buffer_store_dword v1, off, s[0:3], 0 offset:500
	s_waitcnt vmcnt(2)
	ds_write_b64 v223, v[2:3]
.LBB63_273:
	s_or_b64 exec, exec, s[4:5]
	s_waitcnt lgkmcnt(0)
	; wave barrier
	s_waitcnt lgkmcnt(0)
	buffer_load_dword v3, off, s[0:3], 0 offset:508
	buffer_load_dword v2, off, s[0:3], 0 offset:504
	;; [unrolled: 1-line block ×4, first 2 shown]
	v_mov_b32_e32 v1, 0
	ds_read_b64 v[6:7], v1 offset:1016
	v_cmp_lt_u32_e32 vcc, 61, v0
	s_waitcnt vmcnt(3)
	v_mov_b32_e32 v8, v3
	s_waitcnt lgkmcnt(0)
	v_pk_mul_f32 v[8:9], v[6:7], v[8:9] op_sel_hi:[1,0]
	s_waitcnt vmcnt(2)
	v_pk_fma_f32 v[10:11], v[6:7], v[2:3], v[8:9] op_sel:[0,0,1] op_sel_hi:[1,1,0] neg_lo:[0,0,1] neg_hi:[0,0,1]
	v_pk_fma_f32 v[2:3], v[6:7], v[2:3], v[8:9] op_sel:[0,0,1] op_sel_hi:[1,0,0]
	v_mov_b32_e32 v11, v3
	v_pk_add_f32 v[2:3], v[10:11], 0 op_sel_hi:[1,0]
	s_waitcnt vmcnt(0)
	v_pk_add_f32 v[2:3], v[4:5], v[2:3] neg_lo:[0,1] neg_hi:[0,1]
	buffer_store_dword v2, off, s[0:3], 0 offset:496
	buffer_store_dword v3, off, s[0:3], 0 offset:500
	s_and_saveexec_b64 s[4:5], vcc
	s_cbranch_execz .LBB63_275
; %bb.274:
	buffer_load_dword v2, off, s[0:3], 0 offset:488
	buffer_load_dword v3, off, s[0:3], 0 offset:492
	s_waitcnt vmcnt(0)
	ds_write_b64 v223, v[2:3]
	buffer_store_dword v1, off, s[0:3], 0 offset:488
	buffer_store_dword v1, off, s[0:3], 0 offset:492
.LBB63_275:
	s_or_b64 exec, exec, s[4:5]
	s_waitcnt lgkmcnt(0)
	; wave barrier
	s_waitcnt lgkmcnt(0)
	buffer_load_dword v7, off, s[0:3], 0 offset:500
	buffer_load_dword v9, off, s[0:3], 0 offset:508
	;; [unrolled: 1-line block ×6, first 2 shown]
	ds_read_b128 v[2:5], v1 offset:1008
	v_cmp_lt_u32_e32 vcc, 60, v0
	s_waitcnt vmcnt(5)
	v_mov_b32_e32 v12, v7
	s_waitcnt vmcnt(4)
	v_mov_b32_e32 v14, v9
	s_waitcnt lgkmcnt(0)
	v_pk_mul_f32 v[12:13], v[2:3], v[12:13] op_sel_hi:[1,0]
	v_pk_mul_f32 v[14:15], v[4:5], v[14:15] op_sel_hi:[1,0]
	s_waitcnt vmcnt(3)
	v_pk_fma_f32 v[16:17], v[2:3], v[6:7], v[12:13] op_sel:[0,0,1] op_sel_hi:[1,1,0] neg_lo:[0,0,1] neg_hi:[0,0,1]
	v_pk_fma_f32 v[2:3], v[2:3], v[6:7], v[12:13] op_sel:[0,0,1] op_sel_hi:[1,0,0]
	s_waitcnt vmcnt(2)
	v_pk_fma_f32 v[6:7], v[4:5], v[8:9], v[14:15] op_sel:[0,0,1] op_sel_hi:[1,1,0] neg_lo:[0,0,1] neg_hi:[0,0,1]
	v_pk_fma_f32 v[4:5], v[4:5], v[8:9], v[14:15] op_sel:[0,0,1] op_sel_hi:[1,0,0]
	v_mov_b32_e32 v17, v3
	v_mov_b32_e32 v7, v5
	v_pk_add_f32 v[2:3], v[16:17], 0 op_sel_hi:[1,0]
	v_pk_add_f32 v[2:3], v[2:3], v[6:7]
	s_waitcnt vmcnt(0)
	v_pk_add_f32 v[2:3], v[10:11], v[2:3] neg_lo:[0,1] neg_hi:[0,1]
	buffer_store_dword v2, off, s[0:3], 0 offset:488
	buffer_store_dword v3, off, s[0:3], 0 offset:492
	s_and_saveexec_b64 s[4:5], vcc
	s_cbranch_execz .LBB63_277
; %bb.276:
	buffer_load_dword v2, off, s[0:3], 0 offset:480
	buffer_load_dword v3, off, s[0:3], 0 offset:484
	v_mov_b32_e32 v1, 0
	buffer_store_dword v1, off, s[0:3], 0 offset:480
	buffer_store_dword v1, off, s[0:3], 0 offset:484
	s_waitcnt vmcnt(2)
	ds_write_b64 v223, v[2:3]
.LBB63_277:
	s_or_b64 exec, exec, s[4:5]
	s_waitcnt lgkmcnt(0)
	; wave barrier
	s_waitcnt lgkmcnt(0)
	buffer_load_dword v7, off, s[0:3], 0 offset:492
	buffer_load_dword v9, off, s[0:3], 0 offset:500
	;; [unrolled: 1-line block ×8, first 2 shown]
	v_mov_b32_e32 v1, 0
	ds_read2_b64 v[2:5], v1 offset0:125 offset1:126
	ds_read_b64 v[14:15], v1 offset:1016
	v_cmp_lt_u32_e32 vcc, 59, v0
	s_waitcnt vmcnt(7)
	v_mov_b32_e32 v16, v7
	s_waitcnt vmcnt(6)
	v_mov_b32_e32 v18, v9
	s_waitcnt lgkmcnt(1)
	v_pk_mul_f32 v[16:17], v[2:3], v[16:17] op_sel_hi:[1,0]
	s_waitcnt vmcnt(5)
	v_mov_b32_e32 v20, v11
	v_pk_mul_f32 v[18:19], v[4:5], v[18:19] op_sel_hi:[1,0]
	s_waitcnt vmcnt(4)
	v_pk_fma_f32 v[22:23], v[2:3], v[6:7], v[16:17] op_sel:[0,0,1] op_sel_hi:[1,1,0] neg_lo:[0,0,1] neg_hi:[0,0,1]
	v_pk_fma_f32 v[2:3], v[2:3], v[6:7], v[16:17] op_sel:[0,0,1] op_sel_hi:[1,0,0]
	s_waitcnt lgkmcnt(0)
	v_pk_mul_f32 v[20:21], v[14:15], v[20:21] op_sel_hi:[1,0]
	s_waitcnt vmcnt(3)
	v_pk_fma_f32 v[6:7], v[4:5], v[8:9], v[18:19] op_sel:[0,0,1] op_sel_hi:[1,1,0] neg_lo:[0,0,1] neg_hi:[0,0,1]
	v_pk_fma_f32 v[4:5], v[4:5], v[8:9], v[18:19] op_sel:[0,0,1] op_sel_hi:[1,0,0]
	v_mov_b32_e32 v23, v3
	s_waitcnt vmcnt(2)
	v_pk_fma_f32 v[8:9], v[14:15], v[10:11], v[20:21] op_sel:[0,0,1] op_sel_hi:[1,1,0] neg_lo:[0,0,1] neg_hi:[0,0,1]
	v_pk_fma_f32 v[10:11], v[14:15], v[10:11], v[20:21] op_sel:[0,0,1] op_sel_hi:[1,0,0]
	v_mov_b32_e32 v7, v5
	v_pk_add_f32 v[2:3], v[22:23], 0 op_sel_hi:[1,0]
	v_mov_b32_e32 v9, v11
	v_pk_add_f32 v[2:3], v[2:3], v[6:7]
	v_pk_add_f32 v[2:3], v[2:3], v[8:9]
	s_waitcnt vmcnt(0)
	v_pk_add_f32 v[2:3], v[12:13], v[2:3] neg_lo:[0,1] neg_hi:[0,1]
	buffer_store_dword v2, off, s[0:3], 0 offset:480
	buffer_store_dword v3, off, s[0:3], 0 offset:484
	s_and_saveexec_b64 s[4:5], vcc
	s_cbranch_execz .LBB63_279
; %bb.278:
	buffer_load_dword v2, off, s[0:3], 0 offset:472
	buffer_load_dword v3, off, s[0:3], 0 offset:476
	s_waitcnt vmcnt(0)
	ds_write_b64 v223, v[2:3]
	buffer_store_dword v1, off, s[0:3], 0 offset:472
	buffer_store_dword v1, off, s[0:3], 0 offset:476
.LBB63_279:
	s_or_b64 exec, exec, s[4:5]
	s_waitcnt lgkmcnt(0)
	; wave barrier
	s_waitcnt lgkmcnt(0)
	buffer_load_dword v11, off, s[0:3], 0 offset:484
	buffer_load_dword v13, off, s[0:3], 0 offset:492
	;; [unrolled: 1-line block ×10, first 2 shown]
	ds_read_b128 v[2:5], v1 offset:992
	ds_read_b128 v[6:9], v1 offset:1008
	v_cmp_lt_u32_e32 vcc, 58, v0
	s_waitcnt vmcnt(9)
	v_mov_b32_e32 v20, v11
	s_waitcnt vmcnt(8)
	v_mov_b32_e32 v22, v13
	s_waitcnt lgkmcnt(1)
	v_pk_mul_f32 v[20:21], v[2:3], v[20:21] op_sel_hi:[1,0]
	s_waitcnt vmcnt(7)
	v_mov_b32_e32 v24, v15
	v_pk_mul_f32 v[22:23], v[4:5], v[22:23] op_sel_hi:[1,0]
	s_waitcnt vmcnt(5)
	v_pk_fma_f32 v[28:29], v[2:3], v[10:11], v[20:21] op_sel:[0,0,1] op_sel_hi:[1,1,0] neg_lo:[0,0,1] neg_hi:[0,0,1]
	v_pk_fma_f32 v[2:3], v[2:3], v[10:11], v[20:21] op_sel:[0,0,1] op_sel_hi:[1,0,0]
	v_mov_b32_e32 v26, v17
	s_waitcnt lgkmcnt(0)
	v_pk_mul_f32 v[24:25], v[6:7], v[24:25] op_sel_hi:[1,0]
	s_waitcnt vmcnt(4)
	v_pk_fma_f32 v[10:11], v[4:5], v[12:13], v[22:23] op_sel:[0,0,1] op_sel_hi:[1,1,0] neg_lo:[0,0,1] neg_hi:[0,0,1]
	v_pk_fma_f32 v[4:5], v[4:5], v[12:13], v[22:23] op_sel:[0,0,1] op_sel_hi:[1,0,0]
	v_mov_b32_e32 v29, v3
	v_pk_mul_f32 v[26:27], v[8:9], v[26:27] op_sel_hi:[1,0]
	s_waitcnt vmcnt(3)
	v_pk_fma_f32 v[12:13], v[6:7], v[14:15], v[24:25] op_sel:[0,0,1] op_sel_hi:[1,1,0] neg_lo:[0,0,1] neg_hi:[0,0,1]
	v_pk_fma_f32 v[6:7], v[6:7], v[14:15], v[24:25] op_sel:[0,0,1] op_sel_hi:[1,0,0]
	v_mov_b32_e32 v11, v5
	v_pk_add_f32 v[2:3], v[28:29], 0 op_sel_hi:[1,0]
	s_waitcnt vmcnt(2)
	v_pk_fma_f32 v[14:15], v[8:9], v[16:17], v[26:27] op_sel:[0,0,1] op_sel_hi:[1,1,0] neg_lo:[0,0,1] neg_hi:[0,0,1]
	v_pk_fma_f32 v[8:9], v[8:9], v[16:17], v[26:27] op_sel:[0,0,1] op_sel_hi:[1,0,0]
	v_mov_b32_e32 v13, v7
	v_pk_add_f32 v[2:3], v[2:3], v[10:11]
	v_mov_b32_e32 v15, v9
	v_pk_add_f32 v[2:3], v[2:3], v[12:13]
	v_pk_add_f32 v[2:3], v[2:3], v[14:15]
	s_waitcnt vmcnt(0)
	v_pk_add_f32 v[2:3], v[18:19], v[2:3] neg_lo:[0,1] neg_hi:[0,1]
	buffer_store_dword v2, off, s[0:3], 0 offset:472
	buffer_store_dword v3, off, s[0:3], 0 offset:476
	s_and_saveexec_b64 s[4:5], vcc
	s_cbranch_execz .LBB63_281
; %bb.280:
	buffer_load_dword v2, off, s[0:3], 0 offset:464
	buffer_load_dword v3, off, s[0:3], 0 offset:468
	v_mov_b32_e32 v1, 0
	buffer_store_dword v1, off, s[0:3], 0 offset:464
	buffer_store_dword v1, off, s[0:3], 0 offset:468
	s_waitcnt vmcnt(2)
	ds_write_b64 v223, v[2:3]
.LBB63_281:
	s_or_b64 exec, exec, s[4:5]
	s_waitcnt lgkmcnt(0)
	; wave barrier
	s_waitcnt lgkmcnt(0)
	buffer_load_dword v11, off, s[0:3], 0 offset:476
	buffer_load_dword v13, off, s[0:3], 0 offset:484
	;; [unrolled: 1-line block ×12, first 2 shown]
	v_mov_b32_e32 v1, 0
	ds_read2_b64 v[2:5], v1 offset0:123 offset1:124
	ds_read2_b64 v[6:9], v1 offset0:125 offset1:126
	ds_read_b64 v[22:23], v1 offset:1016
	v_cmp_lt_u32_e32 vcc, 57, v0
	s_waitcnt vmcnt(11)
	v_mov_b32_e32 v24, v11
	s_waitcnt vmcnt(10)
	v_mov_b32_e32 v26, v13
	s_waitcnt lgkmcnt(2)
	v_pk_mul_f32 v[24:25], v[2:3], v[24:25] op_sel_hi:[1,0]
	s_waitcnt vmcnt(9)
	v_mov_b32_e32 v28, v15
	v_pk_mul_f32 v[26:27], v[4:5], v[26:27] op_sel_hi:[1,0]
	s_waitcnt vmcnt(6)
	v_pk_fma_f32 v[34:35], v[2:3], v[10:11], v[24:25] op_sel:[0,0,1] op_sel_hi:[1,1,0] neg_lo:[0,0,1] neg_hi:[0,0,1]
	v_pk_fma_f32 v[2:3], v[2:3], v[10:11], v[24:25] op_sel:[0,0,1] op_sel_hi:[1,0,0]
	v_mov_b32_e32 v30, v17
	s_waitcnt lgkmcnt(1)
	v_pk_mul_f32 v[28:29], v[6:7], v[28:29] op_sel_hi:[1,0]
	s_waitcnt vmcnt(5)
	v_pk_fma_f32 v[10:11], v[4:5], v[12:13], v[26:27] op_sel:[0,0,1] op_sel_hi:[1,1,0] neg_lo:[0,0,1] neg_hi:[0,0,1]
	v_pk_fma_f32 v[4:5], v[4:5], v[12:13], v[26:27] op_sel:[0,0,1] op_sel_hi:[1,0,0]
	v_mov_b32_e32 v35, v3
	v_mov_b32_e32 v32, v19
	v_pk_mul_f32 v[30:31], v[8:9], v[30:31] op_sel_hi:[1,0]
	s_waitcnt vmcnt(4)
	v_pk_fma_f32 v[12:13], v[6:7], v[14:15], v[28:29] op_sel:[0,0,1] op_sel_hi:[1,1,0] neg_lo:[0,0,1] neg_hi:[0,0,1]
	v_pk_fma_f32 v[6:7], v[6:7], v[14:15], v[28:29] op_sel:[0,0,1] op_sel_hi:[1,0,0]
	v_mov_b32_e32 v11, v5
	v_pk_add_f32 v[2:3], v[34:35], 0 op_sel_hi:[1,0]
	s_waitcnt lgkmcnt(0)
	v_pk_mul_f32 v[32:33], v[22:23], v[32:33] op_sel_hi:[1,0]
	s_waitcnt vmcnt(3)
	v_pk_fma_f32 v[14:15], v[8:9], v[16:17], v[30:31] op_sel:[0,0,1] op_sel_hi:[1,1,0] neg_lo:[0,0,1] neg_hi:[0,0,1]
	v_pk_fma_f32 v[8:9], v[8:9], v[16:17], v[30:31] op_sel:[0,0,1] op_sel_hi:[1,0,0]
	v_mov_b32_e32 v13, v7
	v_pk_add_f32 v[2:3], v[2:3], v[10:11]
	s_waitcnt vmcnt(2)
	v_pk_fma_f32 v[16:17], v[22:23], v[18:19], v[32:33] op_sel:[0,0,1] op_sel_hi:[1,1,0] neg_lo:[0,0,1] neg_hi:[0,0,1]
	v_pk_fma_f32 v[18:19], v[22:23], v[18:19], v[32:33] op_sel:[0,0,1] op_sel_hi:[1,0,0]
	v_mov_b32_e32 v15, v9
	v_pk_add_f32 v[2:3], v[2:3], v[12:13]
	v_mov_b32_e32 v17, v19
	v_pk_add_f32 v[2:3], v[2:3], v[14:15]
	v_pk_add_f32 v[2:3], v[2:3], v[16:17]
	s_waitcnt vmcnt(0)
	v_pk_add_f32 v[2:3], v[20:21], v[2:3] neg_lo:[0,1] neg_hi:[0,1]
	buffer_store_dword v2, off, s[0:3], 0 offset:464
	buffer_store_dword v3, off, s[0:3], 0 offset:468
	s_and_saveexec_b64 s[4:5], vcc
	s_cbranch_execz .LBB63_283
; %bb.282:
	buffer_load_dword v2, off, s[0:3], 0 offset:456
	buffer_load_dword v3, off, s[0:3], 0 offset:460
	s_waitcnt vmcnt(0)
	ds_write_b64 v223, v[2:3]
	buffer_store_dword v1, off, s[0:3], 0 offset:456
	buffer_store_dword v1, off, s[0:3], 0 offset:460
.LBB63_283:
	s_or_b64 exec, exec, s[4:5]
	s_waitcnt lgkmcnt(0)
	; wave barrier
	s_waitcnt lgkmcnt(0)
	buffer_load_dword v14, off, s[0:3], 0 offset:456
	buffer_load_dword v15, off, s[0:3], 0 offset:460
	;; [unrolled: 1-line block ×14, first 2 shown]
	ds_read_b128 v[2:5], v1 offset:976
	ds_read_b128 v[6:9], v1 offset:992
	;; [unrolled: 1-line block ×3, first 2 shown]
	v_cmp_lt_u32_e32 vcc, 56, v0
	s_waitcnt vmcnt(10)
	v_mov_b32_e32 v28, v17
	s_waitcnt lgkmcnt(2)
	v_pk_mul_f32 v[28:29], v[2:3], v[28:29] op_sel_hi:[1,0]
	v_pk_fma_f32 v[30:31], v[2:3], v[16:17], v[28:29] op_sel:[0,0,1] op_sel_hi:[1,1,0] neg_lo:[0,0,1] neg_hi:[0,0,1]
	v_pk_fma_f32 v[2:3], v[2:3], v[16:17], v[28:29] op_sel:[0,0,1] op_sel_hi:[1,0,0]
	s_waitcnt vmcnt(8)
	v_mov_b32_e32 v16, v19
	v_pk_mul_f32 v[16:17], v[4:5], v[16:17] op_sel_hi:[1,0]
	v_pk_fma_f32 v[28:29], v[4:5], v[18:19], v[16:17] op_sel:[0,0,1] op_sel_hi:[1,1,0] neg_lo:[0,0,1] neg_hi:[0,0,1]
	v_pk_fma_f32 v[4:5], v[4:5], v[18:19], v[16:17] op_sel:[0,0,1] op_sel_hi:[1,0,0]
	s_waitcnt vmcnt(6)
	v_mov_b32_e32 v4, v21
	v_mov_b32_e32 v29, v5
	s_waitcnt lgkmcnt(1)
	v_pk_mul_f32 v[4:5], v[6:7], v[4:5] op_sel_hi:[1,0]
	v_pk_fma_f32 v[16:17], v[6:7], v[20:21], v[4:5] op_sel:[0,0,1] op_sel_hi:[1,1,0] neg_lo:[0,0,1] neg_hi:[0,0,1]
	v_pk_fma_f32 v[4:5], v[6:7], v[20:21], v[4:5] op_sel:[0,0,1] op_sel_hi:[1,0,0]
	s_waitcnt vmcnt(4)
	v_mov_b32_e32 v4, v23
	v_mov_b32_e32 v31, v3
	;; [unrolled: 1-line block ×3, first 2 shown]
	v_pk_mul_f32 v[4:5], v[8:9], v[4:5] op_sel_hi:[1,0]
	v_pk_add_f32 v[2:3], v[30:31], 0 op_sel_hi:[1,0]
	v_pk_fma_f32 v[6:7], v[8:9], v[22:23], v[4:5] op_sel:[0,0,1] op_sel_hi:[1,1,0] neg_lo:[0,0,1] neg_hi:[0,0,1]
	v_pk_fma_f32 v[4:5], v[8:9], v[22:23], v[4:5] op_sel:[0,0,1] op_sel_hi:[1,0,0]
	v_pk_add_f32 v[2:3], v[2:3], v[28:29]
	s_waitcnt vmcnt(2)
	v_mov_b32_e32 v4, v25
	v_pk_add_f32 v[2:3], v[2:3], v[16:17]
	v_mov_b32_e32 v7, v5
	s_waitcnt lgkmcnt(0)
	v_pk_mul_f32 v[4:5], v[10:11], v[4:5] op_sel_hi:[1,0]
	v_pk_add_f32 v[2:3], v[2:3], v[6:7]
	v_pk_fma_f32 v[6:7], v[10:11], v[24:25], v[4:5] op_sel:[0,0,1] op_sel_hi:[1,1,0] neg_lo:[0,0,1] neg_hi:[0,0,1]
	v_pk_fma_f32 v[4:5], v[10:11], v[24:25], v[4:5] op_sel:[0,0,1] op_sel_hi:[1,0,0]
	s_waitcnt vmcnt(0)
	v_mov_b32_e32 v4, v27
	v_mov_b32_e32 v7, v5
	v_pk_mul_f32 v[4:5], v[12:13], v[4:5] op_sel_hi:[1,0]
	v_pk_add_f32 v[2:3], v[2:3], v[6:7]
	v_pk_fma_f32 v[6:7], v[12:13], v[26:27], v[4:5] op_sel:[0,0,1] op_sel_hi:[1,1,0] neg_lo:[0,0,1] neg_hi:[0,0,1]
	v_pk_fma_f32 v[4:5], v[12:13], v[26:27], v[4:5] op_sel:[0,0,1] op_sel_hi:[1,0,0]
	v_mov_b32_e32 v7, v5
	v_pk_add_f32 v[2:3], v[2:3], v[6:7]
	v_pk_add_f32 v[2:3], v[14:15], v[2:3] neg_lo:[0,1] neg_hi:[0,1]
	buffer_store_dword v2, off, s[0:3], 0 offset:456
	buffer_store_dword v3, off, s[0:3], 0 offset:460
	s_and_saveexec_b64 s[4:5], vcc
	s_cbranch_execz .LBB63_285
; %bb.284:
	buffer_load_dword v2, off, s[0:3], 0 offset:448
	buffer_load_dword v3, off, s[0:3], 0 offset:452
	v_mov_b32_e32 v1, 0
	buffer_store_dword v1, off, s[0:3], 0 offset:448
	buffer_store_dword v1, off, s[0:3], 0 offset:452
	s_waitcnt vmcnt(2)
	ds_write_b64 v223, v[2:3]
.LBB63_285:
	s_or_b64 exec, exec, s[4:5]
	s_waitcnt lgkmcnt(0)
	; wave barrier
	s_waitcnt lgkmcnt(0)
	buffer_load_dword v14, off, s[0:3], 0 offset:448
	buffer_load_dword v15, off, s[0:3], 0 offset:452
	;; [unrolled: 1-line block ×16, first 2 shown]
	v_mov_b32_e32 v1, 0
	ds_read2_b64 v[2:5], v1 offset0:121 offset1:122
	ds_read2_b64 v[6:9], v1 offset0:123 offset1:124
	;; [unrolled: 1-line block ×3, first 2 shown]
	ds_read_b64 v[30:31], v1 offset:1016
	v_cmp_lt_u32_e32 vcc, 55, v0
	s_waitcnt vmcnt(12)
	v_mov_b32_e32 v32, v17
	s_waitcnt lgkmcnt(3)
	v_pk_mul_f32 v[32:33], v[2:3], v[32:33] op_sel_hi:[1,0]
	v_pk_fma_f32 v[34:35], v[2:3], v[16:17], v[32:33] op_sel:[0,0,1] op_sel_hi:[1,1,0] neg_lo:[0,0,1] neg_hi:[0,0,1]
	v_pk_fma_f32 v[2:3], v[2:3], v[16:17], v[32:33] op_sel:[0,0,1] op_sel_hi:[1,0,0]
	s_waitcnt vmcnt(10)
	v_mov_b32_e32 v16, v19
	v_pk_mul_f32 v[16:17], v[4:5], v[16:17] op_sel_hi:[1,0]
	v_pk_fma_f32 v[32:33], v[4:5], v[18:19], v[16:17] op_sel:[0,0,1] op_sel_hi:[1,1,0] neg_lo:[0,0,1] neg_hi:[0,0,1]
	v_pk_fma_f32 v[4:5], v[4:5], v[18:19], v[16:17] op_sel:[0,0,1] op_sel_hi:[1,0,0]
	s_waitcnt vmcnt(8)
	v_mov_b32_e32 v4, v21
	v_mov_b32_e32 v33, v5
	s_waitcnt lgkmcnt(2)
	v_pk_mul_f32 v[4:5], v[6:7], v[4:5] op_sel_hi:[1,0]
	v_pk_fma_f32 v[16:17], v[6:7], v[20:21], v[4:5] op_sel:[0,0,1] op_sel_hi:[1,1,0] neg_lo:[0,0,1] neg_hi:[0,0,1]
	v_pk_fma_f32 v[4:5], v[6:7], v[20:21], v[4:5] op_sel:[0,0,1] op_sel_hi:[1,0,0]
	s_waitcnt vmcnt(6)
	v_mov_b32_e32 v4, v23
	v_mov_b32_e32 v35, v3
	;; [unrolled: 1-line block ×3, first 2 shown]
	v_pk_mul_f32 v[4:5], v[8:9], v[4:5] op_sel_hi:[1,0]
	v_pk_add_f32 v[2:3], v[34:35], 0 op_sel_hi:[1,0]
	v_pk_fma_f32 v[6:7], v[8:9], v[22:23], v[4:5] op_sel:[0,0,1] op_sel_hi:[1,1,0] neg_lo:[0,0,1] neg_hi:[0,0,1]
	v_pk_fma_f32 v[4:5], v[8:9], v[22:23], v[4:5] op_sel:[0,0,1] op_sel_hi:[1,0,0]
	v_pk_add_f32 v[2:3], v[2:3], v[32:33]
	s_waitcnt vmcnt(4)
	v_mov_b32_e32 v4, v25
	v_pk_add_f32 v[2:3], v[2:3], v[16:17]
	v_mov_b32_e32 v7, v5
	s_waitcnt lgkmcnt(1)
	v_pk_mul_f32 v[4:5], v[10:11], v[4:5] op_sel_hi:[1,0]
	v_pk_add_f32 v[2:3], v[2:3], v[6:7]
	v_pk_fma_f32 v[6:7], v[10:11], v[24:25], v[4:5] op_sel:[0,0,1] op_sel_hi:[1,1,0] neg_lo:[0,0,1] neg_hi:[0,0,1]
	v_pk_fma_f32 v[4:5], v[10:11], v[24:25], v[4:5] op_sel:[0,0,1] op_sel_hi:[1,0,0]
	s_waitcnt vmcnt(2)
	v_mov_b32_e32 v4, v27
	v_mov_b32_e32 v7, v5
	v_pk_mul_f32 v[4:5], v[12:13], v[4:5] op_sel_hi:[1,0]
	v_pk_add_f32 v[2:3], v[2:3], v[6:7]
	v_pk_fma_f32 v[6:7], v[12:13], v[26:27], v[4:5] op_sel:[0,0,1] op_sel_hi:[1,1,0] neg_lo:[0,0,1] neg_hi:[0,0,1]
	v_pk_fma_f32 v[4:5], v[12:13], v[26:27], v[4:5] op_sel:[0,0,1] op_sel_hi:[1,0,0]
	s_waitcnt vmcnt(0)
	v_mov_b32_e32 v4, v29
	v_mov_b32_e32 v7, v5
	s_waitcnt lgkmcnt(0)
	v_pk_mul_f32 v[4:5], v[30:31], v[4:5] op_sel_hi:[1,0]
	v_pk_add_f32 v[2:3], v[2:3], v[6:7]
	v_pk_fma_f32 v[6:7], v[30:31], v[28:29], v[4:5] op_sel:[0,0,1] op_sel_hi:[1,1,0] neg_lo:[0,0,1] neg_hi:[0,0,1]
	v_pk_fma_f32 v[4:5], v[30:31], v[28:29], v[4:5] op_sel:[0,0,1] op_sel_hi:[1,0,0]
	v_mov_b32_e32 v7, v5
	v_pk_add_f32 v[2:3], v[2:3], v[6:7]
	v_pk_add_f32 v[2:3], v[14:15], v[2:3] neg_lo:[0,1] neg_hi:[0,1]
	buffer_store_dword v2, off, s[0:3], 0 offset:448
	buffer_store_dword v3, off, s[0:3], 0 offset:452
	s_and_saveexec_b64 s[4:5], vcc
	s_cbranch_execz .LBB63_287
; %bb.286:
	buffer_load_dword v2, off, s[0:3], 0 offset:440
	buffer_load_dword v3, off, s[0:3], 0 offset:444
	s_waitcnt vmcnt(0)
	ds_write_b64 v223, v[2:3]
	buffer_store_dword v1, off, s[0:3], 0 offset:440
	buffer_store_dword v1, off, s[0:3], 0 offset:444
.LBB63_287:
	s_or_b64 exec, exec, s[4:5]
	s_waitcnt lgkmcnt(0)
	; wave barrier
	s_waitcnt lgkmcnt(0)
	buffer_load_dword v18, off, s[0:3], 0 offset:440
	buffer_load_dword v19, off, s[0:3], 0 offset:444
	;; [unrolled: 1-line block ×16, first 2 shown]
	ds_read_b128 v[2:5], v1 offset:960
	ds_read_b128 v[6:9], v1 offset:976
	;; [unrolled: 1-line block ×4, first 2 shown]
	buffer_load_dword v35, off, s[0:3], 0 offset:508
	buffer_load_dword v34, off, s[0:3], 0 offset:504
	v_cmp_lt_u32_e32 vcc, 54, v0
	s_waitcnt vmcnt(14)
	v_mov_b32_e32 v36, v21
	s_waitcnt lgkmcnt(3)
	v_pk_mul_f32 v[36:37], v[2:3], v[36:37] op_sel_hi:[1,0]
	v_pk_fma_f32 v[38:39], v[2:3], v[20:21], v[36:37] op_sel:[0,0,1] op_sel_hi:[1,1,0] neg_lo:[0,0,1] neg_hi:[0,0,1]
	v_pk_fma_f32 v[2:3], v[2:3], v[20:21], v[36:37] op_sel:[0,0,1] op_sel_hi:[1,0,0]
	s_waitcnt vmcnt(12)
	v_mov_b32_e32 v20, v23
	v_pk_mul_f32 v[20:21], v[4:5], v[20:21] op_sel_hi:[1,0]
	v_pk_fma_f32 v[36:37], v[4:5], v[22:23], v[20:21] op_sel:[0,0,1] op_sel_hi:[1,1,0] neg_lo:[0,0,1] neg_hi:[0,0,1]
	v_pk_fma_f32 v[4:5], v[4:5], v[22:23], v[20:21] op_sel:[0,0,1] op_sel_hi:[1,0,0]
	s_waitcnt vmcnt(10)
	v_mov_b32_e32 v4, v25
	v_mov_b32_e32 v37, v5
	s_waitcnt lgkmcnt(2)
	v_pk_mul_f32 v[4:5], v[6:7], v[4:5] op_sel_hi:[1,0]
	v_pk_fma_f32 v[20:21], v[6:7], v[24:25], v[4:5] op_sel:[0,0,1] op_sel_hi:[1,1,0] neg_lo:[0,0,1] neg_hi:[0,0,1]
	v_pk_fma_f32 v[4:5], v[6:7], v[24:25], v[4:5] op_sel:[0,0,1] op_sel_hi:[1,0,0]
	s_waitcnt vmcnt(8)
	v_mov_b32_e32 v4, v27
	v_mov_b32_e32 v39, v3
	;; [unrolled: 1-line block ×3, first 2 shown]
	v_pk_mul_f32 v[4:5], v[8:9], v[4:5] op_sel_hi:[1,0]
	v_pk_add_f32 v[2:3], v[38:39], 0 op_sel_hi:[1,0]
	v_pk_fma_f32 v[6:7], v[8:9], v[26:27], v[4:5] op_sel:[0,0,1] op_sel_hi:[1,1,0] neg_lo:[0,0,1] neg_hi:[0,0,1]
	v_pk_fma_f32 v[4:5], v[8:9], v[26:27], v[4:5] op_sel:[0,0,1] op_sel_hi:[1,0,0]
	v_pk_add_f32 v[2:3], v[2:3], v[36:37]
	s_waitcnt vmcnt(6)
	v_mov_b32_e32 v4, v29
	v_pk_add_f32 v[2:3], v[2:3], v[20:21]
	v_mov_b32_e32 v7, v5
	s_waitcnt lgkmcnt(1)
	v_pk_mul_f32 v[4:5], v[10:11], v[4:5] op_sel_hi:[1,0]
	v_pk_add_f32 v[2:3], v[2:3], v[6:7]
	v_pk_fma_f32 v[6:7], v[10:11], v[28:29], v[4:5] op_sel:[0,0,1] op_sel_hi:[1,1,0] neg_lo:[0,0,1] neg_hi:[0,0,1]
	v_pk_fma_f32 v[4:5], v[10:11], v[28:29], v[4:5] op_sel:[0,0,1] op_sel_hi:[1,0,0]
	s_waitcnt vmcnt(4)
	v_mov_b32_e32 v4, v31
	v_mov_b32_e32 v7, v5
	v_pk_mul_f32 v[4:5], v[12:13], v[4:5] op_sel_hi:[1,0]
	v_pk_add_f32 v[2:3], v[2:3], v[6:7]
	v_pk_fma_f32 v[6:7], v[12:13], v[30:31], v[4:5] op_sel:[0,0,1] op_sel_hi:[1,1,0] neg_lo:[0,0,1] neg_hi:[0,0,1]
	v_pk_fma_f32 v[4:5], v[12:13], v[30:31], v[4:5] op_sel:[0,0,1] op_sel_hi:[1,0,0]
	s_waitcnt vmcnt(2)
	v_mov_b32_e32 v4, v33
	v_mov_b32_e32 v7, v5
	s_waitcnt lgkmcnt(0)
	v_pk_mul_f32 v[4:5], v[14:15], v[4:5] op_sel_hi:[1,0]
	v_pk_add_f32 v[2:3], v[2:3], v[6:7]
	v_pk_fma_f32 v[6:7], v[14:15], v[32:33], v[4:5] op_sel:[0,0,1] op_sel_hi:[1,1,0] neg_lo:[0,0,1] neg_hi:[0,0,1]
	v_pk_fma_f32 v[4:5], v[14:15], v[32:33], v[4:5] op_sel:[0,0,1] op_sel_hi:[1,0,0]
	s_waitcnt vmcnt(1)
	v_mov_b32_e32 v4, v35
	v_mov_b32_e32 v7, v5
	v_pk_mul_f32 v[4:5], v[16:17], v[4:5] op_sel_hi:[1,0]
	v_pk_add_f32 v[2:3], v[2:3], v[6:7]
	s_waitcnt vmcnt(0)
	v_pk_fma_f32 v[6:7], v[16:17], v[34:35], v[4:5] op_sel:[0,0,1] op_sel_hi:[1,1,0] neg_lo:[0,0,1] neg_hi:[0,0,1]
	v_pk_fma_f32 v[4:5], v[16:17], v[34:35], v[4:5] op_sel:[0,0,1] op_sel_hi:[1,0,0]
	v_mov_b32_e32 v7, v5
	v_pk_add_f32 v[2:3], v[2:3], v[6:7]
	v_pk_add_f32 v[2:3], v[18:19], v[2:3] neg_lo:[0,1] neg_hi:[0,1]
	buffer_store_dword v2, off, s[0:3], 0 offset:440
	buffer_store_dword v3, off, s[0:3], 0 offset:444
	s_and_saveexec_b64 s[4:5], vcc
	s_cbranch_execz .LBB63_289
; %bb.288:
	buffer_load_dword v2, off, s[0:3], 0 offset:432
	buffer_load_dword v3, off, s[0:3], 0 offset:436
	v_mov_b32_e32 v1, 0
	buffer_store_dword v1, off, s[0:3], 0 offset:432
	buffer_store_dword v1, off, s[0:3], 0 offset:436
	s_waitcnt vmcnt(2)
	ds_write_b64 v223, v[2:3]
.LBB63_289:
	s_or_b64 exec, exec, s[4:5]
	s_waitcnt lgkmcnt(0)
	; wave barrier
	s_waitcnt lgkmcnt(0)
	buffer_load_dword v38, off, s[0:3], 0 offset:444
	buffer_load_dword v19, off, s[0:3], 0 offset:452
	;; [unrolled: 1-line block ×20, first 2 shown]
	v_mov_b32_e32 v1, 0
	ds_read2_b64 v[2:5], v1 offset0:119 offset1:120
	ds_read2_b64 v[6:9], v1 offset0:121 offset1:122
	;; [unrolled: 1-line block ×4, first 2 shown]
	ds_read_b64 v[36:37], v1 offset:1016
	v_cmp_lt_u32_e32 vcc, 53, v0
	s_waitcnt vmcnt(19) lgkmcnt(4)
	v_mul_f32_e32 v39, v2, v38
	v_mul_f32_e32 v38, v3, v38
	s_waitcnt vmcnt(18)
	v_mov_b32_e32 v40, v19
	s_waitcnt vmcnt(17)
	v_mov_b32_e32 v42, v21
	;; [unrolled: 2-line block ×8, first 2 shown]
	s_waitcnt vmcnt(10)
	v_fmac_f32_e32 v39, v3, v41
	v_fma_f32 v38, v2, v41, -v38
	v_pk_mul_f32 v[2:3], v[4:5], v[40:41] op_sel_hi:[1,0]
	s_waitcnt lgkmcnt(3)
	v_pk_mul_f32 v[40:41], v[6:7], v[42:43] op_sel_hi:[1,0]
	v_pk_mul_f32 v[42:43], v[8:9], v[44:45] op_sel_hi:[1,0]
	s_waitcnt lgkmcnt(2)
	v_pk_mul_f32 v[44:45], v[10:11], v[46:47] op_sel_hi:[1,0]
	;; [unrolled: 3-line block ×4, first 2 shown]
	s_waitcnt vmcnt(9)
	v_pk_fma_f32 v[54:55], v[4:5], v[18:19], v[2:3] op_sel:[0,0,1] op_sel_hi:[1,1,0] neg_lo:[0,0,1] neg_hi:[0,0,1]
	v_pk_fma_f32 v[2:3], v[4:5], v[18:19], v[2:3] op_sel:[0,0,1] op_sel_hi:[1,0,0]
	v_pk_add_f32 v[38:39], v[38:39], 0 op_sel_hi:[1,0]
	s_waitcnt vmcnt(8)
	v_pk_fma_f32 v[4:5], v[6:7], v[20:21], v[40:41] op_sel:[0,0,1] op_sel_hi:[1,1,0] neg_lo:[0,0,1] neg_hi:[0,0,1]
	v_pk_fma_f32 v[6:7], v[6:7], v[20:21], v[40:41] op_sel:[0,0,1] op_sel_hi:[1,0,0]
	v_mov_b32_e32 v55, v3
	s_waitcnt vmcnt(7)
	v_pk_fma_f32 v[18:19], v[8:9], v[22:23], v[42:43] op_sel:[0,0,1] op_sel_hi:[1,1,0] neg_lo:[0,0,1] neg_hi:[0,0,1]
	v_pk_fma_f32 v[8:9], v[8:9], v[22:23], v[42:43] op_sel:[0,0,1] op_sel_hi:[1,0,0]
	v_mov_b32_e32 v5, v7
	v_pk_add_f32 v[2:3], v[38:39], v[54:55]
	s_waitcnt vmcnt(6)
	v_pk_fma_f32 v[20:21], v[10:11], v[24:25], v[44:45] op_sel:[0,0,1] op_sel_hi:[1,1,0] neg_lo:[0,0,1] neg_hi:[0,0,1]
	v_pk_fma_f32 v[10:11], v[10:11], v[24:25], v[44:45] op_sel:[0,0,1] op_sel_hi:[1,0,0]
	v_mov_b32_e32 v19, v9
	v_pk_add_f32 v[2:3], v[2:3], v[4:5]
	;; [unrolled: 5-line block ×5, first 2 shown]
	v_pk_fma_f32 v[28:29], v[36:37], v[32:33], v[52:53] op_sel:[0,0,1] op_sel_hi:[1,1,0] neg_lo:[0,0,1] neg_hi:[0,0,1]
	v_pk_fma_f32 v[30:31], v[36:37], v[32:33], v[52:53] op_sel:[0,0,1] op_sel_hi:[1,0,0]
	v_mov_b32_e32 v27, v17
	v_pk_add_f32 v[2:3], v[2:3], v[24:25]
	v_mov_b32_e32 v29, v31
	v_pk_add_f32 v[2:3], v[2:3], v[26:27]
	v_pk_add_f32 v[2:3], v[2:3], v[28:29]
	s_waitcnt vmcnt(0)
	v_pk_add_f32 v[2:3], v[34:35], v[2:3] neg_lo:[0,1] neg_hi:[0,1]
	buffer_store_dword v2, off, s[0:3], 0 offset:432
	buffer_store_dword v3, off, s[0:3], 0 offset:436
	s_and_saveexec_b64 s[4:5], vcc
	s_cbranch_execz .LBB63_291
; %bb.290:
	buffer_load_dword v2, off, s[0:3], 0 offset:424
	buffer_load_dword v3, off, s[0:3], 0 offset:428
	s_waitcnt vmcnt(0)
	ds_write_b64 v223, v[2:3]
	buffer_store_dword v1, off, s[0:3], 0 offset:424
	buffer_store_dword v1, off, s[0:3], 0 offset:428
.LBB63_291:
	s_or_b64 exec, exec, s[4:5]
	s_waitcnt lgkmcnt(0)
	; wave barrier
	s_waitcnt lgkmcnt(0)
	buffer_load_dword v40, off, s[0:3], 0 offset:436
	buffer_load_dword v42, off, s[0:3], 0 offset:444
	;; [unrolled: 1-line block ×22, first 2 shown]
	ds_read_b128 v[2:5], v1 offset:944
	ds_read_b128 v[6:9], v1 offset:960
	;; [unrolled: 1-line block ×5, first 2 shown]
	v_cmp_lt_u32_e32 vcc, 52, v0
	s_waitcnt vmcnt(21) lgkmcnt(4)
	v_mul_f32_e32 v41, v2, v40
	v_mul_f32_e32 v1, v3, v40
	s_waitcnt vmcnt(19)
	v_mov_b32_e32 v44, v23
	v_mul_f32_e32 v43, v4, v42
	v_mul_f32_e32 v42, v5, v42
	s_waitcnt vmcnt(18)
	v_mov_b32_e32 v46, v25
	s_waitcnt vmcnt(17)
	v_mov_b32_e32 v48, v27
	;; [unrolled: 2-line block ×6, first 2 shown]
	s_waitcnt vmcnt(11)
	v_fmac_f32_e32 v41, v3, v45
	v_fma_f32 v40, v2, v45, -v1
	s_waitcnt lgkmcnt(3)
	v_pk_mul_f32 v[2:3], v[6:7], v[44:45] op_sel_hi:[1,0]
	s_waitcnt vmcnt(10)
	v_fmac_f32_e32 v43, v5, v47
	v_fma_f32 v42, v4, v47, -v42
	v_pk_mul_f32 v[4:5], v[8:9], v[46:47] op_sel_hi:[1,0]
	s_waitcnt lgkmcnt(2)
	v_pk_mul_f32 v[44:45], v[10:11], v[48:49] op_sel_hi:[1,0]
	v_pk_mul_f32 v[46:47], v[12:13], v[50:51] op_sel_hi:[1,0]
	s_waitcnt lgkmcnt(1)
	v_pk_mul_f32 v[48:49], v[14:15], v[52:53] op_sel_hi:[1,0]
	;; [unrolled: 3-line block ×3, first 2 shown]
	v_pk_add_f32 v[40:41], v[40:41], 0 op_sel_hi:[1,0]
	s_waitcnt vmcnt(9)
	v_pk_fma_f32 v[56:57], v[6:7], v[22:23], v[2:3] op_sel:[0,0,1] op_sel_hi:[1,1,0] neg_lo:[0,0,1] neg_hi:[0,0,1]
	v_pk_fma_f32 v[2:3], v[6:7], v[22:23], v[2:3] op_sel:[0,0,1] op_sel_hi:[1,0,0]
	s_waitcnt vmcnt(8)
	v_pk_fma_f32 v[6:7], v[8:9], v[24:25], v[4:5] op_sel:[0,0,1] op_sel_hi:[1,1,0] neg_lo:[0,0,1] neg_hi:[0,0,1]
	v_pk_fma_f32 v[4:5], v[8:9], v[24:25], v[4:5] op_sel:[0,0,1] op_sel_hi:[1,0,0]
	s_waitcnt vmcnt(7)
	v_pk_fma_f32 v[8:9], v[10:11], v[26:27], v[44:45] op_sel:[0,0,1] op_sel_hi:[1,1,0] neg_lo:[0,0,1] neg_hi:[0,0,1]
	v_pk_fma_f32 v[10:11], v[10:11], v[26:27], v[44:45] op_sel:[0,0,1] op_sel_hi:[1,0,0]
	s_waitcnt vmcnt(2)
	v_pk_fma_f32 v[26:27], v[16:17], v[32:33], v[50:51] op_sel:[0,0,1] op_sel_hi:[1,1,0] neg_lo:[0,0,1] neg_hi:[0,0,1]
	v_pk_fma_f32 v[16:17], v[16:17], v[32:33], v[50:51] op_sel:[0,0,1] op_sel_hi:[1,0,0]
	v_pk_add_f32 v[32:33], v[40:41], v[42:43]
	v_mov_b32_e32 v57, v3
	v_mov_b32_e32 v7, v5
	v_pk_add_f32 v[2:3], v[32:33], v[56:57]
	v_pk_fma_f32 v[22:23], v[12:13], v[28:29], v[46:47] op_sel:[0,0,1] op_sel_hi:[1,1,0] neg_lo:[0,0,1] neg_hi:[0,0,1]
	v_pk_fma_f32 v[12:13], v[12:13], v[28:29], v[46:47] op_sel:[0,0,1] op_sel_hi:[1,0,0]
	v_mov_b32_e32 v9, v11
	v_pk_add_f32 v[2:3], v[2:3], v[6:7]
	v_pk_fma_f32 v[24:25], v[14:15], v[30:31], v[48:49] op_sel:[0,0,1] op_sel_hi:[1,1,0] neg_lo:[0,0,1] neg_hi:[0,0,1]
	v_pk_fma_f32 v[14:15], v[14:15], v[30:31], v[48:49] op_sel:[0,0,1] op_sel_hi:[1,0,0]
	v_mov_b32_e32 v23, v13
	v_pk_add_f32 v[2:3], v[2:3], v[8:9]
	v_mov_b32_e32 v58, v37
	v_mov_b32_e32 v25, v15
	v_pk_add_f32 v[2:3], v[2:3], v[22:23]
	v_pk_mul_f32 v[54:55], v[20:21], v[58:59] op_sel_hi:[1,0]
	v_pk_fma_f32 v[28:29], v[18:19], v[34:35], v[52:53] op_sel:[0,0,1] op_sel_hi:[1,1,0] neg_lo:[0,0,1] neg_hi:[0,0,1]
	v_pk_fma_f32 v[18:19], v[18:19], v[34:35], v[52:53] op_sel:[0,0,1] op_sel_hi:[1,0,0]
	v_mov_b32_e32 v27, v17
	v_pk_add_f32 v[2:3], v[2:3], v[24:25]
	v_pk_fma_f32 v[30:31], v[20:21], v[36:37], v[54:55] op_sel:[0,0,1] op_sel_hi:[1,1,0] neg_lo:[0,0,1] neg_hi:[0,0,1]
	v_pk_fma_f32 v[20:21], v[20:21], v[36:37], v[54:55] op_sel:[0,0,1] op_sel_hi:[1,0,0]
	v_mov_b32_e32 v29, v19
	v_pk_add_f32 v[2:3], v[2:3], v[26:27]
	v_mov_b32_e32 v31, v21
	v_pk_add_f32 v[2:3], v[2:3], v[28:29]
	v_pk_add_f32 v[2:3], v[2:3], v[30:31]
	s_waitcnt vmcnt(0)
	v_pk_add_f32 v[2:3], v[38:39], v[2:3] neg_lo:[0,1] neg_hi:[0,1]
	buffer_store_dword v2, off, s[0:3], 0 offset:424
	buffer_store_dword v3, off, s[0:3], 0 offset:428
	s_and_saveexec_b64 s[4:5], vcc
	s_cbranch_execz .LBB63_293
; %bb.292:
	buffer_load_dword v2, off, s[0:3], 0 offset:416
	buffer_load_dword v3, off, s[0:3], 0 offset:420
	v_mov_b32_e32 v1, 0
	buffer_store_dword v1, off, s[0:3], 0 offset:416
	buffer_store_dword v1, off, s[0:3], 0 offset:420
	s_waitcnt vmcnt(2)
	ds_write_b64 v223, v[2:3]
.LBB63_293:
	s_or_b64 exec, exec, s[4:5]
	s_waitcnt lgkmcnt(0)
	; wave barrier
	s_waitcnt lgkmcnt(0)
	buffer_load_dword v42, off, s[0:3], 0 offset:428
	buffer_load_dword v44, off, s[0:3], 0 offset:436
	;; [unrolled: 1-line block ×24, first 2 shown]
	v_mov_b32_e32 v1, 0
	ds_read2_b64 v[2:5], v1 offset0:117 offset1:118
	ds_read2_b64 v[6:9], v1 offset0:119 offset1:120
	;; [unrolled: 1-line block ×5, first 2 shown]
	ds_read_b64 v[40:41], v1 offset:1016
	v_cmp_lt_u32_e32 vcc, 51, v0
	s_waitcnt vmcnt(23) lgkmcnt(5)
	v_mul_f32_e32 v55, v2, v42
	v_mul_f32_e32 v42, v3, v42
	s_waitcnt vmcnt(22)
	v_mul_f32_e32 v43, v4, v44
	s_waitcnt vmcnt(21) lgkmcnt(4)
	v_mul_f32_e32 v45, v6, v46
	v_mul_f32_e32 v44, v5, v44
	;; [unrolled: 1-line block ×3, first 2 shown]
	s_waitcnt vmcnt(20)
	v_mov_b32_e32 v46, v23
	s_waitcnt vmcnt(19)
	v_mov_b32_e32 v48, v25
	;; [unrolled: 2-line block ×5, first 2 shown]
	s_waitcnt vmcnt(12)
	v_fmac_f32_e32 v55, v3, v47
	v_fma_f32 v57, v2, v47, -v42
	v_mov_b32_e32 v56, v33
	s_waitcnt vmcnt(11)
	v_fmac_f32_e32 v43, v5, v49
	s_waitcnt vmcnt(10)
	v_fmac_f32_e32 v45, v7, v51
	v_fma_f32 v42, v4, v49, -v44
	v_fma_f32 v44, v6, v51, -v53
	v_pk_mul_f32 v[2:3], v[8:9], v[46:47] op_sel_hi:[1,0]
	s_waitcnt lgkmcnt(3)
	v_pk_mul_f32 v[4:5], v[10:11], v[48:49] op_sel_hi:[1,0]
	v_pk_mul_f32 v[6:7], v[12:13], v[50:51] op_sel_hi:[1,0]
	s_waitcnt lgkmcnt(2)
	v_pk_mul_f32 v[46:47], v[14:15], v[52:53] op_sel_hi:[1,0]
	v_pk_mul_f32 v[48:49], v[16:17], v[54:55] op_sel_hi:[1,0]
	v_add_f32_e32 v55, 0, v55
	v_add_f32_e32 v54, 0, v57
	s_waitcnt lgkmcnt(1)
	v_pk_mul_f32 v[50:51], v[18:19], v[56:57] op_sel_hi:[1,0]
	s_waitcnt vmcnt(9)
	v_pk_fma_f32 v[56:57], v[8:9], v[22:23], v[2:3] op_sel:[0,0,1] op_sel_hi:[1,1,0] neg_lo:[0,0,1] neg_hi:[0,0,1]
	v_pk_fma_f32 v[2:3], v[8:9], v[22:23], v[2:3] op_sel:[0,0,1] op_sel_hi:[1,0,0]
	s_waitcnt vmcnt(8)
	v_pk_fma_f32 v[8:9], v[10:11], v[24:25], v[4:5] op_sel:[0,0,1] op_sel_hi:[1,1,0] neg_lo:[0,0,1] neg_hi:[0,0,1]
	v_pk_fma_f32 v[4:5], v[10:11], v[24:25], v[4:5] op_sel:[0,0,1] op_sel_hi:[1,0,0]
	;; [unrolled: 3-line block ×4, first 2 shown]
	v_pk_add_f32 v[28:29], v[54:55], v[42:43]
	v_mov_b32_e32 v57, v3
	v_pk_add_f32 v[2:3], v[28:29], v[44:45]
	v_mov_b32_e32 v9, v5
	;; [unrolled: 2-line block ×4, first 2 shown]
	s_waitcnt vmcnt(2)
	v_pk_fma_f32 v[22:23], v[16:17], v[30:31], v[48:49] op_sel:[0,0,1] op_sel_hi:[1,1,0] neg_lo:[0,0,1] neg_hi:[0,0,1]
	v_pk_fma_f32 v[16:17], v[16:17], v[30:31], v[48:49] op_sel:[0,0,1] op_sel_hi:[1,0,0]
	v_mov_b32_e32 v13, v15
	v_pk_add_f32 v[2:3], v[2:3], v[10:11]
	v_mov_b32_e32 v60, v37
	v_pk_mul_f32 v[52:53], v[20:21], v[58:59] op_sel_hi:[1,0]
	v_pk_fma_f32 v[24:25], v[18:19], v[32:33], v[50:51] op_sel:[0,0,1] op_sel_hi:[1,1,0] neg_lo:[0,0,1] neg_hi:[0,0,1]
	v_pk_fma_f32 v[18:19], v[18:19], v[32:33], v[50:51] op_sel:[0,0,1] op_sel_hi:[1,0,0]
	v_mov_b32_e32 v23, v17
	v_pk_add_f32 v[2:3], v[2:3], v[12:13]
	v_pk_fma_f32 v[26:27], v[20:21], v[34:35], v[52:53] op_sel:[0,0,1] op_sel_hi:[1,1,0] neg_lo:[0,0,1] neg_hi:[0,0,1]
	v_pk_fma_f32 v[20:21], v[20:21], v[34:35], v[52:53] op_sel:[0,0,1] op_sel_hi:[1,0,0]
	v_mov_b32_e32 v25, v19
	v_pk_add_f32 v[2:3], v[2:3], v[22:23]
	s_waitcnt lgkmcnt(0)
	v_pk_mul_f32 v[4:5], v[40:41], v[60:61] op_sel_hi:[1,0]
	v_mov_b32_e32 v27, v21
	v_pk_add_f32 v[2:3], v[2:3], v[24:25]
	v_pk_fma_f32 v[6:7], v[40:41], v[36:37], v[4:5] op_sel:[0,0,1] op_sel_hi:[1,1,0] neg_lo:[0,0,1] neg_hi:[0,0,1]
	v_pk_fma_f32 v[4:5], v[40:41], v[36:37], v[4:5] op_sel:[0,0,1] op_sel_hi:[1,0,0]
	v_pk_add_f32 v[2:3], v[2:3], v[26:27]
	v_mov_b32_e32 v7, v5
	v_pk_add_f32 v[2:3], v[2:3], v[6:7]
	s_waitcnt vmcnt(0)
	v_pk_add_f32 v[2:3], v[38:39], v[2:3] neg_lo:[0,1] neg_hi:[0,1]
	buffer_store_dword v3, off, s[0:3], 0 offset:420
	buffer_store_dword v2, off, s[0:3], 0 offset:416
	s_and_saveexec_b64 s[4:5], vcc
	s_cbranch_execz .LBB63_295
; %bb.294:
	buffer_load_dword v2, off, s[0:3], 0 offset:408
	buffer_load_dword v3, off, s[0:3], 0 offset:412
	s_waitcnt vmcnt(0)
	ds_write_b64 v223, v[2:3]
	buffer_store_dword v1, off, s[0:3], 0 offset:408
	buffer_store_dword v1, off, s[0:3], 0 offset:412
.LBB63_295:
	s_or_b64 exec, exec, s[4:5]
	s_waitcnt lgkmcnt(0)
	; wave barrier
	s_waitcnt lgkmcnt(0)
	buffer_load_dword v44, off, s[0:3], 0 offset:420
	buffer_load_dword v46, off, s[0:3], 0 offset:428
	;; [unrolled: 1-line block ×26, first 2 shown]
	ds_read_b128 v[2:5], v1 offset:928
	ds_read_b128 v[6:9], v1 offset:944
	;; [unrolled: 1-line block ×6, first 2 shown]
	v_cmp_lt_u32_e32 vcc, 50, v0
	s_waitcnt vmcnt(25) lgkmcnt(5)
	v_mul_f32_e32 v1, v2, v44
	v_mul_f32_e32 v44, v3, v44
	s_waitcnt vmcnt(24)
	v_mul_f32_e32 v59, v4, v46
	s_waitcnt vmcnt(23) lgkmcnt(4)
	v_mul_f32_e32 v45, v6, v48
	s_waitcnt vmcnt(22)
	v_mul_f32_e32 v47, v8, v49
	v_mul_f32_e32 v46, v5, v46
	v_mul_f32_e32 v60, v7, v48
	v_mul_f32_e32 v49, v9, v49
	s_waitcnt vmcnt(21)
	v_mov_b32_e32 v48, v27
	s_waitcnt vmcnt(20)
	v_mov_b32_e32 v50, v29
	;; [unrolled: 2-line block ×3, first 2 shown]
	s_waitcnt vmcnt(15)
	v_fmac_f32_e32 v1, v3, v51
	v_fma_f32 v61, v2, v51, -v44
	v_mov_b32_e32 v52, v31
	s_waitcnt vmcnt(14)
	v_fmac_f32_e32 v59, v5, v53
	s_waitcnt vmcnt(12)
	v_fmac_f32_e32 v47, v9, v57
	v_fma_f32 v62, v4, v53, -v46
	v_fma_f32 v46, v8, v57, -v49
	s_waitcnt lgkmcnt(3)
	v_pk_mul_f32 v[2:3], v[10:11], v[48:49] op_sel_hi:[1,0]
	v_pk_mul_f32 v[4:5], v[12:13], v[50:51] op_sel_hi:[1,0]
	s_waitcnt lgkmcnt(2)
	v_pk_mul_f32 v[8:9], v[16:17], v[54:55] op_sel_hi:[1,0]
	v_add_f32_e32 v1, 0, v1
	v_add_f32_e32 v54, 0, v61
	v_fmac_f32_e32 v45, v7, v55
	v_fma_f32 v44, v6, v55, -v60
	v_pk_mul_f32 v[6:7], v[14:15], v[52:53] op_sel_hi:[1,0]
	s_waitcnt vmcnt(11)
	v_pk_fma_f32 v[52:53], v[10:11], v[26:27], v[2:3] op_sel:[0,0,1] op_sel_hi:[1,1,0] neg_lo:[0,0,1] neg_hi:[0,0,1]
	v_pk_fma_f32 v[2:3], v[10:11], v[26:27], v[2:3] op_sel:[0,0,1] op_sel_hi:[1,0,0]
	s_waitcnt vmcnt(10)
	v_pk_fma_f32 v[10:11], v[12:13], v[28:29], v[4:5] op_sel:[0,0,1] op_sel_hi:[1,1,0] neg_lo:[0,0,1] neg_hi:[0,0,1]
	v_pk_fma_f32 v[4:5], v[12:13], v[28:29], v[4:5] op_sel:[0,0,1] op_sel_hi:[1,0,0]
	v_add_f32_e32 v29, v1, v59
	v_add_f32_e32 v28, v54, v62
	v_mov_b32_e32 v53, v3
	v_pk_add_f32 v[2:3], v[28:29], v[44:45]
	v_pk_add_f32 v[2:3], v[2:3], v[46:47]
	v_mov_b32_e32 v56, v35
	s_waitcnt vmcnt(9)
	v_pk_fma_f32 v[12:13], v[14:15], v[30:31], v[6:7] op_sel:[0,0,1] op_sel_hi:[1,1,0] neg_lo:[0,0,1] neg_hi:[0,0,1]
	v_pk_fma_f32 v[6:7], v[14:15], v[30:31], v[6:7] op_sel:[0,0,1] op_sel_hi:[1,0,0]
	v_mov_b32_e32 v11, v5
	v_pk_add_f32 v[2:3], v[2:3], v[52:53]
	v_mov_b32_e32 v58, v37
	s_waitcnt lgkmcnt(1)
	v_pk_mul_f32 v[48:49], v[18:19], v[56:57] op_sel_hi:[1,0]
	s_waitcnt vmcnt(5)
	v_pk_fma_f32 v[14:15], v[16:17], v[32:33], v[8:9] op_sel:[0,0,1] op_sel_hi:[1,1,0] neg_lo:[0,0,1] neg_hi:[0,0,1]
	v_pk_fma_f32 v[8:9], v[16:17], v[32:33], v[8:9] op_sel:[0,0,1] op_sel_hi:[1,0,0]
	v_mov_b32_e32 v13, v7
	v_pk_add_f32 v[2:3], v[2:3], v[10:11]
	s_waitcnt vmcnt(4)
	v_mov_b32_e32 v4, v39
	v_pk_mul_f32 v[50:51], v[20:21], v[58:59] op_sel_hi:[1,0]
	v_pk_fma_f32 v[16:17], v[18:19], v[34:35], v[48:49] op_sel:[0,0,1] op_sel_hi:[1,1,0] neg_lo:[0,0,1] neg_hi:[0,0,1]
	v_pk_fma_f32 v[18:19], v[18:19], v[34:35], v[48:49] op_sel:[0,0,1] op_sel_hi:[1,0,0]
	v_mov_b32_e32 v15, v9
	v_pk_add_f32 v[2:3], v[2:3], v[12:13]
	s_waitcnt lgkmcnt(0)
	v_pk_mul_f32 v[4:5], v[22:23], v[4:5] op_sel_hi:[1,0]
	v_pk_fma_f32 v[26:27], v[20:21], v[36:37], v[50:51] op_sel:[0,0,1] op_sel_hi:[1,1,0] neg_lo:[0,0,1] neg_hi:[0,0,1]
	v_pk_fma_f32 v[20:21], v[20:21], v[36:37], v[50:51] op_sel:[0,0,1] op_sel_hi:[1,0,0]
	v_mov_b32_e32 v17, v19
	v_pk_add_f32 v[2:3], v[2:3], v[14:15]
	v_pk_fma_f32 v[6:7], v[22:23], v[38:39], v[4:5] op_sel:[0,0,1] op_sel_hi:[1,1,0] neg_lo:[0,0,1] neg_hi:[0,0,1]
	v_pk_fma_f32 v[4:5], v[22:23], v[38:39], v[4:5] op_sel:[0,0,1] op_sel_hi:[1,0,0]
	v_mov_b32_e32 v27, v21
	v_pk_add_f32 v[2:3], v[2:3], v[16:17]
	s_waitcnt vmcnt(3)
	v_mov_b32_e32 v4, v41
	v_pk_add_f32 v[2:3], v[2:3], v[26:27]
	v_mov_b32_e32 v7, v5
	v_pk_mul_f32 v[4:5], v[24:25], v[4:5] op_sel_hi:[1,0]
	v_pk_add_f32 v[2:3], v[2:3], v[6:7]
	s_waitcnt vmcnt(2)
	v_pk_fma_f32 v[6:7], v[24:25], v[40:41], v[4:5] op_sel:[0,0,1] op_sel_hi:[1,1,0] neg_lo:[0,0,1] neg_hi:[0,0,1]
	v_pk_fma_f32 v[4:5], v[24:25], v[40:41], v[4:5] op_sel:[0,0,1] op_sel_hi:[1,0,0]
	v_mov_b32_e32 v7, v5
	v_pk_add_f32 v[2:3], v[2:3], v[6:7]
	s_waitcnt vmcnt(0)
	v_pk_add_f32 v[2:3], v[42:43], v[2:3] neg_lo:[0,1] neg_hi:[0,1]
	buffer_store_dword v3, off, s[0:3], 0 offset:412
	buffer_store_dword v2, off, s[0:3], 0 offset:408
	s_and_saveexec_b64 s[4:5], vcc
	s_cbranch_execz .LBB63_297
; %bb.296:
	buffer_load_dword v2, off, s[0:3], 0 offset:400
	buffer_load_dword v3, off, s[0:3], 0 offset:404
	v_mov_b32_e32 v1, 0
	buffer_store_dword v1, off, s[0:3], 0 offset:400
	buffer_store_dword v1, off, s[0:3], 0 offset:404
	s_waitcnt vmcnt(2)
	ds_write_b64 v223, v[2:3]
.LBB63_297:
	s_or_b64 exec, exec, s[4:5]
	s_waitcnt lgkmcnt(0)
	; wave barrier
	s_waitcnt lgkmcnt(0)
	buffer_load_dword v46, off, s[0:3], 0 offset:412
	buffer_load_dword v48, off, s[0:3], 0 offset:420
	;; [unrolled: 1-line block ×28, first 2 shown]
	v_mov_b32_e32 v1, 0
	ds_read2_b64 v[2:5], v1 offset0:115 offset1:116
	ds_read2_b64 v[6:9], v1 offset0:117 offset1:118
	;; [unrolled: 1-line block ×6, first 2 shown]
	ds_read_b64 v[44:45], v1 offset:1016
	v_cmp_lt_u32_e32 vcc, 49, v0
	s_waitcnt vmcnt(27) lgkmcnt(6)
	v_mul_f32_e32 v61, v2, v46
	s_waitcnt vmcnt(26)
	v_mul_f32_e32 v62, v4, v48
	v_mul_f32_e32 v46, v3, v46
	;; [unrolled: 1-line block ×3, first 2 shown]
	s_waitcnt vmcnt(23) lgkmcnt(4)
	v_mul_f32_e32 v49, v10, v52
	v_mul_f32_e32 v63, v6, v50
	;; [unrolled: 1-line block ×6, first 2 shown]
	s_waitcnt vmcnt(22)
	v_mov_b32_e32 v50, v27
	s_waitcnt vmcnt(21)
	v_mov_b32_e32 v52, v29
	s_waitcnt vmcnt(17)
	v_fmac_f32_e32 v61, v3, v53
	s_waitcnt vmcnt(16)
	v_fmac_f32_e32 v62, v5, v55
	;; [unrolled: 2-line block ×3, first 2 shown]
	v_fma_f32 v11, v2, v53, -v46
	v_fma_f32 v53, v4, v55, -v48
	v_pk_mul_f32 v[2:3], v[12:13], v[50:51] op_sel_hi:[1,0]
	s_waitcnt lgkmcnt(3)
	v_pk_mul_f32 v[4:5], v[14:15], v[52:53] op_sel_hi:[1,0]
	v_fma_f32 v46, v8, v59, -v51
	v_fma_f32 v48, v10, v60, -v65
	v_add_f32_e32 v50, 0, v61
	v_add_f32_e32 v51, 0, v11
	s_waitcnt vmcnt(12)
	v_pk_fma_f32 v[10:11], v[12:13], v[26:27], v[2:3] op_sel:[0,0,1] op_sel_hi:[1,1,0] neg_lo:[0,0,1] neg_hi:[0,0,1]
	v_pk_fma_f32 v[2:3], v[12:13], v[26:27], v[2:3] op_sel:[0,0,1] op_sel_hi:[1,0,0]
	s_waitcnt vmcnt(11)
	v_pk_fma_f32 v[12:13], v[14:15], v[28:29], v[4:5] op_sel:[0,0,1] op_sel_hi:[1,1,0] neg_lo:[0,0,1] neg_hi:[0,0,1]
	v_pk_fma_f32 v[4:5], v[14:15], v[28:29], v[4:5] op_sel:[0,0,1] op_sel_hi:[1,0,0]
	v_fmac_f32_e32 v63, v7, v57
	v_fma_f32 v55, v6, v57, -v64
	v_add_f32_e32 v2, v50, v62
	v_add_f32_e32 v4, v51, v53
	v_fmac_f32_e32 v47, v9, v59
	v_mov_b32_e32 v11, v3
	v_add_f32_e32 v3, v2, v63
	v_add_f32_e32 v2, v4, v55
	v_mov_b32_e32 v54, v31
	v_pk_add_f32 v[2:3], v[2:3], v[46:47]
	v_mov_b32_e32 v56, v33
	v_mov_b32_e32 v58, v35
	v_pk_mul_f32 v[6:7], v[16:17], v[54:55] op_sel_hi:[1,0]
	v_pk_add_f32 v[2:3], v[2:3], v[48:49]
	s_waitcnt lgkmcnt(2)
	v_pk_mul_f32 v[8:9], v[18:19], v[56:57] op_sel_hi:[1,0]
	s_waitcnt vmcnt(7)
	v_pk_fma_f32 v[14:15], v[16:17], v[30:31], v[6:7] op_sel:[0,0,1] op_sel_hi:[1,1,0] neg_lo:[0,0,1] neg_hi:[0,0,1]
	v_pk_fma_f32 v[6:7], v[16:17], v[30:31], v[6:7] op_sel:[0,0,1] op_sel_hi:[1,0,0]
	v_mov_b32_e32 v13, v5
	v_pk_add_f32 v[2:3], v[2:3], v[10:11]
	v_pk_mul_f32 v[4:5], v[20:21], v[58:59] op_sel_hi:[1,0]
	v_pk_fma_f32 v[16:17], v[18:19], v[32:33], v[8:9] op_sel:[0,0,1] op_sel_hi:[1,1,0] neg_lo:[0,0,1] neg_hi:[0,0,1]
	v_pk_fma_f32 v[8:9], v[18:19], v[32:33], v[8:9] op_sel:[0,0,1] op_sel_hi:[1,0,0]
	v_mov_b32_e32 v15, v7
	v_pk_add_f32 v[2:3], v[2:3], v[12:13]
	v_pk_fma_f32 v[6:7], v[20:21], v[34:35], v[4:5] op_sel:[0,0,1] op_sel_hi:[1,1,0] neg_lo:[0,0,1] neg_hi:[0,0,1]
	v_pk_fma_f32 v[4:5], v[20:21], v[34:35], v[4:5] op_sel:[0,0,1] op_sel_hi:[1,0,0]
	v_mov_b32_e32 v17, v9
	v_pk_add_f32 v[2:3], v[2:3], v[14:15]
	s_waitcnt vmcnt(6)
	v_mov_b32_e32 v4, v37
	v_pk_add_f32 v[2:3], v[2:3], v[16:17]
	v_mov_b32_e32 v7, v5
	s_waitcnt lgkmcnt(1)
	v_pk_mul_f32 v[4:5], v[22:23], v[4:5] op_sel_hi:[1,0]
	v_pk_add_f32 v[2:3], v[2:3], v[6:7]
	v_pk_fma_f32 v[6:7], v[22:23], v[36:37], v[4:5] op_sel:[0,0,1] op_sel_hi:[1,1,0] neg_lo:[0,0,1] neg_hi:[0,0,1]
	v_pk_fma_f32 v[4:5], v[22:23], v[36:37], v[4:5] op_sel:[0,0,1] op_sel_hi:[1,0,0]
	s_waitcnt vmcnt(5)
	v_mov_b32_e32 v4, v39
	v_mov_b32_e32 v7, v5
	v_pk_mul_f32 v[4:5], v[24:25], v[4:5] op_sel_hi:[1,0]
	v_pk_add_f32 v[2:3], v[2:3], v[6:7]
	s_waitcnt vmcnt(3)
	v_pk_fma_f32 v[6:7], v[24:25], v[38:39], v[4:5] op_sel:[0,0,1] op_sel_hi:[1,1,0] neg_lo:[0,0,1] neg_hi:[0,0,1]
	v_pk_fma_f32 v[4:5], v[24:25], v[38:39], v[4:5] op_sel:[0,0,1] op_sel_hi:[1,0,0]
	s_waitcnt vmcnt(2)
	v_mov_b32_e32 v4, v41
	v_mov_b32_e32 v7, v5
	s_waitcnt lgkmcnt(0)
	v_pk_mul_f32 v[4:5], v[44:45], v[4:5] op_sel_hi:[1,0]
	v_pk_add_f32 v[2:3], v[2:3], v[6:7]
	v_pk_fma_f32 v[6:7], v[44:45], v[40:41], v[4:5] op_sel:[0,0,1] op_sel_hi:[1,1,0] neg_lo:[0,0,1] neg_hi:[0,0,1]
	v_pk_fma_f32 v[4:5], v[44:45], v[40:41], v[4:5] op_sel:[0,0,1] op_sel_hi:[1,0,0]
	v_mov_b32_e32 v7, v5
	v_pk_add_f32 v[2:3], v[2:3], v[6:7]
	s_waitcnt vmcnt(0)
	v_pk_add_f32 v[2:3], v[42:43], v[2:3] neg_lo:[0,1] neg_hi:[0,1]
	buffer_store_dword v3, off, s[0:3], 0 offset:404
	buffer_store_dword v2, off, s[0:3], 0 offset:400
	s_and_saveexec_b64 s[4:5], vcc
	s_cbranch_execz .LBB63_299
; %bb.298:
	buffer_load_dword v2, off, s[0:3], 0 offset:392
	buffer_load_dword v3, off, s[0:3], 0 offset:396
	s_waitcnt vmcnt(0)
	ds_write_b64 v223, v[2:3]
	buffer_store_dword v1, off, s[0:3], 0 offset:392
	buffer_store_dword v1, off, s[0:3], 0 offset:396
.LBB63_299:
	s_or_b64 exec, exec, s[4:5]
	s_waitcnt lgkmcnt(0)
	; wave barrier
	s_waitcnt lgkmcnt(0)
	buffer_load_dword v48, off, s[0:3], 0 offset:404
	buffer_load_dword v50, off, s[0:3], 0 offset:412
	;; [unrolled: 1-line block ×30, first 2 shown]
	ds_read_b128 v[2:5], v1 offset:912
	ds_read_b128 v[6:9], v1 offset:928
	;; [unrolled: 1-line block ×7, first 2 shown]
	v_cmp_lt_u32_e32 vcc, 48, v0
	s_waitcnt vmcnt(29) lgkmcnt(6)
	v_mul_f32_e32 v1, v2, v48
	v_mul_f32_e32 v48, v3, v48
	s_waitcnt vmcnt(27) lgkmcnt(5)
	v_mul_f32_e32 v64, v6, v52
	s_waitcnt vmcnt(26)
	v_mul_f32_e32 v65, v8, v53
	v_mul_f32_e32 v53, v9, v53
	;; [unrolled: 1-line block ×3, first 2 shown]
	s_waitcnt vmcnt(23)
	v_mov_b32_e32 v52, v31
	v_mul_f32_e32 v63, v4, v50
	v_mul_f32_e32 v50, v5, v50
	s_waitcnt vmcnt(20)
	v_fmac_f32_e32 v1, v3, v57
	s_waitcnt vmcnt(19)
	v_fmac_f32_e32 v63, v5, v58
	v_add_f32_e32 v1, 0, v1
	s_waitcnt vmcnt(17)
	v_fma_f32 v53, v8, v60, -v53
	v_fmac_f32_e32 v65, v9, v60
	v_fma_f32 v9, v2, v57, -v48
	s_waitcnt lgkmcnt(3)
	v_pk_mul_f32 v[2:3], v[14:15], v[52:53] op_sel_hi:[1,0]
	v_fma_f32 v57, v4, v58, -v50
	v_add_f32_e32 v52, 0, v9
	s_waitcnt vmcnt(14)
	v_pk_fma_f32 v[8:9], v[14:15], v[30:31], v[2:3] op_sel:[0,0,1] op_sel_hi:[1,1,0] neg_lo:[0,0,1] neg_hi:[0,0,1]
	v_pk_fma_f32 v[2:3], v[14:15], v[30:31], v[2:3] op_sel:[0,0,1] op_sel_hi:[1,0,0]
	v_mul_f32_e32 v49, v10, v54
	v_mul_f32_e32 v51, v12, v55
	v_mul_f32_e32 v67, v11, v54
	v_mul_f32_e32 v55, v13, v55
	v_mov_b32_e32 v54, v33
	v_fmac_f32_e32 v64, v7, v59
	v_fma_f32 v58, v6, v59, -v66
	v_add_f32_e32 v1, v1, v63
	v_add_f32_e32 v2, v52, v57
	v_pk_mul_f32 v[4:5], v[16:17], v[54:55] op_sel_hi:[1,0]
	v_add_f32_e32 v1, v1, v64
	v_add_f32_e32 v2, v2, v58
	v_mov_b32_e32 v56, v35
	v_fmac_f32_e32 v49, v11, v61
	v_fma_f32 v48, v10, v61, -v67
	s_waitcnt vmcnt(10)
	v_pk_fma_f32 v[10:11], v[16:17], v[32:33], v[4:5] op_sel:[0,0,1] op_sel_hi:[1,1,0] neg_lo:[0,0,1] neg_hi:[0,0,1]
	v_pk_fma_f32 v[4:5], v[16:17], v[32:33], v[4:5] op_sel:[0,0,1] op_sel_hi:[1,0,0]
	v_mov_b32_e32 v9, v3
	v_add_f32_e32 v3, v1, v65
	v_add_f32_e32 v2, v2, v53
	v_fmac_f32_e32 v51, v13, v62
	v_fma_f32 v50, v12, v62, -v55
	s_waitcnt lgkmcnt(2)
	v_pk_mul_f32 v[6:7], v[18:19], v[56:57] op_sel_hi:[1,0]
	v_pk_add_f32 v[2:3], v[2:3], v[48:49]
	s_waitcnt vmcnt(9)
	v_mov_b32_e32 v4, v39
	v_pk_fma_f32 v[12:13], v[18:19], v[34:35], v[6:7] op_sel:[0,0,1] op_sel_hi:[1,1,0] neg_lo:[0,0,1] neg_hi:[0,0,1]
	v_pk_fma_f32 v[6:7], v[18:19], v[34:35], v[6:7] op_sel:[0,0,1] op_sel_hi:[1,0,0]
	v_mov_b32_e32 v11, v5
	v_pk_add_f32 v[2:3], v[2:3], v[50:51]
	v_pk_mul_f32 v[4:5], v[20:21], v[4:5] op_sel_hi:[1,0]
	v_mov_b32_e32 v13, v7
	v_pk_add_f32 v[2:3], v[2:3], v[8:9]
	v_pk_fma_f32 v[6:7], v[20:21], v[38:39], v[4:5] op_sel:[0,0,1] op_sel_hi:[1,1,0] neg_lo:[0,0,1] neg_hi:[0,0,1]
	v_pk_fma_f32 v[4:5], v[20:21], v[38:39], v[4:5] op_sel:[0,0,1] op_sel_hi:[1,0,0]
	v_pk_add_f32 v[2:3], v[2:3], v[10:11]
	s_waitcnt vmcnt(8)
	v_mov_b32_e32 v4, v37
	v_pk_add_f32 v[2:3], v[2:3], v[12:13]
	v_mov_b32_e32 v7, v5
	s_waitcnt lgkmcnt(1)
	v_pk_mul_f32 v[4:5], v[22:23], v[4:5] op_sel_hi:[1,0]
	v_pk_add_f32 v[2:3], v[2:3], v[6:7]
	v_pk_fma_f32 v[6:7], v[22:23], v[36:37], v[4:5] op_sel:[0,0,1] op_sel_hi:[1,1,0] neg_lo:[0,0,1] neg_hi:[0,0,1]
	v_pk_fma_f32 v[4:5], v[22:23], v[36:37], v[4:5] op_sel:[0,0,1] op_sel_hi:[1,0,0]
	s_waitcnt vmcnt(7)
	v_mov_b32_e32 v4, v41
	v_mov_b32_e32 v7, v5
	v_pk_mul_f32 v[4:5], v[24:25], v[4:5] op_sel_hi:[1,0]
	v_pk_add_f32 v[2:3], v[2:3], v[6:7]
	s_waitcnt vmcnt(4)
	v_pk_fma_f32 v[6:7], v[24:25], v[40:41], v[4:5] op_sel:[0,0,1] op_sel_hi:[1,1,0] neg_lo:[0,0,1] neg_hi:[0,0,1]
	v_pk_fma_f32 v[4:5], v[24:25], v[40:41], v[4:5] op_sel:[0,0,1] op_sel_hi:[1,0,0]
	s_waitcnt vmcnt(3)
	v_mov_b32_e32 v4, v45
	v_mov_b32_e32 v7, v5
	s_waitcnt lgkmcnt(0)
	v_pk_mul_f32 v[4:5], v[26:27], v[4:5] op_sel_hi:[1,0]
	v_pk_add_f32 v[2:3], v[2:3], v[6:7]
	v_pk_fma_f32 v[6:7], v[26:27], v[44:45], v[4:5] op_sel:[0,0,1] op_sel_hi:[1,1,0] neg_lo:[0,0,1] neg_hi:[0,0,1]
	v_pk_fma_f32 v[4:5], v[26:27], v[44:45], v[4:5] op_sel:[0,0,1] op_sel_hi:[1,0,0]
	s_waitcnt vmcnt(0)
	v_mov_b32_e32 v4, v43
	v_mov_b32_e32 v7, v5
	v_pk_mul_f32 v[4:5], v[28:29], v[4:5] op_sel_hi:[1,0]
	v_pk_add_f32 v[2:3], v[2:3], v[6:7]
	v_pk_fma_f32 v[6:7], v[28:29], v[42:43], v[4:5] op_sel:[0,0,1] op_sel_hi:[1,1,0] neg_lo:[0,0,1] neg_hi:[0,0,1]
	v_pk_fma_f32 v[4:5], v[28:29], v[42:43], v[4:5] op_sel:[0,0,1] op_sel_hi:[1,0,0]
	v_mov_b32_e32 v7, v5
	v_pk_add_f32 v[2:3], v[2:3], v[6:7]
	v_pk_add_f32 v[2:3], v[46:47], v[2:3] neg_lo:[0,1] neg_hi:[0,1]
	buffer_store_dword v3, off, s[0:3], 0 offset:396
	buffer_store_dword v2, off, s[0:3], 0 offset:392
	s_and_saveexec_b64 s[4:5], vcc
	s_cbranch_execz .LBB63_301
; %bb.300:
	buffer_load_dword v2, off, s[0:3], 0 offset:384
	buffer_load_dword v3, off, s[0:3], 0 offset:388
	v_mov_b32_e32 v1, 0
	buffer_store_dword v1, off, s[0:3], 0 offset:384
	buffer_store_dword v1, off, s[0:3], 0 offset:388
	s_waitcnt vmcnt(2)
	ds_write_b64 v223, v[2:3]
.LBB63_301:
	s_or_b64 exec, exec, s[4:5]
	s_waitcnt lgkmcnt(0)
	; wave barrier
	s_waitcnt lgkmcnt(0)
	buffer_load_dword v50, off, s[0:3], 0 offset:396
	buffer_load_dword v52, off, s[0:3], 0 offset:404
	buffer_load_dword v54, off, s[0:3], 0 offset:412
	buffer_load_dword v55, off, s[0:3], 0 offset:420
	buffer_load_dword v56, off, s[0:3], 0 offset:428
	buffer_load_dword v57, off, s[0:3], 0 offset:436
	buffer_load_dword v58, off, s[0:3], 0 offset:444
	buffer_load_dword v31, off, s[0:3], 0 offset:452
	buffer_load_dword v33, off, s[0:3], 0 offset:460
	buffer_load_dword v59, off, s[0:3], 0 offset:392
	buffer_load_dword v60, off, s[0:3], 0 offset:400
	buffer_load_dword v61, off, s[0:3], 0 offset:408
	buffer_load_dword v62, off, s[0:3], 0 offset:416
	buffer_load_dword v63, off, s[0:3], 0 offset:424
	buffer_load_dword v64, off, s[0:3], 0 offset:432
	buffer_load_dword v65, off, s[0:3], 0 offset:440
	buffer_load_dword v34, off, s[0:3], 0 offset:472
	buffer_load_dword v36, off, s[0:3], 0 offset:464
	buffer_load_dword v32, off, s[0:3], 0 offset:456
	buffer_load_dword v30, off, s[0:3], 0 offset:448
	buffer_load_dword v37, off, s[0:3], 0 offset:468
	buffer_load_dword v35, off, s[0:3], 0 offset:476
	buffer_load_dword v39, off, s[0:3], 0 offset:484
	buffer_load_dword v40, off, s[0:3], 0 offset:504
	buffer_load_dword v42, off, s[0:3], 0 offset:496
	buffer_load_dword v45, off, s[0:3], 0 offset:492
	buffer_load_dword v44, off, s[0:3], 0 offset:488
	buffer_load_dword v38, off, s[0:3], 0 offset:480
	buffer_load_dword v43, off, s[0:3], 0 offset:500
	buffer_load_dword v46, off, s[0:3], 0 offset:384
	buffer_load_dword v47, off, s[0:3], 0 offset:388
	buffer_load_dword v41, off, s[0:3], 0 offset:508
	v_mov_b32_e32 v1, 0
	ds_read2_b64 v[2:5], v1 offset0:113 offset1:114
	ds_read2_b64 v[6:9], v1 offset0:115 offset1:116
	;; [unrolled: 1-line block ×7, first 2 shown]
	ds_read_b64 v[48:49], v1 offset:1016
	v_cmp_lt_u32_e32 vcc, 47, v0
	s_waitcnt vmcnt(31) lgkmcnt(7)
	v_mul_f32_e32 v66, v2, v50
	s_waitcnt vmcnt(30)
	v_mul_f32_e32 v67, v4, v52
	s_waitcnt vmcnt(29) lgkmcnt(6)
	v_mul_f32_e32 v68, v6, v54
	s_waitcnt vmcnt(28)
	v_mul_f32_e32 v69, v8, v55
	v_mul_f32_e32 v50, v3, v50
	;; [unrolled: 1-line block ×4, first 2 shown]
	s_waitcnt vmcnt(24)
	v_mov_b32_e32 v54, v31
	s_waitcnt lgkmcnt(5)
	v_mul_f32_e32 v70, v10, v56
	v_mul_f32_e32 v52, v5, v52
	;; [unrolled: 1-line block ×3, first 2 shown]
	s_waitcnt vmcnt(22)
	v_fmac_f32_e32 v66, v3, v59
	s_waitcnt vmcnt(21)
	v_fmac_f32_e32 v67, v5, v60
	v_fma_f32 v5, v2, v59, -v50
	s_waitcnt lgkmcnt(4)
	v_pk_mul_f32 v[2:3], v[16:17], v[54:55] op_sel_hi:[1,0]
	s_waitcnt vmcnt(20)
	v_fmac_f32_e32 v68, v7, v61
	s_waitcnt vmcnt(19)
	v_fmac_f32_e32 v69, v9, v62
	;; [unrolled: 2-line block ×3, first 2 shown]
	v_fma_f32 v7, v4, v60, -v52
	v_fma_f32 v9, v10, v63, -v72
	v_add_f32_e32 v10, 0, v66
	v_add_f32_e32 v11, 0, v5
	s_waitcnt vmcnt(12)
	v_pk_fma_f32 v[4:5], v[16:17], v[30:31], v[2:3] op_sel:[0,0,1] op_sel_hi:[1,1,0] neg_lo:[0,0,1] neg_hi:[0,0,1]
	v_pk_fma_f32 v[2:3], v[16:17], v[30:31], v[2:3] op_sel:[0,0,1] op_sel_hi:[1,0,0]
	v_fma_f32 v6, v6, v61, -v71
	v_add_f32_e32 v2, v10, v67
	v_add_f32_e32 v7, v11, v7
	v_fma_f32 v8, v8, v62, -v55
	v_mov_b32_e32 v5, v3
	v_add_f32_e32 v2, v2, v68
	v_add_f32_e32 v3, v7, v6
	v_mul_f32_e32 v51, v12, v57
	v_mul_f32_e32 v57, v13, v57
	v_add_f32_e32 v2, v2, v69
	v_add_f32_e32 v6, v3, v8
	v_mul_f32_e32 v53, v14, v58
	v_mul_f32_e32 v58, v15, v58
	v_fmac_f32_e32 v51, v13, v64
	v_fma_f32 v50, v12, v64, -v57
	v_add_f32_e32 v3, v2, v70
	v_add_f32_e32 v2, v6, v9
	v_fmac_f32_e32 v53, v15, v65
	v_fma_f32 v52, v14, v65, -v58
	v_pk_add_f32 v[2:3], v[2:3], v[50:51]
	v_mov_b32_e32 v56, v33
	v_pk_add_f32 v[2:3], v[2:3], v[52:53]
	v_pk_add_f32 v[2:3], v[2:3], v[4:5]
	s_waitcnt lgkmcnt(3)
	v_pk_mul_f32 v[4:5], v[18:19], v[56:57] op_sel_hi:[1,0]
	v_pk_fma_f32 v[6:7], v[18:19], v[32:33], v[4:5] op_sel:[0,0,1] op_sel_hi:[1,1,0] neg_lo:[0,0,1] neg_hi:[0,0,1]
	v_pk_fma_f32 v[4:5], v[18:19], v[32:33], v[4:5] op_sel:[0,0,1] op_sel_hi:[1,0,0]
	s_waitcnt vmcnt(11)
	v_mov_b32_e32 v4, v37
	v_mov_b32_e32 v7, v5
	v_pk_mul_f32 v[4:5], v[20:21], v[4:5] op_sel_hi:[1,0]
	v_pk_add_f32 v[2:3], v[2:3], v[6:7]
	v_pk_fma_f32 v[6:7], v[20:21], v[36:37], v[4:5] op_sel:[0,0,1] op_sel_hi:[1,1,0] neg_lo:[0,0,1] neg_hi:[0,0,1]
	v_pk_fma_f32 v[4:5], v[20:21], v[36:37], v[4:5] op_sel:[0,0,1] op_sel_hi:[1,0,0]
	s_waitcnt vmcnt(10)
	v_mov_b32_e32 v4, v35
	v_mov_b32_e32 v7, v5
	s_waitcnt lgkmcnt(2)
	v_pk_mul_f32 v[4:5], v[22:23], v[4:5] op_sel_hi:[1,0]
	v_pk_add_f32 v[2:3], v[2:3], v[6:7]
	v_pk_fma_f32 v[6:7], v[22:23], v[34:35], v[4:5] op_sel:[0,0,1] op_sel_hi:[1,1,0] neg_lo:[0,0,1] neg_hi:[0,0,1]
	v_pk_fma_f32 v[4:5], v[22:23], v[34:35], v[4:5] op_sel:[0,0,1] op_sel_hi:[1,0,0]
	s_waitcnt vmcnt(9)
	v_mov_b32_e32 v4, v39
	v_mov_b32_e32 v7, v5
	v_pk_mul_f32 v[4:5], v[24:25], v[4:5] op_sel_hi:[1,0]
	v_pk_add_f32 v[2:3], v[2:3], v[6:7]
	s_waitcnt vmcnt(4)
	v_pk_fma_f32 v[6:7], v[24:25], v[38:39], v[4:5] op_sel:[0,0,1] op_sel_hi:[1,1,0] neg_lo:[0,0,1] neg_hi:[0,0,1]
	v_pk_fma_f32 v[4:5], v[24:25], v[38:39], v[4:5] op_sel:[0,0,1] op_sel_hi:[1,0,0]
	v_mov_b32_e32 v4, v45
	v_mov_b32_e32 v7, v5
	s_waitcnt lgkmcnt(1)
	v_pk_mul_f32 v[4:5], v[26:27], v[4:5] op_sel_hi:[1,0]
	v_pk_add_f32 v[2:3], v[2:3], v[6:7]
	v_pk_fma_f32 v[6:7], v[26:27], v[44:45], v[4:5] op_sel:[0,0,1] op_sel_hi:[1,1,0] neg_lo:[0,0,1] neg_hi:[0,0,1]
	v_pk_fma_f32 v[4:5], v[26:27], v[44:45], v[4:5] op_sel:[0,0,1] op_sel_hi:[1,0,0]
	s_waitcnt vmcnt(3)
	v_mov_b32_e32 v4, v43
	v_mov_b32_e32 v7, v5
	v_pk_mul_f32 v[4:5], v[28:29], v[4:5] op_sel_hi:[1,0]
	v_pk_add_f32 v[2:3], v[2:3], v[6:7]
	v_pk_fma_f32 v[6:7], v[28:29], v[42:43], v[4:5] op_sel:[0,0,1] op_sel_hi:[1,1,0] neg_lo:[0,0,1] neg_hi:[0,0,1]
	v_pk_fma_f32 v[4:5], v[28:29], v[42:43], v[4:5] op_sel:[0,0,1] op_sel_hi:[1,0,0]
	s_waitcnt vmcnt(0)
	v_mov_b32_e32 v4, v41
	v_mov_b32_e32 v7, v5
	s_waitcnt lgkmcnt(0)
	v_pk_mul_f32 v[4:5], v[48:49], v[4:5] op_sel_hi:[1,0]
	v_pk_add_f32 v[2:3], v[2:3], v[6:7]
	v_pk_fma_f32 v[6:7], v[48:49], v[40:41], v[4:5] op_sel:[0,0,1] op_sel_hi:[1,1,0] neg_lo:[0,0,1] neg_hi:[0,0,1]
	v_pk_fma_f32 v[4:5], v[48:49], v[40:41], v[4:5] op_sel:[0,0,1] op_sel_hi:[1,0,0]
	v_mov_b32_e32 v7, v5
	v_pk_add_f32 v[2:3], v[2:3], v[6:7]
	v_pk_add_f32 v[2:3], v[46:47], v[2:3] neg_lo:[0,1] neg_hi:[0,1]
	buffer_store_dword v3, off, s[0:3], 0 offset:388
	buffer_store_dword v2, off, s[0:3], 0 offset:384
	s_and_saveexec_b64 s[4:5], vcc
	s_cbranch_execz .LBB63_303
; %bb.302:
	buffer_load_dword v2, off, s[0:3], 0 offset:376
	buffer_load_dword v3, off, s[0:3], 0 offset:380
	s_waitcnt vmcnt(0)
	ds_write_b64 v223, v[2:3]
	buffer_store_dword v1, off, s[0:3], 0 offset:376
	buffer_store_dword v1, off, s[0:3], 0 offset:380
.LBB63_303:
	s_or_b64 exec, exec, s[4:5]
	s_waitcnt lgkmcnt(0)
	; wave barrier
	s_waitcnt lgkmcnt(0)
	buffer_load_dword v52, off, s[0:3], 0 offset:388
	buffer_load_dword v54, off, s[0:3], 0 offset:396
	;; [unrolled: 1-line block ×32, first 2 shown]
	ds_read_b128 v[2:5], v1 offset:896
	ds_read_b128 v[6:9], v1 offset:912
	;; [unrolled: 1-line block ×4, first 2 shown]
	buffer_load_dword v51, off, s[0:3], 0 offset:508
	buffer_load_dword v50, off, s[0:3], 0 offset:504
	ds_read_b128 v[18:21], v1 offset:960
	ds_read_b128 v[22:25], v1 offset:976
	ds_read_b128 v[26:29], v1 offset:992
	ds_read_b128 v[30:33], v1 offset:1008
	v_cmp_lt_u32_e32 vcc, 46, v0
	s_waitcnt vmcnt(33) lgkmcnt(7)
	v_mul_f32_e32 v1, v2, v52
	v_mul_f32_e32 v52, v3, v52
	s_waitcnt vmcnt(32)
	v_mul_f32_e32 v70, v4, v54
	v_mul_f32_e32 v54, v5, v54
	s_waitcnt vmcnt(31) lgkmcnt(6)
	v_mul_f32_e32 v71, v6, v56
	v_mul_f32_e32 v56, v7, v56
	s_waitcnt vmcnt(30)
	v_mul_f32_e32 v72, v8, v57
	v_mul_f32_e32 v57, v9, v57
	s_waitcnt vmcnt(25)
	v_fmac_f32_e32 v1, v3, v62
	v_fma_f32 v2, v2, v62, -v52
	s_waitcnt vmcnt(24)
	v_fmac_f32_e32 v70, v5, v63
	v_fma_f32 v3, v4, v63, -v54
	v_add_f32_e32 v1, 0, v1
	v_add_f32_e32 v2, 0, v2
	s_waitcnt vmcnt(23)
	v_fmac_f32_e32 v71, v7, v64
	v_fma_f32 v4, v6, v64, -v56
	v_add_f32_e32 v1, v1, v70
	v_add_f32_e32 v2, v2, v3
	s_waitcnt lgkmcnt(5)
	v_mul_f32_e32 v73, v10, v58
	v_mul_f32_e32 v58, v11, v58
	s_waitcnt vmcnt(22)
	v_fmac_f32_e32 v72, v9, v65
	v_fma_f32 v5, v8, v65, -v57
	v_add_f32_e32 v1, v1, v71
	v_add_f32_e32 v2, v2, v4
	v_mul_f32_e32 v74, v12, v59
	v_mul_f32_e32 v59, v13, v59
	s_waitcnt vmcnt(21)
	v_fmac_f32_e32 v73, v11, v66
	v_fma_f32 v6, v10, v66, -v58
	v_add_f32_e32 v1, v1, v72
	v_add_f32_e32 v2, v2, v5
	s_waitcnt vmcnt(17)
	v_mov_b32_e32 v4, v35
	s_waitcnt lgkmcnt(4)
	v_mul_f32_e32 v53, v14, v60
	v_mul_f32_e32 v60, v15, v60
	v_fmac_f32_e32 v74, v13, v67
	v_fma_f32 v7, v12, v67, -v59
	v_add_f32_e32 v1, v1, v73
	v_add_f32_e32 v2, v2, v6
	s_waitcnt lgkmcnt(3)
	v_pk_mul_f32 v[4:5], v[18:19], v[4:5] op_sel_hi:[1,0]
	v_mul_f32_e32 v55, v16, v61
	v_mul_f32_e32 v61, v17, v61
	v_fmac_f32_e32 v53, v15, v68
	v_fma_f32 v52, v14, v68, -v60
	v_add_f32_e32 v3, v1, v74
	v_add_f32_e32 v2, v2, v7
	s_waitcnt vmcnt(14)
	v_pk_fma_f32 v[6:7], v[18:19], v[34:35], v[4:5] op_sel:[0,0,1] op_sel_hi:[1,1,0] neg_lo:[0,0,1] neg_hi:[0,0,1]
	v_pk_fma_f32 v[4:5], v[18:19], v[34:35], v[4:5] op_sel:[0,0,1] op_sel_hi:[1,0,0]
	v_fmac_f32_e32 v55, v17, v69
	v_fma_f32 v54, v16, v69, -v61
	v_pk_add_f32 v[2:3], v[2:3], v[52:53]
	s_waitcnt vmcnt(13)
	v_mov_b32_e32 v4, v39
	v_pk_add_f32 v[2:3], v[2:3], v[54:55]
	v_mov_b32_e32 v7, v5
	v_pk_mul_f32 v[4:5], v[20:21], v[4:5] op_sel_hi:[1,0]
	v_pk_add_f32 v[2:3], v[2:3], v[6:7]
	v_pk_fma_f32 v[6:7], v[20:21], v[38:39], v[4:5] op_sel:[0,0,1] op_sel_hi:[1,1,0] neg_lo:[0,0,1] neg_hi:[0,0,1]
	v_pk_fma_f32 v[4:5], v[20:21], v[38:39], v[4:5] op_sel:[0,0,1] op_sel_hi:[1,0,0]
	s_waitcnt vmcnt(12)
	v_mov_b32_e32 v4, v37
	v_mov_b32_e32 v7, v5
	s_waitcnt lgkmcnt(2)
	v_pk_mul_f32 v[4:5], v[22:23], v[4:5] op_sel_hi:[1,0]
	v_pk_add_f32 v[2:3], v[2:3], v[6:7]
	v_pk_fma_f32 v[6:7], v[22:23], v[36:37], v[4:5] op_sel:[0,0,1] op_sel_hi:[1,1,0] neg_lo:[0,0,1] neg_hi:[0,0,1]
	v_pk_fma_f32 v[4:5], v[22:23], v[36:37], v[4:5] op_sel:[0,0,1] op_sel_hi:[1,0,0]
	s_waitcnt vmcnt(11)
	v_mov_b32_e32 v4, v41
	v_mov_b32_e32 v7, v5
	v_pk_mul_f32 v[4:5], v[24:25], v[4:5] op_sel_hi:[1,0]
	v_pk_add_f32 v[2:3], v[2:3], v[6:7]
	s_waitcnt vmcnt(5)
	v_pk_fma_f32 v[6:7], v[24:25], v[40:41], v[4:5] op_sel:[0,0,1] op_sel_hi:[1,1,0] neg_lo:[0,0,1] neg_hi:[0,0,1]
	v_pk_fma_f32 v[4:5], v[24:25], v[40:41], v[4:5] op_sel:[0,0,1] op_sel_hi:[1,0,0]
	v_mov_b32_e32 v4, v47
	v_mov_b32_e32 v7, v5
	s_waitcnt lgkmcnt(1)
	v_pk_mul_f32 v[4:5], v[26:27], v[4:5] op_sel_hi:[1,0]
	v_pk_add_f32 v[2:3], v[2:3], v[6:7]
	v_pk_fma_f32 v[6:7], v[26:27], v[46:47], v[4:5] op_sel:[0,0,1] op_sel_hi:[1,1,0] neg_lo:[0,0,1] neg_hi:[0,0,1]
	v_pk_fma_f32 v[4:5], v[26:27], v[46:47], v[4:5] op_sel:[0,0,1] op_sel_hi:[1,0,0]
	v_mov_b32_e32 v4, v45
	v_mov_b32_e32 v7, v5
	v_pk_mul_f32 v[4:5], v[28:29], v[4:5] op_sel_hi:[1,0]
	v_pk_add_f32 v[2:3], v[2:3], v[6:7]
	v_pk_fma_f32 v[6:7], v[28:29], v[44:45], v[4:5] op_sel:[0,0,1] op_sel_hi:[1,1,0] neg_lo:[0,0,1] neg_hi:[0,0,1]
	v_pk_fma_f32 v[4:5], v[28:29], v[44:45], v[4:5] op_sel:[0,0,1] op_sel_hi:[1,0,0]
	s_waitcnt vmcnt(2)
	v_mov_b32_e32 v4, v43
	v_mov_b32_e32 v7, v5
	s_waitcnt lgkmcnt(0)
	v_pk_mul_f32 v[4:5], v[30:31], v[4:5] op_sel_hi:[1,0]
	v_pk_add_f32 v[2:3], v[2:3], v[6:7]
	v_pk_fma_f32 v[6:7], v[30:31], v[42:43], v[4:5] op_sel:[0,0,1] op_sel_hi:[1,1,0] neg_lo:[0,0,1] neg_hi:[0,0,1]
	v_pk_fma_f32 v[4:5], v[30:31], v[42:43], v[4:5] op_sel:[0,0,1] op_sel_hi:[1,0,0]
	s_waitcnt vmcnt(1)
	v_mov_b32_e32 v4, v51
	v_mov_b32_e32 v7, v5
	v_pk_mul_f32 v[4:5], v[32:33], v[4:5] op_sel_hi:[1,0]
	v_pk_add_f32 v[2:3], v[2:3], v[6:7]
	s_waitcnt vmcnt(0)
	v_pk_fma_f32 v[6:7], v[32:33], v[50:51], v[4:5] op_sel:[0,0,1] op_sel_hi:[1,1,0] neg_lo:[0,0,1] neg_hi:[0,0,1]
	v_pk_fma_f32 v[4:5], v[32:33], v[50:51], v[4:5] op_sel:[0,0,1] op_sel_hi:[1,0,0]
	v_mov_b32_e32 v7, v5
	v_pk_add_f32 v[2:3], v[2:3], v[6:7]
	v_pk_add_f32 v[2:3], v[48:49], v[2:3] neg_lo:[0,1] neg_hi:[0,1]
	buffer_store_dword v3, off, s[0:3], 0 offset:380
	buffer_store_dword v2, off, s[0:3], 0 offset:376
	s_and_saveexec_b64 s[4:5], vcc
	s_cbranch_execz .LBB63_305
; %bb.304:
	buffer_load_dword v2, off, s[0:3], 0 offset:368
	buffer_load_dword v3, off, s[0:3], 0 offset:372
	v_mov_b32_e32 v1, 0
	buffer_store_dword v1, off, s[0:3], 0 offset:368
	buffer_store_dword v1, off, s[0:3], 0 offset:372
	s_waitcnt vmcnt(2)
	ds_write_b64 v223, v[2:3]
.LBB63_305:
	s_or_b64 exec, exec, s[4:5]
	s_waitcnt lgkmcnt(0)
	; wave barrier
	s_waitcnt lgkmcnt(0)
	buffer_load_dword v44, off, s[0:3], 0 offset:380
	buffer_load_dword v46, off, s[0:3], 0 offset:388
	;; [unrolled: 1-line block ×36, first 2 shown]
	v_mov_b32_e32 v1, 0
	ds_read2_b64 v[2:5], v1 offset0:111 offset1:112
	ds_read2_b64 v[6:9], v1 offset0:113 offset1:114
	;; [unrolled: 1-line block ×6, first 2 shown]
	v_cmp_lt_u32_e32 vcc, 45, v0
	s_waitcnt vmcnt(35) lgkmcnt(5)
	v_mul_f32_e32 v64, v2, v44
	s_waitcnt vmcnt(34)
	v_mul_f32_e32 v65, v4, v46
	v_mul_f32_e32 v44, v3, v44
	s_waitcnt vmcnt(32) lgkmcnt(4)
	v_mul_f32_e32 v67, v8, v49
	v_mul_f32_e32 v49, v9, v49
	;; [unrolled: 1-line block ×5, first 2 shown]
	s_waitcnt vmcnt(31) lgkmcnt(3)
	v_mul_f32_e32 v68, v10, v50
	s_waitcnt vmcnt(26)
	v_fmac_f32_e32 v64, v3, v55
	s_waitcnt vmcnt(25)
	v_fmac_f32_e32 v65, v5, v56
	v_fma_f32 v2, v2, v55, -v44
	s_waitcnt vmcnt(23)
	v_fma_f32 v5, v8, v58, -v49
	v_add_f32_e32 v8, 0, v64
	v_fmac_f32_e32 v66, v7, v57
	v_fma_f32 v3, v4, v56, -v46
	v_add_f32_e32 v2, 0, v2
	v_add_f32_e32 v8, v8, v65
	v_fmac_f32_e32 v67, v9, v58
	v_fma_f32 v4, v6, v57, -v48
	v_add_f32_e32 v2, v2, v3
	v_add_f32_e32 v3, v8, v66
	v_mul_f32_e32 v69, v12, v51
	v_mul_f32_e32 v50, v11, v50
	s_waitcnt vmcnt(22)
	v_fmac_f32_e32 v68, v11, v59
	v_add_f32_e32 v2, v2, v4
	v_add_f32_e32 v3, v3, v67
	s_waitcnt lgkmcnt(2)
	v_mul_f32_e32 v70, v14, v52
	v_mul_f32_e32 v51, v13, v51
	s_waitcnt vmcnt(21)
	v_fmac_f32_e32 v69, v13, v60
	v_fma_f32 v6, v10, v59, -v50
	v_add_f32_e32 v2, v2, v5
	v_add_f32_e32 v3, v3, v68
	v_mul_f32_e32 v52, v15, v52
	s_waitcnt vmcnt(20)
	v_fmac_f32_e32 v70, v15, v61
	v_fma_f32 v7, v12, v60, -v51
	v_add_f32_e32 v2, v2, v6
	v_add_f32_e32 v3, v3, v69
	;; [unrolled: 1-line block ×4, first 2 shown]
	v_fma_f32 v3, v14, v61, -v52
	s_waitcnt vmcnt(17)
	v_mov_b32_e32 v14, v27
	v_mul_f32_e32 v45, v16, v53
	v_add_f32_e32 v10, v2, v3
	v_mul_f32_e32 v2, v17, v53
	s_waitcnt lgkmcnt(1)
	v_pk_mul_f32 v[14:15], v[20:21], v[14:15] op_sel_hi:[1,0]
	v_mul_f32_e32 v47, v18, v54
	v_fmac_f32_e32 v45, v17, v62
	v_fma_f32 v44, v16, v62, -v2
	v_mul_f32_e32 v2, v19, v54
	s_waitcnt vmcnt(15)
	v_pk_fma_f32 v[16:17], v[20:21], v[26:27], v[14:15] op_sel:[0,0,1] op_sel_hi:[1,1,0] neg_lo:[0,0,1] neg_hi:[0,0,1]
	v_pk_fma_f32 v[14:15], v[20:21], v[26:27], v[14:15] op_sel:[0,0,1] op_sel_hi:[1,0,0]
	v_fmac_f32_e32 v47, v19, v63
	v_fma_f32 v46, v18, v63, -v2
	v_pk_add_f32 v[10:11], v[10:11], v[44:45]
	s_waitcnt vmcnt(12)
	v_mov_b32_e32 v14, v29
	v_pk_add_f32 v[10:11], v[10:11], v[46:47]
	v_mov_b32_e32 v17, v15
	s_waitcnt lgkmcnt(0)
	v_pk_mul_f32 v[14:15], v[22:23], v[14:15] op_sel_hi:[1,0]
	v_pk_add_f32 v[10:11], v[10:11], v[16:17]
	v_pk_fma_f32 v[16:17], v[22:23], v[28:29], v[14:15] op_sel:[0,0,1] op_sel_hi:[1,1,0] neg_lo:[0,0,1] neg_hi:[0,0,1]
	v_pk_fma_f32 v[14:15], v[22:23], v[28:29], v[14:15] op_sel:[0,0,1] op_sel_hi:[1,0,0]
	s_waitcnt vmcnt(11)
	v_mov_b32_e32 v14, v33
	ds_read2_b64 v[2:5], v1 offset0:123 offset1:124
	ds_read2_b64 v[6:9], v1 offset0:125 offset1:126
	ds_read_b64 v[12:13], v1 offset:1016
	v_mov_b32_e32 v17, v15
	v_pk_mul_f32 v[14:15], v[24:25], v[14:15] op_sel_hi:[1,0]
	v_pk_add_f32 v[10:11], v[10:11], v[16:17]
	s_waitcnt vmcnt(4)
	v_pk_fma_f32 v[16:17], v[24:25], v[32:33], v[14:15] op_sel:[0,0,1] op_sel_hi:[1,1,0] neg_lo:[0,0,1] neg_hi:[0,0,1]
	v_pk_fma_f32 v[14:15], v[24:25], v[32:33], v[14:15] op_sel:[0,0,1] op_sel_hi:[1,0,0]
	v_mov_b32_e32 v14, v39
	v_mov_b32_e32 v17, v15
	s_waitcnt lgkmcnt(2)
	v_pk_mul_f32 v[14:15], v[2:3], v[14:15] op_sel_hi:[1,0]
	v_pk_add_f32 v[10:11], v[10:11], v[16:17]
	v_pk_fma_f32 v[16:17], v[2:3], v[38:39], v[14:15] op_sel:[0,0,1] op_sel_hi:[1,1,0] neg_lo:[0,0,1] neg_hi:[0,0,1]
	v_pk_fma_f32 v[2:3], v[2:3], v[38:39], v[14:15] op_sel:[0,0,1] op_sel_hi:[1,0,0]
	v_mov_b32_e32 v17, v3
	v_pk_add_f32 v[2:3], v[10:11], v[16:17]
	v_mov_b32_e32 v10, v37
	v_pk_mul_f32 v[10:11], v[4:5], v[10:11] op_sel_hi:[1,0]
	v_pk_fma_f32 v[14:15], v[4:5], v[36:37], v[10:11] op_sel:[0,0,1] op_sel_hi:[1,1,0] neg_lo:[0,0,1] neg_hi:[0,0,1]
	v_pk_fma_f32 v[4:5], v[4:5], v[36:37], v[10:11] op_sel:[0,0,1] op_sel_hi:[1,0,0]
	v_mov_b32_e32 v4, v35
	v_mov_b32_e32 v15, v5
	s_waitcnt lgkmcnt(1)
	v_pk_mul_f32 v[4:5], v[6:7], v[4:5] op_sel_hi:[1,0]
	v_pk_fma_f32 v[10:11], v[6:7], v[34:35], v[4:5] op_sel:[0,0,1] op_sel_hi:[1,1,0] neg_lo:[0,0,1] neg_hi:[0,0,1]
	v_pk_fma_f32 v[4:5], v[6:7], v[34:35], v[4:5] op_sel:[0,0,1] op_sel_hi:[1,0,0]
	s_waitcnt vmcnt(1)
	v_mov_b32_e32 v4, v43
	v_mov_b32_e32 v11, v5
	v_pk_mul_f32 v[4:5], v[8:9], v[4:5] op_sel_hi:[1,0]
	s_waitcnt vmcnt(0)
	v_pk_fma_f32 v[6:7], v[8:9], v[42:43], v[4:5] op_sel:[0,0,1] op_sel_hi:[1,1,0] neg_lo:[0,0,1] neg_hi:[0,0,1]
	v_pk_fma_f32 v[4:5], v[8:9], v[42:43], v[4:5] op_sel:[0,0,1] op_sel_hi:[1,0,0]
	v_pk_add_f32 v[2:3], v[2:3], v[14:15]
	v_mov_b32_e32 v4, v41
	v_pk_add_f32 v[2:3], v[2:3], v[10:11]
	v_mov_b32_e32 v7, v5
	s_waitcnt lgkmcnt(0)
	v_pk_mul_f32 v[4:5], v[12:13], v[4:5] op_sel_hi:[1,0]
	v_pk_add_f32 v[2:3], v[2:3], v[6:7]
	v_pk_fma_f32 v[6:7], v[12:13], v[40:41], v[4:5] op_sel:[0,0,1] op_sel_hi:[1,1,0] neg_lo:[0,0,1] neg_hi:[0,0,1]
	v_pk_fma_f32 v[4:5], v[12:13], v[40:41], v[4:5] op_sel:[0,0,1] op_sel_hi:[1,0,0]
	v_mov_b32_e32 v7, v5
	v_pk_add_f32 v[2:3], v[2:3], v[6:7]
	v_pk_add_f32 v[2:3], v[30:31], v[2:3] neg_lo:[0,1] neg_hi:[0,1]
	buffer_store_dword v3, off, s[0:3], 0 offset:372
	buffer_store_dword v2, off, s[0:3], 0 offset:368
	s_and_saveexec_b64 s[4:5], vcc
	s_cbranch_execz .LBB63_307
; %bb.306:
	buffer_load_dword v2, off, s[0:3], 0 offset:360
	buffer_load_dword v3, off, s[0:3], 0 offset:364
	s_waitcnt vmcnt(0)
	ds_write_b64 v223, v[2:3]
	buffer_store_dword v1, off, s[0:3], 0 offset:360
	buffer_store_dword v1, off, s[0:3], 0 offset:364
.LBB63_307:
	s_or_b64 exec, exec, s[4:5]
	s_waitcnt lgkmcnt(0)
	; wave barrier
	s_waitcnt lgkmcnt(0)
	buffer_load_dword v44, off, s[0:3], 0 offset:372
	buffer_load_dword v46, off, s[0:3], 0 offset:380
	;; [unrolled: 1-line block ×22, first 2 shown]
	ds_read_b128 v[2:5], v1 offset:880
	ds_read_b128 v[6:9], v1 offset:896
	buffer_load_dword v29, off, s[0:3], 0 offset:452
	buffer_load_dword v28, off, s[0:3], 0 offset:448
	;; [unrolled: 1-line block ×10, first 2 shown]
	ds_read_b128 v[10:13], v1 offset:912
	ds_read_b128 v[14:17], v1 offset:928
	;; [unrolled: 1-line block ×4, first 2 shown]
	buffer_load_dword v39, off, s[0:3], 0 offset:508
	buffer_load_dword v38, off, s[0:3], 0 offset:504
	;; [unrolled: 1-line block ×6, first 2 shown]
	v_cmp_lt_u32_e32 vcc, 44, v0
	s_waitcnt vmcnt(37) lgkmcnt(5)
	v_mul_f32_e32 v66, v2, v44
	s_waitcnt vmcnt(36)
	v_mul_f32_e32 v67, v4, v46
	s_waitcnt vmcnt(35) lgkmcnt(4)
	v_mul_f32_e32 v68, v6, v48
	v_mul_f32_e32 v44, v3, v44
	;; [unrolled: 1-line block ×4, first 2 shown]
	s_waitcnt vmcnt(34)
	v_mul_f32_e32 v69, v8, v49
	s_waitcnt vmcnt(33) lgkmcnt(3)
	v_mul_f32_e32 v70, v10, v50
	s_waitcnt vmcnt(32)
	v_mul_f32_e32 v71, v12, v51
	s_waitcnt vmcnt(31) lgkmcnt(2)
	v_mul_f32_e32 v72, v14, v52
	s_waitcnt vmcnt(27)
	v_fmac_f32_e32 v66, v3, v56
	s_waitcnt vmcnt(26)
	v_fmac_f32_e32 v67, v5, v57
	;; [unrolled: 2-line block ×3, first 2 shown]
	v_fma_f32 v2, v2, v56, -v44
	v_add_f32_e32 v7, 0, v66
	v_fma_f32 v3, v4, v57, -v46
	v_add_f32_e32 v2, 0, v2
	v_add_f32_e32 v7, v7, v67
	s_waitcnt vmcnt(24)
	v_fmac_f32_e32 v69, v9, v59
	v_add_f32_e32 v2, v2, v3
	v_add_f32_e32 v3, v7, v68
	s_waitcnt vmcnt(23)
	v_fmac_f32_e32 v70, v11, v60
	v_add_f32_e32 v3, v3, v69
	v_mul_f32_e32 v49, v9, v49
	s_waitcnt vmcnt(22)
	v_fmac_f32_e32 v71, v13, v61
	v_fma_f32 v4, v6, v58, -v48
	v_add_f32_e32 v3, v3, v70
	v_mul_f32_e32 v73, v16, v53
	v_mul_f32_e32 v50, v11, v50
	s_waitcnt vmcnt(21)
	v_fmac_f32_e32 v72, v15, v62
	v_fma_f32 v5, v8, v59, -v49
	v_add_f32_e32 v2, v2, v4
	v_add_f32_e32 v3, v3, v71
	v_mul_f32_e32 v51, v13, v51
	s_waitcnt vmcnt(20)
	v_fmac_f32_e32 v73, v17, v63
	v_fma_f32 v6, v10, v60, -v50
	v_add_f32_e32 v2, v2, v5
	v_add_f32_e32 v3, v3, v72
	;; [unrolled: 1-line block ×4, first 2 shown]
	v_fma_f32 v3, v12, v61, -v51
	v_add_f32_e32 v2, v2, v3
	v_mul_f32_e32 v3, v15, v52
	v_fma_f32 v3, v14, v62, -v3
	v_add_f32_e32 v2, v2, v3
	v_mul_f32_e32 v3, v17, v53
	v_fma_f32 v3, v16, v63, -v3
	s_waitcnt vmcnt(15)
	v_mov_b32_e32 v16, v29
	s_waitcnt lgkmcnt(1)
	v_mul_f32_e32 v45, v18, v54
	v_add_f32_e32 v48, v2, v3
	v_mul_f32_e32 v2, v19, v54
	s_waitcnt lgkmcnt(0)
	v_pk_mul_f32 v[16:17], v[22:23], v[16:17] op_sel_hi:[1,0]
	v_mul_f32_e32 v47, v20, v55
	v_fmac_f32_e32 v45, v19, v64
	v_fma_f32 v44, v18, v64, -v2
	v_mul_f32_e32 v2, v21, v55
	s_waitcnt vmcnt(14)
	v_pk_fma_f32 v[18:19], v[22:23], v[28:29], v[16:17] op_sel:[0,0,1] op_sel_hi:[1,1,0] neg_lo:[0,0,1] neg_hi:[0,0,1]
	v_pk_fma_f32 v[16:17], v[22:23], v[28:29], v[16:17] op_sel:[0,0,1] op_sel_hi:[1,0,0]
	v_fmac_f32_e32 v47, v21, v65
	v_fma_f32 v46, v20, v65, -v2
	v_pk_add_f32 v[14:15], v[48:49], v[44:45]
	s_waitcnt vmcnt(13)
	v_mov_b32_e32 v16, v31
	ds_read_b128 v[2:5], v1 offset:976
	ds_read_b128 v[6:9], v1 offset:992
	;; [unrolled: 1-line block ×3, first 2 shown]
	v_pk_add_f32 v[14:15], v[14:15], v[46:47]
	v_mov_b32_e32 v19, v17
	v_pk_mul_f32 v[16:17], v[24:25], v[16:17] op_sel_hi:[1,0]
	v_pk_add_f32 v[14:15], v[14:15], v[18:19]
	s_waitcnt vmcnt(6)
	v_pk_fma_f32 v[18:19], v[24:25], v[30:31], v[16:17] op_sel:[0,0,1] op_sel_hi:[1,1,0] neg_lo:[0,0,1] neg_hi:[0,0,1]
	v_pk_fma_f32 v[16:17], v[24:25], v[30:31], v[16:17] op_sel:[0,0,1] op_sel_hi:[1,0,0]
	v_mov_b32_e32 v16, v37
	v_mov_b32_e32 v19, v17
	s_waitcnt lgkmcnt(2)
	v_pk_mul_f32 v[16:17], v[2:3], v[16:17] op_sel_hi:[1,0]
	v_pk_add_f32 v[14:15], v[14:15], v[18:19]
	v_pk_fma_f32 v[18:19], v[2:3], v[36:37], v[16:17] op_sel:[0,0,1] op_sel_hi:[1,1,0] neg_lo:[0,0,1] neg_hi:[0,0,1]
	v_pk_fma_f32 v[2:3], v[2:3], v[36:37], v[16:17] op_sel:[0,0,1] op_sel_hi:[1,0,0]
	v_mov_b32_e32 v19, v3
	v_pk_add_f32 v[2:3], v[14:15], v[18:19]
	v_mov_b32_e32 v14, v35
	v_pk_mul_f32 v[14:15], v[4:5], v[14:15] op_sel_hi:[1,0]
	v_pk_fma_f32 v[16:17], v[4:5], v[34:35], v[14:15] op_sel:[0,0,1] op_sel_hi:[1,1,0] neg_lo:[0,0,1] neg_hi:[0,0,1]
	v_pk_fma_f32 v[4:5], v[4:5], v[34:35], v[14:15] op_sel:[0,0,1] op_sel_hi:[1,0,0]
	v_mov_b32_e32 v4, v33
	v_mov_b32_e32 v17, v5
	s_waitcnt lgkmcnt(1)
	v_pk_mul_f32 v[4:5], v[6:7], v[4:5] op_sel_hi:[1,0]
	v_pk_fma_f32 v[14:15], v[6:7], v[32:33], v[4:5] op_sel:[0,0,1] op_sel_hi:[1,1,0] neg_lo:[0,0,1] neg_hi:[0,0,1]
	v_pk_fma_f32 v[4:5], v[6:7], v[32:33], v[4:5] op_sel:[0,0,1] op_sel_hi:[1,0,0]
	s_waitcnt vmcnt(1)
	v_mov_b32_e32 v4, v43
	v_mov_b32_e32 v15, v5
	v_pk_mul_f32 v[4:5], v[8:9], v[4:5] op_sel_hi:[1,0]
	s_waitcnt vmcnt(0)
	v_pk_fma_f32 v[6:7], v[8:9], v[42:43], v[4:5] op_sel:[0,0,1] op_sel_hi:[1,1,0] neg_lo:[0,0,1] neg_hi:[0,0,1]
	v_pk_fma_f32 v[4:5], v[8:9], v[42:43], v[4:5] op_sel:[0,0,1] op_sel_hi:[1,0,0]
	v_pk_add_f32 v[2:3], v[2:3], v[16:17]
	v_mov_b32_e32 v4, v41
	v_pk_add_f32 v[2:3], v[2:3], v[14:15]
	v_mov_b32_e32 v7, v5
	s_waitcnt lgkmcnt(0)
	v_pk_mul_f32 v[4:5], v[10:11], v[4:5] op_sel_hi:[1,0]
	v_pk_add_f32 v[2:3], v[2:3], v[6:7]
	v_pk_fma_f32 v[6:7], v[10:11], v[40:41], v[4:5] op_sel:[0,0,1] op_sel_hi:[1,1,0] neg_lo:[0,0,1] neg_hi:[0,0,1]
	v_pk_fma_f32 v[4:5], v[10:11], v[40:41], v[4:5] op_sel:[0,0,1] op_sel_hi:[1,0,0]
	v_mov_b32_e32 v4, v39
	v_mov_b32_e32 v7, v5
	v_pk_mul_f32 v[4:5], v[12:13], v[4:5] op_sel_hi:[1,0]
	v_pk_add_f32 v[2:3], v[2:3], v[6:7]
	v_pk_fma_f32 v[6:7], v[12:13], v[38:39], v[4:5] op_sel:[0,0,1] op_sel_hi:[1,1,0] neg_lo:[0,0,1] neg_hi:[0,0,1]
	v_pk_fma_f32 v[4:5], v[12:13], v[38:39], v[4:5] op_sel:[0,0,1] op_sel_hi:[1,0,0]
	v_mov_b32_e32 v7, v5
	v_pk_add_f32 v[2:3], v[2:3], v[6:7]
	v_pk_add_f32 v[2:3], v[26:27], v[2:3] neg_lo:[0,1] neg_hi:[0,1]
	buffer_store_dword v3, off, s[0:3], 0 offset:364
	buffer_store_dword v2, off, s[0:3], 0 offset:360
	s_and_saveexec_b64 s[4:5], vcc
	s_cbranch_execz .LBB63_309
; %bb.308:
	buffer_load_dword v2, off, s[0:3], 0 offset:352
	buffer_load_dword v3, off, s[0:3], 0 offset:356
	v_mov_b32_e32 v1, 0
	buffer_store_dword v1, off, s[0:3], 0 offset:352
	buffer_store_dword v1, off, s[0:3], 0 offset:356
	s_waitcnt vmcnt(2)
	ds_write_b64 v223, v[2:3]
.LBB63_309:
	s_or_b64 exec, exec, s[4:5]
	s_waitcnt lgkmcnt(0)
	; wave barrier
	s_waitcnt lgkmcnt(0)
	buffer_load_dword v44, off, s[0:3], 0 offset:364
	buffer_load_dword v46, off, s[0:3], 0 offset:372
	;; [unrolled: 1-line block ×40, first 2 shown]
	v_mov_b32_e32 v1, 0
	ds_read2_b64 v[2:5], v1 offset0:109 offset1:110
	ds_read2_b64 v[6:9], v1 offset0:111 offset1:112
	;; [unrolled: 1-line block ×6, first 2 shown]
	v_cmp_lt_u32_e32 vcc, 43, v0
	s_waitcnt vmcnt(39) lgkmcnt(5)
	v_mul_f32_e32 v68, v2, v44
	s_waitcnt vmcnt(38)
	v_mul_f32_e32 v69, v4, v46
	s_waitcnt vmcnt(37) lgkmcnt(4)
	v_mul_f32_e32 v70, v6, v48
	v_mul_f32_e32 v44, v3, v44
	;; [unrolled: 1-line block ×4, first 2 shown]
	s_waitcnt vmcnt(36)
	v_mul_f32_e32 v71, v8, v49
	s_waitcnt vmcnt(35) lgkmcnt(3)
	v_mul_f32_e32 v72, v10, v50
	s_waitcnt vmcnt(34)
	v_mul_f32_e32 v73, v12, v51
	s_waitcnt vmcnt(33) lgkmcnt(2)
	v_mul_f32_e32 v74, v14, v52
	s_waitcnt vmcnt(32)
	v_mul_f32_e32 v75, v16, v53
	s_waitcnt vmcnt(28)
	v_fmac_f32_e32 v68, v3, v57
	s_waitcnt vmcnt(27)
	v_fmac_f32_e32 v69, v5, v58
	v_fma_f32 v2, v2, v57, -v44
	v_fma_f32 v3, v4, v58, -v46
	s_waitcnt vmcnt(26)
	v_fma_f32 v4, v6, v59, -v48
	v_add_f32_e32 v6, 0, v68
	v_fmac_f32_e32 v70, v7, v59
	v_add_f32_e32 v2, 0, v2
	v_add_f32_e32 v6, v6, v69
	s_waitcnt vmcnt(25)
	v_fmac_f32_e32 v71, v9, v60
	v_add_f32_e32 v2, v2, v3
	v_add_f32_e32 v3, v6, v70
	s_waitcnt vmcnt(24)
	v_fmac_f32_e32 v72, v11, v61
	v_add_f32_e32 v3, v3, v71
	s_waitcnt vmcnt(23)
	v_fmac_f32_e32 v73, v13, v62
	;; [unrolled: 3-line block ×3, first 2 shown]
	v_add_f32_e32 v3, v3, v73
	s_waitcnt lgkmcnt(1)
	v_mul_f32_e32 v76, v18, v54
	s_waitcnt vmcnt(21)
	v_fmac_f32_e32 v75, v17, v64
	v_add_f32_e32 v3, v3, v74
	v_mul_f32_e32 v49, v9, v49
	s_waitcnt vmcnt(20)
	v_fmac_f32_e32 v76, v19, v65
	v_add_f32_e32 v3, v3, v75
	v_fma_f32 v5, v8, v60, -v49
	v_add_f32_e32 v2, v2, v4
	v_add_f32_e32 v49, v3, v76
	v_mul_f32_e32 v3, v11, v50
	v_add_f32_e32 v2, v2, v5
	v_fma_f32 v3, v10, v61, -v3
	v_add_f32_e32 v2, v2, v3
	v_mul_f32_e32 v3, v13, v51
	v_fma_f32 v3, v12, v62, -v3
	v_add_f32_e32 v2, v2, v3
	v_mul_f32_e32 v3, v15, v52
	;; [unrolled: 3-line block ×5, first 2 shown]
	s_waitcnt vmcnt(9)
	v_mov_b32_e32 v18, v35
	v_mul_f32_e32 v45, v20, v55
	v_fma_f32 v44, v20, v66, -v2
	s_waitcnt lgkmcnt(0)
	v_mul_f32_e32 v2, v23, v56
	v_pk_mul_f32 v[18:19], v[24:25], v[18:19] op_sel_hi:[1,0]
	v_mul_f32_e32 v47, v22, v56
	v_fmac_f32_e32 v45, v21, v66
	v_fma_f32 v46, v22, v67, -v2
	ds_read2_b64 v[2:5], v1 offset0:121 offset1:122
	ds_read2_b64 v[6:9], v1 offset0:123 offset1:124
	;; [unrolled: 1-line block ×3, first 2 shown]
	ds_read_b64 v[14:15], v1 offset:1016
	s_waitcnt vmcnt(8)
	v_pk_fma_f32 v[20:21], v[24:25], v[34:35], v[18:19] op_sel:[0,0,1] op_sel_hi:[1,1,0] neg_lo:[0,0,1] neg_hi:[0,0,1]
	v_pk_fma_f32 v[18:19], v[24:25], v[34:35], v[18:19] op_sel:[0,0,1] op_sel_hi:[1,0,0]
	v_fmac_f32_e32 v47, v23, v67
	v_pk_add_f32 v[16:17], v[48:49], v[44:45]
	v_mov_b32_e32 v18, v33
	v_pk_add_f32 v[16:17], v[16:17], v[46:47]
	v_mov_b32_e32 v21, v19
	s_waitcnt lgkmcnt(3)
	v_pk_mul_f32 v[18:19], v[2:3], v[18:19] op_sel_hi:[1,0]
	v_pk_add_f32 v[16:17], v[16:17], v[20:21]
	v_pk_fma_f32 v[20:21], v[2:3], v[32:33], v[18:19] op_sel:[0,0,1] op_sel_hi:[1,1,0] neg_lo:[0,0,1] neg_hi:[0,0,1]
	v_pk_fma_f32 v[2:3], v[2:3], v[32:33], v[18:19] op_sel:[0,0,1] op_sel_hi:[1,0,0]
	v_mov_b32_e32 v21, v3
	v_pk_add_f32 v[2:3], v[16:17], v[20:21]
	v_mov_b32_e32 v16, v31
	v_pk_mul_f32 v[16:17], v[4:5], v[16:17] op_sel_hi:[1,0]
	v_pk_fma_f32 v[18:19], v[4:5], v[30:31], v[16:17] op_sel:[0,0,1] op_sel_hi:[1,1,0] neg_lo:[0,0,1] neg_hi:[0,0,1]
	v_pk_fma_f32 v[4:5], v[4:5], v[30:31], v[16:17] op_sel:[0,0,1] op_sel_hi:[1,0,0]
	v_mov_b32_e32 v4, v29
	v_mov_b32_e32 v19, v5
	s_waitcnt lgkmcnt(2)
	v_pk_mul_f32 v[4:5], v[6:7], v[4:5] op_sel_hi:[1,0]
	v_pk_fma_f32 v[16:17], v[6:7], v[28:29], v[4:5] op_sel:[0,0,1] op_sel_hi:[1,1,0] neg_lo:[0,0,1] neg_hi:[0,0,1]
	v_pk_fma_f32 v[4:5], v[6:7], v[28:29], v[4:5] op_sel:[0,0,1] op_sel_hi:[1,0,0]
	s_waitcnt vmcnt(1)
	v_mov_b32_e32 v4, v43
	v_mov_b32_e32 v17, v5
	v_pk_mul_f32 v[4:5], v[8:9], v[4:5] op_sel_hi:[1,0]
	s_waitcnt vmcnt(0)
	v_pk_fma_f32 v[6:7], v[8:9], v[42:43], v[4:5] op_sel:[0,0,1] op_sel_hi:[1,1,0] neg_lo:[0,0,1] neg_hi:[0,0,1]
	v_pk_fma_f32 v[4:5], v[8:9], v[42:43], v[4:5] op_sel:[0,0,1] op_sel_hi:[1,0,0]
	v_pk_add_f32 v[2:3], v[2:3], v[18:19]
	v_mov_b32_e32 v4, v41
	v_pk_add_f32 v[2:3], v[2:3], v[16:17]
	v_mov_b32_e32 v7, v5
	s_waitcnt lgkmcnt(1)
	v_pk_mul_f32 v[4:5], v[10:11], v[4:5] op_sel_hi:[1,0]
	v_pk_add_f32 v[2:3], v[2:3], v[6:7]
	v_pk_fma_f32 v[6:7], v[10:11], v[40:41], v[4:5] op_sel:[0,0,1] op_sel_hi:[1,1,0] neg_lo:[0,0,1] neg_hi:[0,0,1]
	v_pk_fma_f32 v[4:5], v[10:11], v[40:41], v[4:5] op_sel:[0,0,1] op_sel_hi:[1,0,0]
	v_mov_b32_e32 v4, v39
	v_mov_b32_e32 v7, v5
	v_pk_mul_f32 v[4:5], v[12:13], v[4:5] op_sel_hi:[1,0]
	v_pk_add_f32 v[2:3], v[2:3], v[6:7]
	v_pk_fma_f32 v[6:7], v[12:13], v[38:39], v[4:5] op_sel:[0,0,1] op_sel_hi:[1,1,0] neg_lo:[0,0,1] neg_hi:[0,0,1]
	v_pk_fma_f32 v[4:5], v[12:13], v[38:39], v[4:5] op_sel:[0,0,1] op_sel_hi:[1,0,0]
	v_mov_b32_e32 v4, v37
	v_mov_b32_e32 v7, v5
	s_waitcnt lgkmcnt(0)
	v_pk_mul_f32 v[4:5], v[14:15], v[4:5] op_sel_hi:[1,0]
	v_pk_add_f32 v[2:3], v[2:3], v[6:7]
	v_pk_fma_f32 v[6:7], v[14:15], v[36:37], v[4:5] op_sel:[0,0,1] op_sel_hi:[1,1,0] neg_lo:[0,0,1] neg_hi:[0,0,1]
	v_pk_fma_f32 v[4:5], v[14:15], v[36:37], v[4:5] op_sel:[0,0,1] op_sel_hi:[1,0,0]
	v_mov_b32_e32 v7, v5
	v_pk_add_f32 v[2:3], v[2:3], v[6:7]
	v_pk_add_f32 v[2:3], v[26:27], v[2:3] neg_lo:[0,1] neg_hi:[0,1]
	buffer_store_dword v3, off, s[0:3], 0 offset:356
	buffer_store_dword v2, off, s[0:3], 0 offset:352
	s_and_saveexec_b64 s[4:5], vcc
	s_cbranch_execz .LBB63_311
; %bb.310:
	buffer_load_dword v2, off, s[0:3], 0 offset:344
	buffer_load_dword v3, off, s[0:3], 0 offset:348
	s_waitcnt vmcnt(0)
	ds_write_b64 v223, v[2:3]
	buffer_store_dword v1, off, s[0:3], 0 offset:344
	buffer_store_dword v1, off, s[0:3], 0 offset:348
.LBB63_311:
	s_or_b64 exec, exec, s[4:5]
	s_waitcnt lgkmcnt(0)
	; wave barrier
	s_waitcnt lgkmcnt(0)
	buffer_load_dword v44, off, s[0:3], 0 offset:356
	buffer_load_dword v46, off, s[0:3], 0 offset:364
	;; [unrolled: 1-line block ×26, first 2 shown]
	ds_read_b128 v[2:5], v1 offset:864
	ds_read_b128 v[6:9], v1 offset:880
	;; [unrolled: 1-line block ×6, first 2 shown]
	buffer_load_dword v29, off, s[0:3], 0 offset:468
	buffer_load_dword v28, off, s[0:3], 0 offset:464
	;; [unrolled: 1-line block ×16, first 2 shown]
	v_cmp_lt_u32_e32 vcc, 42, v0
	s_waitcnt vmcnt(41) lgkmcnt(5)
	v_mul_f32_e32 v70, v2, v44
	s_waitcnt vmcnt(40)
	v_mul_f32_e32 v71, v4, v46
	v_mul_f32_e32 v44, v3, v44
	s_waitcnt vmcnt(39) lgkmcnt(4)
	v_mul_f32_e32 v72, v6, v48
	v_mul_f32_e32 v46, v5, v46
	s_waitcnt vmcnt(38)
	v_mul_f32_e32 v73, v8, v50
	s_waitcnt vmcnt(37) lgkmcnt(3)
	v_mul_f32_e32 v74, v10, v51
	s_waitcnt vmcnt(36)
	v_mul_f32_e32 v75, v12, v52
	s_waitcnt vmcnt(35) lgkmcnt(2)
	;; [unrolled: 4-line block ×3, first 2 shown]
	v_mul_f32_e32 v78, v18, v55
	s_waitcnt vmcnt(32)
	v_mul_f32_e32 v79, v20, v56
	s_waitcnt vmcnt(29)
	v_fmac_f32_e32 v70, v3, v49
	s_waitcnt vmcnt(28)
	v_fmac_f32_e32 v71, v5, v59
	v_fma_f32 v2, v2, v49, -v44
	v_add_f32_e32 v5, 0, v70
	s_waitcnt vmcnt(27)
	v_fmac_f32_e32 v72, v7, v60
	v_fma_f32 v3, v4, v59, -v46
	v_add_f32_e32 v2, 0, v2
	v_add_f32_e32 v5, v5, v71
	s_waitcnt vmcnt(26)
	v_fmac_f32_e32 v73, v9, v61
	v_add_f32_e32 v2, v2, v3
	v_add_f32_e32 v3, v5, v72
	s_waitcnt vmcnt(25)
	v_fmac_f32_e32 v74, v11, v62
	v_add_f32_e32 v3, v3, v73
	s_waitcnt vmcnt(24)
	v_fmac_f32_e32 v75, v13, v63
	v_add_f32_e32 v3, v3, v74
	s_waitcnt vmcnt(23)
	v_fmac_f32_e32 v76, v15, v64
	v_add_f32_e32 v3, v3, v75
	s_waitcnt vmcnt(22)
	v_fmac_f32_e32 v77, v17, v65
	v_add_f32_e32 v3, v3, v76
	s_waitcnt vmcnt(21)
	v_fmac_f32_e32 v78, v19, v66
	v_add_f32_e32 v3, v3, v77
	v_mul_f32_e32 v48, v7, v48
	s_waitcnt vmcnt(20)
	v_fmac_f32_e32 v79, v21, v67
	v_add_f32_e32 v3, v3, v78
	v_fma_f32 v4, v6, v60, -v48
	v_add_f32_e32 v49, v3, v79
	v_mul_f32_e32 v3, v9, v50
	v_add_f32_e32 v2, v2, v4
	v_fma_f32 v3, v8, v61, -v3
	v_add_f32_e32 v2, v2, v3
	v_mul_f32_e32 v3, v11, v51
	v_fma_f32 v3, v10, v62, -v3
	v_add_f32_e32 v2, v2, v3
	v_mul_f32_e32 v3, v13, v52
	;; [unrolled: 3-line block ×6, first 2 shown]
	v_fma_f32 v3, v20, v67, -v3
	v_add_f32_e32 v48, v2, v3
	s_waitcnt lgkmcnt(0)
	v_mul_f32_e32 v2, v23, v57
	s_waitcnt vmcnt(19)
	v_fma_f32 v44, v22, v68, -v2
	v_mul_f32_e32 v2, v25, v58
	s_waitcnt vmcnt(18)
	v_fma_f32 v46, v24, v69, -v2
	ds_read_b128 v[2:5], v1 offset:960
	ds_read_b128 v[6:9], v1 offset:976
	ds_read_b128 v[10:13], v1 offset:992
	ds_read_b128 v[14:17], v1 offset:1008
	v_mul_f32_e32 v45, v22, v57
	s_waitcnt vmcnt(11)
	v_mov_b32_e32 v20, v33
	v_mul_f32_e32 v47, v24, v58
	v_fmac_f32_e32 v45, v23, v68
	s_waitcnt lgkmcnt(3)
	v_pk_mul_f32 v[20:21], v[2:3], v[20:21] op_sel_hi:[1,0]
	v_fmac_f32_e32 v47, v25, v69
	v_pk_add_f32 v[18:19], v[48:49], v[44:45]
	s_waitcnt vmcnt(10)
	v_pk_fma_f32 v[22:23], v[2:3], v[32:33], v[20:21] op_sel:[0,0,1] op_sel_hi:[1,1,0] neg_lo:[0,0,1] neg_hi:[0,0,1]
	v_pk_fma_f32 v[2:3], v[2:3], v[32:33], v[20:21] op_sel:[0,0,1] op_sel_hi:[1,0,0]
	v_pk_add_f32 v[18:19], v[18:19], v[46:47]
	v_mov_b32_e32 v23, v3
	v_pk_add_f32 v[2:3], v[18:19], v[22:23]
	v_mov_b32_e32 v18, v31
	v_pk_mul_f32 v[18:19], v[4:5], v[18:19] op_sel_hi:[1,0]
	v_pk_fma_f32 v[20:21], v[4:5], v[30:31], v[18:19] op_sel:[0,0,1] op_sel_hi:[1,1,0] neg_lo:[0,0,1] neg_hi:[0,0,1]
	v_pk_fma_f32 v[4:5], v[4:5], v[30:31], v[18:19] op_sel:[0,0,1] op_sel_hi:[1,0,0]
	v_mov_b32_e32 v4, v29
	v_mov_b32_e32 v21, v5
	s_waitcnt lgkmcnt(2)
	v_pk_mul_f32 v[4:5], v[6:7], v[4:5] op_sel_hi:[1,0]
	v_pk_fma_f32 v[18:19], v[6:7], v[28:29], v[4:5] op_sel:[0,0,1] op_sel_hi:[1,1,0] neg_lo:[0,0,1] neg_hi:[0,0,1]
	v_pk_fma_f32 v[4:5], v[6:7], v[28:29], v[4:5] op_sel:[0,0,1] op_sel_hi:[1,0,0]
	s_waitcnt vmcnt(3)
	v_mov_b32_e32 v4, v41
	v_mov_b32_e32 v19, v5
	v_pk_mul_f32 v[4:5], v[8:9], v[4:5] op_sel_hi:[1,0]
	s_waitcnt vmcnt(2)
	v_pk_fma_f32 v[6:7], v[8:9], v[40:41], v[4:5] op_sel:[0,0,1] op_sel_hi:[1,1,0] neg_lo:[0,0,1] neg_hi:[0,0,1]
	v_pk_fma_f32 v[4:5], v[8:9], v[40:41], v[4:5] op_sel:[0,0,1] op_sel_hi:[1,0,0]
	v_pk_add_f32 v[2:3], v[2:3], v[20:21]
	v_mov_b32_e32 v4, v39
	v_pk_add_f32 v[2:3], v[2:3], v[18:19]
	v_mov_b32_e32 v7, v5
	s_waitcnt lgkmcnt(1)
	v_pk_mul_f32 v[4:5], v[10:11], v[4:5] op_sel_hi:[1,0]
	v_pk_add_f32 v[2:3], v[2:3], v[6:7]
	v_pk_fma_f32 v[6:7], v[10:11], v[38:39], v[4:5] op_sel:[0,0,1] op_sel_hi:[1,1,0] neg_lo:[0,0,1] neg_hi:[0,0,1]
	v_pk_fma_f32 v[4:5], v[10:11], v[38:39], v[4:5] op_sel:[0,0,1] op_sel_hi:[1,0,0]
	v_mov_b32_e32 v4, v37
	v_mov_b32_e32 v7, v5
	v_pk_mul_f32 v[4:5], v[12:13], v[4:5] op_sel_hi:[1,0]
	v_pk_add_f32 v[2:3], v[2:3], v[6:7]
	v_pk_fma_f32 v[6:7], v[12:13], v[36:37], v[4:5] op_sel:[0,0,1] op_sel_hi:[1,1,0] neg_lo:[0,0,1] neg_hi:[0,0,1]
	v_pk_fma_f32 v[4:5], v[12:13], v[36:37], v[4:5] op_sel:[0,0,1] op_sel_hi:[1,0,0]
	v_mov_b32_e32 v4, v35
	v_mov_b32_e32 v7, v5
	s_waitcnt lgkmcnt(0)
	v_pk_mul_f32 v[4:5], v[14:15], v[4:5] op_sel_hi:[1,0]
	v_pk_add_f32 v[2:3], v[2:3], v[6:7]
	v_pk_fma_f32 v[6:7], v[14:15], v[34:35], v[4:5] op_sel:[0,0,1] op_sel_hi:[1,1,0] neg_lo:[0,0,1] neg_hi:[0,0,1]
	v_pk_fma_f32 v[4:5], v[14:15], v[34:35], v[4:5] op_sel:[0,0,1] op_sel_hi:[1,0,0]
	s_waitcnt vmcnt(1)
	v_mov_b32_e32 v4, v43
	v_mov_b32_e32 v7, v5
	v_pk_mul_f32 v[4:5], v[16:17], v[4:5] op_sel_hi:[1,0]
	v_pk_add_f32 v[2:3], v[2:3], v[6:7]
	s_waitcnt vmcnt(0)
	v_pk_fma_f32 v[6:7], v[16:17], v[42:43], v[4:5] op_sel:[0,0,1] op_sel_hi:[1,1,0] neg_lo:[0,0,1] neg_hi:[0,0,1]
	v_pk_fma_f32 v[4:5], v[16:17], v[42:43], v[4:5] op_sel:[0,0,1] op_sel_hi:[1,0,0]
	v_mov_b32_e32 v7, v5
	v_pk_add_f32 v[2:3], v[2:3], v[6:7]
	v_pk_add_f32 v[2:3], v[26:27], v[2:3] neg_lo:[0,1] neg_hi:[0,1]
	buffer_store_dword v3, off, s[0:3], 0 offset:348
	buffer_store_dword v2, off, s[0:3], 0 offset:344
	s_and_saveexec_b64 s[4:5], vcc
	s_cbranch_execz .LBB63_313
; %bb.312:
	buffer_load_dword v2, off, s[0:3], 0 offset:336
	buffer_load_dword v3, off, s[0:3], 0 offset:340
	v_mov_b32_e32 v1, 0
	buffer_store_dword v1, off, s[0:3], 0 offset:336
	buffer_store_dword v1, off, s[0:3], 0 offset:340
	s_waitcnt vmcnt(2)
	ds_write_b64 v223, v[2:3]
.LBB63_313:
	s_or_b64 exec, exec, s[4:5]
	s_waitcnt lgkmcnt(0)
	; wave barrier
	s_waitcnt lgkmcnt(0)
	buffer_load_dword v52, off, s[0:3], 0 offset:348
	buffer_load_dword v54, off, s[0:3], 0 offset:356
	;; [unrolled: 1-line block ×44, first 2 shown]
	v_mov_b32_e32 v1, 0
	ds_read2_b64 v[2:5], v1 offset0:107 offset1:108
	ds_read2_b64 v[6:9], v1 offset0:109 offset1:110
	;; [unrolled: 1-line block ×8, first 2 shown]
	v_cmp_lt_u32_e32 vcc, 41, v0
	s_waitcnt vmcnt(43) lgkmcnt(7)
	v_mul_f32_e32 v57, v2, v52
	s_waitcnt vmcnt(42)
	v_mul_f32_e32 v81, v4, v54
	s_waitcnt vmcnt(41) lgkmcnt(6)
	v_mul_f32_e32 v82, v6, v56
	v_mul_f32_e32 v52, v3, v52
	s_waitcnt vmcnt(40)
	v_mul_f32_e32 v83, v8, v58
	s_waitcnt vmcnt(39) lgkmcnt(5)
	v_mul_f32_e32 v84, v10, v59
	s_waitcnt vmcnt(38)
	v_mul_f32_e32 v85, v12, v60
	s_waitcnt vmcnt(37) lgkmcnt(4)
	;; [unrolled: 4-line block ×4, first 2 shown]
	v_mul_f32_e32 v90, v22, v65
	s_waitcnt vmcnt(32)
	v_mul_f32_e32 v53, v24, v66
	s_waitcnt vmcnt(30)
	v_fmac_f32_e32 v57, v3, v68
	s_waitcnt vmcnt(29)
	v_fmac_f32_e32 v81, v5, v69
	v_add_f32_e32 v3, 0, v57
	s_waitcnt vmcnt(28)
	v_fmac_f32_e32 v82, v7, v70
	v_add_f32_e32 v3, v3, v81
	;; [unrolled: 3-line block ×10, first 2 shown]
	v_add_f32_e32 v57, v3, v90
	v_fma_f32 v2, v2, v68, -v52
	v_mul_f32_e32 v3, v5, v54
	v_add_f32_e32 v2, 0, v2
	v_fma_f32 v3, v4, v69, -v3
	v_add_f32_e32 v2, v2, v3
	v_mul_f32_e32 v3, v7, v56
	v_fma_f32 v3, v6, v70, -v3
	v_add_f32_e32 v2, v2, v3
	v_mul_f32_e32 v3, v9, v58
	;; [unrolled: 3-line block ×9, first 2 shown]
	v_fma_f32 v3, v22, v78, -v3
	s_waitcnt vmcnt(13)
	v_mov_b32_e32 v14, v39
	v_add_f32_e32 v56, v2, v3
	v_mul_f32_e32 v2, v25, v66
	s_waitcnt lgkmcnt(1)
	v_pk_mul_f32 v[14:15], v[28:29], v[14:15] op_sel_hi:[1,0]
	v_mul_f32_e32 v55, v26, v67
	v_fmac_f32_e32 v53, v25, v79
	v_fma_f32 v52, v24, v79, -v2
	v_mul_f32_e32 v2, v27, v67
	s_waitcnt vmcnt(12)
	v_pk_fma_f32 v[16:17], v[28:29], v[38:39], v[14:15] op_sel:[0,0,1] op_sel_hi:[1,1,0] neg_lo:[0,0,1] neg_hi:[0,0,1]
	v_pk_fma_f32 v[14:15], v[28:29], v[38:39], v[14:15] op_sel:[0,0,1] op_sel_hi:[1,0,0]
	v_fmac_f32_e32 v55, v27, v80
	v_fma_f32 v54, v26, v80, -v2
	v_pk_add_f32 v[12:13], v[56:57], v[52:53]
	v_mov_b32_e32 v14, v37
	v_pk_add_f32 v[12:13], v[12:13], v[54:55]
	v_mov_b32_e32 v17, v15
	s_waitcnt lgkmcnt(0)
	v_pk_mul_f32 v[14:15], v[30:31], v[14:15] op_sel_hi:[1,0]
	v_pk_add_f32 v[12:13], v[12:13], v[16:17]
	v_pk_fma_f32 v[16:17], v[30:31], v[36:37], v[14:15] op_sel:[0,0,1] op_sel_hi:[1,1,0] neg_lo:[0,0,1] neg_hi:[0,0,1]
	v_pk_fma_f32 v[14:15], v[30:31], v[36:37], v[14:15] op_sel:[0,0,1] op_sel_hi:[1,0,0]
	s_waitcnt vmcnt(5)
	v_mov_b32_e32 v14, v47
	ds_read2_b64 v[2:5], v1 offset0:123 offset1:124
	ds_read2_b64 v[6:9], v1 offset0:125 offset1:126
	ds_read_b64 v[10:11], v1 offset:1016
	v_mov_b32_e32 v17, v15
	v_pk_mul_f32 v[14:15], v[32:33], v[14:15] op_sel_hi:[1,0]
	v_pk_add_f32 v[12:13], v[12:13], v[16:17]
	s_waitcnt vmcnt(4)
	v_pk_fma_f32 v[16:17], v[32:33], v[46:47], v[14:15] op_sel:[0,0,1] op_sel_hi:[1,1,0] neg_lo:[0,0,1] neg_hi:[0,0,1]
	v_pk_fma_f32 v[14:15], v[32:33], v[46:47], v[14:15] op_sel:[0,0,1] op_sel_hi:[1,0,0]
	v_mov_b32_e32 v14, v45
	v_mov_b32_e32 v17, v15
	s_waitcnt lgkmcnt(2)
	v_pk_mul_f32 v[14:15], v[2:3], v[14:15] op_sel_hi:[1,0]
	v_pk_add_f32 v[12:13], v[12:13], v[16:17]
	v_pk_fma_f32 v[16:17], v[2:3], v[44:45], v[14:15] op_sel:[0,0,1] op_sel_hi:[1,1,0] neg_lo:[0,0,1] neg_hi:[0,0,1]
	v_pk_fma_f32 v[2:3], v[2:3], v[44:45], v[14:15] op_sel:[0,0,1] op_sel_hi:[1,0,0]
	v_mov_b32_e32 v17, v3
	v_pk_add_f32 v[2:3], v[12:13], v[16:17]
	v_mov_b32_e32 v12, v43
	v_pk_mul_f32 v[12:13], v[4:5], v[12:13] op_sel_hi:[1,0]
	v_pk_fma_f32 v[14:15], v[4:5], v[42:43], v[12:13] op_sel:[0,0,1] op_sel_hi:[1,1,0] neg_lo:[0,0,1] neg_hi:[0,0,1]
	v_pk_fma_f32 v[4:5], v[4:5], v[42:43], v[12:13] op_sel:[0,0,1] op_sel_hi:[1,0,0]
	v_mov_b32_e32 v4, v41
	v_mov_b32_e32 v15, v5
	s_waitcnt lgkmcnt(1)
	v_pk_mul_f32 v[4:5], v[6:7], v[4:5] op_sel_hi:[1,0]
	v_pk_fma_f32 v[12:13], v[6:7], v[40:41], v[4:5] op_sel:[0,0,1] op_sel_hi:[1,1,0] neg_lo:[0,0,1] neg_hi:[0,0,1]
	v_pk_fma_f32 v[4:5], v[6:7], v[40:41], v[4:5] op_sel:[0,0,1] op_sel_hi:[1,0,0]
	s_waitcnt vmcnt(1)
	v_mov_b32_e32 v4, v51
	v_mov_b32_e32 v13, v5
	v_pk_mul_f32 v[4:5], v[8:9], v[4:5] op_sel_hi:[1,0]
	s_waitcnt vmcnt(0)
	v_pk_fma_f32 v[6:7], v[8:9], v[50:51], v[4:5] op_sel:[0,0,1] op_sel_hi:[1,1,0] neg_lo:[0,0,1] neg_hi:[0,0,1]
	v_pk_fma_f32 v[4:5], v[8:9], v[50:51], v[4:5] op_sel:[0,0,1] op_sel_hi:[1,0,0]
	v_pk_add_f32 v[2:3], v[2:3], v[14:15]
	v_mov_b32_e32 v4, v49
	v_pk_add_f32 v[2:3], v[2:3], v[12:13]
	v_mov_b32_e32 v7, v5
	s_waitcnt lgkmcnt(0)
	v_pk_mul_f32 v[4:5], v[10:11], v[4:5] op_sel_hi:[1,0]
	v_pk_add_f32 v[2:3], v[2:3], v[6:7]
	v_pk_fma_f32 v[6:7], v[10:11], v[48:49], v[4:5] op_sel:[0,0,1] op_sel_hi:[1,1,0] neg_lo:[0,0,1] neg_hi:[0,0,1]
	v_pk_fma_f32 v[4:5], v[10:11], v[48:49], v[4:5] op_sel:[0,0,1] op_sel_hi:[1,0,0]
	v_mov_b32_e32 v7, v5
	v_pk_add_f32 v[2:3], v[2:3], v[6:7]
	v_pk_add_f32 v[2:3], v[34:35], v[2:3] neg_lo:[0,1] neg_hi:[0,1]
	buffer_store_dword v3, off, s[0:3], 0 offset:340
	buffer_store_dword v2, off, s[0:3], 0 offset:336
	s_and_saveexec_b64 s[4:5], vcc
	s_cbranch_execz .LBB63_315
; %bb.314:
	buffer_load_dword v2, off, s[0:3], 0 offset:328
	buffer_load_dword v3, off, s[0:3], 0 offset:332
	s_waitcnt vmcnt(0)
	ds_write_b64 v223, v[2:3]
	buffer_store_dword v1, off, s[0:3], 0 offset:328
	buffer_store_dword v1, off, s[0:3], 0 offset:332
.LBB63_315:
	s_or_b64 exec, exec, s[4:5]
	s_waitcnt lgkmcnt(0)
	; wave barrier
	s_waitcnt lgkmcnt(0)
	buffer_load_dword v52, off, s[0:3], 0 offset:340
	buffer_load_dword v54, off, s[0:3], 0 offset:348
	;; [unrolled: 1-line block ×30, first 2 shown]
	ds_read_b128 v[2:5], v1 offset:848
	ds_read_b128 v[6:9], v1 offset:864
	;; [unrolled: 1-line block ×6, first 2 shown]
	buffer_load_dword v37, off, s[0:3], 0 offset:452
	buffer_load_dword v36, off, s[0:3], 0 offset:448
	ds_read_b128 v[26:29], v1 offset:944
	ds_read_b128 v[30:33], v1 offset:960
	buffer_load_dword v39, off, s[0:3], 0 offset:484
	buffer_load_dword v38, off, s[0:3], 0 offset:480
	;; [unrolled: 1-line block ×14, first 2 shown]
	v_cmp_lt_u32_e32 vcc, 40, v0
	s_waitcnt vmcnt(45) lgkmcnt(7)
	v_mul_f32_e32 v55, v2, v52
	s_waitcnt vmcnt(44)
	v_mul_f32_e32 v57, v4, v54
	s_waitcnt vmcnt(43) lgkmcnt(6)
	v_mul_f32_e32 v83, v6, v56
	s_waitcnt vmcnt(42)
	v_mul_f32_e32 v84, v8, v58
	;; [unrolled: 4-line block ×6, first 2 shown]
	s_waitcnt vmcnt(33) lgkmcnt(1)
	v_mul_f32_e32 v53, v26, v67
	s_waitcnt vmcnt(32)
	v_fmac_f32_e32 v55, v3, v68
	v_mul_f32_e32 v3, v3, v52
	v_fma_f32 v2, v2, v68, -v3
	v_mul_f32_e32 v3, v5, v54
	v_add_f32_e32 v2, 0, v2
	s_waitcnt vmcnt(31)
	v_fma_f32 v3, v4, v69, -v3
	v_add_f32_e32 v2, v2, v3
	v_mul_f32_e32 v3, v7, v56
	s_waitcnt vmcnt(30)
	v_fma_f32 v3, v6, v70, -v3
	v_add_f32_e32 v2, v2, v3
	v_mul_f32_e32 v3, v9, v58
	;; [unrolled: 4-line block ×5, first 2 shown]
	s_waitcnt vmcnt(26)
	v_fma_f32 v3, v14, v74, -v3
	v_fmac_f32_e32 v57, v5, v69
	v_add_f32_e32 v55, 0, v55
	v_add_f32_e32 v2, v2, v3
	v_mul_f32_e32 v3, v17, v62
	v_fmac_f32_e32 v83, v7, v70
	v_add_f32_e32 v55, v55, v57
	s_waitcnt vmcnt(25)
	v_fma_f32 v3, v16, v75, -v3
	v_fmac_f32_e32 v84, v9, v71
	v_add_f32_e32 v55, v55, v83
	v_add_f32_e32 v2, v2, v3
	v_mul_f32_e32 v3, v19, v63
	v_fmac_f32_e32 v85, v11, v72
	v_add_f32_e32 v55, v55, v84
	;; [unrolled: 8-line block ×5, first 2 shown]
	s_waitcnt vmcnt(21)
	v_fma_f32 v3, v24, v79, -v3
	s_waitcnt vmcnt(15)
	v_mov_b32_e32 v16, v37
	v_fmac_f32_e32 v92, v25, v79
	v_add_f32_e32 v55, v55, v91
	v_add_f32_e32 v54, v2, v3
	v_mul_f32_e32 v2, v27, v67
	s_waitcnt lgkmcnt(0)
	v_pk_mul_f32 v[16:17], v[30:31], v[16:17] op_sel_hi:[1,0]
	v_fmac_f32_e32 v53, v27, v80
	v_add_f32_e32 v55, v55, v92
	v_mul_f32_e32 v57, v28, v81
	v_fma_f32 v52, v26, v80, -v2
	v_mul_f32_e32 v2, v29, v81
	s_waitcnt vmcnt(14)
	v_pk_fma_f32 v[18:19], v[30:31], v[36:37], v[16:17] op_sel:[0,0,1] op_sel_hi:[1,1,0] neg_lo:[0,0,1] neg_hi:[0,0,1]
	v_pk_fma_f32 v[16:17], v[30:31], v[36:37], v[16:17] op_sel:[0,0,1] op_sel_hi:[1,0,0]
	v_fmac_f32_e32 v57, v29, v82
	v_fma_f32 v56, v28, v82, -v2
	v_pk_add_f32 v[14:15], v[54:55], v[52:53]
	s_waitcnt vmcnt(7)
	v_mov_b32_e32 v16, v45
	ds_read_b128 v[2:5], v1 offset:976
	ds_read_b128 v[6:9], v1 offset:992
	;; [unrolled: 1-line block ×3, first 2 shown]
	v_pk_add_f32 v[14:15], v[14:15], v[56:57]
	v_mov_b32_e32 v19, v17
	v_pk_mul_f32 v[16:17], v[32:33], v[16:17] op_sel_hi:[1,0]
	v_pk_add_f32 v[14:15], v[14:15], v[18:19]
	s_waitcnt vmcnt(6)
	v_pk_fma_f32 v[18:19], v[32:33], v[44:45], v[16:17] op_sel:[0,0,1] op_sel_hi:[1,1,0] neg_lo:[0,0,1] neg_hi:[0,0,1]
	v_pk_fma_f32 v[16:17], v[32:33], v[44:45], v[16:17] op_sel:[0,0,1] op_sel_hi:[1,0,0]
	v_mov_b32_e32 v16, v43
	v_mov_b32_e32 v19, v17
	s_waitcnt lgkmcnt(2)
	v_pk_mul_f32 v[16:17], v[2:3], v[16:17] op_sel_hi:[1,0]
	v_pk_add_f32 v[14:15], v[14:15], v[18:19]
	v_pk_fma_f32 v[18:19], v[2:3], v[42:43], v[16:17] op_sel:[0,0,1] op_sel_hi:[1,1,0] neg_lo:[0,0,1] neg_hi:[0,0,1]
	v_pk_fma_f32 v[2:3], v[2:3], v[42:43], v[16:17] op_sel:[0,0,1] op_sel_hi:[1,0,0]
	v_mov_b32_e32 v19, v3
	v_pk_add_f32 v[2:3], v[14:15], v[18:19]
	v_mov_b32_e32 v14, v41
	v_pk_mul_f32 v[14:15], v[4:5], v[14:15] op_sel_hi:[1,0]
	v_pk_fma_f32 v[16:17], v[4:5], v[40:41], v[14:15] op_sel:[0,0,1] op_sel_hi:[1,1,0] neg_lo:[0,0,1] neg_hi:[0,0,1]
	v_pk_fma_f32 v[4:5], v[4:5], v[40:41], v[14:15] op_sel:[0,0,1] op_sel_hi:[1,0,0]
	v_mov_b32_e32 v4, v39
	v_mov_b32_e32 v17, v5
	s_waitcnt lgkmcnt(1)
	v_pk_mul_f32 v[4:5], v[6:7], v[4:5] op_sel_hi:[1,0]
	v_pk_fma_f32 v[14:15], v[6:7], v[38:39], v[4:5] op_sel:[0,0,1] op_sel_hi:[1,1,0] neg_lo:[0,0,1] neg_hi:[0,0,1]
	v_pk_fma_f32 v[4:5], v[6:7], v[38:39], v[4:5] op_sel:[0,0,1] op_sel_hi:[1,0,0]
	s_waitcnt vmcnt(1)
	v_mov_b32_e32 v4, v51
	v_mov_b32_e32 v15, v5
	v_pk_mul_f32 v[4:5], v[8:9], v[4:5] op_sel_hi:[1,0]
	s_waitcnt vmcnt(0)
	v_pk_fma_f32 v[6:7], v[8:9], v[50:51], v[4:5] op_sel:[0,0,1] op_sel_hi:[1,1,0] neg_lo:[0,0,1] neg_hi:[0,0,1]
	v_pk_fma_f32 v[4:5], v[8:9], v[50:51], v[4:5] op_sel:[0,0,1] op_sel_hi:[1,0,0]
	v_pk_add_f32 v[2:3], v[2:3], v[16:17]
	v_mov_b32_e32 v4, v49
	v_pk_add_f32 v[2:3], v[2:3], v[14:15]
	v_mov_b32_e32 v7, v5
	s_waitcnt lgkmcnt(0)
	v_pk_mul_f32 v[4:5], v[10:11], v[4:5] op_sel_hi:[1,0]
	v_pk_add_f32 v[2:3], v[2:3], v[6:7]
	v_pk_fma_f32 v[6:7], v[10:11], v[48:49], v[4:5] op_sel:[0,0,1] op_sel_hi:[1,1,0] neg_lo:[0,0,1] neg_hi:[0,0,1]
	v_pk_fma_f32 v[4:5], v[10:11], v[48:49], v[4:5] op_sel:[0,0,1] op_sel_hi:[1,0,0]
	v_mov_b32_e32 v4, v47
	v_mov_b32_e32 v7, v5
	v_pk_mul_f32 v[4:5], v[12:13], v[4:5] op_sel_hi:[1,0]
	v_pk_add_f32 v[2:3], v[2:3], v[6:7]
	v_pk_fma_f32 v[6:7], v[12:13], v[46:47], v[4:5] op_sel:[0,0,1] op_sel_hi:[1,1,0] neg_lo:[0,0,1] neg_hi:[0,0,1]
	v_pk_fma_f32 v[4:5], v[12:13], v[46:47], v[4:5] op_sel:[0,0,1] op_sel_hi:[1,0,0]
	v_mov_b32_e32 v7, v5
	v_pk_add_f32 v[2:3], v[2:3], v[6:7]
	v_pk_add_f32 v[2:3], v[34:35], v[2:3] neg_lo:[0,1] neg_hi:[0,1]
	buffer_store_dword v3, off, s[0:3], 0 offset:332
	buffer_store_dword v2, off, s[0:3], 0 offset:328
	s_and_saveexec_b64 s[4:5], vcc
	s_cbranch_execz .LBB63_317
; %bb.316:
	buffer_load_dword v2, off, s[0:3], 0 offset:320
	buffer_load_dword v3, off, s[0:3], 0 offset:324
	v_mov_b32_e32 v1, 0
	buffer_store_dword v1, off, s[0:3], 0 offset:320
	buffer_store_dword v1, off, s[0:3], 0 offset:324
	s_waitcnt vmcnt(2)
	ds_write_b64 v223, v[2:3]
.LBB63_317:
	s_or_b64 exec, exec, s[4:5]
	s_waitcnt lgkmcnt(0)
	; wave barrier
	s_waitcnt lgkmcnt(0)
	buffer_load_dword v50, off, s[0:3], 0 offset:332
	buffer_load_dword v54, off, s[0:3], 0 offset:340
	;; [unrolled: 1-line block ×32, first 2 shown]
	v_mov_b32_e32 v1, 0
	buffer_load_dword v37, off, s[0:3], 0 offset:476
	buffer_load_dword v36, off, s[0:3], 0 offset:472
	;; [unrolled: 1-line block ×13, first 2 shown]
	ds_read2_b64 v[2:5], v1 offset0:105 offset1:106
	ds_read2_b64 v[6:9], v1 offset0:107 offset1:108
	ds_read2_b64 v[10:13], v1 offset0:109 offset1:110
	ds_read2_b64 v[14:17], v1 offset0:111 offset1:112
	ds_read2_b64 v[18:21], v1 offset0:113 offset1:114
	ds_read2_b64 v[22:25], v1 offset0:115 offset1:116
	ds_read2_b64 v[26:29], v1 offset0:117 offset1:118
	ds_read2_b64 v[30:33], v1 offset0:119 offset1:120
	v_cmp_lt_u32_e32 vcc, 39, v0
	s_waitcnt vmcnt(44) lgkmcnt(7)
	v_mul_f32_e32 v44, v2, v50
	s_waitcnt vmcnt(43)
	v_mul_f32_e32 v51, v4, v54
	s_waitcnt vmcnt(42) lgkmcnt(6)
	v_mul_f32_e32 v52, v6, v56
	s_waitcnt vmcnt(41)
	v_mul_f32_e32 v53, v8, v58
	s_waitcnt vmcnt(40) lgkmcnt(5)
	v_mul_f32_e32 v55, v10, v59
	s_waitcnt vmcnt(39)
	v_mul_f32_e32 v57, v12, v60
	s_waitcnt vmcnt(38) lgkmcnt(4)
	v_mul_f32_e32 v85, v14, v61
	s_waitcnt vmcnt(37)
	v_mul_f32_e32 v86, v16, v62
	s_waitcnt vmcnt(36) lgkmcnt(3)
	v_mul_f32_e32 v87, v18, v63
	s_waitcnt vmcnt(35)
	v_mul_f32_e32 v88, v20, v64
	s_waitcnt vmcnt(34) lgkmcnt(2)
	v_mul_f32_e32 v89, v22, v65
	s_waitcnt vmcnt(33)
	v_mul_f32_e32 v90, v24, v66
	s_waitcnt vmcnt(32) lgkmcnt(1)
	v_mul_f32_e32 v91, v26, v67
	s_waitcnt vmcnt(31)
	v_fmac_f32_e32 v44, v3, v68
	s_waitcnt vmcnt(30)
	v_fmac_f32_e32 v51, v5, v69
	v_add_f32_e32 v44, 0, v44
	s_waitcnt vmcnt(29)
	v_fmac_f32_e32 v52, v7, v70
	v_add_f32_e32 v44, v44, v51
	;; [unrolled: 3-line block ×12, first 2 shown]
	v_add_f32_e32 v51, v44, v91
	buffer_load_dword v53, off, s[0:3], 0 offset:492
	buffer_load_dword v52, off, s[0:3], 0 offset:488
	;; [unrolled: 1-line block ×3, first 2 shown]
	v_mul_f32_e32 v3, v3, v50
	v_fma_f32 v2, v2, v68, -v3
	v_mul_f32_e32 v3, v5, v54
	v_add_f32_e32 v2, 0, v2
	v_fma_f32 v3, v4, v69, -v3
	v_add_f32_e32 v2, v2, v3
	v_mul_f32_e32 v3, v7, v56
	v_fma_f32 v3, v6, v70, -v3
	v_add_f32_e32 v2, v2, v3
	v_mul_f32_e32 v3, v9, v58
	;; [unrolled: 3-line block ×11, first 2 shown]
	v_fma_f32 v3, v26, v80, -v3
	v_add_f32_e32 v50, v2, v3
	s_waitcnt vmcnt(21)
	v_mul_f32_e32 v2, v29, v81
	s_waitcnt vmcnt(9)
	v_mov_b32_e32 v18, v43
	v_mul_f32_e32 v55, v28, v81
	v_fma_f32 v54, v28, v82, -v2
	s_waitcnt lgkmcnt(0)
	v_mul_f32_e32 v2, v31, v83
	v_pk_mul_f32 v[18:19], v[32:33], v[18:19] op_sel_hi:[1,0]
	v_fmac_f32_e32 v55, v29, v82
	v_mul_f32_e32 v57, v30, v83
	v_fma_f32 v56, v30, v84, -v2
	ds_read2_b64 v[2:5], v1 offset0:121 offset1:122
	ds_read2_b64 v[6:9], v1 offset0:123 offset1:124
	;; [unrolled: 1-line block ×3, first 2 shown]
	ds_read_b64 v[14:15], v1 offset:1016
	s_waitcnt vmcnt(8)
	v_pk_fma_f32 v[20:21], v[32:33], v[42:43], v[18:19] op_sel:[0,0,1] op_sel_hi:[1,1,0] neg_lo:[0,0,1] neg_hi:[0,0,1]
	v_pk_fma_f32 v[18:19], v[32:33], v[42:43], v[18:19] op_sel:[0,0,1] op_sel_hi:[1,0,0]
	v_fmac_f32_e32 v57, v31, v84
	v_pk_add_f32 v[16:17], v[50:51], v[54:55]
	v_mov_b32_e32 v18, v41
	v_pk_add_f32 v[16:17], v[16:17], v[56:57]
	v_mov_b32_e32 v21, v19
	s_waitcnt lgkmcnt(3)
	v_pk_mul_f32 v[18:19], v[2:3], v[18:19] op_sel_hi:[1,0]
	v_pk_add_f32 v[16:17], v[16:17], v[20:21]
	v_pk_fma_f32 v[20:21], v[2:3], v[40:41], v[18:19] op_sel:[0,0,1] op_sel_hi:[1,1,0] neg_lo:[0,0,1] neg_hi:[0,0,1]
	v_pk_fma_f32 v[2:3], v[2:3], v[40:41], v[18:19] op_sel:[0,0,1] op_sel_hi:[1,0,0]
	v_mov_b32_e32 v21, v3
	v_pk_add_f32 v[2:3], v[16:17], v[20:21]
	v_mov_b32_e32 v16, v39
	v_pk_mul_f32 v[16:17], v[4:5], v[16:17] op_sel_hi:[1,0]
	v_pk_fma_f32 v[18:19], v[4:5], v[38:39], v[16:17] op_sel:[0,0,1] op_sel_hi:[1,1,0] neg_lo:[0,0,1] neg_hi:[0,0,1]
	v_pk_fma_f32 v[4:5], v[4:5], v[38:39], v[16:17] op_sel:[0,0,1] op_sel_hi:[1,0,0]
	v_mov_b32_e32 v4, v37
	v_mov_b32_e32 v19, v5
	s_waitcnt lgkmcnt(2)
	v_pk_mul_f32 v[4:5], v[6:7], v[4:5] op_sel_hi:[1,0]
	v_pk_fma_f32 v[16:17], v[6:7], v[36:37], v[4:5] op_sel:[0,0,1] op_sel_hi:[1,1,0] neg_lo:[0,0,1] neg_hi:[0,0,1]
	v_pk_fma_f32 v[4:5], v[6:7], v[36:37], v[4:5] op_sel:[0,0,1] op_sel_hi:[1,0,0]
	s_waitcnt vmcnt(7)
	v_mov_b32_e32 v4, v45
	v_mov_b32_e32 v17, v5
	v_pk_mul_f32 v[4:5], v[8:9], v[4:5] op_sel_hi:[1,0]
	v_pk_add_f32 v[2:3], v[2:3], v[18:19]
	v_pk_add_f32 v[2:3], v[2:3], v[16:17]
	s_waitcnt vmcnt(0)
	v_pk_fma_f32 v[6:7], v[8:9], v[44:45], v[4:5] op_sel:[0,0,1] op_sel_hi:[1,1,0] neg_lo:[0,0,1] neg_hi:[0,0,1]
	v_pk_fma_f32 v[4:5], v[8:9], v[44:45], v[4:5] op_sel:[0,0,1] op_sel_hi:[1,0,0]
	v_mov_b32_e32 v4, v53
	v_mov_b32_e32 v7, v5
	s_waitcnt lgkmcnt(1)
	v_pk_mul_f32 v[4:5], v[10:11], v[4:5] op_sel_hi:[1,0]
	v_pk_add_f32 v[2:3], v[2:3], v[6:7]
	v_pk_fma_f32 v[6:7], v[10:11], v[52:53], v[4:5] op_sel:[0,0,1] op_sel_hi:[1,1,0] neg_lo:[0,0,1] neg_hi:[0,0,1]
	v_pk_fma_f32 v[4:5], v[10:11], v[52:53], v[4:5] op_sel:[0,0,1] op_sel_hi:[1,0,0]
	v_mov_b32_e32 v4, v49
	v_mov_b32_e32 v7, v5
	v_pk_mul_f32 v[4:5], v[12:13], v[4:5] op_sel_hi:[1,0]
	v_pk_add_f32 v[2:3], v[2:3], v[6:7]
	v_pk_fma_f32 v[6:7], v[12:13], v[48:49], v[4:5] op_sel:[0,0,1] op_sel_hi:[1,1,0] neg_lo:[0,0,1] neg_hi:[0,0,1]
	v_pk_fma_f32 v[4:5], v[12:13], v[48:49], v[4:5] op_sel:[0,0,1] op_sel_hi:[1,0,0]
	v_mov_b32_e32 v4, v47
	v_mov_b32_e32 v7, v5
	s_waitcnt lgkmcnt(0)
	v_pk_mul_f32 v[4:5], v[14:15], v[4:5] op_sel_hi:[1,0]
	v_pk_add_f32 v[2:3], v[2:3], v[6:7]
	v_pk_fma_f32 v[6:7], v[14:15], v[46:47], v[4:5] op_sel:[0,0,1] op_sel_hi:[1,1,0] neg_lo:[0,0,1] neg_hi:[0,0,1]
	v_pk_fma_f32 v[4:5], v[14:15], v[46:47], v[4:5] op_sel:[0,0,1] op_sel_hi:[1,0,0]
	v_mov_b32_e32 v7, v5
	v_pk_add_f32 v[2:3], v[2:3], v[6:7]
	v_pk_add_f32 v[2:3], v[34:35], v[2:3] neg_lo:[0,1] neg_hi:[0,1]
	buffer_store_dword v3, off, s[0:3], 0 offset:324
	buffer_store_dword v2, off, s[0:3], 0 offset:320
	s_and_saveexec_b64 s[4:5], vcc
	s_cbranch_execz .LBB63_319
; %bb.318:
	buffer_load_dword v2, off, s[0:3], 0 offset:312
	buffer_load_dword v3, off, s[0:3], 0 offset:316
	s_waitcnt vmcnt(0)
	ds_write_b64 v223, v[2:3]
	buffer_store_dword v1, off, s[0:3], 0 offset:312
	buffer_store_dword v1, off, s[0:3], 0 offset:316
.LBB63_319:
	s_or_b64 exec, exec, s[4:5]
	s_waitcnt lgkmcnt(0)
	; wave barrier
	s_waitcnt lgkmcnt(0)
	buffer_load_dword v50, off, s[0:3], 0 offset:324
	buffer_load_dword v52, off, s[0:3], 0 offset:332
	;; [unrolled: 1-line block ×34, first 2 shown]
	ds_read_b128 v[2:5], v1 offset:832
	ds_read_b128 v[6:9], v1 offset:848
	;; [unrolled: 1-line block ×8, first 2 shown]
	buffer_load_dword v37, off, s[0:3], 0 offset:468
	buffer_load_dword v36, off, s[0:3], 0 offset:464
	;; [unrolled: 1-line block ×9, first 2 shown]
	v_cmp_lt_u32_e32 vcc, 38, v0
	s_waitcnt vmcnt(42) lgkmcnt(7)
	v_mul_f32_e32 v42, v2, v50
	s_waitcnt vmcnt(41)
	v_mul_f32_e32 v46, v4, v52
	s_waitcnt vmcnt(40) lgkmcnt(6)
	v_mul_f32_e32 v47, v6, v54
	s_waitcnt vmcnt(39)
	v_mul_f32_e32 v48, v8, v58
	;; [unrolled: 4-line block ×7, first 2 shown]
	s_waitcnt vmcnt(28)
	v_fmac_f32_e32 v42, v3, v69
	s_waitcnt vmcnt(27)
	v_fmac_f32_e32 v46, v5, v70
	v_add_f32_e32 v42, 0, v42
	s_waitcnt vmcnt(26)
	v_fmac_f32_e32 v47, v7, v71
	v_add_f32_e32 v42, v42, v46
	s_waitcnt vmcnt(25)
	v_fmac_f32_e32 v48, v9, v72
	v_add_f32_e32 v42, v42, v47
	s_waitcnt vmcnt(24)
	v_fmac_f32_e32 v49, v11, v73
	v_add_f32_e32 v42, v42, v48
	s_waitcnt vmcnt(23)
	v_fmac_f32_e32 v51, v13, v74
	v_add_f32_e32 v42, v42, v49
	s_waitcnt vmcnt(22)
	v_fmac_f32_e32 v53, v15, v75
	v_add_f32_e32 v42, v42, v51
	s_waitcnt vmcnt(21)
	v_fmac_f32_e32 v55, v17, v76
	v_add_f32_e32 v42, v42, v53
	s_waitcnt vmcnt(20)
	v_fmac_f32_e32 v56, v19, v77
	v_add_f32_e32 v42, v42, v55
	s_waitcnt vmcnt(19)
	v_fmac_f32_e32 v57, v21, v78
	v_add_f32_e32 v42, v42, v56
	s_waitcnt vmcnt(18)
	v_fmac_f32_e32 v87, v23, v79
	v_add_f32_e32 v42, v42, v57
	s_waitcnt vmcnt(17)
	v_fmac_f32_e32 v88, v25, v80
	v_add_f32_e32 v42, v42, v87
	s_waitcnt vmcnt(16)
	v_fmac_f32_e32 v89, v27, v81
	v_add_f32_e32 v42, v42, v88
	v_add_f32_e32 v51, v42, v89
	buffer_load_dword v47, off, s[0:3], 0 offset:492
	buffer_load_dword v46, off, s[0:3], 0 offset:488
	;; [unrolled: 1-line block ×7, first 2 shown]
	v_mul_f32_e32 v3, v3, v50
	v_fma_f32 v2, v2, v69, -v3
	v_mul_f32_e32 v3, v5, v52
	v_add_f32_e32 v2, 0, v2
	v_fma_f32 v3, v4, v70, -v3
	v_add_f32_e32 v2, v2, v3
	v_mul_f32_e32 v3, v7, v54
	v_fma_f32 v3, v6, v71, -v3
	v_add_f32_e32 v2, v2, v3
	v_mul_f32_e32 v3, v9, v58
	;; [unrolled: 3-line block ×12, first 2 shown]
	s_waitcnt vmcnt(22)
	v_fma_f32 v3, v28, v82, -v3
	v_add_f32_e32 v50, v2, v3
	s_waitcnt vmcnt(21) lgkmcnt(0)
	v_mul_f32_e32 v2, v31, v83
	s_waitcnt vmcnt(20)
	v_fma_f32 v52, v30, v84, -v2
	s_waitcnt vmcnt(19)
	v_mul_f32_e32 v2, v33, v85
	s_waitcnt vmcnt(18)
	v_fma_f32 v54, v32, v86, -v2
	ds_read_b128 v[2:5], v1 offset:960
	ds_read_b128 v[6:9], v1 offset:976
	;; [unrolled: 1-line block ×4, first 2 shown]
	v_fmac_f32_e32 v90, v29, v82
	v_mul_f32_e32 v53, v30, v83
	s_waitcnt vmcnt(11)
	v_mov_b32_e32 v20, v41
	v_add_f32_e32 v51, v51, v90
	v_fmac_f32_e32 v53, v31, v84
	v_mul_f32_e32 v55, v32, v85
	s_waitcnt lgkmcnt(3)
	v_pk_mul_f32 v[20:21], v[2:3], v[20:21] op_sel_hi:[1,0]
	v_fmac_f32_e32 v55, v33, v86
	v_pk_add_f32 v[18:19], v[50:51], v[52:53]
	s_waitcnt vmcnt(10)
	v_pk_fma_f32 v[22:23], v[2:3], v[40:41], v[20:21] op_sel:[0,0,1] op_sel_hi:[1,1,0] neg_lo:[0,0,1] neg_hi:[0,0,1]
	v_pk_fma_f32 v[2:3], v[2:3], v[40:41], v[20:21] op_sel:[0,0,1] op_sel_hi:[1,0,0]
	v_pk_add_f32 v[18:19], v[18:19], v[54:55]
	v_mov_b32_e32 v23, v3
	v_pk_add_f32 v[2:3], v[18:19], v[22:23]
	v_mov_b32_e32 v18, v39
	v_pk_mul_f32 v[18:19], v[4:5], v[18:19] op_sel_hi:[1,0]
	v_pk_fma_f32 v[20:21], v[4:5], v[38:39], v[18:19] op_sel:[0,0,1] op_sel_hi:[1,1,0] neg_lo:[0,0,1] neg_hi:[0,0,1]
	v_pk_fma_f32 v[4:5], v[4:5], v[38:39], v[18:19] op_sel:[0,0,1] op_sel_hi:[1,0,0]
	v_mov_b32_e32 v4, v37
	v_mov_b32_e32 v21, v5
	s_waitcnt lgkmcnt(2)
	v_pk_mul_f32 v[4:5], v[6:7], v[4:5] op_sel_hi:[1,0]
	v_pk_fma_f32 v[18:19], v[6:7], v[36:37], v[4:5] op_sel:[0,0,1] op_sel_hi:[1,1,0] neg_lo:[0,0,1] neg_hi:[0,0,1]
	v_pk_fma_f32 v[4:5], v[6:7], v[36:37], v[4:5] op_sel:[0,0,1] op_sel_hi:[1,0,0]
	s_waitcnt vmcnt(9)
	v_mov_b32_e32 v4, v43
	v_mov_b32_e32 v19, v5
	v_pk_mul_f32 v[4:5], v[8:9], v[4:5] op_sel_hi:[1,0]
	v_pk_add_f32 v[2:3], v[2:3], v[20:21]
	v_pk_add_f32 v[2:3], v[2:3], v[18:19]
	s_waitcnt vmcnt(2)
	v_pk_fma_f32 v[6:7], v[8:9], v[42:43], v[4:5] op_sel:[0,0,1] op_sel_hi:[1,1,0] neg_lo:[0,0,1] neg_hi:[0,0,1]
	v_pk_fma_f32 v[4:5], v[8:9], v[42:43], v[4:5] op_sel:[0,0,1] op_sel_hi:[1,0,0]
	v_mov_b32_e32 v4, v49
	v_mov_b32_e32 v7, v5
	s_waitcnt lgkmcnt(1)
	v_pk_mul_f32 v[4:5], v[10:11], v[4:5] op_sel_hi:[1,0]
	v_pk_add_f32 v[2:3], v[2:3], v[6:7]
	v_pk_fma_f32 v[6:7], v[10:11], v[48:49], v[4:5] op_sel:[0,0,1] op_sel_hi:[1,1,0] neg_lo:[0,0,1] neg_hi:[0,0,1]
	v_pk_fma_f32 v[4:5], v[10:11], v[48:49], v[4:5] op_sel:[0,0,1] op_sel_hi:[1,0,0]
	v_mov_b32_e32 v4, v47
	v_mov_b32_e32 v7, v5
	v_pk_mul_f32 v[4:5], v[12:13], v[4:5] op_sel_hi:[1,0]
	v_pk_add_f32 v[2:3], v[2:3], v[6:7]
	v_pk_fma_f32 v[6:7], v[12:13], v[46:47], v[4:5] op_sel:[0,0,1] op_sel_hi:[1,1,0] neg_lo:[0,0,1] neg_hi:[0,0,1]
	v_pk_fma_f32 v[4:5], v[12:13], v[46:47], v[4:5] op_sel:[0,0,1] op_sel_hi:[1,0,0]
	v_mov_b32_e32 v4, v45
	v_mov_b32_e32 v7, v5
	s_waitcnt lgkmcnt(0)
	v_pk_mul_f32 v[4:5], v[14:15], v[4:5] op_sel_hi:[1,0]
	v_pk_add_f32 v[2:3], v[2:3], v[6:7]
	v_pk_fma_f32 v[6:7], v[14:15], v[44:45], v[4:5] op_sel:[0,0,1] op_sel_hi:[1,1,0] neg_lo:[0,0,1] neg_hi:[0,0,1]
	v_pk_fma_f32 v[4:5], v[14:15], v[44:45], v[4:5] op_sel:[0,0,1] op_sel_hi:[1,0,0]
	s_waitcnt vmcnt(1)
	v_mov_b32_e32 v4, v57
	v_mov_b32_e32 v7, v5
	v_pk_mul_f32 v[4:5], v[16:17], v[4:5] op_sel_hi:[1,0]
	v_pk_add_f32 v[2:3], v[2:3], v[6:7]
	s_waitcnt vmcnt(0)
	v_pk_fma_f32 v[6:7], v[16:17], v[56:57], v[4:5] op_sel:[0,0,1] op_sel_hi:[1,1,0] neg_lo:[0,0,1] neg_hi:[0,0,1]
	v_pk_fma_f32 v[4:5], v[16:17], v[56:57], v[4:5] op_sel:[0,0,1] op_sel_hi:[1,0,0]
	v_mov_b32_e32 v7, v5
	v_pk_add_f32 v[2:3], v[2:3], v[6:7]
	v_pk_add_f32 v[2:3], v[34:35], v[2:3] neg_lo:[0,1] neg_hi:[0,1]
	buffer_store_dword v3, off, s[0:3], 0 offset:316
	buffer_store_dword v2, off, s[0:3], 0 offset:312
	s_and_saveexec_b64 s[4:5], vcc
	s_cbranch_execz .LBB63_321
; %bb.320:
	buffer_load_dword v2, off, s[0:3], 0 offset:304
	buffer_load_dword v3, off, s[0:3], 0 offset:308
	v_mov_b32_e32 v1, 0
	buffer_store_dword v1, off, s[0:3], 0 offset:304
	buffer_store_dword v1, off, s[0:3], 0 offset:308
	s_waitcnt vmcnt(2)
	ds_write_b64 v223, v[2:3]
.LBB63_321:
	s_or_b64 exec, exec, s[4:5]
	s_waitcnt lgkmcnt(0)
	; wave barrier
	s_waitcnt lgkmcnt(0)
	buffer_load_dword v56, off, s[0:3], 0 offset:316
	buffer_load_dword v58, off, s[0:3], 0 offset:324
	;; [unrolled: 1-line block ×36, first 2 shown]
	v_mov_b32_e32 v1, 0
	buffer_load_dword v45, off, s[0:3], 0 offset:460
	buffer_load_dword v44, off, s[0:3], 0 offset:456
	;; [unrolled: 1-line block ×5, first 2 shown]
	ds_read2_b64 v[4:7], v1 offset0:103 offset1:104
	ds_read2_b64 v[8:11], v1 offset0:105 offset1:106
	;; [unrolled: 1-line block ×8, first 2 shown]
	v_cmp_lt_u32_e32 vcc, 37, v0
	s_waitcnt vmcnt(40) lgkmcnt(7)
	v_mul_f32_e32 v36, v4, v56
	s_waitcnt vmcnt(39)
	v_mul_f32_e32 v37, v6, v58
	s_waitcnt vmcnt(38) lgkmcnt(6)
	v_mul_f32_e32 v38, v8, v60
	s_waitcnt vmcnt(37)
	v_mul_f32_e32 v39, v10, v66
	;; [unrolled: 4-line block ×7, first 2 shown]
	s_waitcnt vmcnt(26) lgkmcnt(0)
	v_mul_f32_e32 v57, v32, v77
	s_waitcnt vmcnt(25)
	v_fmac_f32_e32 v36, v5, v78
	s_waitcnt vmcnt(24)
	v_fmac_f32_e32 v37, v7, v79
	v_add_f32_e32 v36, 0, v36
	s_waitcnt vmcnt(23)
	v_fmac_f32_e32 v38, v9, v80
	v_add_f32_e32 v36, v36, v37
	;; [unrolled: 3-line block ×13, first 2 shown]
	v_add_f32_e32 v40, v36, v54
	buffer_load_dword v51, off, s[0:3], 0 offset:492
	buffer_load_dword v50, off, s[0:3], 0 offset:488
	;; [unrolled: 1-line block ×7, first 2 shown]
	s_waitcnt vmcnt(18)
	v_fmac_f32_e32 v57, v33, v92
	ds_read2_b64 v[36:39], v1 offset0:119 offset1:120
	v_add_f32_e32 v57, v40, v57
	ds_read2_b64 v[40:43], v1 offset0:121 offset1:122
	buffer_load_dword v63, off, s[0:3], 0 offset:508
	buffer_load_dword v62, off, s[0:3], 0 offset:504
	;; [unrolled: 1-line block ×4, first 2 shown]
	v_mul_f32_e32 v5, v5, v56
	v_fma_f32 v4, v4, v78, -v5
	v_mul_f32_e32 v5, v7, v58
	v_add_f32_e32 v4, 0, v4
	v_fma_f32 v5, v6, v79, -v5
	v_add_f32_e32 v4, v4, v5
	v_mul_f32_e32 v5, v9, v60
	v_fma_f32 v5, v8, v80, -v5
	v_add_f32_e32 v4, v4, v5
	v_mul_f32_e32 v5, v11, v66
	;; [unrolled: 3-line block ×13, first 2 shown]
	v_fma_f32 v5, v32, v92, -v5
	s_waitcnt vmcnt(13)
	v_mov_b32_e32 v16, v47
	v_mul_f32_e32 v59, v34, v93
	v_add_f32_e32 v56, v4, v5
	v_mul_f32_e32 v4, v35, v93
	s_waitcnt lgkmcnt(1)
	v_pk_mul_f32 v[16:17], v[38:39], v[16:17] op_sel_hi:[1,0]
	v_fmac_f32_e32 v59, v35, v94
	v_mul_f32_e32 v61, v36, v95
	v_fma_f32 v58, v34, v94, -v4
	v_mul_f32_e32 v4, v37, v95
	s_waitcnt vmcnt(12)
	v_pk_fma_f32 v[18:19], v[38:39], v[46:47], v[16:17] op_sel:[0,0,1] op_sel_hi:[1,1,0] neg_lo:[0,0,1] neg_hi:[0,0,1]
	v_pk_fma_f32 v[16:17], v[38:39], v[46:47], v[16:17] op_sel:[0,0,1] op_sel_hi:[1,0,0]
	v_fmac_f32_e32 v61, v37, v96
	v_fma_f32 v60, v36, v96, -v4
	v_pk_add_f32 v[14:15], v[56:57], v[58:59]
	v_mov_b32_e32 v16, v45
	v_pk_add_f32 v[14:15], v[14:15], v[60:61]
	v_mov_b32_e32 v19, v17
	s_waitcnt lgkmcnt(0)
	v_pk_mul_f32 v[16:17], v[40:41], v[16:17] op_sel_hi:[1,0]
	v_pk_add_f32 v[14:15], v[14:15], v[18:19]
	v_pk_fma_f32 v[18:19], v[40:41], v[44:45], v[16:17] op_sel:[0,0,1] op_sel_hi:[1,1,0] neg_lo:[0,0,1] neg_hi:[0,0,1]
	v_pk_fma_f32 v[16:17], v[40:41], v[44:45], v[16:17] op_sel:[0,0,1] op_sel_hi:[1,0,0]
	s_waitcnt vmcnt(11)
	v_mov_b32_e32 v16, v49
	ds_read2_b64 v[4:7], v1 offset0:123 offset1:124
	ds_read2_b64 v[8:11], v1 offset0:125 offset1:126
	ds_read_b64 v[12:13], v1 offset:1016
	v_mov_b32_e32 v19, v17
	v_pk_mul_f32 v[16:17], v[42:43], v[16:17] op_sel_hi:[1,0]
	v_pk_add_f32 v[14:15], v[14:15], v[18:19]
	s_waitcnt vmcnt(4)
	v_pk_fma_f32 v[18:19], v[42:43], v[48:49], v[16:17] op_sel:[0,0,1] op_sel_hi:[1,1,0] neg_lo:[0,0,1] neg_hi:[0,0,1]
	v_pk_fma_f32 v[16:17], v[42:43], v[48:49], v[16:17] op_sel:[0,0,1] op_sel_hi:[1,0,0]
	v_mov_b32_e32 v16, v55
	v_mov_b32_e32 v19, v17
	s_waitcnt lgkmcnt(2)
	v_pk_mul_f32 v[16:17], v[4:5], v[16:17] op_sel_hi:[1,0]
	v_pk_add_f32 v[14:15], v[14:15], v[18:19]
	v_pk_fma_f32 v[18:19], v[4:5], v[54:55], v[16:17] op_sel:[0,0,1] op_sel_hi:[1,1,0] neg_lo:[0,0,1] neg_hi:[0,0,1]
	v_pk_fma_f32 v[4:5], v[4:5], v[54:55], v[16:17] op_sel:[0,0,1] op_sel_hi:[1,0,0]
	v_mov_b32_e32 v19, v5
	v_pk_add_f32 v[4:5], v[14:15], v[18:19]
	v_mov_b32_e32 v14, v53
	v_pk_mul_f32 v[14:15], v[6:7], v[14:15] op_sel_hi:[1,0]
	v_pk_fma_f32 v[16:17], v[6:7], v[52:53], v[14:15] op_sel:[0,0,1] op_sel_hi:[1,1,0] neg_lo:[0,0,1] neg_hi:[0,0,1]
	v_pk_fma_f32 v[6:7], v[6:7], v[52:53], v[14:15] op_sel:[0,0,1] op_sel_hi:[1,0,0]
	v_mov_b32_e32 v6, v51
	v_mov_b32_e32 v17, v7
	s_waitcnt lgkmcnt(1)
	v_pk_mul_f32 v[6:7], v[8:9], v[6:7] op_sel_hi:[1,0]
	v_pk_fma_f32 v[14:15], v[8:9], v[50:51], v[6:7] op_sel:[0,0,1] op_sel_hi:[1,1,0] neg_lo:[0,0,1] neg_hi:[0,0,1]
	v_pk_fma_f32 v[6:7], v[8:9], v[50:51], v[6:7] op_sel:[0,0,1] op_sel_hi:[1,0,0]
	s_waitcnt vmcnt(1)
	v_mov_b32_e32 v6, v65
	v_mov_b32_e32 v15, v7
	v_pk_mul_f32 v[6:7], v[10:11], v[6:7] op_sel_hi:[1,0]
	s_waitcnt vmcnt(0)
	v_pk_fma_f32 v[8:9], v[10:11], v[64:65], v[6:7] op_sel:[0,0,1] op_sel_hi:[1,1,0] neg_lo:[0,0,1] neg_hi:[0,0,1]
	v_pk_fma_f32 v[6:7], v[10:11], v[64:65], v[6:7] op_sel:[0,0,1] op_sel_hi:[1,0,0]
	v_pk_add_f32 v[4:5], v[4:5], v[16:17]
	v_mov_b32_e32 v6, v63
	v_pk_add_f32 v[4:5], v[4:5], v[14:15]
	v_mov_b32_e32 v9, v7
	s_waitcnt lgkmcnt(0)
	v_pk_mul_f32 v[6:7], v[12:13], v[6:7] op_sel_hi:[1,0]
	v_pk_add_f32 v[4:5], v[4:5], v[8:9]
	v_pk_fma_f32 v[8:9], v[12:13], v[62:63], v[6:7] op_sel:[0,0,1] op_sel_hi:[1,1,0] neg_lo:[0,0,1] neg_hi:[0,0,1]
	v_pk_fma_f32 v[6:7], v[12:13], v[62:63], v[6:7] op_sel:[0,0,1] op_sel_hi:[1,0,0]
	v_mov_b32_e32 v9, v7
	v_pk_add_f32 v[4:5], v[4:5], v[8:9]
	v_pk_add_f32 v[2:3], v[2:3], v[4:5] neg_lo:[0,1] neg_hi:[0,1]
	buffer_store_dword v3, off, s[0:3], 0 offset:308
	buffer_store_dword v2, off, s[0:3], 0 offset:304
	s_and_saveexec_b64 s[4:5], vcc
	s_cbranch_execz .LBB63_323
; %bb.322:
	buffer_load_dword v2, off, s[0:3], 0 offset:296
	buffer_load_dword v3, off, s[0:3], 0 offset:300
	s_waitcnt vmcnt(0)
	ds_write_b64 v223, v[2:3]
	buffer_store_dword v1, off, s[0:3], 0 offset:296
	buffer_store_dword v1, off, s[0:3], 0 offset:300
.LBB63_323:
	s_or_b64 exec, exec, s[4:5]
	s_waitcnt lgkmcnt(0)
	; wave barrier
	s_waitcnt lgkmcnt(0)
	buffer_load_dword v54, off, s[0:3], 0 offset:308
	buffer_load_dword v56, off, s[0:3], 0 offset:316
	;; [unrolled: 1-line block ×38, first 2 shown]
	ds_read_b128 v[2:5], v1 offset:816
	ds_read_b128 v[6:9], v1 offset:832
	;; [unrolled: 1-line block ×8, first 2 shown]
	buffer_load_dword v45, off, s[0:3], 0 offset:452
	buffer_load_dword v44, off, s[0:3], 0 offset:448
	;; [unrolled: 1-line block ×4, first 2 shown]
	v_cmp_lt_u32_e32 vcc, 36, v0
	s_waitcnt vmcnt(41) lgkmcnt(7)
	v_mul_f32_e32 v34, v2, v54
	s_waitcnt vmcnt(40)
	v_mul_f32_e32 v35, v4, v56
	s_waitcnt vmcnt(39) lgkmcnt(6)
	v_mul_f32_e32 v36, v6, v58
	s_waitcnt vmcnt(38)
	v_mul_f32_e32 v37, v8, v66
	s_waitcnt vmcnt(37) lgkmcnt(5)
	v_mul_f32_e32 v38, v10, v67
	s_waitcnt vmcnt(36)
	v_mul_f32_e32 v39, v12, v68
	s_waitcnt vmcnt(35) lgkmcnt(4)
	v_mul_f32_e32 v40, v14, v69
	s_waitcnt vmcnt(34)
	v_mul_f32_e32 v41, v16, v70
	s_waitcnt vmcnt(33) lgkmcnt(3)
	v_mul_f32_e32 v48, v18, v71
	s_waitcnt vmcnt(32)
	v_mul_f32_e32 v49, v20, v72
	s_waitcnt vmcnt(31) lgkmcnt(2)
	v_mul_f32_e32 v50, v22, v73
	s_waitcnt vmcnt(30)
	v_mul_f32_e32 v51, v24, v74
	s_waitcnt vmcnt(29) lgkmcnt(1)
	v_mul_f32_e32 v52, v26, v75
	s_waitcnt vmcnt(28)
	v_mul_f32_e32 v53, v28, v76
	s_waitcnt vmcnt(27) lgkmcnt(0)
	v_mul_f32_e32 v55, v30, v77
	s_waitcnt vmcnt(26)
	v_fmac_f32_e32 v34, v3, v78
	s_waitcnt vmcnt(25)
	v_fmac_f32_e32 v35, v5, v79
	v_add_f32_e32 v34, 0, v34
	s_waitcnt vmcnt(24)
	v_fmac_f32_e32 v36, v7, v80
	v_add_f32_e32 v34, v34, v35
	;; [unrolled: 3-line block ×13, first 2 shown]
	v_add_f32_e32 v34, v34, v53
	buffer_load_dword v49, off, s[0:3], 0 offset:476
	buffer_load_dword v48, off, s[0:3], 0 offset:472
	;; [unrolled: 1-line block ×6, first 2 shown]
	s_waitcnt vmcnt(18)
	v_fmac_f32_e32 v55, v31, v92
	s_waitcnt vmcnt(17)
	v_mul_f32_e32 v39, v32, v93
	v_add_f32_e32 v38, v34, v55
	s_waitcnt vmcnt(16)
	v_fmac_f32_e32 v39, v33, v94
	ds_read_b128 v[34:37], v1 offset:944
	v_add_f32_e32 v55, v38, v39
	ds_read_b128 v[38:41], v1 offset:960
	buffer_load_dword v61, off, s[0:3], 0 offset:508
	buffer_load_dword v60, off, s[0:3], 0 offset:504
	;; [unrolled: 1-line block ×6, first 2 shown]
	v_mul_f32_e32 v3, v3, v54
	v_fma_f32 v2, v2, v78, -v3
	v_mul_f32_e32 v3, v5, v56
	v_add_f32_e32 v2, 0, v2
	v_fma_f32 v3, v4, v79, -v3
	v_add_f32_e32 v2, v2, v3
	v_mul_f32_e32 v3, v7, v58
	v_fma_f32 v3, v6, v80, -v3
	v_add_f32_e32 v2, v2, v3
	v_mul_f32_e32 v3, v9, v66
	;; [unrolled: 3-line block ×14, first 2 shown]
	v_fma_f32 v3, v32, v94, -v3
	s_waitcnt vmcnt(15)
	v_mov_b32_e32 v16, v45
	s_waitcnt lgkmcnt(1)
	v_mul_f32_e32 v57, v34, v95
	v_add_f32_e32 v54, v2, v3
	v_mul_f32_e32 v2, v35, v95
	s_waitcnt lgkmcnt(0)
	v_pk_mul_f32 v[16:17], v[38:39], v[16:17] op_sel_hi:[1,0]
	v_fmac_f32_e32 v57, v35, v96
	v_mul_f32_e32 v59, v36, v97
	v_fma_f32 v56, v34, v96, -v2
	v_mul_f32_e32 v2, v37, v97
	s_waitcnt vmcnt(14)
	v_pk_fma_f32 v[18:19], v[38:39], v[44:45], v[16:17] op_sel:[0,0,1] op_sel_hi:[1,1,0] neg_lo:[0,0,1] neg_hi:[0,0,1]
	v_pk_fma_f32 v[16:17], v[38:39], v[44:45], v[16:17] op_sel:[0,0,1] op_sel_hi:[1,0,0]
	v_fmac_f32_e32 v59, v37, v98
	v_fma_f32 v58, v36, v98, -v2
	v_pk_add_f32 v[14:15], v[54:55], v[56:57]
	ds_read_b128 v[2:5], v1 offset:976
	ds_read_b128 v[6:9], v1 offset:992
	;; [unrolled: 1-line block ×3, first 2 shown]
	v_pk_add_f32 v[14:15], v[14:15], v[58:59]
	v_mov_b32_e32 v19, v17
	v_pk_add_f32 v[14:15], v[14:15], v[18:19]
	s_waitcnt vmcnt(7)
	v_mov_b32_e32 v16, v53
	v_pk_mul_f32 v[16:17], v[40:41], v[16:17] op_sel_hi:[1,0]
	s_waitcnt vmcnt(6)
	v_pk_fma_f32 v[18:19], v[40:41], v[52:53], v[16:17] op_sel:[0,0,1] op_sel_hi:[1,1,0] neg_lo:[0,0,1] neg_hi:[0,0,1]
	v_pk_fma_f32 v[16:17], v[40:41], v[52:53], v[16:17] op_sel:[0,0,1] op_sel_hi:[1,0,0]
	v_mov_b32_e32 v16, v51
	v_mov_b32_e32 v19, v17
	s_waitcnt lgkmcnt(2)
	v_pk_mul_f32 v[16:17], v[2:3], v[16:17] op_sel_hi:[1,0]
	v_pk_add_f32 v[14:15], v[14:15], v[18:19]
	v_pk_fma_f32 v[18:19], v[2:3], v[50:51], v[16:17] op_sel:[0,0,1] op_sel_hi:[1,1,0] neg_lo:[0,0,1] neg_hi:[0,0,1]
	v_pk_fma_f32 v[2:3], v[2:3], v[50:51], v[16:17] op_sel:[0,0,1] op_sel_hi:[1,0,0]
	v_mov_b32_e32 v19, v3
	v_pk_add_f32 v[2:3], v[14:15], v[18:19]
	v_mov_b32_e32 v14, v49
	v_pk_mul_f32 v[14:15], v[4:5], v[14:15] op_sel_hi:[1,0]
	v_pk_fma_f32 v[16:17], v[4:5], v[48:49], v[14:15] op_sel:[0,0,1] op_sel_hi:[1,1,0] neg_lo:[0,0,1] neg_hi:[0,0,1]
	v_pk_fma_f32 v[4:5], v[4:5], v[48:49], v[14:15] op_sel:[0,0,1] op_sel_hi:[1,0,0]
	v_mov_b32_e32 v4, v47
	v_mov_b32_e32 v17, v5
	s_waitcnt lgkmcnt(1)
	v_pk_mul_f32 v[4:5], v[6:7], v[4:5] op_sel_hi:[1,0]
	v_pk_fma_f32 v[14:15], v[6:7], v[46:47], v[4:5] op_sel:[0,0,1] op_sel_hi:[1,1,0] neg_lo:[0,0,1] neg_hi:[0,0,1]
	v_pk_fma_f32 v[4:5], v[6:7], v[46:47], v[4:5] op_sel:[0,0,1] op_sel_hi:[1,0,0]
	s_waitcnt vmcnt(1)
	v_mov_b32_e32 v4, v65
	v_mov_b32_e32 v15, v5
	v_pk_mul_f32 v[4:5], v[8:9], v[4:5] op_sel_hi:[1,0]
	s_waitcnt vmcnt(0)
	v_pk_fma_f32 v[6:7], v[8:9], v[64:65], v[4:5] op_sel:[0,0,1] op_sel_hi:[1,1,0] neg_lo:[0,0,1] neg_hi:[0,0,1]
	v_pk_fma_f32 v[4:5], v[8:9], v[64:65], v[4:5] op_sel:[0,0,1] op_sel_hi:[1,0,0]
	v_pk_add_f32 v[2:3], v[2:3], v[16:17]
	v_mov_b32_e32 v4, v63
	v_pk_add_f32 v[2:3], v[2:3], v[14:15]
	v_mov_b32_e32 v7, v5
	s_waitcnt lgkmcnt(0)
	v_pk_mul_f32 v[4:5], v[10:11], v[4:5] op_sel_hi:[1,0]
	v_pk_add_f32 v[2:3], v[2:3], v[6:7]
	v_pk_fma_f32 v[6:7], v[10:11], v[62:63], v[4:5] op_sel:[0,0,1] op_sel_hi:[1,1,0] neg_lo:[0,0,1] neg_hi:[0,0,1]
	v_pk_fma_f32 v[4:5], v[10:11], v[62:63], v[4:5] op_sel:[0,0,1] op_sel_hi:[1,0,0]
	v_mov_b32_e32 v4, v61
	v_mov_b32_e32 v7, v5
	v_pk_mul_f32 v[4:5], v[12:13], v[4:5] op_sel_hi:[1,0]
	v_pk_add_f32 v[2:3], v[2:3], v[6:7]
	v_pk_fma_f32 v[6:7], v[12:13], v[60:61], v[4:5] op_sel:[0,0,1] op_sel_hi:[1,1,0] neg_lo:[0,0,1] neg_hi:[0,0,1]
	v_pk_fma_f32 v[4:5], v[12:13], v[60:61], v[4:5] op_sel:[0,0,1] op_sel_hi:[1,0,0]
	v_mov_b32_e32 v7, v5
	v_pk_add_f32 v[2:3], v[2:3], v[6:7]
	v_pk_add_f32 v[2:3], v[42:43], v[2:3] neg_lo:[0,1] neg_hi:[0,1]
	buffer_store_dword v3, off, s[0:3], 0 offset:300
	buffer_store_dword v2, off, s[0:3], 0 offset:296
	s_and_saveexec_b64 s[4:5], vcc
	s_cbranch_execz .LBB63_325
; %bb.324:
	buffer_load_dword v2, off, s[0:3], 0 offset:288
	buffer_load_dword v3, off, s[0:3], 0 offset:292
	v_mov_b32_e32 v1, 0
	buffer_store_dword v1, off, s[0:3], 0 offset:288
	buffer_store_dword v1, off, s[0:3], 0 offset:292
	s_waitcnt vmcnt(2)
	ds_write_b64 v223, v[2:3]
.LBB63_325:
	s_or_b64 exec, exec, s[4:5]
	s_waitcnt lgkmcnt(0)
	; wave barrier
	s_waitcnt lgkmcnt(0)
	buffer_load_dword v52, off, s[0:3], 0 offset:300
	buffer_load_dword v54, off, s[0:3], 0 offset:308
	buffer_load_dword v56, off, s[0:3], 0 offset:316
	buffer_load_dword v66, off, s[0:3], 0 offset:324
	buffer_load_dword v67, off, s[0:3], 0 offset:332
	buffer_load_dword v68, off, s[0:3], 0 offset:340
	buffer_load_dword v69, off, s[0:3], 0 offset:348
	buffer_load_dword v70, off, s[0:3], 0 offset:356
	buffer_load_dword v71, off, s[0:3], 0 offset:364
	buffer_load_dword v72, off, s[0:3], 0 offset:372
	buffer_load_dword v73, off, s[0:3], 0 offset:380
	buffer_load_dword v74, off, s[0:3], 0 offset:388
	buffer_load_dword v75, off, s[0:3], 0 offset:396
	buffer_load_dword v76, off, s[0:3], 0 offset:404
	buffer_load_dword v77, off, s[0:3], 0 offset:412
	buffer_load_dword v78, off, s[0:3], 0 offset:420
	buffer_load_dword v79, off, s[0:3], 0 offset:296
	buffer_load_dword v80, off, s[0:3], 0 offset:304
	buffer_load_dword v81, off, s[0:3], 0 offset:312
	buffer_load_dword v82, off, s[0:3], 0 offset:320
	buffer_load_dword v83, off, s[0:3], 0 offset:328
	buffer_load_dword v84, off, s[0:3], 0 offset:336
	buffer_load_dword v85, off, s[0:3], 0 offset:344
	buffer_load_dword v86, off, s[0:3], 0 offset:352
	buffer_load_dword v87, off, s[0:3], 0 offset:360
	buffer_load_dword v88, off, s[0:3], 0 offset:368
	buffer_load_dword v89, off, s[0:3], 0 offset:376
	buffer_load_dword v90, off, s[0:3], 0 offset:384
	buffer_load_dword v91, off, s[0:3], 0 offset:392
	buffer_load_dword v92, off, s[0:3], 0 offset:400
	buffer_load_dword v93, off, s[0:3], 0 offset:408
	buffer_load_dword v94, off, s[0:3], 0 offset:416
	buffer_load_dword v95, off, s[0:3], 0 offset:428
	buffer_load_dword v96, off, s[0:3], 0 offset:424
	buffer_load_dword v97, off, s[0:3], 0 offset:436
	buffer_load_dword v98, off, s[0:3], 0 offset:432
	buffer_load_dword v99, off, s[0:3], 0 offset:444
	buffer_load_dword v100, off, s[0:3], 0 offset:440
	buffer_load_dword v2, off, s[0:3], 0 offset:288
	buffer_load_dword v3, off, s[0:3], 0 offset:292
	v_mov_b32_e32 v1, 0
	ds_read2_b64 v[4:7], v1 offset0:101 offset1:102
	ds_read2_b64 v[8:11], v1 offset0:103 offset1:104
	;; [unrolled: 1-line block ×8, first 2 shown]
	v_cmp_lt_u32_e32 vcc, 35, v0
	s_waitcnt vmcnt(39) lgkmcnt(7)
	v_mul_f32_e32 v36, v4, v52
	s_waitcnt vmcnt(38)
	v_mul_f32_e32 v37, v6, v54
	s_waitcnt vmcnt(37) lgkmcnt(6)
	v_mul_f32_e32 v38, v8, v56
	s_waitcnt vmcnt(36)
	v_mul_f32_e32 v39, v10, v66
	;; [unrolled: 4-line block ×8, first 2 shown]
	s_waitcnt vmcnt(23)
	v_fmac_f32_e32 v36, v5, v79
	s_waitcnt vmcnt(22)
	v_fmac_f32_e32 v37, v7, v80
	v_add_f32_e32 v36, 0, v36
	s_waitcnt vmcnt(21)
	v_fmac_f32_e32 v38, v9, v81
	v_add_f32_e32 v36, v36, v37
	;; [unrolled: 3-line block ×14, first 2 shown]
	v_add_f32_e32 v36, v36, v50
	s_waitcnt vmcnt(8)
	v_fmac_f32_e32 v51, v35, v94
	v_add_f32_e32 v53, v36, v51
	ds_read2_b64 v[36:39], v1 offset0:117 offset1:118
	buffer_load_dword v45, off, s[0:3], 0 offset:452
	buffer_load_dword v47, off, s[0:3], 0 offset:476
	;; [unrolled: 1-line block ×8, first 2 shown]
	ds_read2_b64 v[40:43], v1 offset0:119 offset1:120
	buffer_load_dword v59, off, s[0:3], 0 offset:508
	buffer_load_dword v58, off, s[0:3], 0 offset:504
	;; [unrolled: 1-line block ×8, first 2 shown]
	v_mul_f32_e32 v5, v5, v52
	v_fma_f32 v4, v4, v79, -v5
	v_mul_f32_e32 v5, v7, v54
	v_add_f32_e32 v4, 0, v4
	v_fma_f32 v5, v6, v80, -v5
	v_add_f32_e32 v4, v4, v5
	v_mul_f32_e32 v5, v9, v56
	v_fma_f32 v5, v8, v81, -v5
	v_add_f32_e32 v4, v4, v5
	v_mul_f32_e32 v5, v11, v66
	;; [unrolled: 3-line block ×14, first 2 shown]
	v_fma_f32 v5, v34, v94, -v5
	v_add_f32_e32 v4, v4, v5
	s_waitcnt vmcnt(23) lgkmcnt(1)
	v_mul_f32_e32 v5, v37, v95
	v_mul_f32_e32 v55, v36, v95
	s_waitcnt vmcnt(22)
	v_fma_f32 v5, v36, v96, -v5
	v_fmac_f32_e32 v55, v37, v96
	v_add_f32_e32 v52, v4, v5
	s_waitcnt vmcnt(21)
	v_mul_f32_e32 v4, v39, v97
	v_add_f32_e32 v53, v53, v55
	v_mul_f32_e32 v55, v38, v97
	s_waitcnt vmcnt(20)
	v_fma_f32 v54, v38, v98, -v4
	s_waitcnt vmcnt(19) lgkmcnt(0)
	v_mul_f32_e32 v4, v41, v99
	v_fmac_f32_e32 v55, v39, v98
	v_mul_f32_e32 v57, v40, v99
	s_waitcnt vmcnt(18)
	v_fma_f32 v56, v40, v100, -v4
	ds_read2_b64 v[4:7], v1 offset0:121 offset1:122
	ds_read2_b64 v[8:11], v1 offset0:123 offset1:124
	;; [unrolled: 1-line block ×3, first 2 shown]
	ds_read_b64 v[16:17], v1 offset:1016
	v_fmac_f32_e32 v57, v41, v100
	v_pk_add_f32 v[18:19], v[52:53], v[54:55]
	v_pk_add_f32 v[18:19], v[18:19], v[56:57]
	s_waitcnt vmcnt(15)
	v_mov_b32_e32 v20, v45
	v_pk_mul_f32 v[20:21], v[42:43], v[20:21] op_sel_hi:[1,0]
	s_waitcnt vmcnt(8)
	v_pk_fma_f32 v[22:23], v[42:43], v[44:45], v[20:21] op_sel:[0,0,1] op_sel_hi:[1,1,0] neg_lo:[0,0,1] neg_hi:[0,0,1]
	v_pk_fma_f32 v[20:21], v[42:43], v[44:45], v[20:21] op_sel:[0,0,1] op_sel_hi:[1,0,0]
	v_mov_b32_e32 v20, v51
	v_mov_b32_e32 v23, v21
	s_waitcnt lgkmcnt(3)
	v_pk_mul_f32 v[20:21], v[4:5], v[20:21] op_sel_hi:[1,0]
	v_pk_add_f32 v[18:19], v[18:19], v[22:23]
	v_pk_fma_f32 v[22:23], v[4:5], v[50:51], v[20:21] op_sel:[0,0,1] op_sel_hi:[1,1,0] neg_lo:[0,0,1] neg_hi:[0,0,1]
	v_pk_fma_f32 v[4:5], v[4:5], v[50:51], v[20:21] op_sel:[0,0,1] op_sel_hi:[1,0,0]
	v_mov_b32_e32 v23, v5
	v_pk_add_f32 v[4:5], v[18:19], v[22:23]
	v_mov_b32_e32 v18, v49
	v_pk_mul_f32 v[18:19], v[6:7], v[18:19] op_sel_hi:[1,0]
	v_pk_fma_f32 v[20:21], v[6:7], v[48:49], v[18:19] op_sel:[0,0,1] op_sel_hi:[1,1,0] neg_lo:[0,0,1] neg_hi:[0,0,1]
	v_pk_fma_f32 v[6:7], v[6:7], v[48:49], v[18:19] op_sel:[0,0,1] op_sel_hi:[1,0,0]
	v_mov_b32_e32 v6, v47
	v_mov_b32_e32 v21, v7
	s_waitcnt lgkmcnt(2)
	v_pk_mul_f32 v[6:7], v[8:9], v[6:7] op_sel_hi:[1,0]
	v_pk_fma_f32 v[18:19], v[8:9], v[46:47], v[6:7] op_sel:[0,0,1] op_sel_hi:[1,1,0] neg_lo:[0,0,1] neg_hi:[0,0,1]
	v_pk_fma_f32 v[6:7], v[8:9], v[46:47], v[6:7] op_sel:[0,0,1] op_sel_hi:[1,0,0]
	s_waitcnt vmcnt(1)
	v_mov_b32_e32 v6, v65
	v_mov_b32_e32 v19, v7
	v_pk_mul_f32 v[6:7], v[10:11], v[6:7] op_sel_hi:[1,0]
	s_waitcnt vmcnt(0)
	v_pk_fma_f32 v[8:9], v[10:11], v[64:65], v[6:7] op_sel:[0,0,1] op_sel_hi:[1,1,0] neg_lo:[0,0,1] neg_hi:[0,0,1]
	v_pk_fma_f32 v[6:7], v[10:11], v[64:65], v[6:7] op_sel:[0,0,1] op_sel_hi:[1,0,0]
	v_pk_add_f32 v[4:5], v[4:5], v[20:21]
	v_mov_b32_e32 v6, v63
	v_pk_add_f32 v[4:5], v[4:5], v[18:19]
	v_mov_b32_e32 v9, v7
	s_waitcnt lgkmcnt(1)
	v_pk_mul_f32 v[6:7], v[12:13], v[6:7] op_sel_hi:[1,0]
	v_pk_add_f32 v[4:5], v[4:5], v[8:9]
	v_pk_fma_f32 v[8:9], v[12:13], v[62:63], v[6:7] op_sel:[0,0,1] op_sel_hi:[1,1,0] neg_lo:[0,0,1] neg_hi:[0,0,1]
	v_pk_fma_f32 v[6:7], v[12:13], v[62:63], v[6:7] op_sel:[0,0,1] op_sel_hi:[1,0,0]
	v_mov_b32_e32 v6, v61
	v_mov_b32_e32 v9, v7
	v_pk_mul_f32 v[6:7], v[14:15], v[6:7] op_sel_hi:[1,0]
	v_pk_add_f32 v[4:5], v[4:5], v[8:9]
	v_pk_fma_f32 v[8:9], v[14:15], v[60:61], v[6:7] op_sel:[0,0,1] op_sel_hi:[1,1,0] neg_lo:[0,0,1] neg_hi:[0,0,1]
	v_pk_fma_f32 v[6:7], v[14:15], v[60:61], v[6:7] op_sel:[0,0,1] op_sel_hi:[1,0,0]
	v_mov_b32_e32 v6, v59
	v_mov_b32_e32 v9, v7
	s_waitcnt lgkmcnt(0)
	v_pk_mul_f32 v[6:7], v[16:17], v[6:7] op_sel_hi:[1,0]
	v_pk_add_f32 v[4:5], v[4:5], v[8:9]
	v_pk_fma_f32 v[8:9], v[16:17], v[58:59], v[6:7] op_sel:[0,0,1] op_sel_hi:[1,1,0] neg_lo:[0,0,1] neg_hi:[0,0,1]
	v_pk_fma_f32 v[6:7], v[16:17], v[58:59], v[6:7] op_sel:[0,0,1] op_sel_hi:[1,0,0]
	v_mov_b32_e32 v9, v7
	v_pk_add_f32 v[4:5], v[4:5], v[8:9]
	v_pk_add_f32 v[2:3], v[2:3], v[4:5] neg_lo:[0,1] neg_hi:[0,1]
	buffer_store_dword v3, off, s[0:3], 0 offset:292
	buffer_store_dword v2, off, s[0:3], 0 offset:288
	s_and_saveexec_b64 s[4:5], vcc
	s_cbranch_execz .LBB63_327
; %bb.326:
	buffer_load_dword v2, off, s[0:3], 0 offset:280
	buffer_load_dword v3, off, s[0:3], 0 offset:284
	s_waitcnt vmcnt(0)
	ds_write_b64 v223, v[2:3]
	buffer_store_dword v1, off, s[0:3], 0 offset:280
	buffer_store_dword v1, off, s[0:3], 0 offset:284
.LBB63_327:
	s_or_b64 exec, exec, s[4:5]
	s_waitcnt lgkmcnt(0)
	; wave barrier
	s_waitcnt lgkmcnt(0)
	buffer_load_dword v44, off, s[0:3], 0 offset:292
	buffer_load_dword v46, off, s[0:3], 0 offset:300
	;; [unrolled: 1-line block ×42, first 2 shown]
	ds_read_b128 v[4:7], v1 offset:800
	ds_read_b128 v[8:11], v1 offset:816
	;; [unrolled: 1-line block ×8, first 2 shown]
	v_cmp_lt_u32_e32 vcc, 34, v0
	s_waitcnt vmcnt(41) lgkmcnt(7)
	v_mul_f32_e32 v36, v4, v44
	s_waitcnt vmcnt(40)
	v_mul_f32_e32 v37, v6, v46
	s_waitcnt vmcnt(39) lgkmcnt(6)
	v_mul_f32_e32 v38, v8, v54
	s_waitcnt vmcnt(38)
	v_mul_f32_e32 v39, v10, v66
	;; [unrolled: 4-line block ×7, first 2 shown]
	s_waitcnt vmcnt(27) lgkmcnt(0)
	v_mul_f32_e32 v52, v32, v77
	s_waitcnt vmcnt(26)
	v_fmac_f32_e32 v36, v5, v78
	s_waitcnt vmcnt(25)
	v_fmac_f32_e32 v37, v7, v79
	v_add_f32_e32 v36, 0, v36
	s_waitcnt vmcnt(24)
	v_fmac_f32_e32 v38, v9, v80
	v_add_f32_e32 v36, v36, v37
	;; [unrolled: 3-line block ×14, first 2 shown]
	s_waitcnt vmcnt(11)
	v_mul_f32_e32 v41, v34, v93
	v_add_f32_e32 v40, v36, v52
	s_waitcnt vmcnt(10)
	v_fmac_f32_e32 v41, v35, v94
	ds_read_b128 v[36:39], v1 offset:928
	v_add_f32_e32 v45, v40, v41
	ds_read_b128 v[40:43], v1 offset:944
	buffer_load_dword v49, off, s[0:3], 0 offset:452
	buffer_load_dword v51, off, s[0:3], 0 offset:468
	;; [unrolled: 1-line block ×16, first 2 shown]
	v_mul_f32_e32 v5, v5, v44
	v_fma_f32 v4, v4, v78, -v5
	v_mul_f32_e32 v5, v7, v46
	v_add_f32_e32 v4, 0, v4
	v_fma_f32 v5, v6, v79, -v5
	v_add_f32_e32 v4, v4, v5
	v_mul_f32_e32 v5, v9, v54
	v_fma_f32 v5, v8, v80, -v5
	v_add_f32_e32 v4, v4, v5
	v_mul_f32_e32 v5, v11, v66
	;; [unrolled: 3-line block ×14, first 2 shown]
	v_fma_f32 v5, v34, v94, -v5
	v_add_f32_e32 v4, v4, v5
	s_waitcnt vmcnt(25) lgkmcnt(1)
	v_mul_f32_e32 v5, v37, v95
	s_waitcnt vmcnt(24)
	v_fma_f32 v5, v36, v96, -v5
	v_add_f32_e32 v4, v4, v5
	s_waitcnt vmcnt(23)
	v_mul_f32_e32 v5, v39, v97
	v_mul_f32_e32 v47, v36, v95
	s_waitcnt vmcnt(22)
	v_fma_f32 v5, v38, v98, -v5
	v_fmac_f32_e32 v47, v37, v96
	v_add_f32_e32 v44, v4, v5
	s_waitcnt vmcnt(21) lgkmcnt(0)
	v_mul_f32_e32 v4, v41, v99
	v_add_f32_e32 v45, v45, v47
	v_mul_f32_e32 v47, v38, v97
	s_waitcnt vmcnt(20)
	v_fma_f32 v46, v40, v100, -v4
	s_waitcnt vmcnt(19)
	v_mul_f32_e32 v4, v43, v101
	v_fmac_f32_e32 v47, v39, v98
	s_waitcnt vmcnt(18)
	v_fma_f32 v54, v42, v102, -v4
	ds_read_b128 v[4:7], v1 offset:960
	ds_read_b128 v[8:11], v1 offset:976
	;; [unrolled: 1-line block ×4, first 2 shown]
	v_add_f32_e32 v45, v45, v47
	v_mul_f32_e32 v47, v40, v99
	v_fmac_f32_e32 v47, v41, v100
	v_mul_f32_e32 v55, v42, v101
	v_fmac_f32_e32 v55, v43, v102
	v_pk_add_f32 v[20:21], v[44:45], v[46:47]
	v_pk_add_f32 v[20:21], v[20:21], v[54:55]
	s_waitcnt vmcnt(15)
	v_mov_b32_e32 v22, v49
	s_waitcnt lgkmcnt(3)
	v_pk_mul_f32 v[22:23], v[4:5], v[22:23] op_sel_hi:[1,0]
	s_waitcnt vmcnt(10)
	v_pk_fma_f32 v[24:25], v[4:5], v[48:49], v[22:23] op_sel:[0,0,1] op_sel_hi:[1,1,0] neg_lo:[0,0,1] neg_hi:[0,0,1]
	v_pk_fma_f32 v[4:5], v[4:5], v[48:49], v[22:23] op_sel:[0,0,1] op_sel_hi:[1,0,0]
	v_mov_b32_e32 v25, v5
	v_pk_add_f32 v[4:5], v[20:21], v[24:25]
	v_mov_b32_e32 v20, v53
	v_pk_mul_f32 v[20:21], v[6:7], v[20:21] op_sel_hi:[1,0]
	v_pk_fma_f32 v[22:23], v[6:7], v[52:53], v[20:21] op_sel:[0,0,1] op_sel_hi:[1,1,0] neg_lo:[0,0,1] neg_hi:[0,0,1]
	v_pk_fma_f32 v[6:7], v[6:7], v[52:53], v[20:21] op_sel:[0,0,1] op_sel_hi:[1,0,0]
	v_mov_b32_e32 v6, v51
	v_mov_b32_e32 v23, v7
	s_waitcnt lgkmcnt(2)
	v_pk_mul_f32 v[6:7], v[8:9], v[6:7] op_sel_hi:[1,0]
	v_pk_fma_f32 v[20:21], v[8:9], v[50:51], v[6:7] op_sel:[0,0,1] op_sel_hi:[1,1,0] neg_lo:[0,0,1] neg_hi:[0,0,1]
	v_pk_fma_f32 v[6:7], v[8:9], v[50:51], v[6:7] op_sel:[0,0,1] op_sel_hi:[1,0,0]
	s_waitcnt vmcnt(3)
	v_mov_b32_e32 v6, v63
	v_mov_b32_e32 v21, v7
	v_pk_mul_f32 v[6:7], v[10:11], v[6:7] op_sel_hi:[1,0]
	s_waitcnt vmcnt(2)
	v_pk_fma_f32 v[8:9], v[10:11], v[62:63], v[6:7] op_sel:[0,0,1] op_sel_hi:[1,1,0] neg_lo:[0,0,1] neg_hi:[0,0,1]
	v_pk_fma_f32 v[6:7], v[10:11], v[62:63], v[6:7] op_sel:[0,0,1] op_sel_hi:[1,0,0]
	v_pk_add_f32 v[4:5], v[4:5], v[22:23]
	v_mov_b32_e32 v6, v61
	v_pk_add_f32 v[4:5], v[4:5], v[20:21]
	v_mov_b32_e32 v9, v7
	s_waitcnt lgkmcnt(1)
	v_pk_mul_f32 v[6:7], v[12:13], v[6:7] op_sel_hi:[1,0]
	v_pk_add_f32 v[4:5], v[4:5], v[8:9]
	v_pk_fma_f32 v[8:9], v[12:13], v[60:61], v[6:7] op_sel:[0,0,1] op_sel_hi:[1,1,0] neg_lo:[0,0,1] neg_hi:[0,0,1]
	v_pk_fma_f32 v[6:7], v[12:13], v[60:61], v[6:7] op_sel:[0,0,1] op_sel_hi:[1,0,0]
	v_mov_b32_e32 v6, v59
	v_mov_b32_e32 v9, v7
	v_pk_mul_f32 v[6:7], v[14:15], v[6:7] op_sel_hi:[1,0]
	v_pk_add_f32 v[4:5], v[4:5], v[8:9]
	v_pk_fma_f32 v[8:9], v[14:15], v[58:59], v[6:7] op_sel:[0,0,1] op_sel_hi:[1,1,0] neg_lo:[0,0,1] neg_hi:[0,0,1]
	v_pk_fma_f32 v[6:7], v[14:15], v[58:59], v[6:7] op_sel:[0,0,1] op_sel_hi:[1,0,0]
	v_mov_b32_e32 v6, v57
	v_mov_b32_e32 v9, v7
	s_waitcnt lgkmcnt(0)
	v_pk_mul_f32 v[6:7], v[16:17], v[6:7] op_sel_hi:[1,0]
	v_pk_add_f32 v[4:5], v[4:5], v[8:9]
	v_pk_fma_f32 v[8:9], v[16:17], v[56:57], v[6:7] op_sel:[0,0,1] op_sel_hi:[1,1,0] neg_lo:[0,0,1] neg_hi:[0,0,1]
	v_pk_fma_f32 v[6:7], v[16:17], v[56:57], v[6:7] op_sel:[0,0,1] op_sel_hi:[1,0,0]
	s_waitcnt vmcnt(1)
	v_mov_b32_e32 v6, v65
	v_mov_b32_e32 v9, v7
	v_pk_mul_f32 v[6:7], v[18:19], v[6:7] op_sel_hi:[1,0]
	v_pk_add_f32 v[4:5], v[4:5], v[8:9]
	s_waitcnt vmcnt(0)
	v_pk_fma_f32 v[8:9], v[18:19], v[64:65], v[6:7] op_sel:[0,0,1] op_sel_hi:[1,1,0] neg_lo:[0,0,1] neg_hi:[0,0,1]
	v_pk_fma_f32 v[6:7], v[18:19], v[64:65], v[6:7] op_sel:[0,0,1] op_sel_hi:[1,0,0]
	v_mov_b32_e32 v9, v7
	v_pk_add_f32 v[4:5], v[4:5], v[8:9]
	v_pk_add_f32 v[2:3], v[2:3], v[4:5] neg_lo:[0,1] neg_hi:[0,1]
	buffer_store_dword v3, off, s[0:3], 0 offset:284
	buffer_store_dword v2, off, s[0:3], 0 offset:280
	s_and_saveexec_b64 s[4:5], vcc
	s_cbranch_execz .LBB63_329
; %bb.328:
	buffer_load_dword v2, off, s[0:3], 0 offset:272
	buffer_load_dword v3, off, s[0:3], 0 offset:276
	v_mov_b32_e32 v1, 0
	buffer_store_dword v1, off, s[0:3], 0 offset:272
	buffer_store_dword v1, off, s[0:3], 0 offset:276
	s_waitcnt vmcnt(2)
	ds_write_b64 v223, v[2:3]
.LBB63_329:
	s_or_b64 exec, exec, s[4:5]
	s_waitcnt lgkmcnt(0)
	; wave barrier
	s_waitcnt lgkmcnt(0)
	buffer_load_dword v52, off, s[0:3], 0 offset:284
	buffer_load_dword v58, off, s[0:3], 0 offset:292
	;; [unrolled: 1-line block ×44, first 2 shown]
	v_mov_b32_e32 v1, 0
	ds_read2_b64 v[4:7], v1 offset0:99 offset1:100
	ds_read2_b64 v[8:11], v1 offset0:101 offset1:102
	;; [unrolled: 1-line block ×8, first 2 shown]
	v_cmp_lt_u32_e32 vcc, 33, v0
	s_waitcnt vmcnt(43) lgkmcnt(7)
	v_mul_f32_e32 v36, v4, v52
	s_waitcnt vmcnt(42)
	v_mul_f32_e32 v37, v6, v58
	s_waitcnt vmcnt(41) lgkmcnt(6)
	v_mul_f32_e32 v38, v8, v60
	s_waitcnt vmcnt(40)
	v_mul_f32_e32 v39, v10, v74
	;; [unrolled: 4-line block ×7, first 2 shown]
	s_waitcnt vmcnt(29)
	v_fmac_f32_e32 v36, v5, v85
	s_waitcnt vmcnt(28)
	v_fmac_f32_e32 v37, v7, v86
	v_add_f32_e32 v36, 0, v36
	s_waitcnt vmcnt(27)
	v_fmac_f32_e32 v38, v9, v87
	v_add_f32_e32 v36, v36, v37
	;; [unrolled: 3-line block ×12, first 2 shown]
	v_add_f32_e32 v36, v36, v48
	s_waitcnt vmcnt(16)
	v_fmac_f32_e32 v49, v31, v98
	s_waitcnt vmcnt(15) lgkmcnt(0)
	v_mul_f32_e32 v37, v32, v99
	v_add_f32_e32 v36, v36, v49
	s_waitcnt vmcnt(14)
	v_fmac_f32_e32 v37, v33, v100
	v_add_f32_e32 v40, v36, v37
	ds_read2_b64 v[36:39], v1 offset0:115 offset1:116
	s_waitcnt vmcnt(13)
	v_mul_f32_e32 v41, v34, v101
	s_waitcnt vmcnt(12)
	v_fmac_f32_e32 v41, v35, v102
	v_add_f32_e32 v44, v40, v41
	ds_read2_b64 v[40:43], v1 offset0:117 offset1:118
	s_waitcnt vmcnt(11) lgkmcnt(1)
	v_mul_f32_e32 v45, v36, v103
	s_waitcnt vmcnt(10)
	v_fmac_f32_e32 v45, v37, v104
	v_add_f32_e32 v44, v44, v45
	s_waitcnt vmcnt(9)
	v_mul_f32_e32 v45, v38, v105
	s_waitcnt vmcnt(8)
	v_fmac_f32_e32 v45, v39, v106
	v_add_f32_e32 v44, v44, v45
	s_waitcnt vmcnt(7) lgkmcnt(0)
	v_mul_f32_e32 v45, v40, v107
	s_waitcnt vmcnt(6)
	v_fmac_f32_e32 v45, v41, v108
	v_add_f32_e32 v53, v44, v45
	ds_read2_b64 v[44:47], v1 offset0:119 offset1:120
	buffer_load_dword v55, off, s[0:3], 0 offset:460
	buffer_load_dword v54, off, s[0:3], 0 offset:456
	;; [unrolled: 1-line block ×4, first 2 shown]
	ds_read2_b64 v[48:51], v1 offset0:121 offset1:122
	buffer_load_dword v63, off, s[0:3], 0 offset:492
	buffer_load_dword v62, off, s[0:3], 0 offset:488
	;; [unrolled: 1-line block ×12, first 2 shown]
	v_mul_f32_e32 v5, v5, v52
	v_fma_f32 v4, v4, v85, -v5
	v_mul_f32_e32 v5, v7, v58
	v_add_f32_e32 v4, 0, v4
	v_fma_f32 v5, v6, v86, -v5
	v_add_f32_e32 v4, v4, v5
	v_mul_f32_e32 v5, v9, v60
	v_fma_f32 v5, v8, v87, -v5
	v_add_f32_e32 v4, v4, v5
	v_mul_f32_e32 v5, v11, v74
	;; [unrolled: 3-line block ×17, first 2 shown]
	v_fma_f32 v5, v40, v108, -v5
	s_waitcnt vmcnt(21)
	v_mul_f32_e32 v59, v42, v109
	v_add_f32_e32 v52, v4, v5
	v_mul_f32_e32 v4, v43, v109
	s_waitcnt vmcnt(20)
	v_fmac_f32_e32 v59, v43, v110
	s_waitcnt vmcnt(19) lgkmcnt(1)
	v_mul_f32_e32 v61, v44, v111
	v_fma_f32 v58, v42, v110, -v4
	v_mul_f32_e32 v4, v45, v111
	s_waitcnt vmcnt(18)
	v_fmac_f32_e32 v61, v45, v112
	v_fma_f32 v60, v44, v112, -v4
	v_pk_add_f32 v[14:15], v[52:53], v[58:59]
	v_pk_add_f32 v[14:15], v[14:15], v[60:61]
	ds_read2_b64 v[4:7], v1 offset0:123 offset1:124
	ds_read2_b64 v[8:11], v1 offset0:125 offset1:126
	ds_read_b64 v[12:13], v1 offset:1016
	s_waitcnt vmcnt(13)
	v_mov_b32_e32 v16, v57
	v_pk_mul_f32 v[16:17], v[46:47], v[16:17] op_sel_hi:[1,0]
	s_waitcnt vmcnt(12)
	v_pk_fma_f32 v[18:19], v[46:47], v[56:57], v[16:17] op_sel:[0,0,1] op_sel_hi:[1,1,0] neg_lo:[0,0,1] neg_hi:[0,0,1]
	v_pk_fma_f32 v[16:17], v[46:47], v[56:57], v[16:17] op_sel:[0,0,1] op_sel_hi:[1,0,0]
	v_mov_b32_e32 v16, v55
	v_mov_b32_e32 v19, v17
	s_waitcnt lgkmcnt(3)
	v_pk_mul_f32 v[16:17], v[48:49], v[16:17] op_sel_hi:[1,0]
	v_pk_add_f32 v[14:15], v[14:15], v[18:19]
	v_pk_fma_f32 v[18:19], v[48:49], v[54:55], v[16:17] op_sel:[0,0,1] op_sel_hi:[1,1,0] neg_lo:[0,0,1] neg_hi:[0,0,1]
	v_pk_fma_f32 v[16:17], v[48:49], v[54:55], v[16:17] op_sel:[0,0,1] op_sel_hi:[1,0,0]
	s_waitcnt vmcnt(5)
	v_mov_b32_e32 v16, v69
	v_mov_b32_e32 v19, v17
	v_pk_mul_f32 v[16:17], v[50:51], v[16:17] op_sel_hi:[1,0]
	v_pk_add_f32 v[14:15], v[14:15], v[18:19]
	s_waitcnt vmcnt(4)
	v_pk_fma_f32 v[18:19], v[50:51], v[68:69], v[16:17] op_sel:[0,0,1] op_sel_hi:[1,1,0] neg_lo:[0,0,1] neg_hi:[0,0,1]
	v_pk_fma_f32 v[16:17], v[50:51], v[68:69], v[16:17] op_sel:[0,0,1] op_sel_hi:[1,0,0]
	v_mov_b32_e32 v16, v67
	v_mov_b32_e32 v19, v17
	s_waitcnt lgkmcnt(2)
	v_pk_mul_f32 v[16:17], v[4:5], v[16:17] op_sel_hi:[1,0]
	v_pk_add_f32 v[14:15], v[14:15], v[18:19]
	v_pk_fma_f32 v[18:19], v[4:5], v[66:67], v[16:17] op_sel:[0,0,1] op_sel_hi:[1,1,0] neg_lo:[0,0,1] neg_hi:[0,0,1]
	v_pk_fma_f32 v[4:5], v[4:5], v[66:67], v[16:17] op_sel:[0,0,1] op_sel_hi:[1,0,0]
	v_mov_b32_e32 v19, v5
	v_pk_add_f32 v[4:5], v[14:15], v[18:19]
	v_mov_b32_e32 v14, v65
	v_pk_mul_f32 v[14:15], v[6:7], v[14:15] op_sel_hi:[1,0]
	v_pk_fma_f32 v[16:17], v[6:7], v[64:65], v[14:15] op_sel:[0,0,1] op_sel_hi:[1,1,0] neg_lo:[0,0,1] neg_hi:[0,0,1]
	v_pk_fma_f32 v[6:7], v[6:7], v[64:65], v[14:15] op_sel:[0,0,1] op_sel_hi:[1,0,0]
	v_mov_b32_e32 v6, v63
	v_mov_b32_e32 v17, v7
	s_waitcnt lgkmcnt(1)
	v_pk_mul_f32 v[6:7], v[8:9], v[6:7] op_sel_hi:[1,0]
	v_pk_fma_f32 v[14:15], v[8:9], v[62:63], v[6:7] op_sel:[0,0,1] op_sel_hi:[1,1,0] neg_lo:[0,0,1] neg_hi:[0,0,1]
	v_pk_fma_f32 v[6:7], v[8:9], v[62:63], v[6:7] op_sel:[0,0,1] op_sel_hi:[1,0,0]
	s_waitcnt vmcnt(1)
	v_mov_b32_e32 v6, v73
	v_mov_b32_e32 v15, v7
	v_pk_mul_f32 v[6:7], v[10:11], v[6:7] op_sel_hi:[1,0]
	s_waitcnt vmcnt(0)
	v_pk_fma_f32 v[8:9], v[10:11], v[72:73], v[6:7] op_sel:[0,0,1] op_sel_hi:[1,1,0] neg_lo:[0,0,1] neg_hi:[0,0,1]
	v_pk_fma_f32 v[6:7], v[10:11], v[72:73], v[6:7] op_sel:[0,0,1] op_sel_hi:[1,0,0]
	v_pk_add_f32 v[4:5], v[4:5], v[16:17]
	v_mov_b32_e32 v6, v71
	v_pk_add_f32 v[4:5], v[4:5], v[14:15]
	v_mov_b32_e32 v9, v7
	s_waitcnt lgkmcnt(0)
	v_pk_mul_f32 v[6:7], v[12:13], v[6:7] op_sel_hi:[1,0]
	v_pk_add_f32 v[4:5], v[4:5], v[8:9]
	v_pk_fma_f32 v[8:9], v[12:13], v[70:71], v[6:7] op_sel:[0,0,1] op_sel_hi:[1,1,0] neg_lo:[0,0,1] neg_hi:[0,0,1]
	v_pk_fma_f32 v[6:7], v[12:13], v[70:71], v[6:7] op_sel:[0,0,1] op_sel_hi:[1,0,0]
	v_mov_b32_e32 v9, v7
	v_pk_add_f32 v[4:5], v[4:5], v[8:9]
	v_pk_add_f32 v[2:3], v[2:3], v[4:5] neg_lo:[0,1] neg_hi:[0,1]
	buffer_store_dword v3, off, s[0:3], 0 offset:276
	buffer_store_dword v2, off, s[0:3], 0 offset:272
	s_and_saveexec_b64 s[4:5], vcc
	s_cbranch_execz .LBB63_331
; %bb.330:
	buffer_load_dword v2, off, s[0:3], 0 offset:264
	buffer_load_dword v3, off, s[0:3], 0 offset:268
	s_waitcnt vmcnt(0)
	ds_write_b64 v223, v[2:3]
	buffer_store_dword v1, off, s[0:3], 0 offset:264
	buffer_store_dword v1, off, s[0:3], 0 offset:268
.LBB63_331:
	s_or_b64 exec, exec, s[4:5]
	s_waitcnt lgkmcnt(0)
	; wave barrier
	s_waitcnt lgkmcnt(0)
	buffer_load_dword v54, off, s[0:3], 0 offset:276
	buffer_load_dword v56, off, s[0:3], 0 offset:284
	;; [unrolled: 1-line block ×46, first 2 shown]
	ds_read_b128 v[4:7], v1 offset:784
	ds_read_b128 v[8:11], v1 offset:800
	;; [unrolled: 1-line block ×8, first 2 shown]
	v_cmp_lt_u32_e32 vcc, 32, v0
	s_waitcnt vmcnt(45) lgkmcnt(7)
	v_mul_f32_e32 v36, v4, v54
	s_waitcnt vmcnt(44)
	v_mul_f32_e32 v37, v6, v56
	s_waitcnt vmcnt(43) lgkmcnt(6)
	v_mul_f32_e32 v38, v8, v58
	s_waitcnt vmcnt(42)
	v_mul_f32_e32 v39, v10, v74
	;; [unrolled: 4-line block ×6, first 2 shown]
	s_waitcnt vmcnt(33) lgkmcnt(1)
	v_mul_f32_e32 v48, v28, v83
	s_waitcnt vmcnt(32)
	v_fmac_f32_e32 v36, v5, v84
	s_waitcnt vmcnt(31)
	v_fmac_f32_e32 v37, v7, v85
	v_add_f32_e32 v36, 0, v36
	s_waitcnt vmcnt(30)
	v_fmac_f32_e32 v38, v9, v86
	v_add_f32_e32 v36, v36, v37
	s_waitcnt vmcnt(29)
	v_fmac_f32_e32 v39, v11, v87
	v_add_f32_e32 v36, v36, v38
	s_waitcnt vmcnt(28)
	v_fmac_f32_e32 v40, v13, v88
	v_add_f32_e32 v36, v36, v39
	s_waitcnt vmcnt(27)
	v_fmac_f32_e32 v41, v15, v89
	v_add_f32_e32 v36, v36, v40
	s_waitcnt vmcnt(26)
	v_fmac_f32_e32 v42, v17, v90
	v_add_f32_e32 v36, v36, v41
	s_waitcnt vmcnt(25)
	v_fmac_f32_e32 v43, v19, v91
	v_add_f32_e32 v36, v36, v42
	s_waitcnt vmcnt(24)
	v_fmac_f32_e32 v44, v21, v92
	v_add_f32_e32 v36, v36, v43
	s_waitcnt vmcnt(23)
	v_fmac_f32_e32 v45, v23, v93
	v_add_f32_e32 v36, v36, v44
	s_waitcnt vmcnt(22)
	v_fmac_f32_e32 v46, v25, v94
	v_add_f32_e32 v36, v36, v45
	s_waitcnt vmcnt(21)
	v_fmac_f32_e32 v47, v27, v95
	v_add_f32_e32 v36, v36, v46
	s_waitcnt vmcnt(20)
	v_fmac_f32_e32 v48, v29, v96
	v_add_f32_e32 v36, v36, v47
	s_waitcnt vmcnt(19)
	v_mul_f32_e32 v37, v30, v97
	v_add_f32_e32 v36, v36, v48
	s_waitcnt vmcnt(18)
	v_fmac_f32_e32 v37, v31, v98
	v_add_f32_e32 v36, v36, v37
	s_waitcnt vmcnt(17) lgkmcnt(0)
	v_mul_f32_e32 v37, v32, v99
	s_waitcnt vmcnt(16)
	v_fmac_f32_e32 v37, v33, v100
	v_add_f32_e32 v40, v36, v37
	ds_read_b128 v[36:39], v1 offset:912
	s_waitcnt vmcnt(15)
	v_mul_f32_e32 v41, v34, v101
	s_waitcnt vmcnt(14)
	v_fmac_f32_e32 v41, v35, v102
	v_add_f32_e32 v44, v40, v41
	ds_read_b128 v[40:43], v1 offset:928
	buffer_load_dword v53, off, s[0:3], 0 offset:452
	buffer_load_dword v52, off, s[0:3], 0 offset:448
	s_waitcnt vmcnt(15) lgkmcnt(1)
	v_mul_f32_e32 v45, v36, v103
	s_waitcnt vmcnt(14)
	v_fmac_f32_e32 v45, v37, v104
	v_add_f32_e32 v44, v44, v45
	s_waitcnt vmcnt(13)
	v_mul_f32_e32 v45, v38, v105
	s_waitcnt vmcnt(12)
	v_fmac_f32_e32 v45, v39, v106
	v_add_f32_e32 v44, v44, v45
	s_waitcnt vmcnt(11) lgkmcnt(0)
	v_mul_f32_e32 v45, v40, v107
	s_waitcnt vmcnt(10)
	v_fmac_f32_e32 v45, v41, v108
	s_waitcnt vmcnt(9)
	v_mul_f32_e32 v49, v42, v109
	v_add_f32_e32 v48, v44, v45
	s_waitcnt vmcnt(8)
	v_fmac_f32_e32 v49, v43, v110
	ds_read_b128 v[44:47], v1 offset:944
	v_add_f32_e32 v55, v48, v49
	ds_read_b128 v[48:51], v1 offset:960
	buffer_load_dword v61, off, s[0:3], 0 offset:484
	buffer_load_dword v60, off, s[0:3], 0 offset:480
	;; [unrolled: 1-line block ×14, first 2 shown]
	v_mul_f32_e32 v5, v5, v54
	v_fma_f32 v4, v4, v84, -v5
	v_mul_f32_e32 v5, v7, v56
	v_add_f32_e32 v4, 0, v4
	v_fma_f32 v5, v6, v85, -v5
	v_add_f32_e32 v4, v4, v5
	v_mul_f32_e32 v5, v9, v58
	v_fma_f32 v5, v8, v86, -v5
	v_add_f32_e32 v4, v4, v5
	v_mul_f32_e32 v5, v11, v74
	;; [unrolled: 3-line block ×18, first 2 shown]
	v_fma_f32 v5, v42, v110, -v5
	s_waitcnt vmcnt(21) lgkmcnt(1)
	v_mul_f32_e32 v57, v44, v111
	v_add_f32_e32 v54, v4, v5
	v_mul_f32_e32 v4, v45, v111
	s_waitcnt vmcnt(20)
	v_fmac_f32_e32 v57, v45, v112
	s_waitcnt vmcnt(15)
	v_mov_b32_e32 v18, v53
	s_waitcnt lgkmcnt(0)
	v_pk_mul_f32 v[18:19], v[48:49], v[18:19] op_sel_hi:[1,0]
	v_mul_f32_e32 v59, v46, v113
	v_fma_f32 v56, v44, v112, -v4
	v_mul_f32_e32 v4, v47, v113
	s_waitcnt vmcnt(14)
	v_pk_fma_f32 v[20:21], v[48:49], v[52:53], v[18:19] op_sel:[0,0,1] op_sel_hi:[1,1,0] neg_lo:[0,0,1] neg_hi:[0,0,1]
	v_pk_fma_f32 v[18:19], v[48:49], v[52:53], v[18:19] op_sel:[0,0,1] op_sel_hi:[1,0,0]
	v_fmac_f32_e32 v59, v47, v114
	v_fma_f32 v58, v46, v114, -v4
	v_pk_add_f32 v[16:17], v[54:55], v[56:57]
	s_waitcnt vmcnt(7)
	v_mov_b32_e32 v18, v67
	ds_read_b128 v[4:7], v1 offset:976
	ds_read_b128 v[8:11], v1 offset:992
	ds_read_b128 v[12:15], v1 offset:1008
	v_pk_add_f32 v[16:17], v[16:17], v[58:59]
	v_mov_b32_e32 v21, v19
	v_pk_mul_f32 v[18:19], v[50:51], v[18:19] op_sel_hi:[1,0]
	v_pk_add_f32 v[16:17], v[16:17], v[20:21]
	s_waitcnt vmcnt(6)
	v_pk_fma_f32 v[20:21], v[50:51], v[66:67], v[18:19] op_sel:[0,0,1] op_sel_hi:[1,1,0] neg_lo:[0,0,1] neg_hi:[0,0,1]
	v_pk_fma_f32 v[18:19], v[50:51], v[66:67], v[18:19] op_sel:[0,0,1] op_sel_hi:[1,0,0]
	v_mov_b32_e32 v18, v65
	v_mov_b32_e32 v21, v19
	s_waitcnt lgkmcnt(2)
	v_pk_mul_f32 v[18:19], v[4:5], v[18:19] op_sel_hi:[1,0]
	v_pk_add_f32 v[16:17], v[16:17], v[20:21]
	v_pk_fma_f32 v[20:21], v[4:5], v[64:65], v[18:19] op_sel:[0,0,1] op_sel_hi:[1,1,0] neg_lo:[0,0,1] neg_hi:[0,0,1]
	v_pk_fma_f32 v[4:5], v[4:5], v[64:65], v[18:19] op_sel:[0,0,1] op_sel_hi:[1,0,0]
	v_mov_b32_e32 v21, v5
	v_pk_add_f32 v[4:5], v[16:17], v[20:21]
	v_mov_b32_e32 v16, v63
	v_pk_mul_f32 v[16:17], v[6:7], v[16:17] op_sel_hi:[1,0]
	v_pk_fma_f32 v[18:19], v[6:7], v[62:63], v[16:17] op_sel:[0,0,1] op_sel_hi:[1,1,0] neg_lo:[0,0,1] neg_hi:[0,0,1]
	v_pk_fma_f32 v[6:7], v[6:7], v[62:63], v[16:17] op_sel:[0,0,1] op_sel_hi:[1,0,0]
	v_mov_b32_e32 v6, v61
	v_mov_b32_e32 v19, v7
	s_waitcnt lgkmcnt(1)
	v_pk_mul_f32 v[6:7], v[8:9], v[6:7] op_sel_hi:[1,0]
	v_pk_fma_f32 v[16:17], v[8:9], v[60:61], v[6:7] op_sel:[0,0,1] op_sel_hi:[1,1,0] neg_lo:[0,0,1] neg_hi:[0,0,1]
	v_pk_fma_f32 v[6:7], v[8:9], v[60:61], v[6:7] op_sel:[0,0,1] op_sel_hi:[1,0,0]
	s_waitcnt vmcnt(1)
	v_mov_b32_e32 v6, v73
	v_mov_b32_e32 v17, v7
	v_pk_mul_f32 v[6:7], v[10:11], v[6:7] op_sel_hi:[1,0]
	s_waitcnt vmcnt(0)
	v_pk_fma_f32 v[8:9], v[10:11], v[72:73], v[6:7] op_sel:[0,0,1] op_sel_hi:[1,1,0] neg_lo:[0,0,1] neg_hi:[0,0,1]
	v_pk_fma_f32 v[6:7], v[10:11], v[72:73], v[6:7] op_sel:[0,0,1] op_sel_hi:[1,0,0]
	v_pk_add_f32 v[4:5], v[4:5], v[18:19]
	v_mov_b32_e32 v6, v71
	v_pk_add_f32 v[4:5], v[4:5], v[16:17]
	v_mov_b32_e32 v9, v7
	s_waitcnt lgkmcnt(0)
	v_pk_mul_f32 v[6:7], v[12:13], v[6:7] op_sel_hi:[1,0]
	v_pk_add_f32 v[4:5], v[4:5], v[8:9]
	v_pk_fma_f32 v[8:9], v[12:13], v[70:71], v[6:7] op_sel:[0,0,1] op_sel_hi:[1,1,0] neg_lo:[0,0,1] neg_hi:[0,0,1]
	v_pk_fma_f32 v[6:7], v[12:13], v[70:71], v[6:7] op_sel:[0,0,1] op_sel_hi:[1,0,0]
	v_mov_b32_e32 v6, v69
	v_mov_b32_e32 v9, v7
	v_pk_mul_f32 v[6:7], v[14:15], v[6:7] op_sel_hi:[1,0]
	v_pk_add_f32 v[4:5], v[4:5], v[8:9]
	v_pk_fma_f32 v[8:9], v[14:15], v[68:69], v[6:7] op_sel:[0,0,1] op_sel_hi:[1,1,0] neg_lo:[0,0,1] neg_hi:[0,0,1]
	v_pk_fma_f32 v[6:7], v[14:15], v[68:69], v[6:7] op_sel:[0,0,1] op_sel_hi:[1,0,0]
	v_mov_b32_e32 v9, v7
	v_pk_add_f32 v[4:5], v[4:5], v[8:9]
	v_pk_add_f32 v[2:3], v[2:3], v[4:5] neg_lo:[0,1] neg_hi:[0,1]
	buffer_store_dword v3, off, s[0:3], 0 offset:268
	buffer_store_dword v2, off, s[0:3], 0 offset:264
	s_and_saveexec_b64 s[4:5], vcc
	s_cbranch_execz .LBB63_333
; %bb.332:
	buffer_load_dword v2, off, s[0:3], 0 offset:256
	buffer_load_dword v3, off, s[0:3], 0 offset:260
	v_mov_b32_e32 v1, 0
	buffer_store_dword v1, off, s[0:3], 0 offset:256
	buffer_store_dword v1, off, s[0:3], 0 offset:260
	s_waitcnt vmcnt(2)
	ds_write_b64 v223, v[2:3]
.LBB63_333:
	s_or_b64 exec, exec, s[4:5]
	s_waitcnt lgkmcnt(0)
	; wave barrier
	s_waitcnt lgkmcnt(0)
	buffer_load_dword v52, off, s[0:3], 0 offset:268
	buffer_load_dword v54, off, s[0:3], 0 offset:276
	;; [unrolled: 1-line block ×48, first 2 shown]
	v_mov_b32_e32 v1, 0
	ds_read2_b64 v[4:7], v1 offset0:97 offset1:98
	ds_read2_b64 v[8:11], v1 offset0:99 offset1:100
	;; [unrolled: 1-line block ×6, first 2 shown]
	v_cmp_lt_u32_e32 vcc, 31, v0
	s_waitcnt vmcnt(47) lgkmcnt(5)
	v_mul_f32_e32 v28, v4, v52
	s_waitcnt vmcnt(46)
	v_mul_f32_e32 v29, v6, v54
	s_waitcnt vmcnt(45) lgkmcnt(4)
	v_mul_f32_e32 v30, v8, v56
	s_waitcnt vmcnt(44)
	v_mul_f32_e32 v31, v10, v74
	;; [unrolled: 4-line block ×6, first 2 shown]
	s_waitcnt vmcnt(35)
	v_fmac_f32_e32 v28, v5, v83
	s_waitcnt vmcnt(34)
	v_fmac_f32_e32 v29, v7, v84
	v_add_f32_e32 v28, 0, v28
	s_waitcnt vmcnt(33)
	v_fmac_f32_e32 v30, v9, v85
	v_add_f32_e32 v28, v28, v29
	;; [unrolled: 3-line block ×8, first 2 shown]
	v_add_f32_e32 v32, v28, v36
	ds_read2_b64 v[28:31], v1 offset0:109 offset1:110
	s_waitcnt vmcnt(26)
	v_fmac_f32_e32 v37, v23, v92
	s_waitcnt vmcnt(25)
	v_fmac_f32_e32 v38, v25, v93
	v_add_f32_e32 v32, v32, v37
	s_waitcnt vmcnt(24)
	v_fmac_f32_e32 v39, v27, v94
	v_add_f32_e32 v32, v32, v38
	v_add_f32_e32 v36, v32, v39
	ds_read2_b64 v[32:35], v1 offset0:111 offset1:112
	s_waitcnt vmcnt(23) lgkmcnt(1)
	v_mul_f32_e32 v37, v28, v95
	s_waitcnt vmcnt(22)
	v_fmac_f32_e32 v37, v29, v96
	v_add_f32_e32 v36, v36, v37
	s_waitcnt vmcnt(21)
	v_mul_f32_e32 v37, v30, v97
	s_waitcnt vmcnt(20)
	v_fmac_f32_e32 v37, v31, v98
	v_add_f32_e32 v36, v36, v37
	s_waitcnt vmcnt(19) lgkmcnt(0)
	v_mul_f32_e32 v37, v32, v99
	s_waitcnt vmcnt(18)
	v_fmac_f32_e32 v37, v33, v100
	v_add_f32_e32 v40, v36, v37
	ds_read2_b64 v[36:39], v1 offset0:113 offset1:114
	s_waitcnt vmcnt(17)
	v_mul_f32_e32 v41, v34, v101
	s_waitcnt vmcnt(16)
	v_fmac_f32_e32 v41, v35, v102
	v_add_f32_e32 v44, v40, v41
	ds_read2_b64 v[40:43], v1 offset0:115 offset1:116
	s_waitcnt vmcnt(15) lgkmcnt(1)
	v_mul_f32_e32 v45, v36, v103
	s_waitcnt vmcnt(14)
	v_fmac_f32_e32 v45, v37, v104
	v_add_f32_e32 v44, v44, v45
	s_waitcnt vmcnt(13)
	v_mul_f32_e32 v45, v38, v105
	s_waitcnt vmcnt(12)
	v_fmac_f32_e32 v45, v39, v106
	v_add_f32_e32 v44, v44, v45
	s_waitcnt vmcnt(11) lgkmcnt(0)
	v_mul_f32_e32 v45, v40, v107
	s_waitcnt vmcnt(10)
	v_fmac_f32_e32 v45, v41, v108
	s_waitcnt vmcnt(9)
	v_mul_f32_e32 v49, v42, v109
	v_add_f32_e32 v48, v44, v45
	s_waitcnt vmcnt(8)
	v_fmac_f32_e32 v49, v43, v110
	ds_read2_b64 v[44:47], v1 offset0:117 offset1:118
	v_add_f32_e32 v53, v48, v49
	ds_read2_b64 v[48:51], v1 offset0:119 offset1:120
	buffer_load_dword v59, off, s[0:3], 0 offset:476
	buffer_load_dword v58, off, s[0:3], 0 offset:472
	;; [unrolled: 1-line block ×16, first 2 shown]
	v_mul_f32_e32 v5, v5, v52
	v_fma_f32 v4, v4, v83, -v5
	v_mul_f32_e32 v5, v7, v54
	v_add_f32_e32 v4, 0, v4
	v_fma_f32 v5, v6, v84, -v5
	v_add_f32_e32 v4, v4, v5
	v_mul_f32_e32 v5, v9, v56
	v_fma_f32 v5, v8, v85, -v5
	v_add_f32_e32 v4, v4, v5
	v_mul_f32_e32 v5, v11, v74
	;; [unrolled: 3-line block ×18, first 2 shown]
	v_fma_f32 v5, v42, v110, -v5
	v_add_f32_e32 v4, v4, v5
	s_waitcnt vmcnt(22) lgkmcnt(1)
	v_mul_f32_e32 v5, v45, v112
	v_mul_f32_e32 v55, v44, v112
	v_fma_f32 v5, v44, v111, -v5
	v_fmac_f32_e32 v55, v45, v111
	v_add_f32_e32 v52, v4, v5
	s_waitcnt vmcnt(19)
	v_mul_f32_e32 v4, v47, v113
	v_add_f32_e32 v53, v53, v55
	v_mul_f32_e32 v55, v46, v113
	s_waitcnt vmcnt(18)
	v_fma_f32 v54, v46, v114, -v4
	s_waitcnt vmcnt(17) lgkmcnt(0)
	v_mul_f32_e32 v4, v49, v115
	s_waitcnt vmcnt(9)
	v_mov_b32_e32 v20, v65
	v_pk_mul_f32 v[20:21], v[50:51], v[20:21] op_sel_hi:[1,0]
	v_fmac_f32_e32 v55, v47, v114
	v_mul_f32_e32 v57, v48, v115
	v_fma_f32 v56, v48, v116, -v4
	ds_read2_b64 v[4:7], v1 offset0:121 offset1:122
	ds_read2_b64 v[8:11], v1 offset0:123 offset1:124
	;; [unrolled: 1-line block ×3, first 2 shown]
	ds_read_b64 v[16:17], v1 offset:1016
	s_waitcnt vmcnt(8)
	v_pk_fma_f32 v[22:23], v[50:51], v[64:65], v[20:21] op_sel:[0,0,1] op_sel_hi:[1,1,0] neg_lo:[0,0,1] neg_hi:[0,0,1]
	v_pk_fma_f32 v[20:21], v[50:51], v[64:65], v[20:21] op_sel:[0,0,1] op_sel_hi:[1,0,0]
	v_fmac_f32_e32 v57, v49, v116
	v_pk_add_f32 v[18:19], v[52:53], v[54:55]
	v_mov_b32_e32 v20, v63
	v_pk_add_f32 v[18:19], v[18:19], v[56:57]
	v_mov_b32_e32 v23, v21
	s_waitcnt lgkmcnt(3)
	v_pk_mul_f32 v[20:21], v[4:5], v[20:21] op_sel_hi:[1,0]
	v_pk_add_f32 v[18:19], v[18:19], v[22:23]
	v_pk_fma_f32 v[22:23], v[4:5], v[62:63], v[20:21] op_sel:[0,0,1] op_sel_hi:[1,1,0] neg_lo:[0,0,1] neg_hi:[0,0,1]
	v_pk_fma_f32 v[4:5], v[4:5], v[62:63], v[20:21] op_sel:[0,0,1] op_sel_hi:[1,0,0]
	v_mov_b32_e32 v23, v5
	v_pk_add_f32 v[4:5], v[18:19], v[22:23]
	v_mov_b32_e32 v18, v61
	v_pk_mul_f32 v[18:19], v[6:7], v[18:19] op_sel_hi:[1,0]
	v_pk_fma_f32 v[20:21], v[6:7], v[60:61], v[18:19] op_sel:[0,0,1] op_sel_hi:[1,1,0] neg_lo:[0,0,1] neg_hi:[0,0,1]
	v_pk_fma_f32 v[6:7], v[6:7], v[60:61], v[18:19] op_sel:[0,0,1] op_sel_hi:[1,0,0]
	v_mov_b32_e32 v6, v59
	v_mov_b32_e32 v21, v7
	s_waitcnt lgkmcnt(2)
	v_pk_mul_f32 v[6:7], v[8:9], v[6:7] op_sel_hi:[1,0]
	v_pk_fma_f32 v[18:19], v[8:9], v[58:59], v[6:7] op_sel:[0,0,1] op_sel_hi:[1,1,0] neg_lo:[0,0,1] neg_hi:[0,0,1]
	v_pk_fma_f32 v[6:7], v[8:9], v[58:59], v[6:7] op_sel:[0,0,1] op_sel_hi:[1,0,0]
	s_waitcnt vmcnt(1)
	v_mov_b32_e32 v6, v73
	v_mov_b32_e32 v19, v7
	v_pk_mul_f32 v[6:7], v[10:11], v[6:7] op_sel_hi:[1,0]
	s_waitcnt vmcnt(0)
	v_pk_fma_f32 v[8:9], v[10:11], v[72:73], v[6:7] op_sel:[0,0,1] op_sel_hi:[1,1,0] neg_lo:[0,0,1] neg_hi:[0,0,1]
	v_pk_fma_f32 v[6:7], v[10:11], v[72:73], v[6:7] op_sel:[0,0,1] op_sel_hi:[1,0,0]
	v_pk_add_f32 v[4:5], v[4:5], v[20:21]
	v_mov_b32_e32 v6, v71
	v_pk_add_f32 v[4:5], v[4:5], v[18:19]
	v_mov_b32_e32 v9, v7
	s_waitcnt lgkmcnt(1)
	v_pk_mul_f32 v[6:7], v[12:13], v[6:7] op_sel_hi:[1,0]
	v_pk_add_f32 v[4:5], v[4:5], v[8:9]
	v_pk_fma_f32 v[8:9], v[12:13], v[70:71], v[6:7] op_sel:[0,0,1] op_sel_hi:[1,1,0] neg_lo:[0,0,1] neg_hi:[0,0,1]
	v_pk_fma_f32 v[6:7], v[12:13], v[70:71], v[6:7] op_sel:[0,0,1] op_sel_hi:[1,0,0]
	v_mov_b32_e32 v6, v69
	v_mov_b32_e32 v9, v7
	v_pk_mul_f32 v[6:7], v[14:15], v[6:7] op_sel_hi:[1,0]
	v_pk_add_f32 v[4:5], v[4:5], v[8:9]
	v_pk_fma_f32 v[8:9], v[14:15], v[68:69], v[6:7] op_sel:[0,0,1] op_sel_hi:[1,1,0] neg_lo:[0,0,1] neg_hi:[0,0,1]
	v_pk_fma_f32 v[6:7], v[14:15], v[68:69], v[6:7] op_sel:[0,0,1] op_sel_hi:[1,0,0]
	v_mov_b32_e32 v6, v67
	v_mov_b32_e32 v9, v7
	s_waitcnt lgkmcnt(0)
	v_pk_mul_f32 v[6:7], v[16:17], v[6:7] op_sel_hi:[1,0]
	v_pk_add_f32 v[4:5], v[4:5], v[8:9]
	v_pk_fma_f32 v[8:9], v[16:17], v[66:67], v[6:7] op_sel:[0,0,1] op_sel_hi:[1,1,0] neg_lo:[0,0,1] neg_hi:[0,0,1]
	v_pk_fma_f32 v[6:7], v[16:17], v[66:67], v[6:7] op_sel:[0,0,1] op_sel_hi:[1,0,0]
	v_mov_b32_e32 v9, v7
	v_pk_add_f32 v[4:5], v[4:5], v[8:9]
	v_pk_add_f32 v[2:3], v[2:3], v[4:5] neg_lo:[0,1] neg_hi:[0,1]
	buffer_store_dword v3, off, s[0:3], 0 offset:260
	buffer_store_dword v2, off, s[0:3], 0 offset:256
	s_and_saveexec_b64 s[4:5], vcc
	s_cbranch_execz .LBB63_335
; %bb.334:
	buffer_load_dword v2, off, s[0:3], 0 offset:248
	buffer_load_dword v3, off, s[0:3], 0 offset:252
	s_waitcnt vmcnt(0)
	ds_write_b64 v223, v[2:3]
	buffer_store_dword v1, off, s[0:3], 0 offset:248
	buffer_store_dword v1, off, s[0:3], 0 offset:252
.LBB63_335:
	s_or_b64 exec, exec, s[4:5]
	s_waitcnt lgkmcnt(0)
	; wave barrier
	s_waitcnt lgkmcnt(0)
	buffer_load_dword v52, off, s[0:3], 0 offset:260
	buffer_load_dword v54, off, s[0:3], 0 offset:268
	;; [unrolled: 1-line block ×48, first 2 shown]
	ds_read_b128 v[4:7], v1 offset:768
	ds_read_b128 v[8:11], v1 offset:784
	;; [unrolled: 1-line block ×6, first 2 shown]
	buffer_load_dword v117, off, s[0:3], 0 offset:440
	buffer_load_dword v118, off, s[0:3], 0 offset:444
	v_cmp_lt_u32_e32 vcc, 30, v0
	s_waitcnt vmcnt(49) lgkmcnt(5)
	v_mul_f32_e32 v28, v4, v52
	s_waitcnt vmcnt(48)
	v_mul_f32_e32 v29, v6, v54
	s_waitcnt vmcnt(47) lgkmcnt(4)
	v_mul_f32_e32 v30, v8, v62
	s_waitcnt vmcnt(46)
	v_mul_f32_e32 v31, v10, v74
	;; [unrolled: 4-line block ×6, first 2 shown]
	s_waitcnt vmcnt(37)
	v_fmac_f32_e32 v28, v5, v83
	s_waitcnt vmcnt(36)
	v_fmac_f32_e32 v29, v7, v84
	v_add_f32_e32 v28, 0, v28
	s_waitcnt vmcnt(35)
	v_fmac_f32_e32 v30, v9, v85
	v_add_f32_e32 v28, v28, v29
	;; [unrolled: 3-line block ×9, first 2 shown]
	v_add_f32_e32 v32, v28, v37
	ds_read_b128 v[28:31], v1 offset:864
	s_waitcnt vmcnt(27)
	v_fmac_f32_e32 v38, v25, v93
	v_add_f32_e32 v32, v32, v38
	s_waitcnt vmcnt(26)
	v_fmac_f32_e32 v39, v27, v94
	v_add_f32_e32 v36, v32, v39
	ds_read_b128 v[32:35], v1 offset:880
	s_waitcnt vmcnt(25) lgkmcnt(1)
	v_mul_f32_e32 v37, v28, v95
	s_waitcnt vmcnt(24)
	v_fmac_f32_e32 v37, v29, v96
	v_add_f32_e32 v36, v36, v37
	s_waitcnt vmcnt(23)
	v_mul_f32_e32 v37, v30, v97
	s_waitcnt vmcnt(22)
	v_fmac_f32_e32 v37, v31, v98
	v_add_f32_e32 v36, v36, v37
	s_waitcnt vmcnt(21) lgkmcnt(0)
	v_mul_f32_e32 v37, v32, v99
	s_waitcnt vmcnt(20)
	v_fmac_f32_e32 v37, v33, v100
	v_add_f32_e32 v40, v36, v37
	ds_read_b128 v[36:39], v1 offset:896
	s_waitcnt vmcnt(19)
	v_mul_f32_e32 v41, v34, v101
	s_waitcnt vmcnt(18)
	v_fmac_f32_e32 v41, v35, v102
	v_add_f32_e32 v44, v40, v41
	ds_read_b128 v[40:43], v1 offset:912
	s_waitcnt vmcnt(17) lgkmcnt(1)
	v_mul_f32_e32 v45, v36, v103
	s_waitcnt vmcnt(16)
	v_fmac_f32_e32 v45, v37, v104
	v_add_f32_e32 v44, v44, v45
	s_waitcnt vmcnt(15)
	v_mul_f32_e32 v45, v38, v105
	s_waitcnt vmcnt(14)
	v_fmac_f32_e32 v45, v39, v106
	v_add_f32_e32 v44, v44, v45
	s_waitcnt vmcnt(13) lgkmcnt(0)
	v_mul_f32_e32 v45, v40, v107
	s_waitcnt vmcnt(12)
	v_fmac_f32_e32 v45, v41, v108
	s_waitcnt vmcnt(11)
	v_mul_f32_e32 v49, v42, v109
	v_add_f32_e32 v48, v44, v45
	s_waitcnt vmcnt(10)
	v_fmac_f32_e32 v49, v43, v110
	ds_read_b128 v[44:47], v1 offset:928
	v_add_f32_e32 v53, v48, v49
	ds_read_b128 v[48:51], v1 offset:944
	buffer_load_dword v57, off, s[0:3], 0 offset:468
	buffer_load_dword v56, off, s[0:3], 0 offset:464
	;; [unrolled: 1-line block ×16, first 2 shown]
	v_mul_f32_e32 v5, v5, v52
	v_fma_f32 v4, v4, v83, -v5
	v_mul_f32_e32 v5, v7, v54
	v_add_f32_e32 v4, 0, v4
	v_fma_f32 v5, v6, v84, -v5
	v_add_f32_e32 v4, v4, v5
	v_mul_f32_e32 v5, v9, v62
	v_fma_f32 v5, v8, v85, -v5
	v_add_f32_e32 v4, v4, v5
	v_mul_f32_e32 v5, v11, v74
	;; [unrolled: 3-line block ×18, first 2 shown]
	v_fma_f32 v5, v42, v110, -v5
	v_add_f32_e32 v4, v4, v5
	s_waitcnt vmcnt(23) lgkmcnt(1)
	v_mul_f32_e32 v5, v45, v111
	s_waitcnt vmcnt(22)
	v_fma_f32 v5, v44, v112, -v5
	v_add_f32_e32 v4, v4, v5
	s_waitcnt vmcnt(20)
	v_mul_f32_e32 v5, v47, v114
	v_mul_f32_e32 v55, v44, v111
	v_fma_f32 v5, v46, v113, -v5
	v_fmac_f32_e32 v55, v45, v112
	v_add_f32_e32 v52, v4, v5
	s_waitcnt vmcnt(18) lgkmcnt(0)
	v_mul_f32_e32 v4, v49, v116
	v_add_f32_e32 v53, v53, v55
	v_mul_f32_e32 v55, v46, v114
	v_fma_f32 v54, v48, v115, -v4
	s_waitcnt vmcnt(16)
	v_mul_f32_e32 v4, v51, v118
	v_fmac_f32_e32 v55, v47, v113
	v_fma_f32 v62, v50, v117, -v4
	ds_read_b128 v[4:7], v1 offset:960
	ds_read_b128 v[8:11], v1 offset:976
	;; [unrolled: 1-line block ×4, first 2 shown]
	v_add_f32_e32 v53, v53, v55
	v_mul_f32_e32 v55, v48, v116
	s_waitcnt vmcnt(11)
	v_mov_b32_e32 v22, v61
	v_fmac_f32_e32 v55, v49, v115
	v_mul_f32_e32 v63, v50, v118
	s_waitcnt lgkmcnt(3)
	v_pk_mul_f32 v[22:23], v[4:5], v[22:23] op_sel_hi:[1,0]
	v_fmac_f32_e32 v63, v51, v117
	v_pk_add_f32 v[20:21], v[52:53], v[54:55]
	s_waitcnt vmcnt(10)
	v_pk_fma_f32 v[24:25], v[4:5], v[60:61], v[22:23] op_sel:[0,0,1] op_sel_hi:[1,1,0] neg_lo:[0,0,1] neg_hi:[0,0,1]
	v_pk_fma_f32 v[4:5], v[4:5], v[60:61], v[22:23] op_sel:[0,0,1] op_sel_hi:[1,0,0]
	v_pk_add_f32 v[20:21], v[20:21], v[62:63]
	v_mov_b32_e32 v25, v5
	v_pk_add_f32 v[4:5], v[20:21], v[24:25]
	v_mov_b32_e32 v20, v59
	v_pk_mul_f32 v[20:21], v[6:7], v[20:21] op_sel_hi:[1,0]
	v_pk_fma_f32 v[22:23], v[6:7], v[58:59], v[20:21] op_sel:[0,0,1] op_sel_hi:[1,1,0] neg_lo:[0,0,1] neg_hi:[0,0,1]
	v_pk_fma_f32 v[6:7], v[6:7], v[58:59], v[20:21] op_sel:[0,0,1] op_sel_hi:[1,0,0]
	v_mov_b32_e32 v6, v57
	v_mov_b32_e32 v23, v7
	s_waitcnt lgkmcnt(2)
	v_pk_mul_f32 v[6:7], v[8:9], v[6:7] op_sel_hi:[1,0]
	v_pk_fma_f32 v[20:21], v[8:9], v[56:57], v[6:7] op_sel:[0,0,1] op_sel_hi:[1,1,0] neg_lo:[0,0,1] neg_hi:[0,0,1]
	v_pk_fma_f32 v[6:7], v[8:9], v[56:57], v[6:7] op_sel:[0,0,1] op_sel_hi:[1,0,0]
	s_waitcnt vmcnt(3)
	v_mov_b32_e32 v6, v71
	v_mov_b32_e32 v21, v7
	v_pk_mul_f32 v[6:7], v[10:11], v[6:7] op_sel_hi:[1,0]
	s_waitcnt vmcnt(2)
	v_pk_fma_f32 v[8:9], v[10:11], v[70:71], v[6:7] op_sel:[0,0,1] op_sel_hi:[1,1,0] neg_lo:[0,0,1] neg_hi:[0,0,1]
	v_pk_fma_f32 v[6:7], v[10:11], v[70:71], v[6:7] op_sel:[0,0,1] op_sel_hi:[1,0,0]
	v_pk_add_f32 v[4:5], v[4:5], v[22:23]
	v_mov_b32_e32 v6, v69
	v_pk_add_f32 v[4:5], v[4:5], v[20:21]
	v_mov_b32_e32 v9, v7
	s_waitcnt lgkmcnt(1)
	v_pk_mul_f32 v[6:7], v[12:13], v[6:7] op_sel_hi:[1,0]
	v_pk_add_f32 v[4:5], v[4:5], v[8:9]
	v_pk_fma_f32 v[8:9], v[12:13], v[68:69], v[6:7] op_sel:[0,0,1] op_sel_hi:[1,1,0] neg_lo:[0,0,1] neg_hi:[0,0,1]
	v_pk_fma_f32 v[6:7], v[12:13], v[68:69], v[6:7] op_sel:[0,0,1] op_sel_hi:[1,0,0]
	v_mov_b32_e32 v6, v67
	v_mov_b32_e32 v9, v7
	v_pk_mul_f32 v[6:7], v[14:15], v[6:7] op_sel_hi:[1,0]
	v_pk_add_f32 v[4:5], v[4:5], v[8:9]
	v_pk_fma_f32 v[8:9], v[14:15], v[66:67], v[6:7] op_sel:[0,0,1] op_sel_hi:[1,1,0] neg_lo:[0,0,1] neg_hi:[0,0,1]
	v_pk_fma_f32 v[6:7], v[14:15], v[66:67], v[6:7] op_sel:[0,0,1] op_sel_hi:[1,0,0]
	v_mov_b32_e32 v6, v65
	v_mov_b32_e32 v9, v7
	s_waitcnt lgkmcnt(0)
	v_pk_mul_f32 v[6:7], v[16:17], v[6:7] op_sel_hi:[1,0]
	v_pk_add_f32 v[4:5], v[4:5], v[8:9]
	v_pk_fma_f32 v[8:9], v[16:17], v[64:65], v[6:7] op_sel:[0,0,1] op_sel_hi:[1,1,0] neg_lo:[0,0,1] neg_hi:[0,0,1]
	v_pk_fma_f32 v[6:7], v[16:17], v[64:65], v[6:7] op_sel:[0,0,1] op_sel_hi:[1,0,0]
	s_waitcnt vmcnt(1)
	v_mov_b32_e32 v6, v73
	v_mov_b32_e32 v9, v7
	v_pk_mul_f32 v[6:7], v[18:19], v[6:7] op_sel_hi:[1,0]
	v_pk_add_f32 v[4:5], v[4:5], v[8:9]
	s_waitcnt vmcnt(0)
	v_pk_fma_f32 v[8:9], v[18:19], v[72:73], v[6:7] op_sel:[0,0,1] op_sel_hi:[1,1,0] neg_lo:[0,0,1] neg_hi:[0,0,1]
	v_pk_fma_f32 v[6:7], v[18:19], v[72:73], v[6:7] op_sel:[0,0,1] op_sel_hi:[1,0,0]
	v_mov_b32_e32 v9, v7
	v_pk_add_f32 v[4:5], v[4:5], v[8:9]
	v_pk_add_f32 v[2:3], v[2:3], v[4:5] neg_lo:[0,1] neg_hi:[0,1]
	buffer_store_dword v3, off, s[0:3], 0 offset:252
	buffer_store_dword v2, off, s[0:3], 0 offset:248
	s_and_saveexec_b64 s[4:5], vcc
	s_cbranch_execz .LBB63_337
; %bb.336:
	buffer_load_dword v2, off, s[0:3], 0 offset:240
	buffer_load_dword v3, off, s[0:3], 0 offset:244
	v_mov_b32_e32 v1, 0
	buffer_store_dword v1, off, s[0:3], 0 offset:240
	buffer_store_dword v1, off, s[0:3], 0 offset:244
	s_waitcnt vmcnt(2)
	ds_write_b64 v223, v[2:3]
.LBB63_337:
	s_or_b64 exec, exec, s[4:5]
	s_waitcnt lgkmcnt(0)
	; wave barrier
	s_waitcnt lgkmcnt(0)
	buffer_load_dword v12, off, s[0:3], 0 offset:252
	buffer_load_dword v14, off, s[0:3], 0 offset:260
	;; [unrolled: 1-line block ×52, first 2 shown]
	v_mov_b32_e32 v1, 0
	ds_read2_b64 v[36:39], v1 offset0:95 offset1:96
	ds_read2_b64 v[40:43], v1 offset0:97 offset1:98
	;; [unrolled: 1-line block ×12, first 2 shown]
	v_cmp_lt_u32_e32 vcc, 29, v0
	s_waitcnt vmcnt(51) lgkmcnt(11)
	v_mul_f32_e32 v2, v36, v12
	s_waitcnt vmcnt(50)
	v_mul_f32_e32 v3, v38, v14
	s_waitcnt vmcnt(49) lgkmcnt(10)
	v_mul_f32_e32 v4, v40, v10
	s_waitcnt vmcnt(48)
	v_mul_f32_e32 v5, v42, v30
	;; [unrolled: 4-line block ×5, first 2 shown]
	s_waitcnt vmcnt(41) lgkmcnt(6)
	v_mul_f32_e32 v17, v56, v85
	s_waitcnt vmcnt(40)
	v_fmac_f32_e32 v2, v37, v86
	s_waitcnt vmcnt(39)
	v_fmac_f32_e32 v3, v39, v87
	v_add_f32_e32 v2, 0, v2
	s_waitcnt vmcnt(38)
	v_fmac_f32_e32 v4, v41, v88
	v_add_f32_e32 v2, v2, v3
	;; [unrolled: 3-line block ×9, first 2 shown]
	v_add_f32_e32 v2, v2, v16
	s_waitcnt vmcnt(30)
	v_fmac_f32_e32 v17, v57, v96
	s_waitcnt vmcnt(29)
	v_mul_f32_e32 v3, v58, v97
	v_add_f32_e32 v2, v2, v17
	s_waitcnt vmcnt(28)
	v_fmac_f32_e32 v3, v59, v98
	v_add_f32_e32 v2, v2, v3
	s_waitcnt vmcnt(27) lgkmcnt(5)
	v_mul_f32_e32 v3, v60, v99
	s_waitcnt vmcnt(26)
	v_fmac_f32_e32 v3, v61, v100
	v_add_f32_e32 v2, v2, v3
	s_waitcnt vmcnt(25)
	v_mul_f32_e32 v3, v62, v101
	s_waitcnt vmcnt(24)
	v_fmac_f32_e32 v3, v63, v102
	v_add_f32_e32 v2, v2, v3
	s_waitcnt vmcnt(23) lgkmcnt(4)
	v_mul_f32_e32 v3, v64, v103
	s_waitcnt vmcnt(22)
	v_fmac_f32_e32 v3, v65, v104
	v_add_f32_e32 v2, v2, v3
	s_waitcnt vmcnt(21)
	v_mul_f32_e32 v3, v66, v105
	;; [unrolled: 10-line block ×4, first 2 shown]
	s_waitcnt vmcnt(10)
	v_fmac_f32_e32 v3, v75, v114
	v_add_f32_e32 v2, v2, v3
	s_waitcnt vmcnt(8) lgkmcnt(1)
	v_mul_f32_e32 v3, v76, v116
	v_fmac_f32_e32 v3, v77, v115
	v_add_f32_e32 v2, v2, v3
	s_waitcnt vmcnt(6)
	v_mul_f32_e32 v3, v78, v118
	v_fmac_f32_e32 v3, v79, v117
	s_waitcnt vmcnt(4) lgkmcnt(0)
	v_mul_f32_e32 v9, v80, v120
	v_add_f32_e32 v8, v2, v3
	v_fmac_f32_e32 v9, v81, v119
	ds_read2_b64 v[2:5], v1 offset0:119 offset1:120
	v_add_f32_e32 v13, v8, v9
	buffer_load_dword v9, off, s[0:3], 0 offset:452
	buffer_load_dword v8, off, s[0:3], 0 offset:448
	;; [unrolled: 1-line block ×16, first 2 shown]
	v_mul_f32_e32 v12, v37, v12
	v_fma_f32 v12, v36, v86, -v12
	v_mul_f32_e32 v14, v39, v14
	v_add_f32_e32 v12, 0, v12
	v_fma_f32 v14, v38, v87, -v14
	v_mul_f32_e32 v10, v41, v10
	v_add_f32_e32 v12, v12, v14
	v_fma_f32 v10, v40, v88, -v10
	v_add_f32_e32 v10, v12, v10
	v_mul_f32_e32 v12, v43, v30
	v_fma_f32 v12, v42, v89, -v12
	v_add_f32_e32 v10, v10, v12
	v_mul_f32_e32 v12, v45, v31
	;; [unrolled: 3-line block ×20, first 2 shown]
	v_fma_f32 v12, v80, v119, -v12
	s_waitcnt vmcnt(18)
	v_mul_f32_e32 v15, v82, v122
	s_waitcnt vmcnt(16) lgkmcnt(0)
	v_mul_f32_e32 v11, v2, v124
	v_add_f32_e32 v12, v10, v12
	v_mul_f32_e32 v10, v83, v122
	v_fmac_f32_e32 v15, v83, v121
	v_fmac_f32_e32 v11, v3, v123
	v_fma_f32 v14, v82, v121, -v10
	v_mul_f32_e32 v3, v3, v124
	v_fma_f32 v10, v2, v123, -v3
	v_pk_add_f32 v[12:13], v[12:13], v[14:15]
	v_pk_add_f32 v[10:11], v[12:13], v[10:11]
	s_waitcnt vmcnt(15)
	v_mov_b32_e32 v12, v9
	ds_read2_b64 v[30:33], v1 offset0:121 offset1:122
	ds_read2_b64 v[34:37], v1 offset0:123 offset1:124
	;; [unrolled: 1-line block ×3, first 2 shown]
	ds_read_b64 v[2:3], v1 offset:1016
	v_pk_mul_f32 v[12:13], v[4:5], v[12:13] op_sel_hi:[1,0]
	s_waitcnt vmcnt(14)
	v_pk_fma_f32 v[14:15], v[4:5], v[8:9], v[12:13] op_sel:[0,0,1] op_sel_hi:[1,1,0] neg_lo:[0,0,1] neg_hi:[0,0,1]
	v_pk_fma_f32 v[4:5], v[4:5], v[8:9], v[12:13] op_sel:[0,0,1] op_sel_hi:[1,0,0]
	s_waitcnt vmcnt(13)
	v_mov_b32_e32 v8, v29
	v_mov_b32_e32 v15, v5
	s_waitcnt lgkmcnt(3)
	v_pk_mul_f32 v[8:9], v[30:31], v[8:9] op_sel_hi:[1,0]
	v_pk_add_f32 v[4:5], v[10:11], v[14:15]
	s_waitcnt vmcnt(12)
	v_pk_fma_f32 v[10:11], v[30:31], v[28:29], v[8:9] op_sel:[0,0,1] op_sel_hi:[1,1,0] neg_lo:[0,0,1] neg_hi:[0,0,1]
	v_pk_fma_f32 v[8:9], v[30:31], v[28:29], v[8:9] op_sel:[0,0,1] op_sel_hi:[1,0,0]
	s_waitcnt vmcnt(11)
	v_mov_b32_e32 v8, v27
	v_mov_b32_e32 v11, v9
	v_pk_mul_f32 v[8:9], v[32:33], v[8:9] op_sel_hi:[1,0]
	v_pk_add_f32 v[4:5], v[4:5], v[10:11]
	s_waitcnt vmcnt(10)
	v_pk_fma_f32 v[10:11], v[32:33], v[26:27], v[8:9] op_sel:[0,0,1] op_sel_hi:[1,1,0] neg_lo:[0,0,1] neg_hi:[0,0,1]
	v_pk_fma_f32 v[8:9], v[32:33], v[26:27], v[8:9] op_sel:[0,0,1] op_sel_hi:[1,0,0]
	s_waitcnt vmcnt(9)
	v_mov_b32_e32 v8, v25
	v_mov_b32_e32 v11, v9
	s_waitcnt lgkmcnt(2)
	v_pk_mul_f32 v[8:9], v[34:35], v[8:9] op_sel_hi:[1,0]
	v_pk_add_f32 v[4:5], v[4:5], v[10:11]
	s_waitcnt vmcnt(8)
	v_pk_fma_f32 v[10:11], v[34:35], v[24:25], v[8:9] op_sel:[0,0,1] op_sel_hi:[1,1,0] neg_lo:[0,0,1] neg_hi:[0,0,1]
	v_pk_fma_f32 v[8:9], v[34:35], v[24:25], v[8:9] op_sel:[0,0,1] op_sel_hi:[1,0,0]
	s_waitcnt vmcnt(7)
	v_mov_b32_e32 v8, v23
	v_mov_b32_e32 v11, v9
	v_pk_mul_f32 v[8:9], v[36:37], v[8:9] op_sel_hi:[1,0]
	v_pk_add_f32 v[4:5], v[4:5], v[10:11]
	;; [unrolled: 17-line block ×3, first 2 shown]
	s_waitcnt vmcnt(2)
	v_pk_fma_f32 v[10:11], v[40:41], v[18:19], v[8:9] op_sel:[0,0,1] op_sel_hi:[1,1,0] neg_lo:[0,0,1] neg_hi:[0,0,1]
	v_pk_fma_f32 v[8:9], v[40:41], v[18:19], v[8:9] op_sel:[0,0,1] op_sel_hi:[1,0,0]
	s_waitcnt vmcnt(1)
	v_mov_b32_e32 v8, v17
	v_mov_b32_e32 v11, v9
	s_waitcnt lgkmcnt(0)
	v_pk_mul_f32 v[8:9], v[2:3], v[8:9] op_sel_hi:[1,0]
	v_pk_add_f32 v[4:5], v[4:5], v[10:11]
	s_waitcnt vmcnt(0)
	v_pk_fma_f32 v[10:11], v[2:3], v[16:17], v[8:9] op_sel:[0,0,1] op_sel_hi:[1,1,0] neg_lo:[0,0,1] neg_hi:[0,0,1]
	v_pk_fma_f32 v[2:3], v[2:3], v[16:17], v[8:9] op_sel:[0,0,1] op_sel_hi:[1,0,0]
	v_mov_b32_e32 v11, v3
	v_pk_add_f32 v[2:3], v[4:5], v[10:11]
	v_pk_add_f32 v[2:3], v[6:7], v[2:3] neg_lo:[0,1] neg_hi:[0,1]
	buffer_store_dword v3, off, s[0:3], 0 offset:244
	buffer_store_dword v2, off, s[0:3], 0 offset:240
	s_and_saveexec_b64 s[4:5], vcc
	s_cbranch_execz .LBB63_339
; %bb.338:
	buffer_load_dword v2, off, s[0:3], 0 offset:232
	buffer_load_dword v3, off, s[0:3], 0 offset:236
	s_waitcnt vmcnt(0)
	ds_write_b64 v223, v[2:3]
	buffer_store_dword v1, off, s[0:3], 0 offset:232
	buffer_store_dword v1, off, s[0:3], 0 offset:236
.LBB63_339:
	s_or_b64 exec, exec, s[4:5]
	s_waitcnt lgkmcnt(0)
	; wave barrier
	s_waitcnt lgkmcnt(0)
	buffer_load_dword v62, off, s[0:3], 0 offset:244
	buffer_load_dword v64, off, s[0:3], 0 offset:252
	;; [unrolled: 1-line block ×42, first 2 shown]
	ds_read_b128 v[4:7], v1 offset:752
	ds_read_b128 v[8:11], v1 offset:768
	buffer_load_dword v119, off, s[0:3], 0 offset:400
	buffer_load_dword v120, off, s[0:3], 0 offset:404
	ds_read_b128 v[12:15], v1 offset:784
	ds_read_b128 v[16:19], v1 offset:800
	buffer_load_dword v121, off, s[0:3], 0 offset:408
	buffer_load_dword v122, off, s[0:3], 0 offset:412
	;; [unrolled: 1-line block ×4, first 2 shown]
	ds_read_b128 v[20:23], v1 offset:816
	ds_read_b128 v[24:27], v1 offset:832
	buffer_load_dword v125, off, s[0:3], 0 offset:424
	buffer_load_dword v126, off, s[0:3], 0 offset:428
	;; [unrolled: 1-line block ×6, first 2 shown]
	v_cmp_lt_u32_e32 vcc, 28, v0
	s_waitcnt vmcnt(53) lgkmcnt(5)
	v_mul_f32_e32 v28, v4, v62
	s_waitcnt vmcnt(52)
	v_mul_f32_e32 v29, v6, v64
	s_waitcnt vmcnt(51) lgkmcnt(4)
	v_mul_f32_e32 v31, v10, v66
	s_waitcnt vmcnt(50) lgkmcnt(3)
	v_mul_f32_e32 v32, v12, v82
	s_waitcnt vmcnt(49)
	v_mul_f32_e32 v33, v14, v83
	s_waitcnt vmcnt(48)
	v_mul_f32_e32 v30, v8, v84
	s_waitcnt vmcnt(47) lgkmcnt(2)
	v_mul_f32_e32 v34, v16, v85
	s_waitcnt vmcnt(46)
	v_mul_f32_e32 v35, v18, v86
	s_waitcnt vmcnt(45) lgkmcnt(1)
	v_mul_f32_e32 v36, v20, v87
	s_waitcnt vmcnt(44)
	v_mul_f32_e32 v37, v22, v88
	s_waitcnt vmcnt(43)
	v_fmac_f32_e32 v30, v9, v89
	s_waitcnt vmcnt(42)
	v_fmac_f32_e32 v29, v7, v90
	;; [unrolled: 2-line block ×3, first 2 shown]
	v_add_f32_e32 v28, 0, v28
	v_add_f32_e32 v28, v28, v29
	;; [unrolled: 1-line block ×3, first 2 shown]
	s_waitcnt vmcnt(37)
	v_fmac_f32_e32 v31, v11, v95
	v_fmac_f32_e32 v32, v13, v94
	v_add_f32_e32 v28, v28, v31
	v_fmac_f32_e32 v33, v15, v93
	v_add_f32_e32 v28, v28, v32
	;; [unrolled: 2-line block ×3, first 2 shown]
	s_waitcnt vmcnt(33)
	v_fmac_f32_e32 v35, v19, v99
	v_add_f32_e32 v28, v28, v34
	v_fmac_f32_e32 v36, v21, v98
	v_add_f32_e32 v28, v28, v35
	;; [unrolled: 2-line block ×3, first 2 shown]
	s_waitcnt vmcnt(32) lgkmcnt(0)
	v_mul_f32_e32 v29, v24, v100
	v_add_f32_e32 v28, v28, v37
	v_fmac_f32_e32 v29, v25, v96
	v_add_f32_e32 v32, v28, v29
	ds_read_b128 v[28:31], v1 offset:848
	s_waitcnt vmcnt(28)
	v_mul_f32_e32 v33, v26, v104
	s_waitcnt vmcnt(27)
	v_fmac_f32_e32 v33, v27, v105
	v_add_f32_e32 v36, v32, v33
	ds_read_b128 v[32:35], v1 offset:864
	s_waitcnt vmcnt(26) lgkmcnt(1)
	v_mul_f32_e32 v37, v28, v106
	v_fmac_f32_e32 v37, v29, v103
	v_add_f32_e32 v36, v36, v37
	s_waitcnt vmcnt(25)
	v_mul_f32_e32 v37, v30, v107
	v_fmac_f32_e32 v37, v31, v102
	v_add_f32_e32 v36, v36, v37
	s_waitcnt vmcnt(24) lgkmcnt(0)
	v_mul_f32_e32 v37, v32, v108
	v_fmac_f32_e32 v37, v33, v101
	v_add_f32_e32 v40, v36, v37
	ds_read_b128 v[36:39], v1 offset:880
	s_waitcnt vmcnt(19)
	v_mul_f32_e32 v41, v34, v113
	s_waitcnt vmcnt(18)
	v_fmac_f32_e32 v41, v35, v114
	v_add_f32_e32 v44, v40, v41
	ds_read_b128 v[40:43], v1 offset:896
	s_waitcnt vmcnt(17) lgkmcnt(1)
	v_mul_f32_e32 v45, v36, v115
	v_fmac_f32_e32 v45, v37, v112
	v_add_f32_e32 v44, v44, v45
	v_mul_f32_e32 v45, v38, v110
	v_fmac_f32_e32 v45, v39, v109
	v_add_f32_e32 v44, v44, v45
	s_waitcnt vmcnt(16) lgkmcnt(0)
	v_mul_f32_e32 v45, v40, v116
	v_fmac_f32_e32 v45, v41, v111
	v_add_f32_e32 v48, v44, v45
	ds_read_b128 v[44:47], v1 offset:912
	s_waitcnt vmcnt(12)
	v_mul_f32_e32 v49, v42, v118
	v_fmac_f32_e32 v49, v43, v117
	v_add_f32_e32 v52, v48, v49
	ds_read_b128 v[48:51], v1 offset:928
	buffer_load_dword v61, off, s[0:3], 0 offset:452
	buffer_load_dword v60, off, s[0:3], 0 offset:448
	s_waitcnt vmcnt(12) lgkmcnt(1)
	v_mul_f32_e32 v53, v44, v120
	v_fmac_f32_e32 v53, v45, v119
	v_add_f32_e32 v52, v52, v53
	s_waitcnt vmcnt(10)
	v_mul_f32_e32 v53, v46, v122
	v_fmac_f32_e32 v53, v47, v121
	v_add_f32_e32 v52, v52, v53
	s_waitcnt vmcnt(8) lgkmcnt(0)
	v_mul_f32_e32 v53, v48, v124
	v_fmac_f32_e32 v53, v49, v123
	s_waitcnt vmcnt(6)
	v_mul_f32_e32 v57, v50, v126
	v_add_f32_e32 v56, v52, v53
	v_fmac_f32_e32 v57, v51, v125
	ds_read_b128 v[52:55], v1 offset:944
	v_add_f32_e32 v63, v56, v57
	ds_read_b128 v[56:59], v1 offset:960
	buffer_load_dword v69, off, s[0:3], 0 offset:484
	buffer_load_dword v68, off, s[0:3], 0 offset:480
	;; [unrolled: 1-line block ×14, first 2 shown]
	v_mul_f32_e32 v5, v5, v62
	v_fma_f32 v4, v4, v91, -v5
	v_mul_f32_e32 v5, v7, v64
	v_add_f32_e32 v4, 0, v4
	v_fma_f32 v5, v6, v90, -v5
	v_add_f32_e32 v4, v4, v5
	v_mul_f32_e32 v5, v9, v84
	v_fma_f32 v5, v8, v89, -v5
	v_add_f32_e32 v4, v4, v5
	v_mul_f32_e32 v5, v11, v66
	;; [unrolled: 3-line block ×22, first 2 shown]
	v_fma_f32 v5, v50, v125, -v5
	s_waitcnt vmcnt(15)
	v_mov_b32_e32 v18, v61
	s_waitcnt lgkmcnt(1)
	v_mul_f32_e32 v65, v52, v128
	v_add_f32_e32 v62, v4, v5
	v_mul_f32_e32 v4, v53, v128
	s_waitcnt lgkmcnt(0)
	v_pk_mul_f32 v[18:19], v[56:57], v[18:19] op_sel_hi:[1,0]
	v_fmac_f32_e32 v65, v53, v127
	v_mul_f32_e32 v67, v54, v130
	v_fma_f32 v64, v52, v127, -v4
	v_mul_f32_e32 v4, v55, v130
	s_waitcnt vmcnt(14)
	v_pk_fma_f32 v[20:21], v[56:57], v[60:61], v[18:19] op_sel:[0,0,1] op_sel_hi:[1,1,0] neg_lo:[0,0,1] neg_hi:[0,0,1]
	v_pk_fma_f32 v[18:19], v[56:57], v[60:61], v[18:19] op_sel:[0,0,1] op_sel_hi:[1,0,0]
	v_fmac_f32_e32 v67, v55, v129
	v_fma_f32 v66, v54, v129, -v4
	v_pk_add_f32 v[16:17], v[62:63], v[64:65]
	s_waitcnt vmcnt(7)
	v_mov_b32_e32 v18, v75
	ds_read_b128 v[4:7], v1 offset:976
	ds_read_b128 v[8:11], v1 offset:992
	;; [unrolled: 1-line block ×3, first 2 shown]
	v_pk_add_f32 v[16:17], v[16:17], v[66:67]
	v_mov_b32_e32 v21, v19
	v_pk_mul_f32 v[18:19], v[58:59], v[18:19] op_sel_hi:[1,0]
	v_pk_add_f32 v[16:17], v[16:17], v[20:21]
	s_waitcnt vmcnt(6)
	v_pk_fma_f32 v[20:21], v[58:59], v[74:75], v[18:19] op_sel:[0,0,1] op_sel_hi:[1,1,0] neg_lo:[0,0,1] neg_hi:[0,0,1]
	v_pk_fma_f32 v[18:19], v[58:59], v[74:75], v[18:19] op_sel:[0,0,1] op_sel_hi:[1,0,0]
	v_mov_b32_e32 v18, v73
	v_mov_b32_e32 v21, v19
	s_waitcnt lgkmcnt(2)
	v_pk_mul_f32 v[18:19], v[4:5], v[18:19] op_sel_hi:[1,0]
	v_pk_add_f32 v[16:17], v[16:17], v[20:21]
	v_pk_fma_f32 v[20:21], v[4:5], v[72:73], v[18:19] op_sel:[0,0,1] op_sel_hi:[1,1,0] neg_lo:[0,0,1] neg_hi:[0,0,1]
	v_pk_fma_f32 v[4:5], v[4:5], v[72:73], v[18:19] op_sel:[0,0,1] op_sel_hi:[1,0,0]
	v_mov_b32_e32 v21, v5
	v_pk_add_f32 v[4:5], v[16:17], v[20:21]
	v_mov_b32_e32 v16, v71
	v_pk_mul_f32 v[16:17], v[6:7], v[16:17] op_sel_hi:[1,0]
	v_pk_fma_f32 v[18:19], v[6:7], v[70:71], v[16:17] op_sel:[0,0,1] op_sel_hi:[1,1,0] neg_lo:[0,0,1] neg_hi:[0,0,1]
	v_pk_fma_f32 v[6:7], v[6:7], v[70:71], v[16:17] op_sel:[0,0,1] op_sel_hi:[1,0,0]
	v_mov_b32_e32 v6, v69
	v_mov_b32_e32 v19, v7
	s_waitcnt lgkmcnt(1)
	v_pk_mul_f32 v[6:7], v[8:9], v[6:7] op_sel_hi:[1,0]
	v_pk_fma_f32 v[16:17], v[8:9], v[68:69], v[6:7] op_sel:[0,0,1] op_sel_hi:[1,1,0] neg_lo:[0,0,1] neg_hi:[0,0,1]
	v_pk_fma_f32 v[6:7], v[8:9], v[68:69], v[6:7] op_sel:[0,0,1] op_sel_hi:[1,0,0]
	s_waitcnt vmcnt(1)
	v_mov_b32_e32 v6, v81
	v_mov_b32_e32 v17, v7
	v_pk_mul_f32 v[6:7], v[10:11], v[6:7] op_sel_hi:[1,0]
	s_waitcnt vmcnt(0)
	v_pk_fma_f32 v[8:9], v[10:11], v[80:81], v[6:7] op_sel:[0,0,1] op_sel_hi:[1,1,0] neg_lo:[0,0,1] neg_hi:[0,0,1]
	v_pk_fma_f32 v[6:7], v[10:11], v[80:81], v[6:7] op_sel:[0,0,1] op_sel_hi:[1,0,0]
	v_pk_add_f32 v[4:5], v[4:5], v[18:19]
	v_mov_b32_e32 v6, v79
	v_pk_add_f32 v[4:5], v[4:5], v[16:17]
	v_mov_b32_e32 v9, v7
	s_waitcnt lgkmcnt(0)
	v_pk_mul_f32 v[6:7], v[12:13], v[6:7] op_sel_hi:[1,0]
	v_pk_add_f32 v[4:5], v[4:5], v[8:9]
	v_pk_fma_f32 v[8:9], v[12:13], v[78:79], v[6:7] op_sel:[0,0,1] op_sel_hi:[1,1,0] neg_lo:[0,0,1] neg_hi:[0,0,1]
	v_pk_fma_f32 v[6:7], v[12:13], v[78:79], v[6:7] op_sel:[0,0,1] op_sel_hi:[1,0,0]
	v_mov_b32_e32 v6, v77
	v_mov_b32_e32 v9, v7
	v_pk_mul_f32 v[6:7], v[14:15], v[6:7] op_sel_hi:[1,0]
	v_pk_add_f32 v[4:5], v[4:5], v[8:9]
	v_pk_fma_f32 v[8:9], v[14:15], v[76:77], v[6:7] op_sel:[0,0,1] op_sel_hi:[1,1,0] neg_lo:[0,0,1] neg_hi:[0,0,1]
	v_pk_fma_f32 v[6:7], v[14:15], v[76:77], v[6:7] op_sel:[0,0,1] op_sel_hi:[1,0,0]
	v_mov_b32_e32 v9, v7
	v_pk_add_f32 v[4:5], v[4:5], v[8:9]
	v_pk_add_f32 v[2:3], v[2:3], v[4:5] neg_lo:[0,1] neg_hi:[0,1]
	buffer_store_dword v3, off, s[0:3], 0 offset:236
	buffer_store_dword v2, off, s[0:3], 0 offset:232
	s_and_saveexec_b64 s[4:5], vcc
	s_cbranch_execz .LBB63_341
; %bb.340:
	buffer_load_dword v2, off, s[0:3], 0 offset:224
	buffer_load_dword v3, off, s[0:3], 0 offset:228
	v_mov_b32_e32 v1, 0
	buffer_store_dword v1, off, s[0:3], 0 offset:224
	buffer_store_dword v1, off, s[0:3], 0 offset:228
	s_waitcnt vmcnt(2)
	ds_write_b64 v223, v[2:3]
.LBB63_341:
	s_or_b64 exec, exec, s[4:5]
	s_waitcnt lgkmcnt(0)
	; wave barrier
	s_waitcnt lgkmcnt(0)
	buffer_load_dword v60, off, s[0:3], 0 offset:236
	buffer_load_dword v62, off, s[0:3], 0 offset:244
	;; [unrolled: 1-line block ×56, first 2 shown]
	v_mov_b32_e32 v1, 0
	ds_read2_b64 v[4:7], v1 offset0:93 offset1:94
	ds_read2_b64 v[8:11], v1 offset0:95 offset1:96
	ds_read2_b64 v[12:15], v1 offset0:97 offset1:98
	ds_read2_b64 v[16:19], v1 offset0:99 offset1:100
	ds_read2_b64 v[20:23], v1 offset0:101 offset1:102
	ds_read2_b64 v[24:27], v1 offset0:103 offset1:104
	v_cmp_lt_u32_e32 vcc, 27, v0
	s_waitcnt vmcnt(55) lgkmcnt(5)
	v_mul_f32_e32 v28, v4, v60
	s_waitcnt vmcnt(54)
	v_mul_f32_e32 v29, v6, v62
	s_waitcnt vmcnt(53) lgkmcnt(4)
	v_mul_f32_e32 v31, v10, v64
	s_waitcnt vmcnt(52) lgkmcnt(3)
	v_mul_f32_e32 v32, v12, v82
	s_waitcnt vmcnt(51)
	v_mul_f32_e32 v33, v14, v83
	s_waitcnt vmcnt(50)
	v_mul_f32_e32 v30, v8, v84
	s_waitcnt vmcnt(49) lgkmcnt(2)
	v_mul_f32_e32 v34, v16, v85
	s_waitcnt vmcnt(48)
	v_mul_f32_e32 v35, v18, v86
	s_waitcnt vmcnt(47) lgkmcnt(1)
	v_mul_f32_e32 v36, v20, v87
	s_waitcnt vmcnt(46)
	v_fmac_f32_e32 v30, v9, v88
	s_waitcnt vmcnt(45)
	v_fmac_f32_e32 v29, v7, v89
	;; [unrolled: 2-line block ×3, first 2 shown]
	v_add_f32_e32 v28, 0, v28
	v_add_f32_e32 v28, v28, v29
	;; [unrolled: 1-line block ×3, first 2 shown]
	s_waitcnt vmcnt(40)
	v_fmac_f32_e32 v31, v11, v94
	v_fmac_f32_e32 v32, v13, v93
	v_add_f32_e32 v28, v28, v31
	v_fmac_f32_e32 v33, v15, v92
	v_add_f32_e32 v28, v28, v32
	;; [unrolled: 2-line block ×3, first 2 shown]
	s_waitcnt vmcnt(36)
	v_fmac_f32_e32 v35, v19, v98
	v_add_f32_e32 v28, v28, v34
	v_add_f32_e32 v28, v28, v35
	v_fmac_f32_e32 v36, v21, v97
	s_waitcnt vmcnt(35)
	v_mul_f32_e32 v29, v22, v99
	v_add_f32_e32 v28, v28, v36
	v_fmac_f32_e32 v29, v23, v96
	v_add_f32_e32 v28, v28, v29
	s_waitcnt vmcnt(34) lgkmcnt(0)
	v_mul_f32_e32 v29, v24, v100
	v_fmac_f32_e32 v29, v25, v95
	v_add_f32_e32 v32, v28, v29
	ds_read2_b64 v[28:31], v1 offset0:105 offset1:106
	s_waitcnt vmcnt(30)
	v_mul_f32_e32 v33, v26, v104
	s_waitcnt vmcnt(29)
	v_fmac_f32_e32 v33, v27, v105
	v_add_f32_e32 v36, v32, v33
	ds_read2_b64 v[32:35], v1 offset0:107 offset1:108
	s_waitcnt vmcnt(28) lgkmcnt(1)
	v_mul_f32_e32 v37, v28, v106
	v_fmac_f32_e32 v37, v29, v103
	v_add_f32_e32 v36, v36, v37
	s_waitcnt vmcnt(27)
	v_mul_f32_e32 v37, v30, v107
	v_fmac_f32_e32 v37, v31, v102
	v_add_f32_e32 v36, v36, v37
	s_waitcnt vmcnt(26) lgkmcnt(0)
	v_mul_f32_e32 v37, v32, v108
	v_fmac_f32_e32 v37, v33, v101
	v_add_f32_e32 v40, v36, v37
	ds_read2_b64 v[36:39], v1 offset0:109 offset1:110
	s_waitcnt vmcnt(24)
	v_mul_f32_e32 v41, v34, v110
	v_fmac_f32_e32 v41, v35, v109
	v_add_f32_e32 v44, v40, v41
	ds_read2_b64 v[40:43], v1 offset0:111 offset1:112
	s_waitcnt vmcnt(20) lgkmcnt(1)
	v_mul_f32_e32 v45, v36, v112
	v_fmac_f32_e32 v45, v37, v111
	v_add_f32_e32 v44, v44, v45
	s_waitcnt vmcnt(18)
	v_mul_f32_e32 v45, v38, v114
	v_fmac_f32_e32 v45, v39, v113
	v_add_f32_e32 v44, v44, v45
	s_waitcnt vmcnt(16) lgkmcnt(0)
	v_mul_f32_e32 v45, v40, v116
	v_fmac_f32_e32 v45, v41, v115
	v_add_f32_e32 v48, v44, v45
	ds_read2_b64 v[44:47], v1 offset0:113 offset1:114
	s_waitcnt vmcnt(14)
	v_mul_f32_e32 v49, v42, v118
	v_fmac_f32_e32 v49, v43, v117
	v_add_f32_e32 v52, v48, v49
	ds_read2_b64 v[48:51], v1 offset0:115 offset1:116
	s_waitcnt vmcnt(12) lgkmcnt(1)
	v_mul_f32_e32 v53, v44, v120
	v_fmac_f32_e32 v53, v45, v119
	v_add_f32_e32 v52, v52, v53
	s_waitcnt vmcnt(10)
	v_mul_f32_e32 v53, v46, v122
	v_fmac_f32_e32 v53, v47, v121
	v_add_f32_e32 v52, v52, v53
	s_waitcnt vmcnt(8) lgkmcnt(0)
	v_mul_f32_e32 v53, v48, v124
	v_fmac_f32_e32 v53, v49, v123
	s_waitcnt vmcnt(6)
	v_mul_f32_e32 v57, v50, v126
	v_add_f32_e32 v56, v52, v53
	v_fmac_f32_e32 v57, v51, v125
	ds_read2_b64 v[52:55], v1 offset0:117 offset1:118
	v_add_f32_e32 v61, v56, v57
	ds_read2_b64 v[56:59], v1 offset0:119 offset1:120
	buffer_load_dword v67, off, s[0:3], 0 offset:476
	buffer_load_dword v66, off, s[0:3], 0 offset:472
	;; [unrolled: 1-line block ×16, first 2 shown]
	v_mul_f32_e32 v5, v5, v60
	v_fma_f32 v4, v4, v90, -v5
	v_mul_f32_e32 v5, v7, v62
	v_add_f32_e32 v4, 0, v4
	v_fma_f32 v5, v6, v89, -v5
	v_add_f32_e32 v4, v4, v5
	v_mul_f32_e32 v5, v9, v84
	v_fma_f32 v5, v8, v88, -v5
	v_add_f32_e32 v4, v4, v5
	v_mul_f32_e32 v5, v11, v64
	;; [unrolled: 3-line block ×22, first 2 shown]
	v_fma_f32 v5, v50, v125, -v5
	v_add_f32_e32 v4, v4, v5
	s_waitcnt vmcnt(20) lgkmcnt(1)
	v_mul_f32_e32 v5, v53, v128
	v_mul_f32_e32 v63, v52, v128
	v_fma_f32 v5, v52, v127, -v5
	v_fmac_f32_e32 v63, v53, v127
	v_add_f32_e32 v60, v4, v5
	s_waitcnt vmcnt(18)
	v_mul_f32_e32 v4, v55, v130
	s_waitcnt vmcnt(9)
	v_mov_b32_e32 v20, v73
	v_add_f32_e32 v61, v61, v63
	v_mul_f32_e32 v63, v54, v130
	v_fma_f32 v62, v54, v129, -v4
	s_waitcnt lgkmcnt(0)
	v_mul_f32_e32 v4, v57, v132
	v_pk_mul_f32 v[20:21], v[58:59], v[20:21] op_sel_hi:[1,0]
	v_fmac_f32_e32 v63, v55, v129
	v_mul_f32_e32 v65, v56, v132
	v_fma_f32 v64, v56, v131, -v4
	ds_read2_b64 v[4:7], v1 offset0:121 offset1:122
	ds_read2_b64 v[8:11], v1 offset0:123 offset1:124
	;; [unrolled: 1-line block ×3, first 2 shown]
	ds_read_b64 v[16:17], v1 offset:1016
	s_waitcnt vmcnt(8)
	v_pk_fma_f32 v[22:23], v[58:59], v[72:73], v[20:21] op_sel:[0,0,1] op_sel_hi:[1,1,0] neg_lo:[0,0,1] neg_hi:[0,0,1]
	v_pk_fma_f32 v[20:21], v[58:59], v[72:73], v[20:21] op_sel:[0,0,1] op_sel_hi:[1,0,0]
	v_fmac_f32_e32 v65, v57, v131
	v_pk_add_f32 v[18:19], v[60:61], v[62:63]
	v_mov_b32_e32 v20, v71
	v_pk_add_f32 v[18:19], v[18:19], v[64:65]
	v_mov_b32_e32 v23, v21
	s_waitcnt lgkmcnt(3)
	v_pk_mul_f32 v[20:21], v[4:5], v[20:21] op_sel_hi:[1,0]
	v_pk_add_f32 v[18:19], v[18:19], v[22:23]
	v_pk_fma_f32 v[22:23], v[4:5], v[70:71], v[20:21] op_sel:[0,0,1] op_sel_hi:[1,1,0] neg_lo:[0,0,1] neg_hi:[0,0,1]
	v_pk_fma_f32 v[4:5], v[4:5], v[70:71], v[20:21] op_sel:[0,0,1] op_sel_hi:[1,0,0]
	v_mov_b32_e32 v23, v5
	v_pk_add_f32 v[4:5], v[18:19], v[22:23]
	v_mov_b32_e32 v18, v69
	v_pk_mul_f32 v[18:19], v[6:7], v[18:19] op_sel_hi:[1,0]
	v_pk_fma_f32 v[20:21], v[6:7], v[68:69], v[18:19] op_sel:[0,0,1] op_sel_hi:[1,1,0] neg_lo:[0,0,1] neg_hi:[0,0,1]
	v_pk_fma_f32 v[6:7], v[6:7], v[68:69], v[18:19] op_sel:[0,0,1] op_sel_hi:[1,0,0]
	v_mov_b32_e32 v6, v67
	v_mov_b32_e32 v21, v7
	s_waitcnt lgkmcnt(2)
	v_pk_mul_f32 v[6:7], v[8:9], v[6:7] op_sel_hi:[1,0]
	v_pk_fma_f32 v[18:19], v[8:9], v[66:67], v[6:7] op_sel:[0,0,1] op_sel_hi:[1,1,0] neg_lo:[0,0,1] neg_hi:[0,0,1]
	v_pk_fma_f32 v[6:7], v[8:9], v[66:67], v[6:7] op_sel:[0,0,1] op_sel_hi:[1,0,0]
	s_waitcnt vmcnt(1)
	v_mov_b32_e32 v6, v81
	v_mov_b32_e32 v19, v7
	v_pk_mul_f32 v[6:7], v[10:11], v[6:7] op_sel_hi:[1,0]
	s_waitcnt vmcnt(0)
	v_pk_fma_f32 v[8:9], v[10:11], v[80:81], v[6:7] op_sel:[0,0,1] op_sel_hi:[1,1,0] neg_lo:[0,0,1] neg_hi:[0,0,1]
	v_pk_fma_f32 v[6:7], v[10:11], v[80:81], v[6:7] op_sel:[0,0,1] op_sel_hi:[1,0,0]
	v_pk_add_f32 v[4:5], v[4:5], v[20:21]
	v_mov_b32_e32 v6, v79
	v_pk_add_f32 v[4:5], v[4:5], v[18:19]
	v_mov_b32_e32 v9, v7
	s_waitcnt lgkmcnt(1)
	v_pk_mul_f32 v[6:7], v[12:13], v[6:7] op_sel_hi:[1,0]
	v_pk_add_f32 v[4:5], v[4:5], v[8:9]
	v_pk_fma_f32 v[8:9], v[12:13], v[78:79], v[6:7] op_sel:[0,0,1] op_sel_hi:[1,1,0] neg_lo:[0,0,1] neg_hi:[0,0,1]
	v_pk_fma_f32 v[6:7], v[12:13], v[78:79], v[6:7] op_sel:[0,0,1] op_sel_hi:[1,0,0]
	v_mov_b32_e32 v6, v77
	v_mov_b32_e32 v9, v7
	v_pk_mul_f32 v[6:7], v[14:15], v[6:7] op_sel_hi:[1,0]
	v_pk_add_f32 v[4:5], v[4:5], v[8:9]
	v_pk_fma_f32 v[8:9], v[14:15], v[76:77], v[6:7] op_sel:[0,0,1] op_sel_hi:[1,1,0] neg_lo:[0,0,1] neg_hi:[0,0,1]
	v_pk_fma_f32 v[6:7], v[14:15], v[76:77], v[6:7] op_sel:[0,0,1] op_sel_hi:[1,0,0]
	v_mov_b32_e32 v6, v75
	v_mov_b32_e32 v9, v7
	s_waitcnt lgkmcnt(0)
	v_pk_mul_f32 v[6:7], v[16:17], v[6:7] op_sel_hi:[1,0]
	v_pk_add_f32 v[4:5], v[4:5], v[8:9]
	v_pk_fma_f32 v[8:9], v[16:17], v[74:75], v[6:7] op_sel:[0,0,1] op_sel_hi:[1,1,0] neg_lo:[0,0,1] neg_hi:[0,0,1]
	v_pk_fma_f32 v[6:7], v[16:17], v[74:75], v[6:7] op_sel:[0,0,1] op_sel_hi:[1,0,0]
	v_mov_b32_e32 v9, v7
	v_pk_add_f32 v[4:5], v[4:5], v[8:9]
	v_pk_add_f32 v[2:3], v[2:3], v[4:5] neg_lo:[0,1] neg_hi:[0,1]
	buffer_store_dword v3, off, s[0:3], 0 offset:228
	buffer_store_dword v2, off, s[0:3], 0 offset:224
	s_and_saveexec_b64 s[4:5], vcc
	s_cbranch_execz .LBB63_343
; %bb.342:
	buffer_load_dword v2, off, s[0:3], 0 offset:216
	buffer_load_dword v3, off, s[0:3], 0 offset:220
	s_waitcnt vmcnt(0)
	ds_write_b64 v223, v[2:3]
	buffer_store_dword v1, off, s[0:3], 0 offset:216
	buffer_store_dword v1, off, s[0:3], 0 offset:220
.LBB63_343:
	s_or_b64 exec, exec, s[4:5]
	s_waitcnt lgkmcnt(0)
	; wave barrier
	s_waitcnt lgkmcnt(0)
	buffer_load_dword v60, off, s[0:3], 0 offset:228
	buffer_load_dword v62, off, s[0:3], 0 offset:236
	;; [unrolled: 1-line block ×40, first 2 shown]
	ds_read_b128 v[4:7], v1 offset:736
	ds_read_b128 v[8:11], v1 offset:752
	ds_read_b128 v[12:15], v1 offset:768
	ds_read_b128 v[16:19], v1 offset:784
	buffer_load_dword v117, off, s[0:3], 0 offset:376
	buffer_load_dword v118, off, s[0:3], 0 offset:380
	ds_read_b128 v[20:23], v1 offset:800
	ds_read_b128 v[24:27], v1 offset:816
	buffer_load_dword v119, off, s[0:3], 0 offset:384
	buffer_load_dword v120, off, s[0:3], 0 offset:388
	;; [unrolled: 1-line block ×16, first 2 shown]
	v_cmp_lt_u32_e32 vcc, 26, v0
	s_waitcnt vmcnt(57) lgkmcnt(5)
	v_mul_f32_e32 v28, v4, v60
	s_waitcnt vmcnt(56)
	v_mul_f32_e32 v29, v6, v62
	s_waitcnt vmcnt(55) lgkmcnt(4)
	v_mul_f32_e32 v31, v10, v70
	s_waitcnt vmcnt(54) lgkmcnt(3)
	v_mul_f32_e32 v32, v12, v82
	s_waitcnt vmcnt(53)
	v_mul_f32_e32 v33, v14, v83
	s_waitcnt vmcnt(52)
	v_mul_f32_e32 v30, v8, v84
	s_waitcnt vmcnt(51) lgkmcnt(2)
	v_mul_f32_e32 v34, v16, v85
	s_waitcnt vmcnt(50)
	v_mul_f32_e32 v35, v18, v86
	s_waitcnt vmcnt(49)
	v_fmac_f32_e32 v30, v9, v87
	s_waitcnt vmcnt(48)
	v_fmac_f32_e32 v29, v7, v88
	;; [unrolled: 2-line block ×3, first 2 shown]
	v_add_f32_e32 v28, 0, v28
	v_add_f32_e32 v28, v28, v29
	;; [unrolled: 1-line block ×3, first 2 shown]
	s_waitcnt vmcnt(43)
	v_fmac_f32_e32 v31, v11, v93
	v_fmac_f32_e32 v32, v13, v92
	v_add_f32_e32 v28, v28, v31
	v_fmac_f32_e32 v33, v15, v91
	v_add_f32_e32 v28, v28, v32
	;; [unrolled: 2-line block ×3, first 2 shown]
	s_waitcnt vmcnt(39)
	v_fmac_f32_e32 v35, v19, v97
	v_add_f32_e32 v28, v28, v34
	s_waitcnt vmcnt(38) lgkmcnt(1)
	v_mul_f32_e32 v29, v20, v98
	v_add_f32_e32 v28, v28, v35
	v_fmac_f32_e32 v29, v21, v96
	v_add_f32_e32 v28, v28, v29
	s_waitcnt vmcnt(37)
	v_mul_f32_e32 v29, v22, v99
	v_fmac_f32_e32 v29, v23, v95
	v_add_f32_e32 v28, v28, v29
	s_waitcnt vmcnt(36) lgkmcnt(0)
	v_mul_f32_e32 v29, v24, v100
	v_fmac_f32_e32 v29, v25, v94
	v_add_f32_e32 v32, v28, v29
	ds_read_b128 v[28:31], v1 offset:832
	s_waitcnt vmcnt(32)
	v_mul_f32_e32 v33, v26, v104
	s_waitcnt vmcnt(31)
	v_fmac_f32_e32 v33, v27, v105
	v_add_f32_e32 v36, v32, v33
	ds_read_b128 v[32:35], v1 offset:848
	s_waitcnt vmcnt(30) lgkmcnt(1)
	v_mul_f32_e32 v37, v28, v106
	v_fmac_f32_e32 v37, v29, v103
	v_add_f32_e32 v36, v36, v37
	s_waitcnt vmcnt(29)
	v_mul_f32_e32 v37, v30, v107
	v_fmac_f32_e32 v37, v31, v102
	v_add_f32_e32 v36, v36, v37
	s_waitcnt vmcnt(28) lgkmcnt(0)
	v_mul_f32_e32 v37, v32, v108
	v_fmac_f32_e32 v37, v33, v101
	v_add_f32_e32 v40, v36, v37
	ds_read_b128 v[36:39], v1 offset:864
	s_waitcnt vmcnt(21)
	v_mul_f32_e32 v41, v34, v115
	s_waitcnt vmcnt(20)
	v_fmac_f32_e32 v41, v35, v116
	v_add_f32_e32 v44, v40, v41
	ds_read_b128 v[40:43], v1 offset:880
	s_waitcnt lgkmcnt(1)
	v_mul_f32_e32 v45, v36, v110
	v_fmac_f32_e32 v45, v37, v109
	v_add_f32_e32 v44, v44, v45
	v_mul_f32_e32 v45, v38, v112
	v_fmac_f32_e32 v45, v39, v111
	v_add_f32_e32 v44, v44, v45
	s_waitcnt lgkmcnt(0)
	v_mul_f32_e32 v45, v40, v114
	v_fmac_f32_e32 v45, v41, v113
	v_add_f32_e32 v48, v44, v45
	ds_read_b128 v[44:47], v1 offset:896
	s_waitcnt vmcnt(16)
	v_mul_f32_e32 v49, v42, v118
	v_fmac_f32_e32 v49, v43, v117
	v_add_f32_e32 v52, v48, v49
	ds_read_b128 v[48:51], v1 offset:912
	s_waitcnt vmcnt(14) lgkmcnt(1)
	v_mul_f32_e32 v53, v44, v120
	v_fmac_f32_e32 v53, v45, v119
	v_add_f32_e32 v52, v52, v53
	s_waitcnt vmcnt(12)
	v_mul_f32_e32 v53, v46, v122
	v_fmac_f32_e32 v53, v47, v121
	v_add_f32_e32 v52, v52, v53
	s_waitcnt vmcnt(10) lgkmcnt(0)
	v_mul_f32_e32 v53, v48, v124
	v_fmac_f32_e32 v53, v49, v123
	s_waitcnt vmcnt(8)
	v_mul_f32_e32 v57, v50, v126
	v_add_f32_e32 v56, v52, v53
	v_fmac_f32_e32 v57, v51, v125
	ds_read_b128 v[52:55], v1 offset:928
	v_add_f32_e32 v61, v56, v57
	ds_read_b128 v[56:59], v1 offset:944
	buffer_load_dword v65, off, s[0:3], 0 offset:468
	buffer_load_dword v64, off, s[0:3], 0 offset:464
	;; [unrolled: 1-line block ×16, first 2 shown]
	v_mul_f32_e32 v5, v5, v60
	v_fma_f32 v4, v4, v89, -v5
	v_mul_f32_e32 v5, v7, v62
	v_add_f32_e32 v4, 0, v4
	v_fma_f32 v5, v6, v88, -v5
	v_add_f32_e32 v4, v4, v5
	v_mul_f32_e32 v5, v9, v84
	v_fma_f32 v5, v8, v87, -v5
	v_add_f32_e32 v4, v4, v5
	v_mul_f32_e32 v5, v11, v70
	;; [unrolled: 3-line block ×22, first 2 shown]
	v_fma_f32 v5, v50, v125, -v5
	v_add_f32_e32 v4, v4, v5
	s_waitcnt vmcnt(22) lgkmcnt(1)
	v_mul_f32_e32 v5, v53, v128
	v_fma_f32 v5, v52, v127, -v5
	v_add_f32_e32 v4, v4, v5
	s_waitcnt vmcnt(20)
	v_mul_f32_e32 v5, v55, v130
	v_mul_f32_e32 v63, v52, v128
	v_fma_f32 v5, v54, v129, -v5
	v_fmac_f32_e32 v63, v53, v127
	v_add_f32_e32 v60, v4, v5
	s_waitcnt vmcnt(18) lgkmcnt(0)
	v_mul_f32_e32 v4, v57, v132
	v_add_f32_e32 v61, v61, v63
	v_mul_f32_e32 v63, v54, v130
	v_fma_f32 v62, v56, v131, -v4
	s_waitcnt vmcnt(16)
	v_mul_f32_e32 v4, v59, v134
	v_fmac_f32_e32 v63, v55, v129
	v_fma_f32 v70, v58, v133, -v4
	ds_read_b128 v[4:7], v1 offset:960
	ds_read_b128 v[8:11], v1 offset:976
	;; [unrolled: 1-line block ×4, first 2 shown]
	v_add_f32_e32 v61, v61, v63
	v_mul_f32_e32 v63, v56, v132
	s_waitcnt vmcnt(11)
	v_mov_b32_e32 v22, v69
	v_fmac_f32_e32 v63, v57, v131
	v_mul_f32_e32 v71, v58, v134
	s_waitcnt lgkmcnt(3)
	v_pk_mul_f32 v[22:23], v[4:5], v[22:23] op_sel_hi:[1,0]
	v_fmac_f32_e32 v71, v59, v133
	v_pk_add_f32 v[20:21], v[60:61], v[62:63]
	s_waitcnt vmcnt(10)
	v_pk_fma_f32 v[24:25], v[4:5], v[68:69], v[22:23] op_sel:[0,0,1] op_sel_hi:[1,1,0] neg_lo:[0,0,1] neg_hi:[0,0,1]
	v_pk_fma_f32 v[4:5], v[4:5], v[68:69], v[22:23] op_sel:[0,0,1] op_sel_hi:[1,0,0]
	v_pk_add_f32 v[20:21], v[20:21], v[70:71]
	v_mov_b32_e32 v25, v5
	v_pk_add_f32 v[4:5], v[20:21], v[24:25]
	v_mov_b32_e32 v20, v67
	v_pk_mul_f32 v[20:21], v[6:7], v[20:21] op_sel_hi:[1,0]
	v_pk_fma_f32 v[22:23], v[6:7], v[66:67], v[20:21] op_sel:[0,0,1] op_sel_hi:[1,1,0] neg_lo:[0,0,1] neg_hi:[0,0,1]
	v_pk_fma_f32 v[6:7], v[6:7], v[66:67], v[20:21] op_sel:[0,0,1] op_sel_hi:[1,0,0]
	v_mov_b32_e32 v6, v65
	v_mov_b32_e32 v23, v7
	s_waitcnt lgkmcnt(2)
	v_pk_mul_f32 v[6:7], v[8:9], v[6:7] op_sel_hi:[1,0]
	v_pk_fma_f32 v[20:21], v[8:9], v[64:65], v[6:7] op_sel:[0,0,1] op_sel_hi:[1,1,0] neg_lo:[0,0,1] neg_hi:[0,0,1]
	v_pk_fma_f32 v[6:7], v[8:9], v[64:65], v[6:7] op_sel:[0,0,1] op_sel_hi:[1,0,0]
	s_waitcnt vmcnt(3)
	v_mov_b32_e32 v6, v79
	v_mov_b32_e32 v21, v7
	v_pk_mul_f32 v[6:7], v[10:11], v[6:7] op_sel_hi:[1,0]
	s_waitcnt vmcnt(2)
	v_pk_fma_f32 v[8:9], v[10:11], v[78:79], v[6:7] op_sel:[0,0,1] op_sel_hi:[1,1,0] neg_lo:[0,0,1] neg_hi:[0,0,1]
	v_pk_fma_f32 v[6:7], v[10:11], v[78:79], v[6:7] op_sel:[0,0,1] op_sel_hi:[1,0,0]
	v_pk_add_f32 v[4:5], v[4:5], v[22:23]
	v_mov_b32_e32 v6, v77
	v_pk_add_f32 v[4:5], v[4:5], v[20:21]
	v_mov_b32_e32 v9, v7
	s_waitcnt lgkmcnt(1)
	v_pk_mul_f32 v[6:7], v[12:13], v[6:7] op_sel_hi:[1,0]
	v_pk_add_f32 v[4:5], v[4:5], v[8:9]
	v_pk_fma_f32 v[8:9], v[12:13], v[76:77], v[6:7] op_sel:[0,0,1] op_sel_hi:[1,1,0] neg_lo:[0,0,1] neg_hi:[0,0,1]
	v_pk_fma_f32 v[6:7], v[12:13], v[76:77], v[6:7] op_sel:[0,0,1] op_sel_hi:[1,0,0]
	v_mov_b32_e32 v6, v75
	v_mov_b32_e32 v9, v7
	v_pk_mul_f32 v[6:7], v[14:15], v[6:7] op_sel_hi:[1,0]
	v_pk_add_f32 v[4:5], v[4:5], v[8:9]
	v_pk_fma_f32 v[8:9], v[14:15], v[74:75], v[6:7] op_sel:[0,0,1] op_sel_hi:[1,1,0] neg_lo:[0,0,1] neg_hi:[0,0,1]
	v_pk_fma_f32 v[6:7], v[14:15], v[74:75], v[6:7] op_sel:[0,0,1] op_sel_hi:[1,0,0]
	v_mov_b32_e32 v6, v73
	v_mov_b32_e32 v9, v7
	s_waitcnt lgkmcnt(0)
	v_pk_mul_f32 v[6:7], v[16:17], v[6:7] op_sel_hi:[1,0]
	v_pk_add_f32 v[4:5], v[4:5], v[8:9]
	v_pk_fma_f32 v[8:9], v[16:17], v[72:73], v[6:7] op_sel:[0,0,1] op_sel_hi:[1,1,0] neg_lo:[0,0,1] neg_hi:[0,0,1]
	v_pk_fma_f32 v[6:7], v[16:17], v[72:73], v[6:7] op_sel:[0,0,1] op_sel_hi:[1,0,0]
	s_waitcnt vmcnt(1)
	v_mov_b32_e32 v6, v81
	v_mov_b32_e32 v9, v7
	v_pk_mul_f32 v[6:7], v[18:19], v[6:7] op_sel_hi:[1,0]
	v_pk_add_f32 v[4:5], v[4:5], v[8:9]
	s_waitcnt vmcnt(0)
	v_pk_fma_f32 v[8:9], v[18:19], v[80:81], v[6:7] op_sel:[0,0,1] op_sel_hi:[1,1,0] neg_lo:[0,0,1] neg_hi:[0,0,1]
	v_pk_fma_f32 v[6:7], v[18:19], v[80:81], v[6:7] op_sel:[0,0,1] op_sel_hi:[1,0,0]
	v_mov_b32_e32 v9, v7
	v_pk_add_f32 v[4:5], v[4:5], v[8:9]
	v_pk_add_f32 v[2:3], v[2:3], v[4:5] neg_lo:[0,1] neg_hi:[0,1]
	buffer_store_dword v3, off, s[0:3], 0 offset:220
	buffer_store_dword v2, off, s[0:3], 0 offset:216
	s_and_saveexec_b64 s[4:5], vcc
	s_cbranch_execz .LBB63_345
; %bb.344:
	buffer_load_dword v2, off, s[0:3], 0 offset:208
	buffer_load_dword v3, off, s[0:3], 0 offset:212
	v_mov_b32_e32 v1, 0
	buffer_store_dword v1, off, s[0:3], 0 offset:208
	buffer_store_dword v1, off, s[0:3], 0 offset:212
	s_waitcnt vmcnt(2)
	ds_write_b64 v223, v[2:3]
.LBB63_345:
	s_or_b64 exec, exec, s[4:5]
	v_mov_b32_e32 v1, 0
	s_waitcnt lgkmcnt(0)
	; wave barrier
	s_waitcnt lgkmcnt(0)
	ds_read2_b64 v[2:5], v1 offset0:91 offset1:92
	buffer_load_dword v62, off, s[0:3], 0 offset:208
	buffer_load_dword v63, off, s[0:3], 0 offset:212
	;; [unrolled: 1-line block ×16, first 2 shown]
	ds_read2_b64 v[10:13], v1 offset0:93 offset1:94
	ds_read2_b64 v[14:17], v1 offset0:95 offset1:96
	;; [unrolled: 1-line block ×3, first 2 shown]
	buffer_load_dword v97, off, s[0:3], 0 offset:272
	buffer_load_dword v98, off, s[0:3], 0 offset:276
	ds_read2_b64 v[22:25], v1 offset0:99 offset1:100
	buffer_load_dword v99, off, s[0:3], 0 offset:280
	buffer_load_dword v100, off, s[0:3], 0 offset:284
	buffer_load_dword v101, off, s[0:3], 0 offset:288
	buffer_load_dword v102, off, s[0:3], 0 offset:292
	ds_read2_b64 v[26:29], v1 offset0:101 offset1:102
	buffer_load_dword v103, off, s[0:3], 0 offset:296
	buffer_load_dword v104, off, s[0:3], 0 offset:300
	;; [unrolled: 5-line block ×10, first 2 shown]
	buffer_load_dword v137, off, s[0:3], 0 offset:432
	buffer_load_dword v138, off, s[0:3], 0 offset:436
	v_cmp_lt_u32_e32 vcc, 25, v0
	s_waitcnt vmcnt(54) lgkmcnt(13)
	v_mul_f32_e32 v6, v2, v86
	v_fmac_f32_e32 v6, v3, v64
	s_waitcnt vmcnt(52)
	v_mul_f32_e32 v7, v4, v88
	v_add_f32_e32 v6, 0, v6
	v_fmac_f32_e32 v7, v5, v66
	v_add_f32_e32 v6, v6, v7
	s_waitcnt vmcnt(50) lgkmcnt(12)
	v_mul_f32_e32 v7, v10, v90
	v_fmac_f32_e32 v7, v11, v70
	v_add_f32_e32 v6, v6, v7
	s_waitcnt vmcnt(48)
	v_mul_f32_e32 v7, v12, v92
	v_fmac_f32_e32 v7, v13, v87
	v_add_f32_e32 v6, v6, v7
	s_waitcnt vmcnt(46) lgkmcnt(11)
	v_mul_f32_e32 v7, v14, v94
	v_fmac_f32_e32 v7, v15, v89
	v_add_f32_e32 v6, v6, v7
	s_waitcnt vmcnt(44)
	v_mul_f32_e32 v7, v16, v95
	v_fmac_f32_e32 v7, v17, v91
	v_add_f32_e32 v6, v6, v7
	s_waitcnt vmcnt(42) lgkmcnt(10)
	v_mul_f32_e32 v7, v18, v96
	v_fmac_f32_e32 v7, v19, v93
	v_add_f32_e32 v6, v6, v7
	s_waitcnt vmcnt(40)
	v_mul_f32_e32 v7, v20, v98
	v_fmac_f32_e32 v7, v21, v97
	v_add_f32_e32 v6, v6, v7
	s_waitcnt vmcnt(38) lgkmcnt(9)
	v_mul_f32_e32 v7, v22, v100
	v_fmac_f32_e32 v7, v23, v99
	v_add_f32_e32 v6, v6, v7
	s_waitcnt vmcnt(36)
	v_mul_f32_e32 v7, v24, v102
	v_fmac_f32_e32 v7, v25, v101
	v_add_f32_e32 v6, v6, v7
	s_waitcnt vmcnt(34) lgkmcnt(8)
	v_mul_f32_e32 v7, v26, v104
	v_fmac_f32_e32 v7, v27, v103
	v_add_f32_e32 v6, v6, v7
	s_waitcnt vmcnt(32)
	v_mul_f32_e32 v7, v28, v106
	v_fmac_f32_e32 v7, v29, v105
	v_add_f32_e32 v6, v6, v7
	s_waitcnt vmcnt(30) lgkmcnt(7)
	v_mul_f32_e32 v7, v30, v108
	v_fmac_f32_e32 v7, v31, v107
	v_add_f32_e32 v6, v6, v7
	s_waitcnt vmcnt(28)
	v_mul_f32_e32 v7, v32, v110
	v_fmac_f32_e32 v7, v33, v109
	v_add_f32_e32 v6, v6, v7
	s_waitcnt vmcnt(26) lgkmcnt(6)
	v_mul_f32_e32 v7, v34, v112
	v_fmac_f32_e32 v7, v35, v111
	v_add_f32_e32 v6, v6, v7
	s_waitcnt vmcnt(24)
	v_mul_f32_e32 v7, v36, v114
	v_fmac_f32_e32 v7, v37, v113
	v_add_f32_e32 v6, v6, v7
	s_waitcnt vmcnt(22) lgkmcnt(5)
	v_mul_f32_e32 v7, v38, v116
	v_fmac_f32_e32 v7, v39, v115
	v_add_f32_e32 v6, v6, v7
	s_waitcnt vmcnt(20)
	v_mul_f32_e32 v7, v40, v118
	v_fmac_f32_e32 v7, v41, v117
	v_add_f32_e32 v6, v6, v7
	s_waitcnt vmcnt(18) lgkmcnt(4)
	v_mul_f32_e32 v7, v42, v120
	v_fmac_f32_e32 v7, v43, v119
	v_add_f32_e32 v6, v6, v7
	s_waitcnt vmcnt(16)
	v_mul_f32_e32 v7, v44, v122
	v_fmac_f32_e32 v7, v45, v121
	v_add_f32_e32 v6, v6, v7
	s_waitcnt vmcnt(14) lgkmcnt(3)
	v_mul_f32_e32 v7, v46, v124
	v_fmac_f32_e32 v7, v47, v123
	v_add_f32_e32 v6, v6, v7
	s_waitcnt vmcnt(12)
	v_mul_f32_e32 v7, v48, v126
	v_fmac_f32_e32 v7, v49, v125
	v_add_f32_e32 v6, v6, v7
	s_waitcnt vmcnt(10) lgkmcnt(2)
	v_mul_f32_e32 v7, v50, v128
	v_fmac_f32_e32 v7, v51, v127
	v_add_f32_e32 v6, v6, v7
	s_waitcnt vmcnt(8)
	v_mul_f32_e32 v7, v52, v130
	v_fmac_f32_e32 v7, v53, v129
	v_add_f32_e32 v6, v6, v7
	s_waitcnt vmcnt(6) lgkmcnt(1)
	v_mul_f32_e32 v7, v54, v132
	v_fmac_f32_e32 v7, v55, v131
	v_add_f32_e32 v6, v6, v7
	s_waitcnt vmcnt(4)
	v_mul_f32_e32 v7, v56, v134
	v_fmac_f32_e32 v7, v57, v133
	v_add_f32_e32 v6, v6, v7
	s_waitcnt vmcnt(2) lgkmcnt(0)
	v_mul_f32_e32 v7, v58, v136
	v_fmac_f32_e32 v7, v59, v135
	v_add_f32_e32 v65, v6, v7
	ds_read2_b64 v[6:9], v1 offset0:119 offset1:120
	buffer_load_dword v139, off, s[0:3], 0 offset:440
	buffer_load_dword v140, off, s[0:3], 0 offset:444
	buffer_load_dword v69, off, s[0:3], 0 offset:452
	buffer_load_dword v68, off, s[0:3], 0 offset:448
	buffer_load_dword v85, off, s[0:3], 0 offset:460
	buffer_load_dword v84, off, s[0:3], 0 offset:456
	buffer_load_dword v83, off, s[0:3], 0 offset:468
	buffer_load_dword v82, off, s[0:3], 0 offset:464
	buffer_load_dword v81, off, s[0:3], 0 offset:476
	buffer_load_dword v80, off, s[0:3], 0 offset:472
	buffer_load_dword v79, off, s[0:3], 0 offset:484
	buffer_load_dword v78, off, s[0:3], 0 offset:480
	buffer_load_dword v77, off, s[0:3], 0 offset:492
	buffer_load_dword v76, off, s[0:3], 0 offset:488
	buffer_load_dword v75, off, s[0:3], 0 offset:500
	buffer_load_dword v74, off, s[0:3], 0 offset:496
	buffer_load_dword v73, off, s[0:3], 0 offset:508
	buffer_load_dword v72, off, s[0:3], 0 offset:504
	v_mul_f32_e32 v3, v3, v86
	v_fma_f32 v2, v2, v64, -v3
	v_mul_f32_e32 v3, v5, v88
	v_add_f32_e32 v2, 0, v2
	v_fma_f32 v3, v4, v66, -v3
	v_add_f32_e32 v2, v2, v3
	v_mul_f32_e32 v3, v11, v90
	v_fma_f32 v3, v10, v70, -v3
	v_add_f32_e32 v2, v2, v3
	v_mul_f32_e32 v3, v13, v92
	;; [unrolled: 3-line block ×25, first 2 shown]
	v_fma_f32 v3, v58, v135, -v3
	s_waitcnt vmcnt(18)
	v_mul_f32_e32 v67, v60, v138
	v_add_f32_e32 v64, v2, v3
	v_mul_f32_e32 v2, v61, v138
	s_waitcnt vmcnt(15)
	v_mov_b32_e32 v20, v69
	v_fmac_f32_e32 v67, v61, v137
	s_waitcnt lgkmcnt(0)
	v_mul_f32_e32 v71, v6, v140
	v_fma_f32 v66, v60, v137, -v2
	v_mul_f32_e32 v2, v7, v140
	v_pk_mul_f32 v[20:21], v[8:9], v[20:21] op_sel_hi:[1,0]
	v_fmac_f32_e32 v71, v7, v139
	v_fma_f32 v70, v6, v139, -v2
	v_pk_add_f32 v[18:19], v[64:65], v[66:67]
	s_waitcnt vmcnt(14)
	v_pk_fma_f32 v[22:23], v[8:9], v[68:69], v[20:21] op_sel:[0,0,1] op_sel_hi:[1,1,0] neg_lo:[0,0,1] neg_hi:[0,0,1]
	v_pk_fma_f32 v[8:9], v[8:9], v[68:69], v[20:21] op_sel:[0,0,1] op_sel_hi:[1,0,0]
	ds_read2_b64 v[2:5], v1 offset0:121 offset1:122
	ds_read2_b64 v[10:13], v1 offset0:123 offset1:124
	ds_read2_b64 v[14:17], v1 offset0:125 offset1:126
	ds_read_b64 v[6:7], v1 offset:1016
	v_pk_add_f32 v[18:19], v[18:19], v[70:71]
	v_mov_b32_e32 v23, v9
	v_pk_add_f32 v[8:9], v[18:19], v[22:23]
	s_waitcnt vmcnt(13)
	v_mov_b32_e32 v18, v85
	s_waitcnt lgkmcnt(3)
	v_pk_mul_f32 v[18:19], v[2:3], v[18:19] op_sel_hi:[1,0]
	s_waitcnt vmcnt(12)
	v_pk_fma_f32 v[20:21], v[2:3], v[84:85], v[18:19] op_sel:[0,0,1] op_sel_hi:[1,1,0] neg_lo:[0,0,1] neg_hi:[0,0,1]
	v_pk_fma_f32 v[2:3], v[2:3], v[84:85], v[18:19] op_sel:[0,0,1] op_sel_hi:[1,0,0]
	v_mov_b32_e32 v21, v3
	v_pk_add_f32 v[2:3], v[8:9], v[20:21]
	s_waitcnt vmcnt(11)
	v_mov_b32_e32 v8, v83
	v_pk_mul_f32 v[8:9], v[4:5], v[8:9] op_sel_hi:[1,0]
	s_waitcnt vmcnt(10)
	v_pk_fma_f32 v[18:19], v[4:5], v[82:83], v[8:9] op_sel:[0,0,1] op_sel_hi:[1,1,0] neg_lo:[0,0,1] neg_hi:[0,0,1]
	v_pk_fma_f32 v[4:5], v[4:5], v[82:83], v[8:9] op_sel:[0,0,1] op_sel_hi:[1,0,0]
	s_waitcnt vmcnt(9)
	v_mov_b32_e32 v4, v81
	v_mov_b32_e32 v19, v5
	s_waitcnt lgkmcnt(2)
	v_pk_mul_f32 v[4:5], v[10:11], v[4:5] op_sel_hi:[1,0]
	s_waitcnt vmcnt(8)
	v_pk_fma_f32 v[8:9], v[10:11], v[80:81], v[4:5] op_sel:[0,0,1] op_sel_hi:[1,1,0] neg_lo:[0,0,1] neg_hi:[0,0,1]
	v_pk_fma_f32 v[4:5], v[10:11], v[80:81], v[4:5] op_sel:[0,0,1] op_sel_hi:[1,0,0]
	s_waitcnt vmcnt(7)
	v_mov_b32_e32 v4, v79
	v_pk_add_f32 v[2:3], v[2:3], v[18:19]
	v_mov_b32_e32 v9, v5
	v_pk_mul_f32 v[4:5], v[12:13], v[4:5] op_sel_hi:[1,0]
	v_pk_add_f32 v[2:3], v[2:3], v[8:9]
	s_waitcnt vmcnt(6)
	v_pk_fma_f32 v[8:9], v[12:13], v[78:79], v[4:5] op_sel:[0,0,1] op_sel_hi:[1,1,0] neg_lo:[0,0,1] neg_hi:[0,0,1]
	v_pk_fma_f32 v[4:5], v[12:13], v[78:79], v[4:5] op_sel:[0,0,1] op_sel_hi:[1,0,0]
	s_waitcnt vmcnt(5)
	v_mov_b32_e32 v4, v77
	v_mov_b32_e32 v9, v5
	s_waitcnt lgkmcnt(1)
	v_pk_mul_f32 v[4:5], v[14:15], v[4:5] op_sel_hi:[1,0]
	v_pk_add_f32 v[2:3], v[2:3], v[8:9]
	s_waitcnt vmcnt(4)
	v_pk_fma_f32 v[8:9], v[14:15], v[76:77], v[4:5] op_sel:[0,0,1] op_sel_hi:[1,1,0] neg_lo:[0,0,1] neg_hi:[0,0,1]
	v_pk_fma_f32 v[4:5], v[14:15], v[76:77], v[4:5] op_sel:[0,0,1] op_sel_hi:[1,0,0]
	s_waitcnt vmcnt(3)
	v_mov_b32_e32 v4, v75
	v_mov_b32_e32 v9, v5
	v_pk_mul_f32 v[4:5], v[16:17], v[4:5] op_sel_hi:[1,0]
	v_pk_add_f32 v[2:3], v[2:3], v[8:9]
	s_waitcnt vmcnt(2)
	v_pk_fma_f32 v[8:9], v[16:17], v[74:75], v[4:5] op_sel:[0,0,1] op_sel_hi:[1,1,0] neg_lo:[0,0,1] neg_hi:[0,0,1]
	v_pk_fma_f32 v[4:5], v[16:17], v[74:75], v[4:5] op_sel:[0,0,1] op_sel_hi:[1,0,0]
	s_waitcnt vmcnt(1)
	v_mov_b32_e32 v4, v73
	v_mov_b32_e32 v9, v5
	s_waitcnt lgkmcnt(0)
	v_pk_mul_f32 v[4:5], v[6:7], v[4:5] op_sel_hi:[1,0]
	v_pk_add_f32 v[2:3], v[2:3], v[8:9]
	s_waitcnt vmcnt(0)
	v_pk_fma_f32 v[8:9], v[6:7], v[72:73], v[4:5] op_sel:[0,0,1] op_sel_hi:[1,1,0] neg_lo:[0,0,1] neg_hi:[0,0,1]
	v_pk_fma_f32 v[4:5], v[6:7], v[72:73], v[4:5] op_sel:[0,0,1] op_sel_hi:[1,0,0]
	v_mov_b32_e32 v9, v5
	v_pk_add_f32 v[2:3], v[2:3], v[8:9]
	v_pk_add_f32 v[2:3], v[62:63], v[2:3] neg_lo:[0,1] neg_hi:[0,1]
	buffer_store_dword v3, off, s[0:3], 0 offset:212
	buffer_store_dword v2, off, s[0:3], 0 offset:208
	s_and_saveexec_b64 s[4:5], vcc
	s_cbranch_execz .LBB63_347
; %bb.346:
	buffer_load_dword v2, off, s[0:3], 0 offset:200
	buffer_load_dword v3, off, s[0:3], 0 offset:204
	s_waitcnt vmcnt(0)
	ds_write_b64 v223, v[2:3]
	buffer_store_dword v1, off, s[0:3], 0 offset:200
	buffer_store_dword v1, off, s[0:3], 0 offset:204
.LBB63_347:
	s_or_b64 exec, exec, s[4:5]
	s_waitcnt lgkmcnt(0)
	; wave barrier
	s_waitcnt lgkmcnt(0)
	buffer_load_dword v70, off, s[0:3], 0 offset:212
	buffer_load_dword v72, off, s[0:3], 0 offset:220
	;; [unrolled: 1-line block ×32, first 2 shown]
	ds_read_b128 v[16:19], v1 offset:720
	ds_read_b128 v[6:9], v1 offset:736
	buffer_load_dword v117, off, s[0:3], 0 offset:328
	buffer_load_dword v118, off, s[0:3], 0 offset:332
	ds_read_b128 v[10:13], v1 offset:752
	ds_read_b128 v[2:5], v1 offset:768
	buffer_load_dword v119, off, s[0:3], 0 offset:336
	buffer_load_dword v120, off, s[0:3], 0 offset:340
	;; [unrolled: 1-line block ×28, first 2 shown]
	v_cmp_lt_u32_e32 vcc, 24, v0
	s_waitcnt vmcnt(61) lgkmcnt(3)
	v_mul_f32_e32 v20, v16, v70
	s_waitcnt vmcnt(60)
	v_mul_f32_e32 v21, v18, v72
	s_waitcnt vmcnt(59) lgkmcnt(2)
	v_mul_f32_e32 v23, v8, v74
	s_waitcnt vmcnt(58) lgkmcnt(1)
	v_mul_f32_e32 v24, v10, v90
	s_waitcnt vmcnt(57)
	v_mul_f32_e32 v25, v12, v91
	s_waitcnt vmcnt(56)
	;; [unrolled: 2-line block ×3, first 2 shown]
	v_fmac_f32_e32 v22, v7, v93
	s_waitcnt vmcnt(54)
	v_fmac_f32_e32 v21, v19, v94
	s_waitcnt vmcnt(53)
	v_fmac_f32_e32 v20, v17, v95
	v_add_f32_e32 v20, 0, v20
	v_add_f32_e32 v20, v20, v21
	;; [unrolled: 1-line block ×3, first 2 shown]
	s_waitcnt vmcnt(49)
	v_fmac_f32_e32 v24, v11, v99
	s_waitcnt vmcnt(48)
	v_fmac_f32_e32 v23, v9, v100
	v_add_f32_e32 v20, v20, v23
	s_waitcnt lgkmcnt(0)
	v_mul_f32_e32 v26, v2, v96
	v_fmac_f32_e32 v25, v13, v98
	v_add_f32_e32 v20, v20, v24
	v_fmac_f32_e32 v26, v3, v97
	v_add_f32_e32 v20, v20, v25
	v_add_f32_e32 v24, v20, v26
	ds_read_b128 v[20:23], v1 offset:784
	s_waitcnt vmcnt(44)
	v_mul_f32_e32 v25, v4, v104
	s_waitcnt vmcnt(43)
	v_fmac_f32_e32 v25, v5, v105
	v_add_f32_e32 v28, v24, v25
	ds_read_b128 v[24:27], v1 offset:800
	s_waitcnt vmcnt(42) lgkmcnt(1)
	v_mul_f32_e32 v29, v20, v106
	v_fmac_f32_e32 v29, v21, v103
	v_add_f32_e32 v28, v28, v29
	s_waitcnt vmcnt(41)
	v_mul_f32_e32 v29, v22, v107
	v_fmac_f32_e32 v29, v23, v102
	v_add_f32_e32 v28, v28, v29
	s_waitcnt vmcnt(40) lgkmcnt(0)
	v_mul_f32_e32 v29, v24, v108
	v_fmac_f32_e32 v29, v25, v101
	v_add_f32_e32 v32, v28, v29
	ds_read_b128 v[28:31], v1 offset:816
	s_waitcnt vmcnt(34)
	v_mul_f32_e32 v33, v26, v114
	s_waitcnt vmcnt(33)
	v_fmac_f32_e32 v33, v27, v115
	v_add_f32_e32 v36, v32, v33
	ds_read_b128 v[32:35], v1 offset:832
	s_waitcnt vmcnt(32) lgkmcnt(1)
	v_mul_f32_e32 v37, v28, v116
	v_fmac_f32_e32 v37, v29, v113
	v_add_f32_e32 v36, v36, v37
	v_mul_f32_e32 v37, v30, v110
	v_fmac_f32_e32 v37, v31, v109
	v_add_f32_e32 v36, v36, v37
	s_waitcnt lgkmcnt(0)
	v_mul_f32_e32 v37, v32, v112
	v_fmac_f32_e32 v37, v33, v111
	v_add_f32_e32 v40, v36, v37
	ds_read_b128 v[36:39], v1 offset:848
	s_waitcnt vmcnt(28)
	v_mul_f32_e32 v41, v34, v118
	v_fmac_f32_e32 v41, v35, v117
	v_add_f32_e32 v44, v40, v41
	ds_read_b128 v[40:43], v1 offset:864
	s_waitcnt vmcnt(26) lgkmcnt(1)
	v_mul_f32_e32 v45, v36, v120
	v_fmac_f32_e32 v45, v37, v119
	v_add_f32_e32 v44, v44, v45
	s_waitcnt vmcnt(24)
	v_mul_f32_e32 v45, v38, v122
	v_fmac_f32_e32 v45, v39, v121
	v_add_f32_e32 v44, v44, v45
	s_waitcnt vmcnt(22) lgkmcnt(0)
	v_mul_f32_e32 v45, v40, v124
	v_fmac_f32_e32 v45, v41, v123
	v_add_f32_e32 v48, v44, v45
	ds_read_b128 v[44:47], v1 offset:880
	s_waitcnt vmcnt(20)
	v_mul_f32_e32 v49, v42, v126
	v_fmac_f32_e32 v49, v43, v125
	v_add_f32_e32 v52, v48, v49
	ds_read_b128 v[48:51], v1 offset:896
	s_waitcnt vmcnt(18) lgkmcnt(1)
	v_mul_f32_e32 v53, v44, v128
	v_fmac_f32_e32 v53, v45, v127
	v_add_f32_e32 v52, v52, v53
	s_waitcnt vmcnt(16)
	v_mul_f32_e32 v53, v46, v130
	v_fmac_f32_e32 v53, v47, v129
	v_add_f32_e32 v52, v52, v53
	s_waitcnt vmcnt(14) lgkmcnt(0)
	v_mul_f32_e32 v53, v48, v132
	v_fmac_f32_e32 v53, v49, v131
	v_add_f32_e32 v56, v52, v53
	ds_read_b128 v[52:55], v1 offset:912
	s_waitcnt vmcnt(12)
	v_mul_f32_e32 v57, v50, v134
	v_fmac_f32_e32 v57, v51, v133
	v_add_f32_e32 v60, v56, v57
	ds_read_b128 v[56:59], v1 offset:928
	buffer_load_dword v69, off, s[0:3], 0 offset:452
	buffer_load_dword v68, off, s[0:3], 0 offset:448
	s_waitcnt vmcnt(12) lgkmcnt(1)
	v_mul_f32_e32 v61, v52, v136
	v_fmac_f32_e32 v61, v53, v135
	v_add_f32_e32 v60, v60, v61
	s_waitcnt vmcnt(10)
	v_mul_f32_e32 v61, v54, v138
	v_fmac_f32_e32 v61, v55, v137
	v_add_f32_e32 v60, v60, v61
	s_waitcnt vmcnt(8) lgkmcnt(0)
	v_mul_f32_e32 v61, v56, v140
	v_fmac_f32_e32 v61, v57, v139
	s_waitcnt vmcnt(6)
	v_mul_f32_e32 v65, v58, v142
	v_add_f32_e32 v64, v60, v61
	v_fmac_f32_e32 v65, v59, v141
	ds_read_b128 v[60:63], v1 offset:944
	v_add_f32_e32 v71, v64, v65
	ds_read_b128 v[64:67], v1 offset:960
	buffer_load_dword v77, off, s[0:3], 0 offset:484
	buffer_load_dword v76, off, s[0:3], 0 offset:480
	;; [unrolled: 1-line block ×14, first 2 shown]
	v_mul_f32_e32 v17, v17, v70
	v_fma_f32 v16, v16, v95, -v17
	v_mul_f32_e32 v17, v19, v72
	v_add_f32_e32 v16, 0, v16
	v_fma_f32 v17, v18, v94, -v17
	v_mul_f32_e32 v7, v7, v92
	v_add_f32_e32 v16, v16, v17
	;; [unrolled: 3-line block ×3, first 2 shown]
	v_fma_f32 v7, v8, v100, -v7
	v_add_f32_e32 v6, v6, v7
	v_mul_f32_e32 v7, v11, v90
	v_fma_f32 v7, v10, v99, -v7
	v_add_f32_e32 v6, v6, v7
	v_mul_f32_e32 v7, v13, v91
	v_fma_f32 v7, v12, v98, -v7
	v_mul_f32_e32 v3, v3, v96
	v_add_f32_e32 v6, v6, v7
	v_fma_f32 v2, v2, v97, -v3
	v_mul_f32_e32 v3, v5, v104
	v_add_f32_e32 v2, v6, v2
	v_fma_f32 v3, v4, v105, -v3
	v_add_f32_e32 v2, v2, v3
	v_mul_f32_e32 v3, v21, v106
	v_fma_f32 v3, v20, v103, -v3
	v_add_f32_e32 v2, v2, v3
	v_mul_f32_e32 v3, v23, v107
	;; [unrolled: 3-line block ×20, first 2 shown]
	v_fma_f32 v3, v58, v141, -v3
	s_waitcnt vmcnt(15)
	v_mov_b32_e32 v18, v69
	s_waitcnt lgkmcnt(1)
	v_mul_f32_e32 v73, v60, v144
	v_add_f32_e32 v70, v2, v3
	v_mul_f32_e32 v2, v61, v144
	s_waitcnt lgkmcnt(0)
	v_pk_mul_f32 v[18:19], v[64:65], v[18:19] op_sel_hi:[1,0]
	v_fmac_f32_e32 v73, v61, v143
	v_mul_f32_e32 v75, v62, v146
	v_fma_f32 v72, v60, v143, -v2
	v_mul_f32_e32 v2, v63, v146
	s_waitcnt vmcnt(14)
	v_pk_fma_f32 v[20:21], v[64:65], v[68:69], v[18:19] op_sel:[0,0,1] op_sel_hi:[1,1,0] neg_lo:[0,0,1] neg_hi:[0,0,1]
	v_pk_fma_f32 v[18:19], v[64:65], v[68:69], v[18:19] op_sel:[0,0,1] op_sel_hi:[1,0,0]
	v_fmac_f32_e32 v75, v63, v145
	v_fma_f32 v74, v62, v145, -v2
	v_pk_add_f32 v[16:17], v[70:71], v[72:73]
	s_waitcnt vmcnt(7)
	v_mov_b32_e32 v18, v83
	ds_read_b128 v[2:5], v1 offset:976
	ds_read_b128 v[6:9], v1 offset:992
	ds_read_b128 v[10:13], v1 offset:1008
	v_pk_add_f32 v[16:17], v[16:17], v[74:75]
	v_mov_b32_e32 v21, v19
	v_pk_mul_f32 v[18:19], v[66:67], v[18:19] op_sel_hi:[1,0]
	v_pk_add_f32 v[16:17], v[16:17], v[20:21]
	s_waitcnt vmcnt(6)
	v_pk_fma_f32 v[20:21], v[66:67], v[82:83], v[18:19] op_sel:[0,0,1] op_sel_hi:[1,1,0] neg_lo:[0,0,1] neg_hi:[0,0,1]
	v_pk_fma_f32 v[18:19], v[66:67], v[82:83], v[18:19] op_sel:[0,0,1] op_sel_hi:[1,0,0]
	v_mov_b32_e32 v18, v81
	v_mov_b32_e32 v21, v19
	s_waitcnt lgkmcnt(2)
	v_pk_mul_f32 v[18:19], v[2:3], v[18:19] op_sel_hi:[1,0]
	v_pk_add_f32 v[16:17], v[16:17], v[20:21]
	v_pk_fma_f32 v[20:21], v[2:3], v[80:81], v[18:19] op_sel:[0,0,1] op_sel_hi:[1,1,0] neg_lo:[0,0,1] neg_hi:[0,0,1]
	v_pk_fma_f32 v[2:3], v[2:3], v[80:81], v[18:19] op_sel:[0,0,1] op_sel_hi:[1,0,0]
	v_mov_b32_e32 v21, v3
	v_pk_add_f32 v[2:3], v[16:17], v[20:21]
	v_mov_b32_e32 v16, v79
	v_pk_mul_f32 v[16:17], v[4:5], v[16:17] op_sel_hi:[1,0]
	v_pk_fma_f32 v[18:19], v[4:5], v[78:79], v[16:17] op_sel:[0,0,1] op_sel_hi:[1,1,0] neg_lo:[0,0,1] neg_hi:[0,0,1]
	v_pk_fma_f32 v[4:5], v[4:5], v[78:79], v[16:17] op_sel:[0,0,1] op_sel_hi:[1,0,0]
	v_mov_b32_e32 v4, v77
	v_mov_b32_e32 v19, v5
	s_waitcnt lgkmcnt(1)
	v_pk_mul_f32 v[4:5], v[6:7], v[4:5] op_sel_hi:[1,0]
	v_pk_fma_f32 v[16:17], v[6:7], v[76:77], v[4:5] op_sel:[0,0,1] op_sel_hi:[1,1,0] neg_lo:[0,0,1] neg_hi:[0,0,1]
	v_pk_fma_f32 v[4:5], v[6:7], v[76:77], v[4:5] op_sel:[0,0,1] op_sel_hi:[1,0,0]
	s_waitcnt vmcnt(1)
	v_mov_b32_e32 v4, v89
	v_mov_b32_e32 v17, v5
	v_pk_mul_f32 v[4:5], v[8:9], v[4:5] op_sel_hi:[1,0]
	s_waitcnt vmcnt(0)
	v_pk_fma_f32 v[6:7], v[8:9], v[88:89], v[4:5] op_sel:[0,0,1] op_sel_hi:[1,1,0] neg_lo:[0,0,1] neg_hi:[0,0,1]
	v_pk_fma_f32 v[4:5], v[8:9], v[88:89], v[4:5] op_sel:[0,0,1] op_sel_hi:[1,0,0]
	v_pk_add_f32 v[2:3], v[2:3], v[18:19]
	v_mov_b32_e32 v4, v87
	v_pk_add_f32 v[2:3], v[2:3], v[16:17]
	v_mov_b32_e32 v7, v5
	s_waitcnt lgkmcnt(0)
	v_pk_mul_f32 v[4:5], v[10:11], v[4:5] op_sel_hi:[1,0]
	v_pk_add_f32 v[2:3], v[2:3], v[6:7]
	v_pk_fma_f32 v[6:7], v[10:11], v[86:87], v[4:5] op_sel:[0,0,1] op_sel_hi:[1,1,0] neg_lo:[0,0,1] neg_hi:[0,0,1]
	v_pk_fma_f32 v[4:5], v[10:11], v[86:87], v[4:5] op_sel:[0,0,1] op_sel_hi:[1,0,0]
	v_mov_b32_e32 v4, v85
	v_mov_b32_e32 v7, v5
	v_pk_mul_f32 v[4:5], v[12:13], v[4:5] op_sel_hi:[1,0]
	v_pk_add_f32 v[2:3], v[2:3], v[6:7]
	v_pk_fma_f32 v[6:7], v[12:13], v[84:85], v[4:5] op_sel:[0,0,1] op_sel_hi:[1,1,0] neg_lo:[0,0,1] neg_hi:[0,0,1]
	v_pk_fma_f32 v[4:5], v[12:13], v[84:85], v[4:5] op_sel:[0,0,1] op_sel_hi:[1,0,0]
	v_mov_b32_e32 v7, v5
	v_pk_add_f32 v[2:3], v[2:3], v[6:7]
	v_pk_add_f32 v[2:3], v[14:15], v[2:3] neg_lo:[0,1] neg_hi:[0,1]
	buffer_store_dword v3, off, s[0:3], 0 offset:204
	buffer_store_dword v2, off, s[0:3], 0 offset:200
	s_and_saveexec_b64 s[4:5], vcc
	s_cbranch_execz .LBB63_349
; %bb.348:
	buffer_load_dword v2, off, s[0:3], 0 offset:192
	buffer_load_dword v3, off, s[0:3], 0 offset:196
	v_mov_b32_e32 v1, 0
	buffer_store_dword v1, off, s[0:3], 0 offset:192
	buffer_store_dword v1, off, s[0:3], 0 offset:196
	s_waitcnt vmcnt(2)
	ds_write_b64 v223, v[2:3]
.LBB63_349:
	s_or_b64 exec, exec, s[4:5]
	s_waitcnt lgkmcnt(0)
	; wave barrier
	s_waitcnt lgkmcnt(0)
	buffer_load_dword v68, off, s[0:3], 0 offset:204
	buffer_load_dword v70, off, s[0:3], 0 offset:212
	;; [unrolled: 1-line block ×48, first 2 shown]
	v_mov_b32_e32 v1, 0
	ds_read2_b64 v[2:5], v1 offset0:89 offset1:90
	buffer_load_dword v133, off, s[0:3], 0 offset:384
	buffer_load_dword v134, off, s[0:3], 0 offset:388
	;; [unrolled: 1-line block ×8, first 2 shown]
	ds_read2_b64 v[8:11], v1 offset0:91 offset1:92
	ds_read2_b64 v[12:15], v1 offset0:93 offset1:94
	;; [unrolled: 1-line block ×3, first 2 shown]
	buffer_load_dword v141, off, s[0:3], 0 offset:416
	buffer_load_dword v142, off, s[0:3], 0 offset:420
	;; [unrolled: 1-line block ×8, first 2 shown]
	v_cmp_lt_u32_e32 vcc, 23, v0
	s_waitcnt vmcnt(62) lgkmcnt(3)
	v_mul_f32_e32 v20, v2, v68
	v_mul_f32_e32 v21, v4, v70
	s_waitcnt vmcnt(61) lgkmcnt(2)
	v_mul_f32_e32 v23, v10, v72
	s_waitcnt vmcnt(60) lgkmcnt(1)
	v_mul_f32_e32 v24, v12, v90
	s_waitcnt vmcnt(59)
	v_mul_f32_e32 v25, v14, v91
	s_waitcnt vmcnt(58)
	;; [unrolled: 2-line block ×3, first 2 shown]
	v_fmac_f32_e32 v22, v9, v93
	s_waitcnt vmcnt(56)
	v_fmac_f32_e32 v21, v5, v94
	s_waitcnt vmcnt(55)
	v_fmac_f32_e32 v20, v3, v95
	v_add_f32_e32 v20, 0, v20
	v_add_f32_e32 v20, v20, v21
	;; [unrolled: 1-line block ×3, first 2 shown]
	s_waitcnt vmcnt(51)
	v_fmac_f32_e32 v24, v13, v99
	s_waitcnt vmcnt(50)
	v_fmac_f32_e32 v23, v11, v100
	v_add_f32_e32 v20, v20, v23
	s_waitcnt lgkmcnt(0)
	v_mul_f32_e32 v26, v16, v96
	v_fmac_f32_e32 v25, v15, v98
	v_add_f32_e32 v20, v20, v24
	v_fmac_f32_e32 v26, v17, v97
	v_add_f32_e32 v20, v20, v25
	v_add_f32_e32 v24, v20, v26
	ds_read2_b64 v[20:23], v1 offset0:97 offset1:98
	s_waitcnt vmcnt(45)
	v_mul_f32_e32 v25, v18, v105
	s_waitcnt vmcnt(44)
	v_fmac_f32_e32 v25, v19, v106
	v_add_f32_e32 v28, v24, v25
	ds_read2_b64 v[24:27], v1 offset0:99 offset1:100
	s_waitcnt vmcnt(43) lgkmcnt(1)
	v_mul_f32_e32 v29, v20, v107
	v_fmac_f32_e32 v29, v21, v104
	v_add_f32_e32 v28, v28, v29
	s_waitcnt vmcnt(42)
	v_mul_f32_e32 v29, v22, v108
	v_fmac_f32_e32 v29, v23, v103
	v_add_f32_e32 v28, v28, v29
	s_waitcnt lgkmcnt(0)
	v_mul_f32_e32 v29, v24, v102
	v_fmac_f32_e32 v29, v25, v101
	v_add_f32_e32 v32, v28, v29
	ds_read2_b64 v[28:31], v1 offset0:101 offset1:102
	s_waitcnt vmcnt(38)
	v_mul_f32_e32 v33, v26, v110
	v_fmac_f32_e32 v33, v27, v109
	v_add_f32_e32 v36, v32, v33
	ds_read2_b64 v[32:35], v1 offset0:103 offset1:104
	s_waitcnt vmcnt(36) lgkmcnt(1)
	v_mul_f32_e32 v37, v28, v112
	v_fmac_f32_e32 v37, v29, v111
	v_add_f32_e32 v36, v36, v37
	s_waitcnt vmcnt(34)
	v_mul_f32_e32 v37, v30, v114
	v_fmac_f32_e32 v37, v31, v113
	v_add_f32_e32 v36, v36, v37
	s_waitcnt vmcnt(32) lgkmcnt(0)
	v_mul_f32_e32 v37, v32, v116
	v_fmac_f32_e32 v37, v33, v115
	v_add_f32_e32 v40, v36, v37
	ds_read2_b64 v[36:39], v1 offset0:105 offset1:106
	s_waitcnt vmcnt(30)
	v_mul_f32_e32 v41, v34, v118
	v_fmac_f32_e32 v41, v35, v117
	v_add_f32_e32 v44, v40, v41
	ds_read2_b64 v[40:43], v1 offset0:107 offset1:108
	s_waitcnt vmcnt(28) lgkmcnt(1)
	v_mul_f32_e32 v45, v36, v120
	v_fmac_f32_e32 v45, v37, v119
	v_add_f32_e32 v44, v44, v45
	s_waitcnt vmcnt(26)
	v_mul_f32_e32 v45, v38, v122
	v_fmac_f32_e32 v45, v39, v121
	v_add_f32_e32 v44, v44, v45
	s_waitcnt vmcnt(24) lgkmcnt(0)
	;; [unrolled: 18-line block ×4, first 2 shown]
	v_mul_f32_e32 v61, v56, v140
	v_fmac_f32_e32 v61, v57, v139
	s_waitcnt vmcnt(6)
	v_mul_f32_e32 v65, v58, v142
	v_add_f32_e32 v64, v60, v61
	v_fmac_f32_e32 v65, v59, v141
	ds_read2_b64 v[60:63], v1 offset0:117 offset1:118
	v_add_f32_e32 v69, v64, v65
	ds_read2_b64 v[64:67], v1 offset0:119 offset1:120
	buffer_load_dword v75, off, s[0:3], 0 offset:476
	buffer_load_dword v74, off, s[0:3], 0 offset:472
	;; [unrolled: 1-line block ×16, first 2 shown]
	v_mul_f32_e32 v3, v3, v68
	v_fma_f32 v2, v2, v95, -v3
	v_mul_f32_e32 v3, v5, v70
	v_add_f32_e32 v2, 0, v2
	v_fma_f32 v3, v4, v94, -v3
	v_add_f32_e32 v2, v2, v3
	v_mul_f32_e32 v3, v9, v92
	v_fma_f32 v3, v8, v93, -v3
	v_add_f32_e32 v2, v2, v3
	v_mul_f32_e32 v3, v11, v72
	;; [unrolled: 3-line block ×26, first 2 shown]
	v_fma_f32 v3, v58, v141, -v3
	v_add_f32_e32 v2, v2, v3
	s_waitcnt vmcnt(20) lgkmcnt(1)
	v_mul_f32_e32 v3, v61, v144
	v_mul_f32_e32 v71, v60, v144
	v_fma_f32 v3, v60, v143, -v3
	v_fmac_f32_e32 v71, v61, v143
	v_add_f32_e32 v68, v2, v3
	s_waitcnt vmcnt(18)
	v_mul_f32_e32 v2, v63, v146
	s_waitcnt vmcnt(9)
	v_mov_b32_e32 v20, v81
	v_add_f32_e32 v69, v69, v71
	v_mul_f32_e32 v71, v62, v146
	v_fma_f32 v70, v62, v145, -v2
	s_waitcnt lgkmcnt(0)
	v_mul_f32_e32 v2, v65, v148
	v_pk_mul_f32 v[20:21], v[66:67], v[20:21] op_sel_hi:[1,0]
	v_fmac_f32_e32 v71, v63, v145
	v_mul_f32_e32 v73, v64, v148
	v_fma_f32 v72, v64, v147, -v2
	ds_read2_b64 v[2:5], v1 offset0:121 offset1:122
	ds_read2_b64 v[8:11], v1 offset0:123 offset1:124
	ds_read2_b64 v[12:15], v1 offset0:125 offset1:126
	ds_read_b64 v[16:17], v1 offset:1016
	s_waitcnt vmcnt(8)
	v_pk_fma_f32 v[22:23], v[66:67], v[80:81], v[20:21] op_sel:[0,0,1] op_sel_hi:[1,1,0] neg_lo:[0,0,1] neg_hi:[0,0,1]
	v_pk_fma_f32 v[20:21], v[66:67], v[80:81], v[20:21] op_sel:[0,0,1] op_sel_hi:[1,0,0]
	v_fmac_f32_e32 v73, v65, v147
	v_pk_add_f32 v[18:19], v[68:69], v[70:71]
	v_mov_b32_e32 v20, v79
	v_pk_add_f32 v[18:19], v[18:19], v[72:73]
	v_mov_b32_e32 v23, v21
	s_waitcnt lgkmcnt(3)
	v_pk_mul_f32 v[20:21], v[2:3], v[20:21] op_sel_hi:[1,0]
	v_pk_add_f32 v[18:19], v[18:19], v[22:23]
	v_pk_fma_f32 v[22:23], v[2:3], v[78:79], v[20:21] op_sel:[0,0,1] op_sel_hi:[1,1,0] neg_lo:[0,0,1] neg_hi:[0,0,1]
	v_pk_fma_f32 v[2:3], v[2:3], v[78:79], v[20:21] op_sel:[0,0,1] op_sel_hi:[1,0,0]
	v_mov_b32_e32 v23, v3
	v_pk_add_f32 v[2:3], v[18:19], v[22:23]
	v_mov_b32_e32 v18, v77
	v_pk_mul_f32 v[18:19], v[4:5], v[18:19] op_sel_hi:[1,0]
	v_pk_fma_f32 v[20:21], v[4:5], v[76:77], v[18:19] op_sel:[0,0,1] op_sel_hi:[1,1,0] neg_lo:[0,0,1] neg_hi:[0,0,1]
	v_pk_fma_f32 v[4:5], v[4:5], v[76:77], v[18:19] op_sel:[0,0,1] op_sel_hi:[1,0,0]
	v_mov_b32_e32 v4, v75
	v_mov_b32_e32 v21, v5
	s_waitcnt lgkmcnt(2)
	v_pk_mul_f32 v[4:5], v[8:9], v[4:5] op_sel_hi:[1,0]
	v_pk_fma_f32 v[18:19], v[8:9], v[74:75], v[4:5] op_sel:[0,0,1] op_sel_hi:[1,1,0] neg_lo:[0,0,1] neg_hi:[0,0,1]
	v_pk_fma_f32 v[4:5], v[8:9], v[74:75], v[4:5] op_sel:[0,0,1] op_sel_hi:[1,0,0]
	s_waitcnt vmcnt(1)
	v_mov_b32_e32 v4, v89
	v_mov_b32_e32 v19, v5
	v_pk_mul_f32 v[4:5], v[10:11], v[4:5] op_sel_hi:[1,0]
	s_waitcnt vmcnt(0)
	v_pk_fma_f32 v[8:9], v[10:11], v[88:89], v[4:5] op_sel:[0,0,1] op_sel_hi:[1,1,0] neg_lo:[0,0,1] neg_hi:[0,0,1]
	v_pk_fma_f32 v[4:5], v[10:11], v[88:89], v[4:5] op_sel:[0,0,1] op_sel_hi:[1,0,0]
	v_pk_add_f32 v[2:3], v[2:3], v[20:21]
	v_mov_b32_e32 v4, v87
	v_pk_add_f32 v[2:3], v[2:3], v[18:19]
	v_mov_b32_e32 v9, v5
	s_waitcnt lgkmcnt(1)
	v_pk_mul_f32 v[4:5], v[12:13], v[4:5] op_sel_hi:[1,0]
	v_pk_add_f32 v[2:3], v[2:3], v[8:9]
	v_pk_fma_f32 v[8:9], v[12:13], v[86:87], v[4:5] op_sel:[0,0,1] op_sel_hi:[1,1,0] neg_lo:[0,0,1] neg_hi:[0,0,1]
	v_pk_fma_f32 v[4:5], v[12:13], v[86:87], v[4:5] op_sel:[0,0,1] op_sel_hi:[1,0,0]
	v_mov_b32_e32 v4, v85
	v_mov_b32_e32 v9, v5
	v_pk_mul_f32 v[4:5], v[14:15], v[4:5] op_sel_hi:[1,0]
	v_pk_add_f32 v[2:3], v[2:3], v[8:9]
	v_pk_fma_f32 v[8:9], v[14:15], v[84:85], v[4:5] op_sel:[0,0,1] op_sel_hi:[1,1,0] neg_lo:[0,0,1] neg_hi:[0,0,1]
	v_pk_fma_f32 v[4:5], v[14:15], v[84:85], v[4:5] op_sel:[0,0,1] op_sel_hi:[1,0,0]
	v_mov_b32_e32 v4, v83
	v_mov_b32_e32 v9, v5
	s_waitcnt lgkmcnt(0)
	v_pk_mul_f32 v[4:5], v[16:17], v[4:5] op_sel_hi:[1,0]
	v_pk_add_f32 v[2:3], v[2:3], v[8:9]
	v_pk_fma_f32 v[8:9], v[16:17], v[82:83], v[4:5] op_sel:[0,0,1] op_sel_hi:[1,1,0] neg_lo:[0,0,1] neg_hi:[0,0,1]
	v_pk_fma_f32 v[4:5], v[16:17], v[82:83], v[4:5] op_sel:[0,0,1] op_sel_hi:[1,0,0]
	v_mov_b32_e32 v9, v5
	v_pk_add_f32 v[2:3], v[2:3], v[8:9]
	v_pk_add_f32 v[2:3], v[6:7], v[2:3] neg_lo:[0,1] neg_hi:[0,1]
	buffer_store_dword v3, off, s[0:3], 0 offset:196
	buffer_store_dword v2, off, s[0:3], 0 offset:192
	s_and_saveexec_b64 s[4:5], vcc
	s_cbranch_execz .LBB63_351
; %bb.350:
	buffer_load_dword v2, off, s[0:3], 0 offset:184
	buffer_load_dword v3, off, s[0:3], 0 offset:188
	s_waitcnt vmcnt(0)
	ds_write_b64 v223, v[2:3]
	buffer_store_dword v1, off, s[0:3], 0 offset:184
	buffer_store_dword v1, off, s[0:3], 0 offset:188
.LBB63_351:
	s_or_b64 exec, exec, s[4:5]
	s_waitcnt lgkmcnt(0)
	; wave barrier
	s_waitcnt lgkmcnt(0)
	buffer_load_dword v68, off, s[0:3], 0 offset:196
	buffer_load_dword v70, off, s[0:3], 0 offset:204
	;; [unrolled: 1-line block ×26, first 2 shown]
	ds_read_b128 v[14:17], v1 offset:704
	ds_read_b128 v[6:9], v1 offset:720
	buffer_load_dword v111, off, s[0:3], 0 offset:288
	buffer_load_dword v112, off, s[0:3], 0 offset:292
	ds_read_b128 v[10:13], v1 offset:736
	ds_read_b128 v[2:5], v1 offset:752
	buffer_load_dword v113, off, s[0:3], 0 offset:296
	buffer_load_dword v114, off, s[0:3], 0 offset:300
	;; [unrolled: 1-line block ×32, first 2 shown]
	v_cmp_lt_u32_e32 vcc, 22, v0
	s_waitcnt vmcnt(59) lgkmcnt(3)
	v_mul_f32_e32 v20, v14, v68
	s_waitcnt vmcnt(58)
	v_mul_f32_e32 v21, v16, v70
	s_waitcnt vmcnt(57) lgkmcnt(2)
	v_mul_f32_e32 v23, v8, v78
	s_waitcnt vmcnt(56) lgkmcnt(1)
	v_mul_f32_e32 v24, v10, v90
	s_waitcnt vmcnt(55)
	v_mul_f32_e32 v25, v12, v91
	s_waitcnt vmcnt(54)
	v_mul_f32_e32 v22, v6, v92
	s_waitcnt vmcnt(53) lgkmcnt(0)
	v_mul_f32_e32 v26, v2, v93
	s_waitcnt vmcnt(52)
	v_mul_f32_e32 v27, v4, v94
	s_waitcnt vmcnt(51)
	v_fmac_f32_e32 v22, v7, v95
	s_waitcnt vmcnt(50)
	v_fmac_f32_e32 v21, v17, v96
	;; [unrolled: 2-line block ×3, first 2 shown]
	v_add_f32_e32 v20, 0, v20
	v_add_f32_e32 v20, v20, v21
	;; [unrolled: 1-line block ×3, first 2 shown]
	s_waitcnt vmcnt(45)
	v_fmac_f32_e32 v23, v9, v101
	v_fmac_f32_e32 v24, v11, v100
	v_add_f32_e32 v20, v20, v23
	v_fmac_f32_e32 v25, v13, v99
	v_add_f32_e32 v20, v20, v24
	;; [unrolled: 2-line block ×3, first 2 shown]
	v_add_f32_e32 v24, v20, v26
	ds_read_b128 v[20:23], v1 offset:768
	s_waitcnt vmcnt(41)
	v_fmac_f32_e32 v27, v5, v105
	buffer_load_dword v145, off, s[0:3], 0 offset:424
	buffer_load_dword v146, off, s[0:3], 0 offset:428
	v_add_f32_e32 v28, v24, v27
	buffer_load_dword v147, off, s[0:3], 0 offset:432
	buffer_load_dword v148, off, s[0:3], 0 offset:436
	ds_read_b128 v[24:27], v1 offset:784
	s_waitcnt vmcnt(44) lgkmcnt(1)
	v_mul_f32_e32 v29, v20, v106
	v_fmac_f32_e32 v29, v21, v104
	v_add_f32_e32 v28, v28, v29
	s_waitcnt vmcnt(43)
	v_mul_f32_e32 v29, v22, v107
	v_fmac_f32_e32 v29, v23, v103
	v_add_f32_e32 v28, v28, v29
	s_waitcnt vmcnt(42) lgkmcnt(0)
	v_mul_f32_e32 v29, v24, v108
	v_fmac_f32_e32 v29, v25, v102
	buffer_load_dword v149, off, s[0:3], 0 offset:440
	buffer_load_dword v150, off, s[0:3], 0 offset:444
	v_add_f32_e32 v32, v28, v29
	ds_read_b128 v[28:31], v1 offset:800
	s_waitcnt vmcnt(40)
	v_mul_f32_e32 v33, v26, v110
	v_fmac_f32_e32 v33, v27, v109
	v_add_f32_e32 v36, v32, v33
	ds_read_b128 v[32:35], v1 offset:816
	s_waitcnt vmcnt(38) lgkmcnt(1)
	v_mul_f32_e32 v37, v28, v112
	v_fmac_f32_e32 v37, v29, v111
	v_add_f32_e32 v36, v36, v37
	s_waitcnt vmcnt(36)
	v_mul_f32_e32 v37, v30, v114
	v_fmac_f32_e32 v37, v31, v113
	v_add_f32_e32 v36, v36, v37
	s_waitcnt vmcnt(34) lgkmcnt(0)
	v_mul_f32_e32 v37, v32, v116
	v_fmac_f32_e32 v37, v33, v115
	v_add_f32_e32 v40, v36, v37
	ds_read_b128 v[36:39], v1 offset:832
	s_waitcnt vmcnt(32)
	v_mul_f32_e32 v41, v34, v118
	v_fmac_f32_e32 v41, v35, v117
	v_add_f32_e32 v44, v40, v41
	ds_read_b128 v[40:43], v1 offset:848
	s_waitcnt vmcnt(30) lgkmcnt(1)
	v_mul_f32_e32 v45, v36, v120
	v_fmac_f32_e32 v45, v37, v119
	v_add_f32_e32 v44, v44, v45
	s_waitcnt vmcnt(28)
	v_mul_f32_e32 v45, v38, v122
	v_fmac_f32_e32 v45, v39, v121
	v_add_f32_e32 v44, v44, v45
	s_waitcnt vmcnt(26) lgkmcnt(0)
	v_mul_f32_e32 v45, v40, v124
	v_fmac_f32_e32 v45, v41, v123
	;; [unrolled: 18-line block ×4, first 2 shown]
	s_waitcnt vmcnt(8)
	v_mul_f32_e32 v65, v58, v142
	v_add_f32_e32 v64, v60, v61
	v_fmac_f32_e32 v65, v59, v141
	ds_read_b128 v[60:63], v1 offset:928
	v_add_f32_e32 v69, v64, v65
	ds_read_b128 v[64:67], v1 offset:944
	buffer_load_dword v73, off, s[0:3], 0 offset:468
	buffer_load_dword v72, off, s[0:3], 0 offset:464
	;; [unrolled: 1-line block ×16, first 2 shown]
	v_mul_f32_e32 v15, v15, v68
	v_fma_f32 v14, v14, v97, -v15
	v_mul_f32_e32 v15, v17, v70
	v_add_f32_e32 v14, 0, v14
	v_fma_f32 v15, v16, v96, -v15
	v_mul_f32_e32 v7, v7, v92
	v_add_f32_e32 v14, v14, v15
	;; [unrolled: 3-line block ×3, first 2 shown]
	v_fma_f32 v7, v8, v101, -v7
	v_add_f32_e32 v6, v6, v7
	v_mul_f32_e32 v7, v11, v90
	v_fma_f32 v7, v10, v100, -v7
	v_add_f32_e32 v6, v6, v7
	v_mul_f32_e32 v7, v13, v91
	v_fma_f32 v7, v12, v99, -v7
	v_mul_f32_e32 v3, v3, v93
	v_add_f32_e32 v6, v6, v7
	v_fma_f32 v2, v2, v98, -v3
	v_mul_f32_e32 v3, v5, v94
	v_add_f32_e32 v2, v6, v2
	v_fma_f32 v3, v4, v105, -v3
	v_add_f32_e32 v2, v2, v3
	v_mul_f32_e32 v3, v21, v106
	v_fma_f32 v3, v20, v104, -v3
	v_add_f32_e32 v2, v2, v3
	v_mul_f32_e32 v3, v23, v107
	;; [unrolled: 3-line block ×20, first 2 shown]
	v_fma_f32 v3, v58, v141, -v3
	v_add_f32_e32 v2, v2, v3
	s_waitcnt vmcnt(22) lgkmcnt(1)
	v_mul_f32_e32 v3, v61, v144
	v_fma_f32 v3, v60, v143, -v3
	v_add_f32_e32 v2, v2, v3
	s_waitcnt vmcnt(20)
	v_mul_f32_e32 v3, v63, v146
	v_mul_f32_e32 v71, v60, v144
	v_fma_f32 v3, v62, v145, -v3
	v_fmac_f32_e32 v71, v61, v143
	v_add_f32_e32 v68, v2, v3
	s_waitcnt vmcnt(18) lgkmcnt(0)
	v_mul_f32_e32 v2, v65, v148
	v_add_f32_e32 v69, v69, v71
	v_mul_f32_e32 v71, v62, v146
	v_fma_f32 v70, v64, v147, -v2
	s_waitcnt vmcnt(16)
	v_mul_f32_e32 v2, v67, v150
	v_fmac_f32_e32 v71, v63, v145
	v_fma_f32 v78, v66, v149, -v2
	ds_read_b128 v[2:5], v1 offset:960
	ds_read_b128 v[6:9], v1 offset:976
	;; [unrolled: 1-line block ×4, first 2 shown]
	v_add_f32_e32 v69, v69, v71
	v_mul_f32_e32 v71, v64, v148
	s_waitcnt vmcnt(11)
	v_mov_b32_e32 v22, v77
	v_fmac_f32_e32 v71, v65, v147
	v_mul_f32_e32 v79, v66, v150
	s_waitcnt lgkmcnt(3)
	v_pk_mul_f32 v[22:23], v[2:3], v[22:23] op_sel_hi:[1,0]
	v_fmac_f32_e32 v79, v67, v149
	v_pk_add_f32 v[20:21], v[68:69], v[70:71]
	s_waitcnt vmcnt(10)
	v_pk_fma_f32 v[24:25], v[2:3], v[76:77], v[22:23] op_sel:[0,0,1] op_sel_hi:[1,1,0] neg_lo:[0,0,1] neg_hi:[0,0,1]
	v_pk_fma_f32 v[2:3], v[2:3], v[76:77], v[22:23] op_sel:[0,0,1] op_sel_hi:[1,0,0]
	v_pk_add_f32 v[20:21], v[20:21], v[78:79]
	v_mov_b32_e32 v25, v3
	v_pk_add_f32 v[2:3], v[20:21], v[24:25]
	v_mov_b32_e32 v20, v75
	v_pk_mul_f32 v[20:21], v[4:5], v[20:21] op_sel_hi:[1,0]
	v_pk_fma_f32 v[22:23], v[4:5], v[74:75], v[20:21] op_sel:[0,0,1] op_sel_hi:[1,1,0] neg_lo:[0,0,1] neg_hi:[0,0,1]
	v_pk_fma_f32 v[4:5], v[4:5], v[74:75], v[20:21] op_sel:[0,0,1] op_sel_hi:[1,0,0]
	v_mov_b32_e32 v4, v73
	v_mov_b32_e32 v23, v5
	s_waitcnt lgkmcnt(2)
	v_pk_mul_f32 v[4:5], v[6:7], v[4:5] op_sel_hi:[1,0]
	v_pk_fma_f32 v[20:21], v[6:7], v[72:73], v[4:5] op_sel:[0,0,1] op_sel_hi:[1,1,0] neg_lo:[0,0,1] neg_hi:[0,0,1]
	v_pk_fma_f32 v[4:5], v[6:7], v[72:73], v[4:5] op_sel:[0,0,1] op_sel_hi:[1,0,0]
	s_waitcnt vmcnt(3)
	v_mov_b32_e32 v4, v87
	v_mov_b32_e32 v21, v5
	v_pk_mul_f32 v[4:5], v[8:9], v[4:5] op_sel_hi:[1,0]
	s_waitcnt vmcnt(2)
	v_pk_fma_f32 v[6:7], v[8:9], v[86:87], v[4:5] op_sel:[0,0,1] op_sel_hi:[1,1,0] neg_lo:[0,0,1] neg_hi:[0,0,1]
	v_pk_fma_f32 v[4:5], v[8:9], v[86:87], v[4:5] op_sel:[0,0,1] op_sel_hi:[1,0,0]
	v_pk_add_f32 v[2:3], v[2:3], v[22:23]
	v_mov_b32_e32 v4, v85
	v_pk_add_f32 v[2:3], v[2:3], v[20:21]
	v_mov_b32_e32 v7, v5
	s_waitcnt lgkmcnt(1)
	v_pk_mul_f32 v[4:5], v[10:11], v[4:5] op_sel_hi:[1,0]
	v_pk_add_f32 v[2:3], v[2:3], v[6:7]
	v_pk_fma_f32 v[6:7], v[10:11], v[84:85], v[4:5] op_sel:[0,0,1] op_sel_hi:[1,1,0] neg_lo:[0,0,1] neg_hi:[0,0,1]
	v_pk_fma_f32 v[4:5], v[10:11], v[84:85], v[4:5] op_sel:[0,0,1] op_sel_hi:[1,0,0]
	v_mov_b32_e32 v4, v83
	v_mov_b32_e32 v7, v5
	v_pk_mul_f32 v[4:5], v[12:13], v[4:5] op_sel_hi:[1,0]
	v_pk_add_f32 v[2:3], v[2:3], v[6:7]
	v_pk_fma_f32 v[6:7], v[12:13], v[82:83], v[4:5] op_sel:[0,0,1] op_sel_hi:[1,1,0] neg_lo:[0,0,1] neg_hi:[0,0,1]
	v_pk_fma_f32 v[4:5], v[12:13], v[82:83], v[4:5] op_sel:[0,0,1] op_sel_hi:[1,0,0]
	v_mov_b32_e32 v4, v81
	v_mov_b32_e32 v7, v5
	s_waitcnt lgkmcnt(0)
	v_pk_mul_f32 v[4:5], v[14:15], v[4:5] op_sel_hi:[1,0]
	v_pk_add_f32 v[2:3], v[2:3], v[6:7]
	v_pk_fma_f32 v[6:7], v[14:15], v[80:81], v[4:5] op_sel:[0,0,1] op_sel_hi:[1,1,0] neg_lo:[0,0,1] neg_hi:[0,0,1]
	v_pk_fma_f32 v[4:5], v[14:15], v[80:81], v[4:5] op_sel:[0,0,1] op_sel_hi:[1,0,0]
	s_waitcnt vmcnt(1)
	v_mov_b32_e32 v4, v89
	v_mov_b32_e32 v7, v5
	v_pk_mul_f32 v[4:5], v[16:17], v[4:5] op_sel_hi:[1,0]
	v_pk_add_f32 v[2:3], v[2:3], v[6:7]
	s_waitcnt vmcnt(0)
	v_pk_fma_f32 v[6:7], v[16:17], v[88:89], v[4:5] op_sel:[0,0,1] op_sel_hi:[1,1,0] neg_lo:[0,0,1] neg_hi:[0,0,1]
	v_pk_fma_f32 v[4:5], v[16:17], v[88:89], v[4:5] op_sel:[0,0,1] op_sel_hi:[1,0,0]
	v_mov_b32_e32 v7, v5
	v_pk_add_f32 v[2:3], v[2:3], v[6:7]
	v_pk_add_f32 v[2:3], v[18:19], v[2:3] neg_lo:[0,1] neg_hi:[0,1]
	buffer_store_dword v3, off, s[0:3], 0 offset:188
	buffer_store_dword v2, off, s[0:3], 0 offset:184
	s_and_saveexec_b64 s[4:5], vcc
	s_cbranch_execz .LBB63_353
; %bb.352:
	buffer_load_dword v2, off, s[0:3], 0 offset:176
	buffer_load_dword v3, off, s[0:3], 0 offset:180
	v_mov_b32_e32 v1, 0
	buffer_store_dword v1, off, s[0:3], 0 offset:176
	buffer_store_dword v1, off, s[0:3], 0 offset:180
	s_waitcnt vmcnt(2)
	ds_write_b64 v223, v[2:3]
.LBB63_353:
	s_or_b64 exec, exec, s[4:5]
	v_mov_b32_e32 v1, 0
	s_waitcnt lgkmcnt(0)
	; wave barrier
	s_waitcnt lgkmcnt(0)
	ds_read2_b64 v[2:5], v1 offset0:87 offset1:88
	buffer_load_dword v70, off, s[0:3], 0 offset:176
	buffer_load_dword v71, off, s[0:3], 0 offset:180
	;; [unrolled: 1-line block ×16, first 2 shown]
	v_cmp_lt_u32_e32 vcc, 21, v0
	s_waitcnt vmcnt(12) lgkmcnt(0)
	v_mul_f32_e32 v6, v2, v94
	v_fmac_f32_e32 v6, v3, v72
	s_waitcnt vmcnt(10)
	v_mul_f32_e32 v7, v4, v96
	v_add_f32_e32 v6, 0, v6
	v_fmac_f32_e32 v7, v5, v74
	v_add_f32_e32 v10, v6, v7
	ds_read2_b64 v[6:9], v1 offset0:89 offset1:90
	v_mul_f32_e32 v3, v3, v94
	v_fma_f32 v2, v2, v72, -v3
	v_mul_f32_e32 v3, v5, v96
	v_add_f32_e32 v2, 0, v2
	s_waitcnt vmcnt(8) lgkmcnt(0)
	v_mul_f32_e32 v11, v6, v98
	v_fmac_f32_e32 v11, v7, v78
	v_add_f32_e32 v10, v10, v11
	s_waitcnt vmcnt(6)
	v_mul_f32_e32 v11, v8, v100
	v_fmac_f32_e32 v11, v9, v95
	v_add_f32_e32 v14, v10, v11
	ds_read2_b64 v[10:13], v1 offset0:91 offset1:92
	v_fma_f32 v3, v4, v74, -v3
	v_add_f32_e32 v2, v2, v3
	v_mul_f32_e32 v3, v7, v98
	v_fma_f32 v3, v6, v78, -v3
	s_waitcnt vmcnt(4) lgkmcnt(0)
	v_mul_f32_e32 v15, v10, v102
	v_fmac_f32_e32 v15, v11, v97
	v_add_f32_e32 v14, v14, v15
	s_waitcnt vmcnt(2)
	v_mul_f32_e32 v15, v12, v103
	v_fmac_f32_e32 v15, v13, v99
	v_add_f32_e32 v18, v14, v15
	ds_read2_b64 v[14:17], v1 offset0:93 offset1:94
	buffer_load_dword v105, off, s[0:3], 0 offset:240
	buffer_load_dword v106, off, s[0:3], 0 offset:244
	v_add_f32_e32 v2, v2, v3
	v_mul_f32_e32 v3, v9, v100
	v_fma_f32 v3, v8, v95, -v3
	s_waitcnt vmcnt(2) lgkmcnt(0)
	v_mul_f32_e32 v19, v14, v104
	v_fmac_f32_e32 v19, v15, v101
	v_add_f32_e32 v18, v18, v19
	v_add_f32_e32 v2, v2, v3
	v_mul_f32_e32 v3, v11, v102
	v_fma_f32 v3, v10, v97, -v3
	v_add_f32_e32 v2, v2, v3
	v_mul_f32_e32 v3, v13, v103
	v_fma_f32 v3, v12, v99, -v3
	;; [unrolled: 3-line block ×3, first 2 shown]
	v_add_f32_e32 v2, v2, v3
	s_waitcnt vmcnt(0)
	v_mul_f32_e32 v19, v16, v106
	v_fmac_f32_e32 v19, v17, v105
	v_add_f32_e32 v22, v18, v19
	ds_read2_b64 v[18:21], v1 offset0:95 offset1:96
	buffer_load_dword v107, off, s[0:3], 0 offset:248
	buffer_load_dword v108, off, s[0:3], 0 offset:252
	buffer_load_dword v109, off, s[0:3], 0 offset:256
	buffer_load_dword v110, off, s[0:3], 0 offset:260
	ds_read2_b64 v[26:29], v1 offset0:97 offset1:98
	buffer_load_dword v111, off, s[0:3], 0 offset:264
	buffer_load_dword v112, off, s[0:3], 0 offset:268
	buffer_load_dword v113, off, s[0:3], 0 offset:272
	buffer_load_dword v114, off, s[0:3], 0 offset:276
	;; [unrolled: 5-line block ×12, first 2 shown]
	v_mul_f32_e32 v3, v17, v106
	v_fma_f32 v3, v16, v105, -v3
	v_add_f32_e32 v2, v2, v3
	s_waitcnt vmcnt(46) lgkmcnt(11)
	v_mul_f32_e32 v23, v18, v108
	v_fmac_f32_e32 v23, v19, v107
	v_add_f32_e32 v22, v22, v23
	s_waitcnt vmcnt(44)
	v_mul_f32_e32 v23, v20, v110
	v_fmac_f32_e32 v23, v21, v109
	v_add_f32_e32 v22, v22, v23
	s_waitcnt vmcnt(42) lgkmcnt(10)
	v_mul_f32_e32 v23, v26, v112
	v_fmac_f32_e32 v23, v27, v111
	v_add_f32_e32 v22, v22, v23
	s_waitcnt vmcnt(40)
	v_mul_f32_e32 v23, v28, v114
	v_fmac_f32_e32 v23, v29, v113
	v_add_f32_e32 v22, v22, v23
	s_waitcnt vmcnt(38) lgkmcnt(9)
	v_mul_f32_e32 v23, v30, v116
	v_fmac_f32_e32 v23, v31, v115
	v_add_f32_e32 v22, v22, v23
	s_waitcnt vmcnt(36)
	v_mul_f32_e32 v23, v32, v118
	v_fmac_f32_e32 v23, v33, v117
	v_add_f32_e32 v22, v22, v23
	s_waitcnt vmcnt(34) lgkmcnt(8)
	v_mul_f32_e32 v23, v34, v120
	v_fmac_f32_e32 v23, v35, v119
	v_add_f32_e32 v22, v22, v23
	s_waitcnt vmcnt(32)
	v_mul_f32_e32 v23, v36, v122
	v_fmac_f32_e32 v23, v37, v121
	v_add_f32_e32 v22, v22, v23
	s_waitcnt vmcnt(30) lgkmcnt(7)
	v_mul_f32_e32 v23, v38, v124
	v_fmac_f32_e32 v23, v39, v123
	v_add_f32_e32 v22, v22, v23
	s_waitcnt vmcnt(28)
	v_mul_f32_e32 v23, v40, v126
	v_fmac_f32_e32 v23, v41, v125
	v_add_f32_e32 v22, v22, v23
	s_waitcnt vmcnt(26) lgkmcnt(6)
	v_mul_f32_e32 v23, v42, v128
	v_fmac_f32_e32 v23, v43, v127
	v_add_f32_e32 v22, v22, v23
	s_waitcnt vmcnt(24)
	v_mul_f32_e32 v23, v44, v130
	v_fmac_f32_e32 v23, v45, v129
	v_add_f32_e32 v22, v22, v23
	s_waitcnt vmcnt(22) lgkmcnt(5)
	v_mul_f32_e32 v23, v46, v132
	v_fmac_f32_e32 v23, v47, v131
	v_add_f32_e32 v22, v22, v23
	s_waitcnt vmcnt(20)
	v_mul_f32_e32 v23, v48, v134
	v_fmac_f32_e32 v23, v49, v133
	v_add_f32_e32 v22, v22, v23
	s_waitcnt vmcnt(18) lgkmcnt(4)
	v_mul_f32_e32 v23, v50, v136
	v_fmac_f32_e32 v23, v51, v135
	v_add_f32_e32 v22, v22, v23
	s_waitcnt vmcnt(16)
	v_mul_f32_e32 v23, v52, v138
	v_fmac_f32_e32 v23, v53, v137
	v_add_f32_e32 v22, v22, v23
	s_waitcnt vmcnt(14) lgkmcnt(3)
	v_mul_f32_e32 v23, v54, v140
	v_fmac_f32_e32 v23, v55, v139
	v_add_f32_e32 v22, v22, v23
	s_waitcnt vmcnt(12)
	v_mul_f32_e32 v23, v56, v142
	v_fmac_f32_e32 v23, v57, v141
	v_add_f32_e32 v22, v22, v23
	s_waitcnt vmcnt(10) lgkmcnt(2)
	v_mul_f32_e32 v23, v58, v144
	v_fmac_f32_e32 v23, v59, v143
	v_add_f32_e32 v22, v22, v23
	s_waitcnt vmcnt(8)
	v_mul_f32_e32 v23, v60, v146
	v_fmac_f32_e32 v23, v61, v145
	v_add_f32_e32 v22, v22, v23
	s_waitcnt vmcnt(6) lgkmcnt(1)
	v_mul_f32_e32 v23, v62, v148
	v_fmac_f32_e32 v23, v63, v147
	v_add_f32_e32 v22, v22, v23
	s_waitcnt vmcnt(4)
	v_mul_f32_e32 v23, v64, v150
	v_fmac_f32_e32 v23, v65, v149
	v_add_f32_e32 v22, v22, v23
	s_waitcnt vmcnt(2) lgkmcnt(0)
	v_mul_f32_e32 v23, v66, v152
	v_fmac_f32_e32 v23, v67, v151
	v_add_f32_e32 v73, v22, v23
	ds_read2_b64 v[22:25], v1 offset0:119 offset1:120
	buffer_load_dword v155, off, s[0:3], 0 offset:440
	buffer_load_dword v156, off, s[0:3], 0 offset:444
	;; [unrolled: 1-line block ×18, first 2 shown]
	v_mul_f32_e32 v3, v19, v108
	v_fma_f32 v3, v18, v107, -v3
	v_add_f32_e32 v2, v2, v3
	v_mul_f32_e32 v3, v21, v110
	v_fma_f32 v3, v20, v109, -v3
	v_add_f32_e32 v2, v2, v3
	;; [unrolled: 3-line block ×23, first 2 shown]
	s_waitcnt vmcnt(18)
	v_mul_f32_e32 v2, v69, v154
	s_waitcnt vmcnt(15)
	v_mov_b32_e32 v18, v77
	v_mul_f32_e32 v75, v68, v154
	v_fma_f32 v74, v68, v153, -v2
	s_waitcnt lgkmcnt(0)
	v_pk_mul_f32 v[18:19], v[24:25], v[18:19] op_sel_hi:[1,0]
	v_fmac_f32_e32 v75, v69, v153
	s_waitcnt vmcnt(14)
	v_pk_fma_f32 v[20:21], v[24:25], v[76:77], v[18:19] op_sel:[0,0,1] op_sel_hi:[1,1,0] neg_lo:[0,0,1] neg_hi:[0,0,1]
	v_pk_fma_f32 v[18:19], v[24:25], v[76:77], v[18:19] op_sel:[0,0,1] op_sel_hi:[1,0,0]
	v_pk_add_f32 v[16:17], v[72:73], v[74:75]
	v_mul_f32_e32 v2, v23, v156
	v_mul_f32_e32 v79, v22, v156
	v_fma_f32 v78, v22, v155, -v2
	ds_read2_b64 v[2:5], v1 offset0:121 offset1:122
	ds_read2_b64 v[6:9], v1 offset0:123 offset1:124
	;; [unrolled: 1-line block ×3, first 2 shown]
	ds_read_b64 v[14:15], v1 offset:1016
	v_fmac_f32_e32 v79, v23, v155
	s_waitcnt vmcnt(13)
	v_mov_b32_e32 v18, v93
	v_pk_add_f32 v[16:17], v[16:17], v[78:79]
	v_mov_b32_e32 v21, v19
	s_waitcnt lgkmcnt(3)
	v_pk_mul_f32 v[18:19], v[2:3], v[18:19] op_sel_hi:[1,0]
	v_pk_add_f32 v[16:17], v[16:17], v[20:21]
	s_waitcnt vmcnt(12)
	v_pk_fma_f32 v[20:21], v[2:3], v[92:93], v[18:19] op_sel:[0,0,1] op_sel_hi:[1,1,0] neg_lo:[0,0,1] neg_hi:[0,0,1]
	v_pk_fma_f32 v[2:3], v[2:3], v[92:93], v[18:19] op_sel:[0,0,1] op_sel_hi:[1,0,0]
	v_mov_b32_e32 v21, v3
	v_pk_add_f32 v[2:3], v[16:17], v[20:21]
	s_waitcnt vmcnt(11)
	v_mov_b32_e32 v16, v91
	v_pk_mul_f32 v[16:17], v[4:5], v[16:17] op_sel_hi:[1,0]
	s_waitcnt vmcnt(10)
	v_pk_fma_f32 v[18:19], v[4:5], v[90:91], v[16:17] op_sel:[0,0,1] op_sel_hi:[1,1,0] neg_lo:[0,0,1] neg_hi:[0,0,1]
	v_pk_fma_f32 v[4:5], v[4:5], v[90:91], v[16:17] op_sel:[0,0,1] op_sel_hi:[1,0,0]
	s_waitcnt vmcnt(9)
	v_mov_b32_e32 v4, v89
	v_mov_b32_e32 v19, v5
	s_waitcnt lgkmcnt(2)
	v_pk_mul_f32 v[4:5], v[6:7], v[4:5] op_sel_hi:[1,0]
	s_waitcnt vmcnt(8)
	v_pk_fma_f32 v[16:17], v[6:7], v[88:89], v[4:5] op_sel:[0,0,1] op_sel_hi:[1,1,0] neg_lo:[0,0,1] neg_hi:[0,0,1]
	v_pk_fma_f32 v[4:5], v[6:7], v[88:89], v[4:5] op_sel:[0,0,1] op_sel_hi:[1,0,0]
	s_waitcnt vmcnt(7)
	v_mov_b32_e32 v4, v87
	v_mov_b32_e32 v17, v5
	v_pk_mul_f32 v[4:5], v[8:9], v[4:5] op_sel_hi:[1,0]
	s_waitcnt vmcnt(6)
	v_pk_fma_f32 v[6:7], v[8:9], v[86:87], v[4:5] op_sel:[0,0,1] op_sel_hi:[1,1,0] neg_lo:[0,0,1] neg_hi:[0,0,1]
	v_pk_fma_f32 v[4:5], v[8:9], v[86:87], v[4:5] op_sel:[0,0,1] op_sel_hi:[1,0,0]
	v_pk_add_f32 v[2:3], v[2:3], v[18:19]
	s_waitcnt vmcnt(5)
	v_mov_b32_e32 v4, v85
	v_pk_add_f32 v[2:3], v[2:3], v[16:17]
	v_mov_b32_e32 v7, v5
	s_waitcnt lgkmcnt(1)
	v_pk_mul_f32 v[4:5], v[10:11], v[4:5] op_sel_hi:[1,0]
	v_pk_add_f32 v[2:3], v[2:3], v[6:7]
	s_waitcnt vmcnt(4)
	v_pk_fma_f32 v[6:7], v[10:11], v[84:85], v[4:5] op_sel:[0,0,1] op_sel_hi:[1,1,0] neg_lo:[0,0,1] neg_hi:[0,0,1]
	v_pk_fma_f32 v[4:5], v[10:11], v[84:85], v[4:5] op_sel:[0,0,1] op_sel_hi:[1,0,0]
	s_waitcnt vmcnt(3)
	v_mov_b32_e32 v4, v83
	v_mov_b32_e32 v7, v5
	v_pk_mul_f32 v[4:5], v[12:13], v[4:5] op_sel_hi:[1,0]
	v_pk_add_f32 v[2:3], v[2:3], v[6:7]
	s_waitcnt vmcnt(2)
	v_pk_fma_f32 v[6:7], v[12:13], v[82:83], v[4:5] op_sel:[0,0,1] op_sel_hi:[1,1,0] neg_lo:[0,0,1] neg_hi:[0,0,1]
	v_pk_fma_f32 v[4:5], v[12:13], v[82:83], v[4:5] op_sel:[0,0,1] op_sel_hi:[1,0,0]
	s_waitcnt vmcnt(1)
	v_mov_b32_e32 v4, v81
	v_mov_b32_e32 v7, v5
	s_waitcnt lgkmcnt(0)
	v_pk_mul_f32 v[4:5], v[14:15], v[4:5] op_sel_hi:[1,0]
	v_pk_add_f32 v[2:3], v[2:3], v[6:7]
	s_waitcnt vmcnt(0)
	v_pk_fma_f32 v[6:7], v[14:15], v[80:81], v[4:5] op_sel:[0,0,1] op_sel_hi:[1,1,0] neg_lo:[0,0,1] neg_hi:[0,0,1]
	v_pk_fma_f32 v[4:5], v[14:15], v[80:81], v[4:5] op_sel:[0,0,1] op_sel_hi:[1,0,0]
	v_mov_b32_e32 v7, v5
	v_pk_add_f32 v[2:3], v[2:3], v[6:7]
	v_pk_add_f32 v[2:3], v[70:71], v[2:3] neg_lo:[0,1] neg_hi:[0,1]
	buffer_store_dword v3, off, s[0:3], 0 offset:180
	buffer_store_dword v2, off, s[0:3], 0 offset:176
	s_and_saveexec_b64 s[4:5], vcc
	s_cbranch_execz .LBB63_355
; %bb.354:
	buffer_load_dword v2, off, s[0:3], 0 offset:168
	buffer_load_dword v3, off, s[0:3], 0 offset:172
	s_waitcnt vmcnt(0)
	ds_write_b64 v223, v[2:3]
	buffer_store_dword v1, off, s[0:3], 0 offset:168
	buffer_store_dword v1, off, s[0:3], 0 offset:172
.LBB63_355:
	s_or_b64 exec, exec, s[4:5]
	s_waitcnt lgkmcnt(0)
	; wave barrier
	s_waitcnt lgkmcnt(0)
	buffer_load_dword v78, off, s[0:3], 0 offset:180
	buffer_load_dword v80, off, s[0:3], 0 offset:188
	;; [unrolled: 1-line block ×24, first 2 shown]
	ds_read_b128 v[22:25], v1 offset:688
	ds_read_b128 v[18:21], v1 offset:704
	;; [unrolled: 1-line block ×4, first 2 shown]
	buffer_load_dword v117, off, s[0:3], 0 offset:264
	buffer_load_dword v118, off, s[0:3], 0 offset:268
	ds_read_b128 v[10:13], v1 offset:752
	ds_read_b128 v[2:5], v1 offset:768
	buffer_load_dword v119, off, s[0:3], 0 offset:272
	buffer_load_dword v120, off, s[0:3], 0 offset:276
	;; [unrolled: 1-line block ×44, first 2 shown]
	v_cmp_lt_u32_e32 vcc, 20, v0
	s_waitcnt vmcnt(62) lgkmcnt(5)
	v_mul_f32_e32 v28, v22, v78
	v_mul_f32_e32 v29, v24, v80
	s_waitcnt lgkmcnt(4)
	v_mul_f32_e32 v31, v20, v82
	s_waitcnt lgkmcnt(3)
	v_mul_f32_e32 v32, v14, v98
	v_mul_f32_e32 v33, v16, v99
	;; [unrolled: 1-line block ×3, first 2 shown]
	s_waitcnt lgkmcnt(2)
	v_mul_f32_e32 v34, v6, v101
	v_mul_f32_e32 v35, v8, v102
	s_waitcnt vmcnt(61)
	v_fmac_f32_e32 v30, v19, v103
	s_waitcnt vmcnt(60)
	v_fmac_f32_e32 v29, v25, v104
	;; [unrolled: 2-line block ×3, first 2 shown]
	v_add_f32_e32 v28, 0, v28
	v_add_f32_e32 v28, v28, v29
	;; [unrolled: 1-line block ×3, first 2 shown]
	s_waitcnt vmcnt(55)
	v_fmac_f32_e32 v31, v21, v109
	v_fmac_f32_e32 v32, v15, v108
	v_add_f32_e32 v28, v28, v31
	v_fmac_f32_e32 v33, v17, v107
	v_add_f32_e32 v28, v28, v32
	;; [unrolled: 2-line block ×3, first 2 shown]
	s_waitcnt vmcnt(51)
	v_fmac_f32_e32 v35, v9, v113
	v_add_f32_e32 v28, v28, v34
	s_waitcnt vmcnt(50) lgkmcnt(1)
	v_mul_f32_e32 v29, v10, v114
	v_add_f32_e32 v28, v28, v35
	v_fmac_f32_e32 v29, v11, v112
	v_add_f32_e32 v28, v28, v29
	s_waitcnt vmcnt(49)
	v_mul_f32_e32 v29, v12, v115
	v_fmac_f32_e32 v29, v13, v111
	v_add_f32_e32 v28, v28, v29
	s_waitcnt vmcnt(48) lgkmcnt(0)
	v_mul_f32_e32 v29, v2, v116
	v_fmac_f32_e32 v29, v3, v110
	v_add_f32_e32 v32, v28, v29
	ds_read_b128 v[28:31], v1 offset:784
	s_waitcnt vmcnt(44)
	v_mul_f32_e32 v33, v4, v118
	v_fmac_f32_e32 v33, v5, v117
	v_add_f32_e32 v36, v32, v33
	ds_read_b128 v[32:35], v1 offset:800
	s_waitcnt vmcnt(42) lgkmcnt(1)
	v_mul_f32_e32 v37, v28, v120
	v_fmac_f32_e32 v37, v29, v119
	v_add_f32_e32 v36, v36, v37
	s_waitcnt vmcnt(40)
	v_mul_f32_e32 v37, v30, v122
	v_fmac_f32_e32 v37, v31, v121
	v_add_f32_e32 v36, v36, v37
	s_waitcnt vmcnt(38) lgkmcnt(0)
	v_mul_f32_e32 v37, v32, v124
	v_fmac_f32_e32 v37, v33, v123
	v_add_f32_e32 v40, v36, v37
	ds_read_b128 v[36:39], v1 offset:816
	s_waitcnt vmcnt(36)
	v_mul_f32_e32 v41, v34, v126
	v_fmac_f32_e32 v41, v35, v125
	v_add_f32_e32 v44, v40, v41
	ds_read_b128 v[40:43], v1 offset:832
	s_waitcnt vmcnt(34) lgkmcnt(1)
	v_mul_f32_e32 v45, v36, v128
	;; [unrolled: 18-line block ×4, first 2 shown]
	v_fmac_f32_e32 v61, v53, v143
	v_add_f32_e32 v60, v60, v61
	s_waitcnt vmcnt(16)
	v_mul_f32_e32 v61, v54, v146
	v_fmac_f32_e32 v61, v55, v145
	v_add_f32_e32 v60, v60, v61
	s_waitcnt vmcnt(14) lgkmcnt(0)
	v_mul_f32_e32 v61, v56, v148
	v_fmac_f32_e32 v61, v57, v147
	v_add_f32_e32 v64, v60, v61
	ds_read_b128 v[60:63], v1 offset:912
	s_waitcnt vmcnt(12)
	v_mul_f32_e32 v65, v58, v150
	v_fmac_f32_e32 v65, v59, v149
	v_add_f32_e32 v68, v64, v65
	ds_read_b128 v[64:67], v1 offset:928
	buffer_load_dword v77, off, s[0:3], 0 offset:452
	buffer_load_dword v76, off, s[0:3], 0 offset:448
	s_waitcnt vmcnt(12) lgkmcnt(1)
	v_mul_f32_e32 v69, v60, v152
	v_fmac_f32_e32 v69, v61, v151
	v_add_f32_e32 v68, v68, v69
	s_waitcnt vmcnt(10)
	v_mul_f32_e32 v69, v62, v154
	v_fmac_f32_e32 v69, v63, v153
	v_add_f32_e32 v68, v68, v69
	s_waitcnt vmcnt(8) lgkmcnt(0)
	v_mul_f32_e32 v69, v64, v156
	v_fmac_f32_e32 v69, v65, v155
	s_waitcnt vmcnt(6)
	v_mul_f32_e32 v73, v66, v158
	v_add_f32_e32 v72, v68, v69
	v_fmac_f32_e32 v73, v67, v157
	ds_read_b128 v[68:71], v1 offset:944
	v_add_f32_e32 v79, v72, v73
	ds_read_b128 v[72:75], v1 offset:960
	buffer_load_dword v85, off, s[0:3], 0 offset:484
	buffer_load_dword v84, off, s[0:3], 0 offset:480
	;; [unrolled: 1-line block ×14, first 2 shown]
	v_mul_f32_e32 v23, v23, v78
	v_fma_f32 v22, v22, v105, -v23
	v_mul_f32_e32 v23, v25, v80
	v_add_f32_e32 v22, 0, v22
	v_fma_f32 v23, v24, v104, -v23
	v_mul_f32_e32 v19, v19, v100
	v_add_f32_e32 v22, v22, v23
	;; [unrolled: 3-line block ×7, first 2 shown]
	v_fma_f32 v7, v8, v113, -v7
	v_add_f32_e32 v6, v6, v7
	v_mul_f32_e32 v7, v11, v114
	v_fma_f32 v7, v10, v112, -v7
	v_add_f32_e32 v6, v6, v7
	v_mul_f32_e32 v7, v13, v115
	v_fma_f32 v7, v12, v111, -v7
	v_mul_f32_e32 v3, v3, v116
	v_add_f32_e32 v6, v6, v7
	v_fma_f32 v2, v2, v110, -v3
	v_mul_f32_e32 v3, v5, v118
	v_add_f32_e32 v2, v6, v2
	v_fma_f32 v3, v4, v117, -v3
	v_add_f32_e32 v2, v2, v3
	v_mul_f32_e32 v3, v29, v120
	v_fma_f32 v3, v28, v119, -v3
	v_add_f32_e32 v2, v2, v3
	v_mul_f32_e32 v3, v31, v122
	;; [unrolled: 3-line block ×20, first 2 shown]
	v_fma_f32 v3, v66, v157, -v3
	s_waitcnt vmcnt(15)
	v_mov_b32_e32 v16, v77
	s_waitcnt lgkmcnt(1)
	v_mul_f32_e32 v81, v68, v160
	v_add_f32_e32 v78, v2, v3
	v_mul_f32_e32 v2, v69, v160
	s_waitcnt lgkmcnt(0)
	v_pk_mul_f32 v[16:17], v[72:73], v[16:17] op_sel_hi:[1,0]
	v_fmac_f32_e32 v81, v69, v159
	v_mul_f32_e32 v83, v70, v162
	v_fma_f32 v80, v68, v159, -v2
	v_mul_f32_e32 v2, v71, v162
	s_waitcnt vmcnt(14)
	v_pk_fma_f32 v[18:19], v[72:73], v[76:77], v[16:17] op_sel:[0,0,1] op_sel_hi:[1,1,0] neg_lo:[0,0,1] neg_hi:[0,0,1]
	v_pk_fma_f32 v[16:17], v[72:73], v[76:77], v[16:17] op_sel:[0,0,1] op_sel_hi:[1,0,0]
	v_fmac_f32_e32 v83, v71, v161
	v_fma_f32 v82, v70, v161, -v2
	v_pk_add_f32 v[14:15], v[78:79], v[80:81]
	s_waitcnt vmcnt(7)
	v_mov_b32_e32 v16, v91
	ds_read_b128 v[2:5], v1 offset:976
	ds_read_b128 v[6:9], v1 offset:992
	;; [unrolled: 1-line block ×3, first 2 shown]
	v_pk_add_f32 v[14:15], v[14:15], v[82:83]
	v_mov_b32_e32 v19, v17
	v_pk_mul_f32 v[16:17], v[74:75], v[16:17] op_sel_hi:[1,0]
	v_pk_add_f32 v[14:15], v[14:15], v[18:19]
	s_waitcnt vmcnt(6)
	v_pk_fma_f32 v[18:19], v[74:75], v[90:91], v[16:17] op_sel:[0,0,1] op_sel_hi:[1,1,0] neg_lo:[0,0,1] neg_hi:[0,0,1]
	v_pk_fma_f32 v[16:17], v[74:75], v[90:91], v[16:17] op_sel:[0,0,1] op_sel_hi:[1,0,0]
	v_mov_b32_e32 v16, v89
	v_mov_b32_e32 v19, v17
	s_waitcnt lgkmcnt(2)
	v_pk_mul_f32 v[16:17], v[2:3], v[16:17] op_sel_hi:[1,0]
	v_pk_add_f32 v[14:15], v[14:15], v[18:19]
	v_pk_fma_f32 v[18:19], v[2:3], v[88:89], v[16:17] op_sel:[0,0,1] op_sel_hi:[1,1,0] neg_lo:[0,0,1] neg_hi:[0,0,1]
	v_pk_fma_f32 v[2:3], v[2:3], v[88:89], v[16:17] op_sel:[0,0,1] op_sel_hi:[1,0,0]
	v_mov_b32_e32 v19, v3
	v_pk_add_f32 v[2:3], v[14:15], v[18:19]
	v_mov_b32_e32 v14, v87
	v_pk_mul_f32 v[14:15], v[4:5], v[14:15] op_sel_hi:[1,0]
	v_pk_fma_f32 v[16:17], v[4:5], v[86:87], v[14:15] op_sel:[0,0,1] op_sel_hi:[1,1,0] neg_lo:[0,0,1] neg_hi:[0,0,1]
	v_pk_fma_f32 v[4:5], v[4:5], v[86:87], v[14:15] op_sel:[0,0,1] op_sel_hi:[1,0,0]
	v_mov_b32_e32 v4, v85
	v_mov_b32_e32 v17, v5
	s_waitcnt lgkmcnt(1)
	v_pk_mul_f32 v[4:5], v[6:7], v[4:5] op_sel_hi:[1,0]
	v_pk_fma_f32 v[14:15], v[6:7], v[84:85], v[4:5] op_sel:[0,0,1] op_sel_hi:[1,1,0] neg_lo:[0,0,1] neg_hi:[0,0,1]
	v_pk_fma_f32 v[4:5], v[6:7], v[84:85], v[4:5] op_sel:[0,0,1] op_sel_hi:[1,0,0]
	s_waitcnt vmcnt(1)
	v_mov_b32_e32 v4, v97
	v_mov_b32_e32 v15, v5
	v_pk_mul_f32 v[4:5], v[8:9], v[4:5] op_sel_hi:[1,0]
	s_waitcnt vmcnt(0)
	v_pk_fma_f32 v[6:7], v[8:9], v[96:97], v[4:5] op_sel:[0,0,1] op_sel_hi:[1,1,0] neg_lo:[0,0,1] neg_hi:[0,0,1]
	v_pk_fma_f32 v[4:5], v[8:9], v[96:97], v[4:5] op_sel:[0,0,1] op_sel_hi:[1,0,0]
	v_pk_add_f32 v[2:3], v[2:3], v[16:17]
	v_mov_b32_e32 v4, v95
	v_pk_add_f32 v[2:3], v[2:3], v[14:15]
	v_mov_b32_e32 v7, v5
	s_waitcnt lgkmcnt(0)
	v_pk_mul_f32 v[4:5], v[10:11], v[4:5] op_sel_hi:[1,0]
	v_pk_add_f32 v[2:3], v[2:3], v[6:7]
	v_pk_fma_f32 v[6:7], v[10:11], v[94:95], v[4:5] op_sel:[0,0,1] op_sel_hi:[1,1,0] neg_lo:[0,0,1] neg_hi:[0,0,1]
	v_pk_fma_f32 v[4:5], v[10:11], v[94:95], v[4:5] op_sel:[0,0,1] op_sel_hi:[1,0,0]
	v_mov_b32_e32 v4, v93
	v_mov_b32_e32 v7, v5
	v_pk_mul_f32 v[4:5], v[12:13], v[4:5] op_sel_hi:[1,0]
	v_pk_add_f32 v[2:3], v[2:3], v[6:7]
	v_pk_fma_f32 v[6:7], v[12:13], v[92:93], v[4:5] op_sel:[0,0,1] op_sel_hi:[1,1,0] neg_lo:[0,0,1] neg_hi:[0,0,1]
	v_pk_fma_f32 v[4:5], v[12:13], v[92:93], v[4:5] op_sel:[0,0,1] op_sel_hi:[1,0,0]
	v_mov_b32_e32 v7, v5
	v_pk_add_f32 v[2:3], v[2:3], v[6:7]
	v_pk_add_f32 v[2:3], v[26:27], v[2:3] neg_lo:[0,1] neg_hi:[0,1]
	buffer_store_dword v3, off, s[0:3], 0 offset:172
	buffer_store_dword v2, off, s[0:3], 0 offset:168
	s_and_saveexec_b64 s[4:5], vcc
	s_cbranch_execz .LBB63_357
; %bb.356:
	buffer_load_dword v2, off, s[0:3], 0 offset:160
	buffer_load_dword v3, off, s[0:3], 0 offset:164
	v_mov_b32_e32 v1, 0
	buffer_store_dword v1, off, s[0:3], 0 offset:160
	buffer_store_dword v1, off, s[0:3], 0 offset:164
	s_waitcnt vmcnt(2)
	ds_write_b64 v223, v[2:3]
.LBB63_357:
	s_or_b64 exec, exec, s[4:5]
	s_waitcnt lgkmcnt(0)
	; wave barrier
	s_waitcnt lgkmcnt(0)
	buffer_load_dword v76, off, s[0:3], 0 offset:172
	buffer_load_dword v78, off, s[0:3], 0 offset:180
	;; [unrolled: 1-line block ×56, first 2 shown]
	v_mov_b32_e32 v1, 0
	ds_read2_b64 v[4:7], v1 offset0:85 offset1:86
	ds_read2_b64 v[8:11], v1 offset0:87 offset1:88
	;; [unrolled: 1-line block ×6, first 2 shown]
	buffer_load_dword v149, off, s[0:3], 0 offset:384
	buffer_load_dword v150, off, s[0:3], 0 offset:388
	;; [unrolled: 1-line block ×16, first 2 shown]
	v_cmp_lt_u32_e32 vcc, 19, v0
	s_waitcnt vmcnt(62) lgkmcnt(5)
	v_mul_f32_e32 v28, v4, v76
	v_mul_f32_e32 v29, v6, v78
	s_waitcnt lgkmcnt(4)
	v_mul_f32_e32 v31, v10, v80
	s_waitcnt lgkmcnt(3)
	v_mul_f32_e32 v32, v12, v98
	v_mul_f32_e32 v33, v14, v99
	v_mul_f32_e32 v30, v8, v100
	s_waitcnt lgkmcnt(2)
	v_mul_f32_e32 v34, v16, v101
	v_mul_f32_e32 v35, v18, v102
	s_waitcnt lgkmcnt(1)
	v_mul_f32_e32 v36, v20, v103
	v_fmac_f32_e32 v30, v9, v104
	s_waitcnt vmcnt(61)
	v_fmac_f32_e32 v29, v7, v105
	s_waitcnt vmcnt(60)
	v_fmac_f32_e32 v28, v5, v106
	v_add_f32_e32 v28, 0, v28
	v_add_f32_e32 v28, v28, v29
	;; [unrolled: 1-line block ×3, first 2 shown]
	s_waitcnt vmcnt(56)
	v_fmac_f32_e32 v31, v11, v110
	v_fmac_f32_e32 v32, v13, v109
	v_add_f32_e32 v28, v28, v31
	v_fmac_f32_e32 v33, v15, v108
	v_add_f32_e32 v28, v28, v32
	;; [unrolled: 2-line block ×3, first 2 shown]
	s_waitcnt vmcnt(52)
	v_fmac_f32_e32 v35, v19, v114
	v_add_f32_e32 v28, v28, v34
	v_add_f32_e32 v28, v28, v35
	v_fmac_f32_e32 v36, v21, v113
	s_waitcnt vmcnt(51)
	v_mul_f32_e32 v29, v22, v115
	v_add_f32_e32 v28, v28, v36
	v_fmac_f32_e32 v29, v23, v112
	v_add_f32_e32 v28, v28, v29
	s_waitcnt vmcnt(50) lgkmcnt(0)
	v_mul_f32_e32 v29, v24, v116
	v_fmac_f32_e32 v29, v25, v111
	v_add_f32_e32 v32, v28, v29
	ds_read2_b64 v[28:31], v1 offset0:97 offset1:98
	s_waitcnt vmcnt(46)
	v_mul_f32_e32 v33, v26, v118
	v_fmac_f32_e32 v33, v27, v117
	v_add_f32_e32 v36, v32, v33
	ds_read2_b64 v[32:35], v1 offset0:99 offset1:100
	s_waitcnt vmcnt(44) lgkmcnt(1)
	v_mul_f32_e32 v37, v28, v120
	v_fmac_f32_e32 v37, v29, v119
	v_add_f32_e32 v36, v36, v37
	s_waitcnt vmcnt(42)
	v_mul_f32_e32 v37, v30, v122
	v_fmac_f32_e32 v37, v31, v121
	v_add_f32_e32 v36, v36, v37
	s_waitcnt vmcnt(40) lgkmcnt(0)
	v_mul_f32_e32 v37, v32, v124
	v_fmac_f32_e32 v37, v33, v123
	v_add_f32_e32 v40, v36, v37
	ds_read2_b64 v[36:39], v1 offset0:101 offset1:102
	s_waitcnt vmcnt(38)
	v_mul_f32_e32 v41, v34, v126
	v_fmac_f32_e32 v41, v35, v125
	v_add_f32_e32 v44, v40, v41
	ds_read2_b64 v[40:43], v1 offset0:103 offset1:104
	s_waitcnt vmcnt(36) lgkmcnt(1)
	v_mul_f32_e32 v45, v36, v128
	v_fmac_f32_e32 v45, v37, v127
	v_add_f32_e32 v44, v44, v45
	s_waitcnt vmcnt(34)
	v_mul_f32_e32 v45, v38, v130
	;; [unrolled: 18-line block ×5, first 2 shown]
	v_fmac_f32_e32 v69, v63, v153
	v_add_f32_e32 v68, v68, v69
	s_waitcnt vmcnt(8) lgkmcnt(0)
	v_mul_f32_e32 v69, v64, v156
	v_fmac_f32_e32 v69, v65, v155
	s_waitcnt vmcnt(6)
	v_mul_f32_e32 v73, v66, v158
	v_add_f32_e32 v72, v68, v69
	v_fmac_f32_e32 v73, v67, v157
	ds_read2_b64 v[68:71], v1 offset0:117 offset1:118
	v_add_f32_e32 v77, v72, v73
	ds_read2_b64 v[72:75], v1 offset0:119 offset1:120
	buffer_load_dword v83, off, s[0:3], 0 offset:476
	buffer_load_dword v82, off, s[0:3], 0 offset:472
	buffer_load_dword v85, off, s[0:3], 0 offset:468
	buffer_load_dword v84, off, s[0:3], 0 offset:464
	buffer_load_dword v87, off, s[0:3], 0 offset:460
	buffer_load_dword v86, off, s[0:3], 0 offset:456
	buffer_load_dword v89, off, s[0:3], 0 offset:452
	buffer_load_dword v88, off, s[0:3], 0 offset:448
	buffer_load_dword v91, off, s[0:3], 0 offset:508
	buffer_load_dword v90, off, s[0:3], 0 offset:504
	buffer_load_dword v93, off, s[0:3], 0 offset:500
	buffer_load_dword v92, off, s[0:3], 0 offset:496
	buffer_load_dword v95, off, s[0:3], 0 offset:492
	buffer_load_dword v94, off, s[0:3], 0 offset:488
	buffer_load_dword v97, off, s[0:3], 0 offset:484
	buffer_load_dword v96, off, s[0:3], 0 offset:480
	v_mul_f32_e32 v5, v5, v76
	v_fma_f32 v4, v4, v106, -v5
	v_mul_f32_e32 v5, v7, v78
	v_add_f32_e32 v4, 0, v4
	v_fma_f32 v5, v6, v105, -v5
	v_add_f32_e32 v4, v4, v5
	v_mul_f32_e32 v5, v9, v100
	v_fma_f32 v5, v8, v104, -v5
	v_add_f32_e32 v4, v4, v5
	v_mul_f32_e32 v5, v11, v80
	;; [unrolled: 3-line block ×30, first 2 shown]
	v_fma_f32 v5, v66, v157, -v5
	v_add_f32_e32 v4, v4, v5
	s_waitcnt vmcnt(20) lgkmcnt(1)
	v_mul_f32_e32 v5, v69, v160
	v_mul_f32_e32 v79, v68, v160
	v_fma_f32 v5, v68, v159, -v5
	v_fmac_f32_e32 v79, v69, v159
	v_add_f32_e32 v76, v4, v5
	s_waitcnt vmcnt(18)
	v_mul_f32_e32 v4, v71, v162
	s_waitcnt vmcnt(9)
	v_mov_b32_e32 v20, v89
	v_add_f32_e32 v77, v77, v79
	v_mul_f32_e32 v79, v70, v162
	v_fma_f32 v78, v70, v161, -v4
	s_waitcnt lgkmcnt(0)
	v_mul_f32_e32 v4, v73, v164
	v_pk_mul_f32 v[20:21], v[74:75], v[20:21] op_sel_hi:[1,0]
	v_fmac_f32_e32 v79, v71, v161
	v_mul_f32_e32 v81, v72, v164
	v_fma_f32 v80, v72, v163, -v4
	ds_read2_b64 v[4:7], v1 offset0:121 offset1:122
	ds_read2_b64 v[8:11], v1 offset0:123 offset1:124
	;; [unrolled: 1-line block ×3, first 2 shown]
	ds_read_b64 v[16:17], v1 offset:1016
	s_waitcnt vmcnt(8)
	v_pk_fma_f32 v[22:23], v[74:75], v[88:89], v[20:21] op_sel:[0,0,1] op_sel_hi:[1,1,0] neg_lo:[0,0,1] neg_hi:[0,0,1]
	v_pk_fma_f32 v[20:21], v[74:75], v[88:89], v[20:21] op_sel:[0,0,1] op_sel_hi:[1,0,0]
	v_fmac_f32_e32 v81, v73, v163
	v_pk_add_f32 v[18:19], v[76:77], v[78:79]
	v_mov_b32_e32 v20, v87
	v_pk_add_f32 v[18:19], v[18:19], v[80:81]
	v_mov_b32_e32 v23, v21
	s_waitcnt lgkmcnt(3)
	v_pk_mul_f32 v[20:21], v[4:5], v[20:21] op_sel_hi:[1,0]
	v_pk_add_f32 v[18:19], v[18:19], v[22:23]
	v_pk_fma_f32 v[22:23], v[4:5], v[86:87], v[20:21] op_sel:[0,0,1] op_sel_hi:[1,1,0] neg_lo:[0,0,1] neg_hi:[0,0,1]
	v_pk_fma_f32 v[4:5], v[4:5], v[86:87], v[20:21] op_sel:[0,0,1] op_sel_hi:[1,0,0]
	v_mov_b32_e32 v23, v5
	v_pk_add_f32 v[4:5], v[18:19], v[22:23]
	v_mov_b32_e32 v18, v85
	v_pk_mul_f32 v[18:19], v[6:7], v[18:19] op_sel_hi:[1,0]
	v_pk_fma_f32 v[20:21], v[6:7], v[84:85], v[18:19] op_sel:[0,0,1] op_sel_hi:[1,1,0] neg_lo:[0,0,1] neg_hi:[0,0,1]
	v_pk_fma_f32 v[6:7], v[6:7], v[84:85], v[18:19] op_sel:[0,0,1] op_sel_hi:[1,0,0]
	v_mov_b32_e32 v6, v83
	v_mov_b32_e32 v21, v7
	s_waitcnt lgkmcnt(2)
	v_pk_mul_f32 v[6:7], v[8:9], v[6:7] op_sel_hi:[1,0]
	v_pk_fma_f32 v[18:19], v[8:9], v[82:83], v[6:7] op_sel:[0,0,1] op_sel_hi:[1,1,0] neg_lo:[0,0,1] neg_hi:[0,0,1]
	v_pk_fma_f32 v[6:7], v[8:9], v[82:83], v[6:7] op_sel:[0,0,1] op_sel_hi:[1,0,0]
	s_waitcnt vmcnt(1)
	v_mov_b32_e32 v6, v97
	v_mov_b32_e32 v19, v7
	v_pk_mul_f32 v[6:7], v[10:11], v[6:7] op_sel_hi:[1,0]
	s_waitcnt vmcnt(0)
	v_pk_fma_f32 v[8:9], v[10:11], v[96:97], v[6:7] op_sel:[0,0,1] op_sel_hi:[1,1,0] neg_lo:[0,0,1] neg_hi:[0,0,1]
	v_pk_fma_f32 v[6:7], v[10:11], v[96:97], v[6:7] op_sel:[0,0,1] op_sel_hi:[1,0,0]
	v_pk_add_f32 v[4:5], v[4:5], v[20:21]
	v_mov_b32_e32 v6, v95
	v_pk_add_f32 v[4:5], v[4:5], v[18:19]
	v_mov_b32_e32 v9, v7
	s_waitcnt lgkmcnt(1)
	v_pk_mul_f32 v[6:7], v[12:13], v[6:7] op_sel_hi:[1,0]
	v_pk_add_f32 v[4:5], v[4:5], v[8:9]
	v_pk_fma_f32 v[8:9], v[12:13], v[94:95], v[6:7] op_sel:[0,0,1] op_sel_hi:[1,1,0] neg_lo:[0,0,1] neg_hi:[0,0,1]
	v_pk_fma_f32 v[6:7], v[12:13], v[94:95], v[6:7] op_sel:[0,0,1] op_sel_hi:[1,0,0]
	v_mov_b32_e32 v6, v93
	v_mov_b32_e32 v9, v7
	v_pk_mul_f32 v[6:7], v[14:15], v[6:7] op_sel_hi:[1,0]
	v_pk_add_f32 v[4:5], v[4:5], v[8:9]
	v_pk_fma_f32 v[8:9], v[14:15], v[92:93], v[6:7] op_sel:[0,0,1] op_sel_hi:[1,1,0] neg_lo:[0,0,1] neg_hi:[0,0,1]
	v_pk_fma_f32 v[6:7], v[14:15], v[92:93], v[6:7] op_sel:[0,0,1] op_sel_hi:[1,0,0]
	v_mov_b32_e32 v6, v91
	v_mov_b32_e32 v9, v7
	s_waitcnt lgkmcnt(0)
	v_pk_mul_f32 v[6:7], v[16:17], v[6:7] op_sel_hi:[1,0]
	v_pk_add_f32 v[4:5], v[4:5], v[8:9]
	v_pk_fma_f32 v[8:9], v[16:17], v[90:91], v[6:7] op_sel:[0,0,1] op_sel_hi:[1,1,0] neg_lo:[0,0,1] neg_hi:[0,0,1]
	v_pk_fma_f32 v[6:7], v[16:17], v[90:91], v[6:7] op_sel:[0,0,1] op_sel_hi:[1,0,0]
	v_mov_b32_e32 v9, v7
	v_pk_add_f32 v[4:5], v[4:5], v[8:9]
	v_pk_add_f32 v[2:3], v[2:3], v[4:5] neg_lo:[0,1] neg_hi:[0,1]
	buffer_store_dword v3, off, s[0:3], 0 offset:164
	buffer_store_dword v2, off, s[0:3], 0 offset:160
	s_and_saveexec_b64 s[4:5], vcc
	s_cbranch_execz .LBB63_359
; %bb.358:
	buffer_load_dword v2, off, s[0:3], 0 offset:152
	buffer_load_dword v3, off, s[0:3], 0 offset:156
	s_waitcnt vmcnt(0)
	ds_write_b64 v223, v[2:3]
	buffer_store_dword v1, off, s[0:3], 0 offset:152
	buffer_store_dword v1, off, s[0:3], 0 offset:156
.LBB63_359:
	s_or_b64 exec, exec, s[4:5]
	s_waitcnt lgkmcnt(0)
	; wave barrier
	s_waitcnt lgkmcnt(0)
	buffer_load_dword v76, off, s[0:3], 0 offset:164
	buffer_load_dword v78, off, s[0:3], 0 offset:172
	;; [unrolled: 1-line block ×26, first 2 shown]
	ds_read_b128 v[22:25], v1 offset:672
	ds_read_b128 v[18:21], v1 offset:688
	;; [unrolled: 1-line block ×6, first 2 shown]
	buffer_load_dword v119, off, s[0:3], 0 offset:256
	buffer_load_dword v120, off, s[0:3], 0 offset:260
	;; [unrolled: 1-line block ×42, first 2 shown]
	v_cmp_lt_u32_e32 vcc, 18, v0
	s_waitcnt vmcnt(62) lgkmcnt(5)
	v_mul_f32_e32 v28, v22, v76
	v_mul_f32_e32 v29, v24, v78
	s_waitcnt lgkmcnt(4)
	v_mul_f32_e32 v31, v20, v86
	s_waitcnt lgkmcnt(3)
	v_mul_f32_e32 v32, v14, v98
	v_mul_f32_e32 v33, v16, v99
	;; [unrolled: 1-line block ×3, first 2 shown]
	s_waitcnt vmcnt(61) lgkmcnt(2)
	v_mul_f32_e32 v34, v10, v101
	s_waitcnt vmcnt(60)
	v_mul_f32_e32 v35, v12, v102
	s_waitcnt vmcnt(59) lgkmcnt(1)
	v_mul_f32_e32 v36, v6, v103
	s_waitcnt vmcnt(58)
	v_fmac_f32_e32 v30, v19, v104
	s_waitcnt vmcnt(57)
	v_fmac_f32_e32 v29, v25, v105
	;; [unrolled: 2-line block ×3, first 2 shown]
	v_add_f32_e32 v28, 0, v28
	v_add_f32_e32 v28, v28, v29
	;; [unrolled: 1-line block ×3, first 2 shown]
	s_waitcnt vmcnt(52)
	v_fmac_f32_e32 v31, v21, v110
	v_fmac_f32_e32 v32, v15, v109
	v_add_f32_e32 v28, v28, v31
	v_fmac_f32_e32 v33, v17, v108
	v_add_f32_e32 v28, v28, v32
	;; [unrolled: 2-line block ×3, first 2 shown]
	s_waitcnt vmcnt(48)
	v_fmac_f32_e32 v35, v13, v114
	v_add_f32_e32 v28, v28, v34
	v_fmac_f32_e32 v36, v7, v113
	v_add_f32_e32 v28, v28, v35
	s_waitcnt vmcnt(47)
	v_mul_f32_e32 v29, v8, v115
	v_add_f32_e32 v28, v28, v36
	v_fmac_f32_e32 v29, v9, v112
	v_add_f32_e32 v28, v28, v29
	s_waitcnt vmcnt(46) lgkmcnt(0)
	v_mul_f32_e32 v29, v2, v116
	v_fmac_f32_e32 v29, v3, v111
	v_add_f32_e32 v32, v28, v29
	ds_read_b128 v[28:31], v1 offset:768
	s_waitcnt vmcnt(42)
	v_mul_f32_e32 v33, v4, v118
	v_fmac_f32_e32 v33, v5, v117
	buffer_load_dword v161, off, s[0:3], 0 offset:424
	buffer_load_dword v162, off, s[0:3], 0 offset:428
	v_add_f32_e32 v36, v32, v33
	buffer_load_dword v163, off, s[0:3], 0 offset:432
	buffer_load_dword v164, off, s[0:3], 0 offset:436
	ds_read_b128 v[32:35], v1 offset:784
	s_waitcnt vmcnt(44) lgkmcnt(1)
	v_mul_f32_e32 v37, v28, v120
	v_fmac_f32_e32 v37, v29, v119
	v_add_f32_e32 v36, v36, v37
	s_waitcnt vmcnt(42)
	v_mul_f32_e32 v37, v30, v122
	v_fmac_f32_e32 v37, v31, v121
	v_add_f32_e32 v36, v36, v37
	s_waitcnt vmcnt(40) lgkmcnt(0)
	v_mul_f32_e32 v37, v32, v124
	v_fmac_f32_e32 v37, v33, v123
	buffer_load_dword v165, off, s[0:3], 0 offset:440
	buffer_load_dword v166, off, s[0:3], 0 offset:444
	v_add_f32_e32 v40, v36, v37
	ds_read_b128 v[36:39], v1 offset:800
	s_waitcnt vmcnt(40)
	v_mul_f32_e32 v41, v34, v126
	v_fmac_f32_e32 v41, v35, v125
	v_add_f32_e32 v44, v40, v41
	ds_read_b128 v[40:43], v1 offset:816
	s_waitcnt vmcnt(38) lgkmcnt(1)
	v_mul_f32_e32 v45, v36, v128
	v_fmac_f32_e32 v45, v37, v127
	v_add_f32_e32 v44, v44, v45
	s_waitcnt vmcnt(36)
	v_mul_f32_e32 v45, v38, v130
	v_fmac_f32_e32 v45, v39, v129
	v_add_f32_e32 v44, v44, v45
	s_waitcnt vmcnt(34) lgkmcnt(0)
	v_mul_f32_e32 v45, v40, v132
	v_fmac_f32_e32 v45, v41, v131
	v_add_f32_e32 v48, v44, v45
	ds_read_b128 v[44:47], v1 offset:832
	s_waitcnt vmcnt(32)
	v_mul_f32_e32 v49, v42, v134
	v_fmac_f32_e32 v49, v43, v133
	v_add_f32_e32 v52, v48, v49
	ds_read_b128 v[48:51], v1 offset:848
	s_waitcnt vmcnt(30) lgkmcnt(1)
	v_mul_f32_e32 v53, v44, v136
	v_fmac_f32_e32 v53, v45, v135
	v_add_f32_e32 v52, v52, v53
	s_waitcnt vmcnt(28)
	v_mul_f32_e32 v53, v46, v138
	v_fmac_f32_e32 v53, v47, v137
	v_add_f32_e32 v52, v52, v53
	s_waitcnt vmcnt(26) lgkmcnt(0)
	v_mul_f32_e32 v53, v48, v140
	v_fmac_f32_e32 v53, v49, v139
	;; [unrolled: 18-line block ×4, first 2 shown]
	s_waitcnt vmcnt(8)
	v_mul_f32_e32 v73, v66, v158
	v_add_f32_e32 v72, v68, v69
	v_fmac_f32_e32 v73, v67, v157
	ds_read_b128 v[68:71], v1 offset:928
	v_add_f32_e32 v77, v72, v73
	ds_read_b128 v[72:75], v1 offset:944
	buffer_load_dword v81, off, s[0:3], 0 offset:468
	buffer_load_dword v80, off, s[0:3], 0 offset:464
	;; [unrolled: 1-line block ×16, first 2 shown]
	v_mul_f32_e32 v23, v23, v76
	v_fma_f32 v22, v22, v106, -v23
	v_mul_f32_e32 v23, v25, v78
	v_add_f32_e32 v22, 0, v22
	v_fma_f32 v23, v24, v105, -v23
	v_mul_f32_e32 v19, v19, v100
	v_add_f32_e32 v22, v22, v23
	;; [unrolled: 3-line block ×11, first 2 shown]
	v_fma_f32 v3, v4, v117, -v3
	v_add_f32_e32 v2, v2, v3
	v_mul_f32_e32 v3, v29, v120
	v_fma_f32 v3, v28, v119, -v3
	v_add_f32_e32 v2, v2, v3
	v_mul_f32_e32 v3, v31, v122
	;; [unrolled: 3-line block ×20, first 2 shown]
	v_fma_f32 v3, v66, v157, -v3
	v_add_f32_e32 v2, v2, v3
	s_waitcnt vmcnt(22) lgkmcnt(1)
	v_mul_f32_e32 v3, v69, v160
	v_fma_f32 v3, v68, v159, -v3
	v_add_f32_e32 v2, v2, v3
	s_waitcnt vmcnt(20)
	v_mul_f32_e32 v3, v71, v162
	v_mul_f32_e32 v79, v68, v160
	v_fma_f32 v3, v70, v161, -v3
	v_fmac_f32_e32 v79, v69, v159
	v_add_f32_e32 v76, v2, v3
	s_waitcnt vmcnt(18) lgkmcnt(0)
	v_mul_f32_e32 v2, v73, v164
	v_add_f32_e32 v77, v77, v79
	v_mul_f32_e32 v79, v70, v162
	v_fma_f32 v78, v72, v163, -v2
	s_waitcnt vmcnt(16)
	v_mul_f32_e32 v2, v75, v166
	v_fmac_f32_e32 v79, v71, v161
	v_fma_f32 v86, v74, v165, -v2
	ds_read_b128 v[2:5], v1 offset:960
	ds_read_b128 v[6:9], v1 offset:976
	ds_read_b128 v[10:13], v1 offset:992
	ds_read_b128 v[14:17], v1 offset:1008
	v_add_f32_e32 v77, v77, v79
	v_mul_f32_e32 v79, v72, v164
	s_waitcnt vmcnt(11)
	v_mov_b32_e32 v20, v85
	v_fmac_f32_e32 v79, v73, v163
	v_mul_f32_e32 v87, v74, v166
	s_waitcnt lgkmcnt(3)
	v_pk_mul_f32 v[20:21], v[2:3], v[20:21] op_sel_hi:[1,0]
	v_fmac_f32_e32 v87, v75, v165
	v_pk_add_f32 v[18:19], v[76:77], v[78:79]
	s_waitcnt vmcnt(10)
	v_pk_fma_f32 v[22:23], v[2:3], v[84:85], v[20:21] op_sel:[0,0,1] op_sel_hi:[1,1,0] neg_lo:[0,0,1] neg_hi:[0,0,1]
	v_pk_fma_f32 v[2:3], v[2:3], v[84:85], v[20:21] op_sel:[0,0,1] op_sel_hi:[1,0,0]
	v_pk_add_f32 v[18:19], v[18:19], v[86:87]
	v_mov_b32_e32 v23, v3
	v_pk_add_f32 v[2:3], v[18:19], v[22:23]
	v_mov_b32_e32 v18, v83
	v_pk_mul_f32 v[18:19], v[4:5], v[18:19] op_sel_hi:[1,0]
	v_pk_fma_f32 v[20:21], v[4:5], v[82:83], v[18:19] op_sel:[0,0,1] op_sel_hi:[1,1,0] neg_lo:[0,0,1] neg_hi:[0,0,1]
	v_pk_fma_f32 v[4:5], v[4:5], v[82:83], v[18:19] op_sel:[0,0,1] op_sel_hi:[1,0,0]
	v_mov_b32_e32 v4, v81
	v_mov_b32_e32 v21, v5
	s_waitcnt lgkmcnt(2)
	v_pk_mul_f32 v[4:5], v[6:7], v[4:5] op_sel_hi:[1,0]
	v_pk_fma_f32 v[18:19], v[6:7], v[80:81], v[4:5] op_sel:[0,0,1] op_sel_hi:[1,1,0] neg_lo:[0,0,1] neg_hi:[0,0,1]
	v_pk_fma_f32 v[4:5], v[6:7], v[80:81], v[4:5] op_sel:[0,0,1] op_sel_hi:[1,0,0]
	s_waitcnt vmcnt(3)
	v_mov_b32_e32 v4, v95
	v_mov_b32_e32 v19, v5
	v_pk_mul_f32 v[4:5], v[8:9], v[4:5] op_sel_hi:[1,0]
	s_waitcnt vmcnt(2)
	v_pk_fma_f32 v[6:7], v[8:9], v[94:95], v[4:5] op_sel:[0,0,1] op_sel_hi:[1,1,0] neg_lo:[0,0,1] neg_hi:[0,0,1]
	v_pk_fma_f32 v[4:5], v[8:9], v[94:95], v[4:5] op_sel:[0,0,1] op_sel_hi:[1,0,0]
	v_pk_add_f32 v[2:3], v[2:3], v[20:21]
	v_mov_b32_e32 v4, v93
	v_pk_add_f32 v[2:3], v[2:3], v[18:19]
	v_mov_b32_e32 v7, v5
	s_waitcnt lgkmcnt(1)
	v_pk_mul_f32 v[4:5], v[10:11], v[4:5] op_sel_hi:[1,0]
	v_pk_add_f32 v[2:3], v[2:3], v[6:7]
	v_pk_fma_f32 v[6:7], v[10:11], v[92:93], v[4:5] op_sel:[0,0,1] op_sel_hi:[1,1,0] neg_lo:[0,0,1] neg_hi:[0,0,1]
	v_pk_fma_f32 v[4:5], v[10:11], v[92:93], v[4:5] op_sel:[0,0,1] op_sel_hi:[1,0,0]
	v_mov_b32_e32 v4, v91
	v_mov_b32_e32 v7, v5
	v_pk_mul_f32 v[4:5], v[12:13], v[4:5] op_sel_hi:[1,0]
	v_pk_add_f32 v[2:3], v[2:3], v[6:7]
	v_pk_fma_f32 v[6:7], v[12:13], v[90:91], v[4:5] op_sel:[0,0,1] op_sel_hi:[1,1,0] neg_lo:[0,0,1] neg_hi:[0,0,1]
	v_pk_fma_f32 v[4:5], v[12:13], v[90:91], v[4:5] op_sel:[0,0,1] op_sel_hi:[1,0,0]
	v_mov_b32_e32 v4, v89
	v_mov_b32_e32 v7, v5
	s_waitcnt lgkmcnt(0)
	v_pk_mul_f32 v[4:5], v[14:15], v[4:5] op_sel_hi:[1,0]
	v_pk_add_f32 v[2:3], v[2:3], v[6:7]
	v_pk_fma_f32 v[6:7], v[14:15], v[88:89], v[4:5] op_sel:[0,0,1] op_sel_hi:[1,1,0] neg_lo:[0,0,1] neg_hi:[0,0,1]
	v_pk_fma_f32 v[4:5], v[14:15], v[88:89], v[4:5] op_sel:[0,0,1] op_sel_hi:[1,0,0]
	s_waitcnt vmcnt(1)
	v_mov_b32_e32 v4, v97
	v_mov_b32_e32 v7, v5
	v_pk_mul_f32 v[4:5], v[16:17], v[4:5] op_sel_hi:[1,0]
	v_pk_add_f32 v[2:3], v[2:3], v[6:7]
	s_waitcnt vmcnt(0)
	v_pk_fma_f32 v[6:7], v[16:17], v[96:97], v[4:5] op_sel:[0,0,1] op_sel_hi:[1,1,0] neg_lo:[0,0,1] neg_hi:[0,0,1]
	v_pk_fma_f32 v[4:5], v[16:17], v[96:97], v[4:5] op_sel:[0,0,1] op_sel_hi:[1,0,0]
	v_mov_b32_e32 v7, v5
	v_pk_add_f32 v[2:3], v[2:3], v[6:7]
	v_pk_add_f32 v[2:3], v[26:27], v[2:3] neg_lo:[0,1] neg_hi:[0,1]
	buffer_store_dword v3, off, s[0:3], 0 offset:156
	buffer_store_dword v2, off, s[0:3], 0 offset:152
	s_and_saveexec_b64 s[4:5], vcc
	s_cbranch_execz .LBB63_361
; %bb.360:
	buffer_load_dword v2, off, s[0:3], 0 offset:144
	buffer_load_dword v3, off, s[0:3], 0 offset:148
	v_mov_b32_e32 v1, 0
	buffer_store_dword v1, off, s[0:3], 0 offset:144
	buffer_store_dword v1, off, s[0:3], 0 offset:148
	s_waitcnt vmcnt(2)
	ds_write_b64 v223, v[2:3]
.LBB63_361:
	s_or_b64 exec, exec, s[4:5]
	v_mov_b32_e32 v1, 0
	s_waitcnt lgkmcnt(0)
	; wave barrier
	s_waitcnt lgkmcnt(0)
	ds_read2_b64 v[2:5], v1 offset0:83 offset1:84
	buffer_load_dword v78, off, s[0:3], 0 offset:144
	buffer_load_dword v79, off, s[0:3], 0 offset:148
	;; [unrolled: 1-line block ×16, first 2 shown]
	v_cmp_lt_u32_e32 vcc, 17, v0
	s_waitcnt vmcnt(12) lgkmcnt(0)
	v_mul_f32_e32 v6, v2, v102
	v_fmac_f32_e32 v6, v3, v80
	s_waitcnt vmcnt(10)
	v_mul_f32_e32 v7, v4, v104
	v_add_f32_e32 v6, 0, v6
	v_fmac_f32_e32 v7, v5, v82
	v_add_f32_e32 v10, v6, v7
	ds_read2_b64 v[6:9], v1 offset0:85 offset1:86
	v_mul_f32_e32 v3, v3, v102
	v_fma_f32 v2, v2, v80, -v3
	v_mul_f32_e32 v3, v5, v104
	v_add_f32_e32 v2, 0, v2
	s_waitcnt vmcnt(8) lgkmcnt(0)
	v_mul_f32_e32 v11, v6, v106
	v_fmac_f32_e32 v11, v7, v86
	v_add_f32_e32 v10, v10, v11
	s_waitcnt vmcnt(6)
	v_mul_f32_e32 v11, v8, v108
	v_fmac_f32_e32 v11, v9, v103
	v_add_f32_e32 v14, v10, v11
	ds_read2_b64 v[10:13], v1 offset0:87 offset1:88
	v_fma_f32 v3, v4, v82, -v3
	v_add_f32_e32 v2, v2, v3
	v_mul_f32_e32 v3, v7, v106
	v_fma_f32 v3, v6, v86, -v3
	s_waitcnt vmcnt(4) lgkmcnt(0)
	v_mul_f32_e32 v15, v10, v110
	v_fmac_f32_e32 v15, v11, v105
	v_add_f32_e32 v14, v14, v15
	s_waitcnt vmcnt(2)
	v_mul_f32_e32 v15, v12, v111
	v_fmac_f32_e32 v15, v13, v107
	v_add_f32_e32 v18, v14, v15
	ds_read2_b64 v[14:17], v1 offset0:89 offset1:90
	buffer_load_dword v113, off, s[0:3], 0 offset:208
	buffer_load_dword v114, off, s[0:3], 0 offset:212
	v_add_f32_e32 v2, v2, v3
	v_mul_f32_e32 v3, v9, v108
	v_fma_f32 v3, v8, v103, -v3
	s_waitcnt vmcnt(2) lgkmcnt(0)
	v_mul_f32_e32 v19, v14, v112
	v_fmac_f32_e32 v19, v15, v109
	v_add_f32_e32 v18, v18, v19
	v_add_f32_e32 v2, v2, v3
	v_mul_f32_e32 v3, v11, v110
	v_fma_f32 v3, v10, v105, -v3
	v_add_f32_e32 v2, v2, v3
	v_mul_f32_e32 v3, v13, v111
	v_fma_f32 v3, v12, v107, -v3
	;; [unrolled: 3-line block ×3, first 2 shown]
	v_add_f32_e32 v2, v2, v3
	s_waitcnt vmcnt(0)
	v_mul_f32_e32 v19, v16, v114
	v_fmac_f32_e32 v19, v17, v113
	v_add_f32_e32 v22, v18, v19
	ds_read2_b64 v[18:21], v1 offset0:91 offset1:92
	buffer_load_dword v115, off, s[0:3], 0 offset:216
	buffer_load_dword v116, off, s[0:3], 0 offset:220
	;; [unrolled: 1-line block ×4, first 2 shown]
	v_mul_f32_e32 v3, v17, v114
	v_fma_f32 v3, v16, v113, -v3
	v_add_f32_e32 v2, v2, v3
	s_waitcnt vmcnt(2) lgkmcnt(0)
	v_mul_f32_e32 v23, v18, v116
	v_fmac_f32_e32 v23, v19, v115
	v_add_f32_e32 v22, v22, v23
	s_waitcnt vmcnt(0)
	v_mul_f32_e32 v23, v20, v118
	v_fmac_f32_e32 v23, v21, v117
	v_add_f32_e32 v26, v22, v23
	ds_read2_b64 v[22:25], v1 offset0:93 offset1:94
	buffer_load_dword v119, off, s[0:3], 0 offset:232
	buffer_load_dword v120, off, s[0:3], 0 offset:236
	buffer_load_dword v121, off, s[0:3], 0 offset:240
	buffer_load_dword v122, off, s[0:3], 0 offset:244
	ds_read2_b64 v[30:33], v1 offset0:95 offset1:96
	buffer_load_dword v123, off, s[0:3], 0 offset:248
	buffer_load_dword v124, off, s[0:3], 0 offset:252
	buffer_load_dword v125, off, s[0:3], 0 offset:256
	buffer_load_dword v126, off, s[0:3], 0 offset:260
	;; [unrolled: 5-line block ×13, first 2 shown]
	v_mul_f32_e32 v3, v19, v116
	v_fma_f32 v3, v18, v115, -v3
	v_add_f32_e32 v2, v2, v3
	v_mul_f32_e32 v3, v21, v118
	v_fma_f32 v3, v20, v117, -v3
	v_add_f32_e32 v2, v2, v3
	s_waitcnt vmcnt(50) lgkmcnt(12)
	v_mul_f32_e32 v27, v22, v120
	v_fmac_f32_e32 v27, v23, v119
	v_add_f32_e32 v26, v26, v27
	s_waitcnt vmcnt(48)
	v_mul_f32_e32 v27, v24, v122
	v_fmac_f32_e32 v27, v25, v121
	v_add_f32_e32 v26, v26, v27
	s_waitcnt vmcnt(46) lgkmcnt(11)
	v_mul_f32_e32 v27, v30, v124
	v_fmac_f32_e32 v27, v31, v123
	v_add_f32_e32 v26, v26, v27
	s_waitcnt vmcnt(44)
	v_mul_f32_e32 v27, v32, v126
	v_fmac_f32_e32 v27, v33, v125
	;; [unrolled: 8-line block ×12, first 2 shown]
	v_add_f32_e32 v26, v26, v27
	s_waitcnt vmcnt(2) lgkmcnt(0)
	v_mul_f32_e32 v27, v74, v168
	v_fmac_f32_e32 v27, v75, v167
	v_add_f32_e32 v81, v26, v27
	ds_read2_b64 v[26:29], v1 offset0:119 offset1:120
	buffer_load_dword v171, off, s[0:3], 0 offset:440
	buffer_load_dword v172, off, s[0:3], 0 offset:444
	;; [unrolled: 1-line block ×18, first 2 shown]
	v_mul_f32_e32 v3, v23, v120
	v_fma_f32 v3, v22, v119, -v3
	v_add_f32_e32 v2, v2, v3
	v_mul_f32_e32 v3, v25, v122
	v_fma_f32 v3, v24, v121, -v3
	v_add_f32_e32 v2, v2, v3
	;; [unrolled: 3-line block ×25, first 2 shown]
	s_waitcnt vmcnt(18)
	v_mul_f32_e32 v2, v77, v170
	s_waitcnt vmcnt(15)
	v_mov_b32_e32 v18, v85
	v_mul_f32_e32 v83, v76, v170
	v_fma_f32 v82, v76, v169, -v2
	s_waitcnt lgkmcnt(0)
	v_mul_f32_e32 v2, v27, v172
	v_pk_mul_f32 v[18:19], v[28:29], v[18:19] op_sel_hi:[1,0]
	v_fmac_f32_e32 v83, v77, v169
	v_mul_f32_e32 v87, v26, v172
	v_fma_f32 v86, v26, v171, -v2
	ds_read2_b64 v[2:5], v1 offset0:121 offset1:122
	ds_read2_b64 v[6:9], v1 offset0:123 offset1:124
	;; [unrolled: 1-line block ×3, first 2 shown]
	ds_read_b64 v[14:15], v1 offset:1016
	s_waitcnt vmcnt(14)
	v_pk_fma_f32 v[20:21], v[28:29], v[84:85], v[18:19] op_sel:[0,0,1] op_sel_hi:[1,1,0] neg_lo:[0,0,1] neg_hi:[0,0,1]
	v_pk_fma_f32 v[18:19], v[28:29], v[84:85], v[18:19] op_sel:[0,0,1] op_sel_hi:[1,0,0]
	v_fmac_f32_e32 v87, v27, v171
	v_pk_add_f32 v[16:17], v[80:81], v[82:83]
	s_waitcnt vmcnt(13)
	v_mov_b32_e32 v18, v101
	v_pk_add_f32 v[16:17], v[16:17], v[86:87]
	v_mov_b32_e32 v21, v19
	s_waitcnt lgkmcnt(3)
	v_pk_mul_f32 v[18:19], v[2:3], v[18:19] op_sel_hi:[1,0]
	v_pk_add_f32 v[16:17], v[16:17], v[20:21]
	s_waitcnt vmcnt(12)
	v_pk_fma_f32 v[20:21], v[2:3], v[100:101], v[18:19] op_sel:[0,0,1] op_sel_hi:[1,1,0] neg_lo:[0,0,1] neg_hi:[0,0,1]
	v_pk_fma_f32 v[2:3], v[2:3], v[100:101], v[18:19] op_sel:[0,0,1] op_sel_hi:[1,0,0]
	v_mov_b32_e32 v21, v3
	v_pk_add_f32 v[2:3], v[16:17], v[20:21]
	s_waitcnt vmcnt(11)
	v_mov_b32_e32 v16, v99
	v_pk_mul_f32 v[16:17], v[4:5], v[16:17] op_sel_hi:[1,0]
	s_waitcnt vmcnt(10)
	v_pk_fma_f32 v[18:19], v[4:5], v[98:99], v[16:17] op_sel:[0,0,1] op_sel_hi:[1,1,0] neg_lo:[0,0,1] neg_hi:[0,0,1]
	v_pk_fma_f32 v[4:5], v[4:5], v[98:99], v[16:17] op_sel:[0,0,1] op_sel_hi:[1,0,0]
	s_waitcnt vmcnt(9)
	v_mov_b32_e32 v4, v97
	v_mov_b32_e32 v19, v5
	s_waitcnt lgkmcnt(2)
	v_pk_mul_f32 v[4:5], v[6:7], v[4:5] op_sel_hi:[1,0]
	s_waitcnt vmcnt(8)
	v_pk_fma_f32 v[16:17], v[6:7], v[96:97], v[4:5] op_sel:[0,0,1] op_sel_hi:[1,1,0] neg_lo:[0,0,1] neg_hi:[0,0,1]
	v_pk_fma_f32 v[4:5], v[6:7], v[96:97], v[4:5] op_sel:[0,0,1] op_sel_hi:[1,0,0]
	s_waitcnt vmcnt(7)
	v_mov_b32_e32 v4, v95
	v_mov_b32_e32 v17, v5
	v_pk_mul_f32 v[4:5], v[8:9], v[4:5] op_sel_hi:[1,0]
	s_waitcnt vmcnt(6)
	v_pk_fma_f32 v[6:7], v[8:9], v[94:95], v[4:5] op_sel:[0,0,1] op_sel_hi:[1,1,0] neg_lo:[0,0,1] neg_hi:[0,0,1]
	v_pk_fma_f32 v[4:5], v[8:9], v[94:95], v[4:5] op_sel:[0,0,1] op_sel_hi:[1,0,0]
	v_pk_add_f32 v[2:3], v[2:3], v[18:19]
	s_waitcnt vmcnt(5)
	v_mov_b32_e32 v4, v93
	v_pk_add_f32 v[2:3], v[2:3], v[16:17]
	v_mov_b32_e32 v7, v5
	s_waitcnt lgkmcnt(1)
	v_pk_mul_f32 v[4:5], v[10:11], v[4:5] op_sel_hi:[1,0]
	v_pk_add_f32 v[2:3], v[2:3], v[6:7]
	s_waitcnt vmcnt(4)
	v_pk_fma_f32 v[6:7], v[10:11], v[92:93], v[4:5] op_sel:[0,0,1] op_sel_hi:[1,1,0] neg_lo:[0,0,1] neg_hi:[0,0,1]
	v_pk_fma_f32 v[4:5], v[10:11], v[92:93], v[4:5] op_sel:[0,0,1] op_sel_hi:[1,0,0]
	s_waitcnt vmcnt(3)
	v_mov_b32_e32 v4, v91
	v_mov_b32_e32 v7, v5
	v_pk_mul_f32 v[4:5], v[12:13], v[4:5] op_sel_hi:[1,0]
	v_pk_add_f32 v[2:3], v[2:3], v[6:7]
	s_waitcnt vmcnt(2)
	v_pk_fma_f32 v[6:7], v[12:13], v[90:91], v[4:5] op_sel:[0,0,1] op_sel_hi:[1,1,0] neg_lo:[0,0,1] neg_hi:[0,0,1]
	v_pk_fma_f32 v[4:5], v[12:13], v[90:91], v[4:5] op_sel:[0,0,1] op_sel_hi:[1,0,0]
	s_waitcnt vmcnt(1)
	v_mov_b32_e32 v4, v89
	v_mov_b32_e32 v7, v5
	s_waitcnt lgkmcnt(0)
	v_pk_mul_f32 v[4:5], v[14:15], v[4:5] op_sel_hi:[1,0]
	v_pk_add_f32 v[2:3], v[2:3], v[6:7]
	s_waitcnt vmcnt(0)
	v_pk_fma_f32 v[6:7], v[14:15], v[88:89], v[4:5] op_sel:[0,0,1] op_sel_hi:[1,1,0] neg_lo:[0,0,1] neg_hi:[0,0,1]
	v_pk_fma_f32 v[4:5], v[14:15], v[88:89], v[4:5] op_sel:[0,0,1] op_sel_hi:[1,0,0]
	v_mov_b32_e32 v7, v5
	v_pk_add_f32 v[2:3], v[2:3], v[6:7]
	v_pk_add_f32 v[2:3], v[78:79], v[2:3] neg_lo:[0,1] neg_hi:[0,1]
	buffer_store_dword v3, off, s[0:3], 0 offset:148
	buffer_store_dword v2, off, s[0:3], 0 offset:144
	s_and_saveexec_b64 s[4:5], vcc
	s_cbranch_execz .LBB63_363
; %bb.362:
	buffer_load_dword v2, off, s[0:3], 0 offset:136
	buffer_load_dword v3, off, s[0:3], 0 offset:140
	s_waitcnt vmcnt(0)
	ds_write_b64 v223, v[2:3]
	buffer_store_dword v1, off, s[0:3], 0 offset:136
	buffer_store_dword v1, off, s[0:3], 0 offset:140
.LBB63_363:
	s_or_b64 exec, exec, s[4:5]
	s_waitcnt lgkmcnt(0)
	; wave barrier
	s_waitcnt lgkmcnt(0)
	buffer_load_dword v86, off, s[0:3], 0 offset:148
	buffer_load_dword v88, off, s[0:3], 0 offset:156
	;; [unrolled: 1-line block ×32, first 2 shown]
	ds_read_b128 v[22:25], v1 offset:656
	ds_read_b128 v[18:21], v1 offset:672
	;; [unrolled: 1-line block ×6, first 2 shown]
	buffer_load_dword v133, off, s[0:3], 0 offset:264
	buffer_load_dword v134, off, s[0:3], 0 offset:268
	;; [unrolled: 1-line block ×32, first 2 shown]
	v_cmp_lt_u32_e32 vcc, 16, v0
	s_waitcnt vmcnt(62) lgkmcnt(5)
	v_mul_f32_e32 v28, v22, v86
	v_mul_f32_e32 v29, v24, v88
	s_waitcnt vmcnt(61) lgkmcnt(4)
	v_mul_f32_e32 v31, v20, v90
	s_waitcnt vmcnt(60) lgkmcnt(3)
	v_mul_f32_e32 v32, v14, v106
	s_waitcnt vmcnt(59)
	v_mul_f32_e32 v33, v16, v107
	s_waitcnt vmcnt(58)
	v_mul_f32_e32 v30, v18, v108
	s_waitcnt vmcnt(57) lgkmcnt(2)
	v_mul_f32_e32 v34, v10, v109
	s_waitcnt vmcnt(56)
	v_mul_f32_e32 v35, v12, v110
	s_waitcnt vmcnt(55) lgkmcnt(1)
	v_mul_f32_e32 v36, v6, v111
	s_waitcnt vmcnt(54)
	v_mul_f32_e32 v37, v8, v112
	s_waitcnt vmcnt(53)
	v_fmac_f32_e32 v30, v19, v113
	s_waitcnt vmcnt(52)
	v_fmac_f32_e32 v29, v25, v114
	s_waitcnt vmcnt(51)
	v_fmac_f32_e32 v28, v23, v115
	v_add_f32_e32 v28, 0, v28
	v_add_f32_e32 v28, v28, v29
	;; [unrolled: 1-line block ×3, first 2 shown]
	s_waitcnt vmcnt(47)
	v_fmac_f32_e32 v31, v21, v119
	v_fmac_f32_e32 v32, v15, v118
	v_add_f32_e32 v28, v28, v31
	v_fmac_f32_e32 v33, v17, v117
	v_add_f32_e32 v28, v28, v32
	;; [unrolled: 2-line block ×3, first 2 shown]
	s_waitcnt vmcnt(43)
	v_fmac_f32_e32 v35, v13, v123
	v_add_f32_e32 v28, v28, v34
	v_fmac_f32_e32 v36, v7, v122
	v_add_f32_e32 v28, v28, v35
	;; [unrolled: 2-line block ×3, first 2 shown]
	s_waitcnt vmcnt(42) lgkmcnt(0)
	v_mul_f32_e32 v29, v2, v124
	v_add_f32_e32 v28, v28, v37
	v_fmac_f32_e32 v29, v3, v120
	v_add_f32_e32 v32, v28, v29
	ds_read_b128 v[28:31], v1 offset:752
	buffer_load_dword v165, off, s[0:3], 0 offset:392
	buffer_load_dword v166, off, s[0:3], 0 offset:396
	s_waitcnt vmcnt(43)
	v_mul_f32_e32 v33, v4, v125
	s_waitcnt vmcnt(36)
	v_fmac_f32_e32 v33, v5, v132
	v_add_f32_e32 v36, v32, v33
	ds_read_b128 v[32:35], v1 offset:768
	buffer_load_dword v167, off, s[0:3], 0 offset:400
	buffer_load_dword v168, off, s[0:3], 0 offset:404
	;; [unrolled: 1-line block ×8, first 2 shown]
	s_waitcnt lgkmcnt(1)
	v_mul_f32_e32 v37, v28, v127
	v_fmac_f32_e32 v37, v29, v126
	v_add_f32_e32 v36, v36, v37
	v_mul_f32_e32 v37, v30, v129
	v_fmac_f32_e32 v37, v31, v128
	v_add_f32_e32 v36, v36, v37
	s_waitcnt lgkmcnt(0)
	v_mul_f32_e32 v37, v32, v131
	v_fmac_f32_e32 v37, v33, v130
	v_add_f32_e32 v40, v36, v37
	buffer_load_dword v175, off, s[0:3], 0 offset:432
	buffer_load_dword v176, off, s[0:3], 0 offset:436
	;; [unrolled: 1-line block ×4, first 2 shown]
	ds_read_b128 v[36:39], v1 offset:784
	s_waitcnt vmcnt(44)
	v_mul_f32_e32 v41, v34, v134
	v_fmac_f32_e32 v41, v35, v133
	v_add_f32_e32 v44, v40, v41
	ds_read_b128 v[40:43], v1 offset:800
	s_waitcnt vmcnt(42) lgkmcnt(1)
	v_mul_f32_e32 v45, v36, v136
	v_fmac_f32_e32 v45, v37, v135
	v_add_f32_e32 v44, v44, v45
	s_waitcnt vmcnt(40)
	v_mul_f32_e32 v45, v38, v138
	v_fmac_f32_e32 v45, v39, v137
	v_add_f32_e32 v44, v44, v45
	s_waitcnt vmcnt(38) lgkmcnt(0)
	v_mul_f32_e32 v45, v40, v140
	v_fmac_f32_e32 v45, v41, v139
	v_add_f32_e32 v48, v44, v45
	ds_read_b128 v[44:47], v1 offset:816
	s_waitcnt vmcnt(36)
	v_mul_f32_e32 v49, v42, v142
	v_fmac_f32_e32 v49, v43, v141
	v_add_f32_e32 v52, v48, v49
	ds_read_b128 v[48:51], v1 offset:832
	s_waitcnt vmcnt(34) lgkmcnt(1)
	v_mul_f32_e32 v53, v44, v144
	v_fmac_f32_e32 v53, v45, v143
	v_add_f32_e32 v52, v52, v53
	s_waitcnt vmcnt(32)
	v_mul_f32_e32 v53, v46, v146
	v_fmac_f32_e32 v53, v47, v145
	v_add_f32_e32 v52, v52, v53
	s_waitcnt vmcnt(30) lgkmcnt(0)
	v_mul_f32_e32 v53, v48, v148
	v_fmac_f32_e32 v53, v49, v147
	v_add_f32_e32 v56, v52, v53
	;; [unrolled: 18-line block ×4, first 2 shown]
	ds_read_b128 v[68:71], v1 offset:912
	v_mul_f32_e32 v23, v23, v86
	v_fma_f32 v22, v22, v115, -v23
	v_mul_f32_e32 v23, v25, v88
	v_add_f32_e32 v22, 0, v22
	s_waitcnt vmcnt(12)
	v_mul_f32_e32 v73, v66, v166
	v_fmac_f32_e32 v73, v67, v165
	v_add_f32_e32 v76, v72, v73
	ds_read_b128 v[72:75], v1 offset:928
	buffer_load_dword v85, off, s[0:3], 0 offset:452
	buffer_load_dword v84, off, s[0:3], 0 offset:448
	s_waitcnt vmcnt(12) lgkmcnt(1)
	v_mul_f32_e32 v77, v68, v168
	v_fmac_f32_e32 v77, v69, v167
	v_add_f32_e32 v76, v76, v77
	s_waitcnt vmcnt(10)
	v_mul_f32_e32 v77, v70, v170
	v_fmac_f32_e32 v77, v71, v169
	v_add_f32_e32 v76, v76, v77
	s_waitcnt vmcnt(8) lgkmcnt(0)
	v_mul_f32_e32 v77, v72, v172
	v_fmac_f32_e32 v77, v73, v171
	s_waitcnt vmcnt(6)
	v_mul_f32_e32 v81, v74, v174
	v_add_f32_e32 v80, v76, v77
	v_fmac_f32_e32 v81, v75, v173
	ds_read_b128 v[76:79], v1 offset:944
	v_add_f32_e32 v87, v80, v81
	ds_read_b128 v[80:83], v1 offset:960
	buffer_load_dword v93, off, s[0:3], 0 offset:484
	buffer_load_dword v92, off, s[0:3], 0 offset:480
	;; [unrolled: 1-line block ×14, first 2 shown]
	v_fma_f32 v23, v24, v114, -v23
	v_mul_f32_e32 v19, v19, v108
	v_add_f32_e32 v22, v22, v23
	v_fma_f32 v18, v18, v113, -v19
	v_mul_f32_e32 v19, v21, v90
	v_add_f32_e32 v18, v22, v18
	;; [unrolled: 3-line block ×10, first 2 shown]
	v_fma_f32 v3, v4, v132, -v3
	v_add_f32_e32 v2, v2, v3
	v_mul_f32_e32 v3, v29, v127
	v_fma_f32 v3, v28, v126, -v3
	v_add_f32_e32 v2, v2, v3
	v_mul_f32_e32 v3, v31, v129
	;; [unrolled: 3-line block ×24, first 2 shown]
	v_fma_f32 v3, v74, v173, -v3
	s_waitcnt vmcnt(15)
	v_mov_b32_e32 v16, v85
	s_waitcnt lgkmcnt(1)
	v_mul_f32_e32 v89, v76, v176
	v_add_f32_e32 v86, v2, v3
	v_mul_f32_e32 v2, v77, v176
	s_waitcnt lgkmcnt(0)
	v_pk_mul_f32 v[16:17], v[80:81], v[16:17] op_sel_hi:[1,0]
	v_fmac_f32_e32 v89, v77, v175
	v_mul_f32_e32 v91, v78, v178
	v_fma_f32 v88, v76, v175, -v2
	v_mul_f32_e32 v2, v79, v178
	s_waitcnt vmcnt(14)
	v_pk_fma_f32 v[18:19], v[80:81], v[84:85], v[16:17] op_sel:[0,0,1] op_sel_hi:[1,1,0] neg_lo:[0,0,1] neg_hi:[0,0,1]
	v_pk_fma_f32 v[16:17], v[80:81], v[84:85], v[16:17] op_sel:[0,0,1] op_sel_hi:[1,0,0]
	v_fmac_f32_e32 v91, v79, v177
	v_fma_f32 v90, v78, v177, -v2
	v_pk_add_f32 v[14:15], v[86:87], v[88:89]
	s_waitcnt vmcnt(7)
	v_mov_b32_e32 v16, v99
	ds_read_b128 v[2:5], v1 offset:976
	ds_read_b128 v[6:9], v1 offset:992
	;; [unrolled: 1-line block ×3, first 2 shown]
	v_pk_add_f32 v[14:15], v[14:15], v[90:91]
	v_mov_b32_e32 v19, v17
	v_pk_mul_f32 v[16:17], v[82:83], v[16:17] op_sel_hi:[1,0]
	v_pk_add_f32 v[14:15], v[14:15], v[18:19]
	s_waitcnt vmcnt(6)
	v_pk_fma_f32 v[18:19], v[82:83], v[98:99], v[16:17] op_sel:[0,0,1] op_sel_hi:[1,1,0] neg_lo:[0,0,1] neg_hi:[0,0,1]
	v_pk_fma_f32 v[16:17], v[82:83], v[98:99], v[16:17] op_sel:[0,0,1] op_sel_hi:[1,0,0]
	v_mov_b32_e32 v16, v97
	v_mov_b32_e32 v19, v17
	s_waitcnt lgkmcnt(2)
	v_pk_mul_f32 v[16:17], v[2:3], v[16:17] op_sel_hi:[1,0]
	v_pk_add_f32 v[14:15], v[14:15], v[18:19]
	v_pk_fma_f32 v[18:19], v[2:3], v[96:97], v[16:17] op_sel:[0,0,1] op_sel_hi:[1,1,0] neg_lo:[0,0,1] neg_hi:[0,0,1]
	v_pk_fma_f32 v[2:3], v[2:3], v[96:97], v[16:17] op_sel:[0,0,1] op_sel_hi:[1,0,0]
	v_mov_b32_e32 v19, v3
	v_pk_add_f32 v[2:3], v[14:15], v[18:19]
	v_mov_b32_e32 v14, v95
	v_pk_mul_f32 v[14:15], v[4:5], v[14:15] op_sel_hi:[1,0]
	v_pk_fma_f32 v[16:17], v[4:5], v[94:95], v[14:15] op_sel:[0,0,1] op_sel_hi:[1,1,0] neg_lo:[0,0,1] neg_hi:[0,0,1]
	v_pk_fma_f32 v[4:5], v[4:5], v[94:95], v[14:15] op_sel:[0,0,1] op_sel_hi:[1,0,0]
	v_mov_b32_e32 v4, v93
	v_mov_b32_e32 v17, v5
	s_waitcnt lgkmcnt(1)
	v_pk_mul_f32 v[4:5], v[6:7], v[4:5] op_sel_hi:[1,0]
	v_pk_fma_f32 v[14:15], v[6:7], v[92:93], v[4:5] op_sel:[0,0,1] op_sel_hi:[1,1,0] neg_lo:[0,0,1] neg_hi:[0,0,1]
	v_pk_fma_f32 v[4:5], v[6:7], v[92:93], v[4:5] op_sel:[0,0,1] op_sel_hi:[1,0,0]
	s_waitcnt vmcnt(1)
	v_mov_b32_e32 v4, v105
	v_mov_b32_e32 v15, v5
	v_pk_mul_f32 v[4:5], v[8:9], v[4:5] op_sel_hi:[1,0]
	s_waitcnt vmcnt(0)
	v_pk_fma_f32 v[6:7], v[8:9], v[104:105], v[4:5] op_sel:[0,0,1] op_sel_hi:[1,1,0] neg_lo:[0,0,1] neg_hi:[0,0,1]
	v_pk_fma_f32 v[4:5], v[8:9], v[104:105], v[4:5] op_sel:[0,0,1] op_sel_hi:[1,0,0]
	v_pk_add_f32 v[2:3], v[2:3], v[16:17]
	v_mov_b32_e32 v4, v103
	v_pk_add_f32 v[2:3], v[2:3], v[14:15]
	v_mov_b32_e32 v7, v5
	s_waitcnt lgkmcnt(0)
	v_pk_mul_f32 v[4:5], v[10:11], v[4:5] op_sel_hi:[1,0]
	v_pk_add_f32 v[2:3], v[2:3], v[6:7]
	v_pk_fma_f32 v[6:7], v[10:11], v[102:103], v[4:5] op_sel:[0,0,1] op_sel_hi:[1,1,0] neg_lo:[0,0,1] neg_hi:[0,0,1]
	v_pk_fma_f32 v[4:5], v[10:11], v[102:103], v[4:5] op_sel:[0,0,1] op_sel_hi:[1,0,0]
	v_mov_b32_e32 v4, v101
	v_mov_b32_e32 v7, v5
	v_pk_mul_f32 v[4:5], v[12:13], v[4:5] op_sel_hi:[1,0]
	v_pk_add_f32 v[2:3], v[2:3], v[6:7]
	v_pk_fma_f32 v[6:7], v[12:13], v[100:101], v[4:5] op_sel:[0,0,1] op_sel_hi:[1,1,0] neg_lo:[0,0,1] neg_hi:[0,0,1]
	v_pk_fma_f32 v[4:5], v[12:13], v[100:101], v[4:5] op_sel:[0,0,1] op_sel_hi:[1,0,0]
	v_mov_b32_e32 v7, v5
	v_pk_add_f32 v[2:3], v[2:3], v[6:7]
	v_pk_add_f32 v[2:3], v[26:27], v[2:3] neg_lo:[0,1] neg_hi:[0,1]
	buffer_store_dword v3, off, s[0:3], 0 offset:140
	buffer_store_dword v2, off, s[0:3], 0 offset:136
	s_and_saveexec_b64 s[4:5], vcc
	s_cbranch_execz .LBB63_365
; %bb.364:
	buffer_load_dword v2, off, s[0:3], 0 offset:128
	buffer_load_dword v3, off, s[0:3], 0 offset:132
	v_mov_b32_e32 v1, 0
	buffer_store_dword v1, off, s[0:3], 0 offset:128
	buffer_store_dword v1, off, s[0:3], 0 offset:132
	s_waitcnt vmcnt(2)
	ds_write_b64 v223, v[2:3]
.LBB63_365:
	s_or_b64 exec, exec, s[4:5]
	s_waitcnt lgkmcnt(0)
	; wave barrier
	s_waitcnt lgkmcnt(0)
	buffer_load_dword v33, off, s[0:3], 0 offset:140
	buffer_load_dword v32, off, s[0:3], 0 offset:148
	buffer_load_dword v31, off, s[0:3], 0 offset:164
	buffer_load_dword v30, off, s[0:3], 0 offset:172
	buffer_load_dword v28, off, s[0:3], 0 offset:180
	buffer_load_dword v34, off, s[0:3], 0 offset:156
	buffer_load_dword v29, off, s[0:3], 0 offset:188
	buffer_load_dword v92, off, s[0:3], 0 offset:196
	buffer_load_dword v94, off, s[0:3], 0 offset:204
	buffer_load_dword v112, off, s[0:3], 0 offset:212
	buffer_load_dword v113, off, s[0:3], 0 offset:152
	buffer_load_dword v114, off, s[0:3], 0 offset:144
	buffer_load_dword v115, off, s[0:3], 0 offset:136
	buffer_load_dword v116, off, s[0:3], 0 offset:184
	buffer_load_dword v117, off, s[0:3], 0 offset:176
	buffer_load_dword v118, off, s[0:3], 0 offset:168
	buffer_load_dword v119, off, s[0:3], 0 offset:160
	buffer_load_dword v120, off, s[0:3], 0 offset:216
	buffer_load_dword v121, off, s[0:3], 0 offset:208
	buffer_load_dword v122, off, s[0:3], 0 offset:200
	buffer_load_dword v123, off, s[0:3], 0 offset:192
	buffer_load_dword v124, off, s[0:3], 0 offset:220
	buffer_load_dword v125, off, s[0:3], 0 offset:232
	buffer_load_dword v126, off, s[0:3], 0 offset:236
	buffer_load_dword v127, off, s[0:3], 0 offset:240
	buffer_load_dword v128, off, s[0:3], 0 offset:244
	buffer_load_dword v129, off, s[0:3], 0 offset:248
	buffer_load_dword v130, off, s[0:3], 0 offset:252
	buffer_load_dword v131, off, s[0:3], 0 offset:228
	buffer_load_dword v132, off, s[0:3], 0 offset:224
	buffer_load_dword v26, off, s[0:3], 0 offset:128
	buffer_load_dword v27, off, s[0:3], 0 offset:132
	buffer_load_dword v133, off, s[0:3], 0 offset:256
	buffer_load_dword v134, off, s[0:3], 0 offset:260
	buffer_load_dword v135, off, s[0:3], 0 offset:264
	buffer_load_dword v136, off, s[0:3], 0 offset:268
	buffer_load_dword v137, off, s[0:3], 0 offset:272
	buffer_load_dword v138, off, s[0:3], 0 offset:276
	buffer_load_dword v139, off, s[0:3], 0 offset:280
	buffer_load_dword v140, off, s[0:3], 0 offset:284
	buffer_load_dword v141, off, s[0:3], 0 offset:288
	buffer_load_dword v142, off, s[0:3], 0 offset:292
	buffer_load_dword v143, off, s[0:3], 0 offset:296
	buffer_load_dword v144, off, s[0:3], 0 offset:300
	buffer_load_dword v145, off, s[0:3], 0 offset:304
	buffer_load_dword v146, off, s[0:3], 0 offset:308
	buffer_load_dword v147, off, s[0:3], 0 offset:312
	buffer_load_dword v148, off, s[0:3], 0 offset:316
	v_mov_b32_e32 v1, 0
	ds_read2_b64 v[22:25], v1 offset0:81 offset1:82
	ds_read2_b64 v[18:21], v1 offset0:83 offset1:84
	;; [unrolled: 1-line block ×6, first 2 shown]
	buffer_load_dword v149, off, s[0:3], 0 offset:320
	buffer_load_dword v150, off, s[0:3], 0 offset:324
	;; [unrolled: 1-line block ×12, first 2 shown]
	v_cmp_lt_u32_e32 vcc, 15, v0
	s_waitcnt vmcnt(59) lgkmcnt(5)
	v_mul_f32_e32 v35, v22, v33
	s_waitcnt vmcnt(58)
	v_mul_f32_e32 v36, v24, v32
	s_waitcnt vmcnt(57) lgkmcnt(4)
	v_mul_f32_e32 v38, v20, v31
	s_waitcnt vmcnt(56) lgkmcnt(3)
	v_mul_f32_e32 v39, v14, v30
	s_waitcnt vmcnt(55)
	v_mul_f32_e32 v40, v16, v28
	s_waitcnt vmcnt(54)
	v_mul_f32_e32 v37, v18, v34
	s_waitcnt vmcnt(53) lgkmcnt(2)
	v_mul_f32_e32 v41, v10, v29
	s_waitcnt vmcnt(52)
	v_mul_f32_e32 v42, v12, v92
	s_waitcnt vmcnt(51) lgkmcnt(1)
	v_mul_f32_e32 v43, v6, v94
	s_waitcnt vmcnt(50)
	v_mul_f32_e32 v44, v8, v112
	s_waitcnt vmcnt(49)
	v_fmac_f32_e32 v37, v19, v113
	s_waitcnt vmcnt(48)
	v_fmac_f32_e32 v36, v25, v114
	s_waitcnt vmcnt(47)
	v_fmac_f32_e32 v35, v23, v115
	v_add_f32_e32 v35, 0, v35
	v_add_f32_e32 v35, v35, v36
	;; [unrolled: 1-line block ×3, first 2 shown]
	s_waitcnt vmcnt(43)
	v_fmac_f32_e32 v38, v21, v119
	v_fmac_f32_e32 v39, v15, v118
	v_add_f32_e32 v35, v35, v38
	v_fmac_f32_e32 v40, v17, v117
	v_add_f32_e32 v35, v35, v39
	;; [unrolled: 2-line block ×3, first 2 shown]
	s_waitcnt vmcnt(39)
	v_fmac_f32_e32 v42, v13, v123
	v_add_f32_e32 v35, v35, v41
	v_fmac_f32_e32 v43, v7, v122
	v_add_f32_e32 v35, v35, v42
	;; [unrolled: 2-line block ×3, first 2 shown]
	s_waitcnt vmcnt(38) lgkmcnt(0)
	v_mul_f32_e32 v36, v2, v124
	v_add_f32_e32 v35, v35, v44
	v_fmac_f32_e32 v36, v3, v120
	v_add_f32_e32 v35, v35, v36
	ds_read2_b64 v[36:39], v1 offset0:93 offset1:94
	buffer_load_dword v161, off, s[0:3], 0 offset:368
	buffer_load_dword v162, off, s[0:3], 0 offset:372
	;; [unrolled: 1-line block ×4, first 2 shown]
	s_waitcnt vmcnt(35)
	v_mul_f32_e32 v40, v4, v131
	s_waitcnt vmcnt(34)
	v_fmac_f32_e32 v40, v5, v132
	v_add_f32_e32 v35, v35, v40
	ds_read2_b64 v[40:43], v1 offset0:95 offset1:96
	buffer_load_dword v165, off, s[0:3], 0 offset:384
	buffer_load_dword v166, off, s[0:3], 0 offset:388
	;; [unrolled: 1-line block ×10, first 2 shown]
	s_waitcnt lgkmcnt(1)
	v_mul_f32_e32 v44, v36, v126
	v_fmac_f32_e32 v44, v37, v125
	v_add_f32_e32 v35, v35, v44
	v_mul_f32_e32 v44, v38, v128
	v_fmac_f32_e32 v44, v39, v127
	v_add_f32_e32 v35, v35, v44
	s_waitcnt lgkmcnt(0)
	v_mul_f32_e32 v44, v40, v130
	v_fmac_f32_e32 v44, v41, v129
	v_add_f32_e32 v35, v35, v44
	buffer_load_dword v175, off, s[0:3], 0 offset:424
	buffer_load_dword v176, off, s[0:3], 0 offset:428
	buffer_load_dword v177, off, s[0:3], 0 offset:432
	buffer_load_dword v178, off, s[0:3], 0 offset:436
	buffer_load_dword v179, off, s[0:3], 0 offset:440
	buffer_load_dword v180, off, s[0:3], 0 offset:444
	ds_read2_b64 v[44:47], v1 offset0:97 offset1:98
	s_waitcnt vmcnt(46)
	v_mul_f32_e32 v48, v42, v134
	v_fmac_f32_e32 v48, v43, v133
	v_add_f32_e32 v35, v35, v48
	ds_read2_b64 v[48:51], v1 offset0:99 offset1:100
	s_waitcnt vmcnt(44) lgkmcnt(1)
	v_mul_f32_e32 v52, v44, v136
	v_fmac_f32_e32 v52, v45, v135
	v_add_f32_e32 v35, v35, v52
	s_waitcnt vmcnt(42)
	v_mul_f32_e32 v52, v46, v138
	v_fmac_f32_e32 v52, v47, v137
	v_add_f32_e32 v35, v35, v52
	s_waitcnt vmcnt(40) lgkmcnt(0)
	v_mul_f32_e32 v52, v48, v140
	v_fmac_f32_e32 v52, v49, v139
	v_add_f32_e32 v35, v35, v52
	ds_read2_b64 v[52:55], v1 offset0:101 offset1:102
	s_waitcnt vmcnt(38)
	v_mul_f32_e32 v56, v50, v142
	v_fmac_f32_e32 v56, v51, v141
	v_add_f32_e32 v35, v35, v56
	ds_read2_b64 v[56:59], v1 offset0:103 offset1:104
	s_waitcnt vmcnt(36) lgkmcnt(1)
	v_mul_f32_e32 v60, v52, v144
	v_fmac_f32_e32 v60, v53, v143
	v_add_f32_e32 v35, v35, v60
	s_waitcnt vmcnt(34)
	v_mul_f32_e32 v60, v54, v146
	v_fmac_f32_e32 v60, v55, v145
	v_add_f32_e32 v35, v35, v60
	s_waitcnt vmcnt(32) lgkmcnt(0)
	v_mul_f32_e32 v60, v56, v148
	v_fmac_f32_e32 v60, v57, v147
	v_add_f32_e32 v35, v35, v60
	;; [unrolled: 18-line block ×3, first 2 shown]
	ds_read2_b64 v[68:71], v1 offset0:109 offset1:110
	s_waitcnt vmcnt(22)
	v_mul_f32_e32 v72, v66, v158
	v_fmac_f32_e32 v72, v67, v157
	v_add_f32_e32 v35, v35, v72
	ds_read2_b64 v[72:75], v1 offset0:111 offset1:112
	s_waitcnt vmcnt(20) lgkmcnt(1)
	v_mul_f32_e32 v76, v68, v160
	v_fmac_f32_e32 v76, v69, v159
	v_add_f32_e32 v35, v35, v76
	v_mul_f32_e32 v23, v23, v33
	v_fma_f32 v22, v22, v115, -v23
	v_mul_f32_e32 v23, v25, v32
	v_add_f32_e32 v22, 0, v22
	v_fma_f32 v23, v24, v114, -v23
	v_mul_f32_e32 v19, v19, v34
	v_add_f32_e32 v22, v22, v23
	v_fma_f32 v18, v18, v113, -v19
	v_mul_f32_e32 v19, v21, v31
	s_waitcnt vmcnt(18)
	v_mul_f32_e32 v76, v70, v162
	v_fmac_f32_e32 v76, v71, v161
	v_add_f32_e32 v35, v35, v76
	s_waitcnt vmcnt(16) lgkmcnt(0)
	v_mul_f32_e32 v76, v72, v164
	v_fmac_f32_e32 v76, v73, v163
	v_add_f32_e32 v35, v35, v76
	ds_read2_b64 v[76:79], v1 offset0:113 offset1:114
	s_waitcnt vmcnt(14)
	v_mul_f32_e32 v80, v74, v166
	v_fmac_f32_e32 v80, v75, v165
	v_add_f32_e32 v35, v35, v80
	ds_read2_b64 v[80:83], v1 offset0:115 offset1:116
	s_waitcnt vmcnt(12) lgkmcnt(1)
	v_mul_f32_e32 v84, v76, v168
	v_fmac_f32_e32 v84, v77, v167
	v_add_f32_e32 v35, v35, v84
	s_waitcnt vmcnt(10)
	v_mul_f32_e32 v84, v78, v170
	v_fmac_f32_e32 v84, v79, v169
	v_add_f32_e32 v35, v35, v84
	s_waitcnt vmcnt(8) lgkmcnt(0)
	v_mul_f32_e32 v84, v80, v172
	v_fmac_f32_e32 v84, v81, v171
	s_waitcnt vmcnt(6)
	v_mul_f32_e32 v88, v82, v174
	v_add_f32_e32 v35, v35, v84
	v_fmac_f32_e32 v88, v83, v173
	ds_read2_b64 v[84:87], v1 offset0:117 offset1:118
	v_add_f32_e32 v35, v35, v88
	ds_read2_b64 v[88:91], v1 offset0:119 offset1:120
	buffer_load_dword v97, off, s[0:3], 0 offset:476
	buffer_load_dword v96, off, s[0:3], 0 offset:472
	;; [unrolled: 1-line block ×16, first 2 shown]
	v_add_f32_e32 v18, v22, v18
	v_fma_f32 v19, v20, v119, -v19
	v_mul_f32_e32 v15, v15, v30
	v_add_f32_e32 v18, v18, v19
	v_fma_f32 v14, v14, v118, -v15
	v_mul_f32_e32 v15, v17, v28
	;; [unrolled: 3-line block ×8, first 2 shown]
	v_add_f32_e32 v2, v6, v2
	v_fma_f32 v3, v4, v132, -v3
	v_add_f32_e32 v2, v2, v3
	v_mul_f32_e32 v3, v37, v126
	v_fma_f32 v3, v36, v125, -v3
	v_add_f32_e32 v2, v2, v3
	v_mul_f32_e32 v3, v39, v128
	;; [unrolled: 3-line block ×24, first 2 shown]
	v_fma_f32 v3, v82, v173, -v3
	v_add_f32_e32 v2, v2, v3
	s_waitcnt vmcnt(20) lgkmcnt(1)
	v_mul_f32_e32 v3, v85, v176
	v_mul_f32_e32 v93, v84, v176
	v_fma_f32 v3, v84, v175, -v3
	v_fmac_f32_e32 v93, v85, v175
	v_add_f32_e32 v34, v2, v3
	s_waitcnt vmcnt(18)
	v_mul_f32_e32 v2, v87, v178
	s_waitcnt vmcnt(9)
	v_mov_b32_e32 v18, v103
	v_add_f32_e32 v35, v35, v93
	v_mul_f32_e32 v93, v86, v178
	v_fma_f32 v92, v86, v177, -v2
	s_waitcnt lgkmcnt(0)
	v_mul_f32_e32 v2, v89, v180
	v_pk_mul_f32 v[18:19], v[90:91], v[18:19] op_sel_hi:[1,0]
	v_fmac_f32_e32 v93, v87, v177
	v_mul_f32_e32 v95, v88, v180
	v_fma_f32 v94, v88, v179, -v2
	ds_read2_b64 v[2:5], v1 offset0:121 offset1:122
	ds_read2_b64 v[6:9], v1 offset0:123 offset1:124
	ds_read2_b64 v[10:13], v1 offset0:125 offset1:126
	ds_read_b64 v[14:15], v1 offset:1016
	s_waitcnt vmcnt(8)
	v_pk_fma_f32 v[20:21], v[90:91], v[102:103], v[18:19] op_sel:[0,0,1] op_sel_hi:[1,1,0] neg_lo:[0,0,1] neg_hi:[0,0,1]
	v_pk_fma_f32 v[18:19], v[90:91], v[102:103], v[18:19] op_sel:[0,0,1] op_sel_hi:[1,0,0]
	v_fmac_f32_e32 v95, v89, v179
	v_pk_add_f32 v[16:17], v[34:35], v[92:93]
	v_mov_b32_e32 v18, v101
	v_pk_add_f32 v[16:17], v[16:17], v[94:95]
	v_mov_b32_e32 v21, v19
	s_waitcnt lgkmcnt(3)
	v_pk_mul_f32 v[18:19], v[2:3], v[18:19] op_sel_hi:[1,0]
	v_pk_add_f32 v[16:17], v[16:17], v[20:21]
	v_pk_fma_f32 v[20:21], v[2:3], v[100:101], v[18:19] op_sel:[0,0,1] op_sel_hi:[1,1,0] neg_lo:[0,0,1] neg_hi:[0,0,1]
	v_pk_fma_f32 v[2:3], v[2:3], v[100:101], v[18:19] op_sel:[0,0,1] op_sel_hi:[1,0,0]
	v_mov_b32_e32 v21, v3
	v_pk_add_f32 v[2:3], v[16:17], v[20:21]
	v_mov_b32_e32 v16, v99
	v_pk_mul_f32 v[16:17], v[4:5], v[16:17] op_sel_hi:[1,0]
	v_pk_fma_f32 v[18:19], v[4:5], v[98:99], v[16:17] op_sel:[0,0,1] op_sel_hi:[1,1,0] neg_lo:[0,0,1] neg_hi:[0,0,1]
	v_pk_fma_f32 v[4:5], v[4:5], v[98:99], v[16:17] op_sel:[0,0,1] op_sel_hi:[1,0,0]
	v_mov_b32_e32 v4, v97
	v_mov_b32_e32 v19, v5
	s_waitcnt lgkmcnt(2)
	v_pk_mul_f32 v[4:5], v[6:7], v[4:5] op_sel_hi:[1,0]
	v_pk_fma_f32 v[16:17], v[6:7], v[96:97], v[4:5] op_sel:[0,0,1] op_sel_hi:[1,1,0] neg_lo:[0,0,1] neg_hi:[0,0,1]
	v_pk_fma_f32 v[4:5], v[6:7], v[96:97], v[4:5] op_sel:[0,0,1] op_sel_hi:[1,0,0]
	s_waitcnt vmcnt(1)
	v_mov_b32_e32 v4, v111
	v_mov_b32_e32 v17, v5
	v_pk_mul_f32 v[4:5], v[8:9], v[4:5] op_sel_hi:[1,0]
	s_waitcnt vmcnt(0)
	v_pk_fma_f32 v[6:7], v[8:9], v[110:111], v[4:5] op_sel:[0,0,1] op_sel_hi:[1,1,0] neg_lo:[0,0,1] neg_hi:[0,0,1]
	v_pk_fma_f32 v[4:5], v[8:9], v[110:111], v[4:5] op_sel:[0,0,1] op_sel_hi:[1,0,0]
	v_pk_add_f32 v[2:3], v[2:3], v[18:19]
	v_mov_b32_e32 v4, v109
	v_pk_add_f32 v[2:3], v[2:3], v[16:17]
	v_mov_b32_e32 v7, v5
	s_waitcnt lgkmcnt(1)
	v_pk_mul_f32 v[4:5], v[10:11], v[4:5] op_sel_hi:[1,0]
	v_pk_add_f32 v[2:3], v[2:3], v[6:7]
	v_pk_fma_f32 v[6:7], v[10:11], v[108:109], v[4:5] op_sel:[0,0,1] op_sel_hi:[1,1,0] neg_lo:[0,0,1] neg_hi:[0,0,1]
	v_pk_fma_f32 v[4:5], v[10:11], v[108:109], v[4:5] op_sel:[0,0,1] op_sel_hi:[1,0,0]
	v_mov_b32_e32 v4, v107
	v_mov_b32_e32 v7, v5
	v_pk_mul_f32 v[4:5], v[12:13], v[4:5] op_sel_hi:[1,0]
	v_pk_add_f32 v[2:3], v[2:3], v[6:7]
	v_pk_fma_f32 v[6:7], v[12:13], v[106:107], v[4:5] op_sel:[0,0,1] op_sel_hi:[1,1,0] neg_lo:[0,0,1] neg_hi:[0,0,1]
	v_pk_fma_f32 v[4:5], v[12:13], v[106:107], v[4:5] op_sel:[0,0,1] op_sel_hi:[1,0,0]
	v_mov_b32_e32 v4, v105
	v_mov_b32_e32 v7, v5
	s_waitcnt lgkmcnt(0)
	v_pk_mul_f32 v[4:5], v[14:15], v[4:5] op_sel_hi:[1,0]
	v_pk_add_f32 v[2:3], v[2:3], v[6:7]
	v_pk_fma_f32 v[6:7], v[14:15], v[104:105], v[4:5] op_sel:[0,0,1] op_sel_hi:[1,1,0] neg_lo:[0,0,1] neg_hi:[0,0,1]
	v_pk_fma_f32 v[4:5], v[14:15], v[104:105], v[4:5] op_sel:[0,0,1] op_sel_hi:[1,0,0]
	v_mov_b32_e32 v7, v5
	v_pk_add_f32 v[2:3], v[2:3], v[6:7]
	v_pk_add_f32 v[2:3], v[26:27], v[2:3] neg_lo:[0,1] neg_hi:[0,1]
	buffer_store_dword v3, off, s[0:3], 0 offset:132
	buffer_store_dword v2, off, s[0:3], 0 offset:128
	s_and_saveexec_b64 s[4:5], vcc
	s_cbranch_execz .LBB63_367
; %bb.366:
	buffer_load_dword v2, off, s[0:3], 0 offset:120
	buffer_load_dword v3, off, s[0:3], 0 offset:124
	s_waitcnt vmcnt(0)
	ds_write_b64 v223, v[2:3]
	buffer_store_dword v1, off, s[0:3], 0 offset:120
	buffer_store_dword v1, off, s[0:3], 0 offset:124
.LBB63_367:
	s_or_b64 exec, exec, s[4:5]
	s_waitcnt lgkmcnt(0)
	; wave barrier
	s_waitcnt lgkmcnt(0)
	buffer_load_dword v41, off, s[0:3], 0 offset:132
	buffer_load_dword v40, off, s[0:3], 0 offset:140
	buffer_load_dword v39, off, s[0:3], 0 offset:156
	buffer_load_dword v38, off, s[0:3], 0 offset:164
	buffer_load_dword v36, off, s[0:3], 0 offset:172
	buffer_load_dword v42, off, s[0:3], 0 offset:148
	buffer_load_dword v37, off, s[0:3], 0 offset:180
	buffer_load_dword v43, off, s[0:3], 0 offset:188
	buffer_load_dword v92, off, s[0:3], 0 offset:196
	buffer_load_dword v94, off, s[0:3], 0 offset:204
	buffer_load_dword v102, off, s[0:3], 0 offset:212
	buffer_load_dword v114, off, s[0:3], 0 offset:144
	buffer_load_dword v115, off, s[0:3], 0 offset:136
	buffer_load_dword v116, off, s[0:3], 0 offset:128
	buffer_load_dword v117, off, s[0:3], 0 offset:176
	buffer_load_dword v118, off, s[0:3], 0 offset:168
	buffer_load_dword v119, off, s[0:3], 0 offset:160
	buffer_load_dword v120, off, s[0:3], 0 offset:152
	buffer_load_dword v121, off, s[0:3], 0 offset:208
	buffer_load_dword v122, off, s[0:3], 0 offset:200
	buffer_load_dword v123, off, s[0:3], 0 offset:192
	buffer_load_dword v124, off, s[0:3], 0 offset:184
	buffer_load_dword v125, off, s[0:3], 0 offset:232
	buffer_load_dword v126, off, s[0:3], 0 offset:236
	buffer_load_dword v127, off, s[0:3], 0 offset:240
	buffer_load_dword v128, off, s[0:3], 0 offset:244
	buffer_load_dword v129, off, s[0:3], 0 offset:224
	buffer_load_dword v130, off, s[0:3], 0 offset:220
	buffer_load_dword v131, off, s[0:3], 0 offset:216
	buffer_load_dword v132, off, s[0:3], 0 offset:228
	buffer_load_dword v34, off, s[0:3], 0 offset:120
	buffer_load_dword v35, off, s[0:3], 0 offset:124
	ds_read_b128 v[22:25], v1 offset:640
	ds_read_b128 v[18:21], v1 offset:656
	;; [unrolled: 1-line block ×6, first 2 shown]
	buffer_load_dword v133, off, s[0:3], 0 offset:248
	buffer_load_dword v134, off, s[0:3], 0 offset:252
	buffer_load_dword v135, off, s[0:3], 0 offset:256
	buffer_load_dword v136, off, s[0:3], 0 offset:260
	buffer_load_dword v137, off, s[0:3], 0 offset:264
	buffer_load_dword v138, off, s[0:3], 0 offset:268
	buffer_load_dword v139, off, s[0:3], 0 offset:272
	buffer_load_dword v140, off, s[0:3], 0 offset:276
	buffer_load_dword v141, off, s[0:3], 0 offset:280
	buffer_load_dword v142, off, s[0:3], 0 offset:284
	buffer_load_dword v143, off, s[0:3], 0 offset:288
	buffer_load_dword v144, off, s[0:3], 0 offset:292
	buffer_load_dword v145, off, s[0:3], 0 offset:296
	buffer_load_dword v146, off, s[0:3], 0 offset:300
	buffer_load_dword v147, off, s[0:3], 0 offset:304
	buffer_load_dword v148, off, s[0:3], 0 offset:308
	buffer_load_dword v149, off, s[0:3], 0 offset:312
	buffer_load_dword v150, off, s[0:3], 0 offset:316
	buffer_load_dword v151, off, s[0:3], 0 offset:320
	buffer_load_dword v152, off, s[0:3], 0 offset:324
	buffer_load_dword v153, off, s[0:3], 0 offset:328
	buffer_load_dword v154, off, s[0:3], 0 offset:332
	buffer_load_dword v155, off, s[0:3], 0 offset:336
	buffer_load_dword v156, off, s[0:3], 0 offset:340
	buffer_load_dword v157, off, s[0:3], 0 offset:344
	buffer_load_dword v158, off, s[0:3], 0 offset:348
	v_cmp_lt_u32_e32 vcc, 14, v0
	s_waitcnt vmcnt(57) lgkmcnt(5)
	v_mul_f32_e32 v26, v22, v41
	s_waitcnt vmcnt(56)
	v_mul_f32_e32 v27, v24, v40
	s_waitcnt vmcnt(55) lgkmcnt(4)
	v_mul_f32_e32 v29, v20, v39
	s_waitcnt vmcnt(54) lgkmcnt(3)
	v_mul_f32_e32 v30, v14, v38
	s_waitcnt vmcnt(53)
	v_mul_f32_e32 v31, v16, v36
	s_waitcnt vmcnt(52)
	v_mul_f32_e32 v28, v18, v42
	s_waitcnt vmcnt(51) lgkmcnt(2)
	v_mul_f32_e32 v32, v10, v37
	s_waitcnt vmcnt(50)
	v_mul_f32_e32 v33, v12, v43
	s_waitcnt vmcnt(49) lgkmcnt(1)
	;; [unrolled: 4-line block ×3, first 2 shown]
	v_mul_f32_e32 v46, v2, v102
	s_waitcnt vmcnt(46)
	v_fmac_f32_e32 v28, v19, v114
	s_waitcnt vmcnt(45)
	v_fmac_f32_e32 v27, v25, v115
	;; [unrolled: 2-line block ×3, first 2 shown]
	v_add_f32_e32 v26, 0, v26
	v_add_f32_e32 v26, v26, v27
	;; [unrolled: 1-line block ×3, first 2 shown]
	s_waitcnt vmcnt(40)
	v_fmac_f32_e32 v29, v21, v120
	v_fmac_f32_e32 v30, v15, v119
	v_add_f32_e32 v26, v26, v29
	v_fmac_f32_e32 v31, v17, v118
	v_add_f32_e32 v26, v26, v30
	;; [unrolled: 2-line block ×3, first 2 shown]
	s_waitcnt vmcnt(36)
	v_fmac_f32_e32 v33, v13, v124
	v_add_f32_e32 v26, v26, v32
	v_fmac_f32_e32 v44, v7, v123
	v_add_f32_e32 v26, v26, v33
	;; [unrolled: 2-line block ×4, first 2 shown]
	s_waitcnt vmcnt(30)
	v_mul_f32_e32 v27, v4, v130
	v_add_f32_e32 v26, v26, v46
	s_waitcnt vmcnt(29)
	v_fmac_f32_e32 v27, v5, v131
	v_add_f32_e32 v44, v26, v27
	ds_read_b128 v[26:29], v1 offset:736
	buffer_load_dword v159, off, s[0:3], 0 offset:352
	buffer_load_dword v160, off, s[0:3], 0 offset:356
	ds_read_b128 v[30:33], v1 offset:752
	buffer_load_dword v161, off, s[0:3], 0 offset:360
	buffer_load_dword v162, off, s[0:3], 0 offset:364
	;; [unrolled: 1-line block ×14, first 2 shown]
	s_waitcnt vmcnt(44) lgkmcnt(1)
	v_mul_f32_e32 v45, v26, v132
	v_fmac_f32_e32 v45, v27, v129
	v_add_f32_e32 v44, v44, v45
	v_mul_f32_e32 v45, v28, v126
	v_fmac_f32_e32 v45, v29, v125
	v_add_f32_e32 v44, v44, v45
	s_waitcnt lgkmcnt(0)
	v_mul_f32_e32 v45, v30, v128
	v_fmac_f32_e32 v45, v31, v127
	v_add_f32_e32 v48, v44, v45
	buffer_load_dword v175, off, s[0:3], 0 offset:416
	buffer_load_dword v176, off, s[0:3], 0 offset:420
	ds_read_b128 v[44:47], v1 offset:768
	s_waitcnt vmcnt(42)
	v_mul_f32_e32 v49, v32, v134
	v_fmac_f32_e32 v49, v33, v133
	buffer_load_dword v177, off, s[0:3], 0 offset:424
	buffer_load_dword v178, off, s[0:3], 0 offset:428
	v_add_f32_e32 v52, v48, v49
	buffer_load_dword v179, off, s[0:3], 0 offset:432
	buffer_load_dword v180, off, s[0:3], 0 offset:436
	ds_read_b128 v[48:51], v1 offset:784
	s_waitcnt vmcnt(44) lgkmcnt(1)
	v_mul_f32_e32 v53, v44, v136
	v_fmac_f32_e32 v53, v45, v135
	v_add_f32_e32 v52, v52, v53
	s_waitcnt vmcnt(42)
	v_mul_f32_e32 v53, v46, v138
	v_fmac_f32_e32 v53, v47, v137
	v_add_f32_e32 v52, v52, v53
	s_waitcnt vmcnt(40) lgkmcnt(0)
	v_mul_f32_e32 v53, v48, v140
	v_fmac_f32_e32 v53, v49, v139
	buffer_load_dword v181, off, s[0:3], 0 offset:440
	buffer_load_dword v182, off, s[0:3], 0 offset:444
	v_add_f32_e32 v56, v52, v53
	ds_read_b128 v[52:55], v1 offset:800
	s_waitcnt vmcnt(40)
	v_mul_f32_e32 v57, v50, v142
	v_fmac_f32_e32 v57, v51, v141
	v_add_f32_e32 v60, v56, v57
	ds_read_b128 v[56:59], v1 offset:816
	s_waitcnt vmcnt(38) lgkmcnt(1)
	v_mul_f32_e32 v61, v52, v144
	v_fmac_f32_e32 v61, v53, v143
	v_add_f32_e32 v60, v60, v61
	s_waitcnt vmcnt(36)
	v_mul_f32_e32 v61, v54, v146
	v_fmac_f32_e32 v61, v55, v145
	v_add_f32_e32 v60, v60, v61
	s_waitcnt vmcnt(34) lgkmcnt(0)
	v_mul_f32_e32 v61, v56, v148
	v_fmac_f32_e32 v61, v57, v147
	v_add_f32_e32 v64, v60, v61
	ds_read_b128 v[60:63], v1 offset:832
	s_waitcnt vmcnt(32)
	v_mul_f32_e32 v65, v58, v150
	v_fmac_f32_e32 v65, v59, v149
	v_add_f32_e32 v68, v64, v65
	ds_read_b128 v[64:67], v1 offset:848
	s_waitcnt vmcnt(30) lgkmcnt(1)
	v_mul_f32_e32 v69, v60, v152
	v_fmac_f32_e32 v69, v61, v151
	v_add_f32_e32 v68, v68, v69
	s_waitcnt vmcnt(28)
	v_mul_f32_e32 v69, v62, v154
	v_fmac_f32_e32 v69, v63, v153
	v_add_f32_e32 v68, v68, v69
	s_waitcnt vmcnt(26) lgkmcnt(0)
	v_mul_f32_e32 v69, v64, v156
	v_fmac_f32_e32 v69, v65, v155
	v_add_f32_e32 v72, v68, v69
	ds_read_b128 v[68:71], v1 offset:864
	s_waitcnt vmcnt(24)
	v_mul_f32_e32 v73, v66, v158
	v_fmac_f32_e32 v73, v67, v157
	v_add_f32_e32 v76, v72, v73
	ds_read_b128 v[72:75], v1 offset:880
	v_mul_f32_e32 v23, v23, v41
	v_fma_f32 v22, v22, v116, -v23
	v_mul_f32_e32 v23, v25, v40
	v_add_f32_e32 v22, 0, v22
	v_fma_f32 v23, v24, v115, -v23
	v_mul_f32_e32 v19, v19, v42
	v_add_f32_e32 v22, v22, v23
	;; [unrolled: 3-line block ×3, first 2 shown]
	v_fma_f32 v19, v20, v120, -v19
	s_waitcnt vmcnt(22) lgkmcnt(1)
	v_mul_f32_e32 v77, v68, v160
	v_fmac_f32_e32 v77, v69, v159
	v_add_f32_e32 v76, v76, v77
	s_waitcnt vmcnt(20)
	v_mul_f32_e32 v77, v70, v162
	v_fmac_f32_e32 v77, v71, v161
	v_add_f32_e32 v76, v76, v77
	s_waitcnt vmcnt(18) lgkmcnt(0)
	v_mul_f32_e32 v77, v72, v164
	v_fmac_f32_e32 v77, v73, v163
	v_add_f32_e32 v80, v76, v77
	ds_read_b128 v[76:79], v1 offset:896
	s_waitcnt vmcnt(16)
	v_mul_f32_e32 v81, v74, v166
	v_fmac_f32_e32 v81, v75, v165
	v_add_f32_e32 v84, v80, v81
	ds_read_b128 v[80:83], v1 offset:912
	s_waitcnt vmcnt(14) lgkmcnt(1)
	v_mul_f32_e32 v85, v76, v168
	v_fmac_f32_e32 v85, v77, v167
	v_add_f32_e32 v84, v84, v85
	s_waitcnt vmcnt(12)
	v_mul_f32_e32 v85, v78, v170
	v_fmac_f32_e32 v85, v79, v169
	v_add_f32_e32 v84, v84, v85
	s_waitcnt vmcnt(10) lgkmcnt(0)
	v_mul_f32_e32 v85, v80, v172
	v_fmac_f32_e32 v85, v81, v171
	s_waitcnt vmcnt(8)
	v_mul_f32_e32 v89, v82, v174
	v_add_f32_e32 v88, v84, v85
	v_fmac_f32_e32 v89, v83, v173
	ds_read_b128 v[84:87], v1 offset:928
	v_add_f32_e32 v93, v88, v89
	ds_read_b128 v[88:91], v1 offset:944
	buffer_load_dword v97, off, s[0:3], 0 offset:468
	buffer_load_dword v96, off, s[0:3], 0 offset:464
	;; [unrolled: 1-line block ×16, first 2 shown]
	v_mul_f32_e32 v15, v15, v38
	v_add_f32_e32 v18, v18, v19
	v_fma_f32 v14, v14, v119, -v15
	v_mul_f32_e32 v15, v17, v36
	v_add_f32_e32 v14, v18, v14
	v_fma_f32 v15, v16, v118, -v15
	;; [unrolled: 3-line block ×8, first 2 shown]
	v_add_f32_e32 v2, v2, v3
	v_mul_f32_e32 v3, v27, v132
	v_fma_f32 v3, v26, v129, -v3
	v_add_f32_e32 v2, v2, v3
	v_mul_f32_e32 v3, v29, v126
	v_fma_f32 v3, v28, v125, -v3
	;; [unrolled: 3-line block ×24, first 2 shown]
	v_add_f32_e32 v2, v2, v3
	s_waitcnt vmcnt(22) lgkmcnt(1)
	v_mul_f32_e32 v3, v85, v176
	v_fma_f32 v3, v84, v175, -v3
	v_add_f32_e32 v2, v2, v3
	s_waitcnt vmcnt(20)
	v_mul_f32_e32 v3, v87, v178
	v_mul_f32_e32 v95, v84, v176
	v_fma_f32 v3, v86, v177, -v3
	v_fmac_f32_e32 v95, v85, v175
	v_add_f32_e32 v92, v2, v3
	s_waitcnt vmcnt(18) lgkmcnt(0)
	v_mul_f32_e32 v2, v89, v180
	v_add_f32_e32 v93, v93, v95
	v_mul_f32_e32 v95, v86, v178
	v_fma_f32 v94, v88, v179, -v2
	s_waitcnt vmcnt(16)
	v_mul_f32_e32 v2, v91, v182
	v_fmac_f32_e32 v95, v87, v177
	v_fma_f32 v102, v90, v181, -v2
	ds_read_b128 v[2:5], v1 offset:960
	ds_read_b128 v[6:9], v1 offset:976
	;; [unrolled: 1-line block ×4, first 2 shown]
	v_add_f32_e32 v93, v93, v95
	v_mul_f32_e32 v95, v88, v180
	s_waitcnt vmcnt(11)
	v_mov_b32_e32 v20, v101
	v_fmac_f32_e32 v95, v89, v179
	v_mul_f32_e32 v103, v90, v182
	s_waitcnt lgkmcnt(3)
	v_pk_mul_f32 v[20:21], v[2:3], v[20:21] op_sel_hi:[1,0]
	v_fmac_f32_e32 v103, v91, v181
	v_pk_add_f32 v[18:19], v[92:93], v[94:95]
	s_waitcnt vmcnt(10)
	v_pk_fma_f32 v[22:23], v[2:3], v[100:101], v[20:21] op_sel:[0,0,1] op_sel_hi:[1,1,0] neg_lo:[0,0,1] neg_hi:[0,0,1]
	v_pk_fma_f32 v[2:3], v[2:3], v[100:101], v[20:21] op_sel:[0,0,1] op_sel_hi:[1,0,0]
	v_pk_add_f32 v[18:19], v[18:19], v[102:103]
	v_mov_b32_e32 v23, v3
	v_pk_add_f32 v[2:3], v[18:19], v[22:23]
	v_mov_b32_e32 v18, v99
	v_pk_mul_f32 v[18:19], v[4:5], v[18:19] op_sel_hi:[1,0]
	v_pk_fma_f32 v[20:21], v[4:5], v[98:99], v[18:19] op_sel:[0,0,1] op_sel_hi:[1,1,0] neg_lo:[0,0,1] neg_hi:[0,0,1]
	v_pk_fma_f32 v[4:5], v[4:5], v[98:99], v[18:19] op_sel:[0,0,1] op_sel_hi:[1,0,0]
	v_mov_b32_e32 v4, v97
	v_mov_b32_e32 v21, v5
	s_waitcnt lgkmcnt(2)
	v_pk_mul_f32 v[4:5], v[6:7], v[4:5] op_sel_hi:[1,0]
	v_pk_fma_f32 v[18:19], v[6:7], v[96:97], v[4:5] op_sel:[0,0,1] op_sel_hi:[1,1,0] neg_lo:[0,0,1] neg_hi:[0,0,1]
	v_pk_fma_f32 v[4:5], v[6:7], v[96:97], v[4:5] op_sel:[0,0,1] op_sel_hi:[1,0,0]
	s_waitcnt vmcnt(3)
	v_mov_b32_e32 v4, v111
	v_mov_b32_e32 v19, v5
	v_pk_mul_f32 v[4:5], v[8:9], v[4:5] op_sel_hi:[1,0]
	s_waitcnt vmcnt(2)
	v_pk_fma_f32 v[6:7], v[8:9], v[110:111], v[4:5] op_sel:[0,0,1] op_sel_hi:[1,1,0] neg_lo:[0,0,1] neg_hi:[0,0,1]
	v_pk_fma_f32 v[4:5], v[8:9], v[110:111], v[4:5] op_sel:[0,0,1] op_sel_hi:[1,0,0]
	v_pk_add_f32 v[2:3], v[2:3], v[20:21]
	v_mov_b32_e32 v4, v109
	v_pk_add_f32 v[2:3], v[2:3], v[18:19]
	v_mov_b32_e32 v7, v5
	s_waitcnt lgkmcnt(1)
	v_pk_mul_f32 v[4:5], v[10:11], v[4:5] op_sel_hi:[1,0]
	v_pk_add_f32 v[2:3], v[2:3], v[6:7]
	v_pk_fma_f32 v[6:7], v[10:11], v[108:109], v[4:5] op_sel:[0,0,1] op_sel_hi:[1,1,0] neg_lo:[0,0,1] neg_hi:[0,0,1]
	v_pk_fma_f32 v[4:5], v[10:11], v[108:109], v[4:5] op_sel:[0,0,1] op_sel_hi:[1,0,0]
	v_mov_b32_e32 v4, v107
	v_mov_b32_e32 v7, v5
	v_pk_mul_f32 v[4:5], v[12:13], v[4:5] op_sel_hi:[1,0]
	v_pk_add_f32 v[2:3], v[2:3], v[6:7]
	v_pk_fma_f32 v[6:7], v[12:13], v[106:107], v[4:5] op_sel:[0,0,1] op_sel_hi:[1,1,0] neg_lo:[0,0,1] neg_hi:[0,0,1]
	v_pk_fma_f32 v[4:5], v[12:13], v[106:107], v[4:5] op_sel:[0,0,1] op_sel_hi:[1,0,0]
	v_mov_b32_e32 v4, v105
	v_mov_b32_e32 v7, v5
	s_waitcnt lgkmcnt(0)
	v_pk_mul_f32 v[4:5], v[14:15], v[4:5] op_sel_hi:[1,0]
	v_pk_add_f32 v[2:3], v[2:3], v[6:7]
	v_pk_fma_f32 v[6:7], v[14:15], v[104:105], v[4:5] op_sel:[0,0,1] op_sel_hi:[1,1,0] neg_lo:[0,0,1] neg_hi:[0,0,1]
	v_pk_fma_f32 v[4:5], v[14:15], v[104:105], v[4:5] op_sel:[0,0,1] op_sel_hi:[1,0,0]
	s_waitcnt vmcnt(1)
	v_mov_b32_e32 v4, v113
	v_mov_b32_e32 v7, v5
	v_pk_mul_f32 v[4:5], v[16:17], v[4:5] op_sel_hi:[1,0]
	v_pk_add_f32 v[2:3], v[2:3], v[6:7]
	s_waitcnt vmcnt(0)
	v_pk_fma_f32 v[6:7], v[16:17], v[112:113], v[4:5] op_sel:[0,0,1] op_sel_hi:[1,1,0] neg_lo:[0,0,1] neg_hi:[0,0,1]
	v_pk_fma_f32 v[4:5], v[16:17], v[112:113], v[4:5] op_sel:[0,0,1] op_sel_hi:[1,0,0]
	v_mov_b32_e32 v7, v5
	v_pk_add_f32 v[2:3], v[2:3], v[6:7]
	v_pk_add_f32 v[2:3], v[34:35], v[2:3] neg_lo:[0,1] neg_hi:[0,1]
	buffer_store_dword v3, off, s[0:3], 0 offset:124
	buffer_store_dword v2, off, s[0:3], 0 offset:120
	s_and_saveexec_b64 s[4:5], vcc
	s_cbranch_execz .LBB63_369
; %bb.368:
	buffer_load_dword v2, off, s[0:3], 0 offset:112
	buffer_load_dword v3, off, s[0:3], 0 offset:116
	v_mov_b32_e32 v1, 0
	buffer_store_dword v1, off, s[0:3], 0 offset:112
	buffer_store_dword v1, off, s[0:3], 0 offset:116
	s_waitcnt vmcnt(2)
	ds_write_b64 v223, v[2:3]
.LBB63_369:
	s_or_b64 exec, exec, s[4:5]
	v_mov_b32_e32 v1, 0
	s_waitcnt lgkmcnt(0)
	; wave barrier
	s_waitcnt lgkmcnt(0)
	ds_read2_b64 v[2:5], v1 offset0:79 offset1:80
	buffer_load_dword v86, off, s[0:3], 0 offset:112
	buffer_load_dword v87, off, s[0:3], 0 offset:116
	;; [unrolled: 1-line block ×16, first 2 shown]
	v_cmp_lt_u32_e32 vcc, 13, v0
	s_waitcnt vmcnt(12) lgkmcnt(0)
	v_mul_f32_e32 v6, v2, v110
	v_fmac_f32_e32 v6, v3, v88
	s_waitcnt vmcnt(10)
	v_mul_f32_e32 v7, v4, v112
	v_add_f32_e32 v6, 0, v6
	v_fmac_f32_e32 v7, v5, v90
	v_add_f32_e32 v10, v6, v7
	ds_read2_b64 v[6:9], v1 offset0:81 offset1:82
	v_mul_f32_e32 v3, v3, v110
	v_fma_f32 v2, v2, v88, -v3
	v_mul_f32_e32 v3, v5, v112
	v_add_f32_e32 v2, 0, v2
	s_waitcnt vmcnt(8) lgkmcnt(0)
	v_mul_f32_e32 v11, v6, v114
	v_fmac_f32_e32 v11, v7, v94
	v_add_f32_e32 v10, v10, v11
	s_waitcnt vmcnt(6)
	v_mul_f32_e32 v11, v8, v116
	v_fmac_f32_e32 v11, v9, v111
	v_add_f32_e32 v14, v10, v11
	ds_read2_b64 v[10:13], v1 offset0:83 offset1:84
	v_fma_f32 v3, v4, v90, -v3
	v_add_f32_e32 v2, v2, v3
	v_mul_f32_e32 v3, v7, v114
	v_fma_f32 v3, v6, v94, -v3
	s_waitcnt vmcnt(4) lgkmcnt(0)
	v_mul_f32_e32 v15, v10, v118
	v_fmac_f32_e32 v15, v11, v113
	v_add_f32_e32 v14, v14, v15
	s_waitcnt vmcnt(2)
	v_mul_f32_e32 v15, v12, v119
	v_fmac_f32_e32 v15, v13, v115
	v_add_f32_e32 v18, v14, v15
	ds_read2_b64 v[14:17], v1 offset0:85 offset1:86
	buffer_load_dword v121, off, s[0:3], 0 offset:176
	buffer_load_dword v122, off, s[0:3], 0 offset:180
	v_add_f32_e32 v2, v2, v3
	v_mul_f32_e32 v3, v9, v116
	v_fma_f32 v3, v8, v111, -v3
	s_waitcnt vmcnt(2) lgkmcnt(0)
	v_mul_f32_e32 v19, v14, v120
	v_fmac_f32_e32 v19, v15, v117
	v_add_f32_e32 v18, v18, v19
	v_add_f32_e32 v2, v2, v3
	v_mul_f32_e32 v3, v11, v118
	v_fma_f32 v3, v10, v113, -v3
	v_add_f32_e32 v2, v2, v3
	v_mul_f32_e32 v3, v13, v119
	v_fma_f32 v3, v12, v115, -v3
	;; [unrolled: 3-line block ×3, first 2 shown]
	v_add_f32_e32 v2, v2, v3
	s_waitcnt vmcnt(0)
	v_mul_f32_e32 v19, v16, v122
	v_fmac_f32_e32 v19, v17, v121
	v_add_f32_e32 v22, v18, v19
	ds_read2_b64 v[18:21], v1 offset0:87 offset1:88
	buffer_load_dword v123, off, s[0:3], 0 offset:184
	buffer_load_dword v124, off, s[0:3], 0 offset:188
	;; [unrolled: 1-line block ×4, first 2 shown]
	v_mul_f32_e32 v3, v17, v122
	v_fma_f32 v3, v16, v121, -v3
	v_add_f32_e32 v2, v2, v3
	s_waitcnt vmcnt(2) lgkmcnt(0)
	v_mul_f32_e32 v23, v18, v124
	v_fmac_f32_e32 v23, v19, v123
	v_add_f32_e32 v22, v22, v23
	s_waitcnt vmcnt(0)
	v_mul_f32_e32 v23, v20, v126
	v_fmac_f32_e32 v23, v21, v125
	v_add_f32_e32 v26, v22, v23
	ds_read2_b64 v[22:25], v1 offset0:89 offset1:90
	buffer_load_dword v127, off, s[0:3], 0 offset:200
	buffer_load_dword v128, off, s[0:3], 0 offset:204
	;; [unrolled: 1-line block ×4, first 2 shown]
	v_mul_f32_e32 v3, v19, v124
	v_fma_f32 v3, v18, v123, -v3
	v_add_f32_e32 v2, v2, v3
	v_mul_f32_e32 v3, v21, v126
	v_fma_f32 v3, v20, v125, -v3
	v_add_f32_e32 v2, v2, v3
	s_waitcnt vmcnt(2) lgkmcnt(0)
	v_mul_f32_e32 v27, v22, v128
	v_fmac_f32_e32 v27, v23, v127
	v_add_f32_e32 v26, v26, v27
	s_waitcnt vmcnt(0)
	v_mul_f32_e32 v27, v24, v130
	v_fmac_f32_e32 v27, v25, v129
	v_add_f32_e32 v30, v26, v27
	ds_read2_b64 v[26:29], v1 offset0:91 offset1:92
	buffer_load_dword v131, off, s[0:3], 0 offset:216
	buffer_load_dword v132, off, s[0:3], 0 offset:220
	;; [unrolled: 1-line block ×4, first 2 shown]
	v_mul_f32_e32 v3, v23, v128
	v_fma_f32 v3, v22, v127, -v3
	v_add_f32_e32 v2, v2, v3
	v_mul_f32_e32 v3, v25, v130
	v_fma_f32 v3, v24, v129, -v3
	v_add_f32_e32 v2, v2, v3
	s_waitcnt vmcnt(2) lgkmcnt(0)
	v_mul_f32_e32 v31, v26, v132
	v_fmac_f32_e32 v31, v27, v131
	v_add_f32_e32 v30, v30, v31
	s_waitcnt vmcnt(0)
	v_mul_f32_e32 v31, v28, v134
	v_fmac_f32_e32 v31, v29, v133
	v_add_f32_e32 v34, v30, v31
	ds_read2_b64 v[30:33], v1 offset0:93 offset1:94
	buffer_load_dword v135, off, s[0:3], 0 offset:232
	buffer_load_dword v136, off, s[0:3], 0 offset:236
	buffer_load_dword v137, off, s[0:3], 0 offset:240
	buffer_load_dword v138, off, s[0:3], 0 offset:244
	ds_read2_b64 v[38:41], v1 offset0:95 offset1:96
	buffer_load_dword v139, off, s[0:3], 0 offset:248
	buffer_load_dword v140, off, s[0:3], 0 offset:252
	buffer_load_dword v141, off, s[0:3], 0 offset:256
	buffer_load_dword v142, off, s[0:3], 0 offset:260
	;; [unrolled: 5-line block ×13, first 2 shown]
	v_mul_f32_e32 v3, v27, v132
	v_fma_f32 v3, v26, v131, -v3
	v_add_f32_e32 v2, v2, v3
	v_mul_f32_e32 v3, v29, v134
	v_fma_f32 v3, v28, v133, -v3
	v_add_f32_e32 v2, v2, v3
	s_waitcnt vmcnt(50) lgkmcnt(12)
	v_mul_f32_e32 v35, v30, v136
	v_fmac_f32_e32 v35, v31, v135
	v_add_f32_e32 v34, v34, v35
	s_waitcnt vmcnt(48)
	v_mul_f32_e32 v35, v32, v138
	v_fmac_f32_e32 v35, v33, v137
	v_add_f32_e32 v34, v34, v35
	s_waitcnt vmcnt(46) lgkmcnt(11)
	v_mul_f32_e32 v35, v38, v140
	v_fmac_f32_e32 v35, v39, v139
	v_add_f32_e32 v34, v34, v35
	s_waitcnt vmcnt(44)
	v_mul_f32_e32 v35, v40, v142
	v_fmac_f32_e32 v35, v41, v141
	v_add_f32_e32 v34, v34, v35
	s_waitcnt vmcnt(42) lgkmcnt(10)
	v_mul_f32_e32 v35, v42, v144
	v_fmac_f32_e32 v35, v43, v143
	v_add_f32_e32 v34, v34, v35
	s_waitcnt vmcnt(40)
	v_mul_f32_e32 v35, v44, v146
	v_fmac_f32_e32 v35, v45, v145
	v_add_f32_e32 v34, v34, v35
	s_waitcnt vmcnt(38) lgkmcnt(9)
	v_mul_f32_e32 v35, v46, v148
	v_fmac_f32_e32 v35, v47, v147
	v_add_f32_e32 v34, v34, v35
	s_waitcnt vmcnt(36)
	v_mul_f32_e32 v35, v48, v150
	v_fmac_f32_e32 v35, v49, v149
	v_add_f32_e32 v34, v34, v35
	s_waitcnt vmcnt(34) lgkmcnt(8)
	v_mul_f32_e32 v35, v50, v152
	v_fmac_f32_e32 v35, v51, v151
	v_add_f32_e32 v34, v34, v35
	s_waitcnt vmcnt(32)
	v_mul_f32_e32 v35, v52, v154
	v_fmac_f32_e32 v35, v53, v153
	v_add_f32_e32 v34, v34, v35
	s_waitcnt vmcnt(30) lgkmcnt(7)
	v_mul_f32_e32 v35, v54, v156
	v_fmac_f32_e32 v35, v55, v155
	v_add_f32_e32 v34, v34, v35
	s_waitcnt vmcnt(28)
	v_mul_f32_e32 v35, v56, v158
	v_fmac_f32_e32 v35, v57, v157
	v_add_f32_e32 v34, v34, v35
	s_waitcnt vmcnt(26) lgkmcnt(6)
	v_mul_f32_e32 v35, v58, v160
	v_fmac_f32_e32 v35, v59, v159
	v_add_f32_e32 v34, v34, v35
	s_waitcnt vmcnt(24)
	v_mul_f32_e32 v35, v60, v162
	v_fmac_f32_e32 v35, v61, v161
	v_add_f32_e32 v34, v34, v35
	s_waitcnt vmcnt(22) lgkmcnt(5)
	v_mul_f32_e32 v35, v62, v164
	v_fmac_f32_e32 v35, v63, v163
	v_add_f32_e32 v34, v34, v35
	s_waitcnt vmcnt(20)
	v_mul_f32_e32 v35, v64, v166
	v_fmac_f32_e32 v35, v65, v165
	v_add_f32_e32 v34, v34, v35
	s_waitcnt vmcnt(18) lgkmcnt(4)
	v_mul_f32_e32 v35, v66, v168
	v_fmac_f32_e32 v35, v67, v167
	v_add_f32_e32 v34, v34, v35
	s_waitcnt vmcnt(16)
	v_mul_f32_e32 v35, v68, v170
	v_fmac_f32_e32 v35, v69, v169
	v_add_f32_e32 v34, v34, v35
	s_waitcnt vmcnt(14) lgkmcnt(3)
	v_mul_f32_e32 v35, v70, v172
	v_fmac_f32_e32 v35, v71, v171
	v_add_f32_e32 v34, v34, v35
	s_waitcnt vmcnt(12)
	v_mul_f32_e32 v35, v72, v174
	v_fmac_f32_e32 v35, v73, v173
	v_add_f32_e32 v34, v34, v35
	s_waitcnt vmcnt(10) lgkmcnt(2)
	v_mul_f32_e32 v35, v74, v176
	v_fmac_f32_e32 v35, v75, v175
	v_add_f32_e32 v34, v34, v35
	s_waitcnt vmcnt(8)
	v_mul_f32_e32 v35, v76, v178
	v_fmac_f32_e32 v35, v77, v177
	v_add_f32_e32 v34, v34, v35
	s_waitcnt vmcnt(6) lgkmcnt(1)
	v_mul_f32_e32 v35, v78, v180
	v_fmac_f32_e32 v35, v79, v179
	v_add_f32_e32 v34, v34, v35
	s_waitcnt vmcnt(4)
	v_mul_f32_e32 v35, v80, v182
	v_fmac_f32_e32 v35, v81, v181
	v_add_f32_e32 v34, v34, v35
	s_waitcnt vmcnt(2) lgkmcnt(0)
	v_mul_f32_e32 v35, v82, v184
	v_fmac_f32_e32 v35, v83, v183
	v_add_f32_e32 v89, v34, v35
	ds_read2_b64 v[34:37], v1 offset0:119 offset1:120
	buffer_load_dword v187, off, s[0:3], 0 offset:440
	buffer_load_dword v188, off, s[0:3], 0 offset:444
	;; [unrolled: 1-line block ×18, first 2 shown]
	v_mul_f32_e32 v3, v31, v136
	v_fma_f32 v3, v30, v135, -v3
	v_add_f32_e32 v2, v2, v3
	v_mul_f32_e32 v3, v33, v138
	v_fma_f32 v3, v32, v137, -v3
	v_add_f32_e32 v2, v2, v3
	;; [unrolled: 3-line block ×25, first 2 shown]
	s_waitcnt vmcnt(18)
	v_mul_f32_e32 v2, v85, v186
	s_waitcnt vmcnt(15)
	v_mov_b32_e32 v18, v93
	v_mul_f32_e32 v91, v84, v186
	v_fma_f32 v90, v84, v185, -v2
	s_waitcnt lgkmcnt(0)
	v_mul_f32_e32 v2, v35, v188
	v_pk_mul_f32 v[18:19], v[36:37], v[18:19] op_sel_hi:[1,0]
	v_fmac_f32_e32 v91, v85, v185
	v_mul_f32_e32 v95, v34, v188
	v_fma_f32 v94, v34, v187, -v2
	ds_read2_b64 v[2:5], v1 offset0:121 offset1:122
	ds_read2_b64 v[6:9], v1 offset0:123 offset1:124
	;; [unrolled: 1-line block ×3, first 2 shown]
	ds_read_b64 v[14:15], v1 offset:1016
	s_waitcnt vmcnt(14)
	v_pk_fma_f32 v[20:21], v[36:37], v[92:93], v[18:19] op_sel:[0,0,1] op_sel_hi:[1,1,0] neg_lo:[0,0,1] neg_hi:[0,0,1]
	v_pk_fma_f32 v[18:19], v[36:37], v[92:93], v[18:19] op_sel:[0,0,1] op_sel_hi:[1,0,0]
	v_fmac_f32_e32 v95, v35, v187
	v_pk_add_f32 v[16:17], v[88:89], v[90:91]
	s_waitcnt vmcnt(13)
	v_mov_b32_e32 v18, v109
	v_pk_add_f32 v[16:17], v[16:17], v[94:95]
	v_mov_b32_e32 v21, v19
	s_waitcnt lgkmcnt(3)
	v_pk_mul_f32 v[18:19], v[2:3], v[18:19] op_sel_hi:[1,0]
	v_pk_add_f32 v[16:17], v[16:17], v[20:21]
	s_waitcnt vmcnt(12)
	v_pk_fma_f32 v[20:21], v[2:3], v[108:109], v[18:19] op_sel:[0,0,1] op_sel_hi:[1,1,0] neg_lo:[0,0,1] neg_hi:[0,0,1]
	v_pk_fma_f32 v[2:3], v[2:3], v[108:109], v[18:19] op_sel:[0,0,1] op_sel_hi:[1,0,0]
	v_mov_b32_e32 v21, v3
	v_pk_add_f32 v[2:3], v[16:17], v[20:21]
	s_waitcnt vmcnt(11)
	v_mov_b32_e32 v16, v107
	v_pk_mul_f32 v[16:17], v[4:5], v[16:17] op_sel_hi:[1,0]
	s_waitcnt vmcnt(10)
	v_pk_fma_f32 v[18:19], v[4:5], v[106:107], v[16:17] op_sel:[0,0,1] op_sel_hi:[1,1,0] neg_lo:[0,0,1] neg_hi:[0,0,1]
	v_pk_fma_f32 v[4:5], v[4:5], v[106:107], v[16:17] op_sel:[0,0,1] op_sel_hi:[1,0,0]
	s_waitcnt vmcnt(9)
	v_mov_b32_e32 v4, v105
	v_mov_b32_e32 v19, v5
	s_waitcnt lgkmcnt(2)
	v_pk_mul_f32 v[4:5], v[6:7], v[4:5] op_sel_hi:[1,0]
	s_waitcnt vmcnt(8)
	v_pk_fma_f32 v[16:17], v[6:7], v[104:105], v[4:5] op_sel:[0,0,1] op_sel_hi:[1,1,0] neg_lo:[0,0,1] neg_hi:[0,0,1]
	v_pk_fma_f32 v[4:5], v[6:7], v[104:105], v[4:5] op_sel:[0,0,1] op_sel_hi:[1,0,0]
	s_waitcnt vmcnt(7)
	v_mov_b32_e32 v4, v103
	v_mov_b32_e32 v17, v5
	v_pk_mul_f32 v[4:5], v[8:9], v[4:5] op_sel_hi:[1,0]
	s_waitcnt vmcnt(6)
	v_pk_fma_f32 v[6:7], v[8:9], v[102:103], v[4:5] op_sel:[0,0,1] op_sel_hi:[1,1,0] neg_lo:[0,0,1] neg_hi:[0,0,1]
	v_pk_fma_f32 v[4:5], v[8:9], v[102:103], v[4:5] op_sel:[0,0,1] op_sel_hi:[1,0,0]
	v_pk_add_f32 v[2:3], v[2:3], v[18:19]
	s_waitcnt vmcnt(5)
	v_mov_b32_e32 v4, v101
	v_pk_add_f32 v[2:3], v[2:3], v[16:17]
	v_mov_b32_e32 v7, v5
	s_waitcnt lgkmcnt(1)
	v_pk_mul_f32 v[4:5], v[10:11], v[4:5] op_sel_hi:[1,0]
	v_pk_add_f32 v[2:3], v[2:3], v[6:7]
	s_waitcnt vmcnt(4)
	v_pk_fma_f32 v[6:7], v[10:11], v[100:101], v[4:5] op_sel:[0,0,1] op_sel_hi:[1,1,0] neg_lo:[0,0,1] neg_hi:[0,0,1]
	v_pk_fma_f32 v[4:5], v[10:11], v[100:101], v[4:5] op_sel:[0,0,1] op_sel_hi:[1,0,0]
	s_waitcnt vmcnt(3)
	v_mov_b32_e32 v4, v99
	v_mov_b32_e32 v7, v5
	v_pk_mul_f32 v[4:5], v[12:13], v[4:5] op_sel_hi:[1,0]
	v_pk_add_f32 v[2:3], v[2:3], v[6:7]
	s_waitcnt vmcnt(2)
	v_pk_fma_f32 v[6:7], v[12:13], v[98:99], v[4:5] op_sel:[0,0,1] op_sel_hi:[1,1,0] neg_lo:[0,0,1] neg_hi:[0,0,1]
	v_pk_fma_f32 v[4:5], v[12:13], v[98:99], v[4:5] op_sel:[0,0,1] op_sel_hi:[1,0,0]
	s_waitcnt vmcnt(1)
	v_mov_b32_e32 v4, v97
	v_mov_b32_e32 v7, v5
	s_waitcnt lgkmcnt(0)
	v_pk_mul_f32 v[4:5], v[14:15], v[4:5] op_sel_hi:[1,0]
	v_pk_add_f32 v[2:3], v[2:3], v[6:7]
	s_waitcnt vmcnt(0)
	v_pk_fma_f32 v[6:7], v[14:15], v[96:97], v[4:5] op_sel:[0,0,1] op_sel_hi:[1,1,0] neg_lo:[0,0,1] neg_hi:[0,0,1]
	v_pk_fma_f32 v[4:5], v[14:15], v[96:97], v[4:5] op_sel:[0,0,1] op_sel_hi:[1,0,0]
	v_mov_b32_e32 v7, v5
	v_pk_add_f32 v[2:3], v[2:3], v[6:7]
	v_pk_add_f32 v[2:3], v[86:87], v[2:3] neg_lo:[0,1] neg_hi:[0,1]
	buffer_store_dword v3, off, s[0:3], 0 offset:116
	buffer_store_dword v2, off, s[0:3], 0 offset:112
	s_and_saveexec_b64 s[4:5], vcc
	s_cbranch_execz .LBB63_371
; %bb.370:
	buffer_load_dword v2, off, s[0:3], 0 offset:104
	buffer_load_dword v3, off, s[0:3], 0 offset:108
	s_waitcnt vmcnt(0)
	ds_write_b64 v223, v[2:3]
	buffer_store_dword v1, off, s[0:3], 0 offset:104
	buffer_store_dword v1, off, s[0:3], 0 offset:108
.LBB63_371:
	s_or_b64 exec, exec, s[4:5]
	s_waitcnt lgkmcnt(0)
	; wave barrier
	s_waitcnt lgkmcnt(0)
	buffer_load_dword v41, off, s[0:3], 0 offset:116
	buffer_load_dword v40, off, s[0:3], 0 offset:124
	;; [unrolled: 1-line block ×32, first 2 shown]
	ds_read_b128 v[22:25], v1 offset:624
	ds_read_b128 v[18:21], v1 offset:640
	;; [unrolled: 1-line block ×6, first 2 shown]
	buffer_load_dword v141, off, s[0:3], 0 offset:232
	buffer_load_dword v142, off, s[0:3], 0 offset:236
	;; [unrolled: 1-line block ×20, first 2 shown]
	v_cmp_lt_u32_e32 vcc, 12, v0
	s_waitcnt vmcnt(51) lgkmcnt(5)
	v_mul_f32_e32 v26, v22, v41
	s_waitcnt vmcnt(50)
	v_mul_f32_e32 v27, v24, v40
	s_waitcnt vmcnt(49) lgkmcnt(4)
	v_mul_f32_e32 v29, v20, v39
	s_waitcnt vmcnt(48) lgkmcnt(3)
	v_mul_f32_e32 v30, v14, v38
	s_waitcnt vmcnt(47)
	v_mul_f32_e32 v31, v16, v37
	s_waitcnt vmcnt(46) lgkmcnt(2)
	v_mul_f32_e32 v32, v10, v36
	s_waitcnt vmcnt(45)
	v_mul_f32_e32 v28, v18, v42
	s_waitcnt vmcnt(44)
	v_mul_f32_e32 v33, v12, v43
	s_waitcnt vmcnt(43) lgkmcnt(1)
	v_mul_f32_e32 v48, v6, v44
	s_waitcnt vmcnt(42)
	v_mul_f32_e32 v49, v8, v45
	s_waitcnt vmcnt(41) lgkmcnt(0)
	v_mul_f32_e32 v50, v2, v46
	s_waitcnt vmcnt(40)
	v_mul_f32_e32 v51, v4, v47
	s_waitcnt vmcnt(39)
	v_fmac_f32_e32 v28, v19, v106
	s_waitcnt vmcnt(38)
	v_fmac_f32_e32 v27, v25, v108
	;; [unrolled: 2-line block ×3, first 2 shown]
	v_add_f32_e32 v26, 0, v26
	v_add_f32_e32 v26, v26, v27
	;; [unrolled: 1-line block ×3, first 2 shown]
	s_waitcnt vmcnt(33)
	v_fmac_f32_e32 v29, v21, v129
	v_fmac_f32_e32 v30, v15, v128
	v_add_f32_e32 v26, v26, v29
	v_fmac_f32_e32 v31, v17, v127
	v_add_f32_e32 v26, v26, v30
	;; [unrolled: 2-line block ×3, first 2 shown]
	s_waitcnt vmcnt(29)
	v_fmac_f32_e32 v33, v13, v133
	v_add_f32_e32 v26, v26, v32
	v_fmac_f32_e32 v48, v7, v132
	v_add_f32_e32 v26, v26, v33
	v_fmac_f32_e32 v49, v9, v131
	v_add_f32_e32 v26, v26, v48
	v_fmac_f32_e32 v50, v3, v130
	v_add_f32_e32 v26, v26, v49
	v_add_f32_e32 v30, v26, v50
	ds_read_b128 v[26:29], v1 offset:720
	buffer_load_dword v161, off, s[0:3], 0 offset:312
	buffer_load_dword v162, off, s[0:3], 0 offset:316
	;; [unrolled: 1-line block ×4, first 2 shown]
	s_waitcnt vmcnt(28)
	v_fmac_f32_e32 v51, v5, v138
	v_add_f32_e32 v48, v30, v51
	ds_read_b128 v[30:33], v1 offset:736
	buffer_load_dword v165, off, s[0:3], 0 offset:328
	buffer_load_dword v166, off, s[0:3], 0 offset:332
	;; [unrolled: 1-line block ×12, first 2 shown]
	s_waitcnt vmcnt(39) lgkmcnt(1)
	v_mul_f32_e32 v49, v26, v139
	v_fmac_f32_e32 v49, v27, v137
	buffer_load_dword v177, off, s[0:3], 0 offset:376
	buffer_load_dword v178, off, s[0:3], 0 offset:380
	v_add_f32_e32 v48, v48, v49
	s_waitcnt vmcnt(40)
	v_mul_f32_e32 v49, v28, v140
	v_fmac_f32_e32 v49, v29, v136
	buffer_load_dword v179, off, s[0:3], 0 offset:384
	buffer_load_dword v180, off, s[0:3], 0 offset:388
	v_add_f32_e32 v48, v48, v49
	s_waitcnt lgkmcnt(0)
	v_mul_f32_e32 v49, v30, v135
	v_fmac_f32_e32 v49, v31, v134
	v_add_f32_e32 v52, v48, v49
	ds_read_b128 v[48:51], v1 offset:752
	buffer_load_dword v181, off, s[0:3], 0 offset:392
	buffer_load_dword v182, off, s[0:3], 0 offset:396
	s_waitcnt vmcnt(40)
	v_mul_f32_e32 v53, v32, v142
	v_fmac_f32_e32 v53, v33, v141
	v_add_f32_e32 v56, v52, v53
	ds_read_b128 v[52:55], v1 offset:768
	buffer_load_dword v183, off, s[0:3], 0 offset:400
	buffer_load_dword v184, off, s[0:3], 0 offset:404
	;; [unrolled: 1-line block ×8, first 2 shown]
	s_waitcnt vmcnt(46) lgkmcnt(1)
	v_mul_f32_e32 v57, v48, v144
	v_fmac_f32_e32 v57, v49, v143
	v_add_f32_e32 v56, v56, v57
	s_waitcnt vmcnt(44)
	v_mul_f32_e32 v57, v50, v146
	v_fmac_f32_e32 v57, v51, v145
	v_add_f32_e32 v56, v56, v57
	s_waitcnt vmcnt(42) lgkmcnt(0)
	v_mul_f32_e32 v57, v52, v148
	v_fmac_f32_e32 v57, v53, v147
	v_add_f32_e32 v60, v56, v57
	buffer_load_dword v191, off, s[0:3], 0 offset:432
	buffer_load_dword v192, off, s[0:3], 0 offset:436
	;; [unrolled: 1-line block ×4, first 2 shown]
	ds_read_b128 v[56:59], v1 offset:784
	s_waitcnt vmcnt(44)
	v_mul_f32_e32 v61, v54, v150
	v_fmac_f32_e32 v61, v55, v149
	v_add_f32_e32 v64, v60, v61
	ds_read_b128 v[60:63], v1 offset:800
	s_waitcnt vmcnt(42) lgkmcnt(1)
	v_mul_f32_e32 v65, v56, v152
	v_fmac_f32_e32 v65, v57, v151
	v_add_f32_e32 v64, v64, v65
	s_waitcnt vmcnt(40)
	v_mul_f32_e32 v65, v58, v154
	v_fmac_f32_e32 v65, v59, v153
	v_add_f32_e32 v64, v64, v65
	s_waitcnt vmcnt(38) lgkmcnt(0)
	v_mul_f32_e32 v65, v60, v156
	v_fmac_f32_e32 v65, v61, v155
	v_add_f32_e32 v68, v64, v65
	ds_read_b128 v[64:67], v1 offset:816
	s_waitcnt vmcnt(36)
	v_mul_f32_e32 v69, v62, v158
	v_fmac_f32_e32 v69, v63, v157
	v_add_f32_e32 v72, v68, v69
	ds_read_b128 v[68:71], v1 offset:832
	s_waitcnt vmcnt(34) lgkmcnt(1)
	v_mul_f32_e32 v73, v64, v160
	v_fmac_f32_e32 v73, v65, v159
	v_add_f32_e32 v72, v72, v73
	v_mul_f32_e32 v23, v23, v41
	v_fma_f32 v22, v22, v110, -v23
	v_mul_f32_e32 v23, v25, v40
	v_add_f32_e32 v22, 0, v22
	v_fma_f32 v23, v24, v108, -v23
	v_mul_f32_e32 v19, v19, v42
	v_add_f32_e32 v22, v22, v23
	;; [unrolled: 3-line block ×5, first 2 shown]
	s_waitcnt vmcnt(32)
	v_mul_f32_e32 v73, v66, v162
	v_fmac_f32_e32 v73, v67, v161
	v_add_f32_e32 v72, v72, v73
	s_waitcnt vmcnt(30) lgkmcnt(0)
	v_mul_f32_e32 v73, v68, v164
	v_fmac_f32_e32 v73, v69, v163
	v_add_f32_e32 v76, v72, v73
	ds_read_b128 v[72:75], v1 offset:848
	s_waitcnt vmcnt(28)
	v_mul_f32_e32 v77, v70, v166
	v_fmac_f32_e32 v77, v71, v165
	v_add_f32_e32 v80, v76, v77
	ds_read_b128 v[76:79], v1 offset:864
	s_waitcnt vmcnt(26) lgkmcnt(1)
	v_mul_f32_e32 v81, v72, v168
	v_fmac_f32_e32 v81, v73, v167
	v_add_f32_e32 v80, v80, v81
	s_waitcnt vmcnt(24)
	v_mul_f32_e32 v81, v74, v170
	v_fmac_f32_e32 v81, v75, v169
	v_add_f32_e32 v80, v80, v81
	s_waitcnt vmcnt(22) lgkmcnt(0)
	v_mul_f32_e32 v81, v76, v172
	v_fmac_f32_e32 v81, v77, v171
	v_add_f32_e32 v84, v80, v81
	ds_read_b128 v[80:83], v1 offset:880
	s_waitcnt vmcnt(20)
	v_mul_f32_e32 v85, v78, v174
	v_fmac_f32_e32 v85, v79, v173
	v_add_f32_e32 v88, v84, v85
	ds_read_b128 v[84:87], v1 offset:896
	s_waitcnt vmcnt(18) lgkmcnt(1)
	v_mul_f32_e32 v89, v80, v176
	v_fmac_f32_e32 v89, v81, v175
	v_add_f32_e32 v88, v88, v89
	s_waitcnt vmcnt(16)
	v_mul_f32_e32 v89, v82, v178
	v_fmac_f32_e32 v89, v83, v177
	v_add_f32_e32 v88, v88, v89
	s_waitcnt vmcnt(14) lgkmcnt(0)
	v_mul_f32_e32 v89, v84, v180
	v_fmac_f32_e32 v89, v85, v179
	v_add_f32_e32 v92, v88, v89
	ds_read_b128 v[88:91], v1 offset:912
	s_waitcnt vmcnt(12)
	v_mul_f32_e32 v93, v86, v182
	v_fmac_f32_e32 v93, v87, v181
	v_add_f32_e32 v96, v92, v93
	ds_read_b128 v[92:95], v1 offset:928
	buffer_load_dword v105, off, s[0:3], 0 offset:452
	buffer_load_dword v104, off, s[0:3], 0 offset:448
	s_waitcnt vmcnt(12) lgkmcnt(1)
	v_mul_f32_e32 v97, v88, v184
	v_fmac_f32_e32 v97, v89, v183
	v_add_f32_e32 v96, v96, v97
	s_waitcnt vmcnt(10)
	v_mul_f32_e32 v97, v90, v186
	v_fmac_f32_e32 v97, v91, v185
	v_add_f32_e32 v96, v96, v97
	s_waitcnt vmcnt(8) lgkmcnt(0)
	v_mul_f32_e32 v97, v92, v188
	v_fmac_f32_e32 v97, v93, v187
	s_waitcnt vmcnt(6)
	v_mul_f32_e32 v101, v94, v190
	v_add_f32_e32 v100, v96, v97
	v_fmac_f32_e32 v101, v95, v189
	ds_read_b128 v[96:99], v1 offset:944
	v_add_f32_e32 v107, v100, v101
	ds_read_b128 v[100:103], v1 offset:960
	buffer_load_dword v113, off, s[0:3], 0 offset:484
	buffer_load_dword v112, off, s[0:3], 0 offset:480
	buffer_load_dword v115, off, s[0:3], 0 offset:476
	buffer_load_dword v114, off, s[0:3], 0 offset:472
	buffer_load_dword v117, off, s[0:3], 0 offset:468
	buffer_load_dword v116, off, s[0:3], 0 offset:464
	buffer_load_dword v119, off, s[0:3], 0 offset:460
	buffer_load_dword v118, off, s[0:3], 0 offset:456
	buffer_load_dword v121, off, s[0:3], 0 offset:508
	buffer_load_dword v120, off, s[0:3], 0 offset:504
	buffer_load_dword v123, off, s[0:3], 0 offset:500
	buffer_load_dword v122, off, s[0:3], 0 offset:496
	buffer_load_dword v125, off, s[0:3], 0 offset:492
	buffer_load_dword v124, off, s[0:3], 0 offset:488
	v_fma_f32 v15, v16, v127, -v15
	v_mul_f32_e32 v11, v11, v36
	v_add_f32_e32 v14, v14, v15
	v_fma_f32 v10, v10, v126, -v11
	v_mul_f32_e32 v11, v13, v43
	v_add_f32_e32 v10, v14, v10
	;; [unrolled: 3-line block ×6, first 2 shown]
	v_fma_f32 v3, v4, v138, -v3
	v_add_f32_e32 v2, v2, v3
	v_mul_f32_e32 v3, v27, v139
	v_fma_f32 v3, v26, v137, -v3
	v_add_f32_e32 v2, v2, v3
	v_mul_f32_e32 v3, v29, v140
	;; [unrolled: 3-line block ×28, first 2 shown]
	v_fma_f32 v3, v94, v189, -v3
	s_waitcnt vmcnt(15)
	v_mov_b32_e32 v16, v105
	s_waitcnt lgkmcnt(1)
	v_mul_f32_e32 v109, v96, v192
	v_add_f32_e32 v106, v2, v3
	v_mul_f32_e32 v2, v97, v192
	s_waitcnt lgkmcnt(0)
	v_pk_mul_f32 v[16:17], v[100:101], v[16:17] op_sel_hi:[1,0]
	v_fmac_f32_e32 v109, v97, v191
	v_mul_f32_e32 v111, v98, v194
	v_fma_f32 v108, v96, v191, -v2
	v_mul_f32_e32 v2, v99, v194
	s_waitcnt vmcnt(14)
	v_pk_fma_f32 v[18:19], v[100:101], v[104:105], v[16:17] op_sel:[0,0,1] op_sel_hi:[1,1,0] neg_lo:[0,0,1] neg_hi:[0,0,1]
	v_pk_fma_f32 v[16:17], v[100:101], v[104:105], v[16:17] op_sel:[0,0,1] op_sel_hi:[1,0,0]
	v_fmac_f32_e32 v111, v99, v193
	v_fma_f32 v110, v98, v193, -v2
	v_pk_add_f32 v[14:15], v[106:107], v[108:109]
	s_waitcnt vmcnt(7)
	v_mov_b32_e32 v16, v119
	ds_read_b128 v[2:5], v1 offset:976
	ds_read_b128 v[6:9], v1 offset:992
	;; [unrolled: 1-line block ×3, first 2 shown]
	v_pk_add_f32 v[14:15], v[14:15], v[110:111]
	v_mov_b32_e32 v19, v17
	v_pk_mul_f32 v[16:17], v[102:103], v[16:17] op_sel_hi:[1,0]
	v_pk_add_f32 v[14:15], v[14:15], v[18:19]
	s_waitcnt vmcnt(6)
	v_pk_fma_f32 v[18:19], v[102:103], v[118:119], v[16:17] op_sel:[0,0,1] op_sel_hi:[1,1,0] neg_lo:[0,0,1] neg_hi:[0,0,1]
	v_pk_fma_f32 v[16:17], v[102:103], v[118:119], v[16:17] op_sel:[0,0,1] op_sel_hi:[1,0,0]
	v_mov_b32_e32 v16, v117
	v_mov_b32_e32 v19, v17
	s_waitcnt lgkmcnt(2)
	v_pk_mul_f32 v[16:17], v[2:3], v[16:17] op_sel_hi:[1,0]
	v_pk_add_f32 v[14:15], v[14:15], v[18:19]
	v_pk_fma_f32 v[18:19], v[2:3], v[116:117], v[16:17] op_sel:[0,0,1] op_sel_hi:[1,1,0] neg_lo:[0,0,1] neg_hi:[0,0,1]
	v_pk_fma_f32 v[2:3], v[2:3], v[116:117], v[16:17] op_sel:[0,0,1] op_sel_hi:[1,0,0]
	v_mov_b32_e32 v19, v3
	v_pk_add_f32 v[2:3], v[14:15], v[18:19]
	v_mov_b32_e32 v14, v115
	v_pk_mul_f32 v[14:15], v[4:5], v[14:15] op_sel_hi:[1,0]
	v_pk_fma_f32 v[16:17], v[4:5], v[114:115], v[14:15] op_sel:[0,0,1] op_sel_hi:[1,1,0] neg_lo:[0,0,1] neg_hi:[0,0,1]
	v_pk_fma_f32 v[4:5], v[4:5], v[114:115], v[14:15] op_sel:[0,0,1] op_sel_hi:[1,0,0]
	v_mov_b32_e32 v4, v113
	v_mov_b32_e32 v17, v5
	s_waitcnt lgkmcnt(1)
	v_pk_mul_f32 v[4:5], v[6:7], v[4:5] op_sel_hi:[1,0]
	v_pk_fma_f32 v[14:15], v[6:7], v[112:113], v[4:5] op_sel:[0,0,1] op_sel_hi:[1,1,0] neg_lo:[0,0,1] neg_hi:[0,0,1]
	v_pk_fma_f32 v[4:5], v[6:7], v[112:113], v[4:5] op_sel:[0,0,1] op_sel_hi:[1,0,0]
	s_waitcnt vmcnt(1)
	v_mov_b32_e32 v4, v125
	v_mov_b32_e32 v15, v5
	v_pk_mul_f32 v[4:5], v[8:9], v[4:5] op_sel_hi:[1,0]
	s_waitcnt vmcnt(0)
	v_pk_fma_f32 v[6:7], v[8:9], v[124:125], v[4:5] op_sel:[0,0,1] op_sel_hi:[1,1,0] neg_lo:[0,0,1] neg_hi:[0,0,1]
	v_pk_fma_f32 v[4:5], v[8:9], v[124:125], v[4:5] op_sel:[0,0,1] op_sel_hi:[1,0,0]
	v_pk_add_f32 v[2:3], v[2:3], v[16:17]
	v_mov_b32_e32 v4, v123
	v_pk_add_f32 v[2:3], v[2:3], v[14:15]
	v_mov_b32_e32 v7, v5
	s_waitcnt lgkmcnt(0)
	v_pk_mul_f32 v[4:5], v[10:11], v[4:5] op_sel_hi:[1,0]
	v_pk_add_f32 v[2:3], v[2:3], v[6:7]
	v_pk_fma_f32 v[6:7], v[10:11], v[122:123], v[4:5] op_sel:[0,0,1] op_sel_hi:[1,1,0] neg_lo:[0,0,1] neg_hi:[0,0,1]
	v_pk_fma_f32 v[4:5], v[10:11], v[122:123], v[4:5] op_sel:[0,0,1] op_sel_hi:[1,0,0]
	v_mov_b32_e32 v4, v121
	v_mov_b32_e32 v7, v5
	v_pk_mul_f32 v[4:5], v[12:13], v[4:5] op_sel_hi:[1,0]
	v_pk_add_f32 v[2:3], v[2:3], v[6:7]
	v_pk_fma_f32 v[6:7], v[12:13], v[120:121], v[4:5] op_sel:[0,0,1] op_sel_hi:[1,1,0] neg_lo:[0,0,1] neg_hi:[0,0,1]
	v_pk_fma_f32 v[4:5], v[12:13], v[120:121], v[4:5] op_sel:[0,0,1] op_sel_hi:[1,0,0]
	v_mov_b32_e32 v7, v5
	v_pk_add_f32 v[2:3], v[2:3], v[6:7]
	v_pk_add_f32 v[2:3], v[34:35], v[2:3] neg_lo:[0,1] neg_hi:[0,1]
	buffer_store_dword v3, off, s[0:3], 0 offset:108
	buffer_store_dword v2, off, s[0:3], 0 offset:104
	s_and_saveexec_b64 s[4:5], vcc
	s_cbranch_execz .LBB63_373
; %bb.372:
	buffer_load_dword v2, off, s[0:3], 0 offset:96
	buffer_load_dword v3, off, s[0:3], 0 offset:100
	v_mov_b32_e32 v1, 0
	buffer_store_dword v1, off, s[0:3], 0 offset:96
	buffer_store_dword v1, off, s[0:3], 0 offset:100
	s_waitcnt vmcnt(2)
	ds_write_b64 v223, v[2:3]
.LBB63_373:
	s_or_b64 exec, exec, s[4:5]
	s_waitcnt lgkmcnt(0)
	; wave barrier
	s_waitcnt lgkmcnt(0)
	buffer_load_dword v45, off, s[0:3], 0 offset:108
	buffer_load_dword v44, off, s[0:3], 0 offset:116
	buffer_load_dword v43, off, s[0:3], 0 offset:132
	buffer_load_dword v42, off, s[0:3], 0 offset:140
	buffer_load_dword v41, off, s[0:3], 0 offset:148
	buffer_load_dword v40, off, s[0:3], 0 offset:156
	buffer_load_dword v46, off, s[0:3], 0 offset:124
	buffer_load_dword v47, off, s[0:3], 0 offset:164
	buffer_load_dword v48, off, s[0:3], 0 offset:172
	buffer_load_dword v49, off, s[0:3], 0 offset:180
	buffer_load_dword v50, off, s[0:3], 0 offset:188
	buffer_load_dword v51, off, s[0:3], 0 offset:196
	buffer_load_dword v57, off, s[0:3], 0 offset:120
	buffer_load_dword v60, off, s[0:3], 0 offset:112
	buffer_load_dword v116, off, s[0:3], 0 offset:104
	buffer_load_dword v54, off, s[0:3], 0 offset:152
	buffer_load_dword v56, off, s[0:3], 0 offset:144
	buffer_load_dword v59, off, s[0:3], 0 offset:136
	buffer_load_dword v62, off, s[0:3], 0 offset:128
	buffer_load_dword v52, off, s[0:3], 0 offset:184
	buffer_load_dword v53, off, s[0:3], 0 offset:176
	buffer_load_dword v55, off, s[0:3], 0 offset:168
	buffer_load_dword v58, off, s[0:3], 0 offset:160
	buffer_load_dword v61, off, s[0:3], 0 offset:216
	buffer_load_dword v118, off, s[0:3], 0 offset:220
	buffer_load_dword v136, off, s[0:3], 0 offset:208
	buffer_load_dword v137, off, s[0:3], 0 offset:200
	buffer_load_dword v138, off, s[0:3], 0 offset:192
	buffer_load_dword v139, off, s[0:3], 0 offset:204
	buffer_load_dword v140, off, s[0:3], 0 offset:212
	buffer_load_dword v38, off, s[0:3], 0 offset:96
	buffer_load_dword v39, off, s[0:3], 0 offset:100
	buffer_load_dword v141, off, s[0:3], 0 offset:224
	buffer_load_dword v142, off, s[0:3], 0 offset:228
	buffer_load_dword v143, off, s[0:3], 0 offset:232
	buffer_load_dword v144, off, s[0:3], 0 offset:236
	buffer_load_dword v145, off, s[0:3], 0 offset:240
	buffer_load_dword v146, off, s[0:3], 0 offset:244
	buffer_load_dword v147, off, s[0:3], 0 offset:248
	buffer_load_dword v148, off, s[0:3], 0 offset:252
	buffer_load_dword v149, off, s[0:3], 0 offset:256
	buffer_load_dword v150, off, s[0:3], 0 offset:260
	buffer_load_dword v151, off, s[0:3], 0 offset:264
	buffer_load_dword v152, off, s[0:3], 0 offset:268
	buffer_load_dword v153, off, s[0:3], 0 offset:272
	buffer_load_dword v154, off, s[0:3], 0 offset:276
	buffer_load_dword v155, off, s[0:3], 0 offset:280
	buffer_load_dword v156, off, s[0:3], 0 offset:284
	v_mov_b32_e32 v1, 0
	ds_read2_b64 v[22:25], v1 offset0:77 offset1:78
	ds_read2_b64 v[18:21], v1 offset0:79 offset1:80
	;; [unrolled: 1-line block ×6, first 2 shown]
	buffer_load_dword v157, off, s[0:3], 0 offset:288
	buffer_load_dword v158, off, s[0:3], 0 offset:292
	v_cmp_lt_u32_e32 vcc, 11, v0
	s_waitcnt vmcnt(49) lgkmcnt(5)
	v_mul_f32_e32 v26, v22, v45
	s_waitcnt vmcnt(48)
	v_mul_f32_e32 v27, v24, v44
	s_waitcnt vmcnt(47) lgkmcnt(4)
	v_mul_f32_e32 v29, v20, v43
	s_waitcnt vmcnt(46) lgkmcnt(3)
	v_mul_f32_e32 v30, v14, v42
	s_waitcnt vmcnt(45)
	v_mul_f32_e32 v31, v16, v41
	s_waitcnt vmcnt(44) lgkmcnt(2)
	v_mul_f32_e32 v32, v10, v40
	s_waitcnt vmcnt(43)
	v_mul_f32_e32 v28, v18, v46
	s_waitcnt vmcnt(42)
	v_mul_f32_e32 v33, v12, v47
	s_waitcnt vmcnt(41) lgkmcnt(1)
	v_mul_f32_e32 v34, v6, v48
	s_waitcnt vmcnt(40)
	v_mul_f32_e32 v35, v8, v49
	s_waitcnt vmcnt(39) lgkmcnt(0)
	v_mul_f32_e32 v36, v2, v50
	s_waitcnt vmcnt(38)
	v_mul_f32_e32 v37, v4, v51
	s_waitcnt vmcnt(37)
	v_fmac_f32_e32 v28, v19, v57
	s_waitcnt vmcnt(36)
	v_fmac_f32_e32 v27, v25, v60
	;; [unrolled: 2-line block ×3, first 2 shown]
	v_add_f32_e32 v26, 0, v26
	v_add_f32_e32 v26, v26, v27
	;; [unrolled: 1-line block ×3, first 2 shown]
	s_waitcnt vmcnt(31)
	v_fmac_f32_e32 v29, v21, v62
	v_fmac_f32_e32 v30, v15, v59
	v_add_f32_e32 v26, v26, v29
	v_fmac_f32_e32 v31, v17, v56
	v_add_f32_e32 v26, v26, v30
	;; [unrolled: 2-line block ×3, first 2 shown]
	s_waitcnt vmcnt(27)
	v_fmac_f32_e32 v33, v13, v58
	v_add_f32_e32 v26, v26, v32
	v_fmac_f32_e32 v34, v7, v55
	v_add_f32_e32 v26, v26, v33
	;; [unrolled: 2-line block ×4, first 2 shown]
	s_waitcnt vmcnt(22)
	v_fmac_f32_e32 v37, v5, v138
	v_add_f32_e32 v26, v26, v36
	v_add_f32_e32 v34, v26, v37
	ds_read2_b64 v[26:29], v1 offset0:89 offset1:90
	buffer_load_dword v159, off, s[0:3], 0 offset:296
	buffer_load_dword v160, off, s[0:3], 0 offset:300
	ds_read2_b64 v[30:33], v1 offset0:91 offset1:92
	buffer_load_dword v161, off, s[0:3], 0 offset:304
	buffer_load_dword v162, off, s[0:3], 0 offset:308
	buffer_load_dword v163, off, s[0:3], 0 offset:312
	buffer_load_dword v164, off, s[0:3], 0 offset:316
	buffer_load_dword v165, off, s[0:3], 0 offset:320
	buffer_load_dword v166, off, s[0:3], 0 offset:324
	buffer_load_dword v167, off, s[0:3], 0 offset:328
	buffer_load_dword v168, off, s[0:3], 0 offset:332
	buffer_load_dword v169, off, s[0:3], 0 offset:336
	buffer_load_dword v170, off, s[0:3], 0 offset:340
	buffer_load_dword v171, off, s[0:3], 0 offset:344
	buffer_load_dword v172, off, s[0:3], 0 offset:348
	s_waitcnt vmcnt(35) lgkmcnt(1)
	v_mul_f32_e32 v35, v26, v139
	v_fmac_f32_e32 v35, v27, v137
	buffer_load_dword v173, off, s[0:3], 0 offset:352
	buffer_load_dword v174, off, s[0:3], 0 offset:356
	v_add_f32_e32 v34, v34, v35
	s_waitcnt vmcnt(36)
	v_mul_f32_e32 v35, v28, v140
	v_fmac_f32_e32 v35, v29, v136
	v_add_f32_e32 v34, v34, v35
	s_waitcnt lgkmcnt(0)
	v_mul_f32_e32 v35, v30, v118
	buffer_load_dword v175, off, s[0:3], 0 offset:360
	buffer_load_dword v176, off, s[0:3], 0 offset:364
	v_fmac_f32_e32 v35, v31, v61
	v_add_f32_e32 v63, v34, v35
	ds_read2_b64 v[34:37], v1 offset0:93 offset1:94
	buffer_load_dword v177, off, s[0:3], 0 offset:368
	buffer_load_dword v178, off, s[0:3], 0 offset:372
	;; [unrolled: 1-line block ×4, first 2 shown]
	s_waitcnt vmcnt(38)
	v_mul_f32_e32 v64, v32, v142
	v_fmac_f32_e32 v64, v33, v141
	v_add_f32_e32 v63, v63, v64
	ds_read2_b64 v[64:67], v1 offset0:95 offset1:96
	buffer_load_dword v181, off, s[0:3], 0 offset:384
	buffer_load_dword v182, off, s[0:3], 0 offset:388
	;; [unrolled: 1-line block ×10, first 2 shown]
	s_waitcnt vmcnt(46) lgkmcnt(1)
	v_mul_f32_e32 v68, v34, v144
	v_fmac_f32_e32 v68, v35, v143
	v_add_f32_e32 v63, v63, v68
	s_waitcnt vmcnt(44)
	v_mul_f32_e32 v68, v36, v146
	v_fmac_f32_e32 v68, v37, v145
	v_add_f32_e32 v63, v63, v68
	s_waitcnt vmcnt(42) lgkmcnt(0)
	v_mul_f32_e32 v68, v64, v148
	v_fmac_f32_e32 v68, v65, v147
	v_add_f32_e32 v63, v63, v68
	buffer_load_dword v191, off, s[0:3], 0 offset:424
	buffer_load_dword v192, off, s[0:3], 0 offset:428
	;; [unrolled: 1-line block ×6, first 2 shown]
	ds_read2_b64 v[68:71], v1 offset0:97 offset1:98
	s_waitcnt vmcnt(46)
	v_mul_f32_e32 v72, v66, v150
	v_fmac_f32_e32 v72, v67, v149
	v_add_f32_e32 v63, v63, v72
	ds_read2_b64 v[72:75], v1 offset0:99 offset1:100
	s_waitcnt vmcnt(44) lgkmcnt(1)
	v_mul_f32_e32 v76, v68, v152
	v_fmac_f32_e32 v76, v69, v151
	v_add_f32_e32 v63, v63, v76
	s_waitcnt vmcnt(42)
	v_mul_f32_e32 v76, v70, v154
	v_fmac_f32_e32 v76, v71, v153
	v_add_f32_e32 v63, v63, v76
	s_waitcnt vmcnt(40) lgkmcnt(0)
	v_mul_f32_e32 v76, v72, v156
	v_fmac_f32_e32 v76, v73, v155
	v_add_f32_e32 v63, v63, v76
	ds_read2_b64 v[76:79], v1 offset0:101 offset1:102
	s_waitcnt vmcnt(38)
	v_mul_f32_e32 v80, v74, v158
	v_fmac_f32_e32 v80, v75, v157
	v_add_f32_e32 v63, v63, v80
	ds_read2_b64 v[80:83], v1 offset0:103 offset1:104
	v_mul_f32_e32 v23, v23, v45
	v_fma_f32 v22, v22, v116, -v23
	v_mul_f32_e32 v23, v25, v44
	v_add_f32_e32 v22, 0, v22
	v_fma_f32 v23, v24, v60, -v23
	v_mul_f32_e32 v19, v19, v46
	v_add_f32_e32 v22, v22, v23
	;; [unrolled: 3-line block ×6, first 2 shown]
	v_fma_f32 v10, v10, v54, -v11
	s_waitcnt vmcnt(36) lgkmcnt(1)
	v_mul_f32_e32 v84, v76, v160
	v_fmac_f32_e32 v84, v77, v159
	v_add_f32_e32 v63, v63, v84
	s_waitcnt vmcnt(34)
	v_mul_f32_e32 v84, v78, v162
	v_fmac_f32_e32 v84, v79, v161
	v_add_f32_e32 v63, v63, v84
	s_waitcnt vmcnt(32) lgkmcnt(0)
	v_mul_f32_e32 v84, v80, v164
	v_fmac_f32_e32 v84, v81, v163
	v_add_f32_e32 v63, v63, v84
	ds_read2_b64 v[84:87], v1 offset0:105 offset1:106
	s_waitcnt vmcnt(30)
	v_mul_f32_e32 v88, v82, v166
	v_fmac_f32_e32 v88, v83, v165
	v_add_f32_e32 v63, v63, v88
	ds_read2_b64 v[88:91], v1 offset0:107 offset1:108
	s_waitcnt vmcnt(28) lgkmcnt(1)
	v_mul_f32_e32 v92, v84, v168
	v_fmac_f32_e32 v92, v85, v167
	v_add_f32_e32 v63, v63, v92
	s_waitcnt vmcnt(26)
	v_mul_f32_e32 v92, v86, v170
	v_fmac_f32_e32 v92, v87, v169
	v_add_f32_e32 v63, v63, v92
	s_waitcnt vmcnt(24) lgkmcnt(0)
	v_mul_f32_e32 v92, v88, v172
	v_fmac_f32_e32 v92, v89, v171
	v_add_f32_e32 v63, v63, v92
	ds_read2_b64 v[92:95], v1 offset0:109 offset1:110
	s_waitcnt vmcnt(22)
	v_mul_f32_e32 v96, v90, v174
	v_fmac_f32_e32 v96, v91, v173
	v_add_f32_e32 v63, v63, v96
	ds_read2_b64 v[96:99], v1 offset0:111 offset1:112
	;; [unrolled: 18-line block ×3, first 2 shown]
	s_waitcnt vmcnt(12) lgkmcnt(1)
	v_mul_f32_e32 v108, v100, v184
	v_fmac_f32_e32 v108, v101, v183
	v_add_f32_e32 v63, v63, v108
	s_waitcnt vmcnt(10)
	v_mul_f32_e32 v108, v102, v186
	v_fmac_f32_e32 v108, v103, v185
	v_add_f32_e32 v63, v63, v108
	s_waitcnt vmcnt(8) lgkmcnt(0)
	v_mul_f32_e32 v108, v104, v188
	v_fmac_f32_e32 v108, v105, v187
	s_waitcnt vmcnt(6)
	v_mul_f32_e32 v112, v106, v190
	v_add_f32_e32 v63, v63, v108
	v_fmac_f32_e32 v112, v107, v189
	ds_read2_b64 v[108:111], v1 offset0:117 offset1:118
	v_add_f32_e32 v63, v63, v112
	ds_read2_b64 v[112:115], v1 offset0:119 offset1:120
	buffer_load_dword v121, off, s[0:3], 0 offset:476
	buffer_load_dword v120, off, s[0:3], 0 offset:472
	buffer_load_dword v123, off, s[0:3], 0 offset:468
	buffer_load_dword v122, off, s[0:3], 0 offset:464
	buffer_load_dword v125, off, s[0:3], 0 offset:460
	buffer_load_dword v124, off, s[0:3], 0 offset:456
	buffer_load_dword v127, off, s[0:3], 0 offset:452
	buffer_load_dword v126, off, s[0:3], 0 offset:448
	buffer_load_dword v129, off, s[0:3], 0 offset:508
	buffer_load_dword v128, off, s[0:3], 0 offset:504
	buffer_load_dword v131, off, s[0:3], 0 offset:500
	buffer_load_dword v130, off, s[0:3], 0 offset:496
	buffer_load_dword v133, off, s[0:3], 0 offset:492
	buffer_load_dword v132, off, s[0:3], 0 offset:488
	buffer_load_dword v135, off, s[0:3], 0 offset:484
	buffer_load_dword v134, off, s[0:3], 0 offset:480
	v_mul_f32_e32 v11, v13, v47
	v_add_f32_e32 v10, v14, v10
	v_fma_f32 v11, v12, v58, -v11
	v_mul_f32_e32 v7, v7, v48
	v_add_f32_e32 v10, v10, v11
	v_fma_f32 v6, v6, v55, -v7
	;; [unrolled: 3-line block ×5, first 2 shown]
	v_add_f32_e32 v2, v2, v3
	v_mul_f32_e32 v3, v27, v139
	v_fma_f32 v3, v26, v137, -v3
	v_add_f32_e32 v2, v2, v3
	v_mul_f32_e32 v3, v29, v140
	v_fma_f32 v3, v28, v136, -v3
	v_add_f32_e32 v2, v2, v3
	v_mul_f32_e32 v3, v31, v118
	v_fma_f32 v3, v30, v61, -v3
	v_add_f32_e32 v2, v2, v3
	v_mul_f32_e32 v3, v33, v142
	v_fma_f32 v3, v32, v141, -v3
	v_add_f32_e32 v2, v2, v3
	v_mul_f32_e32 v3, v35, v144
	v_fma_f32 v3, v34, v143, -v3
	v_add_f32_e32 v2, v2, v3
	v_mul_f32_e32 v3, v37, v146
	v_fma_f32 v3, v36, v145, -v3
	v_add_f32_e32 v2, v2, v3
	v_mul_f32_e32 v3, v65, v148
	v_fma_f32 v3, v64, v147, -v3
	v_add_f32_e32 v2, v2, v3
	v_mul_f32_e32 v3, v67, v150
	v_fma_f32 v3, v66, v149, -v3
	v_add_f32_e32 v2, v2, v3
	v_mul_f32_e32 v3, v69, v152
	v_fma_f32 v3, v68, v151, -v3
	v_add_f32_e32 v2, v2, v3
	v_mul_f32_e32 v3, v71, v154
	v_fma_f32 v3, v70, v153, -v3
	v_add_f32_e32 v2, v2, v3
	v_mul_f32_e32 v3, v73, v156
	v_fma_f32 v3, v72, v155, -v3
	v_add_f32_e32 v2, v2, v3
	v_mul_f32_e32 v3, v75, v158
	v_fma_f32 v3, v74, v157, -v3
	v_add_f32_e32 v2, v2, v3
	v_mul_f32_e32 v3, v77, v160
	v_fma_f32 v3, v76, v159, -v3
	v_add_f32_e32 v2, v2, v3
	v_mul_f32_e32 v3, v79, v162
	v_fma_f32 v3, v78, v161, -v3
	v_add_f32_e32 v2, v2, v3
	v_mul_f32_e32 v3, v81, v164
	v_fma_f32 v3, v80, v163, -v3
	v_add_f32_e32 v2, v2, v3
	v_mul_f32_e32 v3, v83, v166
	v_fma_f32 v3, v82, v165, -v3
	v_add_f32_e32 v2, v2, v3
	v_mul_f32_e32 v3, v85, v168
	v_fma_f32 v3, v84, v167, -v3
	v_add_f32_e32 v2, v2, v3
	v_mul_f32_e32 v3, v87, v170
	v_fma_f32 v3, v86, v169, -v3
	v_add_f32_e32 v2, v2, v3
	v_mul_f32_e32 v3, v89, v172
	v_fma_f32 v3, v88, v171, -v3
	v_add_f32_e32 v2, v2, v3
	v_mul_f32_e32 v3, v91, v174
	v_fma_f32 v3, v90, v173, -v3
	v_add_f32_e32 v2, v2, v3
	v_mul_f32_e32 v3, v93, v176
	v_fma_f32 v3, v92, v175, -v3
	v_add_f32_e32 v2, v2, v3
	v_mul_f32_e32 v3, v95, v178
	v_fma_f32 v3, v94, v177, -v3
	v_add_f32_e32 v2, v2, v3
	v_mul_f32_e32 v3, v97, v180
	v_fma_f32 v3, v96, v179, -v3
	v_add_f32_e32 v2, v2, v3
	v_mul_f32_e32 v3, v99, v182
	v_fma_f32 v3, v98, v181, -v3
	v_add_f32_e32 v2, v2, v3
	v_mul_f32_e32 v3, v101, v184
	v_fma_f32 v3, v100, v183, -v3
	v_add_f32_e32 v2, v2, v3
	v_mul_f32_e32 v3, v103, v186
	v_fma_f32 v3, v102, v185, -v3
	v_add_f32_e32 v2, v2, v3
	v_mul_f32_e32 v3, v105, v188
	v_fma_f32 v3, v104, v187, -v3
	v_add_f32_e32 v2, v2, v3
	v_mul_f32_e32 v3, v107, v190
	v_fma_f32 v3, v106, v189, -v3
	v_add_f32_e32 v2, v2, v3
	s_waitcnt vmcnt(20) lgkmcnt(1)
	v_mul_f32_e32 v3, v109, v192
	v_mul_f32_e32 v117, v108, v192
	v_fma_f32 v3, v108, v191, -v3
	v_fmac_f32_e32 v117, v109, v191
	v_add_f32_e32 v62, v2, v3
	s_waitcnt vmcnt(18)
	v_mul_f32_e32 v2, v111, v194
	s_waitcnt vmcnt(9)
	v_mov_b32_e32 v18, v127
	v_add_f32_e32 v63, v63, v117
	v_mul_f32_e32 v117, v110, v194
	v_fma_f32 v116, v110, v193, -v2
	s_waitcnt lgkmcnt(0)
	v_mul_f32_e32 v2, v113, v196
	v_pk_mul_f32 v[18:19], v[114:115], v[18:19] op_sel_hi:[1,0]
	v_fmac_f32_e32 v117, v111, v193
	v_mul_f32_e32 v119, v112, v196
	v_fma_f32 v118, v112, v195, -v2
	ds_read2_b64 v[2:5], v1 offset0:121 offset1:122
	ds_read2_b64 v[6:9], v1 offset0:123 offset1:124
	;; [unrolled: 1-line block ×3, first 2 shown]
	ds_read_b64 v[14:15], v1 offset:1016
	s_waitcnt vmcnt(8)
	v_pk_fma_f32 v[20:21], v[114:115], v[126:127], v[18:19] op_sel:[0,0,1] op_sel_hi:[1,1,0] neg_lo:[0,0,1] neg_hi:[0,0,1]
	v_pk_fma_f32 v[18:19], v[114:115], v[126:127], v[18:19] op_sel:[0,0,1] op_sel_hi:[1,0,0]
	v_fmac_f32_e32 v119, v113, v195
	v_pk_add_f32 v[16:17], v[62:63], v[116:117]
	v_mov_b32_e32 v18, v125
	v_pk_add_f32 v[16:17], v[16:17], v[118:119]
	v_mov_b32_e32 v21, v19
	s_waitcnt lgkmcnt(3)
	v_pk_mul_f32 v[18:19], v[2:3], v[18:19] op_sel_hi:[1,0]
	v_pk_add_f32 v[16:17], v[16:17], v[20:21]
	v_pk_fma_f32 v[20:21], v[2:3], v[124:125], v[18:19] op_sel:[0,0,1] op_sel_hi:[1,1,0] neg_lo:[0,0,1] neg_hi:[0,0,1]
	v_pk_fma_f32 v[2:3], v[2:3], v[124:125], v[18:19] op_sel:[0,0,1] op_sel_hi:[1,0,0]
	v_mov_b32_e32 v21, v3
	v_pk_add_f32 v[2:3], v[16:17], v[20:21]
	v_mov_b32_e32 v16, v123
	v_pk_mul_f32 v[16:17], v[4:5], v[16:17] op_sel_hi:[1,0]
	v_pk_fma_f32 v[18:19], v[4:5], v[122:123], v[16:17] op_sel:[0,0,1] op_sel_hi:[1,1,0] neg_lo:[0,0,1] neg_hi:[0,0,1]
	v_pk_fma_f32 v[4:5], v[4:5], v[122:123], v[16:17] op_sel:[0,0,1] op_sel_hi:[1,0,0]
	v_mov_b32_e32 v4, v121
	v_mov_b32_e32 v19, v5
	s_waitcnt lgkmcnt(2)
	v_pk_mul_f32 v[4:5], v[6:7], v[4:5] op_sel_hi:[1,0]
	v_pk_fma_f32 v[16:17], v[6:7], v[120:121], v[4:5] op_sel:[0,0,1] op_sel_hi:[1,1,0] neg_lo:[0,0,1] neg_hi:[0,0,1]
	v_pk_fma_f32 v[4:5], v[6:7], v[120:121], v[4:5] op_sel:[0,0,1] op_sel_hi:[1,0,0]
	s_waitcnt vmcnt(1)
	v_mov_b32_e32 v4, v135
	v_mov_b32_e32 v17, v5
	v_pk_mul_f32 v[4:5], v[8:9], v[4:5] op_sel_hi:[1,0]
	s_waitcnt vmcnt(0)
	v_pk_fma_f32 v[6:7], v[8:9], v[134:135], v[4:5] op_sel:[0,0,1] op_sel_hi:[1,1,0] neg_lo:[0,0,1] neg_hi:[0,0,1]
	v_pk_fma_f32 v[4:5], v[8:9], v[134:135], v[4:5] op_sel:[0,0,1] op_sel_hi:[1,0,0]
	v_pk_add_f32 v[2:3], v[2:3], v[18:19]
	v_mov_b32_e32 v4, v133
	v_pk_add_f32 v[2:3], v[2:3], v[16:17]
	v_mov_b32_e32 v7, v5
	s_waitcnt lgkmcnt(1)
	v_pk_mul_f32 v[4:5], v[10:11], v[4:5] op_sel_hi:[1,0]
	v_pk_add_f32 v[2:3], v[2:3], v[6:7]
	v_pk_fma_f32 v[6:7], v[10:11], v[132:133], v[4:5] op_sel:[0,0,1] op_sel_hi:[1,1,0] neg_lo:[0,0,1] neg_hi:[0,0,1]
	v_pk_fma_f32 v[4:5], v[10:11], v[132:133], v[4:5] op_sel:[0,0,1] op_sel_hi:[1,0,0]
	v_mov_b32_e32 v4, v131
	v_mov_b32_e32 v7, v5
	v_pk_mul_f32 v[4:5], v[12:13], v[4:5] op_sel_hi:[1,0]
	v_pk_add_f32 v[2:3], v[2:3], v[6:7]
	v_pk_fma_f32 v[6:7], v[12:13], v[130:131], v[4:5] op_sel:[0,0,1] op_sel_hi:[1,1,0] neg_lo:[0,0,1] neg_hi:[0,0,1]
	v_pk_fma_f32 v[4:5], v[12:13], v[130:131], v[4:5] op_sel:[0,0,1] op_sel_hi:[1,0,0]
	v_mov_b32_e32 v4, v129
	v_mov_b32_e32 v7, v5
	s_waitcnt lgkmcnt(0)
	v_pk_mul_f32 v[4:5], v[14:15], v[4:5] op_sel_hi:[1,0]
	v_pk_add_f32 v[2:3], v[2:3], v[6:7]
	v_pk_fma_f32 v[6:7], v[14:15], v[128:129], v[4:5] op_sel:[0,0,1] op_sel_hi:[1,1,0] neg_lo:[0,0,1] neg_hi:[0,0,1]
	v_pk_fma_f32 v[4:5], v[14:15], v[128:129], v[4:5] op_sel:[0,0,1] op_sel_hi:[1,0,0]
	v_mov_b32_e32 v7, v5
	v_pk_add_f32 v[2:3], v[2:3], v[6:7]
	v_pk_add_f32 v[2:3], v[38:39], v[2:3] neg_lo:[0,1] neg_hi:[0,1]
	buffer_store_dword v3, off, s[0:3], 0 offset:100
	buffer_store_dword v2, off, s[0:3], 0 offset:96
	s_and_saveexec_b64 s[4:5], vcc
	s_cbranch_execz .LBB63_375
; %bb.374:
	buffer_load_dword v2, off, s[0:3], 0 offset:88
	buffer_load_dword v3, off, s[0:3], 0 offset:92
	s_waitcnt vmcnt(0)
	ds_write_b64 v223, v[2:3]
	buffer_store_dword v1, off, s[0:3], 0 offset:88
	buffer_store_dword v1, off, s[0:3], 0 offset:92
.LBB63_375:
	s_or_b64 exec, exec, s[4:5]
	s_waitcnt lgkmcnt(0)
	; wave barrier
	s_waitcnt lgkmcnt(0)
	buffer_load_dword v49, off, s[0:3], 0 offset:100
	buffer_load_dword v48, off, s[0:3], 0 offset:108
	;; [unrolled: 1-line block ×32, first 2 shown]
	ds_read_b128 v[26:29], v1 offset:608
	ds_read_b128 v[22:25], v1 offset:624
	;; [unrolled: 1-line block ×4, first 2 shown]
	buffer_load_dword v141, off, s[0:3], 0 offset:216
	buffer_load_dword v142, off, s[0:3], 0 offset:220
	ds_read_b128 v[14:17], v1 offset:672
	ds_read_b128 v[6:9], v1 offset:688
	;; [unrolled: 1-line block ×3, first 2 shown]
	buffer_load_dword v143, off, s[0:3], 0 offset:224
	buffer_load_dword v144, off, s[0:3], 0 offset:228
	;; [unrolled: 1-line block ×16, first 2 shown]
	v_cmp_lt_u32_e32 vcc, 10, v0
	s_waitcnt vmcnt(49) lgkmcnt(6)
	v_mul_f32_e32 v30, v26, v49
	s_waitcnt vmcnt(48)
	v_mul_f32_e32 v31, v28, v48
	s_waitcnt vmcnt(47) lgkmcnt(5)
	v_mul_f32_e32 v33, v24, v47
	s_waitcnt vmcnt(46) lgkmcnt(4)
	v_mul_f32_e32 v34, v18, v46
	s_waitcnt vmcnt(45)
	v_mul_f32_e32 v35, v20, v44
	s_waitcnt vmcnt(44)
	v_mul_f32_e32 v32, v22, v50
	s_waitcnt vmcnt(43) lgkmcnt(3)
	v_mul_f32_e32 v36, v10, v45
	s_waitcnt vmcnt(42)
	v_mul_f32_e32 v37, v12, v51
	s_waitcnt vmcnt(41) lgkmcnt(2)
	;; [unrolled: 4-line block ×3, first 2 shown]
	v_mul_f32_e32 v40, v6, v54
	s_waitcnt vmcnt(38)
	v_mul_f32_e32 v41, v8, v55
	s_waitcnt vmcnt(37)
	v_fmac_f32_e32 v32, v23, v61
	s_waitcnt vmcnt(36)
	v_fmac_f32_e32 v31, v29, v64
	;; [unrolled: 2-line block ×3, first 2 shown]
	v_add_f32_e32 v30, 0, v30
	v_add_f32_e32 v30, v30, v31
	;; [unrolled: 1-line block ×3, first 2 shown]
	s_waitcnt vmcnt(31)
	v_fmac_f32_e32 v33, v25, v65
	v_fmac_f32_e32 v34, v19, v63
	v_add_f32_e32 v30, v30, v33
	v_fmac_f32_e32 v35, v21, v60
	v_add_f32_e32 v30, v30, v34
	;; [unrolled: 2-line block ×3, first 2 shown]
	s_waitcnt vmcnt(27)
	v_fmac_f32_e32 v37, v13, v62
	v_add_f32_e32 v30, v30, v36
	v_fmac_f32_e32 v38, v15, v59
	v_add_f32_e32 v30, v30, v37
	;; [unrolled: 2-line block ×4, first 2 shown]
	s_waitcnt vmcnt(23)
	v_fmac_f32_e32 v41, v9, v137
	v_add_f32_e32 v30, v30, v40
	v_add_f32_e32 v34, v30, v41
	ds_read_b128 v[30:33], v1 offset:720
	buffer_load_dword v159, off, s[0:3], 0 offset:288
	buffer_load_dword v160, off, s[0:3], 0 offset:292
	buffer_load_dword v161, off, s[0:3], 0 offset:296
	buffer_load_dword v162, off, s[0:3], 0 offset:300
	buffer_load_dword v163, off, s[0:3], 0 offset:304
	buffer_load_dword v164, off, s[0:3], 0 offset:308
	buffer_load_dword v165, off, s[0:3], 0 offset:312
	buffer_load_dword v166, off, s[0:3], 0 offset:316
	buffer_load_dword v167, off, s[0:3], 0 offset:320
	buffer_load_dword v168, off, s[0:3], 0 offset:324
	buffer_load_dword v169, off, s[0:3], 0 offset:328
	buffer_load_dword v170, off, s[0:3], 0 offset:332
	s_waitcnt vmcnt(34) lgkmcnt(1)
	v_mul_f32_e32 v35, v2, v138
	v_fmac_f32_e32 v35, v3, v136
	buffer_load_dword v171, off, s[0:3], 0 offset:336
	buffer_load_dword v172, off, s[0:3], 0 offset:340
	v_add_f32_e32 v34, v34, v35
	s_waitcnt vmcnt(35)
	v_mul_f32_e32 v35, v4, v139
	v_fmac_f32_e32 v35, v5, v124
	v_add_f32_e32 v34, v34, v35
	s_waitcnt vmcnt(34) lgkmcnt(0)
	v_mul_f32_e32 v35, v30, v140
	v_fmac_f32_e32 v35, v31, v66
	buffer_load_dword v173, off, s[0:3], 0 offset:344
	buffer_load_dword v174, off, s[0:3], 0 offset:348
	v_add_f32_e32 v34, v34, v35
	s_waitcnt vmcnt(32)
	v_mul_f32_e32 v35, v32, v142
	v_fmac_f32_e32 v35, v33, v141
	v_add_f32_e32 v67, v34, v35
	ds_read_b128 v[34:37], v1 offset:736
	buffer_load_dword v175, off, s[0:3], 0 offset:352
	buffer_load_dword v176, off, s[0:3], 0 offset:356
	ds_read_b128 v[38:41], v1 offset:752
	buffer_load_dword v177, off, s[0:3], 0 offset:360
	buffer_load_dword v178, off, s[0:3], 0 offset:364
	;; [unrolled: 1-line block ×14, first 2 shown]
	s_waitcnt vmcnt(46) lgkmcnt(1)
	v_mul_f32_e32 v68, v34, v144
	v_fmac_f32_e32 v68, v35, v143
	v_add_f32_e32 v67, v67, v68
	s_waitcnt vmcnt(44)
	v_mul_f32_e32 v68, v36, v146
	v_fmac_f32_e32 v68, v37, v145
	v_add_f32_e32 v67, v67, v68
	s_waitcnt vmcnt(42) lgkmcnt(0)
	v_mul_f32_e32 v68, v38, v148
	v_fmac_f32_e32 v68, v39, v147
	v_add_f32_e32 v67, v67, v68
	buffer_load_dword v191, off, s[0:3], 0 offset:416
	buffer_load_dword v192, off, s[0:3], 0 offset:420
	ds_read_b128 v[68:71], v1 offset:768
	s_waitcnt vmcnt(42)
	v_mul_f32_e32 v72, v40, v150
	v_fmac_f32_e32 v72, v41, v149
	buffer_load_dword v193, off, s[0:3], 0 offset:424
	buffer_load_dword v194, off, s[0:3], 0 offset:428
	v_add_f32_e32 v67, v67, v72
	buffer_load_dword v195, off, s[0:3], 0 offset:432
	buffer_load_dword v196, off, s[0:3], 0 offset:436
	ds_read_b128 v[72:75], v1 offset:784
	s_waitcnt vmcnt(44) lgkmcnt(1)
	v_mul_f32_e32 v76, v68, v152
	v_fmac_f32_e32 v76, v69, v151
	v_add_f32_e32 v67, v67, v76
	s_waitcnt vmcnt(42)
	v_mul_f32_e32 v76, v70, v154
	v_fmac_f32_e32 v76, v71, v153
	v_add_f32_e32 v67, v67, v76
	s_waitcnt vmcnt(40) lgkmcnt(0)
	v_mul_f32_e32 v76, v72, v156
	v_fmac_f32_e32 v76, v73, v155
	buffer_load_dword v197, off, s[0:3], 0 offset:440
	buffer_load_dword v198, off, s[0:3], 0 offset:444
	v_add_f32_e32 v67, v67, v76
	ds_read_b128 v[76:79], v1 offset:800
	s_waitcnt vmcnt(40)
	v_mul_f32_e32 v80, v74, v158
	v_fmac_f32_e32 v80, v75, v157
	v_add_f32_e32 v67, v67, v80
	ds_read_b128 v[80:83], v1 offset:816
	v_mul_f32_e32 v27, v27, v49
	v_fma_f32 v26, v26, v116, -v27
	v_mul_f32_e32 v27, v29, v48
	v_add_f32_e32 v26, 0, v26
	v_fma_f32 v27, v28, v64, -v27
	v_mul_f32_e32 v23, v23, v50
	v_add_f32_e32 v26, v26, v27
	;; [unrolled: 3-line block ×5, first 2 shown]
	v_fma_f32 v19, v20, v60, -v19
	v_mul_f32_e32 v11, v11, v45
	s_waitcnt vmcnt(38) lgkmcnt(1)
	v_mul_f32_e32 v84, v76, v160
	v_fmac_f32_e32 v84, v77, v159
	v_add_f32_e32 v67, v67, v84
	s_waitcnt vmcnt(36)
	v_mul_f32_e32 v84, v78, v162
	v_fmac_f32_e32 v84, v79, v161
	v_add_f32_e32 v67, v67, v84
	s_waitcnt vmcnt(34) lgkmcnt(0)
	v_mul_f32_e32 v84, v80, v164
	v_fmac_f32_e32 v84, v81, v163
	v_add_f32_e32 v67, v67, v84
	ds_read_b128 v[84:87], v1 offset:832
	s_waitcnt vmcnt(32)
	v_mul_f32_e32 v88, v82, v166
	v_fmac_f32_e32 v88, v83, v165
	v_add_f32_e32 v67, v67, v88
	ds_read_b128 v[88:91], v1 offset:848
	s_waitcnt vmcnt(30) lgkmcnt(1)
	v_mul_f32_e32 v92, v84, v168
	v_fmac_f32_e32 v92, v85, v167
	v_add_f32_e32 v67, v67, v92
	s_waitcnt vmcnt(28)
	v_mul_f32_e32 v92, v86, v170
	v_fmac_f32_e32 v92, v87, v169
	v_add_f32_e32 v67, v67, v92
	s_waitcnt vmcnt(26) lgkmcnt(0)
	v_mul_f32_e32 v92, v88, v172
	v_fmac_f32_e32 v92, v89, v171
	v_add_f32_e32 v67, v67, v92
	ds_read_b128 v[92:95], v1 offset:864
	s_waitcnt vmcnt(24)
	v_mul_f32_e32 v96, v90, v174
	v_fmac_f32_e32 v96, v91, v173
	v_add_f32_e32 v67, v67, v96
	ds_read_b128 v[96:99], v1 offset:880
	;; [unrolled: 18-line block ×3, first 2 shown]
	s_waitcnt vmcnt(14) lgkmcnt(1)
	v_mul_f32_e32 v108, v100, v184
	v_fmac_f32_e32 v108, v101, v183
	v_add_f32_e32 v67, v67, v108
	s_waitcnt vmcnt(12)
	v_mul_f32_e32 v108, v102, v186
	v_fmac_f32_e32 v108, v103, v185
	v_add_f32_e32 v67, v67, v108
	s_waitcnt vmcnt(10) lgkmcnt(0)
	v_mul_f32_e32 v108, v104, v188
	v_fmac_f32_e32 v108, v105, v187
	s_waitcnt vmcnt(8)
	v_mul_f32_e32 v112, v106, v190
	v_add_f32_e32 v67, v67, v108
	v_fmac_f32_e32 v112, v107, v189
	ds_read_b128 v[108:111], v1 offset:928
	v_add_f32_e32 v67, v67, v112
	ds_read_b128 v[112:115], v1 offset:944
	buffer_load_dword v119, off, s[0:3], 0 offset:468
	buffer_load_dword v118, off, s[0:3], 0 offset:464
	;; [unrolled: 1-line block ×6, first 2 shown]
	v_add_f32_e32 v18, v18, v19
	v_fma_f32 v10, v10, v58, -v11
	v_mul_f32_e32 v11, v13, v51
	v_add_f32_e32 v10, v18, v10
	v_fma_f32 v11, v12, v62, -v11
	buffer_load_dword v127, off, s[0:3], 0 offset:500
	buffer_load_dword v126, off, s[0:3], 0 offset:496
	;; [unrolled: 1-line block ×10, first 2 shown]
	v_add_f32_e32 v10, v10, v11
	v_mul_f32_e32 v11, v15, v52
	v_fma_f32 v11, v14, v59, -v11
	v_add_f32_e32 v10, v10, v11
	v_mul_f32_e32 v11, v17, v53
	v_fma_f32 v11, v16, v57, -v11
	v_mul_f32_e32 v7, v7, v54
	v_add_f32_e32 v10, v10, v11
	v_fma_f32 v6, v6, v56, -v7
	v_mul_f32_e32 v7, v9, v55
	v_add_f32_e32 v6, v10, v6
	;; [unrolled: 3-line block ×4, first 2 shown]
	v_fma_f32 v3, v4, v124, -v3
	v_add_f32_e32 v2, v2, v3
	v_mul_f32_e32 v3, v31, v140
	v_fma_f32 v3, v30, v66, -v3
	v_add_f32_e32 v2, v2, v3
	v_mul_f32_e32 v3, v33, v142
	;; [unrolled: 3-line block ×26, first 2 shown]
	v_fma_f32 v3, v106, v189, -v3
	v_add_f32_e32 v2, v2, v3
	s_waitcnt vmcnt(22) lgkmcnt(1)
	v_mul_f32_e32 v3, v109, v192
	v_fma_f32 v3, v108, v191, -v3
	v_add_f32_e32 v2, v2, v3
	s_waitcnt vmcnt(20)
	v_mul_f32_e32 v3, v111, v194
	v_mul_f32_e32 v117, v108, v192
	v_fma_f32 v3, v110, v193, -v3
	v_fmac_f32_e32 v117, v109, v191
	v_add_f32_e32 v66, v2, v3
	s_waitcnt vmcnt(18) lgkmcnt(0)
	v_mul_f32_e32 v2, v113, v196
	v_add_f32_e32 v67, v67, v117
	v_mul_f32_e32 v117, v110, v194
	v_fma_f32 v116, v112, v195, -v2
	s_waitcnt vmcnt(16)
	v_mul_f32_e32 v2, v115, v198
	v_fmac_f32_e32 v117, v111, v193
	v_fma_f32 v124, v114, v197, -v2
	ds_read_b128 v[2:5], v1 offset:960
	ds_read_b128 v[6:9], v1 offset:976
	;; [unrolled: 1-line block ×4, first 2 shown]
	v_add_f32_e32 v67, v67, v117
	v_mul_f32_e32 v117, v112, v196
	s_waitcnt vmcnt(11)
	v_mov_b32_e32 v20, v123
	v_fmac_f32_e32 v117, v113, v195
	v_mul_f32_e32 v125, v114, v198
	s_waitcnt lgkmcnt(3)
	v_pk_mul_f32 v[20:21], v[2:3], v[20:21] op_sel_hi:[1,0]
	v_fmac_f32_e32 v125, v115, v197
	v_pk_add_f32 v[18:19], v[66:67], v[116:117]
	s_waitcnt vmcnt(10)
	v_pk_fma_f32 v[22:23], v[2:3], v[122:123], v[20:21] op_sel:[0,0,1] op_sel_hi:[1,1,0] neg_lo:[0,0,1] neg_hi:[0,0,1]
	v_pk_fma_f32 v[2:3], v[2:3], v[122:123], v[20:21] op_sel:[0,0,1] op_sel_hi:[1,0,0]
	v_pk_add_f32 v[18:19], v[18:19], v[124:125]
	v_mov_b32_e32 v23, v3
	v_pk_add_f32 v[2:3], v[18:19], v[22:23]
	v_mov_b32_e32 v18, v121
	v_pk_mul_f32 v[18:19], v[4:5], v[18:19] op_sel_hi:[1,0]
	v_pk_fma_f32 v[20:21], v[4:5], v[120:121], v[18:19] op_sel:[0,0,1] op_sel_hi:[1,1,0] neg_lo:[0,0,1] neg_hi:[0,0,1]
	v_pk_fma_f32 v[4:5], v[4:5], v[120:121], v[18:19] op_sel:[0,0,1] op_sel_hi:[1,0,0]
	v_mov_b32_e32 v4, v119
	v_mov_b32_e32 v21, v5
	s_waitcnt lgkmcnt(2)
	v_pk_mul_f32 v[4:5], v[6:7], v[4:5] op_sel_hi:[1,0]
	v_pk_fma_f32 v[18:19], v[6:7], v[118:119], v[4:5] op_sel:[0,0,1] op_sel_hi:[1,1,0] neg_lo:[0,0,1] neg_hi:[0,0,1]
	v_pk_fma_f32 v[4:5], v[6:7], v[118:119], v[4:5] op_sel:[0,0,1] op_sel_hi:[1,0,0]
	s_waitcnt vmcnt(3)
	v_mov_b32_e32 v4, v133
	v_mov_b32_e32 v19, v5
	v_pk_mul_f32 v[4:5], v[8:9], v[4:5] op_sel_hi:[1,0]
	s_waitcnt vmcnt(2)
	v_pk_fma_f32 v[6:7], v[8:9], v[132:133], v[4:5] op_sel:[0,0,1] op_sel_hi:[1,1,0] neg_lo:[0,0,1] neg_hi:[0,0,1]
	v_pk_fma_f32 v[4:5], v[8:9], v[132:133], v[4:5] op_sel:[0,0,1] op_sel_hi:[1,0,0]
	v_pk_add_f32 v[2:3], v[2:3], v[20:21]
	v_mov_b32_e32 v4, v131
	v_pk_add_f32 v[2:3], v[2:3], v[18:19]
	v_mov_b32_e32 v7, v5
	s_waitcnt lgkmcnt(1)
	v_pk_mul_f32 v[4:5], v[10:11], v[4:5] op_sel_hi:[1,0]
	v_pk_add_f32 v[2:3], v[2:3], v[6:7]
	v_pk_fma_f32 v[6:7], v[10:11], v[130:131], v[4:5] op_sel:[0,0,1] op_sel_hi:[1,1,0] neg_lo:[0,0,1] neg_hi:[0,0,1]
	v_pk_fma_f32 v[4:5], v[10:11], v[130:131], v[4:5] op_sel:[0,0,1] op_sel_hi:[1,0,0]
	v_mov_b32_e32 v4, v129
	v_mov_b32_e32 v7, v5
	v_pk_mul_f32 v[4:5], v[12:13], v[4:5] op_sel_hi:[1,0]
	v_pk_add_f32 v[2:3], v[2:3], v[6:7]
	v_pk_fma_f32 v[6:7], v[12:13], v[128:129], v[4:5] op_sel:[0,0,1] op_sel_hi:[1,1,0] neg_lo:[0,0,1] neg_hi:[0,0,1]
	v_pk_fma_f32 v[4:5], v[12:13], v[128:129], v[4:5] op_sel:[0,0,1] op_sel_hi:[1,0,0]
	v_mov_b32_e32 v4, v127
	v_mov_b32_e32 v7, v5
	s_waitcnt lgkmcnt(0)
	v_pk_mul_f32 v[4:5], v[14:15], v[4:5] op_sel_hi:[1,0]
	v_pk_add_f32 v[2:3], v[2:3], v[6:7]
	v_pk_fma_f32 v[6:7], v[14:15], v[126:127], v[4:5] op_sel:[0,0,1] op_sel_hi:[1,1,0] neg_lo:[0,0,1] neg_hi:[0,0,1]
	v_pk_fma_f32 v[4:5], v[14:15], v[126:127], v[4:5] op_sel:[0,0,1] op_sel_hi:[1,0,0]
	s_waitcnt vmcnt(1)
	v_mov_b32_e32 v4, v135
	v_mov_b32_e32 v7, v5
	v_pk_mul_f32 v[4:5], v[16:17], v[4:5] op_sel_hi:[1,0]
	v_pk_add_f32 v[2:3], v[2:3], v[6:7]
	s_waitcnt vmcnt(0)
	v_pk_fma_f32 v[6:7], v[16:17], v[134:135], v[4:5] op_sel:[0,0,1] op_sel_hi:[1,1,0] neg_lo:[0,0,1] neg_hi:[0,0,1]
	v_pk_fma_f32 v[4:5], v[16:17], v[134:135], v[4:5] op_sel:[0,0,1] op_sel_hi:[1,0,0]
	v_mov_b32_e32 v7, v5
	v_pk_add_f32 v[2:3], v[2:3], v[6:7]
	v_pk_add_f32 v[2:3], v[42:43], v[2:3] neg_lo:[0,1] neg_hi:[0,1]
	buffer_store_dword v3, off, s[0:3], 0 offset:92
	buffer_store_dword v2, off, s[0:3], 0 offset:88
	s_and_saveexec_b64 s[4:5], vcc
	s_cbranch_execz .LBB63_377
; %bb.376:
	buffer_load_dword v2, off, s[0:3], 0 offset:80
	buffer_load_dword v3, off, s[0:3], 0 offset:84
	v_mov_b32_e32 v1, 0
	buffer_store_dword v1, off, s[0:3], 0 offset:80
	buffer_store_dword v1, off, s[0:3], 0 offset:84
	s_waitcnt vmcnt(2)
	ds_write_b64 v223, v[2:3]
.LBB63_377:
	s_or_b64 exec, exec, s[4:5]
	v_mov_b32_e32 v1, 0
	s_waitcnt lgkmcnt(0)
	; wave barrier
	s_waitcnt lgkmcnt(0)
	ds_read2_b64 v[2:5], v1 offset0:75 offset1:76
	buffer_load_dword v94, off, s[0:3], 0 offset:80
	buffer_load_dword v95, off, s[0:3], 0 offset:84
	;; [unrolled: 1-line block ×16, first 2 shown]
	v_cmp_lt_u32_e32 vcc, 9, v0
	s_waitcnt vmcnt(12) lgkmcnt(0)
	v_mul_f32_e32 v6, v2, v116
	v_fmac_f32_e32 v6, v3, v96
	s_waitcnt vmcnt(10)
	v_mul_f32_e32 v7, v4, v118
	v_add_f32_e32 v6, 0, v6
	v_fmac_f32_e32 v7, v5, v98
	v_add_f32_e32 v10, v6, v7
	ds_read2_b64 v[6:9], v1 offset0:77 offset1:78
	v_mul_f32_e32 v3, v3, v116
	v_fma_f32 v2, v2, v96, -v3
	v_mul_f32_e32 v3, v5, v118
	v_add_f32_e32 v2, 0, v2
	s_waitcnt vmcnt(8) lgkmcnt(0)
	v_mul_f32_e32 v11, v6, v120
	v_fmac_f32_e32 v11, v7, v102
	v_add_f32_e32 v10, v10, v11
	s_waitcnt vmcnt(6)
	v_mul_f32_e32 v11, v8, v122
	v_fmac_f32_e32 v11, v9, v117
	v_add_f32_e32 v14, v10, v11
	ds_read2_b64 v[10:13], v1 offset0:79 offset1:80
	v_fma_f32 v3, v4, v98, -v3
	v_add_f32_e32 v2, v2, v3
	v_mul_f32_e32 v3, v7, v120
	v_fma_f32 v3, v6, v102, -v3
	s_waitcnt vmcnt(4) lgkmcnt(0)
	v_mul_f32_e32 v15, v10, v124
	v_fmac_f32_e32 v15, v11, v119
	v_add_f32_e32 v14, v14, v15
	s_waitcnt vmcnt(2)
	v_mul_f32_e32 v15, v12, v125
	v_fmac_f32_e32 v15, v13, v121
	v_add_f32_e32 v18, v14, v15
	ds_read2_b64 v[14:17], v1 offset0:81 offset1:82
	buffer_load_dword v127, off, s[0:3], 0 offset:144
	buffer_load_dword v128, off, s[0:3], 0 offset:148
	v_add_f32_e32 v2, v2, v3
	v_mul_f32_e32 v3, v9, v122
	v_fma_f32 v3, v8, v117, -v3
	s_waitcnt vmcnt(2) lgkmcnt(0)
	v_mul_f32_e32 v19, v14, v126
	v_fmac_f32_e32 v19, v15, v123
	v_add_f32_e32 v18, v18, v19
	v_add_f32_e32 v2, v2, v3
	v_mul_f32_e32 v3, v11, v124
	v_fma_f32 v3, v10, v119, -v3
	v_add_f32_e32 v2, v2, v3
	v_mul_f32_e32 v3, v13, v125
	v_fma_f32 v3, v12, v121, -v3
	;; [unrolled: 3-line block ×3, first 2 shown]
	v_add_f32_e32 v2, v2, v3
	s_waitcnt vmcnt(0)
	v_mul_f32_e32 v19, v16, v128
	v_fmac_f32_e32 v19, v17, v127
	v_add_f32_e32 v22, v18, v19
	ds_read2_b64 v[18:21], v1 offset0:83 offset1:84
	buffer_load_dword v129, off, s[0:3], 0 offset:152
	buffer_load_dword v130, off, s[0:3], 0 offset:156
	;; [unrolled: 1-line block ×4, first 2 shown]
	v_mul_f32_e32 v3, v17, v128
	v_fma_f32 v3, v16, v127, -v3
	v_add_f32_e32 v2, v2, v3
	s_waitcnt vmcnt(2) lgkmcnt(0)
	v_mul_f32_e32 v23, v18, v130
	v_fmac_f32_e32 v23, v19, v129
	v_add_f32_e32 v22, v22, v23
	s_waitcnt vmcnt(0)
	v_mul_f32_e32 v23, v20, v132
	v_fmac_f32_e32 v23, v21, v131
	v_add_f32_e32 v26, v22, v23
	ds_read2_b64 v[22:25], v1 offset0:85 offset1:86
	buffer_load_dword v133, off, s[0:3], 0 offset:168
	buffer_load_dword v134, off, s[0:3], 0 offset:172
	buffer_load_dword v135, off, s[0:3], 0 offset:176
	buffer_load_dword v136, off, s[0:3], 0 offset:180
	v_mul_f32_e32 v3, v19, v130
	v_fma_f32 v3, v18, v129, -v3
	v_add_f32_e32 v2, v2, v3
	v_mul_f32_e32 v3, v21, v132
	v_fma_f32 v3, v20, v131, -v3
	v_add_f32_e32 v2, v2, v3
	s_waitcnt vmcnt(2) lgkmcnt(0)
	v_mul_f32_e32 v27, v22, v134
	v_fmac_f32_e32 v27, v23, v133
	v_add_f32_e32 v26, v26, v27
	s_waitcnt vmcnt(0)
	v_mul_f32_e32 v27, v24, v136
	v_fmac_f32_e32 v27, v25, v135
	v_add_f32_e32 v30, v26, v27
	ds_read2_b64 v[26:29], v1 offset0:87 offset1:88
	buffer_load_dword v137, off, s[0:3], 0 offset:184
	buffer_load_dword v138, off, s[0:3], 0 offset:188
	buffer_load_dword v139, off, s[0:3], 0 offset:192
	buffer_load_dword v140, off, s[0:3], 0 offset:196
	v_mul_f32_e32 v3, v23, v134
	v_fma_f32 v3, v22, v133, -v3
	v_add_f32_e32 v2, v2, v3
	;; [unrolled: 19-line block ×4, first 2 shown]
	v_mul_f32_e32 v3, v33, v144
	v_fma_f32 v3, v32, v143, -v3
	v_add_f32_e32 v2, v2, v3
	s_waitcnt vmcnt(2) lgkmcnt(0)
	v_mul_f32_e32 v39, v34, v146
	v_fmac_f32_e32 v39, v35, v145
	v_add_f32_e32 v38, v38, v39
	s_waitcnt vmcnt(0)
	v_mul_f32_e32 v39, v36, v148
	v_fmac_f32_e32 v39, v37, v147
	v_add_f32_e32 v42, v38, v39
	ds_read2_b64 v[38:41], v1 offset0:93 offset1:94
	buffer_load_dword v149, off, s[0:3], 0 offset:232
	buffer_load_dword v150, off, s[0:3], 0 offset:236
	buffer_load_dword v151, off, s[0:3], 0 offset:240
	buffer_load_dword v152, off, s[0:3], 0 offset:244
	ds_read2_b64 v[46:49], v1 offset0:95 offset1:96
	buffer_load_dword v153, off, s[0:3], 0 offset:248
	buffer_load_dword v154, off, s[0:3], 0 offset:252
	buffer_load_dword v155, off, s[0:3], 0 offset:256
	buffer_load_dword v156, off, s[0:3], 0 offset:260
	;; [unrolled: 5-line block ×13, first 2 shown]
	v_mul_f32_e32 v3, v35, v146
	v_fma_f32 v3, v34, v145, -v3
	v_add_f32_e32 v2, v2, v3
	v_mul_f32_e32 v3, v37, v148
	v_fma_f32 v3, v36, v147, -v3
	v_add_f32_e32 v2, v2, v3
	s_waitcnt vmcnt(50) lgkmcnt(12)
	v_mul_f32_e32 v43, v38, v150
	v_fmac_f32_e32 v43, v39, v149
	v_add_f32_e32 v42, v42, v43
	s_waitcnt vmcnt(48)
	v_mul_f32_e32 v43, v40, v152
	v_fmac_f32_e32 v43, v41, v151
	v_add_f32_e32 v42, v42, v43
	s_waitcnt vmcnt(46) lgkmcnt(11)
	v_mul_f32_e32 v43, v46, v154
	v_fmac_f32_e32 v43, v47, v153
	v_add_f32_e32 v42, v42, v43
	s_waitcnt vmcnt(44)
	v_mul_f32_e32 v43, v48, v156
	v_fmac_f32_e32 v43, v49, v155
	;; [unrolled: 8-line block ×12, first 2 shown]
	v_add_f32_e32 v42, v42, v43
	s_waitcnt vmcnt(2) lgkmcnt(0)
	v_mul_f32_e32 v43, v90, v198
	v_fmac_f32_e32 v43, v91, v197
	v_add_f32_e32 v97, v42, v43
	ds_read2_b64 v[42:45], v1 offset0:119 offset1:120
	buffer_load_dword v201, off, s[0:3], 0 offset:440
	buffer_load_dword v202, off, s[0:3], 0 offset:444
	;; [unrolled: 1-line block ×18, first 2 shown]
	v_mul_f32_e32 v3, v39, v150
	v_fma_f32 v3, v38, v149, -v3
	v_add_f32_e32 v2, v2, v3
	v_mul_f32_e32 v3, v41, v152
	v_fma_f32 v3, v40, v151, -v3
	v_add_f32_e32 v2, v2, v3
	v_mul_f32_e32 v3, v47, v154
	v_fma_f32 v3, v46, v153, -v3
	v_add_f32_e32 v2, v2, v3
	v_mul_f32_e32 v3, v49, v156
	v_fma_f32 v3, v48, v155, -v3
	v_add_f32_e32 v2, v2, v3
	v_mul_f32_e32 v3, v51, v158
	v_fma_f32 v3, v50, v157, -v3
	v_add_f32_e32 v2, v2, v3
	v_mul_f32_e32 v3, v53, v160
	v_fma_f32 v3, v52, v159, -v3
	v_add_f32_e32 v2, v2, v3
	v_mul_f32_e32 v3, v55, v162
	v_fma_f32 v3, v54, v161, -v3
	v_add_f32_e32 v2, v2, v3
	v_mul_f32_e32 v3, v57, v164
	v_fma_f32 v3, v56, v163, -v3
	v_add_f32_e32 v2, v2, v3
	v_mul_f32_e32 v3, v59, v166
	v_fma_f32 v3, v58, v165, -v3
	v_add_f32_e32 v2, v2, v3
	v_mul_f32_e32 v3, v61, v168
	v_fma_f32 v3, v60, v167, -v3
	v_add_f32_e32 v2, v2, v3
	v_mul_f32_e32 v3, v63, v170
	v_fma_f32 v3, v62, v169, -v3
	v_add_f32_e32 v2, v2, v3
	v_mul_f32_e32 v3, v65, v172
	v_fma_f32 v3, v64, v171, -v3
	v_add_f32_e32 v2, v2, v3
	v_mul_f32_e32 v3, v67, v174
	v_fma_f32 v3, v66, v173, -v3
	v_add_f32_e32 v2, v2, v3
	v_mul_f32_e32 v3, v69, v176
	v_fma_f32 v3, v68, v175, -v3
	v_add_f32_e32 v2, v2, v3
	v_mul_f32_e32 v3, v71, v178
	v_fma_f32 v3, v70, v177, -v3
	v_add_f32_e32 v2, v2, v3
	v_mul_f32_e32 v3, v73, v180
	v_fma_f32 v3, v72, v179, -v3
	v_add_f32_e32 v2, v2, v3
	v_mul_f32_e32 v3, v75, v182
	v_fma_f32 v3, v74, v181, -v3
	v_add_f32_e32 v2, v2, v3
	v_mul_f32_e32 v3, v77, v184
	v_fma_f32 v3, v76, v183, -v3
	v_add_f32_e32 v2, v2, v3
	v_mul_f32_e32 v3, v79, v186
	v_fma_f32 v3, v78, v185, -v3
	v_add_f32_e32 v2, v2, v3
	v_mul_f32_e32 v3, v81, v188
	v_fma_f32 v3, v80, v187, -v3
	v_add_f32_e32 v2, v2, v3
	v_mul_f32_e32 v3, v83, v190
	v_fma_f32 v3, v82, v189, -v3
	v_add_f32_e32 v2, v2, v3
	v_mul_f32_e32 v3, v85, v192
	v_fma_f32 v3, v84, v191, -v3
	v_add_f32_e32 v2, v2, v3
	v_mul_f32_e32 v3, v87, v194
	v_fma_f32 v3, v86, v193, -v3
	v_add_f32_e32 v2, v2, v3
	v_mul_f32_e32 v3, v89, v196
	v_fma_f32 v3, v88, v195, -v3
	v_add_f32_e32 v2, v2, v3
	v_mul_f32_e32 v3, v91, v198
	v_fma_f32 v3, v90, v197, -v3
	v_add_f32_e32 v96, v2, v3
	s_waitcnt vmcnt(18)
	v_mul_f32_e32 v2, v93, v200
	s_waitcnt vmcnt(15)
	v_mov_b32_e32 v18, v101
	v_mul_f32_e32 v99, v92, v200
	v_fma_f32 v98, v92, v199, -v2
	s_waitcnt lgkmcnt(0)
	v_mul_f32_e32 v2, v43, v202
	v_pk_mul_f32 v[18:19], v[44:45], v[18:19] op_sel_hi:[1,0]
	v_fmac_f32_e32 v99, v93, v199
	v_mul_f32_e32 v103, v42, v202
	v_fma_f32 v102, v42, v201, -v2
	ds_read2_b64 v[2:5], v1 offset0:121 offset1:122
	ds_read2_b64 v[6:9], v1 offset0:123 offset1:124
	ds_read2_b64 v[10:13], v1 offset0:125 offset1:126
	ds_read_b64 v[14:15], v1 offset:1016
	s_waitcnt vmcnt(14)
	v_pk_fma_f32 v[20:21], v[44:45], v[100:101], v[18:19] op_sel:[0,0,1] op_sel_hi:[1,1,0] neg_lo:[0,0,1] neg_hi:[0,0,1]
	v_pk_fma_f32 v[18:19], v[44:45], v[100:101], v[18:19] op_sel:[0,0,1] op_sel_hi:[1,0,0]
	v_fmac_f32_e32 v103, v43, v201
	v_pk_add_f32 v[16:17], v[96:97], v[98:99]
	s_waitcnt vmcnt(13)
	v_mov_b32_e32 v18, v239
	v_pk_add_f32 v[16:17], v[16:17], v[102:103]
	v_mov_b32_e32 v21, v19
	s_waitcnt lgkmcnt(3)
	v_pk_mul_f32 v[18:19], v[2:3], v[18:19] op_sel_hi:[1,0]
	v_pk_add_f32 v[16:17], v[16:17], v[20:21]
	s_waitcnt vmcnt(12)
	v_pk_fma_f32 v[20:21], v[2:3], v[238:239], v[18:19] op_sel:[0,0,1] op_sel_hi:[1,1,0] neg_lo:[0,0,1] neg_hi:[0,0,1]
	v_pk_fma_f32 v[2:3], v[2:3], v[238:239], v[18:19] op_sel:[0,0,1] op_sel_hi:[1,0,0]
	v_mov_b32_e32 v21, v3
	v_pk_add_f32 v[2:3], v[16:17], v[20:21]
	s_waitcnt vmcnt(11)
	v_mov_b32_e32 v16, v115
	v_pk_mul_f32 v[16:17], v[4:5], v[16:17] op_sel_hi:[1,0]
	s_waitcnt vmcnt(10)
	v_pk_fma_f32 v[18:19], v[4:5], v[114:115], v[16:17] op_sel:[0,0,1] op_sel_hi:[1,1,0] neg_lo:[0,0,1] neg_hi:[0,0,1]
	v_pk_fma_f32 v[4:5], v[4:5], v[114:115], v[16:17] op_sel:[0,0,1] op_sel_hi:[1,0,0]
	s_waitcnt vmcnt(9)
	v_mov_b32_e32 v4, v113
	v_mov_b32_e32 v19, v5
	s_waitcnt lgkmcnt(2)
	v_pk_mul_f32 v[4:5], v[6:7], v[4:5] op_sel_hi:[1,0]
	s_waitcnt vmcnt(8)
	v_pk_fma_f32 v[16:17], v[6:7], v[112:113], v[4:5] op_sel:[0,0,1] op_sel_hi:[1,1,0] neg_lo:[0,0,1] neg_hi:[0,0,1]
	v_pk_fma_f32 v[4:5], v[6:7], v[112:113], v[4:5] op_sel:[0,0,1] op_sel_hi:[1,0,0]
	s_waitcnt vmcnt(7)
	v_mov_b32_e32 v4, v111
	v_mov_b32_e32 v17, v5
	v_pk_mul_f32 v[4:5], v[8:9], v[4:5] op_sel_hi:[1,0]
	s_waitcnt vmcnt(6)
	v_pk_fma_f32 v[6:7], v[8:9], v[110:111], v[4:5] op_sel:[0,0,1] op_sel_hi:[1,1,0] neg_lo:[0,0,1] neg_hi:[0,0,1]
	v_pk_fma_f32 v[4:5], v[8:9], v[110:111], v[4:5] op_sel:[0,0,1] op_sel_hi:[1,0,0]
	v_pk_add_f32 v[2:3], v[2:3], v[18:19]
	s_waitcnt vmcnt(5)
	v_mov_b32_e32 v4, v109
	v_pk_add_f32 v[2:3], v[2:3], v[16:17]
	v_mov_b32_e32 v7, v5
	s_waitcnt lgkmcnt(1)
	v_pk_mul_f32 v[4:5], v[10:11], v[4:5] op_sel_hi:[1,0]
	v_pk_add_f32 v[2:3], v[2:3], v[6:7]
	s_waitcnt vmcnt(4)
	v_pk_fma_f32 v[6:7], v[10:11], v[108:109], v[4:5] op_sel:[0,0,1] op_sel_hi:[1,1,0] neg_lo:[0,0,1] neg_hi:[0,0,1]
	v_pk_fma_f32 v[4:5], v[10:11], v[108:109], v[4:5] op_sel:[0,0,1] op_sel_hi:[1,0,0]
	s_waitcnt vmcnt(3)
	v_mov_b32_e32 v4, v107
	v_mov_b32_e32 v7, v5
	v_pk_mul_f32 v[4:5], v[12:13], v[4:5] op_sel_hi:[1,0]
	v_pk_add_f32 v[2:3], v[2:3], v[6:7]
	s_waitcnt vmcnt(2)
	v_pk_fma_f32 v[6:7], v[12:13], v[106:107], v[4:5] op_sel:[0,0,1] op_sel_hi:[1,1,0] neg_lo:[0,0,1] neg_hi:[0,0,1]
	v_pk_fma_f32 v[4:5], v[12:13], v[106:107], v[4:5] op_sel:[0,0,1] op_sel_hi:[1,0,0]
	s_waitcnt vmcnt(1)
	v_mov_b32_e32 v4, v105
	v_mov_b32_e32 v7, v5
	s_waitcnt lgkmcnt(0)
	v_pk_mul_f32 v[4:5], v[14:15], v[4:5] op_sel_hi:[1,0]
	v_pk_add_f32 v[2:3], v[2:3], v[6:7]
	s_waitcnt vmcnt(0)
	v_pk_fma_f32 v[6:7], v[14:15], v[104:105], v[4:5] op_sel:[0,0,1] op_sel_hi:[1,1,0] neg_lo:[0,0,1] neg_hi:[0,0,1]
	v_pk_fma_f32 v[4:5], v[14:15], v[104:105], v[4:5] op_sel:[0,0,1] op_sel_hi:[1,0,0]
	v_mov_b32_e32 v7, v5
	v_pk_add_f32 v[2:3], v[2:3], v[6:7]
	v_pk_add_f32 v[2:3], v[94:95], v[2:3] neg_lo:[0,1] neg_hi:[0,1]
	buffer_store_dword v3, off, s[0:3], 0 offset:84
	buffer_store_dword v2, off, s[0:3], 0 offset:80
	s_and_saveexec_b64 s[4:5], vcc
	s_cbranch_execz .LBB63_379
; %bb.378:
	buffer_load_dword v2, off, s[0:3], 0 offset:72
	buffer_load_dword v3, off, s[0:3], 0 offset:76
	s_waitcnt vmcnt(0)
	ds_write_b64 v223, v[2:3]
	buffer_store_dword v1, off, s[0:3], 0 offset:72
	buffer_store_dword v1, off, s[0:3], 0 offset:76
.LBB63_379:
	s_or_b64 exec, exec, s[4:5]
	s_waitcnt lgkmcnt(0)
	; wave barrier
	s_waitcnt lgkmcnt(0)
	buffer_load_dword v49, off, s[0:3], 0 offset:84
	buffer_load_dword v48, off, s[0:3], 0 offset:92
	;; [unrolled: 1-line block ×34, first 2 shown]
	ds_read_b128 v[30:33], v1 offset:592
	ds_read_b128 v[26:29], v1 offset:608
	;; [unrolled: 1-line block ×6, first 2 shown]
	buffer_load_dword v151, off, s[0:3], 0 offset:208
	buffer_load_dword v152, off, s[0:3], 0 offset:212
	ds_read_b128 v[10:13], v1 offset:688
	ds_read_b128 v[2:5], v1 offset:704
	buffer_load_dword v153, off, s[0:3], 0 offset:216
	buffer_load_dword v154, off, s[0:3], 0 offset:220
	;; [unrolled: 1-line block ×24, first 2 shown]
	v_cmp_lt_u32_e32 vcc, 8, v0
	s_waitcnt vmcnt(59) lgkmcnt(7)
	v_mul_f32_e32 v34, v30, v49
	s_waitcnt vmcnt(58)
	v_mul_f32_e32 v35, v32, v48
	s_waitcnt vmcnt(57) lgkmcnt(6)
	v_mul_f32_e32 v37, v28, v47
	s_waitcnt vmcnt(56) lgkmcnt(5)
	v_mul_f32_e32 v38, v22, v46
	s_waitcnt vmcnt(55)
	v_mul_f32_e32 v39, v24, v44
	s_waitcnt vmcnt(54)
	v_mul_f32_e32 v36, v26, v50
	s_waitcnt vmcnt(53) lgkmcnt(4)
	v_mul_f32_e32 v40, v18, v45
	s_waitcnt vmcnt(52)
	v_mul_f32_e32 v41, v20, v110
	s_waitcnt vmcnt(51) lgkmcnt(3)
	;; [unrolled: 4-line block ×3, first 2 shown]
	v_mul_f32_e32 v53, v6, v129
	s_waitcnt vmcnt(48)
	v_mul_f32_e32 v54, v8, v130
	s_waitcnt vmcnt(47)
	v_fmac_f32_e32 v36, v27, v131
	s_waitcnt vmcnt(46)
	v_fmac_f32_e32 v35, v33, v132
	;; [unrolled: 2-line block ×3, first 2 shown]
	v_add_f32_e32 v34, 0, v34
	v_add_f32_e32 v34, v34, v35
	;; [unrolled: 1-line block ×3, first 2 shown]
	s_waitcnt vmcnt(41)
	v_fmac_f32_e32 v37, v29, v137
	v_fmac_f32_e32 v38, v23, v136
	v_add_f32_e32 v34, v34, v37
	v_fmac_f32_e32 v39, v25, v135
	v_add_f32_e32 v34, v34, v38
	v_fmac_f32_e32 v40, v19, v134
	v_add_f32_e32 v34, v34, v39
	s_waitcnt vmcnt(37)
	v_fmac_f32_e32 v41, v21, v141
	v_add_f32_e32 v34, v34, v40
	v_fmac_f32_e32 v51, v15, v140
	v_add_f32_e32 v34, v34, v41
	;; [unrolled: 2-line block ×4, first 2 shown]
	s_waitcnt vmcnt(33)
	v_fmac_f32_e32 v54, v9, v145
	v_add_f32_e32 v34, v34, v53
	s_waitcnt vmcnt(32) lgkmcnt(1)
	v_mul_f32_e32 v35, v10, v146
	v_add_f32_e32 v34, v34, v54
	v_fmac_f32_e32 v35, v11, v144
	v_add_f32_e32 v34, v34, v35
	s_waitcnt vmcnt(31)
	v_mul_f32_e32 v35, v12, v147
	v_fmac_f32_e32 v35, v13, v143
	v_add_f32_e32 v34, v34, v35
	s_waitcnt vmcnt(30) lgkmcnt(0)
	v_mul_f32_e32 v35, v2, v148
	v_fmac_f32_e32 v35, v3, v142
	v_add_f32_e32 v38, v34, v35
	ds_read_b128 v[34:37], v1 offset:720
	buffer_load_dword v177, off, s[0:3], 0 offset:312
	buffer_load_dword v178, off, s[0:3], 0 offset:316
	;; [unrolled: 1-line block ×4, first 2 shown]
	s_waitcnt vmcnt(32)
	v_mul_f32_e32 v39, v4, v150
	v_fmac_f32_e32 v39, v5, v149
	v_add_f32_e32 v51, v38, v39
	ds_read_b128 v[38:41], v1 offset:736
	buffer_load_dword v181, off, s[0:3], 0 offset:328
	buffer_load_dword v182, off, s[0:3], 0 offset:332
	;; [unrolled: 1-line block ×12, first 2 shown]
	s_waitcnt vmcnt(40) lgkmcnt(1)
	v_mul_f32_e32 v52, v34, v152
	v_fmac_f32_e32 v52, v35, v151
	buffer_load_dword v193, off, s[0:3], 0 offset:376
	buffer_load_dword v194, off, s[0:3], 0 offset:380
	v_add_f32_e32 v51, v51, v52
	s_waitcnt vmcnt(40)
	v_mul_f32_e32 v52, v36, v154
	v_fmac_f32_e32 v52, v37, v153
	buffer_load_dword v195, off, s[0:3], 0 offset:384
	buffer_load_dword v196, off, s[0:3], 0 offset:388
	v_add_f32_e32 v51, v51, v52
	s_waitcnt vmcnt(40) lgkmcnt(0)
	v_mul_f32_e32 v52, v38, v156
	v_fmac_f32_e32 v52, v39, v155
	v_add_f32_e32 v51, v51, v52
	ds_read_b128 v[52:55], v1 offset:752
	buffer_load_dword v197, off, s[0:3], 0 offset:392
	buffer_load_dword v198, off, s[0:3], 0 offset:396
	s_waitcnt vmcnt(40)
	v_mul_f32_e32 v56, v40, v158
	v_fmac_f32_e32 v56, v41, v157
	v_add_f32_e32 v51, v51, v56
	ds_read_b128 v[56:59], v1 offset:768
	buffer_load_dword v199, off, s[0:3], 0 offset:400
	buffer_load_dword v200, off, s[0:3], 0 offset:404
	;; [unrolled: 1-line block ×8, first 2 shown]
	s_waitcnt vmcnt(46) lgkmcnt(1)
	v_mul_f32_e32 v60, v52, v160
	v_fmac_f32_e32 v60, v53, v159
	v_add_f32_e32 v51, v51, v60
	s_waitcnt vmcnt(44)
	v_mul_f32_e32 v60, v54, v162
	v_fmac_f32_e32 v60, v55, v161
	v_add_f32_e32 v51, v51, v60
	s_waitcnt vmcnt(42) lgkmcnt(0)
	v_mul_f32_e32 v60, v56, v164
	v_fmac_f32_e32 v60, v57, v163
	v_add_f32_e32 v51, v51, v60
	buffer_load_dword v207, off, s[0:3], 0 offset:432
	buffer_load_dword v208, off, s[0:3], 0 offset:436
	;; [unrolled: 1-line block ×4, first 2 shown]
	ds_read_b128 v[60:63], v1 offset:784
	s_waitcnt vmcnt(44)
	v_mul_f32_e32 v64, v58, v166
	v_fmac_f32_e32 v64, v59, v165
	v_add_f32_e32 v51, v51, v64
	ds_read_b128 v[64:67], v1 offset:800
	s_waitcnt vmcnt(42) lgkmcnt(1)
	v_mul_f32_e32 v68, v60, v168
	v_fmac_f32_e32 v68, v61, v167
	v_add_f32_e32 v51, v51, v68
	s_waitcnt vmcnt(40)
	v_mul_f32_e32 v68, v62, v170
	v_fmac_f32_e32 v68, v63, v169
	v_add_f32_e32 v51, v51, v68
	s_waitcnt vmcnt(38) lgkmcnt(0)
	v_mul_f32_e32 v68, v64, v172
	v_fmac_f32_e32 v68, v65, v171
	v_add_f32_e32 v51, v51, v68
	ds_read_b128 v[68:71], v1 offset:816
	s_waitcnt vmcnt(36)
	v_mul_f32_e32 v72, v66, v174
	v_fmac_f32_e32 v72, v67, v173
	v_add_f32_e32 v51, v51, v72
	ds_read_b128 v[72:75], v1 offset:832
	s_waitcnt vmcnt(34) lgkmcnt(1)
	v_mul_f32_e32 v76, v68, v176
	v_fmac_f32_e32 v76, v69, v175
	v_add_f32_e32 v51, v51, v76
	v_mul_f32_e32 v31, v31, v49
	v_fma_f32 v30, v30, v133, -v31
	v_mul_f32_e32 v31, v33, v48
	v_add_f32_e32 v30, 0, v30
	v_fma_f32 v31, v32, v132, -v31
	v_mul_f32_e32 v27, v27, v50
	v_add_f32_e32 v30, v30, v31
	;; [unrolled: 3-line block ×4, first 2 shown]
	v_fma_f32 v22, v22, v136, -v23
	v_mul_f32_e32 v23, v25, v44
	s_waitcnt vmcnt(32)
	v_mul_f32_e32 v76, v70, v178
	v_fmac_f32_e32 v76, v71, v177
	v_add_f32_e32 v51, v51, v76
	s_waitcnt vmcnt(30) lgkmcnt(0)
	v_mul_f32_e32 v76, v72, v180
	v_fmac_f32_e32 v76, v73, v179
	v_add_f32_e32 v51, v51, v76
	ds_read_b128 v[76:79], v1 offset:848
	s_waitcnt vmcnt(28)
	v_mul_f32_e32 v80, v74, v182
	v_fmac_f32_e32 v80, v75, v181
	v_add_f32_e32 v51, v51, v80
	ds_read_b128 v[80:83], v1 offset:864
	s_waitcnt vmcnt(26) lgkmcnt(1)
	v_mul_f32_e32 v84, v76, v184
	v_fmac_f32_e32 v84, v77, v183
	v_add_f32_e32 v51, v51, v84
	s_waitcnt vmcnt(24)
	v_mul_f32_e32 v84, v78, v186
	v_fmac_f32_e32 v84, v79, v185
	v_add_f32_e32 v51, v51, v84
	s_waitcnt vmcnt(22) lgkmcnt(0)
	v_mul_f32_e32 v84, v80, v188
	v_fmac_f32_e32 v84, v81, v187
	v_add_f32_e32 v51, v51, v84
	ds_read_b128 v[84:87], v1 offset:880
	s_waitcnt vmcnt(20)
	v_mul_f32_e32 v88, v82, v190
	v_fmac_f32_e32 v88, v83, v189
	v_add_f32_e32 v51, v51, v88
	ds_read_b128 v[88:91], v1 offset:896
	s_waitcnt vmcnt(18) lgkmcnt(1)
	v_mul_f32_e32 v92, v84, v192
	v_fmac_f32_e32 v92, v85, v191
	v_add_f32_e32 v51, v51, v92
	s_waitcnt vmcnt(16)
	v_mul_f32_e32 v92, v86, v194
	v_fmac_f32_e32 v92, v87, v193
	v_add_f32_e32 v51, v51, v92
	s_waitcnt vmcnt(14) lgkmcnt(0)
	v_mul_f32_e32 v92, v88, v196
	v_fmac_f32_e32 v92, v89, v195
	v_add_f32_e32 v51, v51, v92
	ds_read_b128 v[92:95], v1 offset:912
	s_waitcnt vmcnt(12)
	v_mul_f32_e32 v96, v90, v198
	v_fmac_f32_e32 v96, v91, v197
	v_add_f32_e32 v51, v51, v96
	ds_read_b128 v[96:99], v1 offset:928
	buffer_load_dword v109, off, s[0:3], 0 offset:452
	buffer_load_dword v108, off, s[0:3], 0 offset:448
	s_waitcnt vmcnt(12) lgkmcnt(1)
	v_mul_f32_e32 v100, v92, v200
	v_fmac_f32_e32 v100, v93, v199
	v_add_f32_e32 v51, v51, v100
	s_waitcnt vmcnt(10)
	v_mul_f32_e32 v100, v94, v202
	v_fmac_f32_e32 v100, v95, v201
	v_add_f32_e32 v51, v51, v100
	s_waitcnt vmcnt(8) lgkmcnt(0)
	v_mul_f32_e32 v100, v96, v204
	v_fmac_f32_e32 v100, v97, v203
	s_waitcnt vmcnt(6)
	v_mul_f32_e32 v104, v98, v206
	v_add_f32_e32 v51, v51, v100
	v_fmac_f32_e32 v104, v99, v205
	ds_read_b128 v[100:103], v1 offset:944
	v_add_f32_e32 v51, v51, v104
	ds_read_b128 v[104:107], v1 offset:960
	buffer_load_dword v115, off, s[0:3], 0 offset:484
	buffer_load_dword v114, off, s[0:3], 0 offset:480
	buffer_load_dword v117, off, s[0:3], 0 offset:476
	buffer_load_dword v116, off, s[0:3], 0 offset:472
	buffer_load_dword v119, off, s[0:3], 0 offset:468
	buffer_load_dword v118, off, s[0:3], 0 offset:464
	buffer_load_dword v121, off, s[0:3], 0 offset:460
	buffer_load_dword v120, off, s[0:3], 0 offset:456
	buffer_load_dword v123, off, s[0:3], 0 offset:508
	buffer_load_dword v122, off, s[0:3], 0 offset:504
	buffer_load_dword v125, off, s[0:3], 0 offset:500
	buffer_load_dword v124, off, s[0:3], 0 offset:496
	buffer_load_dword v127, off, s[0:3], 0 offset:492
	buffer_load_dword v126, off, s[0:3], 0 offset:488
	v_add_f32_e32 v22, v26, v22
	v_fma_f32 v23, v24, v135, -v23
	v_mul_f32_e32 v19, v19, v45
	v_add_f32_e32 v22, v22, v23
	v_fma_f32 v18, v18, v134, -v19
	v_mul_f32_e32 v19, v21, v110
	;; [unrolled: 3-line block ×6, first 2 shown]
	v_add_f32_e32 v6, v14, v6
	v_fma_f32 v7, v8, v145, -v7
	v_add_f32_e32 v6, v6, v7
	v_mul_f32_e32 v7, v11, v146
	v_fma_f32 v7, v10, v144, -v7
	v_add_f32_e32 v6, v6, v7
	v_mul_f32_e32 v7, v13, v147
	v_fma_f32 v7, v12, v143, -v7
	v_mul_f32_e32 v3, v3, v148
	v_add_f32_e32 v6, v6, v7
	v_fma_f32 v2, v2, v142, -v3
	v_mul_f32_e32 v3, v5, v150
	v_add_f32_e32 v2, v6, v2
	v_fma_f32 v3, v4, v149, -v3
	v_add_f32_e32 v2, v2, v3
	v_mul_f32_e32 v3, v35, v152
	v_fma_f32 v3, v34, v151, -v3
	v_add_f32_e32 v2, v2, v3
	v_mul_f32_e32 v3, v37, v154
	;; [unrolled: 3-line block ×28, first 2 shown]
	v_fma_f32 v3, v98, v205, -v3
	s_waitcnt vmcnt(15)
	v_mov_b32_e32 v16, v109
	s_waitcnt lgkmcnt(1)
	v_mul_f32_e32 v111, v100, v208
	v_add_f32_e32 v50, v2, v3
	v_mul_f32_e32 v2, v101, v208
	s_waitcnt lgkmcnt(0)
	v_pk_mul_f32 v[16:17], v[104:105], v[16:17] op_sel_hi:[1,0]
	v_fmac_f32_e32 v111, v101, v207
	v_mul_f32_e32 v113, v102, v238
	v_fma_f32 v110, v100, v207, -v2
	v_mul_f32_e32 v2, v103, v238
	s_waitcnt vmcnt(14)
	v_pk_fma_f32 v[18:19], v[104:105], v[108:109], v[16:17] op_sel:[0,0,1] op_sel_hi:[1,1,0] neg_lo:[0,0,1] neg_hi:[0,0,1]
	v_pk_fma_f32 v[16:17], v[104:105], v[108:109], v[16:17] op_sel:[0,0,1] op_sel_hi:[1,0,0]
	v_fmac_f32_e32 v113, v103, v209
	v_fma_f32 v112, v102, v209, -v2
	v_pk_add_f32 v[14:15], v[50:51], v[110:111]
	s_waitcnt vmcnt(7)
	v_mov_b32_e32 v16, v121
	ds_read_b128 v[2:5], v1 offset:976
	ds_read_b128 v[6:9], v1 offset:992
	;; [unrolled: 1-line block ×3, first 2 shown]
	v_pk_add_f32 v[14:15], v[14:15], v[112:113]
	v_mov_b32_e32 v19, v17
	v_pk_mul_f32 v[16:17], v[106:107], v[16:17] op_sel_hi:[1,0]
	v_pk_add_f32 v[14:15], v[14:15], v[18:19]
	s_waitcnt vmcnt(6)
	v_pk_fma_f32 v[18:19], v[106:107], v[120:121], v[16:17] op_sel:[0,0,1] op_sel_hi:[1,1,0] neg_lo:[0,0,1] neg_hi:[0,0,1]
	v_pk_fma_f32 v[16:17], v[106:107], v[120:121], v[16:17] op_sel:[0,0,1] op_sel_hi:[1,0,0]
	v_mov_b32_e32 v16, v119
	v_mov_b32_e32 v19, v17
	s_waitcnt lgkmcnt(2)
	v_pk_mul_f32 v[16:17], v[2:3], v[16:17] op_sel_hi:[1,0]
	v_pk_add_f32 v[14:15], v[14:15], v[18:19]
	v_pk_fma_f32 v[18:19], v[2:3], v[118:119], v[16:17] op_sel:[0,0,1] op_sel_hi:[1,1,0] neg_lo:[0,0,1] neg_hi:[0,0,1]
	v_pk_fma_f32 v[2:3], v[2:3], v[118:119], v[16:17] op_sel:[0,0,1] op_sel_hi:[1,0,0]
	v_mov_b32_e32 v19, v3
	v_pk_add_f32 v[2:3], v[14:15], v[18:19]
	v_mov_b32_e32 v14, v117
	v_pk_mul_f32 v[14:15], v[4:5], v[14:15] op_sel_hi:[1,0]
	v_pk_fma_f32 v[16:17], v[4:5], v[116:117], v[14:15] op_sel:[0,0,1] op_sel_hi:[1,1,0] neg_lo:[0,0,1] neg_hi:[0,0,1]
	v_pk_fma_f32 v[4:5], v[4:5], v[116:117], v[14:15] op_sel:[0,0,1] op_sel_hi:[1,0,0]
	v_mov_b32_e32 v4, v115
	v_mov_b32_e32 v17, v5
	s_waitcnt lgkmcnt(1)
	v_pk_mul_f32 v[4:5], v[6:7], v[4:5] op_sel_hi:[1,0]
	v_pk_fma_f32 v[14:15], v[6:7], v[114:115], v[4:5] op_sel:[0,0,1] op_sel_hi:[1,1,0] neg_lo:[0,0,1] neg_hi:[0,0,1]
	v_pk_fma_f32 v[4:5], v[6:7], v[114:115], v[4:5] op_sel:[0,0,1] op_sel_hi:[1,0,0]
	s_waitcnt vmcnt(1)
	v_mov_b32_e32 v4, v127
	v_mov_b32_e32 v15, v5
	v_pk_mul_f32 v[4:5], v[8:9], v[4:5] op_sel_hi:[1,0]
	s_waitcnt vmcnt(0)
	v_pk_fma_f32 v[6:7], v[8:9], v[126:127], v[4:5] op_sel:[0,0,1] op_sel_hi:[1,1,0] neg_lo:[0,0,1] neg_hi:[0,0,1]
	v_pk_fma_f32 v[4:5], v[8:9], v[126:127], v[4:5] op_sel:[0,0,1] op_sel_hi:[1,0,0]
	v_pk_add_f32 v[2:3], v[2:3], v[16:17]
	v_mov_b32_e32 v4, v125
	v_pk_add_f32 v[2:3], v[2:3], v[14:15]
	v_mov_b32_e32 v7, v5
	s_waitcnt lgkmcnt(0)
	v_pk_mul_f32 v[4:5], v[10:11], v[4:5] op_sel_hi:[1,0]
	v_pk_add_f32 v[2:3], v[2:3], v[6:7]
	v_pk_fma_f32 v[6:7], v[10:11], v[124:125], v[4:5] op_sel:[0,0,1] op_sel_hi:[1,1,0] neg_lo:[0,0,1] neg_hi:[0,0,1]
	v_pk_fma_f32 v[4:5], v[10:11], v[124:125], v[4:5] op_sel:[0,0,1] op_sel_hi:[1,0,0]
	v_mov_b32_e32 v4, v123
	v_mov_b32_e32 v7, v5
	v_pk_mul_f32 v[4:5], v[12:13], v[4:5] op_sel_hi:[1,0]
	v_pk_add_f32 v[2:3], v[2:3], v[6:7]
	v_pk_fma_f32 v[6:7], v[12:13], v[122:123], v[4:5] op_sel:[0,0,1] op_sel_hi:[1,1,0] neg_lo:[0,0,1] neg_hi:[0,0,1]
	v_pk_fma_f32 v[4:5], v[12:13], v[122:123], v[4:5] op_sel:[0,0,1] op_sel_hi:[1,0,0]
	v_mov_b32_e32 v7, v5
	v_pk_add_f32 v[2:3], v[2:3], v[6:7]
	v_pk_add_f32 v[2:3], v[42:43], v[2:3] neg_lo:[0,1] neg_hi:[0,1]
	buffer_store_dword v3, off, s[0:3], 0 offset:76
	buffer_store_dword v2, off, s[0:3], 0 offset:72
	s_and_saveexec_b64 s[4:5], vcc
	s_cbranch_execz .LBB63_381
; %bb.380:
	buffer_load_dword v2, off, s[0:3], 0 offset:64
	buffer_load_dword v3, off, s[0:3], 0 offset:68
	v_mov_b32_e32 v1, 0
	buffer_store_dword v1, off, s[0:3], 0 offset:64
	buffer_store_dword v1, off, s[0:3], 0 offset:68
	s_waitcnt vmcnt(2)
	ds_write_b64 v223, v[2:3]
.LBB63_381:
	s_or_b64 exec, exec, s[4:5]
	s_waitcnt lgkmcnt(0)
	; wave barrier
	s_waitcnt lgkmcnt(0)
	buffer_load_dword v57, off, s[0:3], 0 offset:76
	buffer_load_dword v56, off, s[0:3], 0 offset:84
	;; [unrolled: 1-line block ×48, first 2 shown]
	v_mov_b32_e32 v1, 0
	ds_read2_b64 v[22:25], v1 offset0:73 offset1:74
	ds_read2_b64 v[18:21], v1 offset0:75 offset1:76
	;; [unrolled: 1-line block ×6, first 2 shown]
	v_cmp_lt_u32_e32 vcc, 7, v0
	s_waitcnt vmcnt(47) lgkmcnt(5)
	v_mul_f32_e32 v26, v22, v57
	s_waitcnt vmcnt(46)
	v_mul_f32_e32 v27, v24, v56
	s_waitcnt vmcnt(45) lgkmcnt(4)
	v_mul_f32_e32 v29, v20, v55
	s_waitcnt vmcnt(44) lgkmcnt(3)
	v_mul_f32_e32 v30, v14, v54
	s_waitcnt vmcnt(43)
	v_mul_f32_e32 v31, v16, v52
	s_waitcnt vmcnt(42)
	v_mul_f32_e32 v28, v18, v58
	s_waitcnt vmcnt(41) lgkmcnt(2)
	v_mul_f32_e32 v32, v10, v53
	s_waitcnt vmcnt(40)
	v_mul_f32_e32 v33, v12, v59
	s_waitcnt vmcnt(39) lgkmcnt(1)
	;; [unrolled: 4-line block ×3, first 2 shown]
	v_mul_f32_e32 v36, v2, v62
	s_waitcnt vmcnt(36)
	v_mul_f32_e32 v37, v4, v63
	s_waitcnt vmcnt(35)
	v_fmac_f32_e32 v28, v19, v69
	s_waitcnt vmcnt(34)
	v_fmac_f32_e32 v27, v25, v72
	;; [unrolled: 2-line block ×3, first 2 shown]
	v_add_f32_e32 v26, 0, v26
	v_add_f32_e32 v26, v26, v27
	;; [unrolled: 1-line block ×3, first 2 shown]
	s_waitcnt vmcnt(29)
	v_fmac_f32_e32 v29, v21, v74
	v_fmac_f32_e32 v30, v15, v71
	v_add_f32_e32 v26, v26, v29
	v_fmac_f32_e32 v31, v17, v68
	v_add_f32_e32 v26, v26, v30
	;; [unrolled: 2-line block ×3, first 2 shown]
	s_waitcnt vmcnt(25)
	v_fmac_f32_e32 v33, v13, v70
	v_add_f32_e32 v26, v26, v32
	v_fmac_f32_e32 v34, v7, v67
	v_add_f32_e32 v26, v26, v33
	;; [unrolled: 2-line block ×4, first 2 shown]
	s_waitcnt vmcnt(21)
	v_fmac_f32_e32 v37, v5, v81
	v_add_f32_e32 v30, v30, v36
	ds_read2_b64 v[26:29], v1 offset0:85 offset1:86
	v_add_f32_e32 v34, v30, v37
	ds_read2_b64 v[30:33], v1 offset0:87 offset1:88
	buffer_load_dword v165, off, s[0:3], 0 offset:256
	buffer_load_dword v166, off, s[0:3], 0 offset:260
	buffer_load_dword v167, off, s[0:3], 0 offset:264
	buffer_load_dword v168, off, s[0:3], 0 offset:268
	buffer_load_dword v169, off, s[0:3], 0 offset:272
	buffer_load_dword v170, off, s[0:3], 0 offset:276
	s_waitcnt vmcnt(26) lgkmcnt(1)
	v_mul_f32_e32 v35, v26, v80
	v_fmac_f32_e32 v35, v27, v78
	buffer_load_dword v171, off, s[0:3], 0 offset:280
	buffer_load_dword v172, off, s[0:3], 0 offset:284
	v_add_f32_e32 v34, v34, v35
	s_waitcnt vmcnt(27)
	v_mul_f32_e32 v35, v28, v79
	v_fmac_f32_e32 v35, v29, v76
	v_add_f32_e32 v34, v34, v35
	s_waitcnt vmcnt(26) lgkmcnt(0)
	v_mul_f32_e32 v35, v30, v77
	v_fmac_f32_e32 v35, v31, v73
	buffer_load_dword v173, off, s[0:3], 0 offset:288
	buffer_load_dword v174, off, s[0:3], 0 offset:292
	v_add_f32_e32 v34, v34, v35
	s_waitcnt vmcnt(21)
	v_mul_f32_e32 v35, v32, v138
	s_waitcnt vmcnt(20)
	v_fmac_f32_e32 v35, v33, v140
	v_add_f32_e32 v42, v34, v35
	ds_read2_b64 v[34:37], v1 offset0:89 offset1:90
	buffer_load_dword v175, off, s[0:3], 0 offset:296
	buffer_load_dword v176, off, s[0:3], 0 offset:300
	ds_read2_b64 v[38:41], v1 offset0:91 offset1:92
	buffer_load_dword v177, off, s[0:3], 0 offset:304
	buffer_load_dword v178, off, s[0:3], 0 offset:308
	;; [unrolled: 1-line block ×12, first 2 shown]
	s_waitcnt lgkmcnt(1)
	v_mul_f32_e32 v43, v34, v83
	v_fmac_f32_e32 v43, v35, v82
	buffer_load_dword v189, off, s[0:3], 0 offset:352
	buffer_load_dword v190, off, s[0:3], 0 offset:356
	v_add_f32_e32 v42, v42, v43
	v_mul_f32_e32 v43, v36, v85
	v_fmac_f32_e32 v43, v37, v84
	v_add_f32_e32 v42, v42, v43
	s_waitcnt lgkmcnt(0)
	v_mul_f32_e32 v43, v38, v87
	buffer_load_dword v191, off, s[0:3], 0 offset:360
	buffer_load_dword v192, off, s[0:3], 0 offset:364
	v_fmac_f32_e32 v43, v39, v86
	v_add_f32_e32 v46, v42, v43
	ds_read2_b64 v[42:45], v1 offset0:93 offset1:94
	buffer_load_dword v193, off, s[0:3], 0 offset:368
	buffer_load_dword v194, off, s[0:3], 0 offset:372
	;; [unrolled: 1-line block ×4, first 2 shown]
	s_waitcnt vmcnt(38)
	v_mul_f32_e32 v47, v40, v158
	v_fmac_f32_e32 v47, v41, v88
	v_add_f32_e32 v89, v46, v47
	ds_read2_b64 v[46:49], v1 offset0:95 offset1:96
	buffer_load_dword v197, off, s[0:3], 0 offset:384
	buffer_load_dword v198, off, s[0:3], 0 offset:388
	;; [unrolled: 1-line block ×10, first 2 shown]
	s_waitcnt vmcnt(46) lgkmcnt(1)
	v_mul_f32_e32 v90, v42, v160
	v_fmac_f32_e32 v90, v43, v159
	v_add_f32_e32 v89, v89, v90
	s_waitcnt vmcnt(44)
	v_mul_f32_e32 v90, v44, v162
	v_fmac_f32_e32 v90, v45, v161
	v_add_f32_e32 v89, v89, v90
	s_waitcnt vmcnt(42) lgkmcnt(0)
	v_mul_f32_e32 v90, v46, v164
	v_fmac_f32_e32 v90, v47, v163
	v_add_f32_e32 v89, v89, v90
	buffer_load_dword v207, off, s[0:3], 0 offset:424
	buffer_load_dword v208, off, s[0:3], 0 offset:428
	;; [unrolled: 1-line block ×6, first 2 shown]
	ds_read2_b64 v[90:93], v1 offset0:97 offset1:98
	v_mul_f32_e32 v23, v23, v57
	v_fma_f32 v22, v22, v75, -v23
	v_mul_f32_e32 v23, v25, v56
	v_add_f32_e32 v22, 0, v22
	v_fma_f32 v23, v24, v72, -v23
	v_mul_f32_e32 v19, v19, v58
	v_add_f32_e32 v22, v22, v23
	;; [unrolled: 3-line block ×6, first 2 shown]
	v_fma_f32 v10, v10, v66, -v11
	s_waitcnt vmcnt(46)
	v_mul_f32_e32 v94, v48, v166
	v_fmac_f32_e32 v94, v49, v165
	v_add_f32_e32 v89, v89, v94
	ds_read2_b64 v[94:97], v1 offset0:99 offset1:100
	s_waitcnt vmcnt(44) lgkmcnt(1)
	v_mul_f32_e32 v98, v90, v168
	v_fmac_f32_e32 v98, v91, v167
	v_add_f32_e32 v89, v89, v98
	s_waitcnt vmcnt(42)
	v_mul_f32_e32 v98, v92, v170
	v_fmac_f32_e32 v98, v93, v169
	v_add_f32_e32 v89, v89, v98
	s_waitcnt vmcnt(40) lgkmcnt(0)
	v_mul_f32_e32 v98, v94, v172
	v_fmac_f32_e32 v98, v95, v171
	v_add_f32_e32 v89, v89, v98
	ds_read2_b64 v[98:101], v1 offset0:101 offset1:102
	s_waitcnt vmcnt(38)
	v_mul_f32_e32 v102, v96, v174
	v_fmac_f32_e32 v102, v97, v173
	v_add_f32_e32 v89, v89, v102
	ds_read2_b64 v[102:105], v1 offset0:103 offset1:104
	s_waitcnt vmcnt(36) lgkmcnt(1)
	v_mul_f32_e32 v106, v98, v176
	v_fmac_f32_e32 v106, v99, v175
	v_add_f32_e32 v89, v89, v106
	s_waitcnt vmcnt(34)
	v_mul_f32_e32 v106, v100, v178
	v_fmac_f32_e32 v106, v101, v177
	v_add_f32_e32 v89, v89, v106
	s_waitcnt vmcnt(32) lgkmcnt(0)
	v_mul_f32_e32 v106, v102, v180
	v_fmac_f32_e32 v106, v103, v179
	v_add_f32_e32 v89, v89, v106
	ds_read2_b64 v[106:109], v1 offset0:105 offset1:106
	;; [unrolled: 18-line block ×4, first 2 shown]
	s_waitcnt vmcnt(14)
	v_mul_f32_e32 v126, v120, v198
	v_fmac_f32_e32 v126, v121, v197
	v_add_f32_e32 v89, v89, v126
	ds_read2_b64 v[126:129], v1 offset0:115 offset1:116
	s_waitcnt vmcnt(12) lgkmcnt(1)
	v_mul_f32_e32 v130, v122, v200
	v_fmac_f32_e32 v130, v123, v199
	v_add_f32_e32 v89, v89, v130
	s_waitcnt vmcnt(10)
	v_mul_f32_e32 v130, v124, v202
	v_fmac_f32_e32 v130, v125, v201
	v_add_f32_e32 v89, v89, v130
	s_waitcnt vmcnt(8) lgkmcnt(0)
	v_mul_f32_e32 v130, v126, v204
	v_fmac_f32_e32 v130, v127, v203
	s_waitcnt vmcnt(6)
	v_mul_f32_e32 v134, v128, v206
	v_add_f32_e32 v89, v89, v130
	v_fmac_f32_e32 v134, v129, v205
	v_mul_f32_e32 v11, v13, v59
	ds_read2_b64 v[130:133], v1 offset0:117 offset1:118
	v_add_f32_e32 v89, v89, v134
	ds_read2_b64 v[134:137], v1 offset0:119 offset1:120
	buffer_load_dword v143, off, s[0:3], 0 offset:476
	buffer_load_dword v142, off, s[0:3], 0 offset:472
	;; [unrolled: 1-line block ×16, first 2 shown]
	v_add_f32_e32 v10, v14, v10
	v_fma_f32 v11, v12, v70, -v11
	v_mul_f32_e32 v7, v7, v60
	v_add_f32_e32 v10, v10, v11
	v_fma_f32 v6, v6, v67, -v7
	v_mul_f32_e32 v7, v9, v61
	;; [unrolled: 3-line block ×4, first 2 shown]
	v_add_f32_e32 v2, v6, v2
	v_fma_f32 v3, v4, v81, -v3
	v_add_f32_e32 v2, v2, v3
	v_mul_f32_e32 v3, v27, v80
	v_fma_f32 v3, v26, v78, -v3
	v_add_f32_e32 v2, v2, v3
	v_mul_f32_e32 v3, v29, v79
	;; [unrolled: 3-line block ×32, first 2 shown]
	v_fma_f32 v3, v128, v205, -v3
	v_add_f32_e32 v2, v2, v3
	s_waitcnt vmcnt(20) lgkmcnt(1)
	v_mul_f32_e32 v3, v131, v208
	v_mul_f32_e32 v139, v130, v208
	v_fma_f32 v3, v130, v207, -v3
	v_fmac_f32_e32 v139, v131, v207
	v_add_f32_e32 v88, v2, v3
	s_waitcnt vmcnt(18)
	v_mul_f32_e32 v2, v133, v238
	s_waitcnt vmcnt(9)
	v_mov_b32_e32 v18, v149
	v_add_f32_e32 v89, v89, v139
	v_mul_f32_e32 v139, v132, v238
	v_fma_f32 v138, v132, v209, -v2
	s_waitcnt lgkmcnt(0)
	v_mul_f32_e32 v2, v135, v240
	v_pk_mul_f32 v[18:19], v[136:137], v[18:19] op_sel_hi:[1,0]
	v_fmac_f32_e32 v139, v133, v209
	v_mul_f32_e32 v141, v134, v240
	v_fma_f32 v140, v134, v239, -v2
	ds_read2_b64 v[2:5], v1 offset0:121 offset1:122
	ds_read2_b64 v[6:9], v1 offset0:123 offset1:124
	ds_read2_b64 v[10:13], v1 offset0:125 offset1:126
	ds_read_b64 v[14:15], v1 offset:1016
	s_waitcnt vmcnt(8)
	v_pk_fma_f32 v[20:21], v[136:137], v[148:149], v[18:19] op_sel:[0,0,1] op_sel_hi:[1,1,0] neg_lo:[0,0,1] neg_hi:[0,0,1]
	v_pk_fma_f32 v[18:19], v[136:137], v[148:149], v[18:19] op_sel:[0,0,1] op_sel_hi:[1,0,0]
	v_fmac_f32_e32 v141, v135, v239
	v_pk_add_f32 v[16:17], v[88:89], v[138:139]
	v_mov_b32_e32 v18, v147
	v_pk_add_f32 v[16:17], v[16:17], v[140:141]
	v_mov_b32_e32 v21, v19
	s_waitcnt lgkmcnt(3)
	v_pk_mul_f32 v[18:19], v[2:3], v[18:19] op_sel_hi:[1,0]
	v_pk_add_f32 v[16:17], v[16:17], v[20:21]
	v_pk_fma_f32 v[20:21], v[2:3], v[146:147], v[18:19] op_sel:[0,0,1] op_sel_hi:[1,1,0] neg_lo:[0,0,1] neg_hi:[0,0,1]
	v_pk_fma_f32 v[2:3], v[2:3], v[146:147], v[18:19] op_sel:[0,0,1] op_sel_hi:[1,0,0]
	v_mov_b32_e32 v21, v3
	v_pk_add_f32 v[2:3], v[16:17], v[20:21]
	v_mov_b32_e32 v16, v145
	v_pk_mul_f32 v[16:17], v[4:5], v[16:17] op_sel_hi:[1,0]
	v_pk_fma_f32 v[18:19], v[4:5], v[144:145], v[16:17] op_sel:[0,0,1] op_sel_hi:[1,1,0] neg_lo:[0,0,1] neg_hi:[0,0,1]
	v_pk_fma_f32 v[4:5], v[4:5], v[144:145], v[16:17] op_sel:[0,0,1] op_sel_hi:[1,0,0]
	v_mov_b32_e32 v4, v143
	v_mov_b32_e32 v19, v5
	s_waitcnt lgkmcnt(2)
	v_pk_mul_f32 v[4:5], v[6:7], v[4:5] op_sel_hi:[1,0]
	v_pk_fma_f32 v[16:17], v[6:7], v[142:143], v[4:5] op_sel:[0,0,1] op_sel_hi:[1,1,0] neg_lo:[0,0,1] neg_hi:[0,0,1]
	v_pk_fma_f32 v[4:5], v[6:7], v[142:143], v[4:5] op_sel:[0,0,1] op_sel_hi:[1,0,0]
	s_waitcnt vmcnt(1)
	v_mov_b32_e32 v4, v157
	v_mov_b32_e32 v17, v5
	v_pk_mul_f32 v[4:5], v[8:9], v[4:5] op_sel_hi:[1,0]
	s_waitcnt vmcnt(0)
	v_pk_fma_f32 v[6:7], v[8:9], v[156:157], v[4:5] op_sel:[0,0,1] op_sel_hi:[1,1,0] neg_lo:[0,0,1] neg_hi:[0,0,1]
	v_pk_fma_f32 v[4:5], v[8:9], v[156:157], v[4:5] op_sel:[0,0,1] op_sel_hi:[1,0,0]
	v_pk_add_f32 v[2:3], v[2:3], v[18:19]
	v_mov_b32_e32 v4, v155
	v_pk_add_f32 v[2:3], v[2:3], v[16:17]
	v_mov_b32_e32 v7, v5
	s_waitcnt lgkmcnt(1)
	v_pk_mul_f32 v[4:5], v[10:11], v[4:5] op_sel_hi:[1,0]
	v_pk_add_f32 v[2:3], v[2:3], v[6:7]
	v_pk_fma_f32 v[6:7], v[10:11], v[154:155], v[4:5] op_sel:[0,0,1] op_sel_hi:[1,1,0] neg_lo:[0,0,1] neg_hi:[0,0,1]
	v_pk_fma_f32 v[4:5], v[10:11], v[154:155], v[4:5] op_sel:[0,0,1] op_sel_hi:[1,0,0]
	v_mov_b32_e32 v4, v153
	v_mov_b32_e32 v7, v5
	v_pk_mul_f32 v[4:5], v[12:13], v[4:5] op_sel_hi:[1,0]
	v_pk_add_f32 v[2:3], v[2:3], v[6:7]
	v_pk_fma_f32 v[6:7], v[12:13], v[152:153], v[4:5] op_sel:[0,0,1] op_sel_hi:[1,1,0] neg_lo:[0,0,1] neg_hi:[0,0,1]
	v_pk_fma_f32 v[4:5], v[12:13], v[152:153], v[4:5] op_sel:[0,0,1] op_sel_hi:[1,0,0]
	v_mov_b32_e32 v4, v151
	v_mov_b32_e32 v7, v5
	s_waitcnt lgkmcnt(0)
	v_pk_mul_f32 v[4:5], v[14:15], v[4:5] op_sel_hi:[1,0]
	v_pk_add_f32 v[2:3], v[2:3], v[6:7]
	v_pk_fma_f32 v[6:7], v[14:15], v[150:151], v[4:5] op_sel:[0,0,1] op_sel_hi:[1,1,0] neg_lo:[0,0,1] neg_hi:[0,0,1]
	v_pk_fma_f32 v[4:5], v[14:15], v[150:151], v[4:5] op_sel:[0,0,1] op_sel_hi:[1,0,0]
	v_mov_b32_e32 v7, v5
	v_pk_add_f32 v[2:3], v[2:3], v[6:7]
	v_pk_add_f32 v[2:3], v[50:51], v[2:3] neg_lo:[0,1] neg_hi:[0,1]
	buffer_store_dword v3, off, s[0:3], 0 offset:68
	buffer_store_dword v2, off, s[0:3], 0 offset:64
	s_and_saveexec_b64 s[4:5], vcc
	s_cbranch_execz .LBB63_383
; %bb.382:
	buffer_load_dword v2, off, s[0:3], 0 offset:56
	buffer_load_dword v3, off, s[0:3], 0 offset:60
	s_waitcnt vmcnt(0)
	ds_write_b64 v223, v[2:3]
	buffer_store_dword v1, off, s[0:3], 0 offset:56
	buffer_store_dword v1, off, s[0:3], 0 offset:60
.LBB63_383:
	s_or_b64 exec, exec, s[4:5]
	s_waitcnt lgkmcnt(0)
	; wave barrier
	s_waitcnt lgkmcnt(0)
	buffer_load_dword v57, off, s[0:3], 0 offset:68
	buffer_load_dword v56, off, s[0:3], 0 offset:76
	;; [unrolled: 1-line block ×40, first 2 shown]
	ds_read_b128 v[26:29], v1 offset:576
	ds_read_b128 v[22:25], v1 offset:592
	;; [unrolled: 1-line block ×7, first 2 shown]
	buffer_load_dword v90, off, s[0:3], 0 offset:216
	buffer_load_dword v91, off, s[0:3], 0 offset:220
	;; [unrolled: 1-line block ×10, first 2 shown]
	v_cmp_lt_u32_e32 vcc, 6, v0
	s_waitcnt vmcnt(49) lgkmcnt(6)
	v_mul_f32_e32 v30, v26, v57
	s_waitcnt vmcnt(48)
	v_mul_f32_e32 v31, v28, v56
	s_waitcnt vmcnt(47) lgkmcnt(5)
	v_mul_f32_e32 v33, v24, v55
	s_waitcnt vmcnt(46) lgkmcnt(4)
	v_mul_f32_e32 v34, v18, v54
	s_waitcnt vmcnt(45)
	v_mul_f32_e32 v35, v20, v52
	s_waitcnt vmcnt(44)
	v_mul_f32_e32 v32, v22, v58
	s_waitcnt vmcnt(43) lgkmcnt(3)
	v_mul_f32_e32 v36, v14, v53
	s_waitcnt vmcnt(42)
	v_mul_f32_e32 v37, v16, v59
	s_waitcnt vmcnt(41) lgkmcnt(2)
	v_mul_f32_e32 v38, v10, v60
	s_waitcnt vmcnt(40)
	v_mul_f32_e32 v39, v12, v61
	s_waitcnt vmcnt(39) lgkmcnt(1)
	v_mul_f32_e32 v40, v6, v62
	s_waitcnt vmcnt(38)
	v_mul_f32_e32 v41, v8, v63
	s_waitcnt vmcnt(37)
	v_fmac_f32_e32 v32, v23, v69
	s_waitcnt vmcnt(36)
	v_fmac_f32_e32 v31, v29, v72
	;; [unrolled: 2-line block ×3, first 2 shown]
	v_add_f32_e32 v30, 0, v30
	v_add_f32_e32 v30, v30, v31
	;; [unrolled: 1-line block ×3, first 2 shown]
	s_waitcnt vmcnt(31)
	v_fmac_f32_e32 v33, v25, v74
	v_fmac_f32_e32 v34, v19, v71
	v_add_f32_e32 v30, v30, v33
	v_fmac_f32_e32 v35, v21, v68
	v_add_f32_e32 v30, v30, v34
	;; [unrolled: 2-line block ×3, first 2 shown]
	s_waitcnt vmcnt(27)
	v_fmac_f32_e32 v37, v17, v70
	v_add_f32_e32 v30, v30, v36
	v_fmac_f32_e32 v38, v11, v67
	v_add_f32_e32 v30, v30, v37
	;; [unrolled: 2-line block ×4, first 2 shown]
	s_waitcnt vmcnt(23)
	v_fmac_f32_e32 v41, v9, v81
	v_add_f32_e32 v30, v30, v40
	v_add_f32_e32 v34, v30, v41
	ds_read_b128 v[30:33], v1 offset:688
	buffer_load_dword v167, off, s[0:3], 0 offset:256
	buffer_load_dword v168, off, s[0:3], 0 offset:260
	s_waitcnt vmcnt(24) lgkmcnt(1)
	v_mul_f32_e32 v35, v2, v80
	buffer_load_dword v169, off, s[0:3], 0 offset:264
	buffer_load_dword v170, off, s[0:3], 0 offset:268
	v_fmac_f32_e32 v35, v3, v78
	v_add_f32_e32 v34, v34, v35
	s_waitcnt vmcnt(25)
	v_mul_f32_e32 v35, v4, v79
	buffer_load_dword v171, off, s[0:3], 0 offset:272
	buffer_load_dword v172, off, s[0:3], 0 offset:276
	v_fmac_f32_e32 v35, v5, v76
	v_add_f32_e32 v34, v34, v35
	s_waitcnt vmcnt(26) lgkmcnt(0)
	v_mul_f32_e32 v35, v30, v77
	v_fmac_f32_e32 v35, v31, v73
	v_add_f32_e32 v38, v34, v35
	ds_read_b128 v[34:37], v1 offset:704
	buffer_load_dword v173, off, s[0:3], 0 offset:280
	buffer_load_dword v174, off, s[0:3], 0 offset:284
	s_waitcnt vmcnt(21)
	v_mul_f32_e32 v39, v32, v89
	s_waitcnt vmcnt(20)
	v_fmac_f32_e32 v39, v33, v88
	v_add_f32_e32 v42, v38, v39
	ds_read_b128 v[38:41], v1 offset:720
	buffer_load_dword v175, off, s[0:3], 0 offset:288
	buffer_load_dword v176, off, s[0:3], 0 offset:292
	;; [unrolled: 1-line block ×12, first 2 shown]
	s_waitcnt lgkmcnt(1)
	v_mul_f32_e32 v43, v34, v83
	v_fmac_f32_e32 v43, v35, v82
	buffer_load_dword v187, off, s[0:3], 0 offset:336
	buffer_load_dword v188, off, s[0:3], 0 offset:340
	v_add_f32_e32 v42, v42, v43
	v_mul_f32_e32 v43, v36, v85
	v_fmac_f32_e32 v43, v37, v84
	v_add_f32_e32 v42, v42, v43
	s_waitcnt lgkmcnt(0)
	v_mul_f32_e32 v43, v38, v87
	v_fmac_f32_e32 v43, v39, v86
	buffer_load_dword v189, off, s[0:3], 0 offset:344
	buffer_load_dword v190, off, s[0:3], 0 offset:348
	v_add_f32_e32 v42, v42, v43
	s_waitcnt vmcnt(32)
	v_mul_f32_e32 v43, v40, v91
	v_fmac_f32_e32 v43, v41, v90
	v_add_f32_e32 v95, v42, v43
	ds_read_b128 v[42:45], v1 offset:736
	buffer_load_dword v191, off, s[0:3], 0 offset:352
	buffer_load_dword v192, off, s[0:3], 0 offset:356
	ds_read_b128 v[46:49], v1 offset:752
	buffer_load_dword v193, off, s[0:3], 0 offset:360
	buffer_load_dword v194, off, s[0:3], 0 offset:364
	;; [unrolled: 1-line block ×14, first 2 shown]
	s_waitcnt vmcnt(46) lgkmcnt(1)
	v_mul_f32_e32 v96, v42, v93
	v_fmac_f32_e32 v96, v43, v92
	v_add_f32_e32 v95, v95, v96
	s_waitcnt vmcnt(44)
	v_mul_f32_e32 v96, v44, v144
	v_fmac_f32_e32 v96, v45, v94
	v_add_f32_e32 v95, v95, v96
	s_waitcnt vmcnt(42) lgkmcnt(0)
	v_mul_f32_e32 v96, v46, v164
	v_fmac_f32_e32 v96, v47, v152
	v_add_f32_e32 v95, v95, v96
	buffer_load_dword v207, off, s[0:3], 0 offset:416
	buffer_load_dword v208, off, s[0:3], 0 offset:420
	ds_read_b128 v[96:99], v1 offset:768
	s_waitcnt vmcnt(42)
	v_mul_f32_e32 v100, v48, v166
	v_fmac_f32_e32 v100, v49, v165
	buffer_load_dword v209, off, s[0:3], 0 offset:424
	buffer_load_dword v238, off, s[0:3], 0 offset:428
	v_add_f32_e32 v95, v95, v100
	buffer_load_dword v239, off, s[0:3], 0 offset:432
	buffer_load_dword v240, off, s[0:3], 0 offset:436
	ds_read_b128 v[100:103], v1 offset:784
	buffer_load_dword v241, off, s[0:3], 0 offset:440
	buffer_load_dword v242, off, s[0:3], 0 offset:444
	v_mul_f32_e32 v27, v27, v57
	v_fma_f32 v26, v26, v75, -v27
	v_mul_f32_e32 v27, v29, v56
	v_add_f32_e32 v26, 0, v26
	v_fma_f32 v27, v28, v72, -v27
	v_mul_f32_e32 v23, v23, v58
	v_add_f32_e32 v26, v26, v27
	;; [unrolled: 3-line block ×4, first 2 shown]
	v_fma_f32 v18, v18, v71, -v19
	s_waitcnt vmcnt(46) lgkmcnt(1)
	v_mul_f32_e32 v104, v96, v168
	v_fmac_f32_e32 v104, v97, v167
	v_add_f32_e32 v95, v95, v104
	s_waitcnt vmcnt(44)
	v_mul_f32_e32 v104, v98, v170
	v_fmac_f32_e32 v104, v99, v169
	v_add_f32_e32 v95, v95, v104
	s_waitcnt vmcnt(42) lgkmcnt(0)
	v_mul_f32_e32 v104, v100, v172
	v_fmac_f32_e32 v104, v101, v171
	v_add_f32_e32 v95, v95, v104
	ds_read_b128 v[104:107], v1 offset:800
	v_mul_f32_e32 v19, v21, v52
	v_add_f32_e32 v18, v22, v18
	v_fma_f32 v19, v20, v68, -v19
	s_waitcnt vmcnt(40)
	v_mul_f32_e32 v108, v102, v174
	v_fmac_f32_e32 v108, v103, v173
	v_add_f32_e32 v95, v95, v108
	ds_read_b128 v[108:111], v1 offset:816
	v_mul_f32_e32 v15, v15, v53
	s_waitcnt vmcnt(38) lgkmcnt(1)
	v_mul_f32_e32 v112, v104, v176
	v_fmac_f32_e32 v112, v105, v175
	v_add_f32_e32 v95, v95, v112
	s_waitcnt vmcnt(36)
	v_mul_f32_e32 v112, v106, v178
	v_fmac_f32_e32 v112, v107, v177
	v_add_f32_e32 v95, v95, v112
	s_waitcnt vmcnt(34) lgkmcnt(0)
	v_mul_f32_e32 v112, v108, v180
	v_fmac_f32_e32 v112, v109, v179
	v_add_f32_e32 v95, v95, v112
	ds_read_b128 v[112:115], v1 offset:832
	s_waitcnt vmcnt(32)
	v_mul_f32_e32 v116, v110, v182
	v_fmac_f32_e32 v116, v111, v181
	v_add_f32_e32 v95, v95, v116
	ds_read_b128 v[116:119], v1 offset:848
	s_waitcnt vmcnt(30) lgkmcnt(1)
	v_mul_f32_e32 v120, v112, v184
	v_fmac_f32_e32 v120, v113, v183
	v_add_f32_e32 v95, v95, v120
	s_waitcnt vmcnt(28)
	v_mul_f32_e32 v120, v114, v186
	v_fmac_f32_e32 v120, v115, v185
	v_add_f32_e32 v95, v95, v120
	s_waitcnt vmcnt(26) lgkmcnt(0)
	v_mul_f32_e32 v120, v116, v188
	v_fmac_f32_e32 v120, v117, v187
	v_add_f32_e32 v95, v95, v120
	ds_read_b128 v[120:123], v1 offset:864
	s_waitcnt vmcnt(24)
	v_mul_f32_e32 v124, v118, v190
	v_fmac_f32_e32 v124, v119, v189
	v_add_f32_e32 v95, v95, v124
	ds_read_b128 v[124:127], v1 offset:880
	;; [unrolled: 18-line block ×3, first 2 shown]
	s_waitcnt vmcnt(14) lgkmcnt(1)
	v_mul_f32_e32 v136, v128, v200
	v_fmac_f32_e32 v136, v129, v199
	v_add_f32_e32 v95, v95, v136
	s_waitcnt vmcnt(12)
	v_mul_f32_e32 v136, v130, v202
	v_fmac_f32_e32 v136, v131, v201
	v_add_f32_e32 v95, v95, v136
	s_waitcnt vmcnt(10) lgkmcnt(0)
	v_mul_f32_e32 v136, v132, v204
	v_fmac_f32_e32 v136, v133, v203
	s_waitcnt vmcnt(8)
	v_mul_f32_e32 v140, v134, v206
	v_add_f32_e32 v95, v95, v136
	v_fmac_f32_e32 v140, v135, v205
	ds_read_b128 v[136:139], v1 offset:928
	v_add_f32_e32 v95, v95, v140
	ds_read_b128 v[140:143], v1 offset:944
	buffer_load_dword v147, off, s[0:3], 0 offset:468
	buffer_load_dword v146, off, s[0:3], 0 offset:464
	buffer_load_dword v149, off, s[0:3], 0 offset:460
	buffer_load_dword v148, off, s[0:3], 0 offset:456
	buffer_load_dword v151, off, s[0:3], 0 offset:452
	buffer_load_dword v150, off, s[0:3], 0 offset:448
	v_add_f32_e32 v18, v18, v19
	v_fma_f32 v14, v14, v66, -v15
	v_mul_f32_e32 v15, v17, v59
	v_add_f32_e32 v14, v18, v14
	v_fma_f32 v15, v16, v70, -v15
	v_mul_f32_e32 v11, v11, v60
	;; [unrolled: 3-line block ×7, first 2 shown]
	v_add_f32_e32 v2, v6, v2
	v_fma_f32 v3, v4, v76, -v3
	buffer_load_dword v155, off, s[0:3], 0 offset:500
	buffer_load_dword v154, off, s[0:3], 0 offset:496
	;; [unrolled: 1-line block ×10, first 2 shown]
	v_add_f32_e32 v2, v2, v3
	v_mul_f32_e32 v3, v31, v77
	v_fma_f32 v3, v30, v73, -v3
	v_add_f32_e32 v2, v2, v3
	v_mul_f32_e32 v3, v33, v89
	v_fma_f32 v3, v32, v88, -v3
	;; [unrolled: 3-line block ×30, first 2 shown]
	v_add_f32_e32 v2, v2, v3
	s_waitcnt vmcnt(22) lgkmcnt(1)
	v_mul_f32_e32 v3, v137, v208
	v_fma_f32 v3, v136, v207, -v3
	v_add_f32_e32 v2, v2, v3
	s_waitcnt vmcnt(20)
	v_mul_f32_e32 v3, v139, v238
	v_mul_f32_e32 v145, v136, v208
	v_fma_f32 v3, v138, v209, -v3
	v_fmac_f32_e32 v145, v137, v207
	v_add_f32_e32 v94, v2, v3
	s_waitcnt vmcnt(18) lgkmcnt(0)
	v_mul_f32_e32 v2, v141, v240
	v_add_f32_e32 v95, v95, v145
	v_mul_f32_e32 v145, v138, v238
	v_fma_f32 v144, v140, v239, -v2
	s_waitcnt vmcnt(16)
	v_mul_f32_e32 v2, v143, v242
	v_fmac_f32_e32 v145, v139, v209
	v_fma_f32 v152, v142, v241, -v2
	ds_read_b128 v[2:5], v1 offset:960
	ds_read_b128 v[6:9], v1 offset:976
	;; [unrolled: 1-line block ×4, first 2 shown]
	v_add_f32_e32 v95, v95, v145
	v_mul_f32_e32 v145, v140, v240
	s_waitcnt vmcnt(11)
	v_mov_b32_e32 v20, v151
	v_fmac_f32_e32 v145, v141, v239
	v_mul_f32_e32 v153, v142, v242
	s_waitcnt lgkmcnt(3)
	v_pk_mul_f32 v[20:21], v[2:3], v[20:21] op_sel_hi:[1,0]
	v_fmac_f32_e32 v153, v143, v241
	v_pk_add_f32 v[18:19], v[94:95], v[144:145]
	s_waitcnt vmcnt(10)
	v_pk_fma_f32 v[22:23], v[2:3], v[150:151], v[20:21] op_sel:[0,0,1] op_sel_hi:[1,1,0] neg_lo:[0,0,1] neg_hi:[0,0,1]
	v_pk_fma_f32 v[2:3], v[2:3], v[150:151], v[20:21] op_sel:[0,0,1] op_sel_hi:[1,0,0]
	v_pk_add_f32 v[18:19], v[18:19], v[152:153]
	v_mov_b32_e32 v23, v3
	v_pk_add_f32 v[2:3], v[18:19], v[22:23]
	v_mov_b32_e32 v18, v149
	v_pk_mul_f32 v[18:19], v[4:5], v[18:19] op_sel_hi:[1,0]
	v_pk_fma_f32 v[20:21], v[4:5], v[148:149], v[18:19] op_sel:[0,0,1] op_sel_hi:[1,1,0] neg_lo:[0,0,1] neg_hi:[0,0,1]
	v_pk_fma_f32 v[4:5], v[4:5], v[148:149], v[18:19] op_sel:[0,0,1] op_sel_hi:[1,0,0]
	v_mov_b32_e32 v4, v147
	v_mov_b32_e32 v21, v5
	s_waitcnt lgkmcnt(2)
	v_pk_mul_f32 v[4:5], v[6:7], v[4:5] op_sel_hi:[1,0]
	v_pk_fma_f32 v[18:19], v[6:7], v[146:147], v[4:5] op_sel:[0,0,1] op_sel_hi:[1,1,0] neg_lo:[0,0,1] neg_hi:[0,0,1]
	v_pk_fma_f32 v[4:5], v[6:7], v[146:147], v[4:5] op_sel:[0,0,1] op_sel_hi:[1,0,0]
	s_waitcnt vmcnt(3)
	v_mov_b32_e32 v4, v161
	v_mov_b32_e32 v19, v5
	v_pk_mul_f32 v[4:5], v[8:9], v[4:5] op_sel_hi:[1,0]
	s_waitcnt vmcnt(2)
	v_pk_fma_f32 v[6:7], v[8:9], v[160:161], v[4:5] op_sel:[0,0,1] op_sel_hi:[1,1,0] neg_lo:[0,0,1] neg_hi:[0,0,1]
	v_pk_fma_f32 v[4:5], v[8:9], v[160:161], v[4:5] op_sel:[0,0,1] op_sel_hi:[1,0,0]
	v_pk_add_f32 v[2:3], v[2:3], v[20:21]
	v_mov_b32_e32 v4, v159
	v_pk_add_f32 v[2:3], v[2:3], v[18:19]
	v_mov_b32_e32 v7, v5
	s_waitcnt lgkmcnt(1)
	v_pk_mul_f32 v[4:5], v[10:11], v[4:5] op_sel_hi:[1,0]
	v_pk_add_f32 v[2:3], v[2:3], v[6:7]
	v_pk_fma_f32 v[6:7], v[10:11], v[158:159], v[4:5] op_sel:[0,0,1] op_sel_hi:[1,1,0] neg_lo:[0,0,1] neg_hi:[0,0,1]
	v_pk_fma_f32 v[4:5], v[10:11], v[158:159], v[4:5] op_sel:[0,0,1] op_sel_hi:[1,0,0]
	v_mov_b32_e32 v4, v157
	v_mov_b32_e32 v7, v5
	v_pk_mul_f32 v[4:5], v[12:13], v[4:5] op_sel_hi:[1,0]
	v_pk_add_f32 v[2:3], v[2:3], v[6:7]
	v_pk_fma_f32 v[6:7], v[12:13], v[156:157], v[4:5] op_sel:[0,0,1] op_sel_hi:[1,1,0] neg_lo:[0,0,1] neg_hi:[0,0,1]
	v_pk_fma_f32 v[4:5], v[12:13], v[156:157], v[4:5] op_sel:[0,0,1] op_sel_hi:[1,0,0]
	v_mov_b32_e32 v4, v155
	v_mov_b32_e32 v7, v5
	s_waitcnt lgkmcnt(0)
	v_pk_mul_f32 v[4:5], v[14:15], v[4:5] op_sel_hi:[1,0]
	v_pk_add_f32 v[2:3], v[2:3], v[6:7]
	v_pk_fma_f32 v[6:7], v[14:15], v[154:155], v[4:5] op_sel:[0,0,1] op_sel_hi:[1,1,0] neg_lo:[0,0,1] neg_hi:[0,0,1]
	v_pk_fma_f32 v[4:5], v[14:15], v[154:155], v[4:5] op_sel:[0,0,1] op_sel_hi:[1,0,0]
	s_waitcnt vmcnt(1)
	v_mov_b32_e32 v4, v163
	v_mov_b32_e32 v7, v5
	v_pk_mul_f32 v[4:5], v[16:17], v[4:5] op_sel_hi:[1,0]
	v_pk_add_f32 v[2:3], v[2:3], v[6:7]
	s_waitcnt vmcnt(0)
	v_pk_fma_f32 v[6:7], v[16:17], v[162:163], v[4:5] op_sel:[0,0,1] op_sel_hi:[1,1,0] neg_lo:[0,0,1] neg_hi:[0,0,1]
	v_pk_fma_f32 v[4:5], v[16:17], v[162:163], v[4:5] op_sel:[0,0,1] op_sel_hi:[1,0,0]
	v_mov_b32_e32 v7, v5
	v_pk_add_f32 v[2:3], v[2:3], v[6:7]
	v_pk_add_f32 v[2:3], v[50:51], v[2:3] neg_lo:[0,1] neg_hi:[0,1]
	buffer_store_dword v3, off, s[0:3], 0 offset:60
	buffer_store_dword v2, off, s[0:3], 0 offset:56
	s_and_saveexec_b64 s[4:5], vcc
	s_cbranch_execz .LBB63_385
; %bb.384:
	buffer_load_dword v2, off, s[0:3], 0 offset:48
	buffer_load_dword v3, off, s[0:3], 0 offset:52
	v_mov_b32_e32 v1, 0
	buffer_store_dword v1, off, s[0:3], 0 offset:48
	buffer_store_dword v1, off, s[0:3], 0 offset:52
	s_waitcnt vmcnt(2)
	ds_write_b64 v223, v[2:3]
.LBB63_385:
	s_or_b64 exec, exec, s[4:5]
	v_mov_b32_e32 v1, 0
	s_waitcnt lgkmcnt(0)
	; wave barrier
	s_waitcnt lgkmcnt(0)
	ds_read2_b64 v[2:5], v1 offset0:71 offset1:72
	buffer_load_dword v102, off, s[0:3], 0 offset:48
	buffer_load_dword v103, off, s[0:3], 0 offset:52
	;; [unrolled: 1-line block ×16, first 2 shown]
	v_cmp_lt_u32_e32 vcc, 5, v0
	s_waitcnt vmcnt(12) lgkmcnt(0)
	v_mul_f32_e32 v6, v2, v117
	v_fmac_f32_e32 v6, v3, v104
	s_waitcnt vmcnt(10)
	v_mul_f32_e32 v7, v4, v119
	v_add_f32_e32 v6, 0, v6
	v_fmac_f32_e32 v7, v5, v106
	v_add_f32_e32 v10, v6, v7
	ds_read2_b64 v[6:9], v1 offset0:73 offset1:74
	v_mul_f32_e32 v3, v3, v117
	v_fma_f32 v2, v2, v104, -v3
	v_mul_f32_e32 v3, v5, v119
	v_add_f32_e32 v2, 0, v2
	s_waitcnt vmcnt(8) lgkmcnt(0)
	v_mul_f32_e32 v11, v6, v121
	v_fmac_f32_e32 v11, v7, v116
	v_add_f32_e32 v10, v10, v11
	s_waitcnt vmcnt(6)
	v_mul_f32_e32 v11, v8, v123
	v_fmac_f32_e32 v11, v9, v118
	v_add_f32_e32 v14, v10, v11
	ds_read2_b64 v[10:13], v1 offset0:75 offset1:76
	v_fma_f32 v3, v4, v106, -v3
	v_add_f32_e32 v2, v2, v3
	v_mul_f32_e32 v3, v7, v121
	v_fma_f32 v3, v6, v116, -v3
	s_waitcnt vmcnt(4) lgkmcnt(0)
	v_mul_f32_e32 v15, v10, v125
	v_fmac_f32_e32 v15, v11, v120
	v_add_f32_e32 v14, v14, v15
	s_waitcnt vmcnt(2)
	v_mul_f32_e32 v15, v12, v126
	v_fmac_f32_e32 v15, v13, v122
	v_add_f32_e32 v18, v14, v15
	ds_read2_b64 v[14:17], v1 offset0:77 offset1:78
	buffer_load_dword v128, off, s[0:3], 0 offset:112
	buffer_load_dword v129, off, s[0:3], 0 offset:116
	v_add_f32_e32 v2, v2, v3
	v_mul_f32_e32 v3, v9, v123
	v_fma_f32 v3, v8, v118, -v3
	s_waitcnt vmcnt(2) lgkmcnt(0)
	v_mul_f32_e32 v19, v14, v127
	v_fmac_f32_e32 v19, v15, v124
	v_add_f32_e32 v18, v18, v19
	v_add_f32_e32 v2, v2, v3
	v_mul_f32_e32 v3, v11, v125
	v_fma_f32 v3, v10, v120, -v3
	v_add_f32_e32 v2, v2, v3
	v_mul_f32_e32 v3, v13, v126
	v_fma_f32 v3, v12, v122, -v3
	;; [unrolled: 3-line block ×3, first 2 shown]
	v_add_f32_e32 v2, v2, v3
	s_waitcnt vmcnt(0)
	v_mul_f32_e32 v19, v16, v129
	v_fmac_f32_e32 v19, v17, v128
	v_add_f32_e32 v22, v18, v19
	ds_read2_b64 v[18:21], v1 offset0:79 offset1:80
	buffer_load_dword v130, off, s[0:3], 0 offset:120
	buffer_load_dword v131, off, s[0:3], 0 offset:124
	;; [unrolled: 1-line block ×4, first 2 shown]
	v_mul_f32_e32 v3, v17, v129
	v_fma_f32 v3, v16, v128, -v3
	v_add_f32_e32 v2, v2, v3
	s_waitcnt vmcnt(2) lgkmcnt(0)
	v_mul_f32_e32 v23, v18, v131
	v_fmac_f32_e32 v23, v19, v130
	v_add_f32_e32 v22, v22, v23
	s_waitcnt vmcnt(0)
	v_mul_f32_e32 v23, v20, v133
	v_fmac_f32_e32 v23, v21, v132
	v_add_f32_e32 v26, v22, v23
	ds_read2_b64 v[22:25], v1 offset0:81 offset1:82
	buffer_load_dword v134, off, s[0:3], 0 offset:136
	buffer_load_dword v135, off, s[0:3], 0 offset:140
	buffer_load_dword v136, off, s[0:3], 0 offset:144
	buffer_load_dword v137, off, s[0:3], 0 offset:148
	v_mul_f32_e32 v3, v19, v131
	v_fma_f32 v3, v18, v130, -v3
	v_add_f32_e32 v2, v2, v3
	v_mul_f32_e32 v3, v21, v133
	v_fma_f32 v3, v20, v132, -v3
	v_add_f32_e32 v2, v2, v3
	s_waitcnt vmcnt(2) lgkmcnt(0)
	v_mul_f32_e32 v27, v22, v135
	v_fmac_f32_e32 v27, v23, v134
	v_add_f32_e32 v26, v26, v27
	s_waitcnt vmcnt(0)
	v_mul_f32_e32 v27, v24, v137
	v_fmac_f32_e32 v27, v25, v136
	v_add_f32_e32 v30, v26, v27
	ds_read2_b64 v[26:29], v1 offset0:83 offset1:84
	buffer_load_dword v138, off, s[0:3], 0 offset:152
	buffer_load_dword v139, off, s[0:3], 0 offset:156
	buffer_load_dword v140, off, s[0:3], 0 offset:160
	buffer_load_dword v141, off, s[0:3], 0 offset:164
	v_mul_f32_e32 v3, v23, v135
	v_fma_f32 v3, v22, v134, -v3
	v_add_f32_e32 v2, v2, v3
	;; [unrolled: 19-line block ×6, first 2 shown]
	v_mul_f32_e32 v3, v41, v153
	v_fma_f32 v3, v40, v152, -v3
	v_add_f32_e32 v2, v2, v3
	s_waitcnt vmcnt(2) lgkmcnt(0)
	v_mul_f32_e32 v47, v42, v155
	v_fmac_f32_e32 v47, v43, v154
	v_add_f32_e32 v46, v46, v47
	s_waitcnt vmcnt(0)
	v_mul_f32_e32 v47, v44, v157
	v_fmac_f32_e32 v47, v45, v156
	v_add_f32_e32 v50, v46, v47
	ds_read2_b64 v[46:49], v1 offset0:93 offset1:94
	buffer_load_dword v158, off, s[0:3], 0 offset:232
	buffer_load_dword v159, off, s[0:3], 0 offset:236
	buffer_load_dword v160, off, s[0:3], 0 offset:240
	buffer_load_dword v161, off, s[0:3], 0 offset:244
	ds_read2_b64 v[54:57], v1 offset0:95 offset1:96
	buffer_load_dword v162, off, s[0:3], 0 offset:248
	buffer_load_dword v163, off, s[0:3], 0 offset:252
	buffer_load_dword v164, off, s[0:3], 0 offset:256
	buffer_load_dword v165, off, s[0:3], 0 offset:260
	;; [unrolled: 5-line block ×13, first 2 shown]
	v_mul_f32_e32 v3, v43, v155
	v_fma_f32 v3, v42, v154, -v3
	v_add_f32_e32 v2, v2, v3
	v_mul_f32_e32 v3, v45, v157
	v_fma_f32 v3, v44, v156, -v3
	v_add_f32_e32 v2, v2, v3
	s_waitcnt vmcnt(50) lgkmcnt(12)
	v_mul_f32_e32 v51, v46, v159
	v_fmac_f32_e32 v51, v47, v158
	v_add_f32_e32 v50, v50, v51
	s_waitcnt vmcnt(48)
	v_mul_f32_e32 v51, v48, v161
	v_fmac_f32_e32 v51, v49, v160
	v_add_f32_e32 v50, v50, v51
	s_waitcnt vmcnt(46) lgkmcnt(11)
	v_mul_f32_e32 v51, v54, v163
	v_fmac_f32_e32 v51, v55, v162
	v_add_f32_e32 v50, v50, v51
	s_waitcnt vmcnt(44)
	v_mul_f32_e32 v51, v56, v165
	v_fmac_f32_e32 v51, v57, v164
	;; [unrolled: 8-line block ×12, first 2 shown]
	v_add_f32_e32 v50, v50, v51
	s_waitcnt vmcnt(2) lgkmcnt(0)
	v_mul_f32_e32 v51, v98, v207
	v_fmac_f32_e32 v51, v99, v206
	v_add_f32_e32 v105, v50, v51
	ds_read2_b64 v[50:53], v1 offset0:119 offset1:120
	buffer_load_dword v238, off, s[0:3], 0 offset:440
	buffer_load_dword v248, off, s[0:3], 0 offset:444
	;; [unrolled: 1-line block ×18, first 2 shown]
	v_mul_f32_e32 v3, v47, v159
	v_fma_f32 v3, v46, v158, -v3
	v_add_f32_e32 v2, v2, v3
	v_mul_f32_e32 v3, v49, v161
	v_fma_f32 v3, v48, v160, -v3
	v_add_f32_e32 v2, v2, v3
	;; [unrolled: 3-line block ×25, first 2 shown]
	s_waitcnt vmcnt(18)
	v_mul_f32_e32 v2, v101, v209
	s_waitcnt vmcnt(15)
	v_mov_b32_e32 v18, v109
	v_mul_f32_e32 v107, v100, v209
	s_waitcnt lgkmcnt(0)
	v_mul_f32_e32 v239, v50, v248
	v_fma_f32 v106, v100, v208, -v2
	v_mul_f32_e32 v2, v51, v248
	v_pk_mul_f32 v[18:19], v[52:53], v[18:19] op_sel_hi:[1,0]
	v_fmac_f32_e32 v107, v101, v208
	v_fmac_f32_e32 v239, v51, v238
	v_fma_f32 v238, v50, v238, -v2
	ds_read2_b64 v[2:5], v1 offset0:121 offset1:122
	ds_read2_b64 v[6:9], v1 offset0:123 offset1:124
	;; [unrolled: 1-line block ×3, first 2 shown]
	ds_read_b64 v[14:15], v1 offset:1016
	s_waitcnt vmcnt(14)
	v_pk_fma_f32 v[20:21], v[52:53], v[108:109], v[18:19] op_sel:[0,0,1] op_sel_hi:[1,1,0] neg_lo:[0,0,1] neg_hi:[0,0,1]
	v_pk_fma_f32 v[18:19], v[52:53], v[108:109], v[18:19] op_sel:[0,0,1] op_sel_hi:[1,0,0]
	v_pk_add_f32 v[16:17], v[104:105], v[106:107]
	s_waitcnt vmcnt(13)
	v_mov_b32_e32 v18, v247
	v_pk_add_f32 v[16:17], v[16:17], v[238:239]
	v_mov_b32_e32 v21, v19
	s_waitcnt lgkmcnt(3)
	v_pk_mul_f32 v[18:19], v[2:3], v[18:19] op_sel_hi:[1,0]
	v_pk_add_f32 v[16:17], v[16:17], v[20:21]
	s_waitcnt vmcnt(12)
	v_pk_fma_f32 v[20:21], v[2:3], v[246:247], v[18:19] op_sel:[0,0,1] op_sel_hi:[1,1,0] neg_lo:[0,0,1] neg_hi:[0,0,1]
	v_pk_fma_f32 v[2:3], v[2:3], v[246:247], v[18:19] op_sel:[0,0,1] op_sel_hi:[1,0,0]
	v_mov_b32_e32 v21, v3
	v_pk_add_f32 v[2:3], v[16:17], v[20:21]
	s_waitcnt vmcnt(11)
	v_mov_b32_e32 v16, v245
	v_pk_mul_f32 v[16:17], v[4:5], v[16:17] op_sel_hi:[1,0]
	s_waitcnt vmcnt(10)
	v_pk_fma_f32 v[18:19], v[4:5], v[244:245], v[16:17] op_sel:[0,0,1] op_sel_hi:[1,1,0] neg_lo:[0,0,1] neg_hi:[0,0,1]
	v_pk_fma_f32 v[4:5], v[4:5], v[244:245], v[16:17] op_sel:[0,0,1] op_sel_hi:[1,0,0]
	s_waitcnt vmcnt(9)
	v_mov_b32_e32 v4, v243
	v_mov_b32_e32 v19, v5
	s_waitcnt lgkmcnt(2)
	v_pk_mul_f32 v[4:5], v[6:7], v[4:5] op_sel_hi:[1,0]
	s_waitcnt vmcnt(8)
	v_pk_fma_f32 v[16:17], v[6:7], v[242:243], v[4:5] op_sel:[0,0,1] op_sel_hi:[1,1,0] neg_lo:[0,0,1] neg_hi:[0,0,1]
	v_pk_fma_f32 v[4:5], v[6:7], v[242:243], v[4:5] op_sel:[0,0,1] op_sel_hi:[1,0,0]
	s_waitcnt vmcnt(7)
	v_mov_b32_e32 v4, v241
	v_mov_b32_e32 v17, v5
	v_pk_mul_f32 v[4:5], v[8:9], v[4:5] op_sel_hi:[1,0]
	s_waitcnt vmcnt(6)
	v_pk_fma_f32 v[6:7], v[8:9], v[240:241], v[4:5] op_sel:[0,0,1] op_sel_hi:[1,1,0] neg_lo:[0,0,1] neg_hi:[0,0,1]
	v_pk_fma_f32 v[4:5], v[8:9], v[240:241], v[4:5] op_sel:[0,0,1] op_sel_hi:[1,0,0]
	v_pk_add_f32 v[2:3], v[2:3], v[18:19]
	s_waitcnt vmcnt(5)
	v_mov_b32_e32 v4, v115
	v_pk_add_f32 v[2:3], v[2:3], v[16:17]
	v_mov_b32_e32 v7, v5
	s_waitcnt lgkmcnt(1)
	v_pk_mul_f32 v[4:5], v[10:11], v[4:5] op_sel_hi:[1,0]
	v_pk_add_f32 v[2:3], v[2:3], v[6:7]
	s_waitcnt vmcnt(4)
	v_pk_fma_f32 v[6:7], v[10:11], v[114:115], v[4:5] op_sel:[0,0,1] op_sel_hi:[1,1,0] neg_lo:[0,0,1] neg_hi:[0,0,1]
	v_pk_fma_f32 v[4:5], v[10:11], v[114:115], v[4:5] op_sel:[0,0,1] op_sel_hi:[1,0,0]
	s_waitcnt vmcnt(3)
	v_mov_b32_e32 v4, v113
	v_mov_b32_e32 v7, v5
	v_pk_mul_f32 v[4:5], v[12:13], v[4:5] op_sel_hi:[1,0]
	v_pk_add_f32 v[2:3], v[2:3], v[6:7]
	s_waitcnt vmcnt(2)
	v_pk_fma_f32 v[6:7], v[12:13], v[112:113], v[4:5] op_sel:[0,0,1] op_sel_hi:[1,1,0] neg_lo:[0,0,1] neg_hi:[0,0,1]
	v_pk_fma_f32 v[4:5], v[12:13], v[112:113], v[4:5] op_sel:[0,0,1] op_sel_hi:[1,0,0]
	s_waitcnt vmcnt(1)
	v_mov_b32_e32 v4, v111
	v_mov_b32_e32 v7, v5
	s_waitcnt lgkmcnt(0)
	v_pk_mul_f32 v[4:5], v[14:15], v[4:5] op_sel_hi:[1,0]
	v_pk_add_f32 v[2:3], v[2:3], v[6:7]
	s_waitcnt vmcnt(0)
	v_pk_fma_f32 v[6:7], v[14:15], v[110:111], v[4:5] op_sel:[0,0,1] op_sel_hi:[1,1,0] neg_lo:[0,0,1] neg_hi:[0,0,1]
	v_pk_fma_f32 v[4:5], v[14:15], v[110:111], v[4:5] op_sel:[0,0,1] op_sel_hi:[1,0,0]
	v_mov_b32_e32 v7, v5
	v_pk_add_f32 v[2:3], v[2:3], v[6:7]
	v_pk_add_f32 v[2:3], v[102:103], v[2:3] neg_lo:[0,1] neg_hi:[0,1]
	buffer_store_dword v3, off, s[0:3], 0 offset:52
	buffer_store_dword v2, off, s[0:3], 0 offset:48
	s_and_saveexec_b64 s[4:5], vcc
	s_cbranch_execz .LBB63_387
; %bb.386:
	buffer_load_dword v2, off, s[0:3], 0 offset:40
	buffer_load_dword v3, off, s[0:3], 0 offset:44
	s_waitcnt vmcnt(0)
	ds_write_b64 v223, v[2:3]
	buffer_store_dword v1, off, s[0:3], 0 offset:40
	buffer_store_dword v1, off, s[0:3], 0 offset:44
.LBB63_387:
	s_or_b64 exec, exec, s[4:5]
	s_waitcnt lgkmcnt(0)
	; wave barrier
	s_waitcnt lgkmcnt(0)
	buffer_load_dword v65, off, s[0:3], 0 offset:52
	buffer_load_dword v64, off, s[0:3], 0 offset:60
	;; [unrolled: 1-line block ×40, first 2 shown]
	ds_read_b128 v[22:25], v1 offset:560
	ds_read_b128 v[18:21], v1 offset:576
	;; [unrolled: 1-line block ×6, first 2 shown]
	buffer_load_dword v98, off, s[0:3], 0 offset:200
	buffer_load_dword v99, off, s[0:3], 0 offset:204
	;; [unrolled: 1-line block ×10, first 2 shown]
	v_cmp_lt_u32_e32 vcc, 4, v0
	s_waitcnt vmcnt(49) lgkmcnt(5)
	v_mul_f32_e32 v26, v22, v65
	s_waitcnt vmcnt(48)
	v_mul_f32_e32 v27, v24, v64
	s_waitcnt vmcnt(47) lgkmcnt(4)
	v_mul_f32_e32 v29, v20, v63
	s_waitcnt vmcnt(46) lgkmcnt(3)
	v_mul_f32_e32 v30, v14, v62
	s_waitcnt vmcnt(45)
	v_mul_f32_e32 v31, v16, v60
	s_waitcnt vmcnt(44)
	v_mul_f32_e32 v28, v18, v66
	s_waitcnt vmcnt(43) lgkmcnt(2)
	v_mul_f32_e32 v32, v10, v61
	s_waitcnt vmcnt(42)
	v_mul_f32_e32 v33, v12, v67
	s_waitcnt vmcnt(41) lgkmcnt(1)
	;; [unrolled: 4-line block ×3, first 2 shown]
	v_mul_f32_e32 v36, v2, v70
	s_waitcnt vmcnt(38)
	v_mul_f32_e32 v37, v4, v71
	s_waitcnt vmcnt(37)
	v_fmac_f32_e32 v28, v19, v77
	s_waitcnt vmcnt(36)
	v_fmac_f32_e32 v27, v25, v80
	;; [unrolled: 2-line block ×3, first 2 shown]
	v_add_f32_e32 v26, 0, v26
	v_add_f32_e32 v26, v26, v27
	;; [unrolled: 1-line block ×3, first 2 shown]
	s_waitcnt vmcnt(31)
	v_fmac_f32_e32 v29, v21, v82
	v_fmac_f32_e32 v30, v15, v79
	v_add_f32_e32 v26, v26, v29
	v_fmac_f32_e32 v31, v17, v76
	v_add_f32_e32 v26, v26, v30
	;; [unrolled: 2-line block ×3, first 2 shown]
	s_waitcnt vmcnt(27)
	v_fmac_f32_e32 v33, v13, v78
	v_add_f32_e32 v26, v26, v32
	v_fmac_f32_e32 v34, v7, v75
	v_add_f32_e32 v26, v26, v33
	;; [unrolled: 2-line block ×3, first 2 shown]
	v_add_f32_e32 v30, v26, v35
	ds_read_b128 v[26:29], v1 offset:656
	v_fmac_f32_e32 v36, v3, v72
	v_add_f32_e32 v30, v30, v36
	s_waitcnt vmcnt(23)
	v_fmac_f32_e32 v37, v5, v89
	v_add_f32_e32 v34, v30, v37
	ds_read_b128 v[30:33], v1 offset:672
	s_waitcnt vmcnt(22) lgkmcnt(1)
	v_mul_f32_e32 v35, v26, v88
	buffer_load_dword v158, off, s[0:3], 0 offset:240
	buffer_load_dword v160, off, s[0:3], 0 offset:244
	v_fmac_f32_e32 v35, v27, v86
	v_add_f32_e32 v34, v34, v35
	s_waitcnt vmcnt(23)
	v_mul_f32_e32 v35, v28, v87
	buffer_load_dword v162, off, s[0:3], 0 offset:248
	buffer_load_dword v178, off, s[0:3], 0 offset:252
	v_fmac_f32_e32 v35, v29, v84
	v_add_f32_e32 v34, v34, v35
	s_waitcnt vmcnt(24) lgkmcnt(0)
	v_mul_f32_e32 v35, v30, v85
	buffer_load_dword v179, off, s[0:3], 0 offset:256
	buffer_load_dword v180, off, s[0:3], 0 offset:260
	v_fmac_f32_e32 v35, v31, v81
	v_add_f32_e32 v34, v34, v35
	s_waitcnt vmcnt(20)
	v_mul_f32_e32 v35, v32, v97
	s_waitcnt vmcnt(19)
	v_fmac_f32_e32 v35, v33, v96
	ds_read_b128 v[38:41], v1 offset:688
	v_add_f32_e32 v42, v34, v35
	ds_read_b128 v[34:37], v1 offset:704
	buffer_load_dword v181, off, s[0:3], 0 offset:264
	buffer_load_dword v182, off, s[0:3], 0 offset:268
	;; [unrolled: 1-line block ×8, first 2 shown]
	s_waitcnt vmcnt(26) lgkmcnt(1)
	v_mul_f32_e32 v43, v38, v95
	v_fmac_f32_e32 v43, v39, v94
	buffer_load_dword v189, off, s[0:3], 0 offset:296
	buffer_load_dword v190, off, s[0:3], 0 offset:300
	v_add_f32_e32 v42, v42, v43
	v_mul_f32_e32 v43, v40, v91
	v_fmac_f32_e32 v43, v41, v90
	v_add_f32_e32 v42, v42, v43
	s_waitcnt lgkmcnt(0)
	v_mul_f32_e32 v43, v34, v93
	buffer_load_dword v191, off, s[0:3], 0 offset:304
	buffer_load_dword v192, off, s[0:3], 0 offset:308
	v_fmac_f32_e32 v43, v35, v92
	v_add_f32_e32 v46, v42, v43
	ds_read_b128 v[42:45], v1 offset:720
	buffer_load_dword v193, off, s[0:3], 0 offset:312
	buffer_load_dword v194, off, s[0:3], 0 offset:316
	;; [unrolled: 1-line block ×4, first 2 shown]
	s_waitcnt vmcnt(30)
	v_mul_f32_e32 v47, v36, v99
	v_fmac_f32_e32 v47, v37, v98
	v_add_f32_e32 v50, v46, v47
	ds_read_b128 v[46:49], v1 offset:736
	buffer_load_dword v197, off, s[0:3], 0 offset:328
	buffer_load_dword v198, off, s[0:3], 0 offset:332
	;; [unrolled: 1-line block ×12, first 2 shown]
	s_waitcnt vmcnt(40) lgkmcnt(1)
	v_mul_f32_e32 v51, v42, v101
	v_fmac_f32_e32 v51, v43, v100
	buffer_load_dword v209, off, s[0:3], 0 offset:376
	buffer_load_dword v238, off, s[0:3], 0 offset:380
	v_add_f32_e32 v50, v50, v51
	s_waitcnt vmcnt(40)
	v_mul_f32_e32 v51, v44, v103
	v_fmac_f32_e32 v51, v45, v102
	buffer_load_dword v239, off, s[0:3], 0 offset:384
	buffer_load_dword v240, off, s[0:3], 0 offset:388
	v_add_f32_e32 v50, v50, v51
	s_waitcnt vmcnt(40) lgkmcnt(0)
	v_mul_f32_e32 v51, v46, v105
	v_fmac_f32_e32 v51, v47, v104
	v_add_f32_e32 v54, v50, v51
	ds_read_b128 v[50:53], v1 offset:752
	buffer_load_dword v241, off, s[0:3], 0 offset:392
	buffer_load_dword v242, off, s[0:3], 0 offset:396
	s_waitcnt vmcnt(40)
	v_mul_f32_e32 v55, v48, v107
	v_fmac_f32_e32 v55, v49, v106
	v_add_f32_e32 v108, v54, v55
	ds_read_b128 v[54:57], v1 offset:768
	buffer_load_dword v243, off, s[0:3], 0 offset:400
	buffer_load_dword v244, off, s[0:3], 0 offset:404
	;; [unrolled: 1-line block ×12, first 2 shown]
	v_mul_f32_e32 v23, v23, v65
	v_fma_f32 v22, v22, v83, -v23
	v_mul_f32_e32 v23, v25, v64
	v_add_f32_e32 v22, 0, v22
	v_fma_f32 v23, v24, v80, -v23
	v_mul_f32_e32 v19, v19, v66
	v_add_f32_e32 v22, v22, v23
	;; [unrolled: 3-line block ×4, first 2 shown]
	v_fma_f32 v14, v14, v79, -v15
	s_waitcnt vmcnt(50) lgkmcnt(1)
	v_mul_f32_e32 v109, v50, v160
	v_fmac_f32_e32 v109, v51, v158
	v_add_f32_e32 v108, v108, v109
	v_mul_f32_e32 v15, v17, v60
	s_waitcnt vmcnt(48)
	v_mul_f32_e32 v109, v52, v178
	v_fmac_f32_e32 v109, v53, v162
	v_add_f32_e32 v108, v108, v109
	v_add_f32_e32 v14, v18, v14
	s_waitcnt vmcnt(46) lgkmcnt(0)
	v_mul_f32_e32 v109, v54, v180
	v_fmac_f32_e32 v109, v55, v179
	v_add_f32_e32 v112, v108, v109
	ds_read_b128 v[108:111], v1 offset:784
	v_fma_f32 v15, v16, v76, -v15
	v_mul_f32_e32 v11, v11, v61
	v_add_f32_e32 v14, v14, v15
	v_fma_f32 v10, v10, v74, -v11
	s_waitcnt vmcnt(44)
	v_mul_f32_e32 v113, v56, v182
	v_fmac_f32_e32 v113, v57, v181
	v_add_f32_e32 v116, v112, v113
	ds_read_b128 v[112:115], v1 offset:800
	s_waitcnt vmcnt(42) lgkmcnt(1)
	v_mul_f32_e32 v117, v108, v184
	v_fmac_f32_e32 v117, v109, v183
	v_add_f32_e32 v116, v116, v117
	s_waitcnt vmcnt(40)
	v_mul_f32_e32 v117, v110, v186
	v_fmac_f32_e32 v117, v111, v185
	v_add_f32_e32 v116, v116, v117
	s_waitcnt vmcnt(38) lgkmcnt(0)
	v_mul_f32_e32 v117, v112, v188
	v_fmac_f32_e32 v117, v113, v187
	v_add_f32_e32 v120, v116, v117
	ds_read_b128 v[116:119], v1 offset:816
	s_waitcnt vmcnt(36)
	v_mul_f32_e32 v121, v114, v190
	v_fmac_f32_e32 v121, v115, v189
	v_add_f32_e32 v124, v120, v121
	ds_read_b128 v[120:123], v1 offset:832
	s_waitcnt vmcnt(34) lgkmcnt(1)
	v_mul_f32_e32 v125, v116, v192
	v_fmac_f32_e32 v125, v117, v191
	v_add_f32_e32 v124, v124, v125
	s_waitcnt vmcnt(32)
	v_mul_f32_e32 v125, v118, v194
	v_fmac_f32_e32 v125, v119, v193
	v_add_f32_e32 v124, v124, v125
	s_waitcnt vmcnt(30) lgkmcnt(0)
	v_mul_f32_e32 v125, v120, v196
	v_fmac_f32_e32 v125, v121, v195
	v_add_f32_e32 v128, v124, v125
	ds_read_b128 v[124:127], v1 offset:848
	s_waitcnt vmcnt(28)
	v_mul_f32_e32 v129, v122, v198
	v_fmac_f32_e32 v129, v123, v197
	v_add_f32_e32 v132, v128, v129
	ds_read_b128 v[128:131], v1 offset:864
	s_waitcnt vmcnt(26) lgkmcnt(1)
	v_mul_f32_e32 v133, v124, v200
	v_fmac_f32_e32 v133, v125, v199
	v_add_f32_e32 v132, v132, v133
	s_waitcnt vmcnt(24)
	v_mul_f32_e32 v133, v126, v202
	v_fmac_f32_e32 v133, v127, v201
	v_add_f32_e32 v132, v132, v133
	s_waitcnt vmcnt(22) lgkmcnt(0)
	v_mul_f32_e32 v133, v128, v204
	v_fmac_f32_e32 v133, v129, v203
	v_add_f32_e32 v136, v132, v133
	ds_read_b128 v[132:135], v1 offset:880
	s_waitcnt vmcnt(20)
	v_mul_f32_e32 v137, v130, v206
	v_fmac_f32_e32 v137, v131, v205
	v_add_f32_e32 v140, v136, v137
	ds_read_b128 v[136:139], v1 offset:896
	s_waitcnt vmcnt(18) lgkmcnt(1)
	v_mul_f32_e32 v141, v132, v208
	v_fmac_f32_e32 v141, v133, v207
	v_add_f32_e32 v140, v140, v141
	s_waitcnt vmcnt(16)
	v_mul_f32_e32 v141, v134, v238
	v_fmac_f32_e32 v141, v135, v209
	v_add_f32_e32 v140, v140, v141
	s_waitcnt vmcnt(14) lgkmcnt(0)
	v_mul_f32_e32 v141, v136, v240
	v_fmac_f32_e32 v141, v137, v239
	v_add_f32_e32 v144, v140, v141
	ds_read_b128 v[140:143], v1 offset:912
	s_waitcnt vmcnt(12)
	v_mul_f32_e32 v145, v138, v242
	v_fmac_f32_e32 v145, v139, v241
	v_add_f32_e32 v148, v144, v145
	ds_read_b128 v[144:147], v1 offset:928
	buffer_load_dword v157, off, s[0:3], 0 offset:452
	buffer_load_dword v156, off, s[0:3], 0 offset:448
	s_waitcnt vmcnt(12) lgkmcnt(1)
	v_mul_f32_e32 v149, v140, v244
	v_mul_f32_e32 v11, v13, v67
	v_fmac_f32_e32 v149, v141, v243
	v_add_f32_e32 v10, v14, v10
	v_fma_f32 v11, v12, v78, -v11
	v_mul_f32_e32 v7, v7, v68
	v_add_f32_e32 v148, v148, v149
	s_waitcnt vmcnt(10)
	v_mul_f32_e32 v149, v142, v246
	v_add_f32_e32 v10, v10, v11
	v_fma_f32 v6, v6, v75, -v7
	v_mul_f32_e32 v7, v9, v69
	v_fmac_f32_e32 v149, v143, v245
	v_add_f32_e32 v6, v10, v6
	v_fma_f32 v7, v8, v73, -v7
	v_mul_f32_e32 v3, v3, v70
	v_add_f32_e32 v148, v148, v149
	s_waitcnt vmcnt(8) lgkmcnt(0)
	v_mul_f32_e32 v149, v144, v248
	v_add_f32_e32 v6, v6, v7
	v_fma_f32 v2, v2, v72, -v3
	v_mul_f32_e32 v3, v5, v71
	v_fmac_f32_e32 v149, v145, v247
	s_waitcnt vmcnt(6)
	v_mul_f32_e32 v153, v146, v250
	v_add_f32_e32 v2, v6, v2
	v_fma_f32 v3, v4, v89, -v3
	v_add_f32_e32 v152, v148, v149
	v_fmac_f32_e32 v153, v147, v249
	v_add_f32_e32 v2, v2, v3
	v_mul_f32_e32 v3, v27, v88
	ds_read_b128 v[148:151], v1 offset:944
	v_add_f32_e32 v159, v152, v153
	ds_read_b128 v[152:155], v1 offset:960
	buffer_load_dword v165, off, s[0:3], 0 offset:484
	buffer_load_dword v164, off, s[0:3], 0 offset:480
	;; [unrolled: 1-line block ×14, first 2 shown]
	v_fma_f32 v3, v26, v86, -v3
	v_add_f32_e32 v2, v2, v3
	v_mul_f32_e32 v3, v29, v87
	v_fma_f32 v3, v28, v84, -v3
	v_add_f32_e32 v2, v2, v3
	v_mul_f32_e32 v3, v31, v85
	;; [unrolled: 3-line block ×35, first 2 shown]
	v_fma_f32 v3, v146, v249, -v3
	s_waitcnt vmcnt(15)
	v_mov_b32_e32 v16, v157
	s_waitcnt lgkmcnt(1)
	v_mul_f32_e32 v161, v148, v252
	v_add_f32_e32 v158, v2, v3
	v_mul_f32_e32 v2, v149, v252
	s_waitcnt lgkmcnt(0)
	v_pk_mul_f32 v[16:17], v[152:153], v[16:17] op_sel_hi:[1,0]
	v_fmac_f32_e32 v161, v149, v251
	v_mul_f32_e32 v163, v150, v254
	v_fma_f32 v160, v148, v251, -v2
	v_mul_f32_e32 v2, v151, v254
	s_waitcnt vmcnt(14)
	v_pk_fma_f32 v[18:19], v[152:153], v[156:157], v[16:17] op_sel:[0,0,1] op_sel_hi:[1,1,0] neg_lo:[0,0,1] neg_hi:[0,0,1]
	v_pk_fma_f32 v[16:17], v[152:153], v[156:157], v[16:17] op_sel:[0,0,1] op_sel_hi:[1,0,0]
	v_fmac_f32_e32 v163, v151, v253
	v_fma_f32 v162, v150, v253, -v2
	v_pk_add_f32 v[14:15], v[158:159], v[160:161]
	s_waitcnt vmcnt(7)
	v_mov_b32_e32 v16, v171
	ds_read_b128 v[2:5], v1 offset:976
	ds_read_b128 v[6:9], v1 offset:992
	;; [unrolled: 1-line block ×3, first 2 shown]
	v_pk_add_f32 v[14:15], v[14:15], v[162:163]
	v_mov_b32_e32 v19, v17
	v_pk_mul_f32 v[16:17], v[154:155], v[16:17] op_sel_hi:[1,0]
	v_pk_add_f32 v[14:15], v[14:15], v[18:19]
	s_waitcnt vmcnt(6)
	v_pk_fma_f32 v[18:19], v[154:155], v[170:171], v[16:17] op_sel:[0,0,1] op_sel_hi:[1,1,0] neg_lo:[0,0,1] neg_hi:[0,0,1]
	v_pk_fma_f32 v[16:17], v[154:155], v[170:171], v[16:17] op_sel:[0,0,1] op_sel_hi:[1,0,0]
	v_mov_b32_e32 v16, v169
	v_mov_b32_e32 v19, v17
	s_waitcnt lgkmcnt(2)
	v_pk_mul_f32 v[16:17], v[2:3], v[16:17] op_sel_hi:[1,0]
	v_pk_add_f32 v[14:15], v[14:15], v[18:19]
	v_pk_fma_f32 v[18:19], v[2:3], v[168:169], v[16:17] op_sel:[0,0,1] op_sel_hi:[1,1,0] neg_lo:[0,0,1] neg_hi:[0,0,1]
	v_pk_fma_f32 v[2:3], v[2:3], v[168:169], v[16:17] op_sel:[0,0,1] op_sel_hi:[1,0,0]
	v_mov_b32_e32 v19, v3
	v_pk_add_f32 v[2:3], v[14:15], v[18:19]
	v_mov_b32_e32 v14, v167
	v_pk_mul_f32 v[14:15], v[4:5], v[14:15] op_sel_hi:[1,0]
	v_pk_fma_f32 v[16:17], v[4:5], v[166:167], v[14:15] op_sel:[0,0,1] op_sel_hi:[1,1,0] neg_lo:[0,0,1] neg_hi:[0,0,1]
	v_pk_fma_f32 v[4:5], v[4:5], v[166:167], v[14:15] op_sel:[0,0,1] op_sel_hi:[1,0,0]
	v_mov_b32_e32 v4, v165
	v_mov_b32_e32 v17, v5
	s_waitcnt lgkmcnt(1)
	v_pk_mul_f32 v[4:5], v[6:7], v[4:5] op_sel_hi:[1,0]
	v_pk_fma_f32 v[14:15], v[6:7], v[164:165], v[4:5] op_sel:[0,0,1] op_sel_hi:[1,1,0] neg_lo:[0,0,1] neg_hi:[0,0,1]
	v_pk_fma_f32 v[4:5], v[6:7], v[164:165], v[4:5] op_sel:[0,0,1] op_sel_hi:[1,0,0]
	s_waitcnt vmcnt(1)
	v_mov_b32_e32 v4, v177
	v_mov_b32_e32 v15, v5
	v_pk_mul_f32 v[4:5], v[8:9], v[4:5] op_sel_hi:[1,0]
	s_waitcnt vmcnt(0)
	v_pk_fma_f32 v[6:7], v[8:9], v[176:177], v[4:5] op_sel:[0,0,1] op_sel_hi:[1,1,0] neg_lo:[0,0,1] neg_hi:[0,0,1]
	v_pk_fma_f32 v[4:5], v[8:9], v[176:177], v[4:5] op_sel:[0,0,1] op_sel_hi:[1,0,0]
	v_pk_add_f32 v[2:3], v[2:3], v[16:17]
	v_mov_b32_e32 v4, v175
	v_pk_add_f32 v[2:3], v[2:3], v[14:15]
	v_mov_b32_e32 v7, v5
	s_waitcnt lgkmcnt(0)
	v_pk_mul_f32 v[4:5], v[10:11], v[4:5] op_sel_hi:[1,0]
	v_pk_add_f32 v[2:3], v[2:3], v[6:7]
	v_pk_fma_f32 v[6:7], v[10:11], v[174:175], v[4:5] op_sel:[0,0,1] op_sel_hi:[1,1,0] neg_lo:[0,0,1] neg_hi:[0,0,1]
	v_pk_fma_f32 v[4:5], v[10:11], v[174:175], v[4:5] op_sel:[0,0,1] op_sel_hi:[1,0,0]
	v_mov_b32_e32 v4, v173
	v_mov_b32_e32 v7, v5
	v_pk_mul_f32 v[4:5], v[12:13], v[4:5] op_sel_hi:[1,0]
	v_pk_add_f32 v[2:3], v[2:3], v[6:7]
	v_pk_fma_f32 v[6:7], v[12:13], v[172:173], v[4:5] op_sel:[0,0,1] op_sel_hi:[1,1,0] neg_lo:[0,0,1] neg_hi:[0,0,1]
	v_pk_fma_f32 v[4:5], v[12:13], v[172:173], v[4:5] op_sel:[0,0,1] op_sel_hi:[1,0,0]
	v_mov_b32_e32 v7, v5
	v_pk_add_f32 v[2:3], v[2:3], v[6:7]
	v_pk_add_f32 v[2:3], v[58:59], v[2:3] neg_lo:[0,1] neg_hi:[0,1]
	buffer_store_dword v3, off, s[0:3], 0 offset:44
	buffer_store_dword v2, off, s[0:3], 0 offset:40
	s_and_saveexec_b64 s[4:5], vcc
	s_cbranch_execz .LBB63_389
; %bb.388:
	buffer_load_dword v2, off, s[0:3], 0 offset:32
	buffer_load_dword v3, off, s[0:3], 0 offset:36
	v_mov_b32_e32 v1, 0
	buffer_store_dword v1, off, s[0:3], 0 offset:32
	buffer_store_dword v1, off, s[0:3], 0 offset:36
	s_waitcnt vmcnt(2)
	ds_write_b64 v223, v[2:3]
.LBB63_389:
	s_or_b64 exec, exec, s[4:5]
	s_waitcnt lgkmcnt(0)
	; wave barrier
	s_waitcnt lgkmcnt(0)
	buffer_load_dword v65, off, s[0:3], 0 offset:44
	buffer_load_dword v64, off, s[0:3], 0 offset:52
	;; [unrolled: 1-line block ×48, first 2 shown]
	v_mov_b32_e32 v1, 0
	ds_read2_b64 v[22:25], v1 offset0:69 offset1:70
	ds_read2_b64 v[18:21], v1 offset0:71 offset1:72
	ds_read2_b64 v[14:17], v1 offset0:73 offset1:74
	ds_read2_b64 v[10:13], v1 offset0:75 offset1:76
	ds_read2_b64 v[6:9], v1 offset0:77 offset1:78
	ds_read2_b64 v[2:5], v1 offset0:79 offset1:80
	buffer_load_dword v154, off, s[0:3], 0 offset:224
	buffer_load_dword v156, off, s[0:3], 0 offset:228
	v_cmp_lt_u32_e32 vcc, 3, v0
	s_waitcnt vmcnt(49) lgkmcnt(5)
	v_mul_f32_e32 v26, v22, v65
	s_waitcnt vmcnt(48)
	v_mul_f32_e32 v27, v24, v64
	s_waitcnt vmcnt(47) lgkmcnt(4)
	v_mul_f32_e32 v29, v20, v63
	s_waitcnt vmcnt(46) lgkmcnt(3)
	v_mul_f32_e32 v30, v14, v62
	s_waitcnt vmcnt(45)
	v_mul_f32_e32 v31, v16, v60
	s_waitcnt vmcnt(44)
	v_mul_f32_e32 v28, v18, v66
	s_waitcnt vmcnt(43) lgkmcnt(2)
	v_mul_f32_e32 v32, v10, v61
	s_waitcnt vmcnt(42)
	v_mul_f32_e32 v33, v12, v67
	s_waitcnt vmcnt(41) lgkmcnt(1)
	;; [unrolled: 4-line block ×3, first 2 shown]
	v_mul_f32_e32 v36, v2, v70
	s_waitcnt vmcnt(38)
	v_mul_f32_e32 v37, v4, v71
	s_waitcnt vmcnt(37)
	v_fmac_f32_e32 v28, v19, v77
	s_waitcnt vmcnt(36)
	v_fmac_f32_e32 v27, v25, v80
	;; [unrolled: 2-line block ×3, first 2 shown]
	v_add_f32_e32 v26, 0, v26
	v_add_f32_e32 v26, v26, v27
	;; [unrolled: 1-line block ×3, first 2 shown]
	s_waitcnt vmcnt(31)
	v_fmac_f32_e32 v29, v21, v82
	v_fmac_f32_e32 v30, v15, v79
	v_add_f32_e32 v26, v26, v29
	v_fmac_f32_e32 v31, v17, v76
	v_add_f32_e32 v26, v26, v30
	;; [unrolled: 2-line block ×3, first 2 shown]
	s_waitcnt vmcnt(27)
	v_fmac_f32_e32 v33, v13, v78
	v_add_f32_e32 v26, v26, v32
	v_fmac_f32_e32 v34, v7, v75
	v_add_f32_e32 v26, v26, v33
	;; [unrolled: 2-line block ×4, first 2 shown]
	v_add_f32_e32 v30, v26, v36
	ds_read2_b64 v[26:29], v1 offset0:81 offset1:82
	s_waitcnt vmcnt(23)
	v_fmac_f32_e32 v37, v5, v91
	v_add_f32_e32 v34, v30, v37
	buffer_load_dword v158, off, s[0:3], 0 offset:232
	buffer_load_dword v176, off, s[0:3], 0 offset:236
	ds_read2_b64 v[30:33], v1 offset0:83 offset1:84
	s_waitcnt vmcnt(24) lgkmcnt(1)
	v_mul_f32_e32 v35, v26, v90
	v_fmac_f32_e32 v35, v27, v86
	v_add_f32_e32 v34, v34, v35
	s_waitcnt vmcnt(23)
	v_mul_f32_e32 v35, v28, v88
	buffer_load_dword v177, off, s[0:3], 0 offset:240
	buffer_load_dword v178, off, s[0:3], 0 offset:244
	v_fmac_f32_e32 v35, v29, v84
	v_add_f32_e32 v34, v34, v35
	s_waitcnt vmcnt(24) lgkmcnt(0)
	v_mul_f32_e32 v35, v30, v85
	buffer_load_dword v179, off, s[0:3], 0 offset:248
	buffer_load_dword v180, off, s[0:3], 0 offset:252
	v_fmac_f32_e32 v35, v31, v81
	v_add_f32_e32 v34, v34, v35
	s_waitcnt vmcnt(24)
	v_mul_f32_e32 v35, v32, v89
	v_fmac_f32_e32 v35, v33, v87
	ds_read2_b64 v[38:41], v1 offset0:85 offset1:86
	v_add_f32_e32 v42, v34, v35
	ds_read2_b64 v[34:37], v1 offset0:87 offset1:88
	buffer_load_dword v181, off, s[0:3], 0 offset:256
	buffer_load_dword v182, off, s[0:3], 0 offset:260
	;; [unrolled: 1-line block ×6, first 2 shown]
	s_waitcnt vmcnt(26) lgkmcnt(1)
	v_mul_f32_e32 v43, v38, v93
	v_fmac_f32_e32 v43, v39, v92
	buffer_load_dword v187, off, s[0:3], 0 offset:280
	buffer_load_dword v188, off, s[0:3], 0 offset:284
	v_add_f32_e32 v42, v42, v43
	s_waitcnt vmcnt(26)
	v_mul_f32_e32 v43, v40, v95
	v_fmac_f32_e32 v43, v41, v94
	v_add_f32_e32 v42, v42, v43
	s_waitcnt vmcnt(24) lgkmcnt(0)
	v_mul_f32_e32 v43, v34, v97
	v_fmac_f32_e32 v43, v35, v96
	buffer_load_dword v189, off, s[0:3], 0 offset:288
	buffer_load_dword v190, off, s[0:3], 0 offset:292
	v_add_f32_e32 v42, v42, v43
	s_waitcnt vmcnt(24)
	v_mul_f32_e32 v43, v36, v99
	v_fmac_f32_e32 v43, v37, v98
	v_add_f32_e32 v50, v42, v43
	ds_read2_b64 v[42:45], v1 offset0:89 offset1:90
	buffer_load_dword v191, off, s[0:3], 0 offset:296
	buffer_load_dword v192, off, s[0:3], 0 offset:300
	ds_read2_b64 v[46:49], v1 offset0:91 offset1:92
	buffer_load_dword v193, off, s[0:3], 0 offset:304
	buffer_load_dword v194, off, s[0:3], 0 offset:308
	;; [unrolled: 1-line block ×12, first 2 shown]
	s_waitcnt vmcnt(36) lgkmcnt(1)
	v_mul_f32_e32 v51, v42, v101
	v_fmac_f32_e32 v51, v43, v100
	buffer_load_dword v205, off, s[0:3], 0 offset:352
	buffer_load_dword v206, off, s[0:3], 0 offset:356
	v_add_f32_e32 v50, v50, v51
	s_waitcnt vmcnt(36)
	v_mul_f32_e32 v51, v44, v103
	v_fmac_f32_e32 v51, v45, v102
	v_add_f32_e32 v50, v50, v51
	s_waitcnt vmcnt(34) lgkmcnt(0)
	v_mul_f32_e32 v51, v46, v105
	buffer_load_dword v207, off, s[0:3], 0 offset:360
	buffer_load_dword v208, off, s[0:3], 0 offset:364
	v_fmac_f32_e32 v51, v47, v104
	v_add_f32_e32 v54, v50, v51
	ds_read2_b64 v[50:53], v1 offset0:93 offset1:94
	buffer_load_dword v209, off, s[0:3], 0 offset:368
	buffer_load_dword v238, off, s[0:3], 0 offset:372
	;; [unrolled: 1-line block ×4, first 2 shown]
	s_waitcnt vmcnt(38)
	v_mul_f32_e32 v55, v48, v156
	v_fmac_f32_e32 v55, v49, v154
	v_add_f32_e32 v106, v54, v55
	ds_read2_b64 v[54:57], v1 offset0:95 offset1:96
	buffer_load_dword v241, off, s[0:3], 0 offset:384
	buffer_load_dword v242, off, s[0:3], 0 offset:388
	;; [unrolled: 1-line block ×16, first 2 shown]
	v_mul_f32_e32 v23, v23, v65
	v_fma_f32 v22, v22, v83, -v23
	v_mul_f32_e32 v23, v25, v64
	v_add_f32_e32 v22, 0, v22
	v_fma_f32 v23, v24, v80, -v23
	v_mul_f32_e32 v19, v19, v66
	v_add_f32_e32 v22, v22, v23
	;; [unrolled: 3-line block ×3, first 2 shown]
	v_fma_f32 v19, v20, v82, -v19
	v_mul_f32_e32 v15, v15, v62
	s_waitcnt vmcnt(52) lgkmcnt(1)
	v_mul_f32_e32 v107, v50, v176
	v_fmac_f32_e32 v107, v51, v158
	v_add_f32_e32 v106, v106, v107
	v_add_f32_e32 v18, v18, v19
	v_fma_f32 v14, v14, v79, -v15
	v_mul_f32_e32 v15, v17, v60
	s_waitcnt vmcnt(50)
	v_mul_f32_e32 v107, v52, v178
	v_fmac_f32_e32 v107, v53, v177
	v_add_f32_e32 v106, v106, v107
	v_add_f32_e32 v14, v18, v14
	s_waitcnt vmcnt(48) lgkmcnt(0)
	v_mul_f32_e32 v107, v54, v180
	v_fmac_f32_e32 v107, v55, v179
	v_add_f32_e32 v110, v106, v107
	ds_read2_b64 v[106:109], v1 offset0:97 offset1:98
	v_fma_f32 v15, v16, v76, -v15
	v_mul_f32_e32 v11, v11, v61
	v_add_f32_e32 v14, v14, v15
	v_fma_f32 v10, v10, v74, -v11
	s_waitcnt vmcnt(46)
	v_mul_f32_e32 v111, v56, v182
	v_fmac_f32_e32 v111, v57, v181
	v_add_f32_e32 v114, v110, v111
	ds_read2_b64 v[110:113], v1 offset0:99 offset1:100
	s_waitcnt vmcnt(44) lgkmcnt(1)
	v_mul_f32_e32 v115, v106, v184
	v_fmac_f32_e32 v115, v107, v183
	v_add_f32_e32 v114, v114, v115
	s_waitcnt vmcnt(42)
	v_mul_f32_e32 v115, v108, v186
	v_fmac_f32_e32 v115, v109, v185
	v_add_f32_e32 v114, v114, v115
	s_waitcnt vmcnt(40) lgkmcnt(0)
	v_mul_f32_e32 v115, v110, v188
	v_fmac_f32_e32 v115, v111, v187
	v_add_f32_e32 v118, v114, v115
	ds_read2_b64 v[114:117], v1 offset0:101 offset1:102
	s_waitcnt vmcnt(38)
	v_mul_f32_e32 v119, v112, v190
	v_fmac_f32_e32 v119, v113, v189
	v_add_f32_e32 v122, v118, v119
	ds_read2_b64 v[118:121], v1 offset0:103 offset1:104
	s_waitcnt vmcnt(36) lgkmcnt(1)
	v_mul_f32_e32 v123, v114, v192
	v_fmac_f32_e32 v123, v115, v191
	v_add_f32_e32 v122, v122, v123
	s_waitcnt vmcnt(34)
	v_mul_f32_e32 v123, v116, v194
	v_fmac_f32_e32 v123, v117, v193
	v_add_f32_e32 v122, v122, v123
	s_waitcnt vmcnt(32) lgkmcnt(0)
	v_mul_f32_e32 v123, v118, v196
	v_fmac_f32_e32 v123, v119, v195
	v_add_f32_e32 v126, v122, v123
	ds_read2_b64 v[122:125], v1 offset0:105 offset1:106
	;; [unrolled: 18-line block ×4, first 2 shown]
	s_waitcnt vmcnt(14)
	v_mul_f32_e32 v143, v136, v242
	v_fmac_f32_e32 v143, v137, v241
	v_mul_f32_e32 v11, v13, v67
	v_add_f32_e32 v146, v142, v143
	ds_read2_b64 v[142:145], v1 offset0:115 offset1:116
	v_add_f32_e32 v10, v14, v10
	v_fma_f32 v11, v12, v78, -v11
	v_mul_f32_e32 v7, v7, v68
	s_waitcnt vmcnt(12) lgkmcnt(1)
	v_mul_f32_e32 v147, v138, v244
	v_add_f32_e32 v10, v10, v11
	v_fma_f32 v6, v6, v75, -v7
	v_mul_f32_e32 v7, v9, v69
	v_fmac_f32_e32 v147, v139, v243
	v_add_f32_e32 v6, v10, v6
	v_fma_f32 v7, v8, v73, -v7
	v_mul_f32_e32 v3, v3, v70
	v_add_f32_e32 v146, v146, v147
	s_waitcnt vmcnt(10)
	v_mul_f32_e32 v147, v140, v246
	v_add_f32_e32 v6, v6, v7
	v_fma_f32 v2, v2, v72, -v3
	v_mul_f32_e32 v3, v5, v71
	v_fmac_f32_e32 v147, v141, v245
	v_add_f32_e32 v2, v6, v2
	v_fma_f32 v3, v4, v91, -v3
	v_add_f32_e32 v146, v146, v147
	s_waitcnt vmcnt(8) lgkmcnt(0)
	v_mul_f32_e32 v147, v142, v248
	v_add_f32_e32 v2, v2, v3
	v_mul_f32_e32 v3, v27, v90
	v_fmac_f32_e32 v147, v143, v247
	s_waitcnt vmcnt(6)
	v_mul_f32_e32 v151, v144, v250
	v_fma_f32 v3, v26, v86, -v3
	v_add_f32_e32 v150, v146, v147
	v_fmac_f32_e32 v151, v145, v249
	v_add_f32_e32 v2, v2, v3
	v_mul_f32_e32 v3, v29, v88
	ds_read2_b64 v[146:149], v1 offset0:117 offset1:118
	v_add_f32_e32 v155, v150, v151
	ds_read2_b64 v[150:153], v1 offset0:119 offset1:120
	buffer_load_dword v161, off, s[0:3], 0 offset:476
	buffer_load_dword v160, off, s[0:3], 0 offset:472
	;; [unrolled: 1-line block ×16, first 2 shown]
	v_fma_f32 v3, v28, v84, -v3
	v_add_f32_e32 v2, v2, v3
	v_mul_f32_e32 v3, v31, v85
	v_fma_f32 v3, v30, v81, -v3
	v_add_f32_e32 v2, v2, v3
	v_mul_f32_e32 v3, v33, v89
	;; [unrolled: 3-line block ×34, first 2 shown]
	v_fma_f32 v3, v144, v249, -v3
	v_add_f32_e32 v2, v2, v3
	s_waitcnt vmcnt(20) lgkmcnt(1)
	v_mul_f32_e32 v3, v147, v252
	v_mul_f32_e32 v157, v146, v252
	v_fma_f32 v3, v146, v251, -v3
	v_fmac_f32_e32 v157, v147, v251
	v_add_f32_e32 v154, v2, v3
	s_waitcnt vmcnt(18)
	v_mul_f32_e32 v2, v149, v254
	s_waitcnt vmcnt(9)
	v_mov_b32_e32 v18, v167
	v_add_f32_e32 v155, v155, v157
	v_mul_f32_e32 v157, v148, v254
	v_fma_f32 v156, v148, v253, -v2
	s_waitcnt lgkmcnt(0)
	v_mul_f32_e32 v2, v151, v210
	v_pk_mul_f32 v[18:19], v[152:153], v[18:19] op_sel_hi:[1,0]
	v_fmac_f32_e32 v157, v149, v253
	v_mul_f32_e32 v159, v150, v210
	v_fma_f32 v158, v150, v255, -v2
	ds_read2_b64 v[2:5], v1 offset0:121 offset1:122
	ds_read2_b64 v[6:9], v1 offset0:123 offset1:124
	;; [unrolled: 1-line block ×3, first 2 shown]
	ds_read_b64 v[14:15], v1 offset:1016
	s_waitcnt vmcnt(8)
	v_pk_fma_f32 v[20:21], v[152:153], v[166:167], v[18:19] op_sel:[0,0,1] op_sel_hi:[1,1,0] neg_lo:[0,0,1] neg_hi:[0,0,1]
	v_pk_fma_f32 v[18:19], v[152:153], v[166:167], v[18:19] op_sel:[0,0,1] op_sel_hi:[1,0,0]
	v_fmac_f32_e32 v159, v151, v255
	v_pk_add_f32 v[16:17], v[154:155], v[156:157]
	v_mov_b32_e32 v18, v165
	v_pk_add_f32 v[16:17], v[16:17], v[158:159]
	v_mov_b32_e32 v21, v19
	s_waitcnt lgkmcnt(3)
	v_pk_mul_f32 v[18:19], v[2:3], v[18:19] op_sel_hi:[1,0]
	v_pk_add_f32 v[16:17], v[16:17], v[20:21]
	v_pk_fma_f32 v[20:21], v[2:3], v[164:165], v[18:19] op_sel:[0,0,1] op_sel_hi:[1,1,0] neg_lo:[0,0,1] neg_hi:[0,0,1]
	v_pk_fma_f32 v[2:3], v[2:3], v[164:165], v[18:19] op_sel:[0,0,1] op_sel_hi:[1,0,0]
	v_mov_b32_e32 v21, v3
	v_pk_add_f32 v[2:3], v[16:17], v[20:21]
	v_mov_b32_e32 v16, v163
	v_pk_mul_f32 v[16:17], v[4:5], v[16:17] op_sel_hi:[1,0]
	v_pk_fma_f32 v[18:19], v[4:5], v[162:163], v[16:17] op_sel:[0,0,1] op_sel_hi:[1,1,0] neg_lo:[0,0,1] neg_hi:[0,0,1]
	v_pk_fma_f32 v[4:5], v[4:5], v[162:163], v[16:17] op_sel:[0,0,1] op_sel_hi:[1,0,0]
	v_mov_b32_e32 v4, v161
	v_mov_b32_e32 v19, v5
	s_waitcnt lgkmcnt(2)
	v_pk_mul_f32 v[4:5], v[6:7], v[4:5] op_sel_hi:[1,0]
	v_pk_fma_f32 v[16:17], v[6:7], v[160:161], v[4:5] op_sel:[0,0,1] op_sel_hi:[1,1,0] neg_lo:[0,0,1] neg_hi:[0,0,1]
	v_pk_fma_f32 v[4:5], v[6:7], v[160:161], v[4:5] op_sel:[0,0,1] op_sel_hi:[1,0,0]
	s_waitcnt vmcnt(1)
	v_mov_b32_e32 v4, v175
	v_mov_b32_e32 v17, v5
	v_pk_mul_f32 v[4:5], v[8:9], v[4:5] op_sel_hi:[1,0]
	s_waitcnt vmcnt(0)
	v_pk_fma_f32 v[6:7], v[8:9], v[174:175], v[4:5] op_sel:[0,0,1] op_sel_hi:[1,1,0] neg_lo:[0,0,1] neg_hi:[0,0,1]
	v_pk_fma_f32 v[4:5], v[8:9], v[174:175], v[4:5] op_sel:[0,0,1] op_sel_hi:[1,0,0]
	v_pk_add_f32 v[2:3], v[2:3], v[18:19]
	v_mov_b32_e32 v4, v173
	v_pk_add_f32 v[2:3], v[2:3], v[16:17]
	v_mov_b32_e32 v7, v5
	s_waitcnt lgkmcnt(1)
	v_pk_mul_f32 v[4:5], v[10:11], v[4:5] op_sel_hi:[1,0]
	v_pk_add_f32 v[2:3], v[2:3], v[6:7]
	v_pk_fma_f32 v[6:7], v[10:11], v[172:173], v[4:5] op_sel:[0,0,1] op_sel_hi:[1,1,0] neg_lo:[0,0,1] neg_hi:[0,0,1]
	v_pk_fma_f32 v[4:5], v[10:11], v[172:173], v[4:5] op_sel:[0,0,1] op_sel_hi:[1,0,0]
	v_mov_b32_e32 v4, v171
	v_mov_b32_e32 v7, v5
	v_pk_mul_f32 v[4:5], v[12:13], v[4:5] op_sel_hi:[1,0]
	v_pk_add_f32 v[2:3], v[2:3], v[6:7]
	v_pk_fma_f32 v[6:7], v[12:13], v[170:171], v[4:5] op_sel:[0,0,1] op_sel_hi:[1,1,0] neg_lo:[0,0,1] neg_hi:[0,0,1]
	v_pk_fma_f32 v[4:5], v[12:13], v[170:171], v[4:5] op_sel:[0,0,1] op_sel_hi:[1,0,0]
	v_mov_b32_e32 v4, v169
	v_mov_b32_e32 v7, v5
	s_waitcnt lgkmcnt(0)
	v_pk_mul_f32 v[4:5], v[14:15], v[4:5] op_sel_hi:[1,0]
	v_pk_add_f32 v[2:3], v[2:3], v[6:7]
	v_pk_fma_f32 v[6:7], v[14:15], v[168:169], v[4:5] op_sel:[0,0,1] op_sel_hi:[1,1,0] neg_lo:[0,0,1] neg_hi:[0,0,1]
	v_pk_fma_f32 v[4:5], v[14:15], v[168:169], v[4:5] op_sel:[0,0,1] op_sel_hi:[1,0,0]
	v_mov_b32_e32 v7, v5
	v_pk_add_f32 v[2:3], v[2:3], v[6:7]
	v_pk_add_f32 v[2:3], v[58:59], v[2:3] neg_lo:[0,1] neg_hi:[0,1]
	buffer_store_dword v3, off, s[0:3], 0 offset:36
	buffer_store_dword v2, off, s[0:3], 0 offset:32
	s_and_saveexec_b64 s[4:5], vcc
	s_cbranch_execz .LBB63_391
; %bb.390:
	buffer_load_dword v2, off, s[0:3], 0 offset:24
	buffer_load_dword v3, off, s[0:3], 0 offset:28
	s_waitcnt vmcnt(0)
	ds_write_b64 v223, v[2:3]
	buffer_store_dword v1, off, s[0:3], 0 offset:24
	buffer_store_dword v1, off, s[0:3], 0 offset:28
.LBB63_391:
	s_or_b64 exec, exec, s[4:5]
	s_waitcnt lgkmcnt(0)
	; wave barrier
	s_waitcnt lgkmcnt(0)
	buffer_load_dword v65, off, s[0:3], 0 offset:36
	buffer_load_dword v64, off, s[0:3], 0 offset:44
	;; [unrolled: 1-line block ×40, first 2 shown]
	ds_read_b128 v[26:29], v1 offset:544
	ds_read_b128 v[22:25], v1 offset:560
	;; [unrolled: 1-line block ×7, first 2 shown]
	buffer_load_dword v98, off, s[0:3], 0 offset:184
	buffer_load_dword v99, off, s[0:3], 0 offset:188
	;; [unrolled: 1-line block ×12, first 2 shown]
	v_cmp_lt_u32_e32 vcc, 2, v0
	s_waitcnt vmcnt(51) lgkmcnt(6)
	v_mul_f32_e32 v30, v26, v65
	s_waitcnt vmcnt(50)
	v_mul_f32_e32 v31, v28, v64
	s_waitcnt vmcnt(49) lgkmcnt(5)
	v_mul_f32_e32 v33, v24, v63
	s_waitcnt vmcnt(48) lgkmcnt(4)
	v_mul_f32_e32 v34, v18, v62
	s_waitcnt vmcnt(47)
	v_mul_f32_e32 v35, v20, v60
	s_waitcnt vmcnt(46)
	v_mul_f32_e32 v32, v22, v66
	s_waitcnt vmcnt(45) lgkmcnt(3)
	v_mul_f32_e32 v36, v14, v61
	s_waitcnt vmcnt(44)
	v_mul_f32_e32 v37, v16, v67
	s_waitcnt vmcnt(43) lgkmcnt(2)
	;; [unrolled: 4-line block ×3, first 2 shown]
	v_mul_f32_e32 v40, v6, v70
	s_waitcnt vmcnt(40)
	v_mul_f32_e32 v41, v8, v71
	s_waitcnt vmcnt(39)
	v_fmac_f32_e32 v32, v23, v77
	s_waitcnt vmcnt(38)
	v_fmac_f32_e32 v31, v29, v80
	;; [unrolled: 2-line block ×3, first 2 shown]
	v_add_f32_e32 v30, 0, v30
	v_add_f32_e32 v30, v30, v31
	;; [unrolled: 1-line block ×3, first 2 shown]
	s_waitcnt vmcnt(33)
	v_fmac_f32_e32 v33, v25, v82
	v_fmac_f32_e32 v34, v19, v79
	v_add_f32_e32 v30, v30, v33
	v_fmac_f32_e32 v35, v21, v76
	v_add_f32_e32 v30, v30, v34
	;; [unrolled: 2-line block ×3, first 2 shown]
	s_waitcnt vmcnt(29)
	v_fmac_f32_e32 v37, v17, v78
	v_add_f32_e32 v30, v30, v36
	v_fmac_f32_e32 v38, v11, v75
	v_add_f32_e32 v30, v30, v37
	;; [unrolled: 2-line block ×4, first 2 shown]
	v_add_f32_e32 v30, v30, v40
	s_waitcnt vmcnt(25)
	v_fmac_f32_e32 v41, v9, v89
	v_add_f32_e32 v34, v30, v41
	ds_read_b128 v[30:33], v1 offset:656
	s_waitcnt vmcnt(24) lgkmcnt(1)
	v_mul_f32_e32 v35, v2, v88
	buffer_load_dword v177, off, s[0:3], 0 offset:232
	buffer_load_dword v178, off, s[0:3], 0 offset:236
	v_fmac_f32_e32 v35, v3, v86
	v_add_f32_e32 v34, v34, v35
	s_waitcnt vmcnt(25)
	v_mul_f32_e32 v35, v4, v87
	buffer_load_dword v179, off, s[0:3], 0 offset:240
	buffer_load_dword v180, off, s[0:3], 0 offset:244
	v_fmac_f32_e32 v35, v5, v84
	v_add_f32_e32 v34, v34, v35
	s_waitcnt vmcnt(26) lgkmcnt(0)
	v_mul_f32_e32 v35, v30, v85
	v_fmac_f32_e32 v35, v31, v81
	v_add_f32_e32 v38, v34, v35
	ds_read_b128 v[34:37], v1 offset:672
	buffer_load_dword v181, off, s[0:3], 0 offset:248
	buffer_load_dword v182, off, s[0:3], 0 offset:252
	s_waitcnt vmcnt(21)
	v_mul_f32_e32 v39, v32, v97
	s_waitcnt vmcnt(20)
	v_fmac_f32_e32 v39, v33, v96
	v_add_f32_e32 v42, v38, v39
	ds_read_b128 v[38:41], v1 offset:688
	buffer_load_dword v183, off, s[0:3], 0 offset:256
	buffer_load_dword v184, off, s[0:3], 0 offset:260
	s_waitcnt lgkmcnt(1)
	v_mul_f32_e32 v43, v34, v91
	buffer_load_dword v185, off, s[0:3], 0 offset:264
	buffer_load_dword v186, off, s[0:3], 0 offset:268
	v_fmac_f32_e32 v43, v35, v90
	v_add_f32_e32 v42, v42, v43
	v_mul_f32_e32 v43, v36, v93
	buffer_load_dword v187, off, s[0:3], 0 offset:272
	buffer_load_dword v188, off, s[0:3], 0 offset:276
	v_fmac_f32_e32 v43, v37, v92
	v_add_f32_e32 v42, v42, v43
	s_waitcnt lgkmcnt(0)
	v_mul_f32_e32 v43, v38, v95
	v_fmac_f32_e32 v43, v39, v94
	v_add_f32_e32 v46, v42, v43
	ds_read_b128 v[42:45], v1 offset:704
	buffer_load_dword v189, off, s[0:3], 0 offset:280
	buffer_load_dword v190, off, s[0:3], 0 offset:284
	s_waitcnt vmcnt(24)
	v_mul_f32_e32 v47, v40, v99
	v_fmac_f32_e32 v47, v41, v98
	v_add_f32_e32 v50, v46, v47
	ds_read_b128 v[46:49], v1 offset:720
	buffer_load_dword v191, off, s[0:3], 0 offset:288
	buffer_load_dword v192, off, s[0:3], 0 offset:292
	;; [unrolled: 1-line block ×12, first 2 shown]
	s_waitcnt vmcnt(34) lgkmcnt(1)
	v_mul_f32_e32 v51, v42, v101
	v_fmac_f32_e32 v51, v43, v100
	buffer_load_dword v203, off, s[0:3], 0 offset:336
	buffer_load_dword v204, off, s[0:3], 0 offset:340
	v_add_f32_e32 v50, v50, v51
	s_waitcnt vmcnt(34)
	v_mul_f32_e32 v51, v44, v103
	v_fmac_f32_e32 v51, v45, v102
	v_add_f32_e32 v50, v50, v51
	s_waitcnt vmcnt(32) lgkmcnt(0)
	v_mul_f32_e32 v51, v46, v105
	v_fmac_f32_e32 v51, v47, v104
	buffer_load_dword v205, off, s[0:3], 0 offset:344
	buffer_load_dword v206, off, s[0:3], 0 offset:348
	v_add_f32_e32 v50, v50, v51
	s_waitcnt vmcnt(32)
	v_mul_f32_e32 v51, v48, v156
	v_fmac_f32_e32 v51, v49, v154
	v_add_f32_e32 v106, v50, v51
	ds_read_b128 v[50:53], v1 offset:736
	buffer_load_dword v207, off, s[0:3], 0 offset:352
	buffer_load_dword v208, off, s[0:3], 0 offset:356
	ds_read_b128 v[54:57], v1 offset:752
	buffer_load_dword v209, off, s[0:3], 0 offset:360
	buffer_load_dword v210, off, s[0:3], 0 offset:364
	;; [unrolled: 1-line block ×14, first 2 shown]
	s_waitcnt vmcnt(46) lgkmcnt(1)
	v_mul_f32_e32 v107, v50, v176
	v_fmac_f32_e32 v107, v51, v164
	v_add_f32_e32 v106, v106, v107
	buffer_load_dword v249, off, s[0:3], 0 offset:416
	buffer_load_dword v250, off, s[0:3], 0 offset:420
	v_mul_f32_e32 v27, v27, v65
	v_fma_f32 v26, v26, v83, -v27
	v_mul_f32_e32 v27, v29, v64
	v_add_f32_e32 v26, 0, v26
	v_fma_f32 v27, v28, v80, -v27
	v_mul_f32_e32 v23, v23, v66
	v_add_f32_e32 v26, v26, v27
	;; [unrolled: 3-line block ×3, first 2 shown]
	v_fma_f32 v23, v24, v82, -v23
	v_mul_f32_e32 v19, v19, v62
	s_waitcnt vmcnt(46)
	v_mul_f32_e32 v107, v52, v178
	v_fmac_f32_e32 v107, v53, v177
	v_add_f32_e32 v106, v106, v107
	v_add_f32_e32 v22, v22, v23
	s_waitcnt vmcnt(44) lgkmcnt(0)
	v_mul_f32_e32 v107, v54, v180
	v_fmac_f32_e32 v107, v55, v179
	v_add_f32_e32 v110, v106, v107
	ds_read_b128 v[106:109], v1 offset:768
	buffer_load_dword v251, off, s[0:3], 0 offset:424
	buffer_load_dword v252, off, s[0:3], 0 offset:428
	;; [unrolled: 1-line block ×4, first 2 shown]
	v_fma_f32 v18, v18, v79, -v19
	s_waitcnt vmcnt(46)
	v_mul_f32_e32 v111, v56, v182
	v_fmac_f32_e32 v111, v57, v181
	v_add_f32_e32 v114, v110, v111
	ds_read_b128 v[110:113], v1 offset:784
	buffer_load_dword v255, off, s[0:3], 0 offset:440
	buffer_load_dword v212, off, s[0:3], 0 offset:444
	s_waitcnt vmcnt(46) lgkmcnt(1)
	v_mul_f32_e32 v115, v106, v184
	v_fmac_f32_e32 v115, v107, v183
	v_add_f32_e32 v114, v114, v115
	s_waitcnt vmcnt(44)
	v_mul_f32_e32 v115, v108, v186
	v_fmac_f32_e32 v115, v109, v185
	v_add_f32_e32 v114, v114, v115
	s_waitcnt vmcnt(42) lgkmcnt(0)
	v_mul_f32_e32 v115, v110, v188
	v_fmac_f32_e32 v115, v111, v187
	v_add_f32_e32 v118, v114, v115
	ds_read_b128 v[114:117], v1 offset:800
	v_mul_f32_e32 v19, v21, v60
	v_add_f32_e32 v18, v22, v18
	v_fma_f32 v19, v20, v76, -v19
	s_waitcnt vmcnt(40)
	v_mul_f32_e32 v119, v112, v190
	v_fmac_f32_e32 v119, v113, v189
	v_add_f32_e32 v122, v118, v119
	ds_read_b128 v[118:121], v1 offset:816
	v_mul_f32_e32 v15, v15, v61
	s_waitcnt vmcnt(38) lgkmcnt(1)
	v_mul_f32_e32 v123, v114, v192
	v_fmac_f32_e32 v123, v115, v191
	v_add_f32_e32 v122, v122, v123
	s_waitcnt vmcnt(36)
	v_mul_f32_e32 v123, v116, v194
	v_fmac_f32_e32 v123, v117, v193
	v_add_f32_e32 v122, v122, v123
	s_waitcnt vmcnt(34) lgkmcnt(0)
	v_mul_f32_e32 v123, v118, v196
	v_fmac_f32_e32 v123, v119, v195
	v_add_f32_e32 v126, v122, v123
	ds_read_b128 v[122:125], v1 offset:832
	s_waitcnt vmcnt(32)
	v_mul_f32_e32 v127, v120, v198
	v_fmac_f32_e32 v127, v121, v197
	v_add_f32_e32 v130, v126, v127
	ds_read_b128 v[126:129], v1 offset:848
	s_waitcnt vmcnt(30) lgkmcnt(1)
	v_mul_f32_e32 v131, v122, v200
	v_fmac_f32_e32 v131, v123, v199
	v_add_f32_e32 v130, v130, v131
	s_waitcnt vmcnt(28)
	v_mul_f32_e32 v131, v124, v202
	v_fmac_f32_e32 v131, v125, v201
	v_add_f32_e32 v130, v130, v131
	s_waitcnt vmcnt(26) lgkmcnt(0)
	v_mul_f32_e32 v131, v126, v204
	v_fmac_f32_e32 v131, v127, v203
	v_add_f32_e32 v134, v130, v131
	ds_read_b128 v[130:133], v1 offset:864
	s_waitcnt vmcnt(24)
	v_mul_f32_e32 v135, v128, v206
	v_fmac_f32_e32 v135, v129, v205
	v_add_f32_e32 v138, v134, v135
	ds_read_b128 v[134:137], v1 offset:880
	s_waitcnt vmcnt(22) lgkmcnt(1)
	v_mul_f32_e32 v139, v130, v208
	v_fmac_f32_e32 v139, v131, v207
	v_add_f32_e32 v138, v138, v139
	s_waitcnt vmcnt(20)
	v_mul_f32_e32 v139, v132, v210
	v_fmac_f32_e32 v139, v133, v209
	v_add_f32_e32 v138, v138, v139
	s_waitcnt vmcnt(18) lgkmcnt(0)
	v_mul_f32_e32 v139, v134, v238
	v_fmac_f32_e32 v139, v135, v211
	v_add_f32_e32 v142, v138, v139
	ds_read_b128 v[138:141], v1 offset:896
	s_waitcnt vmcnt(16)
	v_mul_f32_e32 v143, v136, v240
	v_fmac_f32_e32 v143, v137, v239
	v_add_f32_e32 v146, v142, v143
	ds_read_b128 v[142:145], v1 offset:912
	s_waitcnt vmcnt(14) lgkmcnt(1)
	v_mul_f32_e32 v147, v138, v242
	v_fmac_f32_e32 v147, v139, v241
	v_add_f32_e32 v146, v146, v147
	s_waitcnt vmcnt(12)
	v_mul_f32_e32 v147, v140, v244
	v_fmac_f32_e32 v147, v141, v243
	v_add_f32_e32 v18, v18, v19
	v_fma_f32 v14, v14, v74, -v15
	v_mul_f32_e32 v15, v17, v67
	v_add_f32_e32 v146, v146, v147
	s_waitcnt vmcnt(10) lgkmcnt(0)
	v_mul_f32_e32 v147, v142, v246
	v_add_f32_e32 v14, v18, v14
	v_fma_f32 v15, v16, v78, -v15
	v_mul_f32_e32 v11, v11, v68
	v_fmac_f32_e32 v147, v143, v245
	s_waitcnt vmcnt(8)
	v_mul_f32_e32 v151, v144, v248
	v_add_f32_e32 v14, v14, v15
	v_fma_f32 v10, v10, v75, -v11
	v_mul_f32_e32 v11, v13, v69
	v_add_f32_e32 v150, v146, v147
	v_fmac_f32_e32 v151, v145, v247
	v_add_f32_e32 v10, v14, v10
	v_fma_f32 v11, v12, v73, -v11
	v_mul_f32_e32 v7, v7, v70
	ds_read_b128 v[146:149], v1 offset:928
	v_add_f32_e32 v155, v150, v151
	ds_read_b128 v[150:153], v1 offset:944
	buffer_load_dword v159, off, s[0:3], 0 offset:468
	buffer_load_dword v158, off, s[0:3], 0 offset:464
	;; [unrolled: 1-line block ×6, first 2 shown]
	v_add_f32_e32 v10, v10, v11
	v_fma_f32 v6, v6, v72, -v7
	v_mul_f32_e32 v7, v9, v71
	v_add_f32_e32 v6, v10, v6
	v_fma_f32 v7, v8, v89, -v7
	v_mul_f32_e32 v3, v3, v88
	;; [unrolled: 3-line block ×3, first 2 shown]
	v_add_f32_e32 v2, v6, v2
	v_fma_f32 v3, v4, v84, -v3
	v_add_f32_e32 v2, v2, v3
	v_mul_f32_e32 v3, v31, v85
	v_fma_f32 v3, v30, v81, -v3
	v_add_f32_e32 v2, v2, v3
	v_mul_f32_e32 v3, v33, v97
	;; [unrolled: 3-line block ×4, first 2 shown]
	v_fma_f32 v3, v36, v92, -v3
	buffer_load_dword v167, off, s[0:3], 0 offset:500
	buffer_load_dword v166, off, s[0:3], 0 offset:496
	;; [unrolled: 1-line block ×10, first 2 shown]
	v_add_f32_e32 v2, v2, v3
	v_mul_f32_e32 v3, v39, v95
	v_fma_f32 v3, v38, v94, -v3
	v_add_f32_e32 v2, v2, v3
	v_mul_f32_e32 v3, v41, v99
	v_fma_f32 v3, v40, v98, -v3
	;; [unrolled: 3-line block ×30, first 2 shown]
	v_add_f32_e32 v2, v2, v3
	s_waitcnt vmcnt(22) lgkmcnt(1)
	v_mul_f32_e32 v3, v147, v250
	v_fma_f32 v3, v146, v249, -v3
	v_add_f32_e32 v2, v2, v3
	s_waitcnt vmcnt(20)
	v_mul_f32_e32 v3, v149, v252
	v_mul_f32_e32 v157, v146, v250
	v_fma_f32 v3, v148, v251, -v3
	v_fmac_f32_e32 v157, v147, v249
	v_add_f32_e32 v154, v2, v3
	s_waitcnt vmcnt(18) lgkmcnt(0)
	v_mul_f32_e32 v2, v151, v254
	v_add_f32_e32 v155, v155, v157
	v_mul_f32_e32 v157, v148, v252
	v_fma_f32 v156, v150, v253, -v2
	s_waitcnt vmcnt(16)
	v_mul_f32_e32 v2, v153, v212
	v_fmac_f32_e32 v157, v149, v251
	v_fma_f32 v164, v152, v255, -v2
	ds_read_b128 v[2:5], v1 offset:960
	ds_read_b128 v[6:9], v1 offset:976
	;; [unrolled: 1-line block ×4, first 2 shown]
	v_add_f32_e32 v155, v155, v157
	v_mul_f32_e32 v157, v150, v254
	s_waitcnt vmcnt(11)
	v_mov_b32_e32 v20, v163
	v_fmac_f32_e32 v157, v151, v253
	v_mul_f32_e32 v165, v152, v212
	s_waitcnt lgkmcnt(3)
	v_pk_mul_f32 v[20:21], v[2:3], v[20:21] op_sel_hi:[1,0]
	v_fmac_f32_e32 v165, v153, v255
	v_pk_add_f32 v[18:19], v[154:155], v[156:157]
	s_waitcnt vmcnt(10)
	v_pk_fma_f32 v[22:23], v[2:3], v[162:163], v[20:21] op_sel:[0,0,1] op_sel_hi:[1,1,0] neg_lo:[0,0,1] neg_hi:[0,0,1]
	v_pk_fma_f32 v[2:3], v[2:3], v[162:163], v[20:21] op_sel:[0,0,1] op_sel_hi:[1,0,0]
	v_pk_add_f32 v[18:19], v[18:19], v[164:165]
	v_mov_b32_e32 v23, v3
	v_pk_add_f32 v[2:3], v[18:19], v[22:23]
	v_mov_b32_e32 v18, v161
	v_pk_mul_f32 v[18:19], v[4:5], v[18:19] op_sel_hi:[1,0]
	v_pk_fma_f32 v[20:21], v[4:5], v[160:161], v[18:19] op_sel:[0,0,1] op_sel_hi:[1,1,0] neg_lo:[0,0,1] neg_hi:[0,0,1]
	v_pk_fma_f32 v[4:5], v[4:5], v[160:161], v[18:19] op_sel:[0,0,1] op_sel_hi:[1,0,0]
	v_mov_b32_e32 v4, v159
	v_mov_b32_e32 v21, v5
	s_waitcnt lgkmcnt(2)
	v_pk_mul_f32 v[4:5], v[6:7], v[4:5] op_sel_hi:[1,0]
	v_pk_fma_f32 v[18:19], v[6:7], v[158:159], v[4:5] op_sel:[0,0,1] op_sel_hi:[1,1,0] neg_lo:[0,0,1] neg_hi:[0,0,1]
	v_pk_fma_f32 v[4:5], v[6:7], v[158:159], v[4:5] op_sel:[0,0,1] op_sel_hi:[1,0,0]
	s_waitcnt vmcnt(3)
	v_mov_b32_e32 v4, v173
	v_mov_b32_e32 v19, v5
	v_pk_mul_f32 v[4:5], v[8:9], v[4:5] op_sel_hi:[1,0]
	s_waitcnt vmcnt(2)
	v_pk_fma_f32 v[6:7], v[8:9], v[172:173], v[4:5] op_sel:[0,0,1] op_sel_hi:[1,1,0] neg_lo:[0,0,1] neg_hi:[0,0,1]
	v_pk_fma_f32 v[4:5], v[8:9], v[172:173], v[4:5] op_sel:[0,0,1] op_sel_hi:[1,0,0]
	v_pk_add_f32 v[2:3], v[2:3], v[20:21]
	v_mov_b32_e32 v4, v171
	v_pk_add_f32 v[2:3], v[2:3], v[18:19]
	v_mov_b32_e32 v7, v5
	s_waitcnt lgkmcnt(1)
	v_pk_mul_f32 v[4:5], v[10:11], v[4:5] op_sel_hi:[1,0]
	v_pk_add_f32 v[2:3], v[2:3], v[6:7]
	v_pk_fma_f32 v[6:7], v[10:11], v[170:171], v[4:5] op_sel:[0,0,1] op_sel_hi:[1,1,0] neg_lo:[0,0,1] neg_hi:[0,0,1]
	v_pk_fma_f32 v[4:5], v[10:11], v[170:171], v[4:5] op_sel:[0,0,1] op_sel_hi:[1,0,0]
	v_mov_b32_e32 v4, v169
	v_mov_b32_e32 v7, v5
	v_pk_mul_f32 v[4:5], v[12:13], v[4:5] op_sel_hi:[1,0]
	v_pk_add_f32 v[2:3], v[2:3], v[6:7]
	v_pk_fma_f32 v[6:7], v[12:13], v[168:169], v[4:5] op_sel:[0,0,1] op_sel_hi:[1,1,0] neg_lo:[0,0,1] neg_hi:[0,0,1]
	v_pk_fma_f32 v[4:5], v[12:13], v[168:169], v[4:5] op_sel:[0,0,1] op_sel_hi:[1,0,0]
	v_mov_b32_e32 v4, v167
	v_mov_b32_e32 v7, v5
	s_waitcnt lgkmcnt(0)
	v_pk_mul_f32 v[4:5], v[14:15], v[4:5] op_sel_hi:[1,0]
	v_pk_add_f32 v[2:3], v[2:3], v[6:7]
	v_pk_fma_f32 v[6:7], v[14:15], v[166:167], v[4:5] op_sel:[0,0,1] op_sel_hi:[1,1,0] neg_lo:[0,0,1] neg_hi:[0,0,1]
	v_pk_fma_f32 v[4:5], v[14:15], v[166:167], v[4:5] op_sel:[0,0,1] op_sel_hi:[1,0,0]
	s_waitcnt vmcnt(1)
	v_mov_b32_e32 v4, v175
	v_mov_b32_e32 v7, v5
	v_pk_mul_f32 v[4:5], v[16:17], v[4:5] op_sel_hi:[1,0]
	v_pk_add_f32 v[2:3], v[2:3], v[6:7]
	s_waitcnt vmcnt(0)
	v_pk_fma_f32 v[6:7], v[16:17], v[174:175], v[4:5] op_sel:[0,0,1] op_sel_hi:[1,1,0] neg_lo:[0,0,1] neg_hi:[0,0,1]
	v_pk_fma_f32 v[4:5], v[16:17], v[174:175], v[4:5] op_sel:[0,0,1] op_sel_hi:[1,0,0]
	v_mov_b32_e32 v7, v5
	v_pk_add_f32 v[2:3], v[2:3], v[6:7]
	v_pk_add_f32 v[2:3], v[58:59], v[2:3] neg_lo:[0,1] neg_hi:[0,1]
	buffer_store_dword v3, off, s[0:3], 0 offset:28
	buffer_store_dword v2, off, s[0:3], 0 offset:24
	s_and_saveexec_b64 s[4:5], vcc
	s_cbranch_execz .LBB63_393
; %bb.392:
	buffer_load_dword v2, off, s[0:3], 0 offset:16
	buffer_load_dword v3, off, s[0:3], 0 offset:20
	v_mov_b32_e32 v1, 0
	buffer_store_dword v1, off, s[0:3], 0 offset:16
	buffer_store_dword v1, off, s[0:3], 0 offset:20
	s_waitcnt vmcnt(2)
	ds_write_b64 v223, v[2:3]
.LBB63_393:
	s_or_b64 exec, exec, s[4:5]
	v_mov_b32_e32 v1, 0
	s_waitcnt lgkmcnt(0)
	; wave barrier
	s_waitcnt lgkmcnt(0)
	ds_read2_b64 v[2:5], v1 offset0:67 offset1:68
	buffer_load_dword v238, off, s[0:3], 0 offset:16
	buffer_load_dword v239, off, s[0:3], 0 offset:20
	;; [unrolled: 1-line block ×16, first 2 shown]
	v_cmp_lt_u32_e32 vcc, 1, v0
	s_waitcnt vmcnt(12) lgkmcnt(0)
	v_mul_f32_e32 v6, v2, v116
	v_fmac_f32_e32 v6, v3, v240
	s_waitcnt vmcnt(10)
	v_mul_f32_e32 v7, v4, v118
	v_add_f32_e32 v6, 0, v6
	v_fmac_f32_e32 v7, v5, v242
	v_add_f32_e32 v10, v6, v7
	ds_read2_b64 v[6:9], v1 offset0:69 offset1:70
	v_mul_f32_e32 v3, v3, v116
	v_fma_f32 v2, v2, v240, -v3
	v_mul_f32_e32 v3, v5, v118
	v_add_f32_e32 v2, 0, v2
	s_waitcnt vmcnt(8) lgkmcnt(0)
	v_mul_f32_e32 v11, v6, v120
	v_fmac_f32_e32 v11, v7, v246
	v_add_f32_e32 v10, v10, v11
	s_waitcnt vmcnt(6)
	v_mul_f32_e32 v11, v8, v122
	v_fmac_f32_e32 v11, v9, v117
	v_add_f32_e32 v14, v10, v11
	ds_read2_b64 v[10:13], v1 offset0:71 offset1:72
	v_fma_f32 v3, v4, v242, -v3
	v_add_f32_e32 v2, v2, v3
	v_mul_f32_e32 v3, v7, v120
	v_fma_f32 v3, v6, v246, -v3
	s_waitcnt vmcnt(4) lgkmcnt(0)
	v_mul_f32_e32 v15, v10, v124
	v_fmac_f32_e32 v15, v11, v119
	v_add_f32_e32 v14, v14, v15
	s_waitcnt vmcnt(2)
	v_mul_f32_e32 v15, v12, v125
	v_fmac_f32_e32 v15, v13, v121
	v_add_f32_e32 v18, v14, v15
	ds_read2_b64 v[14:17], v1 offset0:73 offset1:74
	buffer_load_dword v127, off, s[0:3], 0 offset:80
	buffer_load_dword v128, off, s[0:3], 0 offset:84
	v_add_f32_e32 v2, v2, v3
	v_mul_f32_e32 v3, v9, v122
	v_fma_f32 v3, v8, v117, -v3
	s_waitcnt vmcnt(2) lgkmcnt(0)
	v_mul_f32_e32 v19, v14, v126
	v_fmac_f32_e32 v19, v15, v123
	v_add_f32_e32 v18, v18, v19
	v_add_f32_e32 v2, v2, v3
	v_mul_f32_e32 v3, v11, v124
	v_fma_f32 v3, v10, v119, -v3
	v_add_f32_e32 v2, v2, v3
	v_mul_f32_e32 v3, v13, v125
	v_fma_f32 v3, v12, v121, -v3
	;; [unrolled: 3-line block ×3, first 2 shown]
	v_add_f32_e32 v2, v2, v3
	s_waitcnt vmcnt(0)
	v_mul_f32_e32 v19, v16, v128
	v_fmac_f32_e32 v19, v17, v127
	v_add_f32_e32 v22, v18, v19
	ds_read2_b64 v[18:21], v1 offset0:75 offset1:76
	buffer_load_dword v129, off, s[0:3], 0 offset:88
	buffer_load_dword v130, off, s[0:3], 0 offset:92
	;; [unrolled: 1-line block ×4, first 2 shown]
	v_mul_f32_e32 v3, v17, v128
	v_fma_f32 v3, v16, v127, -v3
	v_add_f32_e32 v2, v2, v3
	s_waitcnt vmcnt(2) lgkmcnt(0)
	v_mul_f32_e32 v23, v18, v130
	v_fmac_f32_e32 v23, v19, v129
	v_add_f32_e32 v22, v22, v23
	s_waitcnt vmcnt(0)
	v_mul_f32_e32 v23, v20, v132
	v_fmac_f32_e32 v23, v21, v131
	v_add_f32_e32 v26, v22, v23
	ds_read2_b64 v[22:25], v1 offset0:77 offset1:78
	buffer_load_dword v133, off, s[0:3], 0 offset:104
	buffer_load_dword v134, off, s[0:3], 0 offset:108
	buffer_load_dword v135, off, s[0:3], 0 offset:112
	buffer_load_dword v136, off, s[0:3], 0 offset:116
	v_mul_f32_e32 v3, v19, v130
	v_fma_f32 v3, v18, v129, -v3
	v_add_f32_e32 v2, v2, v3
	v_mul_f32_e32 v3, v21, v132
	v_fma_f32 v3, v20, v131, -v3
	v_add_f32_e32 v2, v2, v3
	s_waitcnt vmcnt(2) lgkmcnt(0)
	v_mul_f32_e32 v27, v22, v134
	v_fmac_f32_e32 v27, v23, v133
	v_add_f32_e32 v26, v26, v27
	s_waitcnt vmcnt(0)
	v_mul_f32_e32 v27, v24, v136
	v_fmac_f32_e32 v27, v25, v135
	v_add_f32_e32 v30, v26, v27
	ds_read2_b64 v[26:29], v1 offset0:79 offset1:80
	buffer_load_dword v137, off, s[0:3], 0 offset:120
	buffer_load_dword v138, off, s[0:3], 0 offset:124
	buffer_load_dword v139, off, s[0:3], 0 offset:128
	buffer_load_dword v140, off, s[0:3], 0 offset:132
	v_mul_f32_e32 v3, v23, v134
	v_fma_f32 v3, v22, v133, -v3
	v_add_f32_e32 v2, v2, v3
	;; [unrolled: 19-line block ×7, first 2 shown]
	v_mul_f32_e32 v3, v45, v156
	v_fma_f32 v3, v44, v155, -v3
	v_add_f32_e32 v2, v2, v3
	s_waitcnt vmcnt(2) lgkmcnt(0)
	v_mul_f32_e32 v51, v46, v158
	v_fmac_f32_e32 v51, v47, v157
	v_add_f32_e32 v50, v50, v51
	s_waitcnt vmcnt(0)
	v_mul_f32_e32 v51, v48, v160
	v_fmac_f32_e32 v51, v49, v159
	v_add_f32_e32 v54, v50, v51
	ds_read2_b64 v[50:53], v1 offset0:91 offset1:92
	buffer_load_dword v161, off, s[0:3], 0 offset:216
	buffer_load_dword v162, off, s[0:3], 0 offset:220
	buffer_load_dword v163, off, s[0:3], 0 offset:224
	buffer_load_dword v164, off, s[0:3], 0 offset:228
	ds_read2_b64 v[58:61], v1 offset0:93 offset1:94
	buffer_load_dword v165, off, s[0:3], 0 offset:232
	buffer_load_dword v166, off, s[0:3], 0 offset:236
	buffer_load_dword v167, off, s[0:3], 0 offset:240
	buffer_load_dword v168, off, s[0:3], 0 offset:244
	;; [unrolled: 5-line block ×14, first 2 shown]
	v_mul_f32_e32 v3, v47, v158
	v_fma_f32 v3, v46, v157, -v3
	v_add_f32_e32 v2, v2, v3
	v_mul_f32_e32 v3, v49, v160
	v_fma_f32 v3, v48, v159, -v3
	v_add_f32_e32 v2, v2, v3
	s_waitcnt vmcnt(54) lgkmcnt(13)
	v_mul_f32_e32 v55, v50, v162
	v_fmac_f32_e32 v55, v51, v161
	v_add_f32_e32 v54, v54, v55
	s_waitcnt vmcnt(52)
	v_mul_f32_e32 v55, v52, v164
	v_fmac_f32_e32 v55, v53, v163
	v_add_f32_e32 v54, v54, v55
	s_waitcnt vmcnt(50) lgkmcnt(12)
	v_mul_f32_e32 v55, v58, v166
	v_fmac_f32_e32 v55, v59, v165
	v_add_f32_e32 v54, v54, v55
	s_waitcnt vmcnt(48)
	v_mul_f32_e32 v55, v60, v168
	v_fmac_f32_e32 v55, v61, v167
	;; [unrolled: 8-line block ×13, first 2 shown]
	v_add_f32_e32 v54, v54, v55
	s_waitcnt vmcnt(2) lgkmcnt(0)
	v_mul_f32_e32 v55, v106, v214
	v_fmac_f32_e32 v55, v107, v213
	v_add_f32_e32 v241, v54, v55
	ds_read2_b64 v[54:57], v1 offset0:119 offset1:120
	buffer_load_dword v217, off, s[0:3], 0 offset:440
	buffer_load_dword v218, off, s[0:3], 0 offset:444
	;; [unrolled: 1-line block ×18, first 2 shown]
	v_mul_f32_e32 v3, v51, v162
	v_fma_f32 v3, v50, v161, -v3
	v_add_f32_e32 v2, v2, v3
	v_mul_f32_e32 v3, v53, v164
	v_fma_f32 v3, v52, v163, -v3
	v_add_f32_e32 v2, v2, v3
	;; [unrolled: 3-line block ×27, first 2 shown]
	s_waitcnt vmcnt(18)
	v_mul_f32_e32 v2, v109, v216
	s_waitcnt vmcnt(15)
	v_mov_b32_e32 v18, v245
	v_mul_f32_e32 v243, v108, v216
	v_fma_f32 v242, v108, v215, -v2
	s_waitcnt lgkmcnt(0)
	v_mul_f32_e32 v2, v55, v218
	v_pk_mul_f32 v[18:19], v[56:57], v[18:19] op_sel_hi:[1,0]
	v_fmac_f32_e32 v243, v109, v215
	v_mul_f32_e32 v247, v54, v218
	v_fma_f32 v246, v54, v217, -v2
	ds_read2_b64 v[2:5], v1 offset0:121 offset1:122
	ds_read2_b64 v[6:9], v1 offset0:123 offset1:124
	;; [unrolled: 1-line block ×3, first 2 shown]
	ds_read_b64 v[14:15], v1 offset:1016
	s_waitcnt vmcnt(14)
	v_pk_fma_f32 v[20:21], v[56:57], v[244:245], v[18:19] op_sel:[0,0,1] op_sel_hi:[1,1,0] neg_lo:[0,0,1] neg_hi:[0,0,1]
	v_pk_fma_f32 v[18:19], v[56:57], v[244:245], v[18:19] op_sel:[0,0,1] op_sel_hi:[1,0,0]
	v_fmac_f32_e32 v247, v55, v217
	v_pk_add_f32 v[16:17], v[240:241], v[242:243]
	s_waitcnt vmcnt(13)
	v_mov_b32_e32 v18, v115
	v_pk_add_f32 v[16:17], v[16:17], v[246:247]
	v_mov_b32_e32 v21, v19
	s_waitcnt lgkmcnt(3)
	v_pk_mul_f32 v[18:19], v[2:3], v[18:19] op_sel_hi:[1,0]
	v_pk_add_f32 v[16:17], v[16:17], v[20:21]
	s_waitcnt vmcnt(12)
	v_pk_fma_f32 v[20:21], v[2:3], v[114:115], v[18:19] op_sel:[0,0,1] op_sel_hi:[1,1,0] neg_lo:[0,0,1] neg_hi:[0,0,1]
	v_pk_fma_f32 v[2:3], v[2:3], v[114:115], v[18:19] op_sel:[0,0,1] op_sel_hi:[1,0,0]
	v_mov_b32_e32 v21, v3
	v_pk_add_f32 v[2:3], v[16:17], v[20:21]
	s_waitcnt vmcnt(11)
	v_mov_b32_e32 v16, v113
	v_pk_mul_f32 v[16:17], v[4:5], v[16:17] op_sel_hi:[1,0]
	s_waitcnt vmcnt(10)
	v_pk_fma_f32 v[18:19], v[4:5], v[112:113], v[16:17] op_sel:[0,0,1] op_sel_hi:[1,1,0] neg_lo:[0,0,1] neg_hi:[0,0,1]
	v_pk_fma_f32 v[4:5], v[4:5], v[112:113], v[16:17] op_sel:[0,0,1] op_sel_hi:[1,0,0]
	s_waitcnt vmcnt(9)
	v_mov_b32_e32 v4, v111
	v_mov_b32_e32 v19, v5
	s_waitcnt lgkmcnt(2)
	v_pk_mul_f32 v[4:5], v[6:7], v[4:5] op_sel_hi:[1,0]
	s_waitcnt vmcnt(8)
	v_pk_fma_f32 v[16:17], v[6:7], v[110:111], v[4:5] op_sel:[0,0,1] op_sel_hi:[1,1,0] neg_lo:[0,0,1] neg_hi:[0,0,1]
	v_pk_fma_f32 v[4:5], v[6:7], v[110:111], v[4:5] op_sel:[0,0,1] op_sel_hi:[1,0,0]
	s_waitcnt vmcnt(7)
	v_mov_b32_e32 v4, v255
	v_mov_b32_e32 v17, v5
	v_pk_mul_f32 v[4:5], v[8:9], v[4:5] op_sel_hi:[1,0]
	s_waitcnt vmcnt(6)
	v_pk_fma_f32 v[6:7], v[8:9], v[254:255], v[4:5] op_sel:[0,0,1] op_sel_hi:[1,1,0] neg_lo:[0,0,1] neg_hi:[0,0,1]
	v_pk_fma_f32 v[4:5], v[8:9], v[254:255], v[4:5] op_sel:[0,0,1] op_sel_hi:[1,0,0]
	v_pk_add_f32 v[2:3], v[2:3], v[18:19]
	s_waitcnt vmcnt(5)
	v_mov_b32_e32 v4, v253
	v_pk_add_f32 v[2:3], v[2:3], v[16:17]
	v_mov_b32_e32 v7, v5
	s_waitcnt lgkmcnt(1)
	v_pk_mul_f32 v[4:5], v[10:11], v[4:5] op_sel_hi:[1,0]
	v_pk_add_f32 v[2:3], v[2:3], v[6:7]
	s_waitcnt vmcnt(4)
	v_pk_fma_f32 v[6:7], v[10:11], v[252:253], v[4:5] op_sel:[0,0,1] op_sel_hi:[1,1,0] neg_lo:[0,0,1] neg_hi:[0,0,1]
	v_pk_fma_f32 v[4:5], v[10:11], v[252:253], v[4:5] op_sel:[0,0,1] op_sel_hi:[1,0,0]
	s_waitcnt vmcnt(3)
	v_mov_b32_e32 v4, v251
	v_mov_b32_e32 v7, v5
	v_pk_mul_f32 v[4:5], v[12:13], v[4:5] op_sel_hi:[1,0]
	v_pk_add_f32 v[2:3], v[2:3], v[6:7]
	s_waitcnt vmcnt(2)
	v_pk_fma_f32 v[6:7], v[12:13], v[250:251], v[4:5] op_sel:[0,0,1] op_sel_hi:[1,1,0] neg_lo:[0,0,1] neg_hi:[0,0,1]
	v_pk_fma_f32 v[4:5], v[12:13], v[250:251], v[4:5] op_sel:[0,0,1] op_sel_hi:[1,0,0]
	s_waitcnt vmcnt(1)
	v_mov_b32_e32 v4, v249
	v_mov_b32_e32 v7, v5
	s_waitcnt lgkmcnt(0)
	v_pk_mul_f32 v[4:5], v[14:15], v[4:5] op_sel_hi:[1,0]
	v_pk_add_f32 v[2:3], v[2:3], v[6:7]
	s_waitcnt vmcnt(0)
	v_pk_fma_f32 v[6:7], v[14:15], v[248:249], v[4:5] op_sel:[0,0,1] op_sel_hi:[1,1,0] neg_lo:[0,0,1] neg_hi:[0,0,1]
	v_pk_fma_f32 v[4:5], v[14:15], v[248:249], v[4:5] op_sel:[0,0,1] op_sel_hi:[1,0,0]
	v_mov_b32_e32 v7, v5
	v_pk_add_f32 v[2:3], v[2:3], v[6:7]
	v_pk_add_f32 v[2:3], v[238:239], v[2:3] neg_lo:[0,1] neg_hi:[0,1]
	buffer_store_dword v3, off, s[0:3], 0 offset:20
	buffer_store_dword v2, off, s[0:3], 0 offset:16
	s_and_saveexec_b64 s[4:5], vcc
	s_cbranch_execz .LBB63_395
; %bb.394:
	buffer_load_dword v2, off, s[0:3], 0 offset:8
	buffer_load_dword v3, off, s[0:3], 0 offset:12
	s_waitcnt vmcnt(0)
	ds_write_b64 v223, v[2:3]
	buffer_store_dword v1, off, s[0:3], 0 offset:8
	buffer_store_dword v1, off, s[0:3], 0 offset:12
.LBB63_395:
	s_or_b64 exec, exec, s[4:5]
	s_waitcnt lgkmcnt(0)
	; wave barrier
	s_waitcnt lgkmcnt(0)
	buffer_load_dword v74, off, s[0:3], 0 offset:20
	buffer_load_dword v72, off, s[0:3], 0 offset:28
	;; [unrolled: 1-line block ×40, first 2 shown]
	ds_read_b128 v[22:25], v1 offset:528
	ds_read_b128 v[18:21], v1 offset:544
	;; [unrolled: 1-line block ×6, first 2 shown]
	buffer_load_dword v106, off, s[0:3], 0 offset:168
	buffer_load_dword v107, off, s[0:3], 0 offset:172
	;; [unrolled: 1-line block ×14, first 2 shown]
	v_cmp_ne_u32_e32 vcc, 0, v0
	s_waitcnt vmcnt(53) lgkmcnt(5)
	v_mul_f32_e32 v26, v22, v74
	s_waitcnt vmcnt(52)
	v_mul_f32_e32 v27, v24, v72
	s_waitcnt vmcnt(51) lgkmcnt(4)
	v_mul_f32_e32 v29, v20, v71
	s_waitcnt vmcnt(50) lgkmcnt(3)
	v_mul_f32_e32 v30, v14, v70
	s_waitcnt vmcnt(49)
	v_mul_f32_e32 v31, v16, v68
	s_waitcnt vmcnt(48)
	v_mul_f32_e32 v28, v18, v73
	s_waitcnt vmcnt(47) lgkmcnt(2)
	v_mul_f32_e32 v32, v10, v69
	s_waitcnt vmcnt(46)
	v_mul_f32_e32 v33, v12, v75
	s_waitcnt vmcnt(45) lgkmcnt(1)
	;; [unrolled: 4-line block ×3, first 2 shown]
	v_mul_f32_e32 v36, v2, v78
	s_waitcnt vmcnt(42)
	v_fmac_f32_e32 v28, v19, v84
	s_waitcnt vmcnt(41)
	v_fmac_f32_e32 v27, v25, v87
	;; [unrolled: 2-line block ×3, first 2 shown]
	v_add_f32_e32 v26, 0, v26
	v_add_f32_e32 v26, v26, v27
	;; [unrolled: 1-line block ×3, first 2 shown]
	s_waitcnt vmcnt(36)
	v_fmac_f32_e32 v29, v21, v88
	v_fmac_f32_e32 v30, v15, v86
	v_add_f32_e32 v26, v26, v29
	v_fmac_f32_e32 v31, v17, v83
	v_add_f32_e32 v26, v26, v30
	;; [unrolled: 2-line block ×3, first 2 shown]
	s_waitcnt vmcnt(32)
	v_fmac_f32_e32 v33, v13, v85
	v_add_f32_e32 v26, v26, v32
	v_fmac_f32_e32 v34, v7, v82
	v_add_f32_e32 v26, v26, v33
	;; [unrolled: 2-line block ×4, first 2 shown]
	s_waitcnt vmcnt(28)
	v_mul_f32_e32 v27, v4, v97
	v_add_f32_e32 v26, v26, v36
	s_waitcnt vmcnt(27)
	v_fmac_f32_e32 v27, v5, v96
	ds_read_b128 v[30:33], v1 offset:624
	v_add_f32_e32 v34, v26, v27
	ds_read_b128 v[26:29], v1 offset:640
	buffer_load_dword v185, off, s[0:3], 0 offset:224
	buffer_load_dword v186, off, s[0:3], 0 offset:228
	buffer_load_dword v187, off, s[0:3], 0 offset:232
	buffer_load_dword v188, off, s[0:3], 0 offset:236
	s_waitcnt vmcnt(30) lgkmcnt(1)
	v_mul_f32_e32 v35, v30, v95
	v_fmac_f32_e32 v35, v31, v92
	v_add_f32_e32 v34, v34, v35
	s_waitcnt vmcnt(29)
	v_mul_f32_e32 v35, v32, v94
	v_fmac_f32_e32 v35, v33, v91
	v_add_f32_e32 v34, v34, v35
	s_waitcnt vmcnt(28) lgkmcnt(0)
	v_mul_f32_e32 v35, v26, v93
	ds_read_b128 v[38:41], v1 offset:656
	v_fmac_f32_e32 v35, v27, v89
	v_add_f32_e32 v34, v34, v35
	s_waitcnt vmcnt(21)
	v_mul_f32_e32 v35, v28, v105
	s_waitcnt vmcnt(20)
	v_fmac_f32_e32 v35, v29, v104
	v_add_f32_e32 v42, v34, v35
	ds_read_b128 v[34:37], v1 offset:672
	s_waitcnt lgkmcnt(1)
	v_mul_f32_e32 v43, v38, v99
	buffer_load_dword v189, off, s[0:3], 0 offset:240
	buffer_load_dword v190, off, s[0:3], 0 offset:244
	v_fmac_f32_e32 v43, v39, v98
	v_add_f32_e32 v42, v42, v43
	v_mul_f32_e32 v43, v40, v101
	buffer_load_dword v191, off, s[0:3], 0 offset:248
	buffer_load_dword v192, off, s[0:3], 0 offset:252
	v_fmac_f32_e32 v43, v41, v100
	v_add_f32_e32 v42, v42, v43
	s_waitcnt lgkmcnt(0)
	v_mul_f32_e32 v43, v34, v103
	buffer_load_dword v193, off, s[0:3], 0 offset:256
	buffer_load_dword v194, off, s[0:3], 0 offset:260
	v_fmac_f32_e32 v43, v35, v102
	v_add_f32_e32 v42, v42, v43
	s_waitcnt vmcnt(22)
	v_mul_f32_e32 v43, v36, v107
	v_fmac_f32_e32 v43, v37, v106
	ds_read_b128 v[46:49], v1 offset:688
	v_add_f32_e32 v50, v42, v43
	ds_read_b128 v[42:45], v1 offset:704
	buffer_load_dword v195, off, s[0:3], 0 offset:264
	buffer_load_dword v196, off, s[0:3], 0 offset:268
	;; [unrolled: 1-line block ×8, first 2 shown]
	s_waitcnt vmcnt(28) lgkmcnt(1)
	v_mul_f32_e32 v51, v46, v109
	v_fmac_f32_e32 v51, v47, v108
	buffer_load_dword v203, off, s[0:3], 0 offset:296
	buffer_load_dword v204, off, s[0:3], 0 offset:300
	v_add_f32_e32 v50, v50, v51
	s_waitcnt vmcnt(28)
	v_mul_f32_e32 v51, v48, v111
	v_fmac_f32_e32 v51, v49, v110
	v_add_f32_e32 v50, v50, v51
	s_waitcnt vmcnt(26) lgkmcnt(0)
	v_mul_f32_e32 v51, v42, v113
	buffer_load_dword v205, off, s[0:3], 0 offset:304
	buffer_load_dword v206, off, s[0:3], 0 offset:308
	v_fmac_f32_e32 v51, v43, v112
	v_add_f32_e32 v54, v50, v51
	ds_read_b128 v[50:53], v1 offset:720
	buffer_load_dword v207, off, s[0:3], 0 offset:312
	buffer_load_dword v208, off, s[0:3], 0 offset:316
	;; [unrolled: 1-line block ×4, first 2 shown]
	s_waitcnt vmcnt(30)
	v_mul_f32_e32 v55, v44, v166
	v_fmac_f32_e32 v55, v45, v164
	v_add_f32_e32 v58, v54, v55
	ds_read_b128 v[54:57], v1 offset:736
	buffer_load_dword v211, off, s[0:3], 0 offset:328
	buffer_load_dword v212, off, s[0:3], 0 offset:332
	;; [unrolled: 1-line block ×12, first 2 shown]
	s_waitcnt vmcnt(40) lgkmcnt(1)
	v_mul_f32_e32 v59, v50, v182
	buffer_load_dword v241, off, s[0:3], 0 offset:376
	buffer_load_dword v242, off, s[0:3], 0 offset:380
	v_fmac_f32_e32 v59, v51, v168
	v_add_f32_e32 v58, v58, v59
	s_waitcnt vmcnt(40)
	v_mul_f32_e32 v59, v52, v184
	buffer_load_dword v243, off, s[0:3], 0 offset:384
	buffer_load_dword v244, off, s[0:3], 0 offset:388
	v_fmac_f32_e32 v59, v53, v183
	v_add_f32_e32 v58, v58, v59
	v_mul_f32_e32 v23, v23, v74
	v_fma_f32 v74, v22, v90, -v23
	v_mul_f32_e32 v25, v25, v72
	v_add_f32_e32 v74, 0, v74
	v_fma_f32 v24, v24, v87, -v25
	v_mul_f32_e32 v19, v19, v73
	v_add_f32_e32 v24, v74, v24
	;; [unrolled: 3-line block ×3, first 2 shown]
	v_fma_f32 v19, v20, v88, -v19
	s_waitcnt vmcnt(40) lgkmcnt(0)
	v_mul_f32_e32 v59, v54, v186
	v_fmac_f32_e32 v59, v55, v185
	v_add_f32_e32 v62, v58, v59
	ds_read_b128 v[58:61], v1 offset:752
	buffer_load_dword v245, off, s[0:3], 0 offset:392
	buffer_load_dword v246, off, s[0:3], 0 offset:396
	s_waitcnt vmcnt(40)
	v_mul_f32_e32 v63, v56, v188
	v_fmac_f32_e32 v63, v57, v187
	v_add_f32_e32 v114, v62, v63
	ds_read_b128 v[62:65], v1 offset:768
	buffer_load_dword v247, off, s[0:3], 0 offset:400
	buffer_load_dword v248, off, s[0:3], 0 offset:404
	;; [unrolled: 1-line block ×12, first 2 shown]
	v_mul_f32_e32 v15, v15, v70
	v_add_f32_e32 v18, v18, v19
	v_fma_f32 v14, v14, v86, -v15
	s_waitcnt vmcnt(50) lgkmcnt(1)
	v_mul_f32_e32 v115, v58, v190
	v_fmac_f32_e32 v115, v59, v189
	v_add_f32_e32 v114, v114, v115
	v_mul_f32_e32 v15, v17, v68
	s_waitcnt vmcnt(48)
	v_mul_f32_e32 v115, v60, v192
	v_fmac_f32_e32 v115, v61, v191
	v_add_f32_e32 v114, v114, v115
	v_add_f32_e32 v14, v18, v14
	s_waitcnt vmcnt(46) lgkmcnt(0)
	v_mul_f32_e32 v115, v62, v194
	v_fmac_f32_e32 v115, v63, v193
	v_add_f32_e32 v118, v114, v115
	ds_read_b128 v[114:117], v1 offset:784
	v_fma_f32 v15, v16, v83, -v15
	v_mul_f32_e32 v11, v11, v69
	v_add_f32_e32 v14, v14, v15
	v_fma_f32 v10, v10, v81, -v11
	s_waitcnt vmcnt(44)
	v_mul_f32_e32 v119, v64, v196
	v_fmac_f32_e32 v119, v65, v195
	v_add_f32_e32 v122, v118, v119
	ds_read_b128 v[118:121], v1 offset:800
	s_waitcnt vmcnt(42) lgkmcnt(1)
	v_mul_f32_e32 v123, v114, v198
	v_fmac_f32_e32 v123, v115, v197
	v_add_f32_e32 v122, v122, v123
	s_waitcnt vmcnt(40)
	v_mul_f32_e32 v123, v116, v200
	v_fmac_f32_e32 v123, v117, v199
	v_add_f32_e32 v122, v122, v123
	s_waitcnt vmcnt(38) lgkmcnt(0)
	v_mul_f32_e32 v123, v118, v202
	v_fmac_f32_e32 v123, v119, v201
	v_add_f32_e32 v126, v122, v123
	ds_read_b128 v[122:125], v1 offset:816
	s_waitcnt vmcnt(36)
	v_mul_f32_e32 v127, v120, v204
	v_fmac_f32_e32 v127, v121, v203
	v_add_f32_e32 v130, v126, v127
	ds_read_b128 v[126:129], v1 offset:832
	s_waitcnt vmcnt(34) lgkmcnt(1)
	v_mul_f32_e32 v131, v122, v206
	v_fmac_f32_e32 v131, v123, v205
	v_add_f32_e32 v130, v130, v131
	s_waitcnt vmcnt(32)
	v_mul_f32_e32 v131, v124, v208
	v_fmac_f32_e32 v131, v125, v207
	v_add_f32_e32 v130, v130, v131
	s_waitcnt vmcnt(30) lgkmcnt(0)
	v_mul_f32_e32 v131, v126, v210
	v_fmac_f32_e32 v131, v127, v209
	v_add_f32_e32 v134, v130, v131
	ds_read_b128 v[130:133], v1 offset:848
	s_waitcnt vmcnt(28)
	v_mul_f32_e32 v135, v128, v212
	v_fmac_f32_e32 v135, v129, v211
	v_add_f32_e32 v138, v134, v135
	ds_read_b128 v[134:137], v1 offset:864
	s_waitcnt vmcnt(26) lgkmcnt(1)
	v_mul_f32_e32 v139, v130, v214
	v_fmac_f32_e32 v139, v131, v213
	v_add_f32_e32 v138, v138, v139
	s_waitcnt vmcnt(24)
	v_mul_f32_e32 v139, v132, v216
	v_fmac_f32_e32 v139, v133, v215
	v_add_f32_e32 v138, v138, v139
	s_waitcnt vmcnt(22) lgkmcnt(0)
	v_mul_f32_e32 v139, v134, v218
	v_fmac_f32_e32 v139, v135, v217
	v_add_f32_e32 v142, v138, v139
	ds_read_b128 v[138:141], v1 offset:880
	s_waitcnt vmcnt(20)
	v_mul_f32_e32 v143, v136, v238
	v_fmac_f32_e32 v143, v137, v219
	v_add_f32_e32 v146, v142, v143
	ds_read_b128 v[142:145], v1 offset:896
	s_waitcnt vmcnt(18) lgkmcnt(1)
	v_mul_f32_e32 v147, v138, v240
	v_fmac_f32_e32 v147, v139, v239
	v_add_f32_e32 v146, v146, v147
	s_waitcnt vmcnt(16)
	v_mul_f32_e32 v147, v140, v242
	v_fmac_f32_e32 v147, v141, v241
	v_add_f32_e32 v146, v146, v147
	s_waitcnt vmcnt(14) lgkmcnt(0)
	v_mul_f32_e32 v147, v142, v244
	v_fmac_f32_e32 v147, v143, v243
	v_add_f32_e32 v150, v146, v147
	ds_read_b128 v[146:149], v1 offset:912
	s_waitcnt vmcnt(12)
	v_mul_f32_e32 v151, v144, v246
	v_fmac_f32_e32 v151, v145, v245
	v_mul_f32_e32 v11, v13, v75
	v_add_f32_e32 v154, v150, v151
	ds_read_b128 v[150:153], v1 offset:928
	v_add_f32_e32 v10, v14, v10
	v_fma_f32 v11, v12, v85, -v11
	v_mul_f32_e32 v7, v7, v76
	s_waitcnt vmcnt(10) lgkmcnt(1)
	v_mul_f32_e32 v155, v146, v248
	v_add_f32_e32 v10, v10, v11
	v_fma_f32 v6, v6, v82, -v7
	v_mul_f32_e32 v7, v9, v77
	v_fmac_f32_e32 v155, v147, v247
	v_add_f32_e32 v6, v10, v6
	v_fma_f32 v7, v8, v80, -v7
	v_mul_f32_e32 v3, v3, v78
	v_add_f32_e32 v154, v154, v155
	s_waitcnt vmcnt(8)
	v_mul_f32_e32 v155, v148, v250
	v_add_f32_e32 v6, v6, v7
	v_fma_f32 v2, v2, v79, -v3
	v_mul_f32_e32 v3, v5, v97
	v_fmac_f32_e32 v155, v149, v249
	v_add_f32_e32 v2, v6, v2
	v_fma_f32 v3, v4, v96, -v3
	v_add_f32_e32 v154, v154, v155
	s_waitcnt vmcnt(6) lgkmcnt(0)
	v_mul_f32_e32 v155, v150, v252
	buffer_load_dword v163, off, s[0:3], 0 offset:452
	buffer_load_dword v162, off, s[0:3], 0 offset:448
	v_add_f32_e32 v2, v2, v3
	v_mul_f32_e32 v3, v31, v95
	v_fmac_f32_e32 v155, v151, v251
	s_waitcnt vmcnt(6)
	v_mul_f32_e32 v159, v152, v254
	v_fma_f32 v3, v30, v92, -v3
	v_add_f32_e32 v158, v154, v155
	v_fmac_f32_e32 v159, v153, v253
	v_add_f32_e32 v2, v2, v3
	v_mul_f32_e32 v3, v33, v94
	ds_read_b128 v[154:157], v1 offset:944
	v_add_f32_e32 v165, v158, v159
	ds_read_b128 v[158:161], v1 offset:960
	buffer_load_dword v171, off, s[0:3], 0 offset:484
	buffer_load_dword v170, off, s[0:3], 0 offset:480
	;; [unrolled: 1-line block ×8, first 2 shown]
	v_fma_f32 v3, v32, v91, -v3
	v_add_f32_e32 v2, v2, v3
	v_mul_f32_e32 v3, v27, v93
	v_fma_f32 v3, v26, v89, -v3
	v_add_f32_e32 v2, v2, v3
	v_mul_f32_e32 v3, v29, v105
	v_fma_f32 v3, v28, v104, -v3
	v_add_f32_e32 v2, v2, v3
	v_mul_f32_e32 v3, v39, v99
	v_fma_f32 v3, v38, v98, -v3
	v_add_f32_e32 v2, v2, v3
	v_mul_f32_e32 v3, v41, v101
	v_fma_f32 v3, v40, v100, -v3
	v_add_f32_e32 v2, v2, v3
	v_mul_f32_e32 v3, v35, v103
	v_fma_f32 v3, v34, v102, -v3
	v_add_f32_e32 v2, v2, v3
	v_mul_f32_e32 v3, v37, v107
	v_fma_f32 v3, v36, v106, -v3
	buffer_load_dword v23, off, s[0:3], 0 offset:508
	buffer_load_dword v22, off, s[0:3], 0 offset:504
	;; [unrolled: 1-line block ×6, first 2 shown]
	v_add_f32_e32 v2, v2, v3
	v_mul_f32_e32 v3, v47, v109
	v_fma_f32 v3, v46, v108, -v3
	v_add_f32_e32 v2, v2, v3
	v_mul_f32_e32 v3, v49, v111
	v_fma_f32 v3, v48, v110, -v3
	;; [unrolled: 3-line block ×32, first 2 shown]
	s_waitcnt vmcnt(15)
	v_mov_b32_e32 v16, v163
	s_waitcnt lgkmcnt(1)
	v_mul_f32_e32 v167, v154, v220
	v_add_f32_e32 v164, v2, v3
	v_mul_f32_e32 v2, v155, v220
	s_waitcnt lgkmcnt(0)
	v_pk_mul_f32 v[16:17], v[158:159], v[16:17] op_sel_hi:[1,0]
	v_fmac_f32_e32 v167, v155, v255
	v_mul_f32_e32 v169, v156, v222
	v_fma_f32 v166, v154, v255, -v2
	v_mul_f32_e32 v2, v157, v222
	s_waitcnt vmcnt(14)
	v_pk_fma_f32 v[18:19], v[158:159], v[162:163], v[16:17] op_sel:[0,0,1] op_sel_hi:[1,1,0] neg_lo:[0,0,1] neg_hi:[0,0,1]
	v_pk_fma_f32 v[16:17], v[158:159], v[162:163], v[16:17] op_sel:[0,0,1] op_sel_hi:[1,0,0]
	v_fmac_f32_e32 v169, v157, v221
	v_fma_f32 v168, v156, v221, -v2
	v_pk_add_f32 v[14:15], v[164:165], v[166:167]
	s_waitcnt vmcnt(7)
	v_mov_b32_e32 v16, v177
	ds_read_b128 v[2:5], v1 offset:976
	ds_read_b128 v[6:9], v1 offset:992
	;; [unrolled: 1-line block ×3, first 2 shown]
	v_pk_add_f32 v[14:15], v[14:15], v[168:169]
	v_mov_b32_e32 v19, v17
	v_pk_mul_f32 v[16:17], v[160:161], v[16:17] op_sel_hi:[1,0]
	v_pk_add_f32 v[14:15], v[14:15], v[18:19]
	s_waitcnt vmcnt(6)
	v_pk_fma_f32 v[18:19], v[160:161], v[176:177], v[16:17] op_sel:[0,0,1] op_sel_hi:[1,1,0] neg_lo:[0,0,1] neg_hi:[0,0,1]
	v_pk_fma_f32 v[16:17], v[160:161], v[176:177], v[16:17] op_sel:[0,0,1] op_sel_hi:[1,0,0]
	v_mov_b32_e32 v16, v175
	v_mov_b32_e32 v19, v17
	s_waitcnt lgkmcnt(2)
	v_pk_mul_f32 v[16:17], v[2:3], v[16:17] op_sel_hi:[1,0]
	v_pk_add_f32 v[14:15], v[14:15], v[18:19]
	v_pk_fma_f32 v[18:19], v[2:3], v[174:175], v[16:17] op_sel:[0,0,1] op_sel_hi:[1,1,0] neg_lo:[0,0,1] neg_hi:[0,0,1]
	v_pk_fma_f32 v[2:3], v[2:3], v[174:175], v[16:17] op_sel:[0,0,1] op_sel_hi:[1,0,0]
	v_mov_b32_e32 v19, v3
	v_pk_add_f32 v[2:3], v[14:15], v[18:19]
	v_mov_b32_e32 v14, v173
	v_pk_mul_f32 v[14:15], v[4:5], v[14:15] op_sel_hi:[1,0]
	v_pk_fma_f32 v[16:17], v[4:5], v[172:173], v[14:15] op_sel:[0,0,1] op_sel_hi:[1,1,0] neg_lo:[0,0,1] neg_hi:[0,0,1]
	v_pk_fma_f32 v[4:5], v[4:5], v[172:173], v[14:15] op_sel:[0,0,1] op_sel_hi:[1,0,0]
	v_mov_b32_e32 v4, v171
	v_mov_b32_e32 v17, v5
	s_waitcnt lgkmcnt(1)
	v_pk_mul_f32 v[4:5], v[6:7], v[4:5] op_sel_hi:[1,0]
	v_pk_fma_f32 v[14:15], v[6:7], v[170:171], v[4:5] op_sel:[0,0,1] op_sel_hi:[1,1,0] neg_lo:[0,0,1] neg_hi:[0,0,1]
	v_pk_fma_f32 v[4:5], v[6:7], v[170:171], v[4:5] op_sel:[0,0,1] op_sel_hi:[1,0,0]
	s_waitcnt vmcnt(1)
	v_mov_b32_e32 v4, v181
	v_mov_b32_e32 v15, v5
	v_pk_mul_f32 v[4:5], v[8:9], v[4:5] op_sel_hi:[1,0]
	s_waitcnt vmcnt(0)
	v_pk_fma_f32 v[6:7], v[8:9], v[180:181], v[4:5] op_sel:[0,0,1] op_sel_hi:[1,1,0] neg_lo:[0,0,1] neg_hi:[0,0,1]
	v_pk_fma_f32 v[4:5], v[8:9], v[180:181], v[4:5] op_sel:[0,0,1] op_sel_hi:[1,0,0]
	v_pk_add_f32 v[2:3], v[2:3], v[16:17]
	v_mov_b32_e32 v4, v179
	v_pk_add_f32 v[2:3], v[2:3], v[14:15]
	v_mov_b32_e32 v7, v5
	s_waitcnt lgkmcnt(0)
	v_pk_mul_f32 v[4:5], v[10:11], v[4:5] op_sel_hi:[1,0]
	v_pk_add_f32 v[2:3], v[2:3], v[6:7]
	v_pk_fma_f32 v[6:7], v[10:11], v[178:179], v[4:5] op_sel:[0,0,1] op_sel_hi:[1,1,0] neg_lo:[0,0,1] neg_hi:[0,0,1]
	v_pk_fma_f32 v[4:5], v[10:11], v[178:179], v[4:5] op_sel:[0,0,1] op_sel_hi:[1,0,0]
	v_mov_b32_e32 v4, v23
	v_mov_b32_e32 v7, v5
	v_pk_mul_f32 v[4:5], v[12:13], v[4:5] op_sel_hi:[1,0]
	v_pk_add_f32 v[2:3], v[2:3], v[6:7]
	v_pk_fma_f32 v[6:7], v[12:13], v[22:23], v[4:5] op_sel:[0,0,1] op_sel_hi:[1,1,0] neg_lo:[0,0,1] neg_hi:[0,0,1]
	v_pk_fma_f32 v[4:5], v[12:13], v[22:23], v[4:5] op_sel:[0,0,1] op_sel_hi:[1,0,0]
	v_mov_b32_e32 v7, v5
	v_pk_add_f32 v[2:3], v[2:3], v[6:7]
	v_pk_add_f32 v[2:3], v[66:67], v[2:3] neg_lo:[0,1] neg_hi:[0,1]
	buffer_store_dword v3, off, s[0:3], 0 offset:12
	buffer_store_dword v2, off, s[0:3], 0 offset:8
	s_and_saveexec_b64 s[4:5], vcc
	s_cbranch_execz .LBB63_397
; %bb.396:
	buffer_load_dword v0, off, s[0:3], 0
	buffer_load_dword v1, off, s[0:3], 0 offset:4
	v_mov_b32_e32 v2, 0
	buffer_store_dword v2, off, s[0:3], 0
	buffer_store_dword v2, off, s[0:3], 0 offset:4
	s_waitcnt vmcnt(2)
	ds_write_b64 v223, v[0:1]
.LBB63_397:
	s_or_b64 exec, exec, s[4:5]
	s_waitcnt lgkmcnt(0)
	; wave barrier
	s_waitcnt lgkmcnt(0)
	buffer_load_dword v73, off, s[0:3], 0 offset:12
	buffer_load_dword v72, off, s[0:3], 0 offset:20
	;; [unrolled: 1-line block ×38, first 2 shown]
	buffer_load_dword v64, off, s[0:3], 0
	buffer_load_dword v65, off, s[0:3], 0 offset:4
	buffer_load_dword v103, off, s[0:3], 0 offset:160
	;; [unrolled: 1-line block ×9, first 2 shown]
	v_mov_b32_e32 v66, 0
	ds_read2_b64 v[20:23], v66 offset0:65 offset1:66
	ds_read2_b64 v[16:19], v66 offset0:67 offset1:68
	;; [unrolled: 1-line block ×6, first 2 shown]
	buffer_load_dword v162, off, s[0:3], 0 offset:192
	buffer_load_dword v164, off, s[0:3], 0 offset:196
	;; [unrolled: 1-line block ×6, first 2 shown]
	s_and_b64 vcc, exec, s[20:21]
	s_waitcnt vmcnt(53) lgkmcnt(5)
	v_mul_f32_e32 v24, v20, v73
	s_waitcnt vmcnt(52)
	v_mul_f32_e32 v25, v22, v72
	s_waitcnt vmcnt(51) lgkmcnt(4)
	v_mul_f32_e32 v27, v18, v70
	s_waitcnt vmcnt(50) lgkmcnt(3)
	v_mul_f32_e32 v28, v12, v69
	s_waitcnt vmcnt(49)
	v_mul_f32_e32 v29, v14, v67
	s_waitcnt vmcnt(48)
	v_mul_f32_e32 v26, v16, v71
	s_waitcnt vmcnt(47) lgkmcnt(2)
	v_mul_f32_e32 v30, v8, v68
	s_waitcnt vmcnt(46)
	v_mul_f32_e32 v31, v10, v74
	s_waitcnt vmcnt(45) lgkmcnt(1)
	v_mul_f32_e32 v32, v4, v75
	s_waitcnt vmcnt(44)
	v_mul_f32_e32 v33, v6, v76
	s_waitcnt vmcnt(43) lgkmcnt(0)
	v_mul_f32_e32 v34, v0, v77
	s_waitcnt vmcnt(42)
	v_fmac_f32_e32 v26, v17, v83
	s_waitcnt vmcnt(41)
	v_fmac_f32_e32 v25, v23, v89
	s_waitcnt vmcnt(40)
	v_fmac_f32_e32 v24, v21, v91
	v_add_f32_e32 v24, 0, v24
	v_add_f32_e32 v24, v24, v25
	;; [unrolled: 1-line block ×3, first 2 shown]
	s_waitcnt vmcnt(36)
	v_fmac_f32_e32 v27, v19, v86
	v_fmac_f32_e32 v28, v13, v85
	v_add_f32_e32 v24, v24, v27
	v_fmac_f32_e32 v29, v15, v82
	v_add_f32_e32 v24, v24, v28
	;; [unrolled: 2-line block ×3, first 2 shown]
	s_waitcnt vmcnt(32)
	v_fmac_f32_e32 v31, v11, v84
	v_add_f32_e32 v24, v24, v30
	v_fmac_f32_e32 v32, v5, v81
	v_add_f32_e32 v24, v24, v31
	;; [unrolled: 2-line block ×3, first 2 shown]
	v_add_f32_e32 v24, v24, v33
	v_fmac_f32_e32 v34, v1, v78
	v_add_f32_e32 v28, v24, v34
	ds_read2_b64 v[24:27], v66 offset0:77 offset1:78
	buffer_load_dword v180, off, s[0:3], 0 offset:216
	buffer_load_dword v181, off, s[0:3], 0 offset:220
	s_waitcnt vmcnt(29)
	v_mul_f32_e32 v29, v2, v96
	s_waitcnt vmcnt(28)
	v_fmac_f32_e32 v29, v3, v95
	v_add_f32_e32 v32, v28, v29
	ds_read2_b64 v[28:31], v66 offset0:79 offset1:80
	buffer_load_dword v182, off, s[0:3], 0 offset:224
	buffer_load_dword v183, off, s[0:3], 0 offset:228
	s_waitcnt vmcnt(29) lgkmcnt(1)
	v_mul_f32_e32 v33, v24, v94
	v_fmac_f32_e32 v33, v25, v92
	v_add_f32_e32 v32, v32, v33
	s_waitcnt vmcnt(28)
	v_mul_f32_e32 v33, v26, v93
	v_fmac_f32_e32 v33, v27, v90
	v_add_f32_e32 v32, v32, v33
	s_waitcnt lgkmcnt(0)
	v_mul_f32_e32 v33, v28, v88
	v_fmac_f32_e32 v33, v29, v87
	v_add_f32_e32 v36, v32, v33
	ds_read2_b64 v[32:35], v66 offset0:81 offset1:82
	s_waitcnt vmcnt(21)
	v_mul_f32_e32 v37, v30, v106
	s_waitcnt vmcnt(20)
	v_fmac_f32_e32 v37, v31, v105
	v_add_f32_e32 v40, v36, v37
	buffer_load_dword v184, off, s[0:3], 0 offset:232
	buffer_load_dword v185, off, s[0:3], 0 offset:236
	ds_read2_b64 v[36:39], v66 offset0:83 offset1:84
	s_waitcnt lgkmcnt(1)
	v_mul_f32_e32 v41, v32, v98
	v_fmac_f32_e32 v41, v33, v97
	v_add_f32_e32 v40, v40, v41
	v_mul_f32_e32 v41, v34, v100
	buffer_load_dword v186, off, s[0:3], 0 offset:240
	buffer_load_dword v187, off, s[0:3], 0 offset:244
	v_fmac_f32_e32 v41, v35, v99
	v_add_f32_e32 v40, v40, v41
	s_waitcnt lgkmcnt(0)
	v_mul_f32_e32 v41, v36, v102
	buffer_load_dword v188, off, s[0:3], 0 offset:248
	buffer_load_dword v189, off, s[0:3], 0 offset:252
	v_fmac_f32_e32 v41, v37, v101
	v_add_f32_e32 v40, v40, v41
	s_waitcnt vmcnt(22)
	v_mul_f32_e32 v41, v38, v104
	v_fmac_f32_e32 v41, v39, v103
	ds_read2_b64 v[44:47], v66 offset0:85 offset1:86
	v_add_f32_e32 v48, v40, v41
	ds_read2_b64 v[40:43], v66 offset0:87 offset1:88
	buffer_load_dword v190, off, s[0:3], 0 offset:256
	buffer_load_dword v191, off, s[0:3], 0 offset:260
	;; [unrolled: 1-line block ×6, first 2 shown]
	s_waitcnt vmcnt(26) lgkmcnt(1)
	v_mul_f32_e32 v49, v44, v108
	v_fmac_f32_e32 v49, v45, v107
	buffer_load_dword v196, off, s[0:3], 0 offset:280
	buffer_load_dword v197, off, s[0:3], 0 offset:284
	v_add_f32_e32 v48, v48, v49
	s_waitcnt vmcnt(26)
	v_mul_f32_e32 v49, v46, v110
	v_fmac_f32_e32 v49, v47, v109
	v_add_f32_e32 v48, v48, v49
	s_waitcnt vmcnt(24) lgkmcnt(0)
	v_mul_f32_e32 v49, v40, v112
	v_fmac_f32_e32 v49, v41, v111
	buffer_load_dword v198, off, s[0:3], 0 offset:288
	buffer_load_dword v199, off, s[0:3], 0 offset:292
	v_add_f32_e32 v48, v48, v49
	s_waitcnt vmcnt(24)
	v_mul_f32_e32 v49, v42, v164
	v_fmac_f32_e32 v49, v43, v162
	v_add_f32_e32 v56, v48, v49
	ds_read2_b64 v[48:51], v66 offset0:89 offset1:90
	buffer_load_dword v200, off, s[0:3], 0 offset:296
	buffer_load_dword v201, off, s[0:3], 0 offset:300
	ds_read2_b64 v[52:55], v66 offset0:91 offset1:92
	buffer_load_dword v202, off, s[0:3], 0 offset:304
	buffer_load_dword v203, off, s[0:3], 0 offset:308
	;; [unrolled: 1-line block ×12, first 2 shown]
	s_waitcnt vmcnt(36) lgkmcnt(1)
	v_mul_f32_e32 v57, v48, v177
	v_fmac_f32_e32 v57, v49, v176
	buffer_load_dword v214, off, s[0:3], 0 offset:352
	buffer_load_dword v215, off, s[0:3], 0 offset:356
	v_add_f32_e32 v56, v56, v57
	s_waitcnt vmcnt(36)
	v_mul_f32_e32 v57, v50, v179
	v_fmac_f32_e32 v57, v51, v178
	v_add_f32_e32 v56, v56, v57
	buffer_load_dword v216, off, s[0:3], 0 offset:360
	buffer_load_dword v217, off, s[0:3], 0 offset:364
	v_mul_f32_e32 v21, v21, v73
	v_fma_f32 v91, v20, v91, -v21
	v_mul_f32_e32 v20, v23, v72
	v_fma_f32 v89, v22, v89, -v20
	v_add_f32_e32 v91, 0, v91
	v_mul_f32_e32 v17, v17, v71
	v_add_f32_e32 v89, v91, v89
	v_fma_f32 v16, v16, v83, -v17
	v_mul_f32_e32 v17, v19, v70
	s_waitcnt vmcnt(36) lgkmcnt(0)
	v_mul_f32_e32 v57, v52, v181
	v_fmac_f32_e32 v57, v53, v180
	v_add_f32_e32 v60, v56, v57
	ds_read2_b64 v[56:59], v66 offset0:93 offset1:94
	buffer_load_dword v218, off, s[0:3], 0 offset:368
	buffer_load_dword v219, off, s[0:3], 0 offset:372
	;; [unrolled: 1-line block ×4, first 2 shown]
	s_waitcnt vmcnt(38)
	v_mul_f32_e32 v61, v54, v183
	v_fmac_f32_e32 v61, v55, v182
	v_add_f32_e32 v113, v60, v61
	ds_read2_b64 v[60:63], v66 offset0:95 offset1:96
	buffer_load_dword v222, off, s[0:3], 0 offset:384
	buffer_load_dword v223, off, s[0:3], 0 offset:388
	;; [unrolled: 1-line block ×16, first 2 shown]
	v_add_f32_e32 v16, v89, v16
	v_fma_f32 v17, v18, v86, -v17
	v_mul_f32_e32 v13, v13, v69
	s_waitcnt vmcnt(52) lgkmcnt(1)
	v_mul_f32_e32 v114, v56, v185
	v_fmac_f32_e32 v114, v57, v184
	v_add_f32_e32 v113, v113, v114
	v_add_f32_e32 v16, v16, v17
	v_fma_f32 v12, v12, v85, -v13
	v_mul_f32_e32 v13, v15, v67
	s_waitcnt vmcnt(50)
	v_mul_f32_e32 v114, v58, v187
	v_fmac_f32_e32 v114, v59, v186
	v_add_f32_e32 v113, v113, v114
	v_add_f32_e32 v12, v16, v12
	s_waitcnt vmcnt(48) lgkmcnt(0)
	v_mul_f32_e32 v114, v60, v189
	v_fmac_f32_e32 v114, v61, v188
	v_add_f32_e32 v113, v113, v114
	ds_read2_b64 v[114:117], v66 offset0:97 offset1:98
	v_fma_f32 v13, v14, v82, -v13
	v_mul_f32_e32 v9, v9, v68
	v_add_f32_e32 v12, v12, v13
	v_fma_f32 v8, v8, v80, -v9
	s_waitcnt vmcnt(46)
	v_mul_f32_e32 v118, v62, v191
	v_fmac_f32_e32 v118, v63, v190
	v_add_f32_e32 v113, v113, v118
	ds_read2_b64 v[118:121], v66 offset0:99 offset1:100
	s_waitcnt vmcnt(44) lgkmcnt(1)
	v_mul_f32_e32 v122, v114, v193
	v_fmac_f32_e32 v122, v115, v192
	v_add_f32_e32 v113, v113, v122
	s_waitcnt vmcnt(42)
	v_mul_f32_e32 v122, v116, v195
	v_fmac_f32_e32 v122, v117, v194
	v_add_f32_e32 v113, v113, v122
	s_waitcnt vmcnt(40) lgkmcnt(0)
	v_mul_f32_e32 v122, v118, v197
	v_fmac_f32_e32 v122, v119, v196
	v_add_f32_e32 v113, v113, v122
	ds_read2_b64 v[122:125], v66 offset0:101 offset1:102
	s_waitcnt vmcnt(38)
	v_mul_f32_e32 v126, v120, v199
	v_fmac_f32_e32 v126, v121, v198
	v_add_f32_e32 v113, v113, v126
	ds_read2_b64 v[126:129], v66 offset0:103 offset1:104
	s_waitcnt vmcnt(36) lgkmcnt(1)
	v_mul_f32_e32 v130, v122, v201
	v_fmac_f32_e32 v130, v123, v200
	v_add_f32_e32 v113, v113, v130
	s_waitcnt vmcnt(34)
	v_mul_f32_e32 v130, v124, v203
	v_fmac_f32_e32 v130, v125, v202
	v_add_f32_e32 v113, v113, v130
	s_waitcnt vmcnt(32) lgkmcnt(0)
	v_mul_f32_e32 v130, v126, v205
	v_fmac_f32_e32 v130, v127, v204
	v_add_f32_e32 v113, v113, v130
	ds_read2_b64 v[130:133], v66 offset0:105 offset1:106
	;; [unrolled: 18-line block ×4, first 2 shown]
	s_waitcnt vmcnt(14)
	v_mul_f32_e32 v150, v144, v223
	v_fmac_f32_e32 v150, v145, v222
	v_mul_f32_e32 v9, v11, v74
	v_add_f32_e32 v113, v113, v150
	ds_read2_b64 v[150:153], v66 offset0:115 offset1:116
	v_add_f32_e32 v8, v12, v8
	v_fma_f32 v9, v10, v84, -v9
	v_mul_f32_e32 v5, v5, v75
	s_waitcnt vmcnt(12) lgkmcnt(1)
	v_mul_f32_e32 v154, v146, v239
	v_add_f32_e32 v8, v8, v9
	v_fma_f32 v4, v4, v81, -v5
	v_mul_f32_e32 v5, v7, v76
	v_fmac_f32_e32 v154, v147, v238
	v_add_f32_e32 v4, v8, v4
	v_fma_f32 v5, v6, v79, -v5
	v_mul_f32_e32 v1, v1, v77
	v_add_f32_e32 v113, v113, v154
	s_waitcnt vmcnt(10)
	v_mul_f32_e32 v154, v148, v241
	v_add_f32_e32 v4, v4, v5
	v_fma_f32 v0, v0, v78, -v1
	v_mul_f32_e32 v1, v3, v96
	v_fmac_f32_e32 v154, v149, v240
	v_add_f32_e32 v0, v4, v0
	v_fma_f32 v1, v2, v95, -v1
	v_add_f32_e32 v113, v113, v154
	s_waitcnt vmcnt(8) lgkmcnt(0)
	v_mul_f32_e32 v154, v150, v243
	v_add_f32_e32 v0, v0, v1
	v_mul_f32_e32 v1, v25, v94
	v_fmac_f32_e32 v154, v151, v242
	s_waitcnt vmcnt(6)
	v_mul_f32_e32 v158, v152, v245
	v_fma_f32 v1, v24, v92, -v1
	v_add_f32_e32 v113, v113, v154
	v_fmac_f32_e32 v158, v153, v244
	v_add_f32_e32 v0, v0, v1
	v_mul_f32_e32 v1, v27, v93
	ds_read2_b64 v[154:157], v66 offset0:117 offset1:118
	v_add_f32_e32 v113, v113, v158
	ds_read2_b64 v[158:161], v66 offset0:119 offset1:120
	buffer_load_dword v167, off, s[0:3], 0 offset:476
	buffer_load_dword v166, off, s[0:3], 0 offset:472
	;; [unrolled: 1-line block ×8, first 2 shown]
	v_fma_f32 v1, v26, v90, -v1
	v_add_f32_e32 v0, v0, v1
	v_mul_f32_e32 v1, v29, v88
	v_fma_f32 v1, v28, v87, -v1
	v_add_f32_e32 v0, v0, v1
	v_mul_f32_e32 v1, v31, v106
	v_fma_f32 v1, v30, v105, -v1
	v_add_f32_e32 v0, v0, v1
	v_mul_f32_e32 v1, v33, v98
	v_fma_f32 v1, v32, v97, -v1
	v_add_f32_e32 v0, v0, v1
	v_mul_f32_e32 v1, v35, v100
	v_fma_f32 v1, v34, v99, -v1
	v_add_f32_e32 v0, v0, v1
	v_mul_f32_e32 v1, v37, v102
	v_fma_f32 v1, v36, v101, -v1
	v_add_f32_e32 v0, v0, v1
	v_mul_f32_e32 v1, v39, v104
	v_fma_f32 v1, v38, v103, -v1
	buffer_load_dword v21, off, s[0:3], 0 offset:508
	buffer_load_dword v20, off, s[0:3], 0 offset:504
	;; [unrolled: 1-line block ×8, first 2 shown]
	v_add_f32_e32 v0, v0, v1
	v_mul_f32_e32 v1, v45, v108
	v_fma_f32 v1, v44, v107, -v1
	v_add_f32_e32 v0, v0, v1
	v_mul_f32_e32 v1, v47, v110
	v_fma_f32 v1, v46, v109, -v1
	;; [unrolled: 3-line block ×32, first 2 shown]
	v_add_f32_e32 v0, v0, v1
	s_waitcnt vmcnt(20) lgkmcnt(1)
	v_mul_f32_e32 v1, v155, v247
	v_mul_f32_e32 v163, v154, v247
	v_fma_f32 v1, v154, v246, -v1
	v_fmac_f32_e32 v163, v155, v246
	v_add_f32_e32 v112, v0, v1
	s_waitcnt vmcnt(18)
	v_mul_f32_e32 v0, v157, v249
	s_waitcnt vmcnt(9)
	v_mov_b32_e32 v16, v173
	v_add_f32_e32 v113, v113, v163
	v_mul_f32_e32 v163, v156, v249
	v_fma_f32 v162, v156, v248, -v0
	s_waitcnt lgkmcnt(0)
	v_mul_f32_e32 v0, v159, v251
	v_pk_mul_f32 v[16:17], v[160:161], v[16:17] op_sel_hi:[1,0]
	v_fmac_f32_e32 v163, v157, v248
	v_mul_f32_e32 v165, v158, v251
	v_fma_f32 v164, v158, v250, -v0
	ds_read2_b64 v[0:3], v66 offset0:121 offset1:122
	ds_read2_b64 v[4:7], v66 offset0:123 offset1:124
	;; [unrolled: 1-line block ×3, first 2 shown]
	ds_read_b64 v[12:13], v66 offset:1016
	s_waitcnt vmcnt(8)
	v_pk_fma_f32 v[18:19], v[160:161], v[172:173], v[16:17] op_sel:[0,0,1] op_sel_hi:[1,1,0] neg_lo:[0,0,1] neg_hi:[0,0,1]
	v_pk_fma_f32 v[16:17], v[160:161], v[172:173], v[16:17] op_sel:[0,0,1] op_sel_hi:[1,0,0]
	v_fmac_f32_e32 v165, v159, v250
	v_pk_add_f32 v[14:15], v[112:113], v[162:163]
	v_mov_b32_e32 v16, v171
	v_pk_add_f32 v[14:15], v[14:15], v[164:165]
	v_mov_b32_e32 v19, v17
	s_waitcnt lgkmcnt(3)
	v_pk_mul_f32 v[16:17], v[0:1], v[16:17] op_sel_hi:[1,0]
	v_pk_add_f32 v[14:15], v[14:15], v[18:19]
	v_pk_fma_f32 v[18:19], v[0:1], v[170:171], v[16:17] op_sel:[0,0,1] op_sel_hi:[1,1,0] neg_lo:[0,0,1] neg_hi:[0,0,1]
	v_pk_fma_f32 v[0:1], v[0:1], v[170:171], v[16:17] op_sel:[0,0,1] op_sel_hi:[1,0,0]
	v_mov_b32_e32 v19, v1
	v_pk_add_f32 v[0:1], v[14:15], v[18:19]
	v_mov_b32_e32 v14, v169
	v_pk_mul_f32 v[14:15], v[2:3], v[14:15] op_sel_hi:[1,0]
	v_pk_fma_f32 v[16:17], v[2:3], v[168:169], v[14:15] op_sel:[0,0,1] op_sel_hi:[1,1,0] neg_lo:[0,0,1] neg_hi:[0,0,1]
	v_pk_fma_f32 v[2:3], v[2:3], v[168:169], v[14:15] op_sel:[0,0,1] op_sel_hi:[1,0,0]
	v_mov_b32_e32 v2, v167
	v_mov_b32_e32 v17, v3
	s_waitcnt lgkmcnt(2)
	v_pk_mul_f32 v[2:3], v[4:5], v[2:3] op_sel_hi:[1,0]
	v_pk_fma_f32 v[14:15], v[4:5], v[166:167], v[2:3] op_sel:[0,0,1] op_sel_hi:[1,1,0] neg_lo:[0,0,1] neg_hi:[0,0,1]
	v_pk_fma_f32 v[2:3], v[4:5], v[166:167], v[2:3] op_sel:[0,0,1] op_sel_hi:[1,0,0]
	s_waitcnt vmcnt(1)
	v_mov_b32_e32 v2, v175
	v_mov_b32_e32 v15, v3
	v_pk_mul_f32 v[2:3], v[6:7], v[2:3] op_sel_hi:[1,0]
	s_waitcnt vmcnt(0)
	v_pk_fma_f32 v[4:5], v[6:7], v[174:175], v[2:3] op_sel:[0,0,1] op_sel_hi:[1,1,0] neg_lo:[0,0,1] neg_hi:[0,0,1]
	v_pk_fma_f32 v[2:3], v[6:7], v[174:175], v[2:3] op_sel:[0,0,1] op_sel_hi:[1,0,0]
	v_pk_add_f32 v[0:1], v[0:1], v[16:17]
	v_mov_b32_e32 v2, v73
	v_pk_add_f32 v[0:1], v[0:1], v[14:15]
	v_mov_b32_e32 v5, v3
	s_waitcnt lgkmcnt(1)
	v_pk_mul_f32 v[2:3], v[8:9], v[2:3] op_sel_hi:[1,0]
	v_pk_add_f32 v[0:1], v[0:1], v[4:5]
	v_pk_fma_f32 v[4:5], v[8:9], v[72:73], v[2:3] op_sel:[0,0,1] op_sel_hi:[1,1,0] neg_lo:[0,0,1] neg_hi:[0,0,1]
	v_pk_fma_f32 v[2:3], v[8:9], v[72:73], v[2:3] op_sel:[0,0,1] op_sel_hi:[1,0,0]
	v_mov_b32_e32 v2, v23
	v_mov_b32_e32 v5, v3
	v_pk_mul_f32 v[2:3], v[10:11], v[2:3] op_sel_hi:[1,0]
	v_pk_add_f32 v[0:1], v[0:1], v[4:5]
	v_pk_fma_f32 v[4:5], v[10:11], v[22:23], v[2:3] op_sel:[0,0,1] op_sel_hi:[1,1,0] neg_lo:[0,0,1] neg_hi:[0,0,1]
	v_pk_fma_f32 v[2:3], v[10:11], v[22:23], v[2:3] op_sel:[0,0,1] op_sel_hi:[1,0,0]
	v_mov_b32_e32 v2, v21
	v_mov_b32_e32 v5, v3
	s_waitcnt lgkmcnt(0)
	v_pk_mul_f32 v[2:3], v[12:13], v[2:3] op_sel_hi:[1,0]
	v_pk_add_f32 v[0:1], v[0:1], v[4:5]
	v_pk_fma_f32 v[4:5], v[12:13], v[20:21], v[2:3] op_sel:[0,0,1] op_sel_hi:[1,1,0] neg_lo:[0,0,1] neg_hi:[0,0,1]
	v_pk_fma_f32 v[2:3], v[12:13], v[20:21], v[2:3] op_sel:[0,0,1] op_sel_hi:[1,0,0]
	v_mov_b32_e32 v5, v3
	v_pk_add_f32 v[0:1], v[0:1], v[4:5]
	v_pk_add_f32 v[0:1], v[64:65], v[0:1] neg_lo:[0,1] neg_hi:[0,1]
	buffer_store_dword v1, off, s[0:3], 0 offset:4
	buffer_store_dword v0, off, s[0:3], 0
	s_cbranch_vccz .LBB63_525
; %bb.398:
	v_pk_mov_b32 v[0:1], s[10:11], s[10:11] op_sel:[0,1]
	flat_load_dword v0, v[0:1] offset:248
	s_waitcnt vmcnt(0) lgkmcnt(0)
	v_add_u32_e32 v0, -1, v0
	v_cmp_ne_u32_e32 vcc, 62, v0
	s_and_saveexec_b64 s[4:5], vcc
	s_cbranch_execz .LBB63_400
; %bb.399:
	v_mov_b32_e32 v1, 0
	v_lshl_add_u32 v0, v0, 3, v1
	buffer_load_dword v1, v0, s[0:3], 0 offen
	buffer_load_dword v2, v0, s[0:3], 0 offen offset:4
	buffer_load_dword v3, off, s[0:3], 0 offset:500
	buffer_load_dword v4, off, s[0:3], 0 offset:496
	s_waitcnt vmcnt(3)
	buffer_store_dword v1, off, s[0:3], 0 offset:496
	s_waitcnt vmcnt(3)
	buffer_store_dword v2, off, s[0:3], 0 offset:500
	s_waitcnt vmcnt(3)
	buffer_store_dword v3, v0, s[0:3], 0 offen offset:4
	s_waitcnt vmcnt(3)
	buffer_store_dword v4, v0, s[0:3], 0 offen
.LBB63_400:
	s_or_b64 exec, exec, s[4:5]
	v_pk_mov_b32 v[0:1], s[10:11], s[10:11] op_sel:[0,1]
	flat_load_dword v0, v[0:1] offset:244
	s_waitcnt vmcnt(0) lgkmcnt(0)
	v_add_u32_e32 v0, -1, v0
	v_cmp_ne_u32_e32 vcc, 61, v0
	s_and_saveexec_b64 s[4:5], vcc
	s_cbranch_execz .LBB63_402
; %bb.401:
	v_mov_b32_e32 v1, 0
	v_lshl_add_u32 v0, v0, 3, v1
	buffer_load_dword v1, v0, s[0:3], 0 offen
	buffer_load_dword v2, v0, s[0:3], 0 offen offset:4
	buffer_load_dword v3, off, s[0:3], 0 offset:488
	buffer_load_dword v4, off, s[0:3], 0 offset:492
	s_waitcnt vmcnt(3)
	buffer_store_dword v1, off, s[0:3], 0 offset:488
	s_waitcnt vmcnt(3)
	buffer_store_dword v2, off, s[0:3], 0 offset:492
	s_waitcnt vmcnt(3)
	buffer_store_dword v3, v0, s[0:3], 0 offen
	s_waitcnt vmcnt(3)
	buffer_store_dword v4, v0, s[0:3], 0 offen offset:4
.LBB63_402:
	s_or_b64 exec, exec, s[4:5]
	v_pk_mov_b32 v[0:1], s[10:11], s[10:11] op_sel:[0,1]
	flat_load_dword v0, v[0:1] offset:240
	s_waitcnt vmcnt(0) lgkmcnt(0)
	v_add_u32_e32 v0, -1, v0
	v_cmp_ne_u32_e32 vcc, 60, v0
	s_and_saveexec_b64 s[4:5], vcc
	s_cbranch_execz .LBB63_404
; %bb.403:
	v_mov_b32_e32 v1, 0
	v_lshl_add_u32 v0, v0, 3, v1
	buffer_load_dword v1, v0, s[0:3], 0 offen
	buffer_load_dword v2, v0, s[0:3], 0 offen offset:4
	buffer_load_dword v3, off, s[0:3], 0 offset:484
	buffer_load_dword v4, off, s[0:3], 0 offset:480
	s_waitcnt vmcnt(3)
	buffer_store_dword v1, off, s[0:3], 0 offset:480
	s_waitcnt vmcnt(3)
	buffer_store_dword v2, off, s[0:3], 0 offset:484
	s_waitcnt vmcnt(3)
	buffer_store_dword v3, v0, s[0:3], 0 offen offset:4
	s_waitcnt vmcnt(3)
	buffer_store_dword v4, v0, s[0:3], 0 offen
.LBB63_404:
	s_or_b64 exec, exec, s[4:5]
	v_pk_mov_b32 v[0:1], s[10:11], s[10:11] op_sel:[0,1]
	flat_load_dword v0, v[0:1] offset:236
	s_waitcnt vmcnt(0) lgkmcnt(0)
	v_add_u32_e32 v0, -1, v0
	v_cmp_ne_u32_e32 vcc, 59, v0
	s_and_saveexec_b64 s[4:5], vcc
	s_cbranch_execz .LBB63_406
; %bb.405:
	v_mov_b32_e32 v1, 0
	v_lshl_add_u32 v0, v0, 3, v1
	buffer_load_dword v1, v0, s[0:3], 0 offen
	buffer_load_dword v2, v0, s[0:3], 0 offen offset:4
	buffer_load_dword v3, off, s[0:3], 0 offset:472
	buffer_load_dword v4, off, s[0:3], 0 offset:476
	s_waitcnt vmcnt(3)
	buffer_store_dword v1, off, s[0:3], 0 offset:472
	s_waitcnt vmcnt(3)
	buffer_store_dword v2, off, s[0:3], 0 offset:476
	s_waitcnt vmcnt(3)
	buffer_store_dword v3, v0, s[0:3], 0 offen
	s_waitcnt vmcnt(3)
	buffer_store_dword v4, v0, s[0:3], 0 offen offset:4
.LBB63_406:
	s_or_b64 exec, exec, s[4:5]
	;; [unrolled: 48-line block ×31, first 2 shown]
	v_pk_mov_b32 v[0:1], s[10:11], s[10:11] op_sel:[0,1]
	flat_load_dword v2, v[0:1]
	s_nop 0
	buffer_load_dword v0, off, s[0:3], 0
	buffer_load_dword v1, off, s[0:3], 0 offset:4
	s_waitcnt vmcnt(0) lgkmcnt(0)
	v_add_u32_e32 v2, -1, v2
	v_cmp_ne_u32_e32 vcc, 0, v2
	s_and_saveexec_b64 s[4:5], vcc
	s_cbranch_execz .LBB63_524
; %bb.523:
	v_mov_b32_e32 v3, 0
	v_lshl_add_u32 v2, v2, 3, v3
	buffer_load_dword v3, v2, s[0:3], 0 offen offset:4
	buffer_load_dword v4, v2, s[0:3], 0 offen
	s_waitcnt vmcnt(1)
	buffer_store_dword v3, off, s[0:3], 0 offset:4
	s_waitcnt vmcnt(1)
	buffer_store_dword v4, off, s[0:3], 0
	buffer_store_dword v1, v2, s[0:3], 0 offen offset:4
	buffer_store_dword v0, v2, s[0:3], 0 offen
	buffer_load_dword v0, off, s[0:3], 0
	s_nop 0
	buffer_load_dword v1, off, s[0:3], 0 offset:4
.LBB63_524:
	s_or_b64 exec, exec, s[4:5]
.LBB63_525:
	buffer_load_dword v2, off, s[0:3], 0 offset:8
	buffer_load_dword v3, off, s[0:3], 0 offset:12
	;; [unrolled: 1-line block ×126, first 2 shown]
	s_waitcnt vmcnt(62)
	global_store_dwordx2 v[228:229], v[0:1], off
	global_store_dwordx2 v[230:231], v[2:3], off
	v_accvgpr_read_b32 v0, a0
	v_accvgpr_read_b32 v1, a1
	global_store_dwordx2 v[0:1], v[4:5], off
	v_accvgpr_read_b32 v0, a2
	v_accvgpr_read_b32 v1, a3
	;; [unrolled: 3-line block ×32, first 2 shown]
	s_waitcnt vmcnt(62)
	global_store_dwordx2 v[0:1], v[66:67], off
	v_accvgpr_read_b32 v0, a64
	v_accvgpr_read_b32 v1, a65
	global_store_dwordx2 v[0:1], v[68:69], off
	v_accvgpr_read_b32 v0, a66
	v_accvgpr_read_b32 v1, a67
	;; [unrolled: 3-line block ×16, first 2 shown]
	s_waitcnt vmcnt(62)
	global_store_dwordx2 v[0:1], v[98:99], off
	v_accvgpr_read_b32 v0, a96
	v_accvgpr_read_b32 v1, a97
	global_store_dwordx2 v[0:1], v[100:101], off
	v_accvgpr_read_b32 v0, a98
	v_accvgpr_read_b32 v1, a99
	;; [unrolled: 3-line block ×8, first 2 shown]
	s_waitcnt vmcnt(62)
	global_store_dwordx2 v[0:1], v[114:115], off
	v_accvgpr_read_b32 v0, a112
	v_accvgpr_read_b32 v1, a113
	global_store_dwordx2 v[0:1], v[116:117], off
	global_store_dwordx2 v[224:225], v[118:119], off
	;; [unrolled: 1-line block ×3, first 2 shown]
	s_waitcnt vmcnt(62)
	global_store_dwordx2 v[232:233], v[122:123], off
	global_store_dwordx2 v[234:235], v[124:125], off
	s_waitcnt vmcnt(62)
	global_store_dwordx2 v[236:237], v[126:127], off
	s_endpgm
	.section	.rodata,"a",@progbits
	.p2align	6, 0x0
	.amdhsa_kernel _ZN9rocsolver6v33100L18getri_kernel_smallILi64E19rocblas_complex_numIfEPS3_EEvT1_iilPiilS6_bb
		.amdhsa_group_segment_fixed_size 1028
		.amdhsa_private_segment_fixed_size 528
		.amdhsa_kernarg_size 60
		.amdhsa_user_sgpr_count 8
		.amdhsa_user_sgpr_private_segment_buffer 1
		.amdhsa_user_sgpr_dispatch_ptr 0
		.amdhsa_user_sgpr_queue_ptr 0
		.amdhsa_user_sgpr_kernarg_segment_ptr 1
		.amdhsa_user_sgpr_dispatch_id 0
		.amdhsa_user_sgpr_flat_scratch_init 1
		.amdhsa_user_sgpr_kernarg_preload_length 0
		.amdhsa_user_sgpr_kernarg_preload_offset 0
		.amdhsa_user_sgpr_private_segment_size 0
		.amdhsa_uses_dynamic_stack 0
		.amdhsa_system_sgpr_private_segment_wavefront_offset 1
		.amdhsa_system_sgpr_workgroup_id_x 1
		.amdhsa_system_sgpr_workgroup_id_y 0
		.amdhsa_system_sgpr_workgroup_id_z 0
		.amdhsa_system_sgpr_workgroup_info 0
		.amdhsa_system_vgpr_workitem_id 0
		.amdhsa_next_free_vgpr 370
		.amdhsa_next_free_sgpr 23
		.amdhsa_accum_offset 256
		.amdhsa_reserve_vcc 1
		.amdhsa_reserve_flat_scratch 1
		.amdhsa_float_round_mode_32 0
		.amdhsa_float_round_mode_16_64 0
		.amdhsa_float_denorm_mode_32 3
		.amdhsa_float_denorm_mode_16_64 3
		.amdhsa_dx10_clamp 1
		.amdhsa_ieee_mode 1
		.amdhsa_fp16_overflow 0
		.amdhsa_tg_split 0
		.amdhsa_exception_fp_ieee_invalid_op 0
		.amdhsa_exception_fp_denorm_src 0
		.amdhsa_exception_fp_ieee_div_zero 0
		.amdhsa_exception_fp_ieee_overflow 0
		.amdhsa_exception_fp_ieee_underflow 0
		.amdhsa_exception_fp_ieee_inexact 0
		.amdhsa_exception_int_div_zero 0
	.end_amdhsa_kernel
	.section	.text._ZN9rocsolver6v33100L18getri_kernel_smallILi64E19rocblas_complex_numIfEPS3_EEvT1_iilPiilS6_bb,"axG",@progbits,_ZN9rocsolver6v33100L18getri_kernel_smallILi64E19rocblas_complex_numIfEPS3_EEvT1_iilPiilS6_bb,comdat
.Lfunc_end63:
	.size	_ZN9rocsolver6v33100L18getri_kernel_smallILi64E19rocblas_complex_numIfEPS3_EEvT1_iilPiilS6_bb, .Lfunc_end63-_ZN9rocsolver6v33100L18getri_kernel_smallILi64E19rocblas_complex_numIfEPS3_EEvT1_iilPiilS6_bb
                                        ; -- End function
	.section	.AMDGPU.csdata,"",@progbits
; Kernel info:
; codeLenInByte = 150376
; NumSgprs: 29
; NumVgprs: 256
; NumAgprs: 114
; TotalNumVgprs: 370
; ScratchSize: 528
; MemoryBound: 0
; FloatMode: 240
; IeeeMode: 1
; LDSByteSize: 1028 bytes/workgroup (compile time only)
; SGPRBlocks: 3
; VGPRBlocks: 46
; NumSGPRsForWavesPerEU: 29
; NumVGPRsForWavesPerEU: 370
; AccumOffset: 256
; Occupancy: 1
; WaveLimiterHint : 1
; COMPUTE_PGM_RSRC2:SCRATCH_EN: 1
; COMPUTE_PGM_RSRC2:USER_SGPR: 8
; COMPUTE_PGM_RSRC2:TRAP_HANDLER: 0
; COMPUTE_PGM_RSRC2:TGID_X_EN: 1
; COMPUTE_PGM_RSRC2:TGID_Y_EN: 0
; COMPUTE_PGM_RSRC2:TGID_Z_EN: 0
; COMPUTE_PGM_RSRC2:TIDIG_COMP_CNT: 0
; COMPUTE_PGM_RSRC3_GFX90A:ACCUM_OFFSET: 63
; COMPUTE_PGM_RSRC3_GFX90A:TG_SPLIT: 0
	.section	.text._ZN9rocsolver6v33100L18getri_kernel_smallILi1E19rocblas_complex_numIfEPKPS3_EEvT1_iilPiilS8_bb,"axG",@progbits,_ZN9rocsolver6v33100L18getri_kernel_smallILi1E19rocblas_complex_numIfEPKPS3_EEvT1_iilPiilS8_bb,comdat
	.globl	_ZN9rocsolver6v33100L18getri_kernel_smallILi1E19rocblas_complex_numIfEPKPS3_EEvT1_iilPiilS8_bb ; -- Begin function _ZN9rocsolver6v33100L18getri_kernel_smallILi1E19rocblas_complex_numIfEPKPS3_EEvT1_iilPiilS8_bb
	.p2align	8
	.type	_ZN9rocsolver6v33100L18getri_kernel_smallILi1E19rocblas_complex_numIfEPKPS3_EEvT1_iilPiilS8_bb,@function
_ZN9rocsolver6v33100L18getri_kernel_smallILi1E19rocblas_complex_numIfEPKPS3_EEvT1_iilPiilS8_bb: ; @_ZN9rocsolver6v33100L18getri_kernel_smallILi1E19rocblas_complex_numIfEPKPS3_EEvT1_iilPiilS8_bb
; %bb.0:
	v_cmp_eq_u32_e32 vcc, 0, v0
	s_and_saveexec_b64 s[0:1], vcc
	s_cbranch_execz .LBB64_15
; %bb.1:
	s_load_dword s0, s[4:5], 0x8
	s_load_dword s7, s[4:5], 0x38
	s_load_dwordx2 s[2:3], s[4:5], 0x0
	s_load_dwordx2 s[8:9], s[4:5], 0x30
	s_waitcnt lgkmcnt(0)
	s_ashr_i32 s1, s0, 31
	s_bitcmp1_b32 s7, 0
	s_cselect_b64 s[10:11], -1, 0
	s_ashr_i32 s7, s6, 31
	s_lshl_b64 s[4:5], s[6:7], 3
	s_add_u32 s2, s2, s4
	s_addc_u32 s3, s3, s5
	s_load_dwordx2 s[2:3], s[2:3], 0x0
	s_lshl_b64 s[0:1], s[0:1], 3
	s_waitcnt lgkmcnt(0)
	s_add_u32 s2, s2, s0
	s_addc_u32 s3, s3, s1
	s_load_dwordx2 s[4:5], s[2:3], 0x0
	s_and_b64 vcc, exec, s[10:11]
	s_cbranch_vccnz .LBB64_12
; %bb.2:
	s_lshl_b64 s[0:1], s[6:7], 2
	s_add_u32 s0, s8, s0
	s_addc_u32 s1, s9, s1
	s_load_dword s10, s[0:1], 0x0
	s_mov_b64 s[0:1], 0
	s_waitcnt lgkmcnt(0)
	s_cmp_eq_u32 s10, 0
	s_mov_b64 s[10:11], 0
	s_cbranch_scc0 .LBB64_4
; %bb.3:
	s_mov_b64 s[10:11], -1
.LBB64_4:
	s_and_b64 vcc, exec, s[0:1]
	s_cbranch_vccz .LBB64_13
.LBB64_5:
	s_waitcnt lgkmcnt(0)
	v_cmp_eq_f32_e64 s[0:1], s4, 0
	v_cmp_eq_f32_e64 s[12:13], s5, 0
	s_and_b64 s[0:1], s[0:1], s[12:13]
	v_mov_b32_e32 v0, 0
	s_andn2_b64 vcc, exec, s[0:1]
	ds_write_b32 v0, v0
	s_waitcnt lgkmcnt(0)
	; wave barrier
	s_waitcnt lgkmcnt(0)
	s_cbranch_vccnz .LBB64_10
; %bb.6:
	ds_read_b32 v1, v0
	s_waitcnt lgkmcnt(0)
	v_readfirstlane_b32 s12, v1
	s_cmp_lg_u32 s12, 0
	s_cselect_b64 s[0:1], -1, 0
	s_cmp_lt_i32 s12, 2
	s_cselect_b64 s[12:13], -1, 0
	s_and_b64 s[0:1], s[0:1], s[12:13]
	s_and_b64 vcc, exec, s[0:1]
	s_cbranch_vccnz .LBB64_10
; %bb.7:
	s_mov_b64 s[12:13], 0
	v_mov_b32_e32 v2, 1
	v_mov_b32_e32 v3, 0
.LBB64_8:                               ; =>This Inner Loop Header: Depth=1
	ds_cmpst_rtn_b32 v1, v3, v1, v2
	s_waitcnt lgkmcnt(0)
	v_cmp_ne_u32_e32 vcc, 0, v1
	v_cmp_gt_i32_e64 s[0:1], 2, v1
	s_and_b64 s[0:1], vcc, s[0:1]
	s_and_b64 s[0:1], exec, s[0:1]
	s_or_b64 s[12:13], s[0:1], s[12:13]
	s_andn2_b64 exec, exec, s[12:13]
	s_cbranch_execnz .LBB64_8
; %bb.9:
	s_or_b64 exec, exec, s[12:13]
.LBB64_10:
	s_waitcnt lgkmcnt(0)
	; wave barrier
	ds_read_b32 v1, v0
	s_lshl_b64 s[0:1], s[6:7], 2
	s_add_u32 s0, s8, s0
	s_addc_u32 s1, s9, s1
	s_waitcnt lgkmcnt(0)
	v_cmp_ne_u32_e32 vcc, 0, v1
	global_store_dword v0, v1, s[0:1]
	s_cbranch_vccz .LBB64_16
; %bb.11:
                                        ; implicit-def: $vgpr0_vgpr1
	s_and_b64 vcc, exec, s[10:11]
	s_cbranch_vccnz .LBB64_14
	s_branch .LBB64_15
.LBB64_12:
	s_mov_b64 s[10:11], 0
	s_cbranch_execnz .LBB64_5
.LBB64_13:
	s_waitcnt lgkmcnt(0)
	v_pk_mov_b32 v[0:1], s[4:5], s[4:5] op_sel:[0,1]
	s_and_b64 vcc, exec, s[10:11]
	s_cbranch_vccz .LBB64_15
.LBB64_14:
	v_mov_b32_e32 v2, 0
	global_store_dwordx2 v2, v[0:1], s[2:3]
.LBB64_15:
	s_endpgm
.LBB64_16:
	v_mov_b32_e32 v0, s5
	v_cmp_lt_f32_e64 s[0:1], s5, 0
	v_cndmask_b32_e64 v0, v0, -v0, s[0:1]
	v_mov_b32_e32 v1, s4
	v_cmp_lt_f32_e64 s[0:1], s4, 0
	v_cndmask_b32_e64 v1, v1, -v1, s[0:1]
	v_cmp_ngt_f32_e32 vcc, v1, v0
	s_cbranch_vccz .LBB64_18
; %bb.17:
	v_mov_b32_e32 v0, s4
	v_div_scale_f32 v1, s[0:1], s5, s5, v0
	v_rcp_f32_e32 v2, v1
	v_mov_b32_e32 v3, s5
	v_fma_f32 v4, -v1, v2, 1.0
	v_fmac_f32_e32 v2, v4, v2
	v_div_scale_f32 v4, vcc, s4, v3, s4
	v_mul_f32_e32 v5, v4, v2
	v_fma_f32 v6, -v1, v5, v4
	v_fmac_f32_e32 v5, v6, v2
	v_fma_f32 v1, -v1, v5, v4
	v_div_fmas_f32 v1, v1, v2, v5
	v_div_fixup_f32 v0, v1, s5, v0
	v_fma_f32 v1, s4, v0, v3
	v_div_scale_f32 v2, s[0:1], v1, v1, 1.0
	v_rcp_f32_e32 v3, v2
	v_fma_f32 v4, -v2, v3, 1.0
	v_fmac_f32_e32 v3, v4, v3
	v_div_scale_f32 v4, vcc, 1.0, v1, 1.0
	v_mul_f32_e32 v5, v4, v3
	v_fma_f32 v6, -v2, v5, v4
	v_fmac_f32_e32 v5, v6, v3
	v_fma_f32 v2, -v2, v5, v4
	v_div_fmas_f32 v2, v2, v3, v5
	v_div_fixup_f32 v1, v2, v1, 1.0
	v_mul_f32_e32 v0, v0, v1
	v_xor_b32_e32 v1, 0x80000000, v1
	s_cbranch_execz .LBB64_19
	s_branch .LBB64_20
.LBB64_18:
                                        ; implicit-def: $vgpr0_vgpr1
.LBB64_19:
	v_mov_b32_e32 v0, s5
	v_div_scale_f32 v1, s[0:1], s4, s4, v0
	v_rcp_f32_e32 v2, v1
	v_mov_b32_e32 v3, s4
	v_fma_f32 v4, -v1, v2, 1.0
	v_fmac_f32_e32 v2, v4, v2
	v_div_scale_f32 v4, vcc, s5, v3, s5
	v_mul_f32_e32 v5, v4, v2
	v_fma_f32 v6, -v1, v5, v4
	v_fmac_f32_e32 v5, v6, v2
	v_fma_f32 v1, -v1, v5, v4
	v_div_fmas_f32 v1, v1, v2, v5
	v_div_fixup_f32 v1, v1, s4, v0
	v_fma_f32 v0, s5, v1, v3
	v_div_scale_f32 v2, s[0:1], v0, v0, 1.0
	v_rcp_f32_e32 v3, v2
	v_fma_f32 v4, -v2, v3, 1.0
	v_fmac_f32_e32 v3, v4, v3
	v_div_scale_f32 v4, vcc, 1.0, v0, 1.0
	v_mul_f32_e32 v5, v4, v3
	v_fma_f32 v6, -v2, v5, v4
	v_fmac_f32_e32 v5, v6, v3
	v_fma_f32 v2, -v2, v5, v4
	v_div_fmas_f32 v2, v2, v3, v5
	v_div_fixup_f32 v0, v2, v0, 1.0
	v_mul_f32_e64 v1, v1, -v0
.LBB64_20:
	s_cbranch_execnz .LBB64_14
	s_branch .LBB64_15
	.section	.rodata,"a",@progbits
	.p2align	6, 0x0
	.amdhsa_kernel _ZN9rocsolver6v33100L18getri_kernel_smallILi1E19rocblas_complex_numIfEPKPS3_EEvT1_iilPiilS8_bb
		.amdhsa_group_segment_fixed_size 4
		.amdhsa_private_segment_fixed_size 0
		.amdhsa_kernarg_size 60
		.amdhsa_user_sgpr_count 6
		.amdhsa_user_sgpr_private_segment_buffer 1
		.amdhsa_user_sgpr_dispatch_ptr 0
		.amdhsa_user_sgpr_queue_ptr 0
		.amdhsa_user_sgpr_kernarg_segment_ptr 1
		.amdhsa_user_sgpr_dispatch_id 0
		.amdhsa_user_sgpr_flat_scratch_init 0
		.amdhsa_user_sgpr_kernarg_preload_length 0
		.amdhsa_user_sgpr_kernarg_preload_offset 0
		.amdhsa_user_sgpr_private_segment_size 0
		.amdhsa_uses_dynamic_stack 0
		.amdhsa_system_sgpr_private_segment_wavefront_offset 0
		.amdhsa_system_sgpr_workgroup_id_x 1
		.amdhsa_system_sgpr_workgroup_id_y 0
		.amdhsa_system_sgpr_workgroup_id_z 0
		.amdhsa_system_sgpr_workgroup_info 0
		.amdhsa_system_vgpr_workitem_id 0
		.amdhsa_next_free_vgpr 7
		.amdhsa_next_free_sgpr 14
		.amdhsa_accum_offset 8
		.amdhsa_reserve_vcc 1
		.amdhsa_reserve_flat_scratch 0
		.amdhsa_float_round_mode_32 0
		.amdhsa_float_round_mode_16_64 0
		.amdhsa_float_denorm_mode_32 3
		.amdhsa_float_denorm_mode_16_64 3
		.amdhsa_dx10_clamp 1
		.amdhsa_ieee_mode 1
		.amdhsa_fp16_overflow 0
		.amdhsa_tg_split 0
		.amdhsa_exception_fp_ieee_invalid_op 0
		.amdhsa_exception_fp_denorm_src 0
		.amdhsa_exception_fp_ieee_div_zero 0
		.amdhsa_exception_fp_ieee_overflow 0
		.amdhsa_exception_fp_ieee_underflow 0
		.amdhsa_exception_fp_ieee_inexact 0
		.amdhsa_exception_int_div_zero 0
	.end_amdhsa_kernel
	.section	.text._ZN9rocsolver6v33100L18getri_kernel_smallILi1E19rocblas_complex_numIfEPKPS3_EEvT1_iilPiilS8_bb,"axG",@progbits,_ZN9rocsolver6v33100L18getri_kernel_smallILi1E19rocblas_complex_numIfEPKPS3_EEvT1_iilPiilS8_bb,comdat
.Lfunc_end64:
	.size	_ZN9rocsolver6v33100L18getri_kernel_smallILi1E19rocblas_complex_numIfEPKPS3_EEvT1_iilPiilS8_bb, .Lfunc_end64-_ZN9rocsolver6v33100L18getri_kernel_smallILi1E19rocblas_complex_numIfEPKPS3_EEvT1_iilPiilS8_bb
                                        ; -- End function
	.section	.AMDGPU.csdata,"",@progbits
; Kernel info:
; codeLenInByte = 828
; NumSgprs: 18
; NumVgprs: 7
; NumAgprs: 0
; TotalNumVgprs: 7
; ScratchSize: 0
; MemoryBound: 0
; FloatMode: 240
; IeeeMode: 1
; LDSByteSize: 4 bytes/workgroup (compile time only)
; SGPRBlocks: 2
; VGPRBlocks: 0
; NumSGPRsForWavesPerEU: 18
; NumVGPRsForWavesPerEU: 7
; AccumOffset: 8
; Occupancy: 8
; WaveLimiterHint : 1
; COMPUTE_PGM_RSRC2:SCRATCH_EN: 0
; COMPUTE_PGM_RSRC2:USER_SGPR: 6
; COMPUTE_PGM_RSRC2:TRAP_HANDLER: 0
; COMPUTE_PGM_RSRC2:TGID_X_EN: 1
; COMPUTE_PGM_RSRC2:TGID_Y_EN: 0
; COMPUTE_PGM_RSRC2:TGID_Z_EN: 0
; COMPUTE_PGM_RSRC2:TIDIG_COMP_CNT: 0
; COMPUTE_PGM_RSRC3_GFX90A:ACCUM_OFFSET: 1
; COMPUTE_PGM_RSRC3_GFX90A:TG_SPLIT: 0
	.section	.text._ZN9rocsolver6v33100L18getri_kernel_smallILi2E19rocblas_complex_numIfEPKPS3_EEvT1_iilPiilS8_bb,"axG",@progbits,_ZN9rocsolver6v33100L18getri_kernel_smallILi2E19rocblas_complex_numIfEPKPS3_EEvT1_iilPiilS8_bb,comdat
	.globl	_ZN9rocsolver6v33100L18getri_kernel_smallILi2E19rocblas_complex_numIfEPKPS3_EEvT1_iilPiilS8_bb ; -- Begin function _ZN9rocsolver6v33100L18getri_kernel_smallILi2E19rocblas_complex_numIfEPKPS3_EEvT1_iilPiilS8_bb
	.p2align	8
	.type	_ZN9rocsolver6v33100L18getri_kernel_smallILi2E19rocblas_complex_numIfEPKPS3_EEvT1_iilPiilS8_bb,@function
_ZN9rocsolver6v33100L18getri_kernel_smallILi2E19rocblas_complex_numIfEPKPS3_EEvT1_iilPiilS8_bb: ; @_ZN9rocsolver6v33100L18getri_kernel_smallILi2E19rocblas_complex_numIfEPKPS3_EEvT1_iilPiilS8_bb
; %bb.0:
	s_add_u32 flat_scratch_lo, s6, s9
	s_addc_u32 flat_scratch_hi, s7, 0
	s_add_u32 s0, s0, s9
	s_addc_u32 s1, s1, 0
	v_cmp_gt_u32_e32 vcc, 2, v0
	s_and_saveexec_b64 s[6:7], vcc
	s_cbranch_execz .LBB65_22
; %bb.1:
	s_load_dword s18, s[4:5], 0x38
	s_load_dwordx2 s[6:7], s[4:5], 0x0
	s_load_dwordx4 s[12:15], s[4:5], 0x28
	s_waitcnt lgkmcnt(0)
	s_bitcmp1_b32 s18, 8
	s_cselect_b64 s[10:11], -1, 0
	s_ashr_i32 s9, s8, 31
	s_lshl_b64 s[16:17], s[8:9], 3
	s_add_u32 s6, s6, s16
	s_addc_u32 s7, s7, s17
	s_load_dwordx2 s[6:7], s[6:7], 0x0
	s_bfe_u32 s16, s18, 0x10008
	s_cmp_eq_u32 s16, 0
                                        ; implicit-def: $sgpr16_sgpr17
	s_cbranch_scc1 .LBB65_3
; %bb.2:
	s_load_dword s16, s[4:5], 0x20
	s_load_dwordx2 s[20:21], s[4:5], 0x18
	s_mul_i32 s13, s8, s13
	s_mul_hi_u32 s17, s8, s12
	s_add_i32 s13, s17, s13
	s_mul_i32 s19, s9, s12
	s_add_i32 s13, s13, s19
	s_mul_i32 s12, s8, s12
	s_waitcnt lgkmcnt(0)
	s_ashr_i32 s17, s16, 31
	s_lshl_b64 s[12:13], s[12:13], 2
	s_add_u32 s19, s20, s12
	s_addc_u32 s20, s21, s13
	s_lshl_b64 s[12:13], s[16:17], 2
	s_add_u32 s16, s19, s12
	s_addc_u32 s17, s20, s13
.LBB65_3:
	s_load_dwordx2 s[4:5], s[4:5], 0x8
	v_lshlrev_b32_e32 v10, 3, v0
	s_waitcnt lgkmcnt(0)
	s_ashr_i32 s13, s4, 31
	s_mov_b32 s12, s4
	s_lshl_b64 s[12:13], s[12:13], 3
	s_add_u32 s6, s6, s12
	s_addc_u32 s7, s7, s13
	v_mov_b32_e32 v1, s7
	v_add_co_u32_e32 v2, vcc, s6, v10
	global_load_dwordx2 v[6:7], v10, s[6:7]
	s_ashr_i32 s7, s5, 31
	s_mov_b32 s6, s5
	v_addc_co_u32_e32 v3, vcc, 0, v1, vcc
	s_lshl_b64 s[4:5], s[6:7], 3
	v_mov_b32_e32 v1, s5
	v_add_co_u32_e32 v4, vcc, s4, v2
	v_addc_co_u32_e32 v5, vcc, v3, v1, vcc
	global_load_dwordx2 v[8:9], v[4:5], off
	s_bitcmp0_b32 s18, 0
	s_mov_b64 s[6:7], -1
	s_waitcnt vmcnt(1)
	buffer_store_dword v7, off, s[0:3], 0 offset:4
	buffer_store_dword v6, off, s[0:3], 0
	s_waitcnt vmcnt(2)
	buffer_store_dword v9, off, s[0:3], 0 offset:12
	buffer_store_dword v8, off, s[0:3], 0 offset:8
	s_cbranch_scc1 .LBB65_20
; %bb.4:
	v_cmp_eq_u32_e64 s[4:5], 0, v0
	s_and_saveexec_b64 s[6:7], s[4:5]
	s_cbranch_execz .LBB65_6
; %bb.5:
	v_mov_b32_e32 v1, 0
	ds_write_b32 v1, v1 offset:32
.LBB65_6:
	s_or_b64 exec, exec, s[6:7]
	v_mov_b32_e32 v1, 0
	v_lshl_add_u32 v7, v0, 3, v1
	s_waitcnt lgkmcnt(0)
	; wave barrier
	s_waitcnt lgkmcnt(0)
	buffer_load_dword v1, v7, s[0:3], 0 offen
	buffer_load_dword v6, v7, s[0:3], 0 offen offset:4
	s_waitcnt vmcnt(1)
	v_cmp_eq_f32_e32 vcc, 0, v1
	s_waitcnt vmcnt(0)
	v_cmp_eq_f32_e64 s[6:7], 0, v6
	s_and_b64 s[6:7], vcc, s[6:7]
	s_and_saveexec_b64 s[12:13], s[6:7]
	s_cbranch_execz .LBB65_10
; %bb.7:
	v_mov_b32_e32 v1, 0
	ds_read_b32 v8, v1 offset:32
	v_add_u32_e32 v6, 1, v0
	s_waitcnt lgkmcnt(0)
	v_readfirstlane_b32 s6, v8
	s_cmp_eq_u32 s6, 0
	s_cselect_b64 s[18:19], -1, 0
	v_cmp_gt_i32_e32 vcc, s6, v6
	s_or_b64 s[18:19], s[18:19], vcc
	s_and_b64 exec, exec, s[18:19]
	s_cbranch_execz .LBB65_10
; %bb.8:
	s_mov_b64 s[18:19], 0
	v_mov_b32_e32 v8, s6
.LBB65_9:                               ; =>This Inner Loop Header: Depth=1
	ds_cmpst_rtn_b32 v8, v1, v8, v6 offset:32
	s_waitcnt lgkmcnt(0)
	v_cmp_ne_u32_e32 vcc, 0, v8
	v_cmp_le_i32_e64 s[6:7], v8, v6
	s_and_b64 s[6:7], vcc, s[6:7]
	s_and_b64 s[6:7], exec, s[6:7]
	s_or_b64 s[18:19], s[6:7], s[18:19]
	s_andn2_b64 exec, exec, s[18:19]
	s_cbranch_execnz .LBB65_9
.LBB65_10:
	s_or_b64 exec, exec, s[12:13]
	v_mov_b32_e32 v6, 0
	s_waitcnt lgkmcnt(0)
	; wave barrier
	ds_read_b32 v1, v6 offset:32
	s_and_saveexec_b64 s[6:7], s[4:5]
	s_cbranch_execz .LBB65_12
; %bb.11:
	s_lshl_b64 s[12:13], s[8:9], 2
	s_add_u32 s12, s14, s12
	s_addc_u32 s13, s15, s13
	s_waitcnt lgkmcnt(0)
	global_store_dword v6, v1, s[12:13]
.LBB65_12:
	s_or_b64 exec, exec, s[6:7]
	s_waitcnt lgkmcnt(0)
	v_cmp_ne_u32_e32 vcc, 0, v1
	s_mov_b64 s[6:7], 0
	s_cbranch_vccnz .LBB65_20
; %bb.13:
	buffer_load_dword v12, v7, s[0:3], 0 offen offset:4
	buffer_load_dword v11, v7, s[0:3], 0 offen
	s_waitcnt vmcnt(1)
	v_cmp_gt_f32_e32 vcc, 0, v12
	v_cndmask_b32_e64 v1, v12, -v12, vcc
	s_waitcnt vmcnt(0)
	v_cmp_gt_f32_e32 vcc, 0, v11
	v_cndmask_b32_e64 v6, v11, -v11, vcc
	v_cmp_ngt_f32_e32 vcc, v6, v1
                                        ; implicit-def: $vgpr1
                                        ; implicit-def: $vgpr6
	s_and_saveexec_b64 s[6:7], vcc
	s_xor_b64 s[6:7], exec, s[6:7]
                                        ; implicit-def: $vgpr8_vgpr9
	s_cbranch_execz .LBB65_15
; %bb.14:
	v_div_scale_f32 v1, s[12:13], v12, v12, v11
	v_rcp_f32_e32 v6, v1
	v_div_scale_f32 v8, vcc, v11, v12, v11
	v_fma_f32 v9, -v1, v6, 1.0
	v_fmac_f32_e32 v6, v9, v6
	v_mul_f32_e32 v9, v8, v6
	v_fma_f32 v13, -v1, v9, v8
	v_fmac_f32_e32 v9, v13, v6
	v_fma_f32 v1, -v1, v9, v8
	v_div_fmas_f32 v1, v1, v6, v9
	v_div_fixup_f32 v6, v1, v12, v11
	v_fmac_f32_e32 v12, v11, v6
	v_div_scale_f32 v1, s[12:13], v12, v12, -1.0
	v_rcp_f32_e32 v8, v1
	v_fma_f32 v9, -v1, v8, 1.0
	v_fmac_f32_e32 v8, v9, v8
	v_div_scale_f32 v9, vcc, -1.0, v12, -1.0
	v_mul_f32_e32 v11, v9, v8
	v_fma_f32 v13, -v1, v11, v9
	v_fmac_f32_e32 v11, v13, v8
	v_fma_f32 v1, -v1, v11, v9
	v_div_fmas_f32 v1, v1, v8, v11
	v_div_fixup_f32 v1, v1, v12, -1.0
	v_mul_f32_e32 v6, v6, v1
	v_xor_b32_e32 v8, 0x80000000, v6
                                        ; implicit-def: $vgpr11
                                        ; implicit-def: $vgpr12
.LBB65_15:
	s_andn2_saveexec_b64 s[6:7], s[6:7]
	s_cbranch_execz .LBB65_17
; %bb.16:
	v_div_scale_f32 v1, s[12:13], v11, v11, v12
	v_rcp_f32_e32 v6, v1
	v_div_scale_f32 v8, vcc, v12, v11, v12
	v_fma_f32 v9, -v1, v6, 1.0
	v_fmac_f32_e32 v6, v9, v6
	v_mul_f32_e32 v9, v8, v6
	v_fma_f32 v13, -v1, v9, v8
	v_fmac_f32_e32 v9, v13, v6
	v_fma_f32 v1, -v1, v9, v8
	v_div_fmas_f32 v1, v1, v6, v9
	v_div_fixup_f32 v1, v1, v11, v12
	v_fmac_f32_e32 v11, v12, v1
	v_div_scale_f32 v6, s[12:13], v11, v11, 1.0
	v_rcp_f32_e32 v8, v6
	v_fma_f32 v9, -v6, v8, 1.0
	v_fmac_f32_e32 v8, v9, v8
	v_div_scale_f32 v9, vcc, 1.0, v11, 1.0
	v_mul_f32_e32 v12, v9, v8
	v_fma_f32 v13, -v6, v12, v9
	v_fmac_f32_e32 v12, v13, v8
	v_fma_f32 v6, -v6, v12, v9
	v_div_fmas_f32 v6, v6, v8, v12
	v_div_fixup_f32 v8, v6, v11, 1.0
	v_xor_b32_e32 v6, 0x80000000, v8
	v_mul_f32_e64 v1, v1, -v8
.LBB65_17:
	s_or_b64 exec, exec, s[6:7]
	buffer_store_dword v1, v7, s[0:3], 0 offen offset:4
	buffer_store_dword v8, v7, s[0:3], 0 offen
	buffer_load_dword v9, off, s[0:3], 0 offset:12
	s_nop 0
	buffer_load_dword v8, off, s[0:3], 0 offset:8
	v_xor_b32_e32 v7, 0x80000000, v1
	s_waitcnt vmcnt(0)
	ds_write2_b64 v10, v[6:7], v[8:9] offset1:2
	s_waitcnt lgkmcnt(0)
	; wave barrier
	s_waitcnt lgkmcnt(0)
	s_and_saveexec_b64 s[6:7], s[4:5]
	s_cbranch_execz .LBB65_19
; %bb.18:
	buffer_load_dword v1, off, s[0:3], 0 offset:4
	buffer_load_dword v10, off, s[0:3], 0
	v_mov_b32_e32 v6, 0
	ds_read2_b64 v[6:9], v6 offset0:1 offset1:2
	s_waitcnt vmcnt(1) lgkmcnt(0)
	v_mul_f32_e32 v11, v9, v1
	v_mul_f32_e32 v1, v8, v1
	s_waitcnt vmcnt(0)
	v_fmac_f32_e32 v1, v9, v10
	v_fma_f32 v8, v8, v10, -v11
	v_add_f32_e32 v1, 0, v1
	v_add_f32_e32 v8, 0, v8
	v_mul_f32_e32 v9, v1, v7
	v_mul_f32_e32 v7, v8, v7
	v_fma_f32 v8, v8, v6, -v9
	v_fmac_f32_e32 v7, v1, v6
	buffer_store_dword v8, off, s[0:3], 0 offset:8
	buffer_store_dword v7, off, s[0:3], 0 offset:12
.LBB65_19:
	s_or_b64 exec, exec, s[6:7]
	s_mov_b64 s[6:7], -1
	s_waitcnt lgkmcnt(0)
	; wave barrier
.LBB65_20:
	s_and_b64 vcc, exec, s[6:7]
	s_cbranch_vccz .LBB65_22
; %bb.21:
	s_lshl_b64 s[4:5], s[8:9], 2
	s_add_u32 s4, s14, s4
	s_addc_u32 s5, s15, s5
	v_mov_b32_e32 v1, 0
	global_load_dword v1, v1, s[4:5]
	s_waitcnt vmcnt(0)
	v_cmp_ne_u32_e32 vcc, 0, v1
	s_cbranch_vccz .LBB65_23
.LBB65_22:
	s_endpgm
.LBB65_23:
	v_cmp_eq_u32_e32 vcc, 1, v0
	s_and_saveexec_b64 s[4:5], vcc
	s_cbranch_execz .LBB65_25
; %bb.24:
	buffer_load_dword v0, off, s[0:3], 0
	buffer_load_dword v1, off, s[0:3], 0 offset:4
	v_mov_b32_e32 v6, 0
	buffer_store_dword v6, off, s[0:3], 0
	buffer_store_dword v6, off, s[0:3], 0 offset:4
	s_waitcnt vmcnt(2)
	ds_write_b64 v6, v[0:1] offset:24
.LBB65_25:
	s_or_b64 exec, exec, s[4:5]
	s_waitcnt lgkmcnt(0)
	; wave barrier
	s_waitcnt lgkmcnt(0)
	buffer_load_dword v1, off, s[0:3], 0 offset:12
	buffer_load_dword v0, off, s[0:3], 0 offset:8
	buffer_load_dword v6, off, s[0:3], 0
	buffer_load_dword v7, off, s[0:3], 0 offset:4
	v_mov_b32_e32 v8, 0
	ds_read_b64 v[8:9], v8 offset:24
	s_andn2_b64 vcc, exec, s[10:11]
	s_waitcnt vmcnt(3)
	v_mov_b32_e32 v10, v1
	s_waitcnt lgkmcnt(0)
	v_pk_mul_f32 v[10:11], v[8:9], v[10:11] op_sel_hi:[1,0]
	s_waitcnt vmcnt(2)
	v_pk_fma_f32 v[12:13], v[8:9], v[0:1], v[10:11] op_sel:[0,0,1] op_sel_hi:[1,1,0] neg_lo:[0,0,1] neg_hi:[0,0,1]
	v_pk_fma_f32 v[8:9], v[8:9], v[0:1], v[10:11] op_sel:[0,0,1] op_sel_hi:[1,0,0]
	v_mov_b32_e32 v13, v9
	v_pk_add_f32 v[8:9], v[12:13], 0 op_sel_hi:[1,0]
	s_waitcnt vmcnt(0)
	v_pk_add_f32 v[6:7], v[6:7], v[8:9] neg_lo:[0,1] neg_hi:[0,1]
	buffer_store_dword v6, off, s[0:3], 0
	buffer_store_dword v7, off, s[0:3], 0 offset:4
	s_cbranch_vccnz .LBB65_29
; %bb.26:
	v_pk_mov_b32 v[8:9], s[16:17], s[16:17] op_sel:[0,1]
	flat_load_dword v8, v[8:9]
	s_waitcnt vmcnt(0) lgkmcnt(0)
	v_add_u32_e32 v8, -1, v8
	v_cmp_ne_u32_e32 vcc, 0, v8
	s_and_saveexec_b64 s[4:5], vcc
	s_cbranch_execz .LBB65_28
; %bb.27:
	v_mov_b32_e32 v0, 0
	v_lshl_add_u32 v0, v8, 3, v0
	buffer_load_dword v1, v0, s[0:3], 0 offen offset:4
	buffer_load_dword v8, v0, s[0:3], 0 offen
	s_waitcnt vmcnt(1)
	buffer_store_dword v1, off, s[0:3], 0 offset:4
	s_waitcnt vmcnt(1)
	buffer_store_dword v8, off, s[0:3], 0
	buffer_store_dword v7, v0, s[0:3], 0 offen offset:4
	buffer_store_dword v6, v0, s[0:3], 0 offen
	buffer_load_dword v6, off, s[0:3], 0
	s_nop 0
	buffer_load_dword v1, off, s[0:3], 0 offset:12
	buffer_load_dword v0, off, s[0:3], 0 offset:8
	;; [unrolled: 1-line block ×3, first 2 shown]
.LBB65_28:
	s_or_b64 exec, exec, s[4:5]
.LBB65_29:
	s_waitcnt vmcnt(0)
	global_store_dwordx2 v[2:3], v[6:7], off
	global_store_dwordx2 v[4:5], v[0:1], off
	s_endpgm
	.section	.rodata,"a",@progbits
	.p2align	6, 0x0
	.amdhsa_kernel _ZN9rocsolver6v33100L18getri_kernel_smallILi2E19rocblas_complex_numIfEPKPS3_EEvT1_iilPiilS8_bb
		.amdhsa_group_segment_fixed_size 36
		.amdhsa_private_segment_fixed_size 32
		.amdhsa_kernarg_size 60
		.amdhsa_user_sgpr_count 8
		.amdhsa_user_sgpr_private_segment_buffer 1
		.amdhsa_user_sgpr_dispatch_ptr 0
		.amdhsa_user_sgpr_queue_ptr 0
		.amdhsa_user_sgpr_kernarg_segment_ptr 1
		.amdhsa_user_sgpr_dispatch_id 0
		.amdhsa_user_sgpr_flat_scratch_init 1
		.amdhsa_user_sgpr_kernarg_preload_length 0
		.amdhsa_user_sgpr_kernarg_preload_offset 0
		.amdhsa_user_sgpr_private_segment_size 0
		.amdhsa_uses_dynamic_stack 0
		.amdhsa_system_sgpr_private_segment_wavefront_offset 1
		.amdhsa_system_sgpr_workgroup_id_x 1
		.amdhsa_system_sgpr_workgroup_id_y 0
		.amdhsa_system_sgpr_workgroup_id_z 0
		.amdhsa_system_sgpr_workgroup_info 0
		.amdhsa_system_vgpr_workitem_id 0
		.amdhsa_next_free_vgpr 14
		.amdhsa_next_free_sgpr 22
		.amdhsa_accum_offset 16
		.amdhsa_reserve_vcc 1
		.amdhsa_reserve_flat_scratch 1
		.amdhsa_float_round_mode_32 0
		.amdhsa_float_round_mode_16_64 0
		.amdhsa_float_denorm_mode_32 3
		.amdhsa_float_denorm_mode_16_64 3
		.amdhsa_dx10_clamp 1
		.amdhsa_ieee_mode 1
		.amdhsa_fp16_overflow 0
		.amdhsa_tg_split 0
		.amdhsa_exception_fp_ieee_invalid_op 0
		.amdhsa_exception_fp_denorm_src 0
		.amdhsa_exception_fp_ieee_div_zero 0
		.amdhsa_exception_fp_ieee_overflow 0
		.amdhsa_exception_fp_ieee_underflow 0
		.amdhsa_exception_fp_ieee_inexact 0
		.amdhsa_exception_int_div_zero 0
	.end_amdhsa_kernel
	.section	.text._ZN9rocsolver6v33100L18getri_kernel_smallILi2E19rocblas_complex_numIfEPKPS3_EEvT1_iilPiilS8_bb,"axG",@progbits,_ZN9rocsolver6v33100L18getri_kernel_smallILi2E19rocblas_complex_numIfEPKPS3_EEvT1_iilPiilS8_bb,comdat
.Lfunc_end65:
	.size	_ZN9rocsolver6v33100L18getri_kernel_smallILi2E19rocblas_complex_numIfEPKPS3_EEvT1_iilPiilS8_bb, .Lfunc_end65-_ZN9rocsolver6v33100L18getri_kernel_smallILi2E19rocblas_complex_numIfEPKPS3_EEvT1_iilPiilS8_bb
                                        ; -- End function
	.section	.AMDGPU.csdata,"",@progbits
; Kernel info:
; codeLenInByte = 1592
; NumSgprs: 28
; NumVgprs: 14
; NumAgprs: 0
; TotalNumVgprs: 14
; ScratchSize: 32
; MemoryBound: 0
; FloatMode: 240
; IeeeMode: 1
; LDSByteSize: 36 bytes/workgroup (compile time only)
; SGPRBlocks: 3
; VGPRBlocks: 1
; NumSGPRsForWavesPerEU: 28
; NumVGPRsForWavesPerEU: 14
; AccumOffset: 16
; Occupancy: 8
; WaveLimiterHint : 1
; COMPUTE_PGM_RSRC2:SCRATCH_EN: 1
; COMPUTE_PGM_RSRC2:USER_SGPR: 8
; COMPUTE_PGM_RSRC2:TRAP_HANDLER: 0
; COMPUTE_PGM_RSRC2:TGID_X_EN: 1
; COMPUTE_PGM_RSRC2:TGID_Y_EN: 0
; COMPUTE_PGM_RSRC2:TGID_Z_EN: 0
; COMPUTE_PGM_RSRC2:TIDIG_COMP_CNT: 0
; COMPUTE_PGM_RSRC3_GFX90A:ACCUM_OFFSET: 3
; COMPUTE_PGM_RSRC3_GFX90A:TG_SPLIT: 0
	.section	.text._ZN9rocsolver6v33100L18getri_kernel_smallILi3E19rocblas_complex_numIfEPKPS3_EEvT1_iilPiilS8_bb,"axG",@progbits,_ZN9rocsolver6v33100L18getri_kernel_smallILi3E19rocblas_complex_numIfEPKPS3_EEvT1_iilPiilS8_bb,comdat
	.globl	_ZN9rocsolver6v33100L18getri_kernel_smallILi3E19rocblas_complex_numIfEPKPS3_EEvT1_iilPiilS8_bb ; -- Begin function _ZN9rocsolver6v33100L18getri_kernel_smallILi3E19rocblas_complex_numIfEPKPS3_EEvT1_iilPiilS8_bb
	.p2align	8
	.type	_ZN9rocsolver6v33100L18getri_kernel_smallILi3E19rocblas_complex_numIfEPKPS3_EEvT1_iilPiilS8_bb,@function
_ZN9rocsolver6v33100L18getri_kernel_smallILi3E19rocblas_complex_numIfEPKPS3_EEvT1_iilPiilS8_bb: ; @_ZN9rocsolver6v33100L18getri_kernel_smallILi3E19rocblas_complex_numIfEPKPS3_EEvT1_iilPiilS8_bb
; %bb.0:
	s_add_u32 flat_scratch_lo, s6, s9
	s_addc_u32 flat_scratch_hi, s7, 0
	s_add_u32 s0, s0, s9
	s_addc_u32 s1, s1, 0
	v_cmp_gt_u32_e32 vcc, 3, v0
	s_and_saveexec_b64 s[6:7], vcc
	s_cbranch_execz .LBB66_26
; %bb.1:
	s_load_dword s18, s[4:5], 0x38
	s_load_dwordx2 s[6:7], s[4:5], 0x0
	s_load_dwordx4 s[12:15], s[4:5], 0x28
	s_waitcnt lgkmcnt(0)
	s_bitcmp1_b32 s18, 8
	s_cselect_b64 s[16:17], -1, 0
	s_ashr_i32 s9, s8, 31
	s_lshl_b64 s[10:11], s[8:9], 3
	s_add_u32 s6, s6, s10
	s_addc_u32 s7, s7, s11
	s_load_dwordx2 s[6:7], s[6:7], 0x0
	s_bfe_u32 s10, s18, 0x10008
	s_cmp_eq_u32 s10, 0
                                        ; implicit-def: $sgpr10_sgpr11
	s_cbranch_scc1 .LBB66_3
; %bb.2:
	s_load_dword s10, s[4:5], 0x20
	s_load_dwordx2 s[20:21], s[4:5], 0x18
	s_mul_i32 s11, s8, s13
	s_mul_hi_u32 s13, s8, s12
	s_add_i32 s13, s13, s11
	s_mul_i32 s19, s9, s12
	s_add_i32 s13, s13, s19
	s_mul_i32 s12, s8, s12
	s_waitcnt lgkmcnt(0)
	s_ashr_i32 s11, s10, 31
	s_lshl_b64 s[12:13], s[12:13], 2
	s_add_u32 s12, s20, s12
	s_addc_u32 s13, s21, s13
	s_lshl_b64 s[10:11], s[10:11], 2
	s_add_u32 s10, s12, s10
	s_addc_u32 s11, s13, s11
.LBB66_3:
	s_load_dwordx2 s[4:5], s[4:5], 0x8
	v_lshlrev_b32_e32 v12, 3, v0
	s_waitcnt lgkmcnt(0)
	s_ashr_i32 s13, s4, 31
	s_mov_b32 s12, s4
	s_lshl_b64 s[12:13], s[12:13], 3
	s_add_u32 s6, s6, s12
	s_addc_u32 s7, s7, s13
	v_mov_b32_e32 v1, s7
	v_add_co_u32_e32 v2, vcc, s6, v12
	s_ashr_i32 s13, s5, 31
	s_mov_b32 s12, s5
	s_add_i32 s4, s5, s5
	v_addc_co_u32_e32 v3, vcc, 0, v1, vcc
	s_lshl_b64 s[12:13], s[12:13], 3
	v_add_u32_e32 v6, s4, v0
	global_load_dwordx2 v[8:9], v12, s[6:7]
	v_mov_b32_e32 v1, s13
	v_add_co_u32_e32 v4, vcc, s12, v2
	v_ashrrev_i32_e32 v7, 31, v6
	v_addc_co_u32_e32 v5, vcc, v3, v1, vcc
	global_load_dwordx2 v[10:11], v[4:5], off
	v_lshlrev_b64 v[6:7], 3, v[6:7]
	v_mov_b32_e32 v1, s7
	v_add_co_u32_e32 v6, vcc, s6, v6
	v_addc_co_u32_e32 v7, vcc, v1, v7, vcc
	global_load_dwordx2 v[14:15], v[6:7], off
	s_bitcmp0_b32 s18, 0
	s_mov_b64 s[6:7], -1
	s_waitcnt vmcnt(2)
	buffer_store_dword v9, off, s[0:3], 0 offset:4
	buffer_store_dword v8, off, s[0:3], 0
	s_waitcnt vmcnt(3)
	buffer_store_dword v11, off, s[0:3], 0 offset:12
	buffer_store_dword v10, off, s[0:3], 0 offset:8
	s_waitcnt vmcnt(4)
	buffer_store_dword v15, off, s[0:3], 0 offset:20
	buffer_store_dword v14, off, s[0:3], 0 offset:16
	s_cbranch_scc1 .LBB66_24
; %bb.4:
	v_cmp_eq_u32_e64 s[4:5], 0, v0
	s_and_saveexec_b64 s[6:7], s[4:5]
	s_cbranch_execz .LBB66_6
; %bb.5:
	v_mov_b32_e32 v1, 0
	ds_write_b32 v1, v1 offset:24
.LBB66_6:
	s_or_b64 exec, exec, s[6:7]
	v_mov_b32_e32 v1, 0
	v_lshl_add_u32 v13, v0, 3, v1
	s_waitcnt lgkmcnt(0)
	; wave barrier
	s_waitcnt lgkmcnt(0)
	buffer_load_dword v1, v13, s[0:3], 0 offen
	buffer_load_dword v8, v13, s[0:3], 0 offen offset:4
	s_waitcnt vmcnt(1)
	v_cmp_eq_f32_e32 vcc, 0, v1
	s_waitcnt vmcnt(0)
	v_cmp_eq_f32_e64 s[6:7], 0, v8
	s_and_b64 s[6:7], vcc, s[6:7]
	s_and_saveexec_b64 s[12:13], s[6:7]
	s_cbranch_execz .LBB66_10
; %bb.7:
	v_mov_b32_e32 v1, 0
	ds_read_b32 v9, v1 offset:24
	v_add_u32_e32 v8, 1, v0
	s_waitcnt lgkmcnt(0)
	v_readfirstlane_b32 s6, v9
	s_cmp_eq_u32 s6, 0
	s_cselect_b64 s[18:19], -1, 0
	v_cmp_gt_i32_e32 vcc, s6, v8
	s_or_b64 s[18:19], s[18:19], vcc
	s_and_b64 exec, exec, s[18:19]
	s_cbranch_execz .LBB66_10
; %bb.8:
	s_mov_b64 s[18:19], 0
	v_mov_b32_e32 v9, s6
.LBB66_9:                               ; =>This Inner Loop Header: Depth=1
	ds_cmpst_rtn_b32 v9, v1, v9, v8 offset:24
	s_waitcnt lgkmcnt(0)
	v_cmp_ne_u32_e32 vcc, 0, v9
	v_cmp_le_i32_e64 s[6:7], v9, v8
	s_and_b64 s[6:7], vcc, s[6:7]
	s_and_b64 s[6:7], exec, s[6:7]
	s_or_b64 s[18:19], s[6:7], s[18:19]
	s_andn2_b64 exec, exec, s[18:19]
	s_cbranch_execnz .LBB66_9
.LBB66_10:
	s_or_b64 exec, exec, s[12:13]
	v_mov_b32_e32 v8, 0
	s_waitcnt lgkmcnt(0)
	; wave barrier
	ds_read_b32 v1, v8 offset:24
	s_and_saveexec_b64 s[6:7], s[4:5]
	s_cbranch_execz .LBB66_12
; %bb.11:
	s_lshl_b64 s[12:13], s[8:9], 2
	s_add_u32 s12, s14, s12
	s_addc_u32 s13, s15, s13
	s_waitcnt lgkmcnt(0)
	global_store_dword v8, v1, s[12:13]
.LBB66_12:
	s_or_b64 exec, exec, s[6:7]
	s_waitcnt lgkmcnt(0)
	v_cmp_ne_u32_e32 vcc, 0, v1
	s_mov_b64 s[6:7], 0
	s_cbranch_vccnz .LBB66_24
; %bb.13:
	buffer_load_dword v14, v13, s[0:3], 0 offen offset:4
	buffer_load_dword v9, v13, s[0:3], 0 offen
	s_waitcnt vmcnt(1)
	v_cmp_gt_f32_e32 vcc, 0, v14
	v_cndmask_b32_e64 v1, v14, -v14, vcc
	s_waitcnt vmcnt(0)
	v_cmp_gt_f32_e32 vcc, 0, v9
	v_cndmask_b32_e64 v8, v9, -v9, vcc
	v_cmp_ngt_f32_e32 vcc, v8, v1
                                        ; implicit-def: $vgpr1
                                        ; implicit-def: $vgpr8
	s_and_saveexec_b64 s[6:7], vcc
	s_xor_b64 s[6:7], exec, s[6:7]
                                        ; implicit-def: $vgpr10_vgpr11
	s_cbranch_execz .LBB66_15
; %bb.14:
	v_div_scale_f32 v1, s[12:13], v14, v14, v9
	v_rcp_f32_e32 v8, v1
	v_div_scale_f32 v10, vcc, v9, v14, v9
	v_fma_f32 v11, -v1, v8, 1.0
	v_fmac_f32_e32 v8, v11, v8
	v_mul_f32_e32 v11, v10, v8
	v_fma_f32 v15, -v1, v11, v10
	v_fmac_f32_e32 v11, v15, v8
	v_fma_f32 v1, -v1, v11, v10
	v_div_fmas_f32 v1, v1, v8, v11
	v_div_fixup_f32 v8, v1, v14, v9
	v_fmac_f32_e32 v14, v9, v8
	v_div_scale_f32 v1, s[12:13], v14, v14, -1.0
	v_rcp_f32_e32 v9, v1
	v_fma_f32 v10, -v1, v9, 1.0
	v_fmac_f32_e32 v9, v10, v9
	v_div_scale_f32 v10, vcc, -1.0, v14, -1.0
	v_mul_f32_e32 v11, v10, v9
	v_fma_f32 v15, -v1, v11, v10
	v_fmac_f32_e32 v11, v15, v9
	v_fma_f32 v1, -v1, v11, v10
	v_div_fmas_f32 v1, v1, v9, v11
	v_div_fixup_f32 v1, v1, v14, -1.0
	v_mul_f32_e32 v8, v8, v1
	v_xor_b32_e32 v10, 0x80000000, v8
                                        ; implicit-def: $vgpr9
                                        ; implicit-def: $vgpr14
.LBB66_15:
	s_andn2_saveexec_b64 s[6:7], s[6:7]
	s_cbranch_execz .LBB66_17
; %bb.16:
	v_div_scale_f32 v1, s[12:13], v9, v9, v14
	v_rcp_f32_e32 v8, v1
	v_div_scale_f32 v10, vcc, v14, v9, v14
	v_fma_f32 v11, -v1, v8, 1.0
	v_fmac_f32_e32 v8, v11, v8
	v_mul_f32_e32 v11, v10, v8
	v_fma_f32 v15, -v1, v11, v10
	v_fmac_f32_e32 v11, v15, v8
	v_fma_f32 v1, -v1, v11, v10
	v_div_fmas_f32 v1, v1, v8, v11
	v_div_fixup_f32 v1, v1, v9, v14
	v_fmac_f32_e32 v9, v14, v1
	v_div_scale_f32 v8, s[12:13], v9, v9, 1.0
	v_rcp_f32_e32 v10, v8
	v_fma_f32 v11, -v8, v10, 1.0
	v_fmac_f32_e32 v10, v11, v10
	v_div_scale_f32 v11, vcc, 1.0, v9, 1.0
	v_mul_f32_e32 v14, v11, v10
	v_fma_f32 v15, -v8, v14, v11
	v_fmac_f32_e32 v14, v15, v10
	v_fma_f32 v8, -v8, v14, v11
	v_div_fmas_f32 v8, v8, v10, v14
	v_div_fixup_f32 v10, v8, v9, 1.0
	v_xor_b32_e32 v8, 0x80000000, v10
	v_mul_f32_e64 v1, v1, -v10
.LBB66_17:
	s_or_b64 exec, exec, s[6:7]
	buffer_store_dword v1, v13, s[0:3], 0 offen offset:4
	buffer_store_dword v10, v13, s[0:3], 0 offen
	buffer_load_dword v11, off, s[0:3], 0 offset:12
	s_nop 0
	buffer_load_dword v10, off, s[0:3], 0 offset:8
	v_xor_b32_e32 v9, 0x80000000, v1
	v_add_u32_e32 v1, 32, v12
	s_waitcnt vmcnt(0)
	ds_write2_b64 v12, v[8:9], v[10:11] offset1:4
	s_waitcnt lgkmcnt(0)
	; wave barrier
	s_waitcnt lgkmcnt(0)
	s_and_saveexec_b64 s[6:7], s[4:5]
	s_cbranch_execz .LBB66_19
; %bb.18:
	buffer_load_dword v12, v13, s[0:3], 0 offen offset:4
	buffer_load_dword v14, v13, s[0:3], 0 offen
	ds_read_b64 v[8:9], v1
	v_mov_b32_e32 v10, 0
	ds_read_b64 v[10:11], v10 offset:8
	s_waitcnt vmcnt(1) lgkmcnt(1)
	v_mul_f32_e32 v15, v9, v12
	v_mul_f32_e32 v12, v8, v12
	s_waitcnt vmcnt(0)
	v_fmac_f32_e32 v12, v9, v14
	v_fma_f32 v8, v8, v14, -v15
	v_add_f32_e32 v9, 0, v12
	v_add_f32_e32 v8, 0, v8
	s_waitcnt lgkmcnt(0)
	v_mul_f32_e32 v12, v9, v11
	v_mul_f32_e32 v11, v8, v11
	v_fma_f32 v8, v8, v10, -v12
	v_fmac_f32_e32 v11, v9, v10
	buffer_store_dword v8, off, s[0:3], 0 offset:8
	buffer_store_dword v11, off, s[0:3], 0 offset:12
.LBB66_19:
	s_or_b64 exec, exec, s[6:7]
	s_waitcnt lgkmcnt(0)
	; wave barrier
	buffer_load_dword v8, off, s[0:3], 0 offset:16
	buffer_load_dword v9, off, s[0:3], 0 offset:20
	v_cmp_ne_u32_e32 vcc, 2, v0
	s_waitcnt vmcnt(0)
	ds_write_b64 v1, v[8:9]
	s_waitcnt lgkmcnt(0)
	; wave barrier
	s_waitcnt lgkmcnt(0)
	s_and_saveexec_b64 s[6:7], vcc
	s_cbranch_execz .LBB66_23
; %bb.20:
	buffer_load_dword v10, v13, s[0:3], 0 offen offset:4
	buffer_load_dword v11, v13, s[0:3], 0 offen
	ds_read_b64 v[8:9], v1
	s_waitcnt vmcnt(1) lgkmcnt(0)
	v_mul_f32_e32 v1, v9, v10
	v_mul_f32_e32 v10, v8, v10
	s_waitcnt vmcnt(0)
	v_fma_f32 v1, v8, v11, -v1
	v_fmac_f32_e32 v10, v9, v11
	v_add_f32_e32 v8, 0, v1
	v_add_f32_e32 v1, 0, v10
	s_and_saveexec_b64 s[12:13], s[4:5]
	s_cbranch_execz .LBB66_22
; %bb.21:
	buffer_load_dword v9, off, s[0:3], 0 offset:12
	buffer_load_dword v12, off, s[0:3], 0 offset:8
	v_mov_b32_e32 v10, 0
	ds_read_b64 v[10:11], v10 offset:40
	s_waitcnt vmcnt(1) lgkmcnt(0)
	v_mul_f32_e32 v13, v10, v9
	v_mul_f32_e32 v9, v11, v9
	s_waitcnt vmcnt(0)
	v_fmac_f32_e32 v13, v11, v12
	v_fma_f32 v9, v10, v12, -v9
	v_add_f32_e32 v1, v1, v13
	v_add_f32_e32 v8, v8, v9
.LBB66_22:
	s_or_b64 exec, exec, s[12:13]
	v_mov_b32_e32 v9, 0
	ds_read_b64 v[10:11], v9 offset:16
	s_waitcnt lgkmcnt(0)
	v_mul_f32_e32 v9, v1, v11
	v_mul_f32_e32 v11, v8, v11
	v_fma_f32 v8, v8, v10, -v9
	v_fmac_f32_e32 v11, v1, v10
	buffer_store_dword v8, off, s[0:3], 0 offset:16
	buffer_store_dword v11, off, s[0:3], 0 offset:20
.LBB66_23:
	s_or_b64 exec, exec, s[6:7]
	s_mov_b64 s[6:7], -1
	s_waitcnt lgkmcnt(0)
	; wave barrier
.LBB66_24:
	s_and_b64 vcc, exec, s[6:7]
	s_cbranch_vccz .LBB66_26
; %bb.25:
	s_lshl_b64 s[4:5], s[8:9], 2
	s_add_u32 s4, s14, s4
	s_addc_u32 s5, s15, s5
	v_mov_b32_e32 v1, 0
	global_load_dword v1, v1, s[4:5]
	s_waitcnt vmcnt(0)
	v_cmp_ne_u32_e32 vcc, 0, v1
	s_cbranch_vccz .LBB66_27
.LBB66_26:
	s_endpgm
.LBB66_27:
	v_lshl_add_u32 v1, v0, 3, 32
	v_cmp_eq_u32_e32 vcc, 2, v0
	s_and_saveexec_b64 s[4:5], vcc
	s_cbranch_execz .LBB66_29
; %bb.28:
	buffer_load_dword v8, off, s[0:3], 0 offset:8
	buffer_load_dword v9, off, s[0:3], 0 offset:12
	v_mov_b32_e32 v10, 0
	buffer_store_dword v10, off, s[0:3], 0 offset:8
	buffer_store_dword v10, off, s[0:3], 0 offset:12
	s_waitcnt vmcnt(2)
	ds_write_b64 v1, v[8:9]
.LBB66_29:
	s_or_b64 exec, exec, s[4:5]
	s_waitcnt lgkmcnt(0)
	; wave barrier
	s_waitcnt lgkmcnt(0)
	buffer_load_dword v11, off, s[0:3], 0 offset:20
	buffer_load_dword v10, off, s[0:3], 0 offset:16
	;; [unrolled: 1-line block ×4, first 2 shown]
	v_mov_b32_e32 v8, 0
	ds_read_b64 v[14:15], v8 offset:48
	v_cmp_ne_u32_e32 vcc, 0, v0
	s_waitcnt vmcnt(3)
	v_mov_b32_e32 v16, v11
	s_waitcnt lgkmcnt(0)
	v_pk_mul_f32 v[16:17], v[14:15], v[16:17] op_sel_hi:[1,0]
	s_waitcnt vmcnt(2)
	v_pk_fma_f32 v[18:19], v[14:15], v[10:11], v[16:17] op_sel:[0,0,1] op_sel_hi:[1,1,0] neg_lo:[0,0,1] neg_hi:[0,0,1]
	v_pk_fma_f32 v[10:11], v[14:15], v[10:11], v[16:17] op_sel:[0,0,1] op_sel_hi:[1,0,0]
	v_mov_b32_e32 v19, v11
	v_pk_add_f32 v[10:11], v[18:19], 0 op_sel_hi:[1,0]
	s_waitcnt vmcnt(0)
	v_pk_add_f32 v[10:11], v[12:13], v[10:11] neg_lo:[0,1] neg_hi:[0,1]
	buffer_store_dword v10, off, s[0:3], 0 offset:8
	buffer_store_dword v11, off, s[0:3], 0 offset:12
	s_and_saveexec_b64 s[4:5], vcc
	s_cbranch_execz .LBB66_31
; %bb.30:
	buffer_load_dword v10, off, s[0:3], 0
	buffer_load_dword v11, off, s[0:3], 0 offset:4
	s_waitcnt vmcnt(0)
	ds_write_b64 v1, v[10:11]
	buffer_store_dword v8, off, s[0:3], 0
	buffer_store_dword v8, off, s[0:3], 0 offset:4
.LBB66_31:
	s_or_b64 exec, exec, s[4:5]
	s_waitcnt lgkmcnt(0)
	; wave barrier
	s_waitcnt lgkmcnt(0)
	buffer_load_dword v1, off, s[0:3], 0 offset:12
	buffer_load_dword v13, off, s[0:3], 0 offset:20
	;; [unrolled: 1-line block ×4, first 2 shown]
	buffer_load_dword v14, off, s[0:3], 0
	buffer_load_dword v15, off, s[0:3], 0 offset:4
	ds_read2_b64 v[8:11], v8 offset0:5 offset1:6
	s_and_b64 vcc, exec, s[16:17]
	s_waitcnt vmcnt(5)
	v_mov_b32_e32 v16, v1
	s_waitcnt vmcnt(4)
	v_mov_b32_e32 v18, v13
	s_waitcnt lgkmcnt(0)
	v_pk_mul_f32 v[16:17], v[8:9], v[16:17] op_sel_hi:[1,0]
	v_pk_mul_f32 v[18:19], v[10:11], v[18:19] op_sel_hi:[1,0]
	s_waitcnt vmcnt(3)
	v_pk_fma_f32 v[20:21], v[8:9], v[0:1], v[16:17] op_sel:[0,0,1] op_sel_hi:[1,1,0] neg_lo:[0,0,1] neg_hi:[0,0,1]
	v_pk_fma_f32 v[8:9], v[8:9], v[0:1], v[16:17] op_sel:[0,0,1] op_sel_hi:[1,0,0]
	s_waitcnt vmcnt(2)
	v_pk_fma_f32 v[16:17], v[10:11], v[12:13], v[18:19] op_sel:[0,0,1] op_sel_hi:[1,1,0] neg_lo:[0,0,1] neg_hi:[0,0,1]
	v_pk_fma_f32 v[10:11], v[10:11], v[12:13], v[18:19] op_sel:[0,0,1] op_sel_hi:[1,0,0]
	v_mov_b32_e32 v21, v9
	v_mov_b32_e32 v17, v11
	v_pk_add_f32 v[8:9], v[20:21], 0 op_sel_hi:[1,0]
	v_pk_add_f32 v[8:9], v[8:9], v[16:17]
	s_waitcnt vmcnt(0)
	v_pk_add_f32 v[8:9], v[14:15], v[8:9] neg_lo:[0,1] neg_hi:[0,1]
	buffer_store_dword v8, off, s[0:3], 0
	buffer_store_dword v9, off, s[0:3], 0 offset:4
	s_cbranch_vccz .LBB66_37
; %bb.32:
	v_pk_mov_b32 v[10:11], s[10:11], s[10:11] op_sel:[0,1]
	flat_load_dword v10, v[10:11] offset:4
	s_waitcnt vmcnt(0) lgkmcnt(0)
	v_add_u32_e32 v10, -1, v10
	v_cmp_ne_u32_e32 vcc, 1, v10
	s_and_saveexec_b64 s[4:5], vcc
	s_cbranch_execz .LBB66_34
; %bb.33:
	v_mov_b32_e32 v8, 0
	v_lshl_add_u32 v8, v10, 3, v8
	buffer_load_dword v9, v8, s[0:3], 0 offen
	buffer_load_dword v10, v8, s[0:3], 0 offen offset:4
	s_waitcnt vmcnt(1)
	buffer_store_dword v9, off, s[0:3], 0 offset:8
	s_waitcnt vmcnt(1)
	buffer_store_dword v10, off, s[0:3], 0 offset:12
	buffer_store_dword v0, v8, s[0:3], 0 offen
	buffer_store_dword v1, v8, s[0:3], 0 offen offset:4
	buffer_load_dword v8, off, s[0:3], 0
	s_nop 0
	buffer_load_dword v9, off, s[0:3], 0 offset:4
.LBB66_34:
	s_or_b64 exec, exec, s[4:5]
	v_pk_mov_b32 v[0:1], s[10:11], s[10:11] op_sel:[0,1]
	flat_load_dword v0, v[0:1]
	s_waitcnt vmcnt(0) lgkmcnt(0)
	v_add_u32_e32 v0, -1, v0
	v_cmp_ne_u32_e32 vcc, 0, v0
	s_and_saveexec_b64 s[4:5], vcc
	s_cbranch_execz .LBB66_36
; %bb.35:
	v_mov_b32_e32 v1, 0
	v_lshl_add_u32 v0, v0, 3, v1
	buffer_load_dword v1, v0, s[0:3], 0 offen offset:4
	buffer_load_dword v10, v0, s[0:3], 0 offen
	s_waitcnt vmcnt(1)
	buffer_store_dword v1, off, s[0:3], 0 offset:4
	s_waitcnt vmcnt(1)
	buffer_store_dword v10, off, s[0:3], 0
	buffer_store_dword v9, v0, s[0:3], 0 offen offset:4
	buffer_store_dword v8, v0, s[0:3], 0 offen
	buffer_load_dword v8, off, s[0:3], 0
	s_nop 0
	buffer_load_dword v9, off, s[0:3], 0 offset:4
.LBB66_36:
	s_or_b64 exec, exec, s[4:5]
.LBB66_37:
	buffer_load_dword v0, off, s[0:3], 0 offset:8
	buffer_load_dword v1, off, s[0:3], 0 offset:12
	buffer_load_dword v10, off, s[0:3], 0 offset:16
	buffer_load_dword v11, off, s[0:3], 0 offset:20
	s_waitcnt vmcnt(4)
	global_store_dwordx2 v[2:3], v[8:9], off
	s_waitcnt vmcnt(3)
	global_store_dwordx2 v[4:5], v[0:1], off
	;; [unrolled: 2-line block ×3, first 2 shown]
	s_endpgm
	.section	.rodata,"a",@progbits
	.p2align	6, 0x0
	.amdhsa_kernel _ZN9rocsolver6v33100L18getri_kernel_smallILi3E19rocblas_complex_numIfEPKPS3_EEvT1_iilPiilS8_bb
		.amdhsa_group_segment_fixed_size 56
		.amdhsa_private_segment_fixed_size 32
		.amdhsa_kernarg_size 60
		.amdhsa_user_sgpr_count 8
		.amdhsa_user_sgpr_private_segment_buffer 1
		.amdhsa_user_sgpr_dispatch_ptr 0
		.amdhsa_user_sgpr_queue_ptr 0
		.amdhsa_user_sgpr_kernarg_segment_ptr 1
		.amdhsa_user_sgpr_dispatch_id 0
		.amdhsa_user_sgpr_flat_scratch_init 1
		.amdhsa_user_sgpr_kernarg_preload_length 0
		.amdhsa_user_sgpr_kernarg_preload_offset 0
		.amdhsa_user_sgpr_private_segment_size 0
		.amdhsa_uses_dynamic_stack 0
		.amdhsa_system_sgpr_private_segment_wavefront_offset 1
		.amdhsa_system_sgpr_workgroup_id_x 1
		.amdhsa_system_sgpr_workgroup_id_y 0
		.amdhsa_system_sgpr_workgroup_id_z 0
		.amdhsa_system_sgpr_workgroup_info 0
		.amdhsa_system_vgpr_workitem_id 0
		.amdhsa_next_free_vgpr 22
		.amdhsa_next_free_sgpr 22
		.amdhsa_accum_offset 24
		.amdhsa_reserve_vcc 1
		.amdhsa_reserve_flat_scratch 1
		.amdhsa_float_round_mode_32 0
		.amdhsa_float_round_mode_16_64 0
		.amdhsa_float_denorm_mode_32 3
		.amdhsa_float_denorm_mode_16_64 3
		.amdhsa_dx10_clamp 1
		.amdhsa_ieee_mode 1
		.amdhsa_fp16_overflow 0
		.amdhsa_tg_split 0
		.amdhsa_exception_fp_ieee_invalid_op 0
		.amdhsa_exception_fp_denorm_src 0
		.amdhsa_exception_fp_ieee_div_zero 0
		.amdhsa_exception_fp_ieee_overflow 0
		.amdhsa_exception_fp_ieee_underflow 0
		.amdhsa_exception_fp_ieee_inexact 0
		.amdhsa_exception_int_div_zero 0
	.end_amdhsa_kernel
	.section	.text._ZN9rocsolver6v33100L18getri_kernel_smallILi3E19rocblas_complex_numIfEPKPS3_EEvT1_iilPiilS8_bb,"axG",@progbits,_ZN9rocsolver6v33100L18getri_kernel_smallILi3E19rocblas_complex_numIfEPKPS3_EEvT1_iilPiilS8_bb,comdat
.Lfunc_end66:
	.size	_ZN9rocsolver6v33100L18getri_kernel_smallILi3E19rocblas_complex_numIfEPKPS3_EEvT1_iilPiilS8_bb, .Lfunc_end66-_ZN9rocsolver6v33100L18getri_kernel_smallILi3E19rocblas_complex_numIfEPKPS3_EEvT1_iilPiilS8_bb
                                        ; -- End function
	.section	.AMDGPU.csdata,"",@progbits
; Kernel info:
; codeLenInByte = 2332
; NumSgprs: 28
; NumVgprs: 22
; NumAgprs: 0
; TotalNumVgprs: 22
; ScratchSize: 32
; MemoryBound: 0
; FloatMode: 240
; IeeeMode: 1
; LDSByteSize: 56 bytes/workgroup (compile time only)
; SGPRBlocks: 3
; VGPRBlocks: 2
; NumSGPRsForWavesPerEU: 28
; NumVGPRsForWavesPerEU: 22
; AccumOffset: 24
; Occupancy: 8
; WaveLimiterHint : 1
; COMPUTE_PGM_RSRC2:SCRATCH_EN: 1
; COMPUTE_PGM_RSRC2:USER_SGPR: 8
; COMPUTE_PGM_RSRC2:TRAP_HANDLER: 0
; COMPUTE_PGM_RSRC2:TGID_X_EN: 1
; COMPUTE_PGM_RSRC2:TGID_Y_EN: 0
; COMPUTE_PGM_RSRC2:TGID_Z_EN: 0
; COMPUTE_PGM_RSRC2:TIDIG_COMP_CNT: 0
; COMPUTE_PGM_RSRC3_GFX90A:ACCUM_OFFSET: 5
; COMPUTE_PGM_RSRC3_GFX90A:TG_SPLIT: 0
	.section	.text._ZN9rocsolver6v33100L18getri_kernel_smallILi4E19rocblas_complex_numIfEPKPS3_EEvT1_iilPiilS8_bb,"axG",@progbits,_ZN9rocsolver6v33100L18getri_kernel_smallILi4E19rocblas_complex_numIfEPKPS3_EEvT1_iilPiilS8_bb,comdat
	.globl	_ZN9rocsolver6v33100L18getri_kernel_smallILi4E19rocblas_complex_numIfEPKPS3_EEvT1_iilPiilS8_bb ; -- Begin function _ZN9rocsolver6v33100L18getri_kernel_smallILi4E19rocblas_complex_numIfEPKPS3_EEvT1_iilPiilS8_bb
	.p2align	8
	.type	_ZN9rocsolver6v33100L18getri_kernel_smallILi4E19rocblas_complex_numIfEPKPS3_EEvT1_iilPiilS8_bb,@function
_ZN9rocsolver6v33100L18getri_kernel_smallILi4E19rocblas_complex_numIfEPKPS3_EEvT1_iilPiilS8_bb: ; @_ZN9rocsolver6v33100L18getri_kernel_smallILi4E19rocblas_complex_numIfEPKPS3_EEvT1_iilPiilS8_bb
; %bb.0:
	s_add_u32 flat_scratch_lo, s6, s9
	s_addc_u32 flat_scratch_hi, s7, 0
	s_add_u32 s0, s0, s9
	s_addc_u32 s1, s1, 0
	v_cmp_gt_u32_e32 vcc, 4, v0
	s_and_saveexec_b64 s[6:7], vcc
	s_cbranch_execz .LBB67_30
; %bb.1:
	s_load_dword s18, s[4:5], 0x38
	s_load_dwordx2 s[6:7], s[4:5], 0x0
	s_load_dwordx4 s[12:15], s[4:5], 0x28
	s_waitcnt lgkmcnt(0)
	s_bitcmp1_b32 s18, 8
	s_cselect_b64 s[16:17], -1, 0
	s_ashr_i32 s9, s8, 31
	s_lshl_b64 s[10:11], s[8:9], 3
	s_add_u32 s6, s6, s10
	s_addc_u32 s7, s7, s11
	s_load_dwordx2 s[6:7], s[6:7], 0x0
	s_bfe_u32 s10, s18, 0x10008
	s_cmp_eq_u32 s10, 0
                                        ; implicit-def: $sgpr10_sgpr11
	s_cbranch_scc1 .LBB67_3
; %bb.2:
	s_load_dword s10, s[4:5], 0x20
	s_load_dwordx2 s[20:21], s[4:5], 0x18
	s_mul_i32 s11, s8, s13
	s_mul_hi_u32 s13, s8, s12
	s_add_i32 s13, s13, s11
	s_mul_i32 s19, s9, s12
	s_add_i32 s13, s13, s19
	s_mul_i32 s12, s8, s12
	s_waitcnt lgkmcnt(0)
	s_ashr_i32 s11, s10, 31
	s_lshl_b64 s[12:13], s[12:13], 2
	s_add_u32 s12, s20, s12
	s_addc_u32 s13, s21, s13
	s_lshl_b64 s[10:11], s[10:11], 2
	s_add_u32 s10, s12, s10
	s_addc_u32 s11, s13, s11
.LBB67_3:
	s_load_dwordx2 s[4:5], s[4:5], 0x8
	v_lshlrev_b32_e32 v14, 3, v0
	s_waitcnt lgkmcnt(0)
	s_ashr_i32 s13, s4, 31
	s_mov_b32 s12, s4
	s_lshl_b64 s[12:13], s[12:13], 3
	s_add_u32 s6, s6, s12
	s_addc_u32 s7, s7, s13
	v_mov_b32_e32 v1, s7
	v_add_co_u32_e32 v2, vcc, s6, v14
	s_ashr_i32 s13, s5, 31
	s_mov_b32 s12, s5
	s_add_i32 s4, s5, s5
	v_addc_co_u32_e32 v3, vcc, 0, v1, vcc
	s_lshl_b64 s[12:13], s[12:13], 3
	v_add_u32_e32 v8, s4, v0
	v_mov_b32_e32 v1, s13
	v_add_co_u32_e32 v4, vcc, s12, v2
	v_ashrrev_i32_e32 v9, 31, v8
	v_addc_co_u32_e32 v5, vcc, v3, v1, vcc
	v_lshlrev_b64 v[6:7], 3, v[8:9]
	v_mov_b32_e32 v1, s7
	v_add_co_u32_e32 v6, vcc, s6, v6
	global_load_dwordx2 v[10:11], v14, s[6:7]
	v_addc_co_u32_e32 v7, vcc, v1, v7, vcc
	global_load_dwordx2 v[12:13], v[4:5], off
	global_load_dwordx2 v[16:17], v[6:7], off
	v_add_u32_e32 v8, s5, v8
	v_ashrrev_i32_e32 v9, 31, v8
	v_lshlrev_b64 v[8:9], 3, v[8:9]
	v_add_co_u32_e32 v8, vcc, s6, v8
	v_addc_co_u32_e32 v9, vcc, v1, v9, vcc
	global_load_dwordx2 v[18:19], v[8:9], off
	s_bitcmp0_b32 s18, 0
	s_mov_b64 s[6:7], -1
	s_waitcnt vmcnt(3)
	buffer_store_dword v11, off, s[0:3], 0 offset:4
	buffer_store_dword v10, off, s[0:3], 0
	s_waitcnt vmcnt(4)
	buffer_store_dword v13, off, s[0:3], 0 offset:12
	buffer_store_dword v12, off, s[0:3], 0 offset:8
	s_waitcnt vmcnt(5)
	buffer_store_dword v17, off, s[0:3], 0 offset:20
	buffer_store_dword v16, off, s[0:3], 0 offset:16
	;; [unrolled: 3-line block ×3, first 2 shown]
	s_cbranch_scc1 .LBB67_28
; %bb.4:
	v_cmp_eq_u32_e64 s[4:5], 0, v0
	s_and_saveexec_b64 s[6:7], s[4:5]
	s_cbranch_execz .LBB67_6
; %bb.5:
	v_mov_b32_e32 v1, 0
	ds_write_b32 v1, v1 offset:64
.LBB67_6:
	s_or_b64 exec, exec, s[6:7]
	v_mov_b32_e32 v1, 0
	v_lshl_add_u32 v15, v0, 3, v1
	s_waitcnt lgkmcnt(0)
	; wave barrier
	s_waitcnt lgkmcnt(0)
	buffer_load_dword v1, v15, s[0:3], 0 offen
	buffer_load_dword v10, v15, s[0:3], 0 offen offset:4
	s_waitcnt vmcnt(1)
	v_cmp_eq_f32_e32 vcc, 0, v1
	s_waitcnt vmcnt(0)
	v_cmp_eq_f32_e64 s[6:7], 0, v10
	s_and_b64 s[6:7], vcc, s[6:7]
	s_and_saveexec_b64 s[12:13], s[6:7]
	s_cbranch_execz .LBB67_10
; %bb.7:
	v_mov_b32_e32 v1, 0
	ds_read_b32 v11, v1 offset:64
	v_add_u32_e32 v10, 1, v0
	s_waitcnt lgkmcnt(0)
	v_readfirstlane_b32 s6, v11
	s_cmp_eq_u32 s6, 0
	s_cselect_b64 s[18:19], -1, 0
	v_cmp_gt_i32_e32 vcc, s6, v10
	s_or_b64 s[18:19], s[18:19], vcc
	s_and_b64 exec, exec, s[18:19]
	s_cbranch_execz .LBB67_10
; %bb.8:
	s_mov_b64 s[18:19], 0
	v_mov_b32_e32 v11, s6
.LBB67_9:                               ; =>This Inner Loop Header: Depth=1
	ds_cmpst_rtn_b32 v11, v1, v11, v10 offset:64
	s_waitcnt lgkmcnt(0)
	v_cmp_ne_u32_e32 vcc, 0, v11
	v_cmp_le_i32_e64 s[6:7], v11, v10
	s_and_b64 s[6:7], vcc, s[6:7]
	s_and_b64 s[6:7], exec, s[6:7]
	s_or_b64 s[18:19], s[6:7], s[18:19]
	s_andn2_b64 exec, exec, s[18:19]
	s_cbranch_execnz .LBB67_9
.LBB67_10:
	s_or_b64 exec, exec, s[12:13]
	v_mov_b32_e32 v10, 0
	s_waitcnt lgkmcnt(0)
	; wave barrier
	ds_read_b32 v1, v10 offset:64
	s_and_saveexec_b64 s[6:7], s[4:5]
	s_cbranch_execz .LBB67_12
; %bb.11:
	s_lshl_b64 s[12:13], s[8:9], 2
	s_add_u32 s12, s14, s12
	s_addc_u32 s13, s15, s13
	s_waitcnt lgkmcnt(0)
	global_store_dword v10, v1, s[12:13]
.LBB67_12:
	s_or_b64 exec, exec, s[6:7]
	s_waitcnt lgkmcnt(0)
	v_cmp_ne_u32_e32 vcc, 0, v1
	s_mov_b64 s[6:7], 0
	s_cbranch_vccnz .LBB67_28
; %bb.13:
	buffer_load_dword v16, v15, s[0:3], 0 offen offset:4
	buffer_load_dword v11, v15, s[0:3], 0 offen
	s_waitcnt vmcnt(1)
	v_cmp_gt_f32_e32 vcc, 0, v16
	v_cndmask_b32_e64 v1, v16, -v16, vcc
	s_waitcnt vmcnt(0)
	v_cmp_gt_f32_e32 vcc, 0, v11
	v_cndmask_b32_e64 v10, v11, -v11, vcc
	v_cmp_ngt_f32_e32 vcc, v10, v1
                                        ; implicit-def: $vgpr1
                                        ; implicit-def: $vgpr10
	s_and_saveexec_b64 s[6:7], vcc
	s_xor_b64 s[6:7], exec, s[6:7]
                                        ; implicit-def: $vgpr12_vgpr13
	s_cbranch_execz .LBB67_15
; %bb.14:
	v_div_scale_f32 v1, s[12:13], v16, v16, v11
	v_rcp_f32_e32 v10, v1
	v_div_scale_f32 v12, vcc, v11, v16, v11
	v_fma_f32 v13, -v1, v10, 1.0
	v_fmac_f32_e32 v10, v13, v10
	v_mul_f32_e32 v13, v12, v10
	v_fma_f32 v17, -v1, v13, v12
	v_fmac_f32_e32 v13, v17, v10
	v_fma_f32 v1, -v1, v13, v12
	v_div_fmas_f32 v1, v1, v10, v13
	v_div_fixup_f32 v10, v1, v16, v11
	v_fmac_f32_e32 v16, v11, v10
	v_div_scale_f32 v1, s[12:13], v16, v16, -1.0
	v_rcp_f32_e32 v11, v1
	v_fma_f32 v12, -v1, v11, 1.0
	v_fmac_f32_e32 v11, v12, v11
	v_div_scale_f32 v12, vcc, -1.0, v16, -1.0
	v_mul_f32_e32 v13, v12, v11
	v_fma_f32 v17, -v1, v13, v12
	v_fmac_f32_e32 v13, v17, v11
	v_fma_f32 v1, -v1, v13, v12
	v_div_fmas_f32 v1, v1, v11, v13
	v_div_fixup_f32 v1, v1, v16, -1.0
	v_mul_f32_e32 v10, v10, v1
	v_xor_b32_e32 v12, 0x80000000, v10
                                        ; implicit-def: $vgpr11
                                        ; implicit-def: $vgpr16
.LBB67_15:
	s_andn2_saveexec_b64 s[6:7], s[6:7]
	s_cbranch_execz .LBB67_17
; %bb.16:
	v_div_scale_f32 v1, s[12:13], v11, v11, v16
	v_rcp_f32_e32 v10, v1
	v_div_scale_f32 v12, vcc, v16, v11, v16
	v_fma_f32 v13, -v1, v10, 1.0
	v_fmac_f32_e32 v10, v13, v10
	v_mul_f32_e32 v13, v12, v10
	v_fma_f32 v17, -v1, v13, v12
	v_fmac_f32_e32 v13, v17, v10
	v_fma_f32 v1, -v1, v13, v12
	v_div_fmas_f32 v1, v1, v10, v13
	v_div_fixup_f32 v1, v1, v11, v16
	v_fmac_f32_e32 v11, v16, v1
	v_div_scale_f32 v10, s[12:13], v11, v11, 1.0
	v_rcp_f32_e32 v12, v10
	v_fma_f32 v13, -v10, v12, 1.0
	v_fmac_f32_e32 v12, v13, v12
	v_div_scale_f32 v13, vcc, 1.0, v11, 1.0
	v_mul_f32_e32 v16, v13, v12
	v_fma_f32 v17, -v10, v16, v13
	v_fmac_f32_e32 v16, v17, v12
	v_fma_f32 v10, -v10, v16, v13
	v_div_fmas_f32 v10, v10, v12, v16
	v_div_fixup_f32 v12, v10, v11, 1.0
	v_xor_b32_e32 v10, 0x80000000, v12
	v_mul_f32_e64 v1, v1, -v12
.LBB67_17:
	s_or_b64 exec, exec, s[6:7]
	buffer_store_dword v1, v15, s[0:3], 0 offen offset:4
	buffer_store_dword v12, v15, s[0:3], 0 offen
	buffer_load_dword v13, off, s[0:3], 0 offset:12
	s_nop 0
	buffer_load_dword v12, off, s[0:3], 0 offset:8
	v_xor_b32_e32 v11, 0x80000000, v1
	v_add_u32_e32 v1, 32, v14
	s_waitcnt vmcnt(0)
	ds_write2_b64 v14, v[10:11], v[12:13] offset1:4
	s_waitcnt lgkmcnt(0)
	; wave barrier
	s_waitcnt lgkmcnt(0)
	s_and_saveexec_b64 s[6:7], s[4:5]
	s_cbranch_execz .LBB67_19
; %bb.18:
	buffer_load_dword v16, v15, s[0:3], 0 offen offset:4
	buffer_load_dword v17, v15, s[0:3], 0 offen
	ds_read_b64 v[10:11], v1
	v_mov_b32_e32 v12, 0
	ds_read_b64 v[12:13], v12 offset:8
	s_waitcnt vmcnt(1) lgkmcnt(1)
	v_mul_f32_e32 v18, v11, v16
	v_mul_f32_e32 v16, v10, v16
	s_waitcnt vmcnt(0)
	v_fmac_f32_e32 v16, v11, v17
	v_fma_f32 v10, v10, v17, -v18
	v_add_f32_e32 v11, 0, v16
	v_add_f32_e32 v10, 0, v10
	s_waitcnt lgkmcnt(0)
	v_mul_f32_e32 v16, v11, v13
	v_mul_f32_e32 v13, v10, v13
	v_fma_f32 v10, v10, v12, -v16
	v_fmac_f32_e32 v13, v11, v12
	buffer_store_dword v10, off, s[0:3], 0 offset:8
	buffer_store_dword v13, off, s[0:3], 0 offset:12
.LBB67_19:
	s_or_b64 exec, exec, s[6:7]
	s_waitcnt lgkmcnt(0)
	; wave barrier
	buffer_load_dword v10, off, s[0:3], 0 offset:16
	buffer_load_dword v11, off, s[0:3], 0 offset:20
	v_cmp_gt_u32_e32 vcc, 2, v0
	s_waitcnt vmcnt(0)
	ds_write_b64 v1, v[10:11]
	s_waitcnt lgkmcnt(0)
	; wave barrier
	s_waitcnt lgkmcnt(0)
	s_and_saveexec_b64 s[6:7], vcc
	s_cbranch_execz .LBB67_23
; %bb.20:
	buffer_load_dword v12, v15, s[0:3], 0 offen offset:4
	buffer_load_dword v13, v15, s[0:3], 0 offen
	ds_read_b64 v[10:11], v1
	s_waitcnt vmcnt(1) lgkmcnt(0)
	v_mul_f32_e32 v15, v11, v12
	v_mul_f32_e32 v12, v10, v12
	s_waitcnt vmcnt(0)
	v_fma_f32 v10, v10, v13, -v15
	v_fmac_f32_e32 v12, v11, v13
	v_add_f32_e32 v11, 0, v10
	v_add_f32_e32 v10, 0, v12
	s_and_saveexec_b64 s[12:13], s[4:5]
	s_cbranch_execz .LBB67_22
; %bb.21:
	buffer_load_dword v15, off, s[0:3], 0 offset:12
	buffer_load_dword v16, off, s[0:3], 0 offset:8
	v_mov_b32_e32 v12, 0
	ds_read_b64 v[12:13], v12 offset:40
	s_waitcnt vmcnt(1) lgkmcnt(0)
	v_mul_f32_e32 v17, v12, v15
	v_mul_f32_e32 v15, v13, v15
	s_waitcnt vmcnt(0)
	v_fmac_f32_e32 v17, v13, v16
	v_fma_f32 v12, v12, v16, -v15
	v_add_f32_e32 v10, v10, v17
	v_add_f32_e32 v11, v11, v12
.LBB67_22:
	s_or_b64 exec, exec, s[12:13]
	v_mov_b32_e32 v12, 0
	ds_read_b64 v[12:13], v12 offset:16
	s_waitcnt lgkmcnt(0)
	v_mul_f32_e32 v15, v10, v13
	v_mul_f32_e32 v13, v11, v13
	v_fma_f32 v11, v11, v12, -v15
	v_fmac_f32_e32 v13, v10, v12
	buffer_store_dword v11, off, s[0:3], 0 offset:16
	buffer_store_dword v13, off, s[0:3], 0 offset:20
.LBB67_23:
	s_or_b64 exec, exec, s[6:7]
	s_waitcnt lgkmcnt(0)
	; wave barrier
	buffer_load_dword v10, off, s[0:3], 0 offset:24
	buffer_load_dword v11, off, s[0:3], 0 offset:28
	v_cmp_ne_u32_e32 vcc, 3, v0
	s_waitcnt vmcnt(0)
	ds_write_b64 v1, v[10:11]
	s_waitcnt lgkmcnt(0)
	; wave barrier
	s_waitcnt lgkmcnt(0)
	s_and_saveexec_b64 s[4:5], vcc
	s_cbranch_execz .LBB67_27
; %bb.24:
	v_add_u32_e32 v11, -1, v0
	v_add_u32_e32 v12, 0, v14
	s_mov_b64 s[6:7], 0
	v_mov_b32_e32 v10, 0
	v_mov_b32_e32 v13, 0
.LBB67_25:                              ; =>This Inner Loop Header: Depth=1
	buffer_load_dword v16, v12, s[0:3], 0 offen offset:4
	buffer_load_dword v17, v12, s[0:3], 0 offen
	ds_read_b64 v[14:15], v1
	v_add_u32_e32 v11, 1, v11
	v_cmp_lt_u32_e32 vcc, 1, v11
	v_add_u32_e32 v1, 8, v1
	v_add_u32_e32 v12, 8, v12
	s_or_b64 s[6:7], vcc, s[6:7]
	s_waitcnt vmcnt(1) lgkmcnt(0)
	v_mul_f32_e32 v18, v15, v16
	v_mul_f32_e32 v16, v14, v16
	s_waitcnt vmcnt(0)
	v_fma_f32 v14, v14, v17, -v18
	v_fmac_f32_e32 v16, v15, v17
	v_add_f32_e32 v13, v13, v14
	v_add_f32_e32 v10, v10, v16
	s_andn2_b64 exec, exec, s[6:7]
	s_cbranch_execnz .LBB67_25
; %bb.26:
	s_or_b64 exec, exec, s[6:7]
	v_mov_b32_e32 v1, 0
	ds_read_b64 v[14:15], v1 offset:24
	s_waitcnt lgkmcnt(0)
	v_mul_f32_e32 v1, v10, v15
	v_mul_f32_e32 v11, v13, v15
	v_fma_f32 v1, v13, v14, -v1
	v_fmac_f32_e32 v11, v10, v14
	buffer_store_dword v1, off, s[0:3], 0 offset:24
	buffer_store_dword v11, off, s[0:3], 0 offset:28
.LBB67_27:
	s_or_b64 exec, exec, s[4:5]
	s_mov_b64 s[6:7], -1
	s_waitcnt lgkmcnt(0)
	; wave barrier
.LBB67_28:
	s_and_b64 vcc, exec, s[6:7]
	s_cbranch_vccz .LBB67_30
; %bb.29:
	s_lshl_b64 s[4:5], s[8:9], 2
	s_add_u32 s4, s14, s4
	s_addc_u32 s5, s15, s5
	v_mov_b32_e32 v1, 0
	global_load_dword v1, v1, s[4:5]
	s_waitcnt vmcnt(0)
	v_cmp_ne_u32_e32 vcc, 0, v1
	s_cbranch_vccz .LBB67_31
.LBB67_30:
	s_endpgm
.LBB67_31:
	v_lshl_add_u32 v1, v0, 3, 32
	v_cmp_eq_u32_e32 vcc, 3, v0
	s_and_saveexec_b64 s[4:5], vcc
	s_cbranch_execz .LBB67_33
; %bb.32:
	buffer_load_dword v10, off, s[0:3], 0 offset:16
	buffer_load_dword v11, off, s[0:3], 0 offset:20
	v_mov_b32_e32 v12, 0
	buffer_store_dword v12, off, s[0:3], 0 offset:16
	buffer_store_dword v12, off, s[0:3], 0 offset:20
	s_waitcnt vmcnt(2)
	ds_write_b64 v1, v[10:11]
.LBB67_33:
	s_or_b64 exec, exec, s[4:5]
	s_waitcnt lgkmcnt(0)
	; wave barrier
	s_waitcnt lgkmcnt(0)
	buffer_load_dword v13, off, s[0:3], 0 offset:28
	buffer_load_dword v12, off, s[0:3], 0 offset:24
	;; [unrolled: 1-line block ×4, first 2 shown]
	v_mov_b32_e32 v10, 0
	ds_read_b64 v[16:17], v10 offset:56
	v_cmp_lt_u32_e32 vcc, 1, v0
	s_waitcnt vmcnt(3)
	v_mov_b32_e32 v18, v13
	s_waitcnt lgkmcnt(0)
	v_pk_mul_f32 v[18:19], v[16:17], v[18:19] op_sel_hi:[1,0]
	s_waitcnt vmcnt(2)
	v_pk_fma_f32 v[20:21], v[16:17], v[12:13], v[18:19] op_sel:[0,0,1] op_sel_hi:[1,1,0] neg_lo:[0,0,1] neg_hi:[0,0,1]
	v_pk_fma_f32 v[12:13], v[16:17], v[12:13], v[18:19] op_sel:[0,0,1] op_sel_hi:[1,0,0]
	v_mov_b32_e32 v21, v13
	v_pk_add_f32 v[12:13], v[20:21], 0 op_sel_hi:[1,0]
	s_waitcnt vmcnt(0)
	v_pk_add_f32 v[12:13], v[14:15], v[12:13] neg_lo:[0,1] neg_hi:[0,1]
	buffer_store_dword v12, off, s[0:3], 0 offset:16
	buffer_store_dword v13, off, s[0:3], 0 offset:20
	s_and_saveexec_b64 s[4:5], vcc
	s_cbranch_execz .LBB67_35
; %bb.34:
	buffer_load_dword v12, off, s[0:3], 0 offset:8
	buffer_load_dword v13, off, s[0:3], 0 offset:12
	s_waitcnt vmcnt(0)
	ds_write_b64 v1, v[12:13]
	buffer_store_dword v10, off, s[0:3], 0 offset:8
	buffer_store_dword v10, off, s[0:3], 0 offset:12
.LBB67_35:
	s_or_b64 exec, exec, s[4:5]
	s_waitcnt lgkmcnt(0)
	; wave barrier
	s_waitcnt lgkmcnt(0)
	buffer_load_dword v15, off, s[0:3], 0 offset:20
	buffer_load_dword v17, off, s[0:3], 0 offset:28
	;; [unrolled: 1-line block ×6, first 2 shown]
	ds_read_b128 v[10:13], v10 offset:48
	v_cmp_ne_u32_e32 vcc, 0, v0
	s_waitcnt vmcnt(5)
	v_mov_b32_e32 v20, v15
	s_waitcnt vmcnt(4)
	v_mov_b32_e32 v22, v17
	s_waitcnt lgkmcnt(0)
	v_pk_mul_f32 v[20:21], v[10:11], v[20:21] op_sel_hi:[1,0]
	v_pk_mul_f32 v[22:23], v[12:13], v[22:23] op_sel_hi:[1,0]
	s_waitcnt vmcnt(3)
	v_pk_fma_f32 v[24:25], v[10:11], v[14:15], v[20:21] op_sel:[0,0,1] op_sel_hi:[1,1,0] neg_lo:[0,0,1] neg_hi:[0,0,1]
	v_pk_fma_f32 v[10:11], v[10:11], v[14:15], v[20:21] op_sel:[0,0,1] op_sel_hi:[1,0,0]
	s_waitcnt vmcnt(2)
	v_pk_fma_f32 v[14:15], v[12:13], v[16:17], v[22:23] op_sel:[0,0,1] op_sel_hi:[1,1,0] neg_lo:[0,0,1] neg_hi:[0,0,1]
	v_pk_fma_f32 v[12:13], v[12:13], v[16:17], v[22:23] op_sel:[0,0,1] op_sel_hi:[1,0,0]
	v_mov_b32_e32 v25, v11
	v_mov_b32_e32 v15, v13
	v_pk_add_f32 v[10:11], v[24:25], 0 op_sel_hi:[1,0]
	v_pk_add_f32 v[10:11], v[10:11], v[14:15]
	s_waitcnt vmcnt(0)
	v_pk_add_f32 v[10:11], v[18:19], v[10:11] neg_lo:[0,1] neg_hi:[0,1]
	buffer_store_dword v10, off, s[0:3], 0 offset:8
	buffer_store_dword v11, off, s[0:3], 0 offset:12
	s_and_saveexec_b64 s[4:5], vcc
	s_cbranch_execz .LBB67_37
; %bb.36:
	buffer_load_dword v10, off, s[0:3], 0
	buffer_load_dword v11, off, s[0:3], 0 offset:4
	v_mov_b32_e32 v0, 0
	buffer_store_dword v0, off, s[0:3], 0
	buffer_store_dword v0, off, s[0:3], 0 offset:4
	s_waitcnt vmcnt(2)
	ds_write_b64 v1, v[10:11]
.LBB67_37:
	s_or_b64 exec, exec, s[4:5]
	s_waitcnt lgkmcnt(0)
	; wave barrier
	s_waitcnt lgkmcnt(0)
	buffer_load_dword v15, off, s[0:3], 0 offset:12
	buffer_load_dword v1, off, s[0:3], 0 offset:20
	;; [unrolled: 1-line block ×6, first 2 shown]
	buffer_load_dword v18, off, s[0:3], 0
	buffer_load_dword v19, off, s[0:3], 0 offset:4
	v_mov_b32_e32 v20, 0
	ds_read2_b64 v[10:13], v20 offset0:5 offset1:6
	ds_read_b64 v[20:21], v20 offset:56
	s_and_b64 vcc, exec, s[16:17]
	s_waitcnt vmcnt(7)
	v_mov_b32_e32 v22, v15
	s_waitcnt vmcnt(6)
	v_mov_b32_e32 v24, v1
	s_waitcnt lgkmcnt(1)
	v_pk_mul_f32 v[22:23], v[10:11], v[22:23] op_sel_hi:[1,0]
	s_waitcnt vmcnt(5)
	v_mov_b32_e32 v26, v17
	v_pk_mul_f32 v[24:25], v[12:13], v[24:25] op_sel_hi:[1,0]
	s_waitcnt vmcnt(4)
	v_pk_fma_f32 v[28:29], v[10:11], v[14:15], v[22:23] op_sel:[0,0,1] op_sel_hi:[1,1,0] neg_lo:[0,0,1] neg_hi:[0,0,1]
	v_pk_fma_f32 v[10:11], v[10:11], v[14:15], v[22:23] op_sel:[0,0,1] op_sel_hi:[1,0,0]
	s_waitcnt lgkmcnt(0)
	v_pk_mul_f32 v[26:27], v[20:21], v[26:27] op_sel_hi:[1,0]
	s_waitcnt vmcnt(3)
	v_pk_fma_f32 v[14:15], v[12:13], v[0:1], v[24:25] op_sel:[0,0,1] op_sel_hi:[1,1,0] neg_lo:[0,0,1] neg_hi:[0,0,1]
	v_pk_fma_f32 v[12:13], v[12:13], v[0:1], v[24:25] op_sel:[0,0,1] op_sel_hi:[1,0,0]
	v_mov_b32_e32 v29, v11
	s_waitcnt vmcnt(2)
	v_pk_fma_f32 v[22:23], v[20:21], v[16:17], v[26:27] op_sel:[0,0,1] op_sel_hi:[1,1,0] neg_lo:[0,0,1] neg_hi:[0,0,1]
	v_pk_fma_f32 v[16:17], v[20:21], v[16:17], v[26:27] op_sel:[0,0,1] op_sel_hi:[1,0,0]
	v_mov_b32_e32 v15, v13
	v_pk_add_f32 v[10:11], v[28:29], 0 op_sel_hi:[1,0]
	v_mov_b32_e32 v23, v17
	v_pk_add_f32 v[10:11], v[10:11], v[14:15]
	v_pk_add_f32 v[10:11], v[10:11], v[22:23]
	s_waitcnt vmcnt(0)
	v_pk_add_f32 v[10:11], v[18:19], v[10:11] neg_lo:[0,1] neg_hi:[0,1]
	buffer_store_dword v10, off, s[0:3], 0
	buffer_store_dword v11, off, s[0:3], 0 offset:4
	s_cbranch_vccz .LBB67_45
; %bb.38:
	v_pk_mov_b32 v[10:11], s[10:11], s[10:11] op_sel:[0,1]
	flat_load_dword v10, v[10:11] offset:8
	s_waitcnt vmcnt(0) lgkmcnt(0)
	v_add_u32_e32 v10, -1, v10
	v_cmp_ne_u32_e32 vcc, 2, v10
	s_and_saveexec_b64 s[4:5], vcc
	s_cbranch_execz .LBB67_40
; %bb.39:
	v_mov_b32_e32 v11, 0
	v_lshl_add_u32 v10, v10, 3, v11
	buffer_load_dword v11, v10, s[0:3], 0 offen offset:4
	buffer_load_dword v12, v10, s[0:3], 0 offen
	s_waitcnt vmcnt(1)
	buffer_store_dword v11, off, s[0:3], 0 offset:20
	s_waitcnt vmcnt(1)
	buffer_store_dword v12, off, s[0:3], 0 offset:16
	buffer_store_dword v1, v10, s[0:3], 0 offen offset:4
	buffer_store_dword v0, v10, s[0:3], 0 offen
.LBB67_40:
	s_or_b64 exec, exec, s[4:5]
	v_pk_mov_b32 v[0:1], s[10:11], s[10:11] op_sel:[0,1]
	flat_load_dword v0, v[0:1] offset:4
	s_waitcnt vmcnt(0) lgkmcnt(0)
	v_add_u32_e32 v0, -1, v0
	v_cmp_ne_u32_e32 vcc, 1, v0
	s_and_saveexec_b64 s[4:5], vcc
	s_cbranch_execz .LBB67_42
; %bb.41:
	v_mov_b32_e32 v1, 0
	v_lshl_add_u32 v0, v0, 3, v1
	buffer_load_dword v1, v0, s[0:3], 0 offen
	buffer_load_dword v10, v0, s[0:3], 0 offen offset:4
	buffer_load_dword v11, off, s[0:3], 0 offset:8
	buffer_load_dword v12, off, s[0:3], 0 offset:12
	s_waitcnt vmcnt(3)
	buffer_store_dword v1, off, s[0:3], 0 offset:8
	s_waitcnt vmcnt(3)
	buffer_store_dword v10, off, s[0:3], 0 offset:12
	s_waitcnt vmcnt(3)
	buffer_store_dword v11, v0, s[0:3], 0 offen
	s_waitcnt vmcnt(3)
	buffer_store_dword v12, v0, s[0:3], 0 offen offset:4
.LBB67_42:
	s_or_b64 exec, exec, s[4:5]
	v_pk_mov_b32 v[0:1], s[10:11], s[10:11] op_sel:[0,1]
	flat_load_dword v0, v[0:1]
	s_nop 0
	buffer_load_dword v10, off, s[0:3], 0
	buffer_load_dword v11, off, s[0:3], 0 offset:4
	s_waitcnt vmcnt(0) lgkmcnt(0)
	v_add_u32_e32 v0, -1, v0
	v_cmp_ne_u32_e32 vcc, 0, v0
	s_and_saveexec_b64 s[4:5], vcc
	s_cbranch_execz .LBB67_44
; %bb.43:
	v_mov_b32_e32 v1, 0
	v_lshl_add_u32 v0, v0, 3, v1
	buffer_load_dword v1, v0, s[0:3], 0 offen offset:4
	buffer_load_dword v12, v0, s[0:3], 0 offen
	s_waitcnt vmcnt(1)
	buffer_store_dword v1, off, s[0:3], 0 offset:4
	s_waitcnt vmcnt(1)
	buffer_store_dword v12, off, s[0:3], 0
	buffer_store_dword v11, v0, s[0:3], 0 offen offset:4
	buffer_store_dword v10, v0, s[0:3], 0 offen
	buffer_load_dword v10, off, s[0:3], 0
	s_nop 0
	buffer_load_dword v11, off, s[0:3], 0 offset:4
.LBB67_44:
	s_or_b64 exec, exec, s[4:5]
.LBB67_45:
	buffer_load_dword v0, off, s[0:3], 0 offset:8
	buffer_load_dword v1, off, s[0:3], 0 offset:12
	;; [unrolled: 1-line block ×6, first 2 shown]
	s_waitcnt vmcnt(6)
	global_store_dwordx2 v[2:3], v[10:11], off
	s_waitcnt vmcnt(5)
	global_store_dwordx2 v[4:5], v[0:1], off
	;; [unrolled: 2-line block ×4, first 2 shown]
	s_endpgm
	.section	.rodata,"a",@progbits
	.p2align	6, 0x0
	.amdhsa_kernel _ZN9rocsolver6v33100L18getri_kernel_smallILi4E19rocblas_complex_numIfEPKPS3_EEvT1_iilPiilS8_bb
		.amdhsa_group_segment_fixed_size 68
		.amdhsa_private_segment_fixed_size 48
		.amdhsa_kernarg_size 60
		.amdhsa_user_sgpr_count 8
		.amdhsa_user_sgpr_private_segment_buffer 1
		.amdhsa_user_sgpr_dispatch_ptr 0
		.amdhsa_user_sgpr_queue_ptr 0
		.amdhsa_user_sgpr_kernarg_segment_ptr 1
		.amdhsa_user_sgpr_dispatch_id 0
		.amdhsa_user_sgpr_flat_scratch_init 1
		.amdhsa_user_sgpr_kernarg_preload_length 0
		.amdhsa_user_sgpr_kernarg_preload_offset 0
		.amdhsa_user_sgpr_private_segment_size 0
		.amdhsa_uses_dynamic_stack 0
		.amdhsa_system_sgpr_private_segment_wavefront_offset 1
		.amdhsa_system_sgpr_workgroup_id_x 1
		.amdhsa_system_sgpr_workgroup_id_y 0
		.amdhsa_system_sgpr_workgroup_id_z 0
		.amdhsa_system_sgpr_workgroup_info 0
		.amdhsa_system_vgpr_workitem_id 0
		.amdhsa_next_free_vgpr 30
		.amdhsa_next_free_sgpr 22
		.amdhsa_accum_offset 32
		.amdhsa_reserve_vcc 1
		.amdhsa_reserve_flat_scratch 1
		.amdhsa_float_round_mode_32 0
		.amdhsa_float_round_mode_16_64 0
		.amdhsa_float_denorm_mode_32 3
		.amdhsa_float_denorm_mode_16_64 3
		.amdhsa_dx10_clamp 1
		.amdhsa_ieee_mode 1
		.amdhsa_fp16_overflow 0
		.amdhsa_tg_split 0
		.amdhsa_exception_fp_ieee_invalid_op 0
		.amdhsa_exception_fp_denorm_src 0
		.amdhsa_exception_fp_ieee_div_zero 0
		.amdhsa_exception_fp_ieee_overflow 0
		.amdhsa_exception_fp_ieee_underflow 0
		.amdhsa_exception_fp_ieee_inexact 0
		.amdhsa_exception_int_div_zero 0
	.end_amdhsa_kernel
	.section	.text._ZN9rocsolver6v33100L18getri_kernel_smallILi4E19rocblas_complex_numIfEPKPS3_EEvT1_iilPiilS8_bb,"axG",@progbits,_ZN9rocsolver6v33100L18getri_kernel_smallILi4E19rocblas_complex_numIfEPKPS3_EEvT1_iilPiilS8_bb,comdat
.Lfunc_end67:
	.size	_ZN9rocsolver6v33100L18getri_kernel_smallILi4E19rocblas_complex_numIfEPKPS3_EEvT1_iilPiilS8_bb, .Lfunc_end67-_ZN9rocsolver6v33100L18getri_kernel_smallILi4E19rocblas_complex_numIfEPKPS3_EEvT1_iilPiilS8_bb
                                        ; -- End function
	.section	.AMDGPU.csdata,"",@progbits
; Kernel info:
; codeLenInByte = 3100
; NumSgprs: 28
; NumVgprs: 30
; NumAgprs: 0
; TotalNumVgprs: 30
; ScratchSize: 48
; MemoryBound: 0
; FloatMode: 240
; IeeeMode: 1
; LDSByteSize: 68 bytes/workgroup (compile time only)
; SGPRBlocks: 3
; VGPRBlocks: 3
; NumSGPRsForWavesPerEU: 28
; NumVGPRsForWavesPerEU: 30
; AccumOffset: 32
; Occupancy: 8
; WaveLimiterHint : 1
; COMPUTE_PGM_RSRC2:SCRATCH_EN: 1
; COMPUTE_PGM_RSRC2:USER_SGPR: 8
; COMPUTE_PGM_RSRC2:TRAP_HANDLER: 0
; COMPUTE_PGM_RSRC2:TGID_X_EN: 1
; COMPUTE_PGM_RSRC2:TGID_Y_EN: 0
; COMPUTE_PGM_RSRC2:TGID_Z_EN: 0
; COMPUTE_PGM_RSRC2:TIDIG_COMP_CNT: 0
; COMPUTE_PGM_RSRC3_GFX90A:ACCUM_OFFSET: 7
; COMPUTE_PGM_RSRC3_GFX90A:TG_SPLIT: 0
	.section	.text._ZN9rocsolver6v33100L18getri_kernel_smallILi5E19rocblas_complex_numIfEPKPS3_EEvT1_iilPiilS8_bb,"axG",@progbits,_ZN9rocsolver6v33100L18getri_kernel_smallILi5E19rocblas_complex_numIfEPKPS3_EEvT1_iilPiilS8_bb,comdat
	.globl	_ZN9rocsolver6v33100L18getri_kernel_smallILi5E19rocblas_complex_numIfEPKPS3_EEvT1_iilPiilS8_bb ; -- Begin function _ZN9rocsolver6v33100L18getri_kernel_smallILi5E19rocblas_complex_numIfEPKPS3_EEvT1_iilPiilS8_bb
	.p2align	8
	.type	_ZN9rocsolver6v33100L18getri_kernel_smallILi5E19rocblas_complex_numIfEPKPS3_EEvT1_iilPiilS8_bb,@function
_ZN9rocsolver6v33100L18getri_kernel_smallILi5E19rocblas_complex_numIfEPKPS3_EEvT1_iilPiilS8_bb: ; @_ZN9rocsolver6v33100L18getri_kernel_smallILi5E19rocblas_complex_numIfEPKPS3_EEvT1_iilPiilS8_bb
; %bb.0:
	s_add_u32 flat_scratch_lo, s6, s9
	s_addc_u32 flat_scratch_hi, s7, 0
	s_add_u32 s0, s0, s9
	s_addc_u32 s1, s1, 0
	v_cmp_gt_u32_e32 vcc, 5, v0
	s_and_saveexec_b64 s[6:7], vcc
	s_cbranch_execz .LBB68_34
; %bb.1:
	s_load_dword s18, s[4:5], 0x38
	s_load_dwordx2 s[6:7], s[4:5], 0x0
	s_load_dwordx4 s[12:15], s[4:5], 0x28
	s_waitcnt lgkmcnt(0)
	s_bitcmp1_b32 s18, 8
	s_cselect_b64 s[16:17], -1, 0
	s_ashr_i32 s9, s8, 31
	s_lshl_b64 s[10:11], s[8:9], 3
	s_add_u32 s6, s6, s10
	s_addc_u32 s7, s7, s11
	s_load_dwordx2 s[6:7], s[6:7], 0x0
	s_bfe_u32 s10, s18, 0x10008
	s_cmp_eq_u32 s10, 0
                                        ; implicit-def: $sgpr10_sgpr11
	s_cbranch_scc1 .LBB68_3
; %bb.2:
	s_load_dword s10, s[4:5], 0x20
	s_load_dwordx2 s[20:21], s[4:5], 0x18
	s_mul_i32 s11, s8, s13
	s_mul_hi_u32 s13, s8, s12
	s_add_i32 s13, s13, s11
	s_mul_i32 s19, s9, s12
	s_add_i32 s13, s13, s19
	s_mul_i32 s12, s8, s12
	s_waitcnt lgkmcnt(0)
	s_ashr_i32 s11, s10, 31
	s_lshl_b64 s[12:13], s[12:13], 2
	s_add_u32 s12, s20, s12
	s_addc_u32 s13, s21, s13
	s_lshl_b64 s[10:11], s[10:11], 2
	s_add_u32 s10, s12, s10
	s_addc_u32 s11, s13, s11
.LBB68_3:
	s_load_dwordx2 s[4:5], s[4:5], 0x8
	v_lshlrev_b32_e32 v16, 3, v0
	s_waitcnt lgkmcnt(0)
	s_ashr_i32 s13, s4, 31
	s_mov_b32 s12, s4
	s_lshl_b64 s[12:13], s[12:13], 3
	s_add_u32 s6, s6, s12
	s_addc_u32 s7, s7, s13
	v_mov_b32_e32 v1, s7
	v_add_co_u32_e32 v2, vcc, s6, v16
	s_ashr_i32 s13, s5, 31
	s_mov_b32 s12, s5
	s_add_i32 s4, s5, s5
	v_addc_co_u32_e32 v3, vcc, 0, v1, vcc
	s_lshl_b64 s[12:13], s[12:13], 3
	v_add_u32_e32 v8, s4, v0
	v_mov_b32_e32 v1, s13
	v_add_co_u32_e32 v4, vcc, s12, v2
	v_ashrrev_i32_e32 v9, 31, v8
	v_addc_co_u32_e32 v5, vcc, v3, v1, vcc
	v_lshlrev_b64 v[6:7], 3, v[8:9]
	v_add_u32_e32 v10, s5, v8
	v_mov_b32_e32 v1, s7
	v_add_co_u32_e32 v6, vcc, s6, v6
	v_ashrrev_i32_e32 v11, 31, v10
	v_addc_co_u32_e32 v7, vcc, v1, v7, vcc
	v_lshlrev_b64 v[8:9], 3, v[10:11]
	v_add_co_u32_e32 v8, vcc, s6, v8
	global_load_dwordx2 v[12:13], v16, s[6:7]
	v_addc_co_u32_e32 v9, vcc, v1, v9, vcc
	global_load_dwordx2 v[14:15], v[4:5], off
	global_load_dwordx2 v[18:19], v[6:7], off
	;; [unrolled: 1-line block ×3, first 2 shown]
	v_add_u32_e32 v10, s5, v10
	v_ashrrev_i32_e32 v11, 31, v10
	v_lshlrev_b64 v[10:11], 3, v[10:11]
	v_add_co_u32_e32 v10, vcc, s6, v10
	v_addc_co_u32_e32 v11, vcc, v1, v11, vcc
	global_load_dwordx2 v[22:23], v[10:11], off
	s_bitcmp0_b32 s18, 0
	s_mov_b64 s[6:7], -1
	s_waitcnt vmcnt(4)
	buffer_store_dword v13, off, s[0:3], 0 offset:4
	buffer_store_dword v12, off, s[0:3], 0
	s_waitcnt vmcnt(5)
	buffer_store_dword v15, off, s[0:3], 0 offset:12
	buffer_store_dword v14, off, s[0:3], 0 offset:8
	s_waitcnt vmcnt(6)
	buffer_store_dword v19, off, s[0:3], 0 offset:20
	buffer_store_dword v18, off, s[0:3], 0 offset:16
	;; [unrolled: 3-line block ×4, first 2 shown]
	s_cbranch_scc1 .LBB68_32
; %bb.4:
	v_cmp_eq_u32_e64 s[4:5], 0, v0
	s_and_saveexec_b64 s[6:7], s[4:5]
	s_cbranch_execz .LBB68_6
; %bb.5:
	v_mov_b32_e32 v1, 0
	ds_write_b32 v1, v1 offset:40
.LBB68_6:
	s_or_b64 exec, exec, s[6:7]
	v_mov_b32_e32 v1, 0
	v_lshl_add_u32 v17, v0, 3, v1
	s_waitcnt lgkmcnt(0)
	; wave barrier
	s_waitcnt lgkmcnt(0)
	buffer_load_dword v1, v17, s[0:3], 0 offen
	buffer_load_dword v12, v17, s[0:3], 0 offen offset:4
	s_waitcnt vmcnt(1)
	v_cmp_eq_f32_e32 vcc, 0, v1
	s_waitcnt vmcnt(0)
	v_cmp_eq_f32_e64 s[6:7], 0, v12
	s_and_b64 s[6:7], vcc, s[6:7]
	s_and_saveexec_b64 s[12:13], s[6:7]
	s_cbranch_execz .LBB68_10
; %bb.7:
	v_mov_b32_e32 v1, 0
	ds_read_b32 v13, v1 offset:40
	v_add_u32_e32 v12, 1, v0
	s_waitcnt lgkmcnt(0)
	v_readfirstlane_b32 s6, v13
	s_cmp_eq_u32 s6, 0
	s_cselect_b64 s[18:19], -1, 0
	v_cmp_gt_i32_e32 vcc, s6, v12
	s_or_b64 s[18:19], s[18:19], vcc
	s_and_b64 exec, exec, s[18:19]
	s_cbranch_execz .LBB68_10
; %bb.8:
	s_mov_b64 s[18:19], 0
	v_mov_b32_e32 v13, s6
.LBB68_9:                               ; =>This Inner Loop Header: Depth=1
	ds_cmpst_rtn_b32 v13, v1, v13, v12 offset:40
	s_waitcnt lgkmcnt(0)
	v_cmp_ne_u32_e32 vcc, 0, v13
	v_cmp_le_i32_e64 s[6:7], v13, v12
	s_and_b64 s[6:7], vcc, s[6:7]
	s_and_b64 s[6:7], exec, s[6:7]
	s_or_b64 s[18:19], s[6:7], s[18:19]
	s_andn2_b64 exec, exec, s[18:19]
	s_cbranch_execnz .LBB68_9
.LBB68_10:
	s_or_b64 exec, exec, s[12:13]
	v_mov_b32_e32 v12, 0
	s_waitcnt lgkmcnt(0)
	; wave barrier
	ds_read_b32 v1, v12 offset:40
	s_and_saveexec_b64 s[6:7], s[4:5]
	s_cbranch_execz .LBB68_12
; %bb.11:
	s_lshl_b64 s[12:13], s[8:9], 2
	s_add_u32 s12, s14, s12
	s_addc_u32 s13, s15, s13
	s_waitcnt lgkmcnt(0)
	global_store_dword v12, v1, s[12:13]
.LBB68_12:
	s_or_b64 exec, exec, s[6:7]
	s_waitcnt lgkmcnt(0)
	v_cmp_ne_u32_e32 vcc, 0, v1
	s_mov_b64 s[6:7], 0
	s_cbranch_vccnz .LBB68_32
; %bb.13:
	buffer_load_dword v18, v17, s[0:3], 0 offen offset:4
	buffer_load_dword v13, v17, s[0:3], 0 offen
	s_waitcnt vmcnt(1)
	v_cmp_gt_f32_e32 vcc, 0, v18
	v_cndmask_b32_e64 v1, v18, -v18, vcc
	s_waitcnt vmcnt(0)
	v_cmp_gt_f32_e32 vcc, 0, v13
	v_cndmask_b32_e64 v12, v13, -v13, vcc
	v_cmp_ngt_f32_e32 vcc, v12, v1
                                        ; implicit-def: $vgpr1
                                        ; implicit-def: $vgpr12
	s_and_saveexec_b64 s[6:7], vcc
	s_xor_b64 s[6:7], exec, s[6:7]
                                        ; implicit-def: $vgpr14_vgpr15
	s_cbranch_execz .LBB68_15
; %bb.14:
	v_div_scale_f32 v1, s[12:13], v18, v18, v13
	v_rcp_f32_e32 v12, v1
	v_div_scale_f32 v14, vcc, v13, v18, v13
	v_fma_f32 v15, -v1, v12, 1.0
	v_fmac_f32_e32 v12, v15, v12
	v_mul_f32_e32 v15, v14, v12
	v_fma_f32 v19, -v1, v15, v14
	v_fmac_f32_e32 v15, v19, v12
	v_fma_f32 v1, -v1, v15, v14
	v_div_fmas_f32 v1, v1, v12, v15
	v_div_fixup_f32 v12, v1, v18, v13
	v_fmac_f32_e32 v18, v13, v12
	v_div_scale_f32 v1, s[12:13], v18, v18, -1.0
	v_rcp_f32_e32 v13, v1
	v_fma_f32 v14, -v1, v13, 1.0
	v_fmac_f32_e32 v13, v14, v13
	v_div_scale_f32 v14, vcc, -1.0, v18, -1.0
	v_mul_f32_e32 v15, v14, v13
	v_fma_f32 v19, -v1, v15, v14
	v_fmac_f32_e32 v15, v19, v13
	v_fma_f32 v1, -v1, v15, v14
	v_div_fmas_f32 v1, v1, v13, v15
	v_div_fixup_f32 v1, v1, v18, -1.0
	v_mul_f32_e32 v12, v12, v1
	v_xor_b32_e32 v14, 0x80000000, v12
                                        ; implicit-def: $vgpr13
                                        ; implicit-def: $vgpr18
.LBB68_15:
	s_andn2_saveexec_b64 s[6:7], s[6:7]
	s_cbranch_execz .LBB68_17
; %bb.16:
	v_div_scale_f32 v1, s[12:13], v13, v13, v18
	v_rcp_f32_e32 v12, v1
	v_div_scale_f32 v14, vcc, v18, v13, v18
	v_fma_f32 v15, -v1, v12, 1.0
	v_fmac_f32_e32 v12, v15, v12
	v_mul_f32_e32 v15, v14, v12
	v_fma_f32 v19, -v1, v15, v14
	v_fmac_f32_e32 v15, v19, v12
	v_fma_f32 v1, -v1, v15, v14
	v_div_fmas_f32 v1, v1, v12, v15
	v_div_fixup_f32 v1, v1, v13, v18
	v_fmac_f32_e32 v13, v18, v1
	v_div_scale_f32 v12, s[12:13], v13, v13, 1.0
	v_rcp_f32_e32 v14, v12
	v_fma_f32 v15, -v12, v14, 1.0
	v_fmac_f32_e32 v14, v15, v14
	v_div_scale_f32 v15, vcc, 1.0, v13, 1.0
	v_mul_f32_e32 v18, v15, v14
	v_fma_f32 v19, -v12, v18, v15
	v_fmac_f32_e32 v18, v19, v14
	v_fma_f32 v12, -v12, v18, v15
	v_div_fmas_f32 v12, v12, v14, v18
	v_div_fixup_f32 v14, v12, v13, 1.0
	v_xor_b32_e32 v12, 0x80000000, v14
	v_mul_f32_e64 v1, v1, -v14
.LBB68_17:
	s_or_b64 exec, exec, s[6:7]
	buffer_store_dword v1, v17, s[0:3], 0 offen offset:4
	buffer_store_dword v14, v17, s[0:3], 0 offen
	buffer_load_dword v15, off, s[0:3], 0 offset:12
	s_nop 0
	buffer_load_dword v14, off, s[0:3], 0 offset:8
	v_xor_b32_e32 v13, 0x80000000, v1
	v_add_u32_e32 v1, 48, v16
	s_waitcnt vmcnt(0)
	ds_write2_b64 v16, v[12:13], v[14:15] offset1:6
	s_waitcnt lgkmcnt(0)
	; wave barrier
	s_waitcnt lgkmcnt(0)
	s_and_saveexec_b64 s[6:7], s[4:5]
	s_cbranch_execz .LBB68_19
; %bb.18:
	buffer_load_dword v18, v17, s[0:3], 0 offen offset:4
	buffer_load_dword v19, v17, s[0:3], 0 offen
	ds_read_b64 v[12:13], v1
	v_mov_b32_e32 v14, 0
	ds_read_b64 v[14:15], v14 offset:8
	s_waitcnt vmcnt(1) lgkmcnt(1)
	v_mul_f32_e32 v20, v13, v18
	v_mul_f32_e32 v18, v12, v18
	s_waitcnt vmcnt(0)
	v_fmac_f32_e32 v18, v13, v19
	v_fma_f32 v12, v12, v19, -v20
	v_add_f32_e32 v13, 0, v18
	v_add_f32_e32 v12, 0, v12
	s_waitcnt lgkmcnt(0)
	v_mul_f32_e32 v18, v13, v15
	v_mul_f32_e32 v15, v12, v15
	v_fma_f32 v12, v12, v14, -v18
	v_fmac_f32_e32 v15, v13, v14
	buffer_store_dword v12, off, s[0:3], 0 offset:8
	buffer_store_dword v15, off, s[0:3], 0 offset:12
.LBB68_19:
	s_or_b64 exec, exec, s[6:7]
	s_waitcnt lgkmcnt(0)
	; wave barrier
	buffer_load_dword v12, off, s[0:3], 0 offset:16
	buffer_load_dword v13, off, s[0:3], 0 offset:20
	v_cmp_gt_u32_e32 vcc, 2, v0
	s_waitcnt vmcnt(0)
	ds_write_b64 v1, v[12:13]
	s_waitcnt lgkmcnt(0)
	; wave barrier
	s_waitcnt lgkmcnt(0)
	s_and_saveexec_b64 s[6:7], vcc
	s_cbranch_execz .LBB68_23
; %bb.20:
	buffer_load_dword v14, v17, s[0:3], 0 offen offset:4
	buffer_load_dword v15, v17, s[0:3], 0 offen
	ds_read_b64 v[12:13], v1
	s_waitcnt vmcnt(1) lgkmcnt(0)
	v_mul_f32_e32 v17, v13, v14
	v_mul_f32_e32 v14, v12, v14
	s_waitcnt vmcnt(0)
	v_fma_f32 v12, v12, v15, -v17
	v_fmac_f32_e32 v14, v13, v15
	v_add_f32_e32 v13, 0, v12
	v_add_f32_e32 v12, 0, v14
	s_and_saveexec_b64 s[12:13], s[4:5]
	s_cbranch_execz .LBB68_22
; %bb.21:
	buffer_load_dword v17, off, s[0:3], 0 offset:12
	buffer_load_dword v18, off, s[0:3], 0 offset:8
	v_mov_b32_e32 v14, 0
	ds_read_b64 v[14:15], v14 offset:56
	s_waitcnt vmcnt(1) lgkmcnt(0)
	v_mul_f32_e32 v19, v14, v17
	v_mul_f32_e32 v17, v15, v17
	s_waitcnt vmcnt(0)
	v_fmac_f32_e32 v19, v15, v18
	v_fma_f32 v14, v14, v18, -v17
	v_add_f32_e32 v12, v12, v19
	v_add_f32_e32 v13, v13, v14
.LBB68_22:
	s_or_b64 exec, exec, s[12:13]
	v_mov_b32_e32 v14, 0
	ds_read_b64 v[14:15], v14 offset:16
	s_waitcnt lgkmcnt(0)
	v_mul_f32_e32 v17, v12, v15
	v_mul_f32_e32 v15, v13, v15
	v_fma_f32 v13, v13, v14, -v17
	v_fmac_f32_e32 v15, v12, v14
	buffer_store_dword v13, off, s[0:3], 0 offset:16
	buffer_store_dword v15, off, s[0:3], 0 offset:20
.LBB68_23:
	s_or_b64 exec, exec, s[6:7]
	s_waitcnt lgkmcnt(0)
	; wave barrier
	buffer_load_dword v12, off, s[0:3], 0 offset:24
	buffer_load_dword v13, off, s[0:3], 0 offset:28
	v_cmp_gt_u32_e32 vcc, 3, v0
	s_waitcnt vmcnt(0)
	ds_write_b64 v1, v[12:13]
	v_add_u32_e32 v12, -1, v0
	s_waitcnt lgkmcnt(0)
	; wave barrier
	s_waitcnt lgkmcnt(0)
	s_and_saveexec_b64 s[4:5], vcc
	s_cbranch_execz .LBB68_27
; %bb.24:
	v_add_u32_e32 v14, -1, v0
	v_add_u32_e32 v15, 48, v16
	v_add_u32_e32 v17, 0, v16
	s_mov_b64 s[6:7], 0
	v_mov_b32_e32 v13, 0
	v_mov_b32_e32 v18, 0
.LBB68_25:                              ; =>This Inner Loop Header: Depth=1
	buffer_load_dword v19, v17, s[0:3], 0 offen offset:4
	buffer_load_dword v22, v17, s[0:3], 0 offen
	ds_read_b64 v[20:21], v15
	v_add_u32_e32 v14, 1, v14
	v_cmp_lt_u32_e32 vcc, 1, v14
	v_add_u32_e32 v15, 8, v15
	v_add_u32_e32 v17, 8, v17
	s_or_b64 s[6:7], vcc, s[6:7]
	s_waitcnt vmcnt(1) lgkmcnt(0)
	v_mul_f32_e32 v23, v21, v19
	v_mul_f32_e32 v19, v20, v19
	s_waitcnt vmcnt(0)
	v_fma_f32 v20, v20, v22, -v23
	v_fmac_f32_e32 v19, v21, v22
	v_add_f32_e32 v18, v18, v20
	v_add_f32_e32 v13, v13, v19
	s_andn2_b64 exec, exec, s[6:7]
	s_cbranch_execnz .LBB68_25
; %bb.26:
	s_or_b64 exec, exec, s[6:7]
	v_mov_b32_e32 v14, 0
	ds_read_b64 v[14:15], v14 offset:24
	s_waitcnt lgkmcnt(0)
	v_mul_f32_e32 v17, v13, v15
	v_mul_f32_e32 v15, v18, v15
	v_fma_f32 v17, v18, v14, -v17
	v_fmac_f32_e32 v15, v13, v14
	buffer_store_dword v17, off, s[0:3], 0 offset:24
	buffer_store_dword v15, off, s[0:3], 0 offset:28
.LBB68_27:
	s_or_b64 exec, exec, s[4:5]
	s_waitcnt lgkmcnt(0)
	; wave barrier
	buffer_load_dword v14, off, s[0:3], 0 offset:32
	buffer_load_dword v15, off, s[0:3], 0 offset:36
	v_cmp_ne_u32_e32 vcc, 4, v0
	s_waitcnt vmcnt(0)
	ds_write_b64 v1, v[14:15]
	s_waitcnt lgkmcnt(0)
	; wave barrier
	s_waitcnt lgkmcnt(0)
	s_and_saveexec_b64 s[4:5], vcc
	s_cbranch_execz .LBB68_31
; %bb.28:
	v_add_u32_e32 v14, 0, v16
	s_mov_b64 s[6:7], 0
	v_mov_b32_e32 v13, 0
	v_mov_b32_e32 v15, 0
.LBB68_29:                              ; =>This Inner Loop Header: Depth=1
	buffer_load_dword v18, v14, s[0:3], 0 offen offset:4
	buffer_load_dword v19, v14, s[0:3], 0 offen
	ds_read_b64 v[16:17], v1
	v_add_u32_e32 v12, 1, v12
	v_cmp_lt_u32_e32 vcc, 2, v12
	v_add_u32_e32 v1, 8, v1
	v_add_u32_e32 v14, 8, v14
	s_or_b64 s[6:7], vcc, s[6:7]
	s_waitcnt vmcnt(1) lgkmcnt(0)
	v_mul_f32_e32 v20, v17, v18
	v_mul_f32_e32 v18, v16, v18
	s_waitcnt vmcnt(0)
	v_fma_f32 v16, v16, v19, -v20
	v_fmac_f32_e32 v18, v17, v19
	v_add_f32_e32 v15, v15, v16
	v_add_f32_e32 v13, v13, v18
	s_andn2_b64 exec, exec, s[6:7]
	s_cbranch_execnz .LBB68_29
; %bb.30:
	s_or_b64 exec, exec, s[6:7]
	v_mov_b32_e32 v1, 0
	ds_read_b64 v[16:17], v1 offset:32
	s_waitcnt lgkmcnt(0)
	v_mul_f32_e32 v1, v13, v17
	v_mul_f32_e32 v12, v15, v17
	v_fma_f32 v1, v15, v16, -v1
	v_fmac_f32_e32 v12, v13, v16
	buffer_store_dword v1, off, s[0:3], 0 offset:32
	buffer_store_dword v12, off, s[0:3], 0 offset:36
.LBB68_31:
	s_or_b64 exec, exec, s[4:5]
	s_mov_b64 s[6:7], -1
	s_waitcnt lgkmcnt(0)
	; wave barrier
.LBB68_32:
	s_and_b64 vcc, exec, s[6:7]
	s_cbranch_vccz .LBB68_34
; %bb.33:
	s_lshl_b64 s[4:5], s[8:9], 2
	s_add_u32 s4, s14, s4
	s_addc_u32 s5, s15, s5
	v_mov_b32_e32 v1, 0
	global_load_dword v1, v1, s[4:5]
	s_waitcnt vmcnt(0)
	v_cmp_ne_u32_e32 vcc, 0, v1
	s_cbranch_vccz .LBB68_35
.LBB68_34:
	s_endpgm
.LBB68_35:
	v_lshl_add_u32 v1, v0, 3, 48
	v_cmp_eq_u32_e32 vcc, 4, v0
	s_and_saveexec_b64 s[4:5], vcc
	s_cbranch_execz .LBB68_37
; %bb.36:
	buffer_load_dword v12, off, s[0:3], 0 offset:24
	buffer_load_dword v13, off, s[0:3], 0 offset:28
	v_mov_b32_e32 v14, 0
	buffer_store_dword v14, off, s[0:3], 0 offset:24
	buffer_store_dword v14, off, s[0:3], 0 offset:28
	s_waitcnt vmcnt(2)
	ds_write_b64 v1, v[12:13]
.LBB68_37:
	s_or_b64 exec, exec, s[4:5]
	s_waitcnt lgkmcnt(0)
	; wave barrier
	s_waitcnt lgkmcnt(0)
	buffer_load_dword v15, off, s[0:3], 0 offset:36
	buffer_load_dword v14, off, s[0:3], 0 offset:32
	;; [unrolled: 1-line block ×4, first 2 shown]
	v_mov_b32_e32 v12, 0
	ds_read_b64 v[18:19], v12 offset:80
	v_cmp_lt_u32_e32 vcc, 2, v0
	s_waitcnt vmcnt(3)
	v_mov_b32_e32 v20, v15
	s_waitcnt lgkmcnt(0)
	v_pk_mul_f32 v[20:21], v[18:19], v[20:21] op_sel_hi:[1,0]
	s_waitcnt vmcnt(2)
	v_pk_fma_f32 v[22:23], v[18:19], v[14:15], v[20:21] op_sel:[0,0,1] op_sel_hi:[1,1,0] neg_lo:[0,0,1] neg_hi:[0,0,1]
	v_pk_fma_f32 v[14:15], v[18:19], v[14:15], v[20:21] op_sel:[0,0,1] op_sel_hi:[1,0,0]
	v_mov_b32_e32 v23, v15
	v_pk_add_f32 v[14:15], v[22:23], 0 op_sel_hi:[1,0]
	s_waitcnt vmcnt(0)
	v_pk_add_f32 v[14:15], v[16:17], v[14:15] neg_lo:[0,1] neg_hi:[0,1]
	buffer_store_dword v14, off, s[0:3], 0 offset:24
	buffer_store_dword v15, off, s[0:3], 0 offset:28
	s_and_saveexec_b64 s[4:5], vcc
	s_cbranch_execz .LBB68_39
; %bb.38:
	buffer_load_dword v14, off, s[0:3], 0 offset:16
	buffer_load_dword v15, off, s[0:3], 0 offset:20
	s_waitcnt vmcnt(0)
	ds_write_b64 v1, v[14:15]
	buffer_store_dword v12, off, s[0:3], 0 offset:16
	buffer_store_dword v12, off, s[0:3], 0 offset:20
.LBB68_39:
	s_or_b64 exec, exec, s[4:5]
	s_waitcnt lgkmcnt(0)
	; wave barrier
	s_waitcnt lgkmcnt(0)
	buffer_load_dword v17, off, s[0:3], 0 offset:28
	buffer_load_dword v19, off, s[0:3], 0 offset:36
	;; [unrolled: 1-line block ×6, first 2 shown]
	ds_read2_b64 v[12:15], v12 offset0:9 offset1:10
	v_cmp_lt_u32_e32 vcc, 1, v0
	s_waitcnt vmcnt(5)
	v_mov_b32_e32 v22, v17
	s_waitcnt vmcnt(4)
	v_mov_b32_e32 v24, v19
	s_waitcnt lgkmcnt(0)
	v_pk_mul_f32 v[22:23], v[12:13], v[22:23] op_sel_hi:[1,0]
	v_pk_mul_f32 v[24:25], v[14:15], v[24:25] op_sel_hi:[1,0]
	s_waitcnt vmcnt(3)
	v_pk_fma_f32 v[26:27], v[12:13], v[16:17], v[22:23] op_sel:[0,0,1] op_sel_hi:[1,1,0] neg_lo:[0,0,1] neg_hi:[0,0,1]
	v_pk_fma_f32 v[12:13], v[12:13], v[16:17], v[22:23] op_sel:[0,0,1] op_sel_hi:[1,0,0]
	s_waitcnt vmcnt(2)
	v_pk_fma_f32 v[16:17], v[14:15], v[18:19], v[24:25] op_sel:[0,0,1] op_sel_hi:[1,1,0] neg_lo:[0,0,1] neg_hi:[0,0,1]
	v_pk_fma_f32 v[14:15], v[14:15], v[18:19], v[24:25] op_sel:[0,0,1] op_sel_hi:[1,0,0]
	v_mov_b32_e32 v27, v13
	v_mov_b32_e32 v17, v15
	v_pk_add_f32 v[12:13], v[26:27], 0 op_sel_hi:[1,0]
	v_pk_add_f32 v[12:13], v[12:13], v[16:17]
	s_waitcnt vmcnt(0)
	v_pk_add_f32 v[12:13], v[20:21], v[12:13] neg_lo:[0,1] neg_hi:[0,1]
	buffer_store_dword v12, off, s[0:3], 0 offset:16
	buffer_store_dword v13, off, s[0:3], 0 offset:20
	s_and_saveexec_b64 s[4:5], vcc
	s_cbranch_execz .LBB68_41
; %bb.40:
	buffer_load_dword v12, off, s[0:3], 0 offset:8
	buffer_load_dword v13, off, s[0:3], 0 offset:12
	v_mov_b32_e32 v14, 0
	buffer_store_dword v14, off, s[0:3], 0 offset:8
	buffer_store_dword v14, off, s[0:3], 0 offset:12
	s_waitcnt vmcnt(2)
	ds_write_b64 v1, v[12:13]
.LBB68_41:
	s_or_b64 exec, exec, s[4:5]
	s_waitcnt lgkmcnt(0)
	; wave barrier
	s_waitcnt lgkmcnt(0)
	buffer_load_dword v19, off, s[0:3], 0 offset:20
	buffer_load_dword v21, off, s[0:3], 0 offset:28
	;; [unrolled: 1-line block ×8, first 2 shown]
	v_mov_b32_e32 v12, 0
	ds_read_b128 v[14:17], v12 offset:64
	ds_read_b64 v[26:27], v12 offset:80
	v_cmp_ne_u32_e32 vcc, 0, v0
	s_waitcnt vmcnt(7)
	v_mov_b32_e32 v28, v19
	s_waitcnt vmcnt(6)
	v_mov_b32_e32 v30, v21
	s_waitcnt lgkmcnt(1)
	v_pk_mul_f32 v[28:29], v[14:15], v[28:29] op_sel_hi:[1,0]
	s_waitcnt vmcnt(5)
	v_mov_b32_e32 v32, v23
	v_pk_mul_f32 v[30:31], v[16:17], v[30:31] op_sel_hi:[1,0]
	s_waitcnt vmcnt(4)
	v_pk_fma_f32 v[34:35], v[14:15], v[18:19], v[28:29] op_sel:[0,0,1] op_sel_hi:[1,1,0] neg_lo:[0,0,1] neg_hi:[0,0,1]
	v_pk_fma_f32 v[14:15], v[14:15], v[18:19], v[28:29] op_sel:[0,0,1] op_sel_hi:[1,0,0]
	s_waitcnt lgkmcnt(0)
	v_pk_mul_f32 v[32:33], v[26:27], v[32:33] op_sel_hi:[1,0]
	s_waitcnt vmcnt(3)
	v_pk_fma_f32 v[18:19], v[16:17], v[20:21], v[30:31] op_sel:[0,0,1] op_sel_hi:[1,1,0] neg_lo:[0,0,1] neg_hi:[0,0,1]
	v_pk_fma_f32 v[16:17], v[16:17], v[20:21], v[30:31] op_sel:[0,0,1] op_sel_hi:[1,0,0]
	v_mov_b32_e32 v35, v15
	s_waitcnt vmcnt(2)
	v_pk_fma_f32 v[20:21], v[26:27], v[22:23], v[32:33] op_sel:[0,0,1] op_sel_hi:[1,1,0] neg_lo:[0,0,1] neg_hi:[0,0,1]
	v_pk_fma_f32 v[22:23], v[26:27], v[22:23], v[32:33] op_sel:[0,0,1] op_sel_hi:[1,0,0]
	v_mov_b32_e32 v19, v17
	v_pk_add_f32 v[14:15], v[34:35], 0 op_sel_hi:[1,0]
	v_mov_b32_e32 v21, v23
	v_pk_add_f32 v[14:15], v[14:15], v[18:19]
	v_pk_add_f32 v[14:15], v[14:15], v[20:21]
	s_waitcnt vmcnt(0)
	v_pk_add_f32 v[14:15], v[24:25], v[14:15] neg_lo:[0,1] neg_hi:[0,1]
	buffer_store_dword v14, off, s[0:3], 0 offset:8
	buffer_store_dword v15, off, s[0:3], 0 offset:12
	s_and_saveexec_b64 s[4:5], vcc
	s_cbranch_execz .LBB68_43
; %bb.42:
	buffer_load_dword v14, off, s[0:3], 0
	buffer_load_dword v15, off, s[0:3], 0 offset:4
	s_waitcnt vmcnt(0)
	ds_write_b64 v1, v[14:15]
	buffer_store_dword v12, off, s[0:3], 0
	buffer_store_dword v12, off, s[0:3], 0 offset:4
.LBB68_43:
	s_or_b64 exec, exec, s[4:5]
	s_waitcnt lgkmcnt(0)
	; wave barrier
	s_waitcnt lgkmcnt(0)
	buffer_load_dword v23, off, s[0:3], 0 offset:12
	buffer_load_dword v25, off, s[0:3], 0 offset:20
	;; [unrolled: 1-line block ×8, first 2 shown]
	buffer_load_dword v28, off, s[0:3], 0
	buffer_load_dword v29, off, s[0:3], 0 offset:4
	ds_read2_b64 v[14:17], v12 offset0:7 offset1:8
	ds_read2_b64 v[18:21], v12 offset0:9 offset1:10
	s_and_b64 vcc, exec, s[16:17]
	s_waitcnt vmcnt(9)
	v_mov_b32_e32 v12, v23
	s_waitcnt vmcnt(8)
	v_mov_b32_e32 v30, v25
	s_waitcnt lgkmcnt(1)
	v_pk_mul_f32 v[12:13], v[14:15], v[12:13] op_sel_hi:[1,0]
	s_waitcnt vmcnt(7)
	v_mov_b32_e32 v32, v1
	v_pk_mul_f32 v[30:31], v[16:17], v[30:31] op_sel_hi:[1,0]
	s_waitcnt vmcnt(5)
	v_pk_fma_f32 v[36:37], v[14:15], v[22:23], v[12:13] op_sel:[0,0,1] op_sel_hi:[1,1,0] neg_lo:[0,0,1] neg_hi:[0,0,1]
	v_pk_fma_f32 v[12:13], v[14:15], v[22:23], v[12:13] op_sel:[0,0,1] op_sel_hi:[1,0,0]
	v_mov_b32_e32 v34, v27
	s_waitcnt lgkmcnt(0)
	v_pk_mul_f32 v[32:33], v[18:19], v[32:33] op_sel_hi:[1,0]
	s_waitcnt vmcnt(4)
	v_pk_fma_f32 v[14:15], v[16:17], v[24:25], v[30:31] op_sel:[0,0,1] op_sel_hi:[1,1,0] neg_lo:[0,0,1] neg_hi:[0,0,1]
	v_pk_fma_f32 v[16:17], v[16:17], v[24:25], v[30:31] op_sel:[0,0,1] op_sel_hi:[1,0,0]
	v_mov_b32_e32 v37, v13
	v_pk_mul_f32 v[34:35], v[20:21], v[34:35] op_sel_hi:[1,0]
	s_waitcnt vmcnt(3)
	v_pk_fma_f32 v[22:23], v[18:19], v[0:1], v[32:33] op_sel:[0,0,1] op_sel_hi:[1,1,0] neg_lo:[0,0,1] neg_hi:[0,0,1]
	v_pk_fma_f32 v[18:19], v[18:19], v[0:1], v[32:33] op_sel:[0,0,1] op_sel_hi:[1,0,0]
	v_mov_b32_e32 v15, v17
	v_pk_add_f32 v[12:13], v[36:37], 0 op_sel_hi:[1,0]
	s_waitcnt vmcnt(2)
	v_pk_fma_f32 v[24:25], v[20:21], v[26:27], v[34:35] op_sel:[0,0,1] op_sel_hi:[1,1,0] neg_lo:[0,0,1] neg_hi:[0,0,1]
	v_pk_fma_f32 v[20:21], v[20:21], v[26:27], v[34:35] op_sel:[0,0,1] op_sel_hi:[1,0,0]
	v_mov_b32_e32 v23, v19
	v_pk_add_f32 v[12:13], v[12:13], v[14:15]
	v_mov_b32_e32 v25, v21
	v_pk_add_f32 v[12:13], v[12:13], v[22:23]
	v_pk_add_f32 v[12:13], v[12:13], v[24:25]
	s_waitcnt vmcnt(0)
	v_pk_add_f32 v[12:13], v[28:29], v[12:13] neg_lo:[0,1] neg_hi:[0,1]
	buffer_store_dword v12, off, s[0:3], 0
	buffer_store_dword v13, off, s[0:3], 0 offset:4
	s_cbranch_vccz .LBB68_53
; %bb.44:
	v_pk_mov_b32 v[12:13], s[10:11], s[10:11] op_sel:[0,1]
	flat_load_dword v12, v[12:13] offset:12
	s_waitcnt vmcnt(0) lgkmcnt(0)
	v_add_u32_e32 v12, -1, v12
	v_cmp_ne_u32_e32 vcc, 3, v12
	s_and_saveexec_b64 s[4:5], vcc
	s_cbranch_execz .LBB68_46
; %bb.45:
	v_mov_b32_e32 v13, 0
	v_lshl_add_u32 v12, v12, 3, v13
	buffer_load_dword v13, v12, s[0:3], 0 offen
	buffer_load_dword v14, v12, s[0:3], 0 offen offset:4
	s_waitcnt vmcnt(1)
	buffer_store_dword v13, off, s[0:3], 0 offset:24
	s_waitcnt vmcnt(1)
	buffer_store_dword v14, off, s[0:3], 0 offset:28
	buffer_store_dword v0, v12, s[0:3], 0 offen
	buffer_store_dword v1, v12, s[0:3], 0 offen offset:4
.LBB68_46:
	s_or_b64 exec, exec, s[4:5]
	v_pk_mov_b32 v[0:1], s[10:11], s[10:11] op_sel:[0,1]
	flat_load_dword v0, v[0:1] offset:8
	s_waitcnt vmcnt(0) lgkmcnt(0)
	v_add_u32_e32 v0, -1, v0
	v_cmp_ne_u32_e32 vcc, 2, v0
	s_and_saveexec_b64 s[4:5], vcc
	s_cbranch_execz .LBB68_48
; %bb.47:
	v_mov_b32_e32 v1, 0
	v_lshl_add_u32 v0, v0, 3, v1
	buffer_load_dword v1, v0, s[0:3], 0 offen
	buffer_load_dword v12, v0, s[0:3], 0 offen offset:4
	buffer_load_dword v13, off, s[0:3], 0 offset:20
	buffer_load_dword v14, off, s[0:3], 0 offset:16
	s_waitcnt vmcnt(3)
	buffer_store_dword v1, off, s[0:3], 0 offset:16
	s_waitcnt vmcnt(3)
	buffer_store_dword v12, off, s[0:3], 0 offset:20
	s_waitcnt vmcnt(3)
	buffer_store_dword v13, v0, s[0:3], 0 offen offset:4
	s_waitcnt vmcnt(3)
	buffer_store_dword v14, v0, s[0:3], 0 offen
.LBB68_48:
	s_or_b64 exec, exec, s[4:5]
	v_pk_mov_b32 v[0:1], s[10:11], s[10:11] op_sel:[0,1]
	flat_load_dword v0, v[0:1] offset:4
	s_waitcnt vmcnt(0) lgkmcnt(0)
	v_add_u32_e32 v0, -1, v0
	v_cmp_ne_u32_e32 vcc, 1, v0
	s_and_saveexec_b64 s[4:5], vcc
	s_cbranch_execz .LBB68_50
; %bb.49:
	v_mov_b32_e32 v1, 0
	v_lshl_add_u32 v0, v0, 3, v1
	buffer_load_dword v1, v0, s[0:3], 0 offen
	buffer_load_dword v12, v0, s[0:3], 0 offen offset:4
	buffer_load_dword v13, off, s[0:3], 0 offset:8
	buffer_load_dword v14, off, s[0:3], 0 offset:12
	s_waitcnt vmcnt(3)
	buffer_store_dword v1, off, s[0:3], 0 offset:8
	s_waitcnt vmcnt(3)
	buffer_store_dword v12, off, s[0:3], 0 offset:12
	s_waitcnt vmcnt(3)
	buffer_store_dword v13, v0, s[0:3], 0 offen
	s_waitcnt vmcnt(3)
	buffer_store_dword v14, v0, s[0:3], 0 offen offset:4
.LBB68_50:
	s_or_b64 exec, exec, s[4:5]
	v_pk_mov_b32 v[0:1], s[10:11], s[10:11] op_sel:[0,1]
	flat_load_dword v0, v[0:1]
	s_nop 0
	buffer_load_dword v12, off, s[0:3], 0
	buffer_load_dword v13, off, s[0:3], 0 offset:4
	s_waitcnt vmcnt(0) lgkmcnt(0)
	v_add_u32_e32 v0, -1, v0
	v_cmp_ne_u32_e32 vcc, 0, v0
	s_and_saveexec_b64 s[4:5], vcc
	s_cbranch_execz .LBB68_52
; %bb.51:
	v_mov_b32_e32 v1, 0
	v_lshl_add_u32 v0, v0, 3, v1
	buffer_load_dword v1, v0, s[0:3], 0 offen offset:4
	buffer_load_dword v14, v0, s[0:3], 0 offen
	s_waitcnt vmcnt(1)
	buffer_store_dword v1, off, s[0:3], 0 offset:4
	s_waitcnt vmcnt(1)
	buffer_store_dword v14, off, s[0:3], 0
	buffer_store_dword v13, v0, s[0:3], 0 offen offset:4
	buffer_store_dword v12, v0, s[0:3], 0 offen
	buffer_load_dword v12, off, s[0:3], 0
	s_nop 0
	buffer_load_dword v13, off, s[0:3], 0 offset:4
.LBB68_52:
	s_or_b64 exec, exec, s[4:5]
.LBB68_53:
	buffer_load_dword v0, off, s[0:3], 0 offset:8
	buffer_load_dword v1, off, s[0:3], 0 offset:12
	;; [unrolled: 1-line block ×8, first 2 shown]
	s_waitcnt vmcnt(8)
	global_store_dwordx2 v[2:3], v[12:13], off
	s_waitcnt vmcnt(7)
	global_store_dwordx2 v[4:5], v[0:1], off
	s_waitcnt vmcnt(6)
	global_store_dwordx2 v[6:7], v[14:15], off
	s_waitcnt vmcnt(5)
	global_store_dwordx2 v[8:9], v[16:17], off
	s_waitcnt vmcnt(4)
	global_store_dwordx2 v[10:11], v[18:19], off
	s_endpgm
	.section	.rodata,"a",@progbits
	.p2align	6, 0x0
	.amdhsa_kernel _ZN9rocsolver6v33100L18getri_kernel_smallILi5E19rocblas_complex_numIfEPKPS3_EEvT1_iilPiilS8_bb
		.amdhsa_group_segment_fixed_size 88
		.amdhsa_private_segment_fixed_size 48
		.amdhsa_kernarg_size 60
		.amdhsa_user_sgpr_count 8
		.amdhsa_user_sgpr_private_segment_buffer 1
		.amdhsa_user_sgpr_dispatch_ptr 0
		.amdhsa_user_sgpr_queue_ptr 0
		.amdhsa_user_sgpr_kernarg_segment_ptr 1
		.amdhsa_user_sgpr_dispatch_id 0
		.amdhsa_user_sgpr_flat_scratch_init 1
		.amdhsa_user_sgpr_kernarg_preload_length 0
		.amdhsa_user_sgpr_kernarg_preload_offset 0
		.amdhsa_user_sgpr_private_segment_size 0
		.amdhsa_uses_dynamic_stack 0
		.amdhsa_system_sgpr_private_segment_wavefront_offset 1
		.amdhsa_system_sgpr_workgroup_id_x 1
		.amdhsa_system_sgpr_workgroup_id_y 0
		.amdhsa_system_sgpr_workgroup_id_z 0
		.amdhsa_system_sgpr_workgroup_info 0
		.amdhsa_system_vgpr_workitem_id 0
		.amdhsa_next_free_vgpr 38
		.amdhsa_next_free_sgpr 22
		.amdhsa_accum_offset 40
		.amdhsa_reserve_vcc 1
		.amdhsa_reserve_flat_scratch 1
		.amdhsa_float_round_mode_32 0
		.amdhsa_float_round_mode_16_64 0
		.amdhsa_float_denorm_mode_32 3
		.amdhsa_float_denorm_mode_16_64 3
		.amdhsa_dx10_clamp 1
		.amdhsa_ieee_mode 1
		.amdhsa_fp16_overflow 0
		.amdhsa_tg_split 0
		.amdhsa_exception_fp_ieee_invalid_op 0
		.amdhsa_exception_fp_denorm_src 0
		.amdhsa_exception_fp_ieee_div_zero 0
		.amdhsa_exception_fp_ieee_overflow 0
		.amdhsa_exception_fp_ieee_underflow 0
		.amdhsa_exception_fp_ieee_inexact 0
		.amdhsa_exception_int_div_zero 0
	.end_amdhsa_kernel
	.section	.text._ZN9rocsolver6v33100L18getri_kernel_smallILi5E19rocblas_complex_numIfEPKPS3_EEvT1_iilPiilS8_bb,"axG",@progbits,_ZN9rocsolver6v33100L18getri_kernel_smallILi5E19rocblas_complex_numIfEPKPS3_EEvT1_iilPiilS8_bb,comdat
.Lfunc_end68:
	.size	_ZN9rocsolver6v33100L18getri_kernel_smallILi5E19rocblas_complex_numIfEPKPS3_EEvT1_iilPiilS8_bb, .Lfunc_end68-_ZN9rocsolver6v33100L18getri_kernel_smallILi5E19rocblas_complex_numIfEPKPS3_EEvT1_iilPiilS8_bb
                                        ; -- End function
	.section	.AMDGPU.csdata,"",@progbits
; Kernel info:
; codeLenInByte = 3924
; NumSgprs: 28
; NumVgprs: 38
; NumAgprs: 0
; TotalNumVgprs: 38
; ScratchSize: 48
; MemoryBound: 0
; FloatMode: 240
; IeeeMode: 1
; LDSByteSize: 88 bytes/workgroup (compile time only)
; SGPRBlocks: 3
; VGPRBlocks: 4
; NumSGPRsForWavesPerEU: 28
; NumVGPRsForWavesPerEU: 38
; AccumOffset: 40
; Occupancy: 8
; WaveLimiterHint : 1
; COMPUTE_PGM_RSRC2:SCRATCH_EN: 1
; COMPUTE_PGM_RSRC2:USER_SGPR: 8
; COMPUTE_PGM_RSRC2:TRAP_HANDLER: 0
; COMPUTE_PGM_RSRC2:TGID_X_EN: 1
; COMPUTE_PGM_RSRC2:TGID_Y_EN: 0
; COMPUTE_PGM_RSRC2:TGID_Z_EN: 0
; COMPUTE_PGM_RSRC2:TIDIG_COMP_CNT: 0
; COMPUTE_PGM_RSRC3_GFX90A:ACCUM_OFFSET: 9
; COMPUTE_PGM_RSRC3_GFX90A:TG_SPLIT: 0
	.section	.text._ZN9rocsolver6v33100L18getri_kernel_smallILi6E19rocblas_complex_numIfEPKPS3_EEvT1_iilPiilS8_bb,"axG",@progbits,_ZN9rocsolver6v33100L18getri_kernel_smallILi6E19rocblas_complex_numIfEPKPS3_EEvT1_iilPiilS8_bb,comdat
	.globl	_ZN9rocsolver6v33100L18getri_kernel_smallILi6E19rocblas_complex_numIfEPKPS3_EEvT1_iilPiilS8_bb ; -- Begin function _ZN9rocsolver6v33100L18getri_kernel_smallILi6E19rocblas_complex_numIfEPKPS3_EEvT1_iilPiilS8_bb
	.p2align	8
	.type	_ZN9rocsolver6v33100L18getri_kernel_smallILi6E19rocblas_complex_numIfEPKPS3_EEvT1_iilPiilS8_bb,@function
_ZN9rocsolver6v33100L18getri_kernel_smallILi6E19rocblas_complex_numIfEPKPS3_EEvT1_iilPiilS8_bb: ; @_ZN9rocsolver6v33100L18getri_kernel_smallILi6E19rocblas_complex_numIfEPKPS3_EEvT1_iilPiilS8_bb
; %bb.0:
	s_add_u32 flat_scratch_lo, s6, s9
	s_addc_u32 flat_scratch_hi, s7, 0
	s_add_u32 s0, s0, s9
	s_addc_u32 s1, s1, 0
	v_cmp_gt_u32_e32 vcc, 6, v0
	s_and_saveexec_b64 s[6:7], vcc
	s_cbranch_execz .LBB69_38
; %bb.1:
	s_load_dword s18, s[4:5], 0x38
	s_load_dwordx2 s[6:7], s[4:5], 0x0
	s_load_dwordx4 s[12:15], s[4:5], 0x28
	s_waitcnt lgkmcnt(0)
	s_bitcmp1_b32 s18, 8
	s_cselect_b64 s[16:17], -1, 0
	s_ashr_i32 s9, s8, 31
	s_lshl_b64 s[10:11], s[8:9], 3
	s_add_u32 s6, s6, s10
	s_addc_u32 s7, s7, s11
	s_load_dwordx2 s[6:7], s[6:7], 0x0
	s_bfe_u32 s10, s18, 0x10008
	s_cmp_eq_u32 s10, 0
                                        ; implicit-def: $sgpr10_sgpr11
	s_cbranch_scc1 .LBB69_3
; %bb.2:
	s_load_dword s10, s[4:5], 0x20
	s_load_dwordx2 s[20:21], s[4:5], 0x18
	s_mul_i32 s11, s8, s13
	s_mul_hi_u32 s13, s8, s12
	s_add_i32 s13, s13, s11
	s_mul_i32 s19, s9, s12
	s_add_i32 s13, s13, s19
	s_mul_i32 s12, s8, s12
	s_waitcnt lgkmcnt(0)
	s_ashr_i32 s11, s10, 31
	s_lshl_b64 s[12:13], s[12:13], 2
	s_add_u32 s12, s20, s12
	s_addc_u32 s13, s21, s13
	s_lshl_b64 s[10:11], s[10:11], 2
	s_add_u32 s10, s12, s10
	s_addc_u32 s11, s13, s11
.LBB69_3:
	s_load_dwordx2 s[4:5], s[4:5], 0x8
	v_lshlrev_b32_e32 v18, 3, v0
	s_waitcnt lgkmcnt(0)
	s_ashr_i32 s13, s4, 31
	s_mov_b32 s12, s4
	s_lshl_b64 s[12:13], s[12:13], 3
	s_add_u32 s6, s6, s12
	s_addc_u32 s7, s7, s13
	v_mov_b32_e32 v1, s7
	v_add_co_u32_e32 v2, vcc, s6, v18
	s_ashr_i32 s13, s5, 31
	s_mov_b32 s12, s5
	s_add_i32 s4, s5, s5
	v_addc_co_u32_e32 v3, vcc, 0, v1, vcc
	s_lshl_b64 s[12:13], s[12:13], 3
	v_add_u32_e32 v8, s4, v0
	v_mov_b32_e32 v1, s13
	v_add_co_u32_e32 v4, vcc, s12, v2
	v_ashrrev_i32_e32 v9, 31, v8
	v_addc_co_u32_e32 v5, vcc, v3, v1, vcc
	v_lshlrev_b64 v[6:7], 3, v[8:9]
	v_add_u32_e32 v10, s5, v8
	v_mov_b32_e32 v1, s7
	v_add_co_u32_e32 v6, vcc, s6, v6
	v_ashrrev_i32_e32 v11, 31, v10
	v_addc_co_u32_e32 v7, vcc, v1, v7, vcc
	v_lshlrev_b64 v[8:9], 3, v[10:11]
	v_add_u32_e32 v12, s5, v10
	v_add_co_u32_e32 v8, vcc, s6, v8
	v_ashrrev_i32_e32 v13, 31, v12
	v_addc_co_u32_e32 v9, vcc, v1, v9, vcc
	v_lshlrev_b64 v[10:11], 3, v[12:13]
	v_add_co_u32_e32 v10, vcc, s6, v10
	global_load_dwordx2 v[14:15], v18, s[6:7]
	v_addc_co_u32_e32 v11, vcc, v1, v11, vcc
	global_load_dwordx2 v[16:17], v[4:5], off
	global_load_dwordx2 v[20:21], v[6:7], off
	;; [unrolled: 1-line block ×4, first 2 shown]
	v_add_u32_e32 v12, s5, v12
	v_ashrrev_i32_e32 v13, 31, v12
	v_lshlrev_b64 v[12:13], 3, v[12:13]
	v_add_co_u32_e32 v12, vcc, s6, v12
	v_addc_co_u32_e32 v13, vcc, v1, v13, vcc
	global_load_dwordx2 v[26:27], v[12:13], off
	s_bitcmp0_b32 s18, 0
	s_mov_b64 s[6:7], -1
	s_waitcnt vmcnt(5)
	buffer_store_dword v15, off, s[0:3], 0 offset:4
	buffer_store_dword v14, off, s[0:3], 0
	s_waitcnt vmcnt(6)
	buffer_store_dword v17, off, s[0:3], 0 offset:12
	buffer_store_dword v16, off, s[0:3], 0 offset:8
	s_waitcnt vmcnt(7)
	buffer_store_dword v21, off, s[0:3], 0 offset:20
	buffer_store_dword v20, off, s[0:3], 0 offset:16
	;; [unrolled: 3-line block ×5, first 2 shown]
	s_cbranch_scc1 .LBB69_36
; %bb.4:
	v_cmp_eq_u32_e64 s[4:5], 0, v0
	s_and_saveexec_b64 s[6:7], s[4:5]
	s_cbranch_execz .LBB69_6
; %bb.5:
	v_mov_b32_e32 v1, 0
	ds_write_b32 v1, v1 offset:96
.LBB69_6:
	s_or_b64 exec, exec, s[6:7]
	v_mov_b32_e32 v1, 0
	v_lshl_add_u32 v19, v0, 3, v1
	s_waitcnt lgkmcnt(0)
	; wave barrier
	s_waitcnt lgkmcnt(0)
	buffer_load_dword v1, v19, s[0:3], 0 offen
	buffer_load_dword v14, v19, s[0:3], 0 offen offset:4
	s_waitcnt vmcnt(1)
	v_cmp_eq_f32_e32 vcc, 0, v1
	s_waitcnt vmcnt(0)
	v_cmp_eq_f32_e64 s[6:7], 0, v14
	s_and_b64 s[6:7], vcc, s[6:7]
	s_and_saveexec_b64 s[12:13], s[6:7]
	s_cbranch_execz .LBB69_10
; %bb.7:
	v_mov_b32_e32 v1, 0
	ds_read_b32 v15, v1 offset:96
	v_add_u32_e32 v14, 1, v0
	s_waitcnt lgkmcnt(0)
	v_readfirstlane_b32 s6, v15
	s_cmp_eq_u32 s6, 0
	s_cselect_b64 s[18:19], -1, 0
	v_cmp_gt_i32_e32 vcc, s6, v14
	s_or_b64 s[18:19], s[18:19], vcc
	s_and_b64 exec, exec, s[18:19]
	s_cbranch_execz .LBB69_10
; %bb.8:
	s_mov_b64 s[18:19], 0
	v_mov_b32_e32 v15, s6
.LBB69_9:                               ; =>This Inner Loop Header: Depth=1
	ds_cmpst_rtn_b32 v15, v1, v15, v14 offset:96
	s_waitcnt lgkmcnt(0)
	v_cmp_ne_u32_e32 vcc, 0, v15
	v_cmp_le_i32_e64 s[6:7], v15, v14
	s_and_b64 s[6:7], vcc, s[6:7]
	s_and_b64 s[6:7], exec, s[6:7]
	s_or_b64 s[18:19], s[6:7], s[18:19]
	s_andn2_b64 exec, exec, s[18:19]
	s_cbranch_execnz .LBB69_9
.LBB69_10:
	s_or_b64 exec, exec, s[12:13]
	v_mov_b32_e32 v14, 0
	s_waitcnt lgkmcnt(0)
	; wave barrier
	ds_read_b32 v1, v14 offset:96
	s_and_saveexec_b64 s[6:7], s[4:5]
	s_cbranch_execz .LBB69_12
; %bb.11:
	s_lshl_b64 s[12:13], s[8:9], 2
	s_add_u32 s12, s14, s12
	s_addc_u32 s13, s15, s13
	s_waitcnt lgkmcnt(0)
	global_store_dword v14, v1, s[12:13]
.LBB69_12:
	s_or_b64 exec, exec, s[6:7]
	s_waitcnt lgkmcnt(0)
	v_cmp_ne_u32_e32 vcc, 0, v1
	s_mov_b64 s[6:7], 0
	s_cbranch_vccnz .LBB69_36
; %bb.13:
	buffer_load_dword v20, v19, s[0:3], 0 offen offset:4
	buffer_load_dword v15, v19, s[0:3], 0 offen
	s_waitcnt vmcnt(1)
	v_cmp_gt_f32_e32 vcc, 0, v20
	v_cndmask_b32_e64 v1, v20, -v20, vcc
	s_waitcnt vmcnt(0)
	v_cmp_gt_f32_e32 vcc, 0, v15
	v_cndmask_b32_e64 v14, v15, -v15, vcc
	v_cmp_ngt_f32_e32 vcc, v14, v1
                                        ; implicit-def: $vgpr1
                                        ; implicit-def: $vgpr14
	s_and_saveexec_b64 s[6:7], vcc
	s_xor_b64 s[6:7], exec, s[6:7]
                                        ; implicit-def: $vgpr16_vgpr17
	s_cbranch_execz .LBB69_15
; %bb.14:
	v_div_scale_f32 v1, s[12:13], v20, v20, v15
	v_rcp_f32_e32 v14, v1
	v_div_scale_f32 v16, vcc, v15, v20, v15
	v_fma_f32 v17, -v1, v14, 1.0
	v_fmac_f32_e32 v14, v17, v14
	v_mul_f32_e32 v17, v16, v14
	v_fma_f32 v21, -v1, v17, v16
	v_fmac_f32_e32 v17, v21, v14
	v_fma_f32 v1, -v1, v17, v16
	v_div_fmas_f32 v1, v1, v14, v17
	v_div_fixup_f32 v14, v1, v20, v15
	v_fmac_f32_e32 v20, v15, v14
	v_div_scale_f32 v1, s[12:13], v20, v20, -1.0
	v_rcp_f32_e32 v15, v1
	v_fma_f32 v16, -v1, v15, 1.0
	v_fmac_f32_e32 v15, v16, v15
	v_div_scale_f32 v16, vcc, -1.0, v20, -1.0
	v_mul_f32_e32 v17, v16, v15
	v_fma_f32 v21, -v1, v17, v16
	v_fmac_f32_e32 v17, v21, v15
	v_fma_f32 v1, -v1, v17, v16
	v_div_fmas_f32 v1, v1, v15, v17
	v_div_fixup_f32 v1, v1, v20, -1.0
	v_mul_f32_e32 v14, v14, v1
	v_xor_b32_e32 v16, 0x80000000, v14
                                        ; implicit-def: $vgpr15
                                        ; implicit-def: $vgpr20
.LBB69_15:
	s_andn2_saveexec_b64 s[6:7], s[6:7]
	s_cbranch_execz .LBB69_17
; %bb.16:
	v_div_scale_f32 v1, s[12:13], v15, v15, v20
	v_rcp_f32_e32 v14, v1
	v_div_scale_f32 v16, vcc, v20, v15, v20
	v_fma_f32 v17, -v1, v14, 1.0
	v_fmac_f32_e32 v14, v17, v14
	v_mul_f32_e32 v17, v16, v14
	v_fma_f32 v21, -v1, v17, v16
	v_fmac_f32_e32 v17, v21, v14
	v_fma_f32 v1, -v1, v17, v16
	v_div_fmas_f32 v1, v1, v14, v17
	v_div_fixup_f32 v1, v1, v15, v20
	v_fmac_f32_e32 v15, v20, v1
	v_div_scale_f32 v14, s[12:13], v15, v15, 1.0
	v_rcp_f32_e32 v16, v14
	v_fma_f32 v17, -v14, v16, 1.0
	v_fmac_f32_e32 v16, v17, v16
	v_div_scale_f32 v17, vcc, 1.0, v15, 1.0
	v_mul_f32_e32 v20, v17, v16
	v_fma_f32 v21, -v14, v20, v17
	v_fmac_f32_e32 v20, v21, v16
	v_fma_f32 v14, -v14, v20, v17
	v_div_fmas_f32 v14, v14, v16, v20
	v_div_fixup_f32 v16, v14, v15, 1.0
	v_xor_b32_e32 v14, 0x80000000, v16
	v_mul_f32_e64 v1, v1, -v16
.LBB69_17:
	s_or_b64 exec, exec, s[6:7]
	buffer_store_dword v1, v19, s[0:3], 0 offen offset:4
	buffer_store_dword v16, v19, s[0:3], 0 offen
	buffer_load_dword v17, off, s[0:3], 0 offset:12
	s_nop 0
	buffer_load_dword v16, off, s[0:3], 0 offset:8
	v_xor_b32_e32 v15, 0x80000000, v1
	v_add_u32_e32 v1, 48, v18
	s_waitcnt vmcnt(0)
	ds_write2_b64 v18, v[14:15], v[16:17] offset1:6
	s_waitcnt lgkmcnt(0)
	; wave barrier
	s_waitcnt lgkmcnt(0)
	s_and_saveexec_b64 s[6:7], s[4:5]
	s_cbranch_execz .LBB69_19
; %bb.18:
	buffer_load_dword v20, v19, s[0:3], 0 offen offset:4
	buffer_load_dword v21, v19, s[0:3], 0 offen
	ds_read_b64 v[14:15], v1
	v_mov_b32_e32 v16, 0
	ds_read_b64 v[16:17], v16 offset:8
	s_waitcnt vmcnt(1) lgkmcnt(1)
	v_mul_f32_e32 v22, v15, v20
	v_mul_f32_e32 v20, v14, v20
	s_waitcnt vmcnt(0)
	v_fmac_f32_e32 v20, v15, v21
	v_fma_f32 v14, v14, v21, -v22
	v_add_f32_e32 v15, 0, v20
	v_add_f32_e32 v14, 0, v14
	s_waitcnt lgkmcnt(0)
	v_mul_f32_e32 v20, v15, v17
	v_mul_f32_e32 v17, v14, v17
	v_fma_f32 v14, v14, v16, -v20
	v_fmac_f32_e32 v17, v15, v16
	buffer_store_dword v14, off, s[0:3], 0 offset:8
	buffer_store_dword v17, off, s[0:3], 0 offset:12
.LBB69_19:
	s_or_b64 exec, exec, s[6:7]
	s_waitcnt lgkmcnt(0)
	; wave barrier
	buffer_load_dword v14, off, s[0:3], 0 offset:16
	buffer_load_dword v15, off, s[0:3], 0 offset:20
	v_cmp_gt_u32_e32 vcc, 2, v0
	s_waitcnt vmcnt(0)
	ds_write_b64 v1, v[14:15]
	s_waitcnt lgkmcnt(0)
	; wave barrier
	s_waitcnt lgkmcnt(0)
	s_and_saveexec_b64 s[6:7], vcc
	s_cbranch_execz .LBB69_23
; %bb.20:
	buffer_load_dword v16, v19, s[0:3], 0 offen offset:4
	buffer_load_dword v17, v19, s[0:3], 0 offen
	ds_read_b64 v[14:15], v1
	s_waitcnt vmcnt(1) lgkmcnt(0)
	v_mul_f32_e32 v19, v15, v16
	v_mul_f32_e32 v16, v14, v16
	s_waitcnt vmcnt(0)
	v_fma_f32 v14, v14, v17, -v19
	v_fmac_f32_e32 v16, v15, v17
	v_add_f32_e32 v15, 0, v14
	v_add_f32_e32 v14, 0, v16
	s_and_saveexec_b64 s[12:13], s[4:5]
	s_cbranch_execz .LBB69_22
; %bb.21:
	buffer_load_dword v19, off, s[0:3], 0 offset:12
	buffer_load_dword v20, off, s[0:3], 0 offset:8
	v_mov_b32_e32 v16, 0
	ds_read_b64 v[16:17], v16 offset:56
	s_waitcnt vmcnt(1) lgkmcnt(0)
	v_mul_f32_e32 v21, v16, v19
	v_mul_f32_e32 v19, v17, v19
	s_waitcnt vmcnt(0)
	v_fmac_f32_e32 v21, v17, v20
	v_fma_f32 v16, v16, v20, -v19
	v_add_f32_e32 v14, v14, v21
	v_add_f32_e32 v15, v15, v16
.LBB69_22:
	s_or_b64 exec, exec, s[12:13]
	v_mov_b32_e32 v16, 0
	ds_read_b64 v[16:17], v16 offset:16
	s_waitcnt lgkmcnt(0)
	v_mul_f32_e32 v19, v14, v17
	v_mul_f32_e32 v17, v15, v17
	v_fma_f32 v15, v15, v16, -v19
	v_fmac_f32_e32 v17, v14, v16
	buffer_store_dword v15, off, s[0:3], 0 offset:16
	buffer_store_dword v17, off, s[0:3], 0 offset:20
.LBB69_23:
	s_or_b64 exec, exec, s[6:7]
	s_waitcnt lgkmcnt(0)
	; wave barrier
	buffer_load_dword v14, off, s[0:3], 0 offset:24
	buffer_load_dword v15, off, s[0:3], 0 offset:28
	v_cmp_gt_u32_e32 vcc, 3, v0
	s_waitcnt vmcnt(0)
	ds_write_b64 v1, v[14:15]
	v_add_u32_e32 v14, -1, v0
	s_waitcnt lgkmcnt(0)
	; wave barrier
	s_waitcnt lgkmcnt(0)
	s_and_saveexec_b64 s[4:5], vcc
	s_cbranch_execz .LBB69_27
; %bb.24:
	v_add_u32_e32 v16, -1, v0
	v_add_u32_e32 v17, 48, v18
	v_add_u32_e32 v19, 0, v18
	s_mov_b64 s[6:7], 0
	v_mov_b32_e32 v15, 0
	v_mov_b32_e32 v20, 0
.LBB69_25:                              ; =>This Inner Loop Header: Depth=1
	buffer_load_dword v21, v19, s[0:3], 0 offen offset:4
	buffer_load_dword v24, v19, s[0:3], 0 offen
	ds_read_b64 v[22:23], v17
	v_add_u32_e32 v16, 1, v16
	v_cmp_lt_u32_e32 vcc, 1, v16
	v_add_u32_e32 v17, 8, v17
	v_add_u32_e32 v19, 8, v19
	s_or_b64 s[6:7], vcc, s[6:7]
	s_waitcnt vmcnt(1) lgkmcnt(0)
	v_mul_f32_e32 v25, v23, v21
	v_mul_f32_e32 v21, v22, v21
	s_waitcnt vmcnt(0)
	v_fma_f32 v22, v22, v24, -v25
	v_fmac_f32_e32 v21, v23, v24
	v_add_f32_e32 v20, v20, v22
	v_add_f32_e32 v15, v15, v21
	s_andn2_b64 exec, exec, s[6:7]
	s_cbranch_execnz .LBB69_25
; %bb.26:
	s_or_b64 exec, exec, s[6:7]
	v_mov_b32_e32 v16, 0
	ds_read_b64 v[16:17], v16 offset:24
	s_waitcnt lgkmcnt(0)
	v_mul_f32_e32 v19, v15, v17
	v_mul_f32_e32 v17, v20, v17
	v_fma_f32 v19, v20, v16, -v19
	v_fmac_f32_e32 v17, v15, v16
	buffer_store_dword v19, off, s[0:3], 0 offset:24
	buffer_store_dword v17, off, s[0:3], 0 offset:28
.LBB69_27:
	s_or_b64 exec, exec, s[4:5]
	s_waitcnt lgkmcnt(0)
	; wave barrier
	buffer_load_dword v16, off, s[0:3], 0 offset:32
	buffer_load_dword v17, off, s[0:3], 0 offset:36
	v_cmp_gt_u32_e32 vcc, 4, v0
	s_waitcnt vmcnt(0)
	ds_write_b64 v1, v[16:17]
	s_waitcnt lgkmcnt(0)
	; wave barrier
	s_waitcnt lgkmcnt(0)
	s_and_saveexec_b64 s[4:5], vcc
	s_cbranch_execz .LBB69_31
; %bb.28:
	v_add_u32_e32 v16, -1, v0
	v_add_u32_e32 v17, 48, v18
	v_add_u32_e32 v19, 0, v18
	s_mov_b64 s[6:7], 0
	v_mov_b32_e32 v15, 0
	v_mov_b32_e32 v20, 0
.LBB69_29:                              ; =>This Inner Loop Header: Depth=1
	buffer_load_dword v21, v19, s[0:3], 0 offen offset:4
	buffer_load_dword v24, v19, s[0:3], 0 offen
	ds_read_b64 v[22:23], v17
	v_add_u32_e32 v16, 1, v16
	v_cmp_lt_u32_e32 vcc, 2, v16
	v_add_u32_e32 v17, 8, v17
	v_add_u32_e32 v19, 8, v19
	s_or_b64 s[6:7], vcc, s[6:7]
	s_waitcnt vmcnt(1) lgkmcnt(0)
	v_mul_f32_e32 v25, v23, v21
	v_mul_f32_e32 v21, v22, v21
	s_waitcnt vmcnt(0)
	v_fma_f32 v22, v22, v24, -v25
	v_fmac_f32_e32 v21, v23, v24
	v_add_f32_e32 v20, v20, v22
	v_add_f32_e32 v15, v15, v21
	s_andn2_b64 exec, exec, s[6:7]
	s_cbranch_execnz .LBB69_29
; %bb.30:
	s_or_b64 exec, exec, s[6:7]
	v_mov_b32_e32 v16, 0
	ds_read_b64 v[16:17], v16 offset:32
	s_waitcnt lgkmcnt(0)
	v_mul_f32_e32 v19, v15, v17
	v_mul_f32_e32 v17, v20, v17
	v_fma_f32 v19, v20, v16, -v19
	v_fmac_f32_e32 v17, v15, v16
	buffer_store_dword v19, off, s[0:3], 0 offset:32
	buffer_store_dword v17, off, s[0:3], 0 offset:36
.LBB69_31:
	s_or_b64 exec, exec, s[4:5]
	s_waitcnt lgkmcnt(0)
	; wave barrier
	buffer_load_dword v16, off, s[0:3], 0 offset:40
	buffer_load_dword v17, off, s[0:3], 0 offset:44
	v_cmp_ne_u32_e32 vcc, 5, v0
	s_waitcnt vmcnt(0)
	ds_write_b64 v1, v[16:17]
	s_waitcnt lgkmcnt(0)
	; wave barrier
	s_waitcnt lgkmcnt(0)
	s_and_saveexec_b64 s[4:5], vcc
	s_cbranch_execz .LBB69_35
; %bb.32:
	v_add_u32_e32 v16, 0, v18
	s_mov_b64 s[6:7], 0
	v_mov_b32_e32 v15, 0
	v_mov_b32_e32 v17, 0
.LBB69_33:                              ; =>This Inner Loop Header: Depth=1
	buffer_load_dword v20, v16, s[0:3], 0 offen offset:4
	buffer_load_dword v21, v16, s[0:3], 0 offen
	ds_read_b64 v[18:19], v1
	v_add_u32_e32 v14, 1, v14
	v_cmp_lt_u32_e32 vcc, 3, v14
	v_add_u32_e32 v1, 8, v1
	v_add_u32_e32 v16, 8, v16
	s_or_b64 s[6:7], vcc, s[6:7]
	s_waitcnt vmcnt(1) lgkmcnt(0)
	v_mul_f32_e32 v22, v19, v20
	v_mul_f32_e32 v20, v18, v20
	s_waitcnt vmcnt(0)
	v_fma_f32 v18, v18, v21, -v22
	v_fmac_f32_e32 v20, v19, v21
	v_add_f32_e32 v17, v17, v18
	v_add_f32_e32 v15, v15, v20
	s_andn2_b64 exec, exec, s[6:7]
	s_cbranch_execnz .LBB69_33
; %bb.34:
	s_or_b64 exec, exec, s[6:7]
	v_mov_b32_e32 v1, 0
	ds_read_b64 v[18:19], v1 offset:40
	s_waitcnt lgkmcnt(0)
	v_mul_f32_e32 v1, v15, v19
	v_mul_f32_e32 v14, v17, v19
	v_fma_f32 v1, v17, v18, -v1
	v_fmac_f32_e32 v14, v15, v18
	buffer_store_dword v1, off, s[0:3], 0 offset:40
	buffer_store_dword v14, off, s[0:3], 0 offset:44
.LBB69_35:
	s_or_b64 exec, exec, s[4:5]
	s_mov_b64 s[6:7], -1
	s_waitcnt lgkmcnt(0)
	; wave barrier
.LBB69_36:
	s_and_b64 vcc, exec, s[6:7]
	s_cbranch_vccz .LBB69_38
; %bb.37:
	s_lshl_b64 s[4:5], s[8:9], 2
	s_add_u32 s4, s14, s4
	s_addc_u32 s5, s15, s5
	v_mov_b32_e32 v1, 0
	global_load_dword v1, v1, s[4:5]
	s_waitcnt vmcnt(0)
	v_cmp_ne_u32_e32 vcc, 0, v1
	s_cbranch_vccz .LBB69_39
.LBB69_38:
	s_endpgm
.LBB69_39:
	v_lshl_add_u32 v1, v0, 3, 48
	v_cmp_eq_u32_e32 vcc, 5, v0
	s_and_saveexec_b64 s[4:5], vcc
	s_cbranch_execz .LBB69_41
; %bb.40:
	buffer_load_dword v14, off, s[0:3], 0 offset:32
	buffer_load_dword v15, off, s[0:3], 0 offset:36
	v_mov_b32_e32 v16, 0
	buffer_store_dword v16, off, s[0:3], 0 offset:32
	buffer_store_dword v16, off, s[0:3], 0 offset:36
	s_waitcnt vmcnt(2)
	ds_write_b64 v1, v[14:15]
.LBB69_41:
	s_or_b64 exec, exec, s[4:5]
	s_waitcnt lgkmcnt(0)
	; wave barrier
	s_waitcnt lgkmcnt(0)
	buffer_load_dword v17, off, s[0:3], 0 offset:44
	buffer_load_dword v16, off, s[0:3], 0 offset:40
	;; [unrolled: 1-line block ×4, first 2 shown]
	v_mov_b32_e32 v14, 0
	ds_read_b64 v[20:21], v14 offset:88
	v_cmp_lt_u32_e32 vcc, 3, v0
	s_waitcnt vmcnt(3)
	v_mov_b32_e32 v22, v17
	s_waitcnt lgkmcnt(0)
	v_pk_mul_f32 v[22:23], v[20:21], v[22:23] op_sel_hi:[1,0]
	s_waitcnt vmcnt(2)
	v_pk_fma_f32 v[24:25], v[20:21], v[16:17], v[22:23] op_sel:[0,0,1] op_sel_hi:[1,1,0] neg_lo:[0,0,1] neg_hi:[0,0,1]
	v_pk_fma_f32 v[16:17], v[20:21], v[16:17], v[22:23] op_sel:[0,0,1] op_sel_hi:[1,0,0]
	v_mov_b32_e32 v25, v17
	v_pk_add_f32 v[16:17], v[24:25], 0 op_sel_hi:[1,0]
	s_waitcnt vmcnt(0)
	v_pk_add_f32 v[16:17], v[18:19], v[16:17] neg_lo:[0,1] neg_hi:[0,1]
	buffer_store_dword v16, off, s[0:3], 0 offset:32
	buffer_store_dword v17, off, s[0:3], 0 offset:36
	s_and_saveexec_b64 s[4:5], vcc
	s_cbranch_execz .LBB69_43
; %bb.42:
	buffer_load_dword v16, off, s[0:3], 0 offset:24
	buffer_load_dword v17, off, s[0:3], 0 offset:28
	s_waitcnt vmcnt(0)
	ds_write_b64 v1, v[16:17]
	buffer_store_dword v14, off, s[0:3], 0 offset:24
	buffer_store_dword v14, off, s[0:3], 0 offset:28
.LBB69_43:
	s_or_b64 exec, exec, s[4:5]
	s_waitcnt lgkmcnt(0)
	; wave barrier
	s_waitcnt lgkmcnt(0)
	buffer_load_dword v19, off, s[0:3], 0 offset:36
	buffer_load_dword v21, off, s[0:3], 0 offset:44
	;; [unrolled: 1-line block ×6, first 2 shown]
	ds_read_b128 v[14:17], v14 offset:80
	v_cmp_lt_u32_e32 vcc, 2, v0
	s_waitcnt vmcnt(5)
	v_mov_b32_e32 v24, v19
	s_waitcnt vmcnt(4)
	v_mov_b32_e32 v26, v21
	s_waitcnt lgkmcnt(0)
	v_pk_mul_f32 v[24:25], v[14:15], v[24:25] op_sel_hi:[1,0]
	v_pk_mul_f32 v[26:27], v[16:17], v[26:27] op_sel_hi:[1,0]
	s_waitcnt vmcnt(3)
	v_pk_fma_f32 v[28:29], v[14:15], v[18:19], v[24:25] op_sel:[0,0,1] op_sel_hi:[1,1,0] neg_lo:[0,0,1] neg_hi:[0,0,1]
	v_pk_fma_f32 v[14:15], v[14:15], v[18:19], v[24:25] op_sel:[0,0,1] op_sel_hi:[1,0,0]
	s_waitcnt vmcnt(2)
	v_pk_fma_f32 v[18:19], v[16:17], v[20:21], v[26:27] op_sel:[0,0,1] op_sel_hi:[1,1,0] neg_lo:[0,0,1] neg_hi:[0,0,1]
	v_pk_fma_f32 v[16:17], v[16:17], v[20:21], v[26:27] op_sel:[0,0,1] op_sel_hi:[1,0,0]
	v_mov_b32_e32 v29, v15
	v_mov_b32_e32 v19, v17
	v_pk_add_f32 v[14:15], v[28:29], 0 op_sel_hi:[1,0]
	v_pk_add_f32 v[14:15], v[14:15], v[18:19]
	s_waitcnt vmcnt(0)
	v_pk_add_f32 v[14:15], v[22:23], v[14:15] neg_lo:[0,1] neg_hi:[0,1]
	buffer_store_dword v14, off, s[0:3], 0 offset:24
	buffer_store_dword v15, off, s[0:3], 0 offset:28
	s_and_saveexec_b64 s[4:5], vcc
	s_cbranch_execz .LBB69_45
; %bb.44:
	buffer_load_dword v14, off, s[0:3], 0 offset:16
	buffer_load_dword v15, off, s[0:3], 0 offset:20
	v_mov_b32_e32 v16, 0
	buffer_store_dword v16, off, s[0:3], 0 offset:16
	buffer_store_dword v16, off, s[0:3], 0 offset:20
	s_waitcnt vmcnt(2)
	ds_write_b64 v1, v[14:15]
.LBB69_45:
	s_or_b64 exec, exec, s[4:5]
	s_waitcnt lgkmcnt(0)
	; wave barrier
	s_waitcnt lgkmcnt(0)
	buffer_load_dword v21, off, s[0:3], 0 offset:28
	buffer_load_dword v23, off, s[0:3], 0 offset:36
	;; [unrolled: 1-line block ×8, first 2 shown]
	v_mov_b32_e32 v14, 0
	ds_read2_b64 v[16:19], v14 offset0:9 offset1:10
	ds_read_b64 v[28:29], v14 offset:88
	v_cmp_lt_u32_e32 vcc, 1, v0
	s_waitcnt vmcnt(7)
	v_mov_b32_e32 v30, v21
	s_waitcnt vmcnt(6)
	v_mov_b32_e32 v32, v23
	s_waitcnt lgkmcnt(1)
	v_pk_mul_f32 v[30:31], v[16:17], v[30:31] op_sel_hi:[1,0]
	s_waitcnt vmcnt(5)
	v_mov_b32_e32 v34, v25
	v_pk_mul_f32 v[32:33], v[18:19], v[32:33] op_sel_hi:[1,0]
	s_waitcnt vmcnt(4)
	v_pk_fma_f32 v[36:37], v[16:17], v[20:21], v[30:31] op_sel:[0,0,1] op_sel_hi:[1,1,0] neg_lo:[0,0,1] neg_hi:[0,0,1]
	v_pk_fma_f32 v[16:17], v[16:17], v[20:21], v[30:31] op_sel:[0,0,1] op_sel_hi:[1,0,0]
	s_waitcnt lgkmcnt(0)
	v_pk_mul_f32 v[34:35], v[28:29], v[34:35] op_sel_hi:[1,0]
	s_waitcnt vmcnt(3)
	v_pk_fma_f32 v[20:21], v[18:19], v[22:23], v[32:33] op_sel:[0,0,1] op_sel_hi:[1,1,0] neg_lo:[0,0,1] neg_hi:[0,0,1]
	v_pk_fma_f32 v[18:19], v[18:19], v[22:23], v[32:33] op_sel:[0,0,1] op_sel_hi:[1,0,0]
	v_mov_b32_e32 v37, v17
	s_waitcnt vmcnt(2)
	v_pk_fma_f32 v[22:23], v[28:29], v[24:25], v[34:35] op_sel:[0,0,1] op_sel_hi:[1,1,0] neg_lo:[0,0,1] neg_hi:[0,0,1]
	v_pk_fma_f32 v[24:25], v[28:29], v[24:25], v[34:35] op_sel:[0,0,1] op_sel_hi:[1,0,0]
	v_mov_b32_e32 v21, v19
	v_pk_add_f32 v[16:17], v[36:37], 0 op_sel_hi:[1,0]
	v_mov_b32_e32 v23, v25
	v_pk_add_f32 v[16:17], v[16:17], v[20:21]
	v_pk_add_f32 v[16:17], v[16:17], v[22:23]
	s_waitcnt vmcnt(0)
	v_pk_add_f32 v[16:17], v[26:27], v[16:17] neg_lo:[0,1] neg_hi:[0,1]
	buffer_store_dword v16, off, s[0:3], 0 offset:16
	buffer_store_dword v17, off, s[0:3], 0 offset:20
	s_and_saveexec_b64 s[4:5], vcc
	s_cbranch_execz .LBB69_47
; %bb.46:
	buffer_load_dword v16, off, s[0:3], 0 offset:8
	buffer_load_dword v17, off, s[0:3], 0 offset:12
	s_waitcnt vmcnt(0)
	ds_write_b64 v1, v[16:17]
	buffer_store_dword v14, off, s[0:3], 0 offset:8
	buffer_store_dword v14, off, s[0:3], 0 offset:12
.LBB69_47:
	s_or_b64 exec, exec, s[4:5]
	s_waitcnt lgkmcnt(0)
	; wave barrier
	s_waitcnt lgkmcnt(0)
	buffer_load_dword v25, off, s[0:3], 0 offset:20
	buffer_load_dword v27, off, s[0:3], 0 offset:28
	;; [unrolled: 1-line block ×10, first 2 shown]
	ds_read_b128 v[16:19], v14 offset:64
	ds_read_b128 v[20:23], v14 offset:80
	v_cmp_ne_u32_e32 vcc, 0, v0
	s_waitcnt vmcnt(9)
	v_mov_b32_e32 v14, v25
	s_waitcnt vmcnt(8)
	v_mov_b32_e32 v34, v27
	s_waitcnt lgkmcnt(1)
	v_pk_mul_f32 v[14:15], v[16:17], v[14:15] op_sel_hi:[1,0]
	s_waitcnt vmcnt(7)
	v_mov_b32_e32 v36, v29
	v_pk_mul_f32 v[34:35], v[18:19], v[34:35] op_sel_hi:[1,0]
	s_waitcnt vmcnt(5)
	v_pk_fma_f32 v[40:41], v[16:17], v[24:25], v[14:15] op_sel:[0,0,1] op_sel_hi:[1,1,0] neg_lo:[0,0,1] neg_hi:[0,0,1]
	v_pk_fma_f32 v[14:15], v[16:17], v[24:25], v[14:15] op_sel:[0,0,1] op_sel_hi:[1,0,0]
	v_mov_b32_e32 v38, v31
	s_waitcnt lgkmcnt(0)
	v_pk_mul_f32 v[36:37], v[20:21], v[36:37] op_sel_hi:[1,0]
	s_waitcnt vmcnt(4)
	v_pk_fma_f32 v[16:17], v[18:19], v[26:27], v[34:35] op_sel:[0,0,1] op_sel_hi:[1,1,0] neg_lo:[0,0,1] neg_hi:[0,0,1]
	v_pk_fma_f32 v[18:19], v[18:19], v[26:27], v[34:35] op_sel:[0,0,1] op_sel_hi:[1,0,0]
	v_mov_b32_e32 v41, v15
	v_pk_mul_f32 v[38:39], v[22:23], v[38:39] op_sel_hi:[1,0]
	s_waitcnt vmcnt(3)
	v_pk_fma_f32 v[24:25], v[20:21], v[28:29], v[36:37] op_sel:[0,0,1] op_sel_hi:[1,1,0] neg_lo:[0,0,1] neg_hi:[0,0,1]
	v_pk_fma_f32 v[20:21], v[20:21], v[28:29], v[36:37] op_sel:[0,0,1] op_sel_hi:[1,0,0]
	v_mov_b32_e32 v17, v19
	v_pk_add_f32 v[14:15], v[40:41], 0 op_sel_hi:[1,0]
	s_waitcnt vmcnt(2)
	v_pk_fma_f32 v[26:27], v[22:23], v[30:31], v[38:39] op_sel:[0,0,1] op_sel_hi:[1,1,0] neg_lo:[0,0,1] neg_hi:[0,0,1]
	v_pk_fma_f32 v[22:23], v[22:23], v[30:31], v[38:39] op_sel:[0,0,1] op_sel_hi:[1,0,0]
	v_mov_b32_e32 v25, v21
	v_pk_add_f32 v[14:15], v[14:15], v[16:17]
	v_mov_b32_e32 v27, v23
	v_pk_add_f32 v[14:15], v[14:15], v[24:25]
	v_pk_add_f32 v[14:15], v[14:15], v[26:27]
	s_waitcnt vmcnt(0)
	v_pk_add_f32 v[14:15], v[32:33], v[14:15] neg_lo:[0,1] neg_hi:[0,1]
	buffer_store_dword v14, off, s[0:3], 0 offset:8
	buffer_store_dword v15, off, s[0:3], 0 offset:12
	s_and_saveexec_b64 s[4:5], vcc
	s_cbranch_execz .LBB69_49
; %bb.48:
	buffer_load_dword v14, off, s[0:3], 0
	buffer_load_dword v15, off, s[0:3], 0 offset:4
	v_mov_b32_e32 v0, 0
	buffer_store_dword v0, off, s[0:3], 0
	buffer_store_dword v0, off, s[0:3], 0 offset:4
	s_waitcnt vmcnt(2)
	ds_write_b64 v1, v[14:15]
.LBB69_49:
	s_or_b64 exec, exec, s[4:5]
	s_waitcnt lgkmcnt(0)
	; wave barrier
	s_waitcnt lgkmcnt(0)
	buffer_load_dword v23, off, s[0:3], 0 offset:12
	buffer_load_dword v25, off, s[0:3], 0 offset:20
	;; [unrolled: 1-line block ×10, first 2 shown]
	buffer_load_dword v30, off, s[0:3], 0
	buffer_load_dword v31, off, s[0:3], 0 offset:4
	v_mov_b32_e32 v32, 0
	ds_read2_b64 v[14:17], v32 offset0:7 offset1:8
	ds_read2_b64 v[18:21], v32 offset0:9 offset1:10
	ds_read_b64 v[32:33], v32 offset:88
	s_and_b64 vcc, exec, s[16:17]
	s_waitcnt vmcnt(11)
	v_mov_b32_e32 v34, v23
	s_waitcnt vmcnt(10)
	v_mov_b32_e32 v36, v25
	s_waitcnt lgkmcnt(2)
	v_pk_mul_f32 v[34:35], v[14:15], v[34:35] op_sel_hi:[1,0]
	s_waitcnt vmcnt(9)
	v_mov_b32_e32 v38, v27
	v_pk_mul_f32 v[36:37], v[16:17], v[36:37] op_sel_hi:[1,0]
	s_waitcnt vmcnt(6)
	v_pk_fma_f32 v[44:45], v[14:15], v[22:23], v[34:35] op_sel:[0,0,1] op_sel_hi:[1,1,0] neg_lo:[0,0,1] neg_hi:[0,0,1]
	v_pk_fma_f32 v[14:15], v[14:15], v[22:23], v[34:35] op_sel:[0,0,1] op_sel_hi:[1,0,0]
	v_mov_b32_e32 v40, v1
	s_waitcnt lgkmcnt(1)
	v_pk_mul_f32 v[38:39], v[18:19], v[38:39] op_sel_hi:[1,0]
	s_waitcnt vmcnt(5)
	v_pk_fma_f32 v[22:23], v[16:17], v[24:25], v[36:37] op_sel:[0,0,1] op_sel_hi:[1,1,0] neg_lo:[0,0,1] neg_hi:[0,0,1]
	v_pk_fma_f32 v[16:17], v[16:17], v[24:25], v[36:37] op_sel:[0,0,1] op_sel_hi:[1,0,0]
	v_mov_b32_e32 v45, v15
	v_mov_b32_e32 v42, v29
	v_pk_mul_f32 v[40:41], v[20:21], v[40:41] op_sel_hi:[1,0]
	s_waitcnt vmcnt(4)
	v_pk_fma_f32 v[24:25], v[18:19], v[26:27], v[38:39] op_sel:[0,0,1] op_sel_hi:[1,1,0] neg_lo:[0,0,1] neg_hi:[0,0,1]
	v_pk_fma_f32 v[18:19], v[18:19], v[26:27], v[38:39] op_sel:[0,0,1] op_sel_hi:[1,0,0]
	v_mov_b32_e32 v23, v17
	v_pk_add_f32 v[14:15], v[44:45], 0 op_sel_hi:[1,0]
	s_waitcnt lgkmcnt(0)
	v_pk_mul_f32 v[42:43], v[32:33], v[42:43] op_sel_hi:[1,0]
	s_waitcnt vmcnt(3)
	v_pk_fma_f32 v[26:27], v[20:21], v[0:1], v[40:41] op_sel:[0,0,1] op_sel_hi:[1,1,0] neg_lo:[0,0,1] neg_hi:[0,0,1]
	v_pk_fma_f32 v[20:21], v[20:21], v[0:1], v[40:41] op_sel:[0,0,1] op_sel_hi:[1,0,0]
	v_mov_b32_e32 v25, v19
	v_pk_add_f32 v[14:15], v[14:15], v[22:23]
	s_waitcnt vmcnt(2)
	v_pk_fma_f32 v[34:35], v[32:33], v[28:29], v[42:43] op_sel:[0,0,1] op_sel_hi:[1,1,0] neg_lo:[0,0,1] neg_hi:[0,0,1]
	v_pk_fma_f32 v[28:29], v[32:33], v[28:29], v[42:43] op_sel:[0,0,1] op_sel_hi:[1,0,0]
	v_mov_b32_e32 v27, v21
	v_pk_add_f32 v[14:15], v[14:15], v[24:25]
	v_mov_b32_e32 v35, v29
	v_pk_add_f32 v[14:15], v[14:15], v[26:27]
	v_pk_add_f32 v[14:15], v[14:15], v[34:35]
	s_waitcnt vmcnt(0)
	v_pk_add_f32 v[14:15], v[30:31], v[14:15] neg_lo:[0,1] neg_hi:[0,1]
	buffer_store_dword v14, off, s[0:3], 0
	buffer_store_dword v15, off, s[0:3], 0 offset:4
	s_cbranch_vccz .LBB69_61
; %bb.50:
	v_pk_mov_b32 v[14:15], s[10:11], s[10:11] op_sel:[0,1]
	flat_load_dword v14, v[14:15] offset:16
	s_waitcnt vmcnt(0) lgkmcnt(0)
	v_add_u32_e32 v14, -1, v14
	v_cmp_ne_u32_e32 vcc, 4, v14
	s_and_saveexec_b64 s[4:5], vcc
	s_cbranch_execz .LBB69_52
; %bb.51:
	v_mov_b32_e32 v15, 0
	v_lshl_add_u32 v14, v14, 3, v15
	buffer_load_dword v15, v14, s[0:3], 0 offen offset:4
	buffer_load_dword v16, v14, s[0:3], 0 offen
	s_waitcnt vmcnt(1)
	buffer_store_dword v15, off, s[0:3], 0 offset:36
	s_waitcnt vmcnt(1)
	buffer_store_dword v16, off, s[0:3], 0 offset:32
	buffer_store_dword v1, v14, s[0:3], 0 offen offset:4
	buffer_store_dword v0, v14, s[0:3], 0 offen
.LBB69_52:
	s_or_b64 exec, exec, s[4:5]
	v_pk_mov_b32 v[0:1], s[10:11], s[10:11] op_sel:[0,1]
	flat_load_dword v0, v[0:1] offset:12
	s_waitcnt vmcnt(0) lgkmcnt(0)
	v_add_u32_e32 v0, -1, v0
	v_cmp_ne_u32_e32 vcc, 3, v0
	s_and_saveexec_b64 s[4:5], vcc
	s_cbranch_execz .LBB69_54
; %bb.53:
	v_mov_b32_e32 v1, 0
	v_lshl_add_u32 v0, v0, 3, v1
	buffer_load_dword v1, v0, s[0:3], 0 offen
	buffer_load_dword v14, v0, s[0:3], 0 offen offset:4
	buffer_load_dword v15, off, s[0:3], 0 offset:24
	buffer_load_dword v16, off, s[0:3], 0 offset:28
	s_waitcnt vmcnt(3)
	buffer_store_dword v1, off, s[0:3], 0 offset:24
	s_waitcnt vmcnt(3)
	buffer_store_dword v14, off, s[0:3], 0 offset:28
	s_waitcnt vmcnt(3)
	buffer_store_dword v15, v0, s[0:3], 0 offen
	s_waitcnt vmcnt(3)
	buffer_store_dword v16, v0, s[0:3], 0 offen offset:4
.LBB69_54:
	s_or_b64 exec, exec, s[4:5]
	v_pk_mov_b32 v[0:1], s[10:11], s[10:11] op_sel:[0,1]
	flat_load_dword v0, v[0:1] offset:8
	s_waitcnt vmcnt(0) lgkmcnt(0)
	v_add_u32_e32 v0, -1, v0
	v_cmp_ne_u32_e32 vcc, 2, v0
	s_and_saveexec_b64 s[4:5], vcc
	s_cbranch_execz .LBB69_56
; %bb.55:
	v_mov_b32_e32 v1, 0
	v_lshl_add_u32 v0, v0, 3, v1
	buffer_load_dword v1, v0, s[0:3], 0 offen
	buffer_load_dword v14, v0, s[0:3], 0 offen offset:4
	buffer_load_dword v15, off, s[0:3], 0 offset:20
	buffer_load_dword v16, off, s[0:3], 0 offset:16
	s_waitcnt vmcnt(3)
	buffer_store_dword v1, off, s[0:3], 0 offset:16
	s_waitcnt vmcnt(3)
	buffer_store_dword v14, off, s[0:3], 0 offset:20
	s_waitcnt vmcnt(3)
	buffer_store_dword v15, v0, s[0:3], 0 offen offset:4
	s_waitcnt vmcnt(3)
	buffer_store_dword v16, v0, s[0:3], 0 offen
.LBB69_56:
	s_or_b64 exec, exec, s[4:5]
	v_pk_mov_b32 v[0:1], s[10:11], s[10:11] op_sel:[0,1]
	flat_load_dword v0, v[0:1] offset:4
	s_waitcnt vmcnt(0) lgkmcnt(0)
	v_add_u32_e32 v0, -1, v0
	v_cmp_ne_u32_e32 vcc, 1, v0
	s_and_saveexec_b64 s[4:5], vcc
	s_cbranch_execz .LBB69_58
; %bb.57:
	v_mov_b32_e32 v1, 0
	v_lshl_add_u32 v0, v0, 3, v1
	buffer_load_dword v1, v0, s[0:3], 0 offen
	buffer_load_dword v14, v0, s[0:3], 0 offen offset:4
	buffer_load_dword v15, off, s[0:3], 0 offset:8
	buffer_load_dword v16, off, s[0:3], 0 offset:12
	s_waitcnt vmcnt(3)
	buffer_store_dword v1, off, s[0:3], 0 offset:8
	s_waitcnt vmcnt(3)
	buffer_store_dword v14, off, s[0:3], 0 offset:12
	s_waitcnt vmcnt(3)
	buffer_store_dword v15, v0, s[0:3], 0 offen
	s_waitcnt vmcnt(3)
	buffer_store_dword v16, v0, s[0:3], 0 offen offset:4
.LBB69_58:
	s_or_b64 exec, exec, s[4:5]
	v_pk_mov_b32 v[0:1], s[10:11], s[10:11] op_sel:[0,1]
	flat_load_dword v0, v[0:1]
	s_nop 0
	buffer_load_dword v14, off, s[0:3], 0
	buffer_load_dword v15, off, s[0:3], 0 offset:4
	s_waitcnt vmcnt(0) lgkmcnt(0)
	v_add_u32_e32 v0, -1, v0
	v_cmp_ne_u32_e32 vcc, 0, v0
	s_and_saveexec_b64 s[4:5], vcc
	s_cbranch_execz .LBB69_60
; %bb.59:
	v_mov_b32_e32 v1, 0
	v_lshl_add_u32 v0, v0, 3, v1
	buffer_load_dword v1, v0, s[0:3], 0 offen offset:4
	buffer_load_dword v16, v0, s[0:3], 0 offen
	s_waitcnt vmcnt(1)
	buffer_store_dword v1, off, s[0:3], 0 offset:4
	s_waitcnt vmcnt(1)
	buffer_store_dword v16, off, s[0:3], 0
	buffer_store_dword v15, v0, s[0:3], 0 offen offset:4
	buffer_store_dword v14, v0, s[0:3], 0 offen
	buffer_load_dword v14, off, s[0:3], 0
	s_nop 0
	buffer_load_dword v15, off, s[0:3], 0 offset:4
.LBB69_60:
	s_or_b64 exec, exec, s[4:5]
.LBB69_61:
	buffer_load_dword v0, off, s[0:3], 0 offset:8
	buffer_load_dword v1, off, s[0:3], 0 offset:12
	;; [unrolled: 1-line block ×10, first 2 shown]
	s_waitcnt vmcnt(10)
	global_store_dwordx2 v[2:3], v[14:15], off
	s_waitcnt vmcnt(9)
	global_store_dwordx2 v[4:5], v[0:1], off
	;; [unrolled: 2-line block ×6, first 2 shown]
	s_endpgm
	.section	.rodata,"a",@progbits
	.p2align	6, 0x0
	.amdhsa_kernel _ZN9rocsolver6v33100L18getri_kernel_smallILi6E19rocblas_complex_numIfEPKPS3_EEvT1_iilPiilS8_bb
		.amdhsa_group_segment_fixed_size 100
		.amdhsa_private_segment_fixed_size 64
		.amdhsa_kernarg_size 60
		.amdhsa_user_sgpr_count 8
		.amdhsa_user_sgpr_private_segment_buffer 1
		.amdhsa_user_sgpr_dispatch_ptr 0
		.amdhsa_user_sgpr_queue_ptr 0
		.amdhsa_user_sgpr_kernarg_segment_ptr 1
		.amdhsa_user_sgpr_dispatch_id 0
		.amdhsa_user_sgpr_flat_scratch_init 1
		.amdhsa_user_sgpr_kernarg_preload_length 0
		.amdhsa_user_sgpr_kernarg_preload_offset 0
		.amdhsa_user_sgpr_private_segment_size 0
		.amdhsa_uses_dynamic_stack 0
		.amdhsa_system_sgpr_private_segment_wavefront_offset 1
		.amdhsa_system_sgpr_workgroup_id_x 1
		.amdhsa_system_sgpr_workgroup_id_y 0
		.amdhsa_system_sgpr_workgroup_id_z 0
		.amdhsa_system_sgpr_workgroup_info 0
		.amdhsa_system_vgpr_workitem_id 0
		.amdhsa_next_free_vgpr 46
		.amdhsa_next_free_sgpr 22
		.amdhsa_accum_offset 48
		.amdhsa_reserve_vcc 1
		.amdhsa_reserve_flat_scratch 1
		.amdhsa_float_round_mode_32 0
		.amdhsa_float_round_mode_16_64 0
		.amdhsa_float_denorm_mode_32 3
		.amdhsa_float_denorm_mode_16_64 3
		.amdhsa_dx10_clamp 1
		.amdhsa_ieee_mode 1
		.amdhsa_fp16_overflow 0
		.amdhsa_tg_split 0
		.amdhsa_exception_fp_ieee_invalid_op 0
		.amdhsa_exception_fp_denorm_src 0
		.amdhsa_exception_fp_ieee_div_zero 0
		.amdhsa_exception_fp_ieee_overflow 0
		.amdhsa_exception_fp_ieee_underflow 0
		.amdhsa_exception_fp_ieee_inexact 0
		.amdhsa_exception_int_div_zero 0
	.end_amdhsa_kernel
	.section	.text._ZN9rocsolver6v33100L18getri_kernel_smallILi6E19rocblas_complex_numIfEPKPS3_EEvT1_iilPiilS8_bb,"axG",@progbits,_ZN9rocsolver6v33100L18getri_kernel_smallILi6E19rocblas_complex_numIfEPKPS3_EEvT1_iilPiilS8_bb,comdat
.Lfunc_end69:
	.size	_ZN9rocsolver6v33100L18getri_kernel_smallILi6E19rocblas_complex_numIfEPKPS3_EEvT1_iilPiilS8_bb, .Lfunc_end69-_ZN9rocsolver6v33100L18getri_kernel_smallILi6E19rocblas_complex_numIfEPKPS3_EEvT1_iilPiilS8_bb
                                        ; -- End function
	.section	.AMDGPU.csdata,"",@progbits
; Kernel info:
; codeLenInByte = 4828
; NumSgprs: 28
; NumVgprs: 46
; NumAgprs: 0
; TotalNumVgprs: 46
; ScratchSize: 64
; MemoryBound: 0
; FloatMode: 240
; IeeeMode: 1
; LDSByteSize: 100 bytes/workgroup (compile time only)
; SGPRBlocks: 3
; VGPRBlocks: 5
; NumSGPRsForWavesPerEU: 28
; NumVGPRsForWavesPerEU: 46
; AccumOffset: 48
; Occupancy: 8
; WaveLimiterHint : 1
; COMPUTE_PGM_RSRC2:SCRATCH_EN: 1
; COMPUTE_PGM_RSRC2:USER_SGPR: 8
; COMPUTE_PGM_RSRC2:TRAP_HANDLER: 0
; COMPUTE_PGM_RSRC2:TGID_X_EN: 1
; COMPUTE_PGM_RSRC2:TGID_Y_EN: 0
; COMPUTE_PGM_RSRC2:TGID_Z_EN: 0
; COMPUTE_PGM_RSRC2:TIDIG_COMP_CNT: 0
; COMPUTE_PGM_RSRC3_GFX90A:ACCUM_OFFSET: 11
; COMPUTE_PGM_RSRC3_GFX90A:TG_SPLIT: 0
	.section	.text._ZN9rocsolver6v33100L18getri_kernel_smallILi7E19rocblas_complex_numIfEPKPS3_EEvT1_iilPiilS8_bb,"axG",@progbits,_ZN9rocsolver6v33100L18getri_kernel_smallILi7E19rocblas_complex_numIfEPKPS3_EEvT1_iilPiilS8_bb,comdat
	.globl	_ZN9rocsolver6v33100L18getri_kernel_smallILi7E19rocblas_complex_numIfEPKPS3_EEvT1_iilPiilS8_bb ; -- Begin function _ZN9rocsolver6v33100L18getri_kernel_smallILi7E19rocblas_complex_numIfEPKPS3_EEvT1_iilPiilS8_bb
	.p2align	8
	.type	_ZN9rocsolver6v33100L18getri_kernel_smallILi7E19rocblas_complex_numIfEPKPS3_EEvT1_iilPiilS8_bb,@function
_ZN9rocsolver6v33100L18getri_kernel_smallILi7E19rocblas_complex_numIfEPKPS3_EEvT1_iilPiilS8_bb: ; @_ZN9rocsolver6v33100L18getri_kernel_smallILi7E19rocblas_complex_numIfEPKPS3_EEvT1_iilPiilS8_bb
; %bb.0:
	s_add_u32 flat_scratch_lo, s6, s9
	s_addc_u32 flat_scratch_hi, s7, 0
	s_add_u32 s0, s0, s9
	s_addc_u32 s1, s1, 0
	v_cmp_gt_u32_e32 vcc, 7, v0
	s_and_saveexec_b64 s[6:7], vcc
	s_cbranch_execz .LBB70_42
; %bb.1:
	s_load_dword s18, s[4:5], 0x38
	s_load_dwordx2 s[6:7], s[4:5], 0x0
	s_load_dwordx4 s[12:15], s[4:5], 0x28
	s_waitcnt lgkmcnt(0)
	s_bitcmp1_b32 s18, 8
	s_cselect_b64 s[16:17], -1, 0
	s_ashr_i32 s9, s8, 31
	s_lshl_b64 s[10:11], s[8:9], 3
	s_add_u32 s6, s6, s10
	s_addc_u32 s7, s7, s11
	s_load_dwordx2 s[6:7], s[6:7], 0x0
	s_bfe_u32 s10, s18, 0x10008
	s_cmp_eq_u32 s10, 0
                                        ; implicit-def: $sgpr10_sgpr11
	s_cbranch_scc1 .LBB70_3
; %bb.2:
	s_load_dword s10, s[4:5], 0x20
	s_load_dwordx2 s[20:21], s[4:5], 0x18
	s_mul_i32 s11, s8, s13
	s_mul_hi_u32 s13, s8, s12
	s_add_i32 s13, s13, s11
	s_mul_i32 s19, s9, s12
	s_add_i32 s13, s13, s19
	s_mul_i32 s12, s8, s12
	s_waitcnt lgkmcnt(0)
	s_ashr_i32 s11, s10, 31
	s_lshl_b64 s[12:13], s[12:13], 2
	s_add_u32 s12, s20, s12
	s_addc_u32 s13, s21, s13
	s_lshl_b64 s[10:11], s[10:11], 2
	s_add_u32 s10, s12, s10
	s_addc_u32 s11, s13, s11
.LBB70_3:
	s_load_dwordx2 s[4:5], s[4:5], 0x8
	v_lshlrev_b32_e32 v20, 3, v0
	s_waitcnt lgkmcnt(0)
	s_ashr_i32 s13, s4, 31
	s_mov_b32 s12, s4
	s_lshl_b64 s[12:13], s[12:13], 3
	s_add_u32 s6, s6, s12
	s_addc_u32 s7, s7, s13
	v_mov_b32_e32 v1, s7
	v_add_co_u32_e32 v2, vcc, s6, v20
	s_ashr_i32 s13, s5, 31
	s_mov_b32 s12, s5
	s_add_i32 s4, s5, s5
	v_addc_co_u32_e32 v3, vcc, 0, v1, vcc
	s_lshl_b64 s[12:13], s[12:13], 3
	v_add_u32_e32 v8, s4, v0
	v_mov_b32_e32 v1, s13
	v_add_co_u32_e32 v4, vcc, s12, v2
	v_ashrrev_i32_e32 v9, 31, v8
	v_addc_co_u32_e32 v5, vcc, v3, v1, vcc
	v_lshlrev_b64 v[6:7], 3, v[8:9]
	v_add_u32_e32 v10, s5, v8
	v_mov_b32_e32 v1, s7
	v_add_co_u32_e32 v6, vcc, s6, v6
	v_ashrrev_i32_e32 v11, 31, v10
	v_addc_co_u32_e32 v7, vcc, v1, v7, vcc
	v_lshlrev_b64 v[8:9], 3, v[10:11]
	v_add_u32_e32 v12, s5, v10
	v_add_co_u32_e32 v8, vcc, s6, v8
	v_ashrrev_i32_e32 v13, 31, v12
	v_addc_co_u32_e32 v9, vcc, v1, v9, vcc
	v_lshlrev_b64 v[10:11], 3, v[12:13]
	v_add_co_u32_e32 v10, vcc, s6, v10
	global_load_dwordx2 v[16:17], v20, s[6:7]
	v_addc_co_u32_e32 v11, vcc, v1, v11, vcc
	global_load_dwordx2 v[18:19], v[4:5], off
	global_load_dwordx2 v[22:23], v[6:7], off
	;; [unrolled: 1-line block ×4, first 2 shown]
	v_add_u32_e32 v14, s5, v12
	v_ashrrev_i32_e32 v15, 31, v14
	v_lshlrev_b64 v[12:13], 3, v[14:15]
	v_add_u32_e32 v14, s5, v14
	v_add_co_u32_e32 v12, vcc, s6, v12
	v_ashrrev_i32_e32 v15, 31, v14
	v_addc_co_u32_e32 v13, vcc, v1, v13, vcc
	v_lshlrev_b64 v[14:15], 3, v[14:15]
	global_load_dwordx2 v[28:29], v[12:13], off
	v_add_co_u32_e32 v14, vcc, s6, v14
	v_addc_co_u32_e32 v15, vcc, v1, v15, vcc
	global_load_dwordx2 v[30:31], v[14:15], off
	s_bitcmp0_b32 s18, 0
	s_mov_b64 s[6:7], -1
	s_waitcnt vmcnt(6)
	buffer_store_dword v17, off, s[0:3], 0 offset:4
	buffer_store_dword v16, off, s[0:3], 0
	s_waitcnt vmcnt(7)
	buffer_store_dword v19, off, s[0:3], 0 offset:12
	buffer_store_dword v18, off, s[0:3], 0 offset:8
	s_waitcnt vmcnt(8)
	buffer_store_dword v23, off, s[0:3], 0 offset:20
	buffer_store_dword v22, off, s[0:3], 0 offset:16
	;; [unrolled: 3-line block ×6, first 2 shown]
	s_cbranch_scc1 .LBB70_40
; %bb.4:
	v_cmp_eq_u32_e64 s[4:5], 0, v0
	s_and_saveexec_b64 s[6:7], s[4:5]
	s_cbranch_execz .LBB70_6
; %bb.5:
	v_mov_b32_e32 v1, 0
	ds_write_b32 v1, v1 offset:56
.LBB70_6:
	s_or_b64 exec, exec, s[6:7]
	v_mov_b32_e32 v1, 0
	v_lshl_add_u32 v21, v0, 3, v1
	s_waitcnt lgkmcnt(0)
	; wave barrier
	s_waitcnt lgkmcnt(0)
	buffer_load_dword v1, v21, s[0:3], 0 offen
	buffer_load_dword v16, v21, s[0:3], 0 offen offset:4
	s_waitcnt vmcnt(1)
	v_cmp_eq_f32_e32 vcc, 0, v1
	s_waitcnt vmcnt(0)
	v_cmp_eq_f32_e64 s[6:7], 0, v16
	s_and_b64 s[6:7], vcc, s[6:7]
	s_and_saveexec_b64 s[12:13], s[6:7]
	s_cbranch_execz .LBB70_10
; %bb.7:
	v_mov_b32_e32 v1, 0
	ds_read_b32 v17, v1 offset:56
	v_add_u32_e32 v16, 1, v0
	s_waitcnt lgkmcnt(0)
	v_readfirstlane_b32 s6, v17
	s_cmp_eq_u32 s6, 0
	s_cselect_b64 s[18:19], -1, 0
	v_cmp_gt_i32_e32 vcc, s6, v16
	s_or_b64 s[18:19], s[18:19], vcc
	s_and_b64 exec, exec, s[18:19]
	s_cbranch_execz .LBB70_10
; %bb.8:
	s_mov_b64 s[18:19], 0
	v_mov_b32_e32 v17, s6
.LBB70_9:                               ; =>This Inner Loop Header: Depth=1
	ds_cmpst_rtn_b32 v17, v1, v17, v16 offset:56
	s_waitcnt lgkmcnt(0)
	v_cmp_ne_u32_e32 vcc, 0, v17
	v_cmp_le_i32_e64 s[6:7], v17, v16
	s_and_b64 s[6:7], vcc, s[6:7]
	s_and_b64 s[6:7], exec, s[6:7]
	s_or_b64 s[18:19], s[6:7], s[18:19]
	s_andn2_b64 exec, exec, s[18:19]
	s_cbranch_execnz .LBB70_9
.LBB70_10:
	s_or_b64 exec, exec, s[12:13]
	v_mov_b32_e32 v16, 0
	s_waitcnt lgkmcnt(0)
	; wave barrier
	ds_read_b32 v1, v16 offset:56
	s_and_saveexec_b64 s[6:7], s[4:5]
	s_cbranch_execz .LBB70_12
; %bb.11:
	s_lshl_b64 s[12:13], s[8:9], 2
	s_add_u32 s12, s14, s12
	s_addc_u32 s13, s15, s13
	s_waitcnt lgkmcnt(0)
	global_store_dword v16, v1, s[12:13]
.LBB70_12:
	s_or_b64 exec, exec, s[6:7]
	s_waitcnt lgkmcnt(0)
	v_cmp_ne_u32_e32 vcc, 0, v1
	s_mov_b64 s[6:7], 0
	s_cbranch_vccnz .LBB70_40
; %bb.13:
	buffer_load_dword v22, v21, s[0:3], 0 offen offset:4
	buffer_load_dword v17, v21, s[0:3], 0 offen
	s_waitcnt vmcnt(1)
	v_cmp_gt_f32_e32 vcc, 0, v22
	v_cndmask_b32_e64 v1, v22, -v22, vcc
	s_waitcnt vmcnt(0)
	v_cmp_gt_f32_e32 vcc, 0, v17
	v_cndmask_b32_e64 v16, v17, -v17, vcc
	v_cmp_ngt_f32_e32 vcc, v16, v1
                                        ; implicit-def: $vgpr1
                                        ; implicit-def: $vgpr16
	s_and_saveexec_b64 s[6:7], vcc
	s_xor_b64 s[6:7], exec, s[6:7]
                                        ; implicit-def: $vgpr18_vgpr19
	s_cbranch_execz .LBB70_15
; %bb.14:
	v_div_scale_f32 v1, s[12:13], v22, v22, v17
	v_rcp_f32_e32 v16, v1
	v_div_scale_f32 v18, vcc, v17, v22, v17
	v_fma_f32 v19, -v1, v16, 1.0
	v_fmac_f32_e32 v16, v19, v16
	v_mul_f32_e32 v19, v18, v16
	v_fma_f32 v23, -v1, v19, v18
	v_fmac_f32_e32 v19, v23, v16
	v_fma_f32 v1, -v1, v19, v18
	v_div_fmas_f32 v1, v1, v16, v19
	v_div_fixup_f32 v16, v1, v22, v17
	v_fmac_f32_e32 v22, v17, v16
	v_div_scale_f32 v1, s[12:13], v22, v22, -1.0
	v_rcp_f32_e32 v17, v1
	v_fma_f32 v18, -v1, v17, 1.0
	v_fmac_f32_e32 v17, v18, v17
	v_div_scale_f32 v18, vcc, -1.0, v22, -1.0
	v_mul_f32_e32 v19, v18, v17
	v_fma_f32 v23, -v1, v19, v18
	v_fmac_f32_e32 v19, v23, v17
	v_fma_f32 v1, -v1, v19, v18
	v_div_fmas_f32 v1, v1, v17, v19
	v_div_fixup_f32 v1, v1, v22, -1.0
	v_mul_f32_e32 v16, v16, v1
	v_xor_b32_e32 v18, 0x80000000, v16
                                        ; implicit-def: $vgpr17
                                        ; implicit-def: $vgpr22
.LBB70_15:
	s_andn2_saveexec_b64 s[6:7], s[6:7]
	s_cbranch_execz .LBB70_17
; %bb.16:
	v_div_scale_f32 v1, s[12:13], v17, v17, v22
	v_rcp_f32_e32 v16, v1
	v_div_scale_f32 v18, vcc, v22, v17, v22
	v_fma_f32 v19, -v1, v16, 1.0
	v_fmac_f32_e32 v16, v19, v16
	v_mul_f32_e32 v19, v18, v16
	v_fma_f32 v23, -v1, v19, v18
	v_fmac_f32_e32 v19, v23, v16
	v_fma_f32 v1, -v1, v19, v18
	v_div_fmas_f32 v1, v1, v16, v19
	v_div_fixup_f32 v1, v1, v17, v22
	v_fmac_f32_e32 v17, v22, v1
	v_div_scale_f32 v16, s[12:13], v17, v17, 1.0
	v_rcp_f32_e32 v18, v16
	v_fma_f32 v19, -v16, v18, 1.0
	v_fmac_f32_e32 v18, v19, v18
	v_div_scale_f32 v19, vcc, 1.0, v17, 1.0
	v_mul_f32_e32 v22, v19, v18
	v_fma_f32 v23, -v16, v22, v19
	v_fmac_f32_e32 v22, v23, v18
	v_fma_f32 v16, -v16, v22, v19
	v_div_fmas_f32 v16, v16, v18, v22
	v_div_fixup_f32 v18, v16, v17, 1.0
	v_xor_b32_e32 v16, 0x80000000, v18
	v_mul_f32_e64 v1, v1, -v18
.LBB70_17:
	s_or_b64 exec, exec, s[6:7]
	buffer_store_dword v1, v21, s[0:3], 0 offen offset:4
	buffer_store_dword v18, v21, s[0:3], 0 offen
	buffer_load_dword v19, off, s[0:3], 0 offset:12
	s_nop 0
	buffer_load_dword v18, off, s[0:3], 0 offset:8
	v_xor_b32_e32 v17, 0x80000000, v1
	v_add_u32_e32 v1, 64, v20
	s_waitcnt vmcnt(0)
	ds_write2_b64 v20, v[16:17], v[18:19] offset1:8
	s_waitcnt lgkmcnt(0)
	; wave barrier
	s_waitcnt lgkmcnt(0)
	s_and_saveexec_b64 s[6:7], s[4:5]
	s_cbranch_execz .LBB70_19
; %bb.18:
	buffer_load_dword v22, v21, s[0:3], 0 offen offset:4
	buffer_load_dword v23, v21, s[0:3], 0 offen
	ds_read_b64 v[16:17], v1
	v_mov_b32_e32 v18, 0
	ds_read_b64 v[18:19], v18 offset:8
	s_waitcnt vmcnt(1) lgkmcnt(1)
	v_mul_f32_e32 v24, v17, v22
	v_mul_f32_e32 v22, v16, v22
	s_waitcnt vmcnt(0)
	v_fmac_f32_e32 v22, v17, v23
	v_fma_f32 v16, v16, v23, -v24
	v_add_f32_e32 v17, 0, v22
	v_add_f32_e32 v16, 0, v16
	s_waitcnt lgkmcnt(0)
	v_mul_f32_e32 v22, v17, v19
	v_mul_f32_e32 v19, v16, v19
	v_fma_f32 v16, v16, v18, -v22
	v_fmac_f32_e32 v19, v17, v18
	buffer_store_dword v16, off, s[0:3], 0 offset:8
	buffer_store_dword v19, off, s[0:3], 0 offset:12
.LBB70_19:
	s_or_b64 exec, exec, s[6:7]
	s_waitcnt lgkmcnt(0)
	; wave barrier
	buffer_load_dword v16, off, s[0:3], 0 offset:16
	buffer_load_dword v17, off, s[0:3], 0 offset:20
	v_cmp_gt_u32_e32 vcc, 2, v0
	s_waitcnt vmcnt(0)
	ds_write_b64 v1, v[16:17]
	s_waitcnt lgkmcnt(0)
	; wave barrier
	s_waitcnt lgkmcnt(0)
	s_and_saveexec_b64 s[6:7], vcc
	s_cbranch_execz .LBB70_23
; %bb.20:
	buffer_load_dword v18, v21, s[0:3], 0 offen offset:4
	buffer_load_dword v19, v21, s[0:3], 0 offen
	ds_read_b64 v[16:17], v1
	s_waitcnt vmcnt(1) lgkmcnt(0)
	v_mul_f32_e32 v21, v17, v18
	v_mul_f32_e32 v18, v16, v18
	s_waitcnt vmcnt(0)
	v_fma_f32 v16, v16, v19, -v21
	v_fmac_f32_e32 v18, v17, v19
	v_add_f32_e32 v17, 0, v16
	v_add_f32_e32 v16, 0, v18
	s_and_saveexec_b64 s[12:13], s[4:5]
	s_cbranch_execz .LBB70_22
; %bb.21:
	buffer_load_dword v21, off, s[0:3], 0 offset:12
	buffer_load_dword v22, off, s[0:3], 0 offset:8
	v_mov_b32_e32 v18, 0
	ds_read_b64 v[18:19], v18 offset:72
	s_waitcnt vmcnt(1) lgkmcnt(0)
	v_mul_f32_e32 v23, v18, v21
	v_mul_f32_e32 v21, v19, v21
	s_waitcnt vmcnt(0)
	v_fmac_f32_e32 v23, v19, v22
	v_fma_f32 v18, v18, v22, -v21
	v_add_f32_e32 v16, v16, v23
	v_add_f32_e32 v17, v17, v18
.LBB70_22:
	s_or_b64 exec, exec, s[12:13]
	v_mov_b32_e32 v18, 0
	ds_read_b64 v[18:19], v18 offset:16
	s_waitcnt lgkmcnt(0)
	v_mul_f32_e32 v21, v16, v19
	v_mul_f32_e32 v19, v17, v19
	v_fma_f32 v17, v17, v18, -v21
	v_fmac_f32_e32 v19, v16, v18
	buffer_store_dword v17, off, s[0:3], 0 offset:16
	buffer_store_dword v19, off, s[0:3], 0 offset:20
.LBB70_23:
	s_or_b64 exec, exec, s[6:7]
	s_waitcnt lgkmcnt(0)
	; wave barrier
	buffer_load_dword v16, off, s[0:3], 0 offset:24
	buffer_load_dword v17, off, s[0:3], 0 offset:28
	v_cmp_gt_u32_e32 vcc, 3, v0
	s_waitcnt vmcnt(0)
	ds_write_b64 v1, v[16:17]
	v_add_u32_e32 v16, -1, v0
	s_waitcnt lgkmcnt(0)
	; wave barrier
	s_waitcnt lgkmcnt(0)
	s_and_saveexec_b64 s[4:5], vcc
	s_cbranch_execz .LBB70_27
; %bb.24:
	v_add_u32_e32 v18, -1, v0
	v_add_u32_e32 v19, 64, v20
	v_add_u32_e32 v21, 0, v20
	s_mov_b64 s[6:7], 0
	v_mov_b32_e32 v17, 0
	v_mov_b32_e32 v22, 0
.LBB70_25:                              ; =>This Inner Loop Header: Depth=1
	buffer_load_dword v23, v21, s[0:3], 0 offen offset:4
	buffer_load_dword v26, v21, s[0:3], 0 offen
	ds_read_b64 v[24:25], v19
	v_add_u32_e32 v18, 1, v18
	v_cmp_lt_u32_e32 vcc, 1, v18
	v_add_u32_e32 v19, 8, v19
	v_add_u32_e32 v21, 8, v21
	s_or_b64 s[6:7], vcc, s[6:7]
	s_waitcnt vmcnt(1) lgkmcnt(0)
	v_mul_f32_e32 v27, v25, v23
	v_mul_f32_e32 v23, v24, v23
	s_waitcnt vmcnt(0)
	v_fma_f32 v24, v24, v26, -v27
	v_fmac_f32_e32 v23, v25, v26
	v_add_f32_e32 v22, v22, v24
	v_add_f32_e32 v17, v17, v23
	s_andn2_b64 exec, exec, s[6:7]
	s_cbranch_execnz .LBB70_25
; %bb.26:
	s_or_b64 exec, exec, s[6:7]
	v_mov_b32_e32 v18, 0
	ds_read_b64 v[18:19], v18 offset:24
	s_waitcnt lgkmcnt(0)
	v_mul_f32_e32 v21, v17, v19
	v_mul_f32_e32 v19, v22, v19
	v_fma_f32 v21, v22, v18, -v21
	v_fmac_f32_e32 v19, v17, v18
	buffer_store_dword v21, off, s[0:3], 0 offset:24
	buffer_store_dword v19, off, s[0:3], 0 offset:28
.LBB70_27:
	s_or_b64 exec, exec, s[4:5]
	s_waitcnt lgkmcnt(0)
	; wave barrier
	buffer_load_dword v18, off, s[0:3], 0 offset:32
	buffer_load_dword v19, off, s[0:3], 0 offset:36
	v_cmp_gt_u32_e32 vcc, 4, v0
	s_waitcnt vmcnt(0)
	ds_write_b64 v1, v[18:19]
	s_waitcnt lgkmcnt(0)
	; wave barrier
	s_waitcnt lgkmcnt(0)
	s_and_saveexec_b64 s[4:5], vcc
	s_cbranch_execz .LBB70_31
; %bb.28:
	v_add_u32_e32 v18, -1, v0
	v_add_u32_e32 v19, 64, v20
	v_add_u32_e32 v21, 0, v20
	s_mov_b64 s[6:7], 0
	v_mov_b32_e32 v17, 0
	v_mov_b32_e32 v22, 0
.LBB70_29:                              ; =>This Inner Loop Header: Depth=1
	buffer_load_dword v23, v21, s[0:3], 0 offen offset:4
	buffer_load_dword v26, v21, s[0:3], 0 offen
	ds_read_b64 v[24:25], v19
	v_add_u32_e32 v18, 1, v18
	v_cmp_lt_u32_e32 vcc, 2, v18
	v_add_u32_e32 v19, 8, v19
	v_add_u32_e32 v21, 8, v21
	s_or_b64 s[6:7], vcc, s[6:7]
	s_waitcnt vmcnt(1) lgkmcnt(0)
	v_mul_f32_e32 v27, v25, v23
	v_mul_f32_e32 v23, v24, v23
	s_waitcnt vmcnt(0)
	v_fma_f32 v24, v24, v26, -v27
	v_fmac_f32_e32 v23, v25, v26
	v_add_f32_e32 v22, v22, v24
	v_add_f32_e32 v17, v17, v23
	s_andn2_b64 exec, exec, s[6:7]
	s_cbranch_execnz .LBB70_29
; %bb.30:
	s_or_b64 exec, exec, s[6:7]
	v_mov_b32_e32 v18, 0
	ds_read_b64 v[18:19], v18 offset:32
	s_waitcnt lgkmcnt(0)
	v_mul_f32_e32 v21, v17, v19
	v_mul_f32_e32 v19, v22, v19
	v_fma_f32 v21, v22, v18, -v21
	v_fmac_f32_e32 v19, v17, v18
	buffer_store_dword v21, off, s[0:3], 0 offset:32
	buffer_store_dword v19, off, s[0:3], 0 offset:36
.LBB70_31:
	s_or_b64 exec, exec, s[4:5]
	s_waitcnt lgkmcnt(0)
	; wave barrier
	buffer_load_dword v18, off, s[0:3], 0 offset:40
	buffer_load_dword v19, off, s[0:3], 0 offset:44
	v_cmp_gt_u32_e32 vcc, 5, v0
	s_waitcnt vmcnt(0)
	ds_write_b64 v1, v[18:19]
	s_waitcnt lgkmcnt(0)
	; wave barrier
	s_waitcnt lgkmcnt(0)
	s_and_saveexec_b64 s[4:5], vcc
	s_cbranch_execz .LBB70_35
; %bb.32:
	v_add_u32_e32 v18, -1, v0
	v_add_u32_e32 v19, 64, v20
	v_add_u32_e32 v21, 0, v20
	s_mov_b64 s[6:7], 0
	v_mov_b32_e32 v17, 0
	v_mov_b32_e32 v22, 0
.LBB70_33:                              ; =>This Inner Loop Header: Depth=1
	buffer_load_dword v23, v21, s[0:3], 0 offen offset:4
	buffer_load_dword v26, v21, s[0:3], 0 offen
	ds_read_b64 v[24:25], v19
	v_add_u32_e32 v18, 1, v18
	v_cmp_lt_u32_e32 vcc, 3, v18
	v_add_u32_e32 v19, 8, v19
	v_add_u32_e32 v21, 8, v21
	s_or_b64 s[6:7], vcc, s[6:7]
	s_waitcnt vmcnt(1) lgkmcnt(0)
	v_mul_f32_e32 v27, v25, v23
	v_mul_f32_e32 v23, v24, v23
	s_waitcnt vmcnt(0)
	v_fma_f32 v24, v24, v26, -v27
	v_fmac_f32_e32 v23, v25, v26
	v_add_f32_e32 v22, v22, v24
	v_add_f32_e32 v17, v17, v23
	s_andn2_b64 exec, exec, s[6:7]
	s_cbranch_execnz .LBB70_33
; %bb.34:
	s_or_b64 exec, exec, s[6:7]
	v_mov_b32_e32 v18, 0
	ds_read_b64 v[18:19], v18 offset:40
	s_waitcnt lgkmcnt(0)
	v_mul_f32_e32 v21, v17, v19
	v_mul_f32_e32 v19, v22, v19
	v_fma_f32 v21, v22, v18, -v21
	v_fmac_f32_e32 v19, v17, v18
	buffer_store_dword v21, off, s[0:3], 0 offset:40
	buffer_store_dword v19, off, s[0:3], 0 offset:44
.LBB70_35:
	s_or_b64 exec, exec, s[4:5]
	s_waitcnt lgkmcnt(0)
	; wave barrier
	buffer_load_dword v18, off, s[0:3], 0 offset:48
	buffer_load_dword v19, off, s[0:3], 0 offset:52
	v_cmp_ne_u32_e32 vcc, 6, v0
	s_waitcnt vmcnt(0)
	ds_write_b64 v1, v[18:19]
	s_waitcnt lgkmcnt(0)
	; wave barrier
	s_waitcnt lgkmcnt(0)
	s_and_saveexec_b64 s[4:5], vcc
	s_cbranch_execz .LBB70_39
; %bb.36:
	v_add_u32_e32 v18, 0, v20
	s_mov_b64 s[6:7], 0
	v_mov_b32_e32 v17, 0
	v_mov_b32_e32 v19, 0
.LBB70_37:                              ; =>This Inner Loop Header: Depth=1
	buffer_load_dword v22, v18, s[0:3], 0 offen offset:4
	buffer_load_dword v23, v18, s[0:3], 0 offen
	ds_read_b64 v[20:21], v1
	v_add_u32_e32 v16, 1, v16
	v_cmp_lt_u32_e32 vcc, 4, v16
	v_add_u32_e32 v1, 8, v1
	v_add_u32_e32 v18, 8, v18
	s_or_b64 s[6:7], vcc, s[6:7]
	s_waitcnt vmcnt(1) lgkmcnt(0)
	v_mul_f32_e32 v24, v21, v22
	v_mul_f32_e32 v22, v20, v22
	s_waitcnt vmcnt(0)
	v_fma_f32 v20, v20, v23, -v24
	v_fmac_f32_e32 v22, v21, v23
	v_add_f32_e32 v19, v19, v20
	v_add_f32_e32 v17, v17, v22
	s_andn2_b64 exec, exec, s[6:7]
	s_cbranch_execnz .LBB70_37
; %bb.38:
	s_or_b64 exec, exec, s[6:7]
	v_mov_b32_e32 v1, 0
	ds_read_b64 v[20:21], v1 offset:48
	s_waitcnt lgkmcnt(0)
	v_mul_f32_e32 v1, v17, v21
	v_mul_f32_e32 v16, v19, v21
	v_fma_f32 v1, v19, v20, -v1
	v_fmac_f32_e32 v16, v17, v20
	buffer_store_dword v1, off, s[0:3], 0 offset:48
	buffer_store_dword v16, off, s[0:3], 0 offset:52
.LBB70_39:
	s_or_b64 exec, exec, s[4:5]
	s_mov_b64 s[6:7], -1
	s_waitcnt lgkmcnt(0)
	; wave barrier
.LBB70_40:
	s_and_b64 vcc, exec, s[6:7]
	s_cbranch_vccz .LBB70_42
; %bb.41:
	s_lshl_b64 s[4:5], s[8:9], 2
	s_add_u32 s4, s14, s4
	s_addc_u32 s5, s15, s5
	v_mov_b32_e32 v1, 0
	global_load_dword v1, v1, s[4:5]
	s_waitcnt vmcnt(0)
	v_cmp_ne_u32_e32 vcc, 0, v1
	s_cbranch_vccz .LBB70_43
.LBB70_42:
	s_endpgm
.LBB70_43:
	v_lshl_add_u32 v1, v0, 3, 64
	v_cmp_eq_u32_e32 vcc, 6, v0
	s_and_saveexec_b64 s[4:5], vcc
	s_cbranch_execz .LBB70_45
; %bb.44:
	buffer_load_dword v16, off, s[0:3], 0 offset:40
	buffer_load_dword v17, off, s[0:3], 0 offset:44
	v_mov_b32_e32 v18, 0
	buffer_store_dword v18, off, s[0:3], 0 offset:40
	buffer_store_dword v18, off, s[0:3], 0 offset:44
	s_waitcnt vmcnt(2)
	ds_write_b64 v1, v[16:17]
.LBB70_45:
	s_or_b64 exec, exec, s[4:5]
	s_waitcnt lgkmcnt(0)
	; wave barrier
	s_waitcnt lgkmcnt(0)
	buffer_load_dword v19, off, s[0:3], 0 offset:52
	buffer_load_dword v18, off, s[0:3], 0 offset:48
	;; [unrolled: 1-line block ×4, first 2 shown]
	v_mov_b32_e32 v16, 0
	ds_read_b64 v[22:23], v16 offset:112
	v_cmp_lt_u32_e32 vcc, 4, v0
	s_waitcnt vmcnt(3)
	v_mov_b32_e32 v24, v19
	s_waitcnt lgkmcnt(0)
	v_pk_mul_f32 v[24:25], v[22:23], v[24:25] op_sel_hi:[1,0]
	s_waitcnt vmcnt(2)
	v_pk_fma_f32 v[26:27], v[22:23], v[18:19], v[24:25] op_sel:[0,0,1] op_sel_hi:[1,1,0] neg_lo:[0,0,1] neg_hi:[0,0,1]
	v_pk_fma_f32 v[18:19], v[22:23], v[18:19], v[24:25] op_sel:[0,0,1] op_sel_hi:[1,0,0]
	v_mov_b32_e32 v27, v19
	v_pk_add_f32 v[18:19], v[26:27], 0 op_sel_hi:[1,0]
	s_waitcnt vmcnt(0)
	v_pk_add_f32 v[18:19], v[20:21], v[18:19] neg_lo:[0,1] neg_hi:[0,1]
	buffer_store_dword v18, off, s[0:3], 0 offset:40
	buffer_store_dword v19, off, s[0:3], 0 offset:44
	s_and_saveexec_b64 s[4:5], vcc
	s_cbranch_execz .LBB70_47
; %bb.46:
	buffer_load_dword v18, off, s[0:3], 0 offset:32
	buffer_load_dword v19, off, s[0:3], 0 offset:36
	s_waitcnt vmcnt(0)
	ds_write_b64 v1, v[18:19]
	buffer_store_dword v16, off, s[0:3], 0 offset:32
	buffer_store_dword v16, off, s[0:3], 0 offset:36
.LBB70_47:
	s_or_b64 exec, exec, s[4:5]
	s_waitcnt lgkmcnt(0)
	; wave barrier
	s_waitcnt lgkmcnt(0)
	buffer_load_dword v21, off, s[0:3], 0 offset:44
	buffer_load_dword v23, off, s[0:3], 0 offset:52
	;; [unrolled: 1-line block ×6, first 2 shown]
	ds_read2_b64 v[16:19], v16 offset0:13 offset1:14
	v_cmp_lt_u32_e32 vcc, 3, v0
	s_waitcnt vmcnt(5)
	v_mov_b32_e32 v26, v21
	s_waitcnt vmcnt(4)
	v_mov_b32_e32 v28, v23
	s_waitcnt lgkmcnt(0)
	v_pk_mul_f32 v[26:27], v[16:17], v[26:27] op_sel_hi:[1,0]
	v_pk_mul_f32 v[28:29], v[18:19], v[28:29] op_sel_hi:[1,0]
	s_waitcnt vmcnt(3)
	v_pk_fma_f32 v[30:31], v[16:17], v[20:21], v[26:27] op_sel:[0,0,1] op_sel_hi:[1,1,0] neg_lo:[0,0,1] neg_hi:[0,0,1]
	v_pk_fma_f32 v[16:17], v[16:17], v[20:21], v[26:27] op_sel:[0,0,1] op_sel_hi:[1,0,0]
	s_waitcnt vmcnt(2)
	v_pk_fma_f32 v[20:21], v[18:19], v[22:23], v[28:29] op_sel:[0,0,1] op_sel_hi:[1,1,0] neg_lo:[0,0,1] neg_hi:[0,0,1]
	v_pk_fma_f32 v[18:19], v[18:19], v[22:23], v[28:29] op_sel:[0,0,1] op_sel_hi:[1,0,0]
	v_mov_b32_e32 v31, v17
	v_mov_b32_e32 v21, v19
	v_pk_add_f32 v[16:17], v[30:31], 0 op_sel_hi:[1,0]
	v_pk_add_f32 v[16:17], v[16:17], v[20:21]
	s_waitcnt vmcnt(0)
	v_pk_add_f32 v[16:17], v[24:25], v[16:17] neg_lo:[0,1] neg_hi:[0,1]
	buffer_store_dword v16, off, s[0:3], 0 offset:32
	buffer_store_dword v17, off, s[0:3], 0 offset:36
	s_and_saveexec_b64 s[4:5], vcc
	s_cbranch_execz .LBB70_49
; %bb.48:
	buffer_load_dword v16, off, s[0:3], 0 offset:24
	buffer_load_dword v17, off, s[0:3], 0 offset:28
	v_mov_b32_e32 v18, 0
	buffer_store_dword v18, off, s[0:3], 0 offset:24
	buffer_store_dword v18, off, s[0:3], 0 offset:28
	s_waitcnt vmcnt(2)
	ds_write_b64 v1, v[16:17]
.LBB70_49:
	s_or_b64 exec, exec, s[4:5]
	s_waitcnt lgkmcnt(0)
	; wave barrier
	s_waitcnt lgkmcnt(0)
	buffer_load_dword v23, off, s[0:3], 0 offset:36
	buffer_load_dword v25, off, s[0:3], 0 offset:44
	;; [unrolled: 1-line block ×8, first 2 shown]
	v_mov_b32_e32 v16, 0
	ds_read_b128 v[18:21], v16 offset:96
	ds_read_b64 v[30:31], v16 offset:112
	v_cmp_lt_u32_e32 vcc, 2, v0
	s_waitcnt vmcnt(7)
	v_mov_b32_e32 v32, v23
	s_waitcnt vmcnt(6)
	v_mov_b32_e32 v34, v25
	s_waitcnt lgkmcnt(1)
	v_pk_mul_f32 v[32:33], v[18:19], v[32:33] op_sel_hi:[1,0]
	s_waitcnt vmcnt(5)
	v_mov_b32_e32 v36, v27
	v_pk_mul_f32 v[34:35], v[20:21], v[34:35] op_sel_hi:[1,0]
	s_waitcnt vmcnt(4)
	v_pk_fma_f32 v[38:39], v[18:19], v[22:23], v[32:33] op_sel:[0,0,1] op_sel_hi:[1,1,0] neg_lo:[0,0,1] neg_hi:[0,0,1]
	v_pk_fma_f32 v[18:19], v[18:19], v[22:23], v[32:33] op_sel:[0,0,1] op_sel_hi:[1,0,0]
	s_waitcnt lgkmcnt(0)
	v_pk_mul_f32 v[36:37], v[30:31], v[36:37] op_sel_hi:[1,0]
	s_waitcnt vmcnt(3)
	v_pk_fma_f32 v[22:23], v[20:21], v[24:25], v[34:35] op_sel:[0,0,1] op_sel_hi:[1,1,0] neg_lo:[0,0,1] neg_hi:[0,0,1]
	v_pk_fma_f32 v[20:21], v[20:21], v[24:25], v[34:35] op_sel:[0,0,1] op_sel_hi:[1,0,0]
	v_mov_b32_e32 v39, v19
	s_waitcnt vmcnt(2)
	v_pk_fma_f32 v[24:25], v[30:31], v[26:27], v[36:37] op_sel:[0,0,1] op_sel_hi:[1,1,0] neg_lo:[0,0,1] neg_hi:[0,0,1]
	v_pk_fma_f32 v[26:27], v[30:31], v[26:27], v[36:37] op_sel:[0,0,1] op_sel_hi:[1,0,0]
	v_mov_b32_e32 v23, v21
	v_pk_add_f32 v[18:19], v[38:39], 0 op_sel_hi:[1,0]
	v_mov_b32_e32 v25, v27
	v_pk_add_f32 v[18:19], v[18:19], v[22:23]
	v_pk_add_f32 v[18:19], v[18:19], v[24:25]
	s_waitcnt vmcnt(0)
	v_pk_add_f32 v[18:19], v[28:29], v[18:19] neg_lo:[0,1] neg_hi:[0,1]
	buffer_store_dword v18, off, s[0:3], 0 offset:24
	buffer_store_dword v19, off, s[0:3], 0 offset:28
	s_and_saveexec_b64 s[4:5], vcc
	s_cbranch_execz .LBB70_51
; %bb.50:
	buffer_load_dword v18, off, s[0:3], 0 offset:16
	buffer_load_dword v19, off, s[0:3], 0 offset:20
	s_waitcnt vmcnt(0)
	ds_write_b64 v1, v[18:19]
	buffer_store_dword v16, off, s[0:3], 0 offset:16
	buffer_store_dword v16, off, s[0:3], 0 offset:20
.LBB70_51:
	s_or_b64 exec, exec, s[4:5]
	s_waitcnt lgkmcnt(0)
	; wave barrier
	s_waitcnt lgkmcnt(0)
	buffer_load_dword v27, off, s[0:3], 0 offset:28
	buffer_load_dword v29, off, s[0:3], 0 offset:36
	;; [unrolled: 1-line block ×10, first 2 shown]
	ds_read2_b64 v[18:21], v16 offset0:11 offset1:12
	ds_read2_b64 v[22:25], v16 offset0:13 offset1:14
	v_cmp_lt_u32_e32 vcc, 1, v0
	s_waitcnt vmcnt(9)
	v_mov_b32_e32 v16, v27
	s_waitcnt vmcnt(8)
	v_mov_b32_e32 v36, v29
	s_waitcnt lgkmcnt(1)
	v_pk_mul_f32 v[16:17], v[18:19], v[16:17] op_sel_hi:[1,0]
	s_waitcnt vmcnt(7)
	v_mov_b32_e32 v38, v31
	v_pk_mul_f32 v[36:37], v[20:21], v[36:37] op_sel_hi:[1,0]
	s_waitcnt vmcnt(5)
	v_pk_fma_f32 v[42:43], v[18:19], v[26:27], v[16:17] op_sel:[0,0,1] op_sel_hi:[1,1,0] neg_lo:[0,0,1] neg_hi:[0,0,1]
	v_pk_fma_f32 v[16:17], v[18:19], v[26:27], v[16:17] op_sel:[0,0,1] op_sel_hi:[1,0,0]
	v_mov_b32_e32 v40, v33
	s_waitcnt lgkmcnt(0)
	v_pk_mul_f32 v[38:39], v[22:23], v[38:39] op_sel_hi:[1,0]
	s_waitcnt vmcnt(4)
	v_pk_fma_f32 v[18:19], v[20:21], v[28:29], v[36:37] op_sel:[0,0,1] op_sel_hi:[1,1,0] neg_lo:[0,0,1] neg_hi:[0,0,1]
	v_pk_fma_f32 v[20:21], v[20:21], v[28:29], v[36:37] op_sel:[0,0,1] op_sel_hi:[1,0,0]
	v_mov_b32_e32 v43, v17
	v_pk_mul_f32 v[40:41], v[24:25], v[40:41] op_sel_hi:[1,0]
	s_waitcnt vmcnt(3)
	v_pk_fma_f32 v[26:27], v[22:23], v[30:31], v[38:39] op_sel:[0,0,1] op_sel_hi:[1,1,0] neg_lo:[0,0,1] neg_hi:[0,0,1]
	v_pk_fma_f32 v[22:23], v[22:23], v[30:31], v[38:39] op_sel:[0,0,1] op_sel_hi:[1,0,0]
	v_mov_b32_e32 v19, v21
	v_pk_add_f32 v[16:17], v[42:43], 0 op_sel_hi:[1,0]
	s_waitcnt vmcnt(2)
	v_pk_fma_f32 v[28:29], v[24:25], v[32:33], v[40:41] op_sel:[0,0,1] op_sel_hi:[1,1,0] neg_lo:[0,0,1] neg_hi:[0,0,1]
	v_pk_fma_f32 v[24:25], v[24:25], v[32:33], v[40:41] op_sel:[0,0,1] op_sel_hi:[1,0,0]
	v_mov_b32_e32 v27, v23
	v_pk_add_f32 v[16:17], v[16:17], v[18:19]
	v_mov_b32_e32 v29, v25
	v_pk_add_f32 v[16:17], v[16:17], v[26:27]
	v_pk_add_f32 v[16:17], v[16:17], v[28:29]
	s_waitcnt vmcnt(0)
	v_pk_add_f32 v[16:17], v[34:35], v[16:17] neg_lo:[0,1] neg_hi:[0,1]
	buffer_store_dword v16, off, s[0:3], 0 offset:16
	buffer_store_dword v17, off, s[0:3], 0 offset:20
	s_and_saveexec_b64 s[4:5], vcc
	s_cbranch_execz .LBB70_53
; %bb.52:
	buffer_load_dword v16, off, s[0:3], 0 offset:8
	buffer_load_dword v17, off, s[0:3], 0 offset:12
	v_mov_b32_e32 v18, 0
	buffer_store_dword v18, off, s[0:3], 0 offset:8
	buffer_store_dword v18, off, s[0:3], 0 offset:12
	s_waitcnt vmcnt(2)
	ds_write_b64 v1, v[16:17]
.LBB70_53:
	s_or_b64 exec, exec, s[4:5]
	s_waitcnt lgkmcnt(0)
	; wave barrier
	s_waitcnt lgkmcnt(0)
	buffer_load_dword v27, off, s[0:3], 0 offset:20
	buffer_load_dword v29, off, s[0:3], 0 offset:28
	;; [unrolled: 1-line block ×12, first 2 shown]
	v_mov_b32_e32 v16, 0
	ds_read_b128 v[18:21], v16 offset:80
	ds_read_b128 v[22:25], v16 offset:96
	ds_read_b64 v[38:39], v16 offset:112
	v_cmp_ne_u32_e32 vcc, 0, v0
	s_waitcnt vmcnt(11)
	v_mov_b32_e32 v40, v27
	s_waitcnt vmcnt(10)
	v_mov_b32_e32 v42, v29
	s_waitcnt lgkmcnt(2)
	v_pk_mul_f32 v[40:41], v[18:19], v[40:41] op_sel_hi:[1,0]
	s_waitcnt vmcnt(9)
	v_mov_b32_e32 v44, v31
	v_pk_mul_f32 v[42:43], v[20:21], v[42:43] op_sel_hi:[1,0]
	s_waitcnt vmcnt(6)
	v_pk_fma_f32 v[50:51], v[18:19], v[26:27], v[40:41] op_sel:[0,0,1] op_sel_hi:[1,1,0] neg_lo:[0,0,1] neg_hi:[0,0,1]
	v_pk_fma_f32 v[18:19], v[18:19], v[26:27], v[40:41] op_sel:[0,0,1] op_sel_hi:[1,0,0]
	v_mov_b32_e32 v46, v33
	s_waitcnt lgkmcnt(1)
	v_pk_mul_f32 v[44:45], v[22:23], v[44:45] op_sel_hi:[1,0]
	s_waitcnt vmcnt(5)
	v_pk_fma_f32 v[26:27], v[20:21], v[28:29], v[42:43] op_sel:[0,0,1] op_sel_hi:[1,1,0] neg_lo:[0,0,1] neg_hi:[0,0,1]
	v_pk_fma_f32 v[20:21], v[20:21], v[28:29], v[42:43] op_sel:[0,0,1] op_sel_hi:[1,0,0]
	v_mov_b32_e32 v51, v19
	v_mov_b32_e32 v48, v35
	v_pk_mul_f32 v[46:47], v[24:25], v[46:47] op_sel_hi:[1,0]
	s_waitcnt vmcnt(4)
	v_pk_fma_f32 v[28:29], v[22:23], v[30:31], v[44:45] op_sel:[0,0,1] op_sel_hi:[1,1,0] neg_lo:[0,0,1] neg_hi:[0,0,1]
	v_pk_fma_f32 v[22:23], v[22:23], v[30:31], v[44:45] op_sel:[0,0,1] op_sel_hi:[1,0,0]
	v_mov_b32_e32 v27, v21
	v_pk_add_f32 v[18:19], v[50:51], 0 op_sel_hi:[1,0]
	s_waitcnt lgkmcnt(0)
	v_pk_mul_f32 v[48:49], v[38:39], v[48:49] op_sel_hi:[1,0]
	s_waitcnt vmcnt(3)
	v_pk_fma_f32 v[30:31], v[24:25], v[32:33], v[46:47] op_sel:[0,0,1] op_sel_hi:[1,1,0] neg_lo:[0,0,1] neg_hi:[0,0,1]
	v_pk_fma_f32 v[24:25], v[24:25], v[32:33], v[46:47] op_sel:[0,0,1] op_sel_hi:[1,0,0]
	v_mov_b32_e32 v29, v23
	v_pk_add_f32 v[18:19], v[18:19], v[26:27]
	s_waitcnt vmcnt(2)
	v_pk_fma_f32 v[32:33], v[38:39], v[34:35], v[48:49] op_sel:[0,0,1] op_sel_hi:[1,1,0] neg_lo:[0,0,1] neg_hi:[0,0,1]
	v_pk_fma_f32 v[34:35], v[38:39], v[34:35], v[48:49] op_sel:[0,0,1] op_sel_hi:[1,0,0]
	v_mov_b32_e32 v31, v25
	v_pk_add_f32 v[18:19], v[18:19], v[28:29]
	v_mov_b32_e32 v33, v35
	v_pk_add_f32 v[18:19], v[18:19], v[30:31]
	v_pk_add_f32 v[18:19], v[18:19], v[32:33]
	s_waitcnt vmcnt(0)
	v_pk_add_f32 v[18:19], v[36:37], v[18:19] neg_lo:[0,1] neg_hi:[0,1]
	buffer_store_dword v18, off, s[0:3], 0 offset:8
	buffer_store_dword v19, off, s[0:3], 0 offset:12
	s_and_saveexec_b64 s[4:5], vcc
	s_cbranch_execz .LBB70_55
; %bb.54:
	buffer_load_dword v18, off, s[0:3], 0
	buffer_load_dword v19, off, s[0:3], 0 offset:4
	s_waitcnt vmcnt(0)
	ds_write_b64 v1, v[18:19]
	buffer_store_dword v16, off, s[0:3], 0
	buffer_store_dword v16, off, s[0:3], 0 offset:4
.LBB70_55:
	s_or_b64 exec, exec, s[4:5]
	s_waitcnt lgkmcnt(0)
	; wave barrier
	s_waitcnt lgkmcnt(0)
	buffer_load_dword v31, off, s[0:3], 0 offset:12
	buffer_load_dword v33, off, s[0:3], 0 offset:20
	;; [unrolled: 1-line block ×12, first 2 shown]
	buffer_load_dword v40, off, s[0:3], 0
	buffer_load_dword v41, off, s[0:3], 0 offset:4
	ds_read2_b64 v[18:21], v16 offset0:9 offset1:10
	ds_read2_b64 v[22:25], v16 offset0:11 offset1:12
	;; [unrolled: 1-line block ×3, first 2 shown]
	s_and_b64 vcc, exec, s[16:17]
	s_waitcnt vmcnt(13)
	v_mov_b32_e32 v16, v31
	s_waitcnt vmcnt(12)
	v_mov_b32_e32 v42, v33
	s_waitcnt lgkmcnt(2)
	v_pk_mul_f32 v[16:17], v[18:19], v[16:17] op_sel_hi:[1,0]
	s_waitcnt vmcnt(11)
	v_mov_b32_e32 v44, v35
	v_pk_mul_f32 v[42:43], v[20:21], v[42:43] op_sel_hi:[1,0]
	s_waitcnt vmcnt(10)
	v_mov_b32_e32 v46, v37
	s_waitcnt vmcnt(7)
	v_pk_fma_f32 v[52:53], v[18:19], v[30:31], v[16:17] op_sel:[0,0,1] op_sel_hi:[1,1,0] neg_lo:[0,0,1] neg_hi:[0,0,1]
	v_pk_fma_f32 v[16:17], v[18:19], v[30:31], v[16:17] op_sel:[0,0,1] op_sel_hi:[1,0,0]
	s_waitcnt lgkmcnt(1)
	v_pk_mul_f32 v[44:45], v[22:23], v[44:45] op_sel_hi:[1,0]
	s_waitcnt vmcnt(6)
	v_pk_fma_f32 v[18:19], v[20:21], v[32:33], v[42:43] op_sel:[0,0,1] op_sel_hi:[1,1,0] neg_lo:[0,0,1] neg_hi:[0,0,1]
	v_pk_fma_f32 v[20:21], v[20:21], v[32:33], v[42:43] op_sel:[0,0,1] op_sel_hi:[1,0,0]
	v_mov_b32_e32 v53, v17
	v_mov_b32_e32 v48, v1
	v_pk_mul_f32 v[46:47], v[24:25], v[46:47] op_sel_hi:[1,0]
	s_waitcnt vmcnt(5)
	v_pk_fma_f32 v[30:31], v[22:23], v[34:35], v[44:45] op_sel:[0,0,1] op_sel_hi:[1,1,0] neg_lo:[0,0,1] neg_hi:[0,0,1]
	v_pk_fma_f32 v[22:23], v[22:23], v[34:35], v[44:45] op_sel:[0,0,1] op_sel_hi:[1,0,0]
	v_mov_b32_e32 v19, v21
	v_pk_add_f32 v[16:17], v[52:53], 0 op_sel_hi:[1,0]
	v_mov_b32_e32 v50, v39
	s_waitcnt lgkmcnt(0)
	v_pk_mul_f32 v[48:49], v[26:27], v[48:49] op_sel_hi:[1,0]
	s_waitcnt vmcnt(4)
	v_pk_fma_f32 v[32:33], v[24:25], v[36:37], v[46:47] op_sel:[0,0,1] op_sel_hi:[1,1,0] neg_lo:[0,0,1] neg_hi:[0,0,1]
	v_pk_fma_f32 v[24:25], v[24:25], v[36:37], v[46:47] op_sel:[0,0,1] op_sel_hi:[1,0,0]
	v_mov_b32_e32 v31, v23
	v_pk_add_f32 v[16:17], v[16:17], v[18:19]
	v_pk_mul_f32 v[50:51], v[28:29], v[50:51] op_sel_hi:[1,0]
	s_waitcnt vmcnt(3)
	v_pk_fma_f32 v[34:35], v[26:27], v[0:1], v[48:49] op_sel:[0,0,1] op_sel_hi:[1,1,0] neg_lo:[0,0,1] neg_hi:[0,0,1]
	v_pk_fma_f32 v[26:27], v[26:27], v[0:1], v[48:49] op_sel:[0,0,1] op_sel_hi:[1,0,0]
	v_mov_b32_e32 v33, v25
	v_pk_add_f32 v[16:17], v[16:17], v[30:31]
	s_waitcnt vmcnt(2)
	v_pk_fma_f32 v[36:37], v[28:29], v[38:39], v[50:51] op_sel:[0,0,1] op_sel_hi:[1,1,0] neg_lo:[0,0,1] neg_hi:[0,0,1]
	v_pk_fma_f32 v[28:29], v[28:29], v[38:39], v[50:51] op_sel:[0,0,1] op_sel_hi:[1,0,0]
	v_mov_b32_e32 v35, v27
	v_pk_add_f32 v[16:17], v[16:17], v[32:33]
	v_mov_b32_e32 v37, v29
	v_pk_add_f32 v[16:17], v[16:17], v[34:35]
	v_pk_add_f32 v[16:17], v[16:17], v[36:37]
	s_waitcnt vmcnt(0)
	v_pk_add_f32 v[16:17], v[40:41], v[16:17] neg_lo:[0,1] neg_hi:[0,1]
	buffer_store_dword v16, off, s[0:3], 0
	buffer_store_dword v17, off, s[0:3], 0 offset:4
	s_cbranch_vccz .LBB70_69
; %bb.56:
	v_pk_mov_b32 v[16:17], s[10:11], s[10:11] op_sel:[0,1]
	flat_load_dword v16, v[16:17] offset:20
	s_waitcnt vmcnt(0) lgkmcnt(0)
	v_add_u32_e32 v16, -1, v16
	v_cmp_ne_u32_e32 vcc, 5, v16
	s_and_saveexec_b64 s[4:5], vcc
	s_cbranch_execz .LBB70_58
; %bb.57:
	v_mov_b32_e32 v17, 0
	v_lshl_add_u32 v16, v16, 3, v17
	buffer_load_dword v17, v16, s[0:3], 0 offen
	buffer_load_dword v18, v16, s[0:3], 0 offen offset:4
	s_waitcnt vmcnt(1)
	buffer_store_dword v17, off, s[0:3], 0 offset:40
	s_waitcnt vmcnt(1)
	buffer_store_dword v18, off, s[0:3], 0 offset:44
	buffer_store_dword v0, v16, s[0:3], 0 offen
	buffer_store_dword v1, v16, s[0:3], 0 offen offset:4
.LBB70_58:
	s_or_b64 exec, exec, s[4:5]
	v_pk_mov_b32 v[0:1], s[10:11], s[10:11] op_sel:[0,1]
	flat_load_dword v0, v[0:1] offset:16
	s_waitcnt vmcnt(0) lgkmcnt(0)
	v_add_u32_e32 v0, -1, v0
	v_cmp_ne_u32_e32 vcc, 4, v0
	s_and_saveexec_b64 s[4:5], vcc
	s_cbranch_execz .LBB70_60
; %bb.59:
	v_mov_b32_e32 v1, 0
	v_lshl_add_u32 v0, v0, 3, v1
	buffer_load_dword v1, v0, s[0:3], 0 offen
	buffer_load_dword v16, v0, s[0:3], 0 offen offset:4
	buffer_load_dword v17, off, s[0:3], 0 offset:36
	buffer_load_dword v18, off, s[0:3], 0 offset:32
	s_waitcnt vmcnt(3)
	buffer_store_dword v1, off, s[0:3], 0 offset:32
	s_waitcnt vmcnt(3)
	buffer_store_dword v16, off, s[0:3], 0 offset:36
	s_waitcnt vmcnt(3)
	buffer_store_dword v17, v0, s[0:3], 0 offen offset:4
	s_waitcnt vmcnt(3)
	buffer_store_dword v18, v0, s[0:3], 0 offen
.LBB70_60:
	s_or_b64 exec, exec, s[4:5]
	v_pk_mov_b32 v[0:1], s[10:11], s[10:11] op_sel:[0,1]
	flat_load_dword v0, v[0:1] offset:12
	s_waitcnt vmcnt(0) lgkmcnt(0)
	v_add_u32_e32 v0, -1, v0
	v_cmp_ne_u32_e32 vcc, 3, v0
	s_and_saveexec_b64 s[4:5], vcc
	s_cbranch_execz .LBB70_62
; %bb.61:
	v_mov_b32_e32 v1, 0
	v_lshl_add_u32 v0, v0, 3, v1
	buffer_load_dword v1, v0, s[0:3], 0 offen
	buffer_load_dword v16, v0, s[0:3], 0 offen offset:4
	buffer_load_dword v17, off, s[0:3], 0 offset:24
	buffer_load_dword v18, off, s[0:3], 0 offset:28
	s_waitcnt vmcnt(3)
	buffer_store_dword v1, off, s[0:3], 0 offset:24
	s_waitcnt vmcnt(3)
	buffer_store_dword v16, off, s[0:3], 0 offset:28
	s_waitcnt vmcnt(3)
	buffer_store_dword v17, v0, s[0:3], 0 offen
	s_waitcnt vmcnt(3)
	buffer_store_dword v18, v0, s[0:3], 0 offen offset:4
.LBB70_62:
	s_or_b64 exec, exec, s[4:5]
	v_pk_mov_b32 v[0:1], s[10:11], s[10:11] op_sel:[0,1]
	flat_load_dword v0, v[0:1] offset:8
	s_waitcnt vmcnt(0) lgkmcnt(0)
	v_add_u32_e32 v0, -1, v0
	v_cmp_ne_u32_e32 vcc, 2, v0
	s_and_saveexec_b64 s[4:5], vcc
	s_cbranch_execz .LBB70_64
; %bb.63:
	v_mov_b32_e32 v1, 0
	v_lshl_add_u32 v0, v0, 3, v1
	buffer_load_dword v1, v0, s[0:3], 0 offen
	buffer_load_dword v16, v0, s[0:3], 0 offen offset:4
	buffer_load_dword v17, off, s[0:3], 0 offset:20
	buffer_load_dword v18, off, s[0:3], 0 offset:16
	s_waitcnt vmcnt(3)
	buffer_store_dword v1, off, s[0:3], 0 offset:16
	s_waitcnt vmcnt(3)
	buffer_store_dword v16, off, s[0:3], 0 offset:20
	s_waitcnt vmcnt(3)
	buffer_store_dword v17, v0, s[0:3], 0 offen offset:4
	s_waitcnt vmcnt(3)
	buffer_store_dword v18, v0, s[0:3], 0 offen
.LBB70_64:
	s_or_b64 exec, exec, s[4:5]
	v_pk_mov_b32 v[0:1], s[10:11], s[10:11] op_sel:[0,1]
	flat_load_dword v0, v[0:1] offset:4
	s_waitcnt vmcnt(0) lgkmcnt(0)
	v_add_u32_e32 v0, -1, v0
	v_cmp_ne_u32_e32 vcc, 1, v0
	s_and_saveexec_b64 s[4:5], vcc
	s_cbranch_execz .LBB70_66
; %bb.65:
	v_mov_b32_e32 v1, 0
	v_lshl_add_u32 v0, v0, 3, v1
	buffer_load_dword v1, v0, s[0:3], 0 offen
	buffer_load_dword v16, v0, s[0:3], 0 offen offset:4
	buffer_load_dword v17, off, s[0:3], 0 offset:8
	buffer_load_dword v18, off, s[0:3], 0 offset:12
	s_waitcnt vmcnt(3)
	buffer_store_dword v1, off, s[0:3], 0 offset:8
	s_waitcnt vmcnt(3)
	buffer_store_dword v16, off, s[0:3], 0 offset:12
	s_waitcnt vmcnt(3)
	buffer_store_dword v17, v0, s[0:3], 0 offen
	s_waitcnt vmcnt(3)
	buffer_store_dword v18, v0, s[0:3], 0 offen offset:4
.LBB70_66:
	s_or_b64 exec, exec, s[4:5]
	v_pk_mov_b32 v[0:1], s[10:11], s[10:11] op_sel:[0,1]
	flat_load_dword v0, v[0:1]
	s_nop 0
	buffer_load_dword v16, off, s[0:3], 0
	buffer_load_dword v17, off, s[0:3], 0 offset:4
	s_waitcnt vmcnt(0) lgkmcnt(0)
	v_add_u32_e32 v0, -1, v0
	v_cmp_ne_u32_e32 vcc, 0, v0
	s_and_saveexec_b64 s[4:5], vcc
	s_cbranch_execz .LBB70_68
; %bb.67:
	v_mov_b32_e32 v1, 0
	v_lshl_add_u32 v0, v0, 3, v1
	buffer_load_dword v1, v0, s[0:3], 0 offen offset:4
	buffer_load_dword v18, v0, s[0:3], 0 offen
	s_waitcnt vmcnt(1)
	buffer_store_dword v1, off, s[0:3], 0 offset:4
	s_waitcnt vmcnt(1)
	buffer_store_dword v18, off, s[0:3], 0
	buffer_store_dword v17, v0, s[0:3], 0 offen offset:4
	buffer_store_dword v16, v0, s[0:3], 0 offen
	buffer_load_dword v16, off, s[0:3], 0
	s_nop 0
	buffer_load_dword v17, off, s[0:3], 0 offset:4
.LBB70_68:
	s_or_b64 exec, exec, s[4:5]
.LBB70_69:
	buffer_load_dword v0, off, s[0:3], 0 offset:8
	buffer_load_dword v1, off, s[0:3], 0 offset:12
	;; [unrolled: 1-line block ×12, first 2 shown]
	s_waitcnt vmcnt(12)
	global_store_dwordx2 v[2:3], v[16:17], off
	s_waitcnt vmcnt(11)
	global_store_dwordx2 v[4:5], v[0:1], off
	;; [unrolled: 2-line block ×7, first 2 shown]
	s_endpgm
	.section	.rodata,"a",@progbits
	.p2align	6, 0x0
	.amdhsa_kernel _ZN9rocsolver6v33100L18getri_kernel_smallILi7E19rocblas_complex_numIfEPKPS3_EEvT1_iilPiilS8_bb
		.amdhsa_group_segment_fixed_size 120
		.amdhsa_private_segment_fixed_size 64
		.amdhsa_kernarg_size 60
		.amdhsa_user_sgpr_count 8
		.amdhsa_user_sgpr_private_segment_buffer 1
		.amdhsa_user_sgpr_dispatch_ptr 0
		.amdhsa_user_sgpr_queue_ptr 0
		.amdhsa_user_sgpr_kernarg_segment_ptr 1
		.amdhsa_user_sgpr_dispatch_id 0
		.amdhsa_user_sgpr_flat_scratch_init 1
		.amdhsa_user_sgpr_kernarg_preload_length 0
		.amdhsa_user_sgpr_kernarg_preload_offset 0
		.amdhsa_user_sgpr_private_segment_size 0
		.amdhsa_uses_dynamic_stack 0
		.amdhsa_system_sgpr_private_segment_wavefront_offset 1
		.amdhsa_system_sgpr_workgroup_id_x 1
		.amdhsa_system_sgpr_workgroup_id_y 0
		.amdhsa_system_sgpr_workgroup_id_z 0
		.amdhsa_system_sgpr_workgroup_info 0
		.amdhsa_system_vgpr_workitem_id 0
		.amdhsa_next_free_vgpr 54
		.amdhsa_next_free_sgpr 22
		.amdhsa_accum_offset 56
		.amdhsa_reserve_vcc 1
		.amdhsa_reserve_flat_scratch 1
		.amdhsa_float_round_mode_32 0
		.amdhsa_float_round_mode_16_64 0
		.amdhsa_float_denorm_mode_32 3
		.amdhsa_float_denorm_mode_16_64 3
		.amdhsa_dx10_clamp 1
		.amdhsa_ieee_mode 1
		.amdhsa_fp16_overflow 0
		.amdhsa_tg_split 0
		.amdhsa_exception_fp_ieee_invalid_op 0
		.amdhsa_exception_fp_denorm_src 0
		.amdhsa_exception_fp_ieee_div_zero 0
		.amdhsa_exception_fp_ieee_overflow 0
		.amdhsa_exception_fp_ieee_underflow 0
		.amdhsa_exception_fp_ieee_inexact 0
		.amdhsa_exception_int_div_zero 0
	.end_amdhsa_kernel
	.section	.text._ZN9rocsolver6v33100L18getri_kernel_smallILi7E19rocblas_complex_numIfEPKPS3_EEvT1_iilPiilS8_bb,"axG",@progbits,_ZN9rocsolver6v33100L18getri_kernel_smallILi7E19rocblas_complex_numIfEPKPS3_EEvT1_iilPiilS8_bb,comdat
.Lfunc_end70:
	.size	_ZN9rocsolver6v33100L18getri_kernel_smallILi7E19rocblas_complex_numIfEPKPS3_EEvT1_iilPiilS8_bb, .Lfunc_end70-_ZN9rocsolver6v33100L18getri_kernel_smallILi7E19rocblas_complex_numIfEPKPS3_EEvT1_iilPiilS8_bb
                                        ; -- End function
	.section	.AMDGPU.csdata,"",@progbits
; Kernel info:
; codeLenInByte = 5788
; NumSgprs: 28
; NumVgprs: 54
; NumAgprs: 0
; TotalNumVgprs: 54
; ScratchSize: 64
; MemoryBound: 0
; FloatMode: 240
; IeeeMode: 1
; LDSByteSize: 120 bytes/workgroup (compile time only)
; SGPRBlocks: 3
; VGPRBlocks: 6
; NumSGPRsForWavesPerEU: 28
; NumVGPRsForWavesPerEU: 54
; AccumOffset: 56
; Occupancy: 8
; WaveLimiterHint : 1
; COMPUTE_PGM_RSRC2:SCRATCH_EN: 1
; COMPUTE_PGM_RSRC2:USER_SGPR: 8
; COMPUTE_PGM_RSRC2:TRAP_HANDLER: 0
; COMPUTE_PGM_RSRC2:TGID_X_EN: 1
; COMPUTE_PGM_RSRC2:TGID_Y_EN: 0
; COMPUTE_PGM_RSRC2:TGID_Z_EN: 0
; COMPUTE_PGM_RSRC2:TIDIG_COMP_CNT: 0
; COMPUTE_PGM_RSRC3_GFX90A:ACCUM_OFFSET: 13
; COMPUTE_PGM_RSRC3_GFX90A:TG_SPLIT: 0
	.section	.text._ZN9rocsolver6v33100L18getri_kernel_smallILi8E19rocblas_complex_numIfEPKPS3_EEvT1_iilPiilS8_bb,"axG",@progbits,_ZN9rocsolver6v33100L18getri_kernel_smallILi8E19rocblas_complex_numIfEPKPS3_EEvT1_iilPiilS8_bb,comdat
	.globl	_ZN9rocsolver6v33100L18getri_kernel_smallILi8E19rocblas_complex_numIfEPKPS3_EEvT1_iilPiilS8_bb ; -- Begin function _ZN9rocsolver6v33100L18getri_kernel_smallILi8E19rocblas_complex_numIfEPKPS3_EEvT1_iilPiilS8_bb
	.p2align	8
	.type	_ZN9rocsolver6v33100L18getri_kernel_smallILi8E19rocblas_complex_numIfEPKPS3_EEvT1_iilPiilS8_bb,@function
_ZN9rocsolver6v33100L18getri_kernel_smallILi8E19rocblas_complex_numIfEPKPS3_EEvT1_iilPiilS8_bb: ; @_ZN9rocsolver6v33100L18getri_kernel_smallILi8E19rocblas_complex_numIfEPKPS3_EEvT1_iilPiilS8_bb
; %bb.0:
	s_add_u32 flat_scratch_lo, s6, s9
	s_addc_u32 flat_scratch_hi, s7, 0
	s_add_u32 s0, s0, s9
	s_addc_u32 s1, s1, 0
	v_cmp_gt_u32_e32 vcc, 8, v0
	s_and_saveexec_b64 s[6:7], vcc
	s_cbranch_execz .LBB71_46
; %bb.1:
	s_load_dword s18, s[4:5], 0x38
	s_load_dwordx2 s[6:7], s[4:5], 0x0
	s_load_dwordx4 s[12:15], s[4:5], 0x28
	s_waitcnt lgkmcnt(0)
	s_bitcmp1_b32 s18, 8
	s_cselect_b64 s[16:17], -1, 0
	s_ashr_i32 s9, s8, 31
	s_lshl_b64 s[10:11], s[8:9], 3
	s_add_u32 s6, s6, s10
	s_addc_u32 s7, s7, s11
	s_load_dwordx2 s[6:7], s[6:7], 0x0
	s_bfe_u32 s10, s18, 0x10008
	s_cmp_eq_u32 s10, 0
                                        ; implicit-def: $sgpr10_sgpr11
	s_cbranch_scc1 .LBB71_3
; %bb.2:
	s_load_dword s10, s[4:5], 0x20
	s_load_dwordx2 s[20:21], s[4:5], 0x18
	s_mul_i32 s11, s8, s13
	s_mul_hi_u32 s13, s8, s12
	s_add_i32 s13, s13, s11
	s_mul_i32 s19, s9, s12
	s_add_i32 s13, s13, s19
	s_mul_i32 s12, s8, s12
	s_waitcnt lgkmcnt(0)
	s_ashr_i32 s11, s10, 31
	s_lshl_b64 s[12:13], s[12:13], 2
	s_add_u32 s12, s20, s12
	s_addc_u32 s13, s21, s13
	s_lshl_b64 s[10:11], s[10:11], 2
	s_add_u32 s10, s12, s10
	s_addc_u32 s11, s13, s11
.LBB71_3:
	s_load_dwordx2 s[4:5], s[4:5], 0x8
	v_lshlrev_b32_e32 v22, 3, v0
	s_waitcnt lgkmcnt(0)
	s_ashr_i32 s13, s4, 31
	s_mov_b32 s12, s4
	s_lshl_b64 s[12:13], s[12:13], 3
	s_add_u32 s6, s6, s12
	s_addc_u32 s7, s7, s13
	v_mov_b32_e32 v1, s7
	v_add_co_u32_e32 v2, vcc, s6, v22
	s_ashr_i32 s13, s5, 31
	s_mov_b32 s12, s5
	s_add_i32 s4, s5, s5
	v_addc_co_u32_e32 v3, vcc, 0, v1, vcc
	s_lshl_b64 s[12:13], s[12:13], 3
	v_add_u32_e32 v8, s4, v0
	v_mov_b32_e32 v1, s13
	v_add_co_u32_e32 v4, vcc, s12, v2
	v_ashrrev_i32_e32 v9, 31, v8
	v_addc_co_u32_e32 v5, vcc, v3, v1, vcc
	v_lshlrev_b64 v[6:7], 3, v[8:9]
	v_add_u32_e32 v10, s5, v8
	v_mov_b32_e32 v1, s7
	v_add_co_u32_e32 v6, vcc, s6, v6
	v_ashrrev_i32_e32 v11, 31, v10
	v_addc_co_u32_e32 v7, vcc, v1, v7, vcc
	v_lshlrev_b64 v[8:9], 3, v[10:11]
	v_add_u32_e32 v12, s5, v10
	v_add_co_u32_e32 v8, vcc, s6, v8
	v_ashrrev_i32_e32 v13, 31, v12
	v_addc_co_u32_e32 v9, vcc, v1, v9, vcc
	v_lshlrev_b64 v[10:11], 3, v[12:13]
	v_add_u32_e32 v14, s5, v12
	;; [unrolled: 5-line block ×3, first 2 shown]
	v_add_co_u32_e32 v12, vcc, s6, v12
	v_ashrrev_i32_e32 v17, 31, v16
	v_addc_co_u32_e32 v13, vcc, v1, v13, vcc
	v_lshlrev_b64 v[14:15], 3, v[16:17]
	v_add_co_u32_e32 v14, vcc, s6, v14
	global_load_dwordx2 v[18:19], v22, s[6:7]
	global_load_dwordx2 v[20:21], v[4:5], off
	global_load_dwordx2 v[24:25], v[6:7], off
	global_load_dwordx2 v[26:27], v[8:9], off
	global_load_dwordx2 v[28:29], v[10:11], off
	v_addc_co_u32_e32 v15, vcc, v1, v15, vcc
	global_load_dwordx2 v[30:31], v[12:13], off
	global_load_dwordx2 v[32:33], v[14:15], off
	v_add_u32_e32 v16, s5, v16
	v_ashrrev_i32_e32 v17, 31, v16
	v_lshlrev_b64 v[16:17], 3, v[16:17]
	v_add_co_u32_e32 v16, vcc, s6, v16
	v_addc_co_u32_e32 v17, vcc, v1, v17, vcc
	global_load_dwordx2 v[34:35], v[16:17], off
	s_bitcmp0_b32 s18, 0
	s_mov_b64 s[6:7], -1
	s_waitcnt vmcnt(7)
	buffer_store_dword v19, off, s[0:3], 0 offset:4
	buffer_store_dword v18, off, s[0:3], 0
	s_waitcnt vmcnt(8)
	buffer_store_dword v21, off, s[0:3], 0 offset:12
	buffer_store_dword v20, off, s[0:3], 0 offset:8
	s_waitcnt vmcnt(9)
	buffer_store_dword v25, off, s[0:3], 0 offset:20
	buffer_store_dword v24, off, s[0:3], 0 offset:16
	;; [unrolled: 3-line block ×7, first 2 shown]
	s_cbranch_scc1 .LBB71_44
; %bb.4:
	v_cmp_eq_u32_e64 s[4:5], 0, v0
	s_and_saveexec_b64 s[6:7], s[4:5]
	s_cbranch_execz .LBB71_6
; %bb.5:
	v_mov_b32_e32 v1, 0
	ds_write_b32 v1, v1 offset:128
.LBB71_6:
	s_or_b64 exec, exec, s[6:7]
	v_mov_b32_e32 v1, 0
	v_lshl_add_u32 v23, v0, 3, v1
	s_waitcnt lgkmcnt(0)
	; wave barrier
	s_waitcnt lgkmcnt(0)
	buffer_load_dword v1, v23, s[0:3], 0 offen
	buffer_load_dword v18, v23, s[0:3], 0 offen offset:4
	s_waitcnt vmcnt(1)
	v_cmp_eq_f32_e32 vcc, 0, v1
	s_waitcnt vmcnt(0)
	v_cmp_eq_f32_e64 s[6:7], 0, v18
	s_and_b64 s[6:7], vcc, s[6:7]
	s_and_saveexec_b64 s[12:13], s[6:7]
	s_cbranch_execz .LBB71_10
; %bb.7:
	v_mov_b32_e32 v1, 0
	ds_read_b32 v19, v1 offset:128
	v_add_u32_e32 v18, 1, v0
	s_waitcnt lgkmcnt(0)
	v_readfirstlane_b32 s6, v19
	s_cmp_eq_u32 s6, 0
	s_cselect_b64 s[18:19], -1, 0
	v_cmp_gt_i32_e32 vcc, s6, v18
	s_or_b64 s[18:19], s[18:19], vcc
	s_and_b64 exec, exec, s[18:19]
	s_cbranch_execz .LBB71_10
; %bb.8:
	s_mov_b64 s[18:19], 0
	v_mov_b32_e32 v19, s6
.LBB71_9:                               ; =>This Inner Loop Header: Depth=1
	ds_cmpst_rtn_b32 v19, v1, v19, v18 offset:128
	s_waitcnt lgkmcnt(0)
	v_cmp_ne_u32_e32 vcc, 0, v19
	v_cmp_le_i32_e64 s[6:7], v19, v18
	s_and_b64 s[6:7], vcc, s[6:7]
	s_and_b64 s[6:7], exec, s[6:7]
	s_or_b64 s[18:19], s[6:7], s[18:19]
	s_andn2_b64 exec, exec, s[18:19]
	s_cbranch_execnz .LBB71_9
.LBB71_10:
	s_or_b64 exec, exec, s[12:13]
	v_mov_b32_e32 v18, 0
	s_waitcnt lgkmcnt(0)
	; wave barrier
	ds_read_b32 v1, v18 offset:128
	s_and_saveexec_b64 s[6:7], s[4:5]
	s_cbranch_execz .LBB71_12
; %bb.11:
	s_lshl_b64 s[12:13], s[8:9], 2
	s_add_u32 s12, s14, s12
	s_addc_u32 s13, s15, s13
	s_waitcnt lgkmcnt(0)
	global_store_dword v18, v1, s[12:13]
.LBB71_12:
	s_or_b64 exec, exec, s[6:7]
	s_waitcnt lgkmcnt(0)
	v_cmp_ne_u32_e32 vcc, 0, v1
	s_mov_b64 s[6:7], 0
	s_cbranch_vccnz .LBB71_44
; %bb.13:
	buffer_load_dword v24, v23, s[0:3], 0 offen offset:4
	buffer_load_dword v19, v23, s[0:3], 0 offen
	s_waitcnt vmcnt(1)
	v_cmp_gt_f32_e32 vcc, 0, v24
	v_cndmask_b32_e64 v1, v24, -v24, vcc
	s_waitcnt vmcnt(0)
	v_cmp_gt_f32_e32 vcc, 0, v19
	v_cndmask_b32_e64 v18, v19, -v19, vcc
	v_cmp_ngt_f32_e32 vcc, v18, v1
                                        ; implicit-def: $vgpr1
                                        ; implicit-def: $vgpr18
	s_and_saveexec_b64 s[6:7], vcc
	s_xor_b64 s[6:7], exec, s[6:7]
                                        ; implicit-def: $vgpr20_vgpr21
	s_cbranch_execz .LBB71_15
; %bb.14:
	v_div_scale_f32 v1, s[12:13], v24, v24, v19
	v_rcp_f32_e32 v18, v1
	v_div_scale_f32 v20, vcc, v19, v24, v19
	v_fma_f32 v21, -v1, v18, 1.0
	v_fmac_f32_e32 v18, v21, v18
	v_mul_f32_e32 v21, v20, v18
	v_fma_f32 v25, -v1, v21, v20
	v_fmac_f32_e32 v21, v25, v18
	v_fma_f32 v1, -v1, v21, v20
	v_div_fmas_f32 v1, v1, v18, v21
	v_div_fixup_f32 v18, v1, v24, v19
	v_fmac_f32_e32 v24, v19, v18
	v_div_scale_f32 v1, s[12:13], v24, v24, -1.0
	v_rcp_f32_e32 v19, v1
	v_fma_f32 v20, -v1, v19, 1.0
	v_fmac_f32_e32 v19, v20, v19
	v_div_scale_f32 v20, vcc, -1.0, v24, -1.0
	v_mul_f32_e32 v21, v20, v19
	v_fma_f32 v25, -v1, v21, v20
	v_fmac_f32_e32 v21, v25, v19
	v_fma_f32 v1, -v1, v21, v20
	v_div_fmas_f32 v1, v1, v19, v21
	v_div_fixup_f32 v1, v1, v24, -1.0
	v_mul_f32_e32 v18, v18, v1
	v_xor_b32_e32 v20, 0x80000000, v18
                                        ; implicit-def: $vgpr19
                                        ; implicit-def: $vgpr24
.LBB71_15:
	s_andn2_saveexec_b64 s[6:7], s[6:7]
	s_cbranch_execz .LBB71_17
; %bb.16:
	v_div_scale_f32 v1, s[12:13], v19, v19, v24
	v_rcp_f32_e32 v18, v1
	v_div_scale_f32 v20, vcc, v24, v19, v24
	v_fma_f32 v21, -v1, v18, 1.0
	v_fmac_f32_e32 v18, v21, v18
	v_mul_f32_e32 v21, v20, v18
	v_fma_f32 v25, -v1, v21, v20
	v_fmac_f32_e32 v21, v25, v18
	v_fma_f32 v1, -v1, v21, v20
	v_div_fmas_f32 v1, v1, v18, v21
	v_div_fixup_f32 v1, v1, v19, v24
	v_fmac_f32_e32 v19, v24, v1
	v_div_scale_f32 v18, s[12:13], v19, v19, 1.0
	v_rcp_f32_e32 v20, v18
	v_fma_f32 v21, -v18, v20, 1.0
	v_fmac_f32_e32 v20, v21, v20
	v_div_scale_f32 v21, vcc, 1.0, v19, 1.0
	v_mul_f32_e32 v24, v21, v20
	v_fma_f32 v25, -v18, v24, v21
	v_fmac_f32_e32 v24, v25, v20
	v_fma_f32 v18, -v18, v24, v21
	v_div_fmas_f32 v18, v18, v20, v24
	v_div_fixup_f32 v20, v18, v19, 1.0
	v_xor_b32_e32 v18, 0x80000000, v20
	v_mul_f32_e64 v1, v1, -v20
.LBB71_17:
	s_or_b64 exec, exec, s[6:7]
	buffer_store_dword v1, v23, s[0:3], 0 offen offset:4
	buffer_store_dword v20, v23, s[0:3], 0 offen
	buffer_load_dword v21, off, s[0:3], 0 offset:12
	s_nop 0
	buffer_load_dword v20, off, s[0:3], 0 offset:8
	v_xor_b32_e32 v19, 0x80000000, v1
	v_add_u32_e32 v1, 64, v22
	s_waitcnt vmcnt(0)
	ds_write2_b64 v22, v[18:19], v[20:21] offset1:8
	s_waitcnt lgkmcnt(0)
	; wave barrier
	s_waitcnt lgkmcnt(0)
	s_and_saveexec_b64 s[6:7], s[4:5]
	s_cbranch_execz .LBB71_19
; %bb.18:
	buffer_load_dword v24, v23, s[0:3], 0 offen offset:4
	buffer_load_dword v25, v23, s[0:3], 0 offen
	ds_read_b64 v[18:19], v1
	v_mov_b32_e32 v20, 0
	ds_read_b64 v[20:21], v20 offset:8
	s_waitcnt vmcnt(1) lgkmcnt(1)
	v_mul_f32_e32 v26, v19, v24
	v_mul_f32_e32 v24, v18, v24
	s_waitcnt vmcnt(0)
	v_fmac_f32_e32 v24, v19, v25
	v_fma_f32 v18, v18, v25, -v26
	v_add_f32_e32 v19, 0, v24
	v_add_f32_e32 v18, 0, v18
	s_waitcnt lgkmcnt(0)
	v_mul_f32_e32 v24, v19, v21
	v_mul_f32_e32 v21, v18, v21
	v_fma_f32 v18, v18, v20, -v24
	v_fmac_f32_e32 v21, v19, v20
	buffer_store_dword v18, off, s[0:3], 0 offset:8
	buffer_store_dword v21, off, s[0:3], 0 offset:12
.LBB71_19:
	s_or_b64 exec, exec, s[6:7]
	s_waitcnt lgkmcnt(0)
	; wave barrier
	buffer_load_dword v18, off, s[0:3], 0 offset:16
	buffer_load_dword v19, off, s[0:3], 0 offset:20
	v_cmp_gt_u32_e32 vcc, 2, v0
	s_waitcnt vmcnt(0)
	ds_write_b64 v1, v[18:19]
	s_waitcnt lgkmcnt(0)
	; wave barrier
	s_waitcnt lgkmcnt(0)
	s_and_saveexec_b64 s[6:7], vcc
	s_cbranch_execz .LBB71_23
; %bb.20:
	buffer_load_dword v20, v23, s[0:3], 0 offen offset:4
	buffer_load_dword v21, v23, s[0:3], 0 offen
	ds_read_b64 v[18:19], v1
	s_waitcnt vmcnt(1) lgkmcnt(0)
	v_mul_f32_e32 v23, v19, v20
	v_mul_f32_e32 v20, v18, v20
	s_waitcnt vmcnt(0)
	v_fma_f32 v18, v18, v21, -v23
	v_fmac_f32_e32 v20, v19, v21
	v_add_f32_e32 v19, 0, v18
	v_add_f32_e32 v18, 0, v20
	s_and_saveexec_b64 s[12:13], s[4:5]
	s_cbranch_execz .LBB71_22
; %bb.21:
	buffer_load_dword v23, off, s[0:3], 0 offset:12
	buffer_load_dword v24, off, s[0:3], 0 offset:8
	v_mov_b32_e32 v20, 0
	ds_read_b64 v[20:21], v20 offset:72
	s_waitcnt vmcnt(1) lgkmcnt(0)
	v_mul_f32_e32 v25, v20, v23
	v_mul_f32_e32 v23, v21, v23
	s_waitcnt vmcnt(0)
	v_fmac_f32_e32 v25, v21, v24
	v_fma_f32 v20, v20, v24, -v23
	v_add_f32_e32 v18, v18, v25
	v_add_f32_e32 v19, v19, v20
.LBB71_22:
	s_or_b64 exec, exec, s[12:13]
	v_mov_b32_e32 v20, 0
	ds_read_b64 v[20:21], v20 offset:16
	s_waitcnt lgkmcnt(0)
	v_mul_f32_e32 v23, v18, v21
	v_mul_f32_e32 v21, v19, v21
	v_fma_f32 v19, v19, v20, -v23
	v_fmac_f32_e32 v21, v18, v20
	buffer_store_dword v19, off, s[0:3], 0 offset:16
	buffer_store_dword v21, off, s[0:3], 0 offset:20
.LBB71_23:
	s_or_b64 exec, exec, s[6:7]
	s_waitcnt lgkmcnt(0)
	; wave barrier
	buffer_load_dword v18, off, s[0:3], 0 offset:24
	buffer_load_dword v19, off, s[0:3], 0 offset:28
	v_cmp_gt_u32_e32 vcc, 3, v0
	s_waitcnt vmcnt(0)
	ds_write_b64 v1, v[18:19]
	v_add_u32_e32 v18, -1, v0
	s_waitcnt lgkmcnt(0)
	; wave barrier
	s_waitcnt lgkmcnt(0)
	s_and_saveexec_b64 s[4:5], vcc
	s_cbranch_execz .LBB71_27
; %bb.24:
	v_add_u32_e32 v20, -1, v0
	v_add_u32_e32 v21, 64, v22
	v_add_u32_e32 v23, 0, v22
	s_mov_b64 s[6:7], 0
	v_mov_b32_e32 v19, 0
	v_mov_b32_e32 v24, 0
.LBB71_25:                              ; =>This Inner Loop Header: Depth=1
	buffer_load_dword v25, v23, s[0:3], 0 offen offset:4
	buffer_load_dword v28, v23, s[0:3], 0 offen
	ds_read_b64 v[26:27], v21
	v_add_u32_e32 v20, 1, v20
	v_cmp_lt_u32_e32 vcc, 1, v20
	v_add_u32_e32 v21, 8, v21
	v_add_u32_e32 v23, 8, v23
	s_or_b64 s[6:7], vcc, s[6:7]
	s_waitcnt vmcnt(1) lgkmcnt(0)
	v_mul_f32_e32 v29, v27, v25
	v_mul_f32_e32 v25, v26, v25
	s_waitcnt vmcnt(0)
	v_fma_f32 v26, v26, v28, -v29
	v_fmac_f32_e32 v25, v27, v28
	v_add_f32_e32 v24, v24, v26
	v_add_f32_e32 v19, v19, v25
	s_andn2_b64 exec, exec, s[6:7]
	s_cbranch_execnz .LBB71_25
; %bb.26:
	s_or_b64 exec, exec, s[6:7]
	v_mov_b32_e32 v20, 0
	ds_read_b64 v[20:21], v20 offset:24
	s_waitcnt lgkmcnt(0)
	v_mul_f32_e32 v23, v19, v21
	v_mul_f32_e32 v21, v24, v21
	v_fma_f32 v23, v24, v20, -v23
	v_fmac_f32_e32 v21, v19, v20
	buffer_store_dword v23, off, s[0:3], 0 offset:24
	buffer_store_dword v21, off, s[0:3], 0 offset:28
.LBB71_27:
	s_or_b64 exec, exec, s[4:5]
	s_waitcnt lgkmcnt(0)
	; wave barrier
	buffer_load_dword v20, off, s[0:3], 0 offset:32
	buffer_load_dword v21, off, s[0:3], 0 offset:36
	v_cmp_gt_u32_e32 vcc, 4, v0
	s_waitcnt vmcnt(0)
	ds_write_b64 v1, v[20:21]
	s_waitcnt lgkmcnt(0)
	; wave barrier
	s_waitcnt lgkmcnt(0)
	s_and_saveexec_b64 s[4:5], vcc
	s_cbranch_execz .LBB71_31
; %bb.28:
	v_add_u32_e32 v20, -1, v0
	v_add_u32_e32 v21, 64, v22
	v_add_u32_e32 v23, 0, v22
	s_mov_b64 s[6:7], 0
	v_mov_b32_e32 v19, 0
	v_mov_b32_e32 v24, 0
.LBB71_29:                              ; =>This Inner Loop Header: Depth=1
	buffer_load_dword v25, v23, s[0:3], 0 offen offset:4
	buffer_load_dword v28, v23, s[0:3], 0 offen
	ds_read_b64 v[26:27], v21
	v_add_u32_e32 v20, 1, v20
	v_cmp_lt_u32_e32 vcc, 2, v20
	v_add_u32_e32 v21, 8, v21
	v_add_u32_e32 v23, 8, v23
	s_or_b64 s[6:7], vcc, s[6:7]
	s_waitcnt vmcnt(1) lgkmcnt(0)
	v_mul_f32_e32 v29, v27, v25
	v_mul_f32_e32 v25, v26, v25
	s_waitcnt vmcnt(0)
	v_fma_f32 v26, v26, v28, -v29
	v_fmac_f32_e32 v25, v27, v28
	v_add_f32_e32 v24, v24, v26
	v_add_f32_e32 v19, v19, v25
	s_andn2_b64 exec, exec, s[6:7]
	s_cbranch_execnz .LBB71_29
; %bb.30:
	s_or_b64 exec, exec, s[6:7]
	v_mov_b32_e32 v20, 0
	ds_read_b64 v[20:21], v20 offset:32
	s_waitcnt lgkmcnt(0)
	v_mul_f32_e32 v23, v19, v21
	v_mul_f32_e32 v21, v24, v21
	v_fma_f32 v23, v24, v20, -v23
	v_fmac_f32_e32 v21, v19, v20
	buffer_store_dword v23, off, s[0:3], 0 offset:32
	buffer_store_dword v21, off, s[0:3], 0 offset:36
.LBB71_31:
	s_or_b64 exec, exec, s[4:5]
	s_waitcnt lgkmcnt(0)
	; wave barrier
	buffer_load_dword v20, off, s[0:3], 0 offset:40
	buffer_load_dword v21, off, s[0:3], 0 offset:44
	v_cmp_gt_u32_e32 vcc, 5, v0
	s_waitcnt vmcnt(0)
	ds_write_b64 v1, v[20:21]
	;; [unrolled: 51-line block ×3, first 2 shown]
	s_waitcnt lgkmcnt(0)
	; wave barrier
	s_waitcnt lgkmcnt(0)
	s_and_saveexec_b64 s[4:5], vcc
	s_cbranch_execz .LBB71_39
; %bb.36:
	v_add_u32_e32 v20, -1, v0
	v_add_u32_e32 v21, 64, v22
	v_add_u32_e32 v23, 0, v22
	s_mov_b64 s[6:7], 0
	v_mov_b32_e32 v19, 0
	v_mov_b32_e32 v24, 0
.LBB71_37:                              ; =>This Inner Loop Header: Depth=1
	buffer_load_dword v25, v23, s[0:3], 0 offen offset:4
	buffer_load_dword v28, v23, s[0:3], 0 offen
	ds_read_b64 v[26:27], v21
	v_add_u32_e32 v20, 1, v20
	v_cmp_lt_u32_e32 vcc, 4, v20
	v_add_u32_e32 v21, 8, v21
	v_add_u32_e32 v23, 8, v23
	s_or_b64 s[6:7], vcc, s[6:7]
	s_waitcnt vmcnt(1) lgkmcnt(0)
	v_mul_f32_e32 v29, v27, v25
	v_mul_f32_e32 v25, v26, v25
	s_waitcnt vmcnt(0)
	v_fma_f32 v26, v26, v28, -v29
	v_fmac_f32_e32 v25, v27, v28
	v_add_f32_e32 v24, v24, v26
	v_add_f32_e32 v19, v19, v25
	s_andn2_b64 exec, exec, s[6:7]
	s_cbranch_execnz .LBB71_37
; %bb.38:
	s_or_b64 exec, exec, s[6:7]
	v_mov_b32_e32 v20, 0
	ds_read_b64 v[20:21], v20 offset:48
	s_waitcnt lgkmcnt(0)
	v_mul_f32_e32 v23, v19, v21
	v_mul_f32_e32 v21, v24, v21
	v_fma_f32 v23, v24, v20, -v23
	v_fmac_f32_e32 v21, v19, v20
	buffer_store_dword v23, off, s[0:3], 0 offset:48
	buffer_store_dword v21, off, s[0:3], 0 offset:52
.LBB71_39:
	s_or_b64 exec, exec, s[4:5]
	s_waitcnt lgkmcnt(0)
	; wave barrier
	buffer_load_dword v20, off, s[0:3], 0 offset:56
	buffer_load_dword v21, off, s[0:3], 0 offset:60
	v_cmp_ne_u32_e32 vcc, 7, v0
	s_waitcnt vmcnt(0)
	ds_write_b64 v1, v[20:21]
	s_waitcnt lgkmcnt(0)
	; wave barrier
	s_waitcnt lgkmcnt(0)
	s_and_saveexec_b64 s[4:5], vcc
	s_cbranch_execz .LBB71_43
; %bb.40:
	v_add_u32_e32 v20, 0, v22
	s_mov_b64 s[6:7], 0
	v_mov_b32_e32 v19, 0
	v_mov_b32_e32 v21, 0
.LBB71_41:                              ; =>This Inner Loop Header: Depth=1
	buffer_load_dword v24, v20, s[0:3], 0 offen offset:4
	buffer_load_dword v25, v20, s[0:3], 0 offen
	ds_read_b64 v[22:23], v1
	v_add_u32_e32 v18, 1, v18
	v_cmp_lt_u32_e32 vcc, 5, v18
	v_add_u32_e32 v1, 8, v1
	v_add_u32_e32 v20, 8, v20
	s_or_b64 s[6:7], vcc, s[6:7]
	s_waitcnt vmcnt(1) lgkmcnt(0)
	v_mul_f32_e32 v26, v23, v24
	v_mul_f32_e32 v24, v22, v24
	s_waitcnt vmcnt(0)
	v_fma_f32 v22, v22, v25, -v26
	v_fmac_f32_e32 v24, v23, v25
	v_add_f32_e32 v21, v21, v22
	v_add_f32_e32 v19, v19, v24
	s_andn2_b64 exec, exec, s[6:7]
	s_cbranch_execnz .LBB71_41
; %bb.42:
	s_or_b64 exec, exec, s[6:7]
	v_mov_b32_e32 v1, 0
	ds_read_b64 v[22:23], v1 offset:56
	s_waitcnt lgkmcnt(0)
	v_mul_f32_e32 v1, v19, v23
	v_mul_f32_e32 v18, v21, v23
	v_fma_f32 v1, v21, v22, -v1
	v_fmac_f32_e32 v18, v19, v22
	buffer_store_dword v1, off, s[0:3], 0 offset:56
	buffer_store_dword v18, off, s[0:3], 0 offset:60
.LBB71_43:
	s_or_b64 exec, exec, s[4:5]
	s_mov_b64 s[6:7], -1
	s_waitcnt lgkmcnt(0)
	; wave barrier
.LBB71_44:
	s_and_b64 vcc, exec, s[6:7]
	s_cbranch_vccz .LBB71_46
; %bb.45:
	s_lshl_b64 s[4:5], s[8:9], 2
	s_add_u32 s4, s14, s4
	s_addc_u32 s5, s15, s5
	v_mov_b32_e32 v1, 0
	global_load_dword v1, v1, s[4:5]
	s_waitcnt vmcnt(0)
	v_cmp_ne_u32_e32 vcc, 0, v1
	s_cbranch_vccz .LBB71_47
.LBB71_46:
	s_endpgm
.LBB71_47:
	v_lshl_add_u32 v1, v0, 3, 64
	v_cmp_eq_u32_e32 vcc, 7, v0
	s_and_saveexec_b64 s[4:5], vcc
	s_cbranch_execz .LBB71_49
; %bb.48:
	buffer_load_dword v18, off, s[0:3], 0 offset:48
	buffer_load_dword v19, off, s[0:3], 0 offset:52
	v_mov_b32_e32 v20, 0
	buffer_store_dword v20, off, s[0:3], 0 offset:48
	buffer_store_dword v20, off, s[0:3], 0 offset:52
	s_waitcnt vmcnt(2)
	ds_write_b64 v1, v[18:19]
.LBB71_49:
	s_or_b64 exec, exec, s[4:5]
	s_waitcnt lgkmcnt(0)
	; wave barrier
	s_waitcnt lgkmcnt(0)
	buffer_load_dword v21, off, s[0:3], 0 offset:60
	buffer_load_dword v20, off, s[0:3], 0 offset:56
	;; [unrolled: 1-line block ×4, first 2 shown]
	v_mov_b32_e32 v18, 0
	ds_read_b64 v[24:25], v18 offset:120
	v_cmp_lt_u32_e32 vcc, 5, v0
	s_waitcnt vmcnt(3)
	v_mov_b32_e32 v26, v21
	s_waitcnt lgkmcnt(0)
	v_pk_mul_f32 v[26:27], v[24:25], v[26:27] op_sel_hi:[1,0]
	s_waitcnt vmcnt(2)
	v_pk_fma_f32 v[28:29], v[24:25], v[20:21], v[26:27] op_sel:[0,0,1] op_sel_hi:[1,1,0] neg_lo:[0,0,1] neg_hi:[0,0,1]
	v_pk_fma_f32 v[20:21], v[24:25], v[20:21], v[26:27] op_sel:[0,0,1] op_sel_hi:[1,0,0]
	v_mov_b32_e32 v29, v21
	v_pk_add_f32 v[20:21], v[28:29], 0 op_sel_hi:[1,0]
	s_waitcnt vmcnt(0)
	v_pk_add_f32 v[20:21], v[22:23], v[20:21] neg_lo:[0,1] neg_hi:[0,1]
	buffer_store_dword v20, off, s[0:3], 0 offset:48
	buffer_store_dword v21, off, s[0:3], 0 offset:52
	s_and_saveexec_b64 s[4:5], vcc
	s_cbranch_execz .LBB71_51
; %bb.50:
	buffer_load_dword v20, off, s[0:3], 0 offset:40
	buffer_load_dword v21, off, s[0:3], 0 offset:44
	s_waitcnt vmcnt(0)
	ds_write_b64 v1, v[20:21]
	buffer_store_dword v18, off, s[0:3], 0 offset:40
	buffer_store_dword v18, off, s[0:3], 0 offset:44
.LBB71_51:
	s_or_b64 exec, exec, s[4:5]
	s_waitcnt lgkmcnt(0)
	; wave barrier
	s_waitcnt lgkmcnt(0)
	buffer_load_dword v23, off, s[0:3], 0 offset:52
	buffer_load_dword v25, off, s[0:3], 0 offset:60
	;; [unrolled: 1-line block ×6, first 2 shown]
	ds_read_b128 v[18:21], v18 offset:112
	v_cmp_lt_u32_e32 vcc, 4, v0
	s_waitcnt vmcnt(5)
	v_mov_b32_e32 v28, v23
	s_waitcnt vmcnt(4)
	v_mov_b32_e32 v30, v25
	s_waitcnt lgkmcnt(0)
	v_pk_mul_f32 v[28:29], v[18:19], v[28:29] op_sel_hi:[1,0]
	v_pk_mul_f32 v[30:31], v[20:21], v[30:31] op_sel_hi:[1,0]
	s_waitcnt vmcnt(3)
	v_pk_fma_f32 v[32:33], v[18:19], v[22:23], v[28:29] op_sel:[0,0,1] op_sel_hi:[1,1,0] neg_lo:[0,0,1] neg_hi:[0,0,1]
	v_pk_fma_f32 v[18:19], v[18:19], v[22:23], v[28:29] op_sel:[0,0,1] op_sel_hi:[1,0,0]
	s_waitcnt vmcnt(2)
	v_pk_fma_f32 v[22:23], v[20:21], v[24:25], v[30:31] op_sel:[0,0,1] op_sel_hi:[1,1,0] neg_lo:[0,0,1] neg_hi:[0,0,1]
	v_pk_fma_f32 v[20:21], v[20:21], v[24:25], v[30:31] op_sel:[0,0,1] op_sel_hi:[1,0,0]
	v_mov_b32_e32 v33, v19
	v_mov_b32_e32 v23, v21
	v_pk_add_f32 v[18:19], v[32:33], 0 op_sel_hi:[1,0]
	v_pk_add_f32 v[18:19], v[18:19], v[22:23]
	s_waitcnt vmcnt(0)
	v_pk_add_f32 v[18:19], v[26:27], v[18:19] neg_lo:[0,1] neg_hi:[0,1]
	buffer_store_dword v18, off, s[0:3], 0 offset:40
	buffer_store_dword v19, off, s[0:3], 0 offset:44
	s_and_saveexec_b64 s[4:5], vcc
	s_cbranch_execz .LBB71_53
; %bb.52:
	buffer_load_dword v18, off, s[0:3], 0 offset:32
	buffer_load_dword v19, off, s[0:3], 0 offset:36
	v_mov_b32_e32 v20, 0
	buffer_store_dword v20, off, s[0:3], 0 offset:32
	buffer_store_dword v20, off, s[0:3], 0 offset:36
	s_waitcnt vmcnt(2)
	ds_write_b64 v1, v[18:19]
.LBB71_53:
	s_or_b64 exec, exec, s[4:5]
	s_waitcnt lgkmcnt(0)
	; wave barrier
	s_waitcnt lgkmcnt(0)
	buffer_load_dword v25, off, s[0:3], 0 offset:44
	buffer_load_dword v27, off, s[0:3], 0 offset:52
	;; [unrolled: 1-line block ×8, first 2 shown]
	v_mov_b32_e32 v18, 0
	ds_read2_b64 v[20:23], v18 offset0:13 offset1:14
	ds_read_b64 v[32:33], v18 offset:120
	v_cmp_lt_u32_e32 vcc, 3, v0
	s_waitcnt vmcnt(7)
	v_mov_b32_e32 v34, v25
	s_waitcnt vmcnt(6)
	v_mov_b32_e32 v36, v27
	s_waitcnt lgkmcnt(1)
	v_pk_mul_f32 v[34:35], v[20:21], v[34:35] op_sel_hi:[1,0]
	s_waitcnt vmcnt(5)
	v_mov_b32_e32 v38, v29
	v_pk_mul_f32 v[36:37], v[22:23], v[36:37] op_sel_hi:[1,0]
	s_waitcnt vmcnt(4)
	v_pk_fma_f32 v[40:41], v[20:21], v[24:25], v[34:35] op_sel:[0,0,1] op_sel_hi:[1,1,0] neg_lo:[0,0,1] neg_hi:[0,0,1]
	v_pk_fma_f32 v[20:21], v[20:21], v[24:25], v[34:35] op_sel:[0,0,1] op_sel_hi:[1,0,0]
	s_waitcnt lgkmcnt(0)
	v_pk_mul_f32 v[38:39], v[32:33], v[38:39] op_sel_hi:[1,0]
	s_waitcnt vmcnt(3)
	v_pk_fma_f32 v[24:25], v[22:23], v[26:27], v[36:37] op_sel:[0,0,1] op_sel_hi:[1,1,0] neg_lo:[0,0,1] neg_hi:[0,0,1]
	v_pk_fma_f32 v[22:23], v[22:23], v[26:27], v[36:37] op_sel:[0,0,1] op_sel_hi:[1,0,0]
	v_mov_b32_e32 v41, v21
	s_waitcnt vmcnt(2)
	v_pk_fma_f32 v[26:27], v[32:33], v[28:29], v[38:39] op_sel:[0,0,1] op_sel_hi:[1,1,0] neg_lo:[0,0,1] neg_hi:[0,0,1]
	v_pk_fma_f32 v[28:29], v[32:33], v[28:29], v[38:39] op_sel:[0,0,1] op_sel_hi:[1,0,0]
	v_mov_b32_e32 v25, v23
	v_pk_add_f32 v[20:21], v[40:41], 0 op_sel_hi:[1,0]
	v_mov_b32_e32 v27, v29
	v_pk_add_f32 v[20:21], v[20:21], v[24:25]
	v_pk_add_f32 v[20:21], v[20:21], v[26:27]
	s_waitcnt vmcnt(0)
	v_pk_add_f32 v[20:21], v[30:31], v[20:21] neg_lo:[0,1] neg_hi:[0,1]
	buffer_store_dword v20, off, s[0:3], 0 offset:32
	buffer_store_dword v21, off, s[0:3], 0 offset:36
	s_and_saveexec_b64 s[4:5], vcc
	s_cbranch_execz .LBB71_55
; %bb.54:
	buffer_load_dword v20, off, s[0:3], 0 offset:24
	buffer_load_dword v21, off, s[0:3], 0 offset:28
	s_waitcnt vmcnt(0)
	ds_write_b64 v1, v[20:21]
	buffer_store_dword v18, off, s[0:3], 0 offset:24
	buffer_store_dword v18, off, s[0:3], 0 offset:28
.LBB71_55:
	s_or_b64 exec, exec, s[4:5]
	s_waitcnt lgkmcnt(0)
	; wave barrier
	s_waitcnt lgkmcnt(0)
	buffer_load_dword v29, off, s[0:3], 0 offset:36
	buffer_load_dword v31, off, s[0:3], 0 offset:44
	;; [unrolled: 1-line block ×10, first 2 shown]
	ds_read_b128 v[20:23], v18 offset:96
	ds_read_b128 v[24:27], v18 offset:112
	v_cmp_lt_u32_e32 vcc, 2, v0
	s_waitcnt vmcnt(9)
	v_mov_b32_e32 v18, v29
	s_waitcnt vmcnt(8)
	v_mov_b32_e32 v38, v31
	s_waitcnt lgkmcnt(1)
	v_pk_mul_f32 v[18:19], v[20:21], v[18:19] op_sel_hi:[1,0]
	s_waitcnt vmcnt(7)
	v_mov_b32_e32 v40, v33
	v_pk_mul_f32 v[38:39], v[22:23], v[38:39] op_sel_hi:[1,0]
	s_waitcnt vmcnt(5)
	v_pk_fma_f32 v[44:45], v[20:21], v[28:29], v[18:19] op_sel:[0,0,1] op_sel_hi:[1,1,0] neg_lo:[0,0,1] neg_hi:[0,0,1]
	v_pk_fma_f32 v[18:19], v[20:21], v[28:29], v[18:19] op_sel:[0,0,1] op_sel_hi:[1,0,0]
	v_mov_b32_e32 v42, v35
	s_waitcnt lgkmcnt(0)
	v_pk_mul_f32 v[40:41], v[24:25], v[40:41] op_sel_hi:[1,0]
	s_waitcnt vmcnt(4)
	v_pk_fma_f32 v[20:21], v[22:23], v[30:31], v[38:39] op_sel:[0,0,1] op_sel_hi:[1,1,0] neg_lo:[0,0,1] neg_hi:[0,0,1]
	v_pk_fma_f32 v[22:23], v[22:23], v[30:31], v[38:39] op_sel:[0,0,1] op_sel_hi:[1,0,0]
	v_mov_b32_e32 v45, v19
	v_pk_mul_f32 v[42:43], v[26:27], v[42:43] op_sel_hi:[1,0]
	s_waitcnt vmcnt(3)
	v_pk_fma_f32 v[28:29], v[24:25], v[32:33], v[40:41] op_sel:[0,0,1] op_sel_hi:[1,1,0] neg_lo:[0,0,1] neg_hi:[0,0,1]
	v_pk_fma_f32 v[24:25], v[24:25], v[32:33], v[40:41] op_sel:[0,0,1] op_sel_hi:[1,0,0]
	v_mov_b32_e32 v21, v23
	v_pk_add_f32 v[18:19], v[44:45], 0 op_sel_hi:[1,0]
	s_waitcnt vmcnt(2)
	v_pk_fma_f32 v[30:31], v[26:27], v[34:35], v[42:43] op_sel:[0,0,1] op_sel_hi:[1,1,0] neg_lo:[0,0,1] neg_hi:[0,0,1]
	v_pk_fma_f32 v[26:27], v[26:27], v[34:35], v[42:43] op_sel:[0,0,1] op_sel_hi:[1,0,0]
	v_mov_b32_e32 v29, v25
	v_pk_add_f32 v[18:19], v[18:19], v[20:21]
	v_mov_b32_e32 v31, v27
	v_pk_add_f32 v[18:19], v[18:19], v[28:29]
	v_pk_add_f32 v[18:19], v[18:19], v[30:31]
	s_waitcnt vmcnt(0)
	v_pk_add_f32 v[18:19], v[36:37], v[18:19] neg_lo:[0,1] neg_hi:[0,1]
	buffer_store_dword v18, off, s[0:3], 0 offset:24
	buffer_store_dword v19, off, s[0:3], 0 offset:28
	s_and_saveexec_b64 s[4:5], vcc
	s_cbranch_execz .LBB71_57
; %bb.56:
	buffer_load_dword v18, off, s[0:3], 0 offset:16
	buffer_load_dword v19, off, s[0:3], 0 offset:20
	v_mov_b32_e32 v20, 0
	buffer_store_dword v20, off, s[0:3], 0 offset:16
	buffer_store_dword v20, off, s[0:3], 0 offset:20
	s_waitcnt vmcnt(2)
	ds_write_b64 v1, v[18:19]
.LBB71_57:
	s_or_b64 exec, exec, s[4:5]
	s_waitcnt lgkmcnt(0)
	; wave barrier
	s_waitcnt lgkmcnt(0)
	buffer_load_dword v29, off, s[0:3], 0 offset:28
	buffer_load_dword v31, off, s[0:3], 0 offset:36
	;; [unrolled: 1-line block ×12, first 2 shown]
	v_mov_b32_e32 v18, 0
	ds_read2_b64 v[20:23], v18 offset0:11 offset1:12
	ds_read2_b64 v[24:27], v18 offset0:13 offset1:14
	ds_read_b64 v[40:41], v18 offset:120
	v_cmp_lt_u32_e32 vcc, 1, v0
	s_waitcnt vmcnt(11)
	v_mov_b32_e32 v42, v29
	s_waitcnt vmcnt(10)
	v_mov_b32_e32 v44, v31
	s_waitcnt lgkmcnt(2)
	v_pk_mul_f32 v[42:43], v[20:21], v[42:43] op_sel_hi:[1,0]
	s_waitcnt vmcnt(9)
	v_mov_b32_e32 v46, v33
	v_pk_mul_f32 v[44:45], v[22:23], v[44:45] op_sel_hi:[1,0]
	s_waitcnt vmcnt(6)
	v_pk_fma_f32 v[52:53], v[20:21], v[28:29], v[42:43] op_sel:[0,0,1] op_sel_hi:[1,1,0] neg_lo:[0,0,1] neg_hi:[0,0,1]
	v_pk_fma_f32 v[20:21], v[20:21], v[28:29], v[42:43] op_sel:[0,0,1] op_sel_hi:[1,0,0]
	v_mov_b32_e32 v48, v35
	s_waitcnt lgkmcnt(1)
	v_pk_mul_f32 v[46:47], v[24:25], v[46:47] op_sel_hi:[1,0]
	s_waitcnt vmcnt(5)
	v_pk_fma_f32 v[28:29], v[22:23], v[30:31], v[44:45] op_sel:[0,0,1] op_sel_hi:[1,1,0] neg_lo:[0,0,1] neg_hi:[0,0,1]
	v_pk_fma_f32 v[22:23], v[22:23], v[30:31], v[44:45] op_sel:[0,0,1] op_sel_hi:[1,0,0]
	v_mov_b32_e32 v53, v21
	v_mov_b32_e32 v50, v37
	v_pk_mul_f32 v[48:49], v[26:27], v[48:49] op_sel_hi:[1,0]
	s_waitcnt vmcnt(4)
	v_pk_fma_f32 v[30:31], v[24:25], v[32:33], v[46:47] op_sel:[0,0,1] op_sel_hi:[1,1,0] neg_lo:[0,0,1] neg_hi:[0,0,1]
	v_pk_fma_f32 v[24:25], v[24:25], v[32:33], v[46:47] op_sel:[0,0,1] op_sel_hi:[1,0,0]
	v_mov_b32_e32 v29, v23
	v_pk_add_f32 v[20:21], v[52:53], 0 op_sel_hi:[1,0]
	s_waitcnt lgkmcnt(0)
	v_pk_mul_f32 v[50:51], v[40:41], v[50:51] op_sel_hi:[1,0]
	s_waitcnt vmcnt(3)
	v_pk_fma_f32 v[32:33], v[26:27], v[34:35], v[48:49] op_sel:[0,0,1] op_sel_hi:[1,1,0] neg_lo:[0,0,1] neg_hi:[0,0,1]
	v_pk_fma_f32 v[26:27], v[26:27], v[34:35], v[48:49] op_sel:[0,0,1] op_sel_hi:[1,0,0]
	v_mov_b32_e32 v31, v25
	v_pk_add_f32 v[20:21], v[20:21], v[28:29]
	s_waitcnt vmcnt(2)
	v_pk_fma_f32 v[34:35], v[40:41], v[36:37], v[50:51] op_sel:[0,0,1] op_sel_hi:[1,1,0] neg_lo:[0,0,1] neg_hi:[0,0,1]
	v_pk_fma_f32 v[36:37], v[40:41], v[36:37], v[50:51] op_sel:[0,0,1] op_sel_hi:[1,0,0]
	v_mov_b32_e32 v33, v27
	v_pk_add_f32 v[20:21], v[20:21], v[30:31]
	v_mov_b32_e32 v35, v37
	v_pk_add_f32 v[20:21], v[20:21], v[32:33]
	v_pk_add_f32 v[20:21], v[20:21], v[34:35]
	s_waitcnt vmcnt(0)
	v_pk_add_f32 v[20:21], v[38:39], v[20:21] neg_lo:[0,1] neg_hi:[0,1]
	buffer_store_dword v20, off, s[0:3], 0 offset:16
	buffer_store_dword v21, off, s[0:3], 0 offset:20
	s_and_saveexec_b64 s[4:5], vcc
	s_cbranch_execz .LBB71_59
; %bb.58:
	buffer_load_dword v20, off, s[0:3], 0 offset:8
	buffer_load_dword v21, off, s[0:3], 0 offset:12
	s_waitcnt vmcnt(0)
	ds_write_b64 v1, v[20:21]
	buffer_store_dword v18, off, s[0:3], 0 offset:8
	buffer_store_dword v18, off, s[0:3], 0 offset:12
.LBB71_59:
	s_or_b64 exec, exec, s[4:5]
	s_waitcnt lgkmcnt(0)
	; wave barrier
	s_waitcnt lgkmcnt(0)
	buffer_load_dword v33, off, s[0:3], 0 offset:20
	buffer_load_dword v35, off, s[0:3], 0 offset:28
	;; [unrolled: 1-line block ×14, first 2 shown]
	ds_read_b128 v[20:23], v18 offset:80
	ds_read_b128 v[24:27], v18 offset:96
	;; [unrolled: 1-line block ×3, first 2 shown]
	v_cmp_ne_u32_e32 vcc, 0, v0
	s_waitcnt vmcnt(13)
	v_mov_b32_e32 v18, v33
	s_waitcnt vmcnt(12)
	v_mov_b32_e32 v46, v35
	s_waitcnt lgkmcnt(2)
	v_pk_mul_f32 v[18:19], v[20:21], v[18:19] op_sel_hi:[1,0]
	s_waitcnt vmcnt(11)
	v_mov_b32_e32 v48, v37
	v_pk_mul_f32 v[46:47], v[22:23], v[46:47] op_sel_hi:[1,0]
	s_waitcnt vmcnt(10)
	v_mov_b32_e32 v50, v39
	s_waitcnt vmcnt(7)
	v_pk_fma_f32 v[56:57], v[20:21], v[32:33], v[18:19] op_sel:[0,0,1] op_sel_hi:[1,1,0] neg_lo:[0,0,1] neg_hi:[0,0,1]
	v_pk_fma_f32 v[18:19], v[20:21], v[32:33], v[18:19] op_sel:[0,0,1] op_sel_hi:[1,0,0]
	s_waitcnt lgkmcnt(1)
	v_pk_mul_f32 v[48:49], v[24:25], v[48:49] op_sel_hi:[1,0]
	s_waitcnt vmcnt(6)
	v_pk_fma_f32 v[20:21], v[22:23], v[34:35], v[46:47] op_sel:[0,0,1] op_sel_hi:[1,1,0] neg_lo:[0,0,1] neg_hi:[0,0,1]
	v_pk_fma_f32 v[22:23], v[22:23], v[34:35], v[46:47] op_sel:[0,0,1] op_sel_hi:[1,0,0]
	v_mov_b32_e32 v57, v19
	v_mov_b32_e32 v52, v41
	v_pk_mul_f32 v[50:51], v[26:27], v[50:51] op_sel_hi:[1,0]
	s_waitcnt vmcnt(5)
	v_pk_fma_f32 v[32:33], v[24:25], v[36:37], v[48:49] op_sel:[0,0,1] op_sel_hi:[1,1,0] neg_lo:[0,0,1] neg_hi:[0,0,1]
	v_pk_fma_f32 v[24:25], v[24:25], v[36:37], v[48:49] op_sel:[0,0,1] op_sel_hi:[1,0,0]
	v_mov_b32_e32 v21, v23
	v_pk_add_f32 v[18:19], v[56:57], 0 op_sel_hi:[1,0]
	v_mov_b32_e32 v54, v43
	s_waitcnt lgkmcnt(0)
	v_pk_mul_f32 v[52:53], v[28:29], v[52:53] op_sel_hi:[1,0]
	s_waitcnt vmcnt(4)
	v_pk_fma_f32 v[34:35], v[26:27], v[38:39], v[50:51] op_sel:[0,0,1] op_sel_hi:[1,1,0] neg_lo:[0,0,1] neg_hi:[0,0,1]
	v_pk_fma_f32 v[26:27], v[26:27], v[38:39], v[50:51] op_sel:[0,0,1] op_sel_hi:[1,0,0]
	v_mov_b32_e32 v33, v25
	v_pk_add_f32 v[18:19], v[18:19], v[20:21]
	v_pk_mul_f32 v[54:55], v[30:31], v[54:55] op_sel_hi:[1,0]
	s_waitcnt vmcnt(3)
	v_pk_fma_f32 v[36:37], v[28:29], v[40:41], v[52:53] op_sel:[0,0,1] op_sel_hi:[1,1,0] neg_lo:[0,0,1] neg_hi:[0,0,1]
	v_pk_fma_f32 v[28:29], v[28:29], v[40:41], v[52:53] op_sel:[0,0,1] op_sel_hi:[1,0,0]
	v_mov_b32_e32 v35, v27
	v_pk_add_f32 v[18:19], v[18:19], v[32:33]
	s_waitcnt vmcnt(2)
	v_pk_fma_f32 v[38:39], v[30:31], v[42:43], v[54:55] op_sel:[0,0,1] op_sel_hi:[1,1,0] neg_lo:[0,0,1] neg_hi:[0,0,1]
	v_pk_fma_f32 v[30:31], v[30:31], v[42:43], v[54:55] op_sel:[0,0,1] op_sel_hi:[1,0,0]
	v_mov_b32_e32 v37, v29
	v_pk_add_f32 v[18:19], v[18:19], v[34:35]
	v_mov_b32_e32 v39, v31
	v_pk_add_f32 v[18:19], v[18:19], v[36:37]
	v_pk_add_f32 v[18:19], v[18:19], v[38:39]
	s_waitcnt vmcnt(0)
	v_pk_add_f32 v[18:19], v[44:45], v[18:19] neg_lo:[0,1] neg_hi:[0,1]
	buffer_store_dword v18, off, s[0:3], 0 offset:8
	buffer_store_dword v19, off, s[0:3], 0 offset:12
	s_and_saveexec_b64 s[4:5], vcc
	s_cbranch_execz .LBB71_61
; %bb.60:
	buffer_load_dword v18, off, s[0:3], 0
	buffer_load_dword v19, off, s[0:3], 0 offset:4
	v_mov_b32_e32 v0, 0
	buffer_store_dword v0, off, s[0:3], 0
	buffer_store_dword v0, off, s[0:3], 0 offset:4
	s_waitcnt vmcnt(2)
	ds_write_b64 v1, v[18:19]
.LBB71_61:
	s_or_b64 exec, exec, s[4:5]
	s_waitcnt lgkmcnt(0)
	; wave barrier
	s_waitcnt lgkmcnt(0)
	buffer_load_dword v1, off, s[0:3], 0 offset:12
	buffer_load_dword v31, off, s[0:3], 0 offset:20
	;; [unrolled: 1-line block ×14, first 2 shown]
	buffer_load_dword v42, off, s[0:3], 0
	buffer_load_dword v43, off, s[0:3], 0 offset:4
	v_mov_b32_e32 v44, 0
	ds_read2_b64 v[18:21], v44 offset0:9 offset1:10
	ds_read2_b64 v[22:25], v44 offset0:11 offset1:12
	;; [unrolled: 1-line block ×3, first 2 shown]
	ds_read_b64 v[44:45], v44 offset:120
	s_and_b64 vcc, exec, s[16:17]
	s_waitcnt vmcnt(15)
	v_mov_b32_e32 v46, v1
	s_waitcnt vmcnt(14)
	v_mov_b32_e32 v48, v31
	s_waitcnt lgkmcnt(3)
	v_pk_mul_f32 v[46:47], v[18:19], v[46:47] op_sel_hi:[1,0]
	s_waitcnt vmcnt(13)
	v_mov_b32_e32 v50, v33
	v_pk_mul_f32 v[48:49], v[20:21], v[48:49] op_sel_hi:[1,0]
	s_waitcnt vmcnt(12)
	v_mov_b32_e32 v52, v35
	s_waitcnt lgkmcnt(2)
	v_pk_mul_f32 v[50:51], v[22:23], v[50:51] op_sel_hi:[1,0]
	s_waitcnt vmcnt(8)
	v_pk_fma_f32 v[60:61], v[18:19], v[0:1], v[46:47] op_sel:[0,0,1] op_sel_hi:[1,1,0] neg_lo:[0,0,1] neg_hi:[0,0,1]
	v_pk_fma_f32 v[0:1], v[18:19], v[0:1], v[46:47] op_sel:[0,0,1] op_sel_hi:[1,0,0]
	s_waitcnt vmcnt(7)
	v_pk_fma_f32 v[18:19], v[20:21], v[30:31], v[48:49] op_sel:[0,0,1] op_sel_hi:[1,1,0] neg_lo:[0,0,1] neg_hi:[0,0,1]
	v_pk_fma_f32 v[20:21], v[20:21], v[30:31], v[48:49] op_sel:[0,0,1] op_sel_hi:[1,0,0]
	v_mov_b32_e32 v61, v1
	v_mov_b32_e32 v54, v37
	v_pk_mul_f32 v[52:53], v[24:25], v[52:53] op_sel_hi:[1,0]
	s_waitcnt vmcnt(6)
	v_pk_fma_f32 v[30:31], v[22:23], v[32:33], v[50:51] op_sel:[0,0,1] op_sel_hi:[1,1,0] neg_lo:[0,0,1] neg_hi:[0,0,1]
	v_pk_fma_f32 v[22:23], v[22:23], v[32:33], v[50:51] op_sel:[0,0,1] op_sel_hi:[1,0,0]
	v_mov_b32_e32 v19, v21
	v_pk_add_f32 v[0:1], v[60:61], 0 op_sel_hi:[1,0]
	v_mov_b32_e32 v56, v39
	s_waitcnt lgkmcnt(1)
	v_pk_mul_f32 v[54:55], v[26:27], v[54:55] op_sel_hi:[1,0]
	s_waitcnt vmcnt(5)
	v_pk_fma_f32 v[32:33], v[24:25], v[34:35], v[52:53] op_sel:[0,0,1] op_sel_hi:[1,1,0] neg_lo:[0,0,1] neg_hi:[0,0,1]
	v_pk_fma_f32 v[24:25], v[24:25], v[34:35], v[52:53] op_sel:[0,0,1] op_sel_hi:[1,0,0]
	v_mov_b32_e32 v31, v23
	v_pk_add_f32 v[0:1], v[0:1], v[18:19]
	v_mov_b32_e32 v58, v41
	v_pk_mul_f32 v[56:57], v[28:29], v[56:57] op_sel_hi:[1,0]
	s_waitcnt vmcnt(4)
	v_pk_fma_f32 v[34:35], v[26:27], v[36:37], v[54:55] op_sel:[0,0,1] op_sel_hi:[1,1,0] neg_lo:[0,0,1] neg_hi:[0,0,1]
	v_pk_fma_f32 v[26:27], v[26:27], v[36:37], v[54:55] op_sel:[0,0,1] op_sel_hi:[1,0,0]
	v_mov_b32_e32 v33, v25
	v_pk_add_f32 v[0:1], v[0:1], v[30:31]
	s_waitcnt lgkmcnt(0)
	v_pk_mul_f32 v[58:59], v[44:45], v[58:59] op_sel_hi:[1,0]
	s_waitcnt vmcnt(3)
	v_pk_fma_f32 v[36:37], v[28:29], v[38:39], v[56:57] op_sel:[0,0,1] op_sel_hi:[1,1,0] neg_lo:[0,0,1] neg_hi:[0,0,1]
	v_pk_fma_f32 v[28:29], v[28:29], v[38:39], v[56:57] op_sel:[0,0,1] op_sel_hi:[1,0,0]
	v_mov_b32_e32 v35, v27
	v_pk_add_f32 v[0:1], v[0:1], v[32:33]
	s_waitcnt vmcnt(2)
	v_pk_fma_f32 v[38:39], v[44:45], v[40:41], v[58:59] op_sel:[0,0,1] op_sel_hi:[1,1,0] neg_lo:[0,0,1] neg_hi:[0,0,1]
	v_pk_fma_f32 v[40:41], v[44:45], v[40:41], v[58:59] op_sel:[0,0,1] op_sel_hi:[1,0,0]
	v_mov_b32_e32 v37, v29
	v_pk_add_f32 v[0:1], v[0:1], v[34:35]
	v_mov_b32_e32 v39, v41
	v_pk_add_f32 v[0:1], v[0:1], v[36:37]
	v_pk_add_f32 v[0:1], v[0:1], v[38:39]
	s_waitcnt vmcnt(0)
	v_pk_add_f32 v[0:1], v[42:43], v[0:1] neg_lo:[0,1] neg_hi:[0,1]
	buffer_store_dword v0, off, s[0:3], 0
	buffer_store_dword v1, off, s[0:3], 0 offset:4
	s_cbranch_vccz .LBB71_77
; %bb.62:
	v_pk_mov_b32 v[0:1], s[10:11], s[10:11] op_sel:[0,1]
	flat_load_dword v0, v[0:1] offset:24
	s_waitcnt vmcnt(0) lgkmcnt(0)
	v_add_u32_e32 v0, -1, v0
	v_cmp_ne_u32_e32 vcc, 6, v0
	s_and_saveexec_b64 s[4:5], vcc
	s_cbranch_execz .LBB71_64
; %bb.63:
	v_mov_b32_e32 v1, 0
	v_lshl_add_u32 v0, v0, 3, v1
	buffer_load_dword v1, v0, s[0:3], 0 offen
	buffer_load_dword v18, v0, s[0:3], 0 offen offset:4
	buffer_load_dword v19, off, s[0:3], 0 offset:52
	buffer_load_dword v20, off, s[0:3], 0 offset:48
	s_waitcnt vmcnt(3)
	buffer_store_dword v1, off, s[0:3], 0 offset:48
	s_waitcnt vmcnt(3)
	buffer_store_dword v18, off, s[0:3], 0 offset:52
	s_waitcnt vmcnt(3)
	buffer_store_dword v19, v0, s[0:3], 0 offen offset:4
	s_waitcnt vmcnt(3)
	buffer_store_dword v20, v0, s[0:3], 0 offen
.LBB71_64:
	s_or_b64 exec, exec, s[4:5]
	v_pk_mov_b32 v[0:1], s[10:11], s[10:11] op_sel:[0,1]
	flat_load_dword v0, v[0:1] offset:20
	s_waitcnt vmcnt(0) lgkmcnt(0)
	v_add_u32_e32 v0, -1, v0
	v_cmp_ne_u32_e32 vcc, 5, v0
	s_and_saveexec_b64 s[4:5], vcc
	s_cbranch_execz .LBB71_66
; %bb.65:
	v_mov_b32_e32 v1, 0
	v_lshl_add_u32 v0, v0, 3, v1
	buffer_load_dword v1, v0, s[0:3], 0 offen
	buffer_load_dword v18, v0, s[0:3], 0 offen offset:4
	buffer_load_dword v19, off, s[0:3], 0 offset:40
	buffer_load_dword v20, off, s[0:3], 0 offset:44
	s_waitcnt vmcnt(3)
	buffer_store_dword v1, off, s[0:3], 0 offset:40
	s_waitcnt vmcnt(3)
	buffer_store_dword v18, off, s[0:3], 0 offset:44
	s_waitcnt vmcnt(3)
	buffer_store_dword v19, v0, s[0:3], 0 offen
	s_waitcnt vmcnt(3)
	buffer_store_dword v20, v0, s[0:3], 0 offen offset:4
.LBB71_66:
	s_or_b64 exec, exec, s[4:5]
	v_pk_mov_b32 v[0:1], s[10:11], s[10:11] op_sel:[0,1]
	flat_load_dword v0, v[0:1] offset:16
	s_waitcnt vmcnt(0) lgkmcnt(0)
	v_add_u32_e32 v0, -1, v0
	v_cmp_ne_u32_e32 vcc, 4, v0
	s_and_saveexec_b64 s[4:5], vcc
	s_cbranch_execz .LBB71_68
; %bb.67:
	v_mov_b32_e32 v1, 0
	v_lshl_add_u32 v0, v0, 3, v1
	buffer_load_dword v1, v0, s[0:3], 0 offen
	buffer_load_dword v18, v0, s[0:3], 0 offen offset:4
	buffer_load_dword v19, off, s[0:3], 0 offset:36
	buffer_load_dword v20, off, s[0:3], 0 offset:32
	s_waitcnt vmcnt(3)
	buffer_store_dword v1, off, s[0:3], 0 offset:32
	s_waitcnt vmcnt(3)
	buffer_store_dword v18, off, s[0:3], 0 offset:36
	s_waitcnt vmcnt(3)
	buffer_store_dword v19, v0, s[0:3], 0 offen offset:4
	s_waitcnt vmcnt(3)
	buffer_store_dword v20, v0, s[0:3], 0 offen
.LBB71_68:
	s_or_b64 exec, exec, s[4:5]
	v_pk_mov_b32 v[0:1], s[10:11], s[10:11] op_sel:[0,1]
	flat_load_dword v0, v[0:1] offset:12
	s_waitcnt vmcnt(0) lgkmcnt(0)
	v_add_u32_e32 v0, -1, v0
	v_cmp_ne_u32_e32 vcc, 3, v0
	s_and_saveexec_b64 s[4:5], vcc
	s_cbranch_execz .LBB71_70
; %bb.69:
	v_mov_b32_e32 v1, 0
	v_lshl_add_u32 v0, v0, 3, v1
	buffer_load_dword v1, v0, s[0:3], 0 offen
	buffer_load_dword v18, v0, s[0:3], 0 offen offset:4
	buffer_load_dword v19, off, s[0:3], 0 offset:24
	buffer_load_dword v20, off, s[0:3], 0 offset:28
	s_waitcnt vmcnt(3)
	buffer_store_dword v1, off, s[0:3], 0 offset:24
	s_waitcnt vmcnt(3)
	buffer_store_dword v18, off, s[0:3], 0 offset:28
	s_waitcnt vmcnt(3)
	buffer_store_dword v19, v0, s[0:3], 0 offen
	s_waitcnt vmcnt(3)
	buffer_store_dword v20, v0, s[0:3], 0 offen offset:4
.LBB71_70:
	s_or_b64 exec, exec, s[4:5]
	;; [unrolled: 48-line block ×3, first 2 shown]
	v_pk_mov_b32 v[0:1], s[10:11], s[10:11] op_sel:[0,1]
	flat_load_dword v18, v[0:1]
	s_nop 0
	buffer_load_dword v0, off, s[0:3], 0
	buffer_load_dword v1, off, s[0:3], 0 offset:4
	s_waitcnt vmcnt(0) lgkmcnt(0)
	v_add_u32_e32 v18, -1, v18
	v_cmp_ne_u32_e32 vcc, 0, v18
	s_and_saveexec_b64 s[4:5], vcc
	s_cbranch_execz .LBB71_76
; %bb.75:
	v_mov_b32_e32 v19, 0
	v_lshl_add_u32 v18, v18, 3, v19
	buffer_load_dword v19, v18, s[0:3], 0 offen offset:4
	buffer_load_dword v20, v18, s[0:3], 0 offen
	s_waitcnt vmcnt(1)
	buffer_store_dword v19, off, s[0:3], 0 offset:4
	s_waitcnt vmcnt(1)
	buffer_store_dword v20, off, s[0:3], 0
	buffer_store_dword v1, v18, s[0:3], 0 offen offset:4
	buffer_store_dword v0, v18, s[0:3], 0 offen
	buffer_load_dword v0, off, s[0:3], 0
	s_nop 0
	buffer_load_dword v1, off, s[0:3], 0 offset:4
.LBB71_76:
	s_or_b64 exec, exec, s[4:5]
.LBB71_77:
	buffer_load_dword v18, off, s[0:3], 0 offset:8
	buffer_load_dword v19, off, s[0:3], 0 offset:12
	;; [unrolled: 1-line block ×14, first 2 shown]
	s_waitcnt vmcnt(14)
	global_store_dwordx2 v[2:3], v[0:1], off
	s_waitcnt vmcnt(13)
	global_store_dwordx2 v[4:5], v[18:19], off
	;; [unrolled: 2-line block ×8, first 2 shown]
	s_endpgm
	.section	.rodata,"a",@progbits
	.p2align	6, 0x0
	.amdhsa_kernel _ZN9rocsolver6v33100L18getri_kernel_smallILi8E19rocblas_complex_numIfEPKPS3_EEvT1_iilPiilS8_bb
		.amdhsa_group_segment_fixed_size 132
		.amdhsa_private_segment_fixed_size 80
		.amdhsa_kernarg_size 60
		.amdhsa_user_sgpr_count 8
		.amdhsa_user_sgpr_private_segment_buffer 1
		.amdhsa_user_sgpr_dispatch_ptr 0
		.amdhsa_user_sgpr_queue_ptr 0
		.amdhsa_user_sgpr_kernarg_segment_ptr 1
		.amdhsa_user_sgpr_dispatch_id 0
		.amdhsa_user_sgpr_flat_scratch_init 1
		.amdhsa_user_sgpr_kernarg_preload_length 0
		.amdhsa_user_sgpr_kernarg_preload_offset 0
		.amdhsa_user_sgpr_private_segment_size 0
		.amdhsa_uses_dynamic_stack 0
		.amdhsa_system_sgpr_private_segment_wavefront_offset 1
		.amdhsa_system_sgpr_workgroup_id_x 1
		.amdhsa_system_sgpr_workgroup_id_y 0
		.amdhsa_system_sgpr_workgroup_id_z 0
		.amdhsa_system_sgpr_workgroup_info 0
		.amdhsa_system_vgpr_workitem_id 0
		.amdhsa_next_free_vgpr 62
		.amdhsa_next_free_sgpr 22
		.amdhsa_accum_offset 64
		.amdhsa_reserve_vcc 1
		.amdhsa_reserve_flat_scratch 1
		.amdhsa_float_round_mode_32 0
		.amdhsa_float_round_mode_16_64 0
		.amdhsa_float_denorm_mode_32 3
		.amdhsa_float_denorm_mode_16_64 3
		.amdhsa_dx10_clamp 1
		.amdhsa_ieee_mode 1
		.amdhsa_fp16_overflow 0
		.amdhsa_tg_split 0
		.amdhsa_exception_fp_ieee_invalid_op 0
		.amdhsa_exception_fp_denorm_src 0
		.amdhsa_exception_fp_ieee_div_zero 0
		.amdhsa_exception_fp_ieee_overflow 0
		.amdhsa_exception_fp_ieee_underflow 0
		.amdhsa_exception_fp_ieee_inexact 0
		.amdhsa_exception_int_div_zero 0
	.end_amdhsa_kernel
	.section	.text._ZN9rocsolver6v33100L18getri_kernel_smallILi8E19rocblas_complex_numIfEPKPS3_EEvT1_iilPiilS8_bb,"axG",@progbits,_ZN9rocsolver6v33100L18getri_kernel_smallILi8E19rocblas_complex_numIfEPKPS3_EEvT1_iilPiilS8_bb,comdat
.Lfunc_end71:
	.size	_ZN9rocsolver6v33100L18getri_kernel_smallILi8E19rocblas_complex_numIfEPKPS3_EEvT1_iilPiilS8_bb, .Lfunc_end71-_ZN9rocsolver6v33100L18getri_kernel_smallILi8E19rocblas_complex_numIfEPKPS3_EEvT1_iilPiilS8_bb
                                        ; -- End function
	.section	.AMDGPU.csdata,"",@progbits
; Kernel info:
; codeLenInByte = 6852
; NumSgprs: 28
; NumVgprs: 62
; NumAgprs: 0
; TotalNumVgprs: 62
; ScratchSize: 80
; MemoryBound: 0
; FloatMode: 240
; IeeeMode: 1
; LDSByteSize: 132 bytes/workgroup (compile time only)
; SGPRBlocks: 3
; VGPRBlocks: 7
; NumSGPRsForWavesPerEU: 28
; NumVGPRsForWavesPerEU: 62
; AccumOffset: 64
; Occupancy: 8
; WaveLimiterHint : 1
; COMPUTE_PGM_RSRC2:SCRATCH_EN: 1
; COMPUTE_PGM_RSRC2:USER_SGPR: 8
; COMPUTE_PGM_RSRC2:TRAP_HANDLER: 0
; COMPUTE_PGM_RSRC2:TGID_X_EN: 1
; COMPUTE_PGM_RSRC2:TGID_Y_EN: 0
; COMPUTE_PGM_RSRC2:TGID_Z_EN: 0
; COMPUTE_PGM_RSRC2:TIDIG_COMP_CNT: 0
; COMPUTE_PGM_RSRC3_GFX90A:ACCUM_OFFSET: 15
; COMPUTE_PGM_RSRC3_GFX90A:TG_SPLIT: 0
	.section	.text._ZN9rocsolver6v33100L18getri_kernel_smallILi9E19rocblas_complex_numIfEPKPS3_EEvT1_iilPiilS8_bb,"axG",@progbits,_ZN9rocsolver6v33100L18getri_kernel_smallILi9E19rocblas_complex_numIfEPKPS3_EEvT1_iilPiilS8_bb,comdat
	.globl	_ZN9rocsolver6v33100L18getri_kernel_smallILi9E19rocblas_complex_numIfEPKPS3_EEvT1_iilPiilS8_bb ; -- Begin function _ZN9rocsolver6v33100L18getri_kernel_smallILi9E19rocblas_complex_numIfEPKPS3_EEvT1_iilPiilS8_bb
	.p2align	8
	.type	_ZN9rocsolver6v33100L18getri_kernel_smallILi9E19rocblas_complex_numIfEPKPS3_EEvT1_iilPiilS8_bb,@function
_ZN9rocsolver6v33100L18getri_kernel_smallILi9E19rocblas_complex_numIfEPKPS3_EEvT1_iilPiilS8_bb: ; @_ZN9rocsolver6v33100L18getri_kernel_smallILi9E19rocblas_complex_numIfEPKPS3_EEvT1_iilPiilS8_bb
; %bb.0:
	s_add_u32 flat_scratch_lo, s6, s9
	s_addc_u32 flat_scratch_hi, s7, 0
	s_add_u32 s0, s0, s9
	s_addc_u32 s1, s1, 0
	v_cmp_gt_u32_e32 vcc, 9, v0
	s_and_saveexec_b64 s[6:7], vcc
	s_cbranch_execz .LBB72_50
; %bb.1:
	s_load_dword s18, s[4:5], 0x38
	s_load_dwordx2 s[6:7], s[4:5], 0x0
	s_load_dwordx4 s[12:15], s[4:5], 0x28
	s_waitcnt lgkmcnt(0)
	s_bitcmp1_b32 s18, 8
	s_cselect_b64 s[16:17], -1, 0
	s_ashr_i32 s9, s8, 31
	s_lshl_b64 s[10:11], s[8:9], 3
	s_add_u32 s6, s6, s10
	s_addc_u32 s7, s7, s11
	s_load_dwordx2 s[6:7], s[6:7], 0x0
	s_bfe_u32 s10, s18, 0x10008
	s_cmp_eq_u32 s10, 0
                                        ; implicit-def: $sgpr10_sgpr11
	s_cbranch_scc1 .LBB72_3
; %bb.2:
	s_load_dword s10, s[4:5], 0x20
	s_load_dwordx2 s[20:21], s[4:5], 0x18
	s_mul_i32 s11, s8, s13
	s_mul_hi_u32 s13, s8, s12
	s_add_i32 s13, s13, s11
	s_mul_i32 s19, s9, s12
	s_add_i32 s13, s13, s19
	s_mul_i32 s12, s8, s12
	s_waitcnt lgkmcnt(0)
	s_ashr_i32 s11, s10, 31
	s_lshl_b64 s[12:13], s[12:13], 2
	s_add_u32 s12, s20, s12
	s_addc_u32 s13, s21, s13
	s_lshl_b64 s[10:11], s[10:11], 2
	s_add_u32 s10, s12, s10
	s_addc_u32 s11, s13, s11
.LBB72_3:
	s_load_dwordx2 s[4:5], s[4:5], 0x8
	v_lshlrev_b32_e32 v24, 3, v0
	s_waitcnt lgkmcnt(0)
	s_ashr_i32 s13, s4, 31
	s_mov_b32 s12, s4
	s_lshl_b64 s[12:13], s[12:13], 3
	s_add_u32 s6, s6, s12
	s_addc_u32 s7, s7, s13
	v_mov_b32_e32 v1, s7
	v_add_co_u32_e32 v2, vcc, s6, v24
	s_ashr_i32 s13, s5, 31
	s_mov_b32 s12, s5
	s_add_i32 s4, s5, s5
	v_addc_co_u32_e32 v3, vcc, 0, v1, vcc
	s_lshl_b64 s[12:13], s[12:13], 3
	v_add_u32_e32 v8, s4, v0
	v_mov_b32_e32 v1, s13
	v_add_co_u32_e32 v4, vcc, s12, v2
	v_ashrrev_i32_e32 v9, 31, v8
	v_addc_co_u32_e32 v5, vcc, v3, v1, vcc
	v_lshlrev_b64 v[6:7], 3, v[8:9]
	v_add_u32_e32 v10, s5, v8
	v_mov_b32_e32 v1, s7
	v_add_co_u32_e32 v6, vcc, s6, v6
	v_ashrrev_i32_e32 v11, 31, v10
	v_addc_co_u32_e32 v7, vcc, v1, v7, vcc
	v_lshlrev_b64 v[8:9], 3, v[10:11]
	v_add_u32_e32 v12, s5, v10
	v_add_co_u32_e32 v8, vcc, s6, v8
	v_ashrrev_i32_e32 v13, 31, v12
	v_addc_co_u32_e32 v9, vcc, v1, v9, vcc
	v_lshlrev_b64 v[10:11], 3, v[12:13]
	v_add_u32_e32 v14, s5, v12
	;; [unrolled: 5-line block ×4, first 2 shown]
	v_add_co_u32_e32 v14, vcc, s6, v14
	v_ashrrev_i32_e32 v19, 31, v18
	v_addc_co_u32_e32 v15, vcc, v1, v15, vcc
	v_lshlrev_b64 v[16:17], 3, v[18:19]
	v_add_co_u32_e32 v16, vcc, s6, v16
	global_load_dwordx2 v[20:21], v24, s[6:7]
	global_load_dwordx2 v[22:23], v[4:5], off
	global_load_dwordx2 v[26:27], v[6:7], off
	;; [unrolled: 1-line block ×4, first 2 shown]
	v_addc_co_u32_e32 v17, vcc, v1, v17, vcc
	global_load_dwordx2 v[32:33], v[12:13], off
	global_load_dwordx2 v[34:35], v[14:15], off
	;; [unrolled: 1-line block ×3, first 2 shown]
	v_add_u32_e32 v18, s5, v18
	v_ashrrev_i32_e32 v19, 31, v18
	v_lshlrev_b64 v[18:19], 3, v[18:19]
	v_add_co_u32_e32 v18, vcc, s6, v18
	v_addc_co_u32_e32 v19, vcc, v1, v19, vcc
	global_load_dwordx2 v[38:39], v[18:19], off
	s_bitcmp0_b32 s18, 0
	s_mov_b64 s[6:7], -1
	s_waitcnt vmcnt(8)
	buffer_store_dword v21, off, s[0:3], 0 offset:4
	buffer_store_dword v20, off, s[0:3], 0
	s_waitcnt vmcnt(9)
	buffer_store_dword v23, off, s[0:3], 0 offset:12
	buffer_store_dword v22, off, s[0:3], 0 offset:8
	s_waitcnt vmcnt(10)
	buffer_store_dword v27, off, s[0:3], 0 offset:20
	buffer_store_dword v26, off, s[0:3], 0 offset:16
	;; [unrolled: 3-line block ×8, first 2 shown]
	s_cbranch_scc1 .LBB72_48
; %bb.4:
	v_cmp_eq_u32_e64 s[4:5], 0, v0
	s_and_saveexec_b64 s[6:7], s[4:5]
	s_cbranch_execz .LBB72_6
; %bb.5:
	v_mov_b32_e32 v1, 0
	ds_write_b32 v1, v1 offset:72
.LBB72_6:
	s_or_b64 exec, exec, s[6:7]
	v_mov_b32_e32 v1, 0
	v_lshl_add_u32 v25, v0, 3, v1
	s_waitcnt lgkmcnt(0)
	; wave barrier
	s_waitcnt lgkmcnt(0)
	buffer_load_dword v1, v25, s[0:3], 0 offen
	buffer_load_dword v20, v25, s[0:3], 0 offen offset:4
	s_waitcnt vmcnt(1)
	v_cmp_eq_f32_e32 vcc, 0, v1
	s_waitcnt vmcnt(0)
	v_cmp_eq_f32_e64 s[6:7], 0, v20
	s_and_b64 s[6:7], vcc, s[6:7]
	s_and_saveexec_b64 s[12:13], s[6:7]
	s_cbranch_execz .LBB72_10
; %bb.7:
	v_mov_b32_e32 v1, 0
	ds_read_b32 v21, v1 offset:72
	v_add_u32_e32 v20, 1, v0
	s_waitcnt lgkmcnt(0)
	v_readfirstlane_b32 s6, v21
	s_cmp_eq_u32 s6, 0
	s_cselect_b64 s[18:19], -1, 0
	v_cmp_gt_i32_e32 vcc, s6, v20
	s_or_b64 s[18:19], s[18:19], vcc
	s_and_b64 exec, exec, s[18:19]
	s_cbranch_execz .LBB72_10
; %bb.8:
	s_mov_b64 s[18:19], 0
	v_mov_b32_e32 v21, s6
.LBB72_9:                               ; =>This Inner Loop Header: Depth=1
	ds_cmpst_rtn_b32 v21, v1, v21, v20 offset:72
	s_waitcnt lgkmcnt(0)
	v_cmp_ne_u32_e32 vcc, 0, v21
	v_cmp_le_i32_e64 s[6:7], v21, v20
	s_and_b64 s[6:7], vcc, s[6:7]
	s_and_b64 s[6:7], exec, s[6:7]
	s_or_b64 s[18:19], s[6:7], s[18:19]
	s_andn2_b64 exec, exec, s[18:19]
	s_cbranch_execnz .LBB72_9
.LBB72_10:
	s_or_b64 exec, exec, s[12:13]
	v_mov_b32_e32 v20, 0
	s_waitcnt lgkmcnt(0)
	; wave barrier
	ds_read_b32 v1, v20 offset:72
	s_and_saveexec_b64 s[6:7], s[4:5]
	s_cbranch_execz .LBB72_12
; %bb.11:
	s_lshl_b64 s[12:13], s[8:9], 2
	s_add_u32 s12, s14, s12
	s_addc_u32 s13, s15, s13
	s_waitcnt lgkmcnt(0)
	global_store_dword v20, v1, s[12:13]
.LBB72_12:
	s_or_b64 exec, exec, s[6:7]
	s_waitcnt lgkmcnt(0)
	v_cmp_ne_u32_e32 vcc, 0, v1
	s_mov_b64 s[6:7], 0
	s_cbranch_vccnz .LBB72_48
; %bb.13:
	buffer_load_dword v26, v25, s[0:3], 0 offen offset:4
	buffer_load_dword v21, v25, s[0:3], 0 offen
	s_waitcnt vmcnt(1)
	v_cmp_gt_f32_e32 vcc, 0, v26
	v_cndmask_b32_e64 v1, v26, -v26, vcc
	s_waitcnt vmcnt(0)
	v_cmp_gt_f32_e32 vcc, 0, v21
	v_cndmask_b32_e64 v20, v21, -v21, vcc
	v_cmp_ngt_f32_e32 vcc, v20, v1
                                        ; implicit-def: $vgpr1
                                        ; implicit-def: $vgpr20
	s_and_saveexec_b64 s[6:7], vcc
	s_xor_b64 s[6:7], exec, s[6:7]
                                        ; implicit-def: $vgpr22_vgpr23
	s_cbranch_execz .LBB72_15
; %bb.14:
	v_div_scale_f32 v1, s[12:13], v26, v26, v21
	v_rcp_f32_e32 v20, v1
	v_div_scale_f32 v22, vcc, v21, v26, v21
	v_fma_f32 v23, -v1, v20, 1.0
	v_fmac_f32_e32 v20, v23, v20
	v_mul_f32_e32 v23, v22, v20
	v_fma_f32 v27, -v1, v23, v22
	v_fmac_f32_e32 v23, v27, v20
	v_fma_f32 v1, -v1, v23, v22
	v_div_fmas_f32 v1, v1, v20, v23
	v_div_fixup_f32 v20, v1, v26, v21
	v_fmac_f32_e32 v26, v21, v20
	v_div_scale_f32 v1, s[12:13], v26, v26, -1.0
	v_rcp_f32_e32 v21, v1
	v_fma_f32 v22, -v1, v21, 1.0
	v_fmac_f32_e32 v21, v22, v21
	v_div_scale_f32 v22, vcc, -1.0, v26, -1.0
	v_mul_f32_e32 v23, v22, v21
	v_fma_f32 v27, -v1, v23, v22
	v_fmac_f32_e32 v23, v27, v21
	v_fma_f32 v1, -v1, v23, v22
	v_div_fmas_f32 v1, v1, v21, v23
	v_div_fixup_f32 v1, v1, v26, -1.0
	v_mul_f32_e32 v20, v20, v1
	v_xor_b32_e32 v22, 0x80000000, v20
                                        ; implicit-def: $vgpr21
                                        ; implicit-def: $vgpr26
.LBB72_15:
	s_andn2_saveexec_b64 s[6:7], s[6:7]
	s_cbranch_execz .LBB72_17
; %bb.16:
	v_div_scale_f32 v1, s[12:13], v21, v21, v26
	v_rcp_f32_e32 v20, v1
	v_div_scale_f32 v22, vcc, v26, v21, v26
	v_fma_f32 v23, -v1, v20, 1.0
	v_fmac_f32_e32 v20, v23, v20
	v_mul_f32_e32 v23, v22, v20
	v_fma_f32 v27, -v1, v23, v22
	v_fmac_f32_e32 v23, v27, v20
	v_fma_f32 v1, -v1, v23, v22
	v_div_fmas_f32 v1, v1, v20, v23
	v_div_fixup_f32 v1, v1, v21, v26
	v_fmac_f32_e32 v21, v26, v1
	v_div_scale_f32 v20, s[12:13], v21, v21, 1.0
	v_rcp_f32_e32 v22, v20
	v_fma_f32 v23, -v20, v22, 1.0
	v_fmac_f32_e32 v22, v23, v22
	v_div_scale_f32 v23, vcc, 1.0, v21, 1.0
	v_mul_f32_e32 v26, v23, v22
	v_fma_f32 v27, -v20, v26, v23
	v_fmac_f32_e32 v26, v27, v22
	v_fma_f32 v20, -v20, v26, v23
	v_div_fmas_f32 v20, v20, v22, v26
	v_div_fixup_f32 v22, v20, v21, 1.0
	v_xor_b32_e32 v20, 0x80000000, v22
	v_mul_f32_e64 v1, v1, -v22
.LBB72_17:
	s_or_b64 exec, exec, s[6:7]
	buffer_store_dword v1, v25, s[0:3], 0 offen offset:4
	buffer_store_dword v22, v25, s[0:3], 0 offen
	buffer_load_dword v23, off, s[0:3], 0 offset:12
	s_nop 0
	buffer_load_dword v22, off, s[0:3], 0 offset:8
	v_xor_b32_e32 v21, 0x80000000, v1
	v_add_u32_e32 v1, 0x50, v24
	s_waitcnt vmcnt(0)
	ds_write2_b64 v24, v[20:21], v[22:23] offset1:10
	s_waitcnt lgkmcnt(0)
	; wave barrier
	s_waitcnt lgkmcnt(0)
	s_and_saveexec_b64 s[6:7], s[4:5]
	s_cbranch_execz .LBB72_19
; %bb.18:
	buffer_load_dword v26, v25, s[0:3], 0 offen offset:4
	buffer_load_dword v27, v25, s[0:3], 0 offen
	ds_read_b64 v[20:21], v1
	v_mov_b32_e32 v22, 0
	ds_read_b64 v[22:23], v22 offset:8
	s_waitcnt vmcnt(1) lgkmcnt(1)
	v_mul_f32_e32 v28, v21, v26
	v_mul_f32_e32 v26, v20, v26
	s_waitcnt vmcnt(0)
	v_fmac_f32_e32 v26, v21, v27
	v_fma_f32 v20, v20, v27, -v28
	v_add_f32_e32 v21, 0, v26
	v_add_f32_e32 v20, 0, v20
	s_waitcnt lgkmcnt(0)
	v_mul_f32_e32 v26, v21, v23
	v_mul_f32_e32 v23, v20, v23
	v_fma_f32 v20, v20, v22, -v26
	v_fmac_f32_e32 v23, v21, v22
	buffer_store_dword v20, off, s[0:3], 0 offset:8
	buffer_store_dword v23, off, s[0:3], 0 offset:12
.LBB72_19:
	s_or_b64 exec, exec, s[6:7]
	s_waitcnt lgkmcnt(0)
	; wave barrier
	buffer_load_dword v20, off, s[0:3], 0 offset:16
	buffer_load_dword v21, off, s[0:3], 0 offset:20
	v_cmp_gt_u32_e32 vcc, 2, v0
	s_waitcnt vmcnt(0)
	ds_write_b64 v1, v[20:21]
	s_waitcnt lgkmcnt(0)
	; wave barrier
	s_waitcnt lgkmcnt(0)
	s_and_saveexec_b64 s[6:7], vcc
	s_cbranch_execz .LBB72_23
; %bb.20:
	buffer_load_dword v22, v25, s[0:3], 0 offen offset:4
	buffer_load_dword v23, v25, s[0:3], 0 offen
	ds_read_b64 v[20:21], v1
	s_waitcnt vmcnt(1) lgkmcnt(0)
	v_mul_f32_e32 v25, v21, v22
	v_mul_f32_e32 v22, v20, v22
	s_waitcnt vmcnt(0)
	v_fma_f32 v20, v20, v23, -v25
	v_fmac_f32_e32 v22, v21, v23
	v_add_f32_e32 v21, 0, v20
	v_add_f32_e32 v20, 0, v22
	s_and_saveexec_b64 s[12:13], s[4:5]
	s_cbranch_execz .LBB72_22
; %bb.21:
	buffer_load_dword v25, off, s[0:3], 0 offset:12
	buffer_load_dword v26, off, s[0:3], 0 offset:8
	v_mov_b32_e32 v22, 0
	ds_read_b64 v[22:23], v22 offset:88
	s_waitcnt vmcnt(1) lgkmcnt(0)
	v_mul_f32_e32 v27, v22, v25
	v_mul_f32_e32 v25, v23, v25
	s_waitcnt vmcnt(0)
	v_fmac_f32_e32 v27, v23, v26
	v_fma_f32 v22, v22, v26, -v25
	v_add_f32_e32 v20, v20, v27
	v_add_f32_e32 v21, v21, v22
.LBB72_22:
	s_or_b64 exec, exec, s[12:13]
	v_mov_b32_e32 v22, 0
	ds_read_b64 v[22:23], v22 offset:16
	s_waitcnt lgkmcnt(0)
	v_mul_f32_e32 v25, v20, v23
	v_mul_f32_e32 v23, v21, v23
	v_fma_f32 v21, v21, v22, -v25
	v_fmac_f32_e32 v23, v20, v22
	buffer_store_dword v21, off, s[0:3], 0 offset:16
	buffer_store_dword v23, off, s[0:3], 0 offset:20
.LBB72_23:
	s_or_b64 exec, exec, s[6:7]
	s_waitcnt lgkmcnt(0)
	; wave barrier
	buffer_load_dword v20, off, s[0:3], 0 offset:24
	buffer_load_dword v21, off, s[0:3], 0 offset:28
	v_cmp_gt_u32_e32 vcc, 3, v0
	s_waitcnt vmcnt(0)
	ds_write_b64 v1, v[20:21]
	v_add_u32_e32 v20, -1, v0
	s_waitcnt lgkmcnt(0)
	; wave barrier
	s_waitcnt lgkmcnt(0)
	s_and_saveexec_b64 s[4:5], vcc
	s_cbranch_execz .LBB72_27
; %bb.24:
	v_add_u32_e32 v22, -1, v0
	v_add_u32_e32 v23, 0x50, v24
	v_add_u32_e32 v25, 0, v24
	s_mov_b64 s[6:7], 0
	v_mov_b32_e32 v21, 0
	v_mov_b32_e32 v26, 0
.LBB72_25:                              ; =>This Inner Loop Header: Depth=1
	buffer_load_dword v27, v25, s[0:3], 0 offen offset:4
	buffer_load_dword v30, v25, s[0:3], 0 offen
	ds_read_b64 v[28:29], v23
	v_add_u32_e32 v22, 1, v22
	v_cmp_lt_u32_e32 vcc, 1, v22
	v_add_u32_e32 v23, 8, v23
	v_add_u32_e32 v25, 8, v25
	s_or_b64 s[6:7], vcc, s[6:7]
	s_waitcnt vmcnt(1) lgkmcnt(0)
	v_mul_f32_e32 v31, v29, v27
	v_mul_f32_e32 v27, v28, v27
	s_waitcnt vmcnt(0)
	v_fma_f32 v28, v28, v30, -v31
	v_fmac_f32_e32 v27, v29, v30
	v_add_f32_e32 v26, v26, v28
	v_add_f32_e32 v21, v21, v27
	s_andn2_b64 exec, exec, s[6:7]
	s_cbranch_execnz .LBB72_25
; %bb.26:
	s_or_b64 exec, exec, s[6:7]
	v_mov_b32_e32 v22, 0
	ds_read_b64 v[22:23], v22 offset:24
	s_waitcnt lgkmcnt(0)
	v_mul_f32_e32 v25, v21, v23
	v_mul_f32_e32 v23, v26, v23
	v_fma_f32 v25, v26, v22, -v25
	v_fmac_f32_e32 v23, v21, v22
	buffer_store_dword v25, off, s[0:3], 0 offset:24
	buffer_store_dword v23, off, s[0:3], 0 offset:28
.LBB72_27:
	s_or_b64 exec, exec, s[4:5]
	s_waitcnt lgkmcnt(0)
	; wave barrier
	buffer_load_dword v22, off, s[0:3], 0 offset:32
	buffer_load_dword v23, off, s[0:3], 0 offset:36
	v_cmp_gt_u32_e32 vcc, 4, v0
	s_waitcnt vmcnt(0)
	ds_write_b64 v1, v[22:23]
	s_waitcnt lgkmcnt(0)
	; wave barrier
	s_waitcnt lgkmcnt(0)
	s_and_saveexec_b64 s[4:5], vcc
	s_cbranch_execz .LBB72_31
; %bb.28:
	v_add_u32_e32 v22, -1, v0
	v_add_u32_e32 v23, 0x50, v24
	v_add_u32_e32 v25, 0, v24
	s_mov_b64 s[6:7], 0
	v_mov_b32_e32 v21, 0
	v_mov_b32_e32 v26, 0
.LBB72_29:                              ; =>This Inner Loop Header: Depth=1
	buffer_load_dword v27, v25, s[0:3], 0 offen offset:4
	buffer_load_dword v30, v25, s[0:3], 0 offen
	ds_read_b64 v[28:29], v23
	v_add_u32_e32 v22, 1, v22
	v_cmp_lt_u32_e32 vcc, 2, v22
	v_add_u32_e32 v23, 8, v23
	v_add_u32_e32 v25, 8, v25
	s_or_b64 s[6:7], vcc, s[6:7]
	s_waitcnt vmcnt(1) lgkmcnt(0)
	v_mul_f32_e32 v31, v29, v27
	v_mul_f32_e32 v27, v28, v27
	s_waitcnt vmcnt(0)
	v_fma_f32 v28, v28, v30, -v31
	v_fmac_f32_e32 v27, v29, v30
	v_add_f32_e32 v26, v26, v28
	v_add_f32_e32 v21, v21, v27
	s_andn2_b64 exec, exec, s[6:7]
	s_cbranch_execnz .LBB72_29
; %bb.30:
	s_or_b64 exec, exec, s[6:7]
	v_mov_b32_e32 v22, 0
	ds_read_b64 v[22:23], v22 offset:32
	s_waitcnt lgkmcnt(0)
	v_mul_f32_e32 v25, v21, v23
	v_mul_f32_e32 v23, v26, v23
	v_fma_f32 v25, v26, v22, -v25
	v_fmac_f32_e32 v23, v21, v22
	buffer_store_dword v25, off, s[0:3], 0 offset:32
	buffer_store_dword v23, off, s[0:3], 0 offset:36
.LBB72_31:
	s_or_b64 exec, exec, s[4:5]
	s_waitcnt lgkmcnt(0)
	; wave barrier
	buffer_load_dword v22, off, s[0:3], 0 offset:40
	buffer_load_dword v23, off, s[0:3], 0 offset:44
	v_cmp_gt_u32_e32 vcc, 5, v0
	s_waitcnt vmcnt(0)
	ds_write_b64 v1, v[22:23]
	;; [unrolled: 51-line block ×4, first 2 shown]
	s_waitcnt lgkmcnt(0)
	; wave barrier
	s_waitcnt lgkmcnt(0)
	s_and_saveexec_b64 s[4:5], vcc
	s_cbranch_execz .LBB72_43
; %bb.40:
	v_add_u32_e32 v22, -1, v0
	v_add_u32_e32 v23, 0x50, v24
	v_add_u32_e32 v25, 0, v24
	s_mov_b64 s[6:7], 0
	v_mov_b32_e32 v21, 0
	v_mov_b32_e32 v26, 0
.LBB72_41:                              ; =>This Inner Loop Header: Depth=1
	buffer_load_dword v27, v25, s[0:3], 0 offen offset:4
	buffer_load_dword v30, v25, s[0:3], 0 offen
	ds_read_b64 v[28:29], v23
	v_add_u32_e32 v22, 1, v22
	v_cmp_lt_u32_e32 vcc, 5, v22
	v_add_u32_e32 v23, 8, v23
	v_add_u32_e32 v25, 8, v25
	s_or_b64 s[6:7], vcc, s[6:7]
	s_waitcnt vmcnt(1) lgkmcnt(0)
	v_mul_f32_e32 v31, v29, v27
	v_mul_f32_e32 v27, v28, v27
	s_waitcnt vmcnt(0)
	v_fma_f32 v28, v28, v30, -v31
	v_fmac_f32_e32 v27, v29, v30
	v_add_f32_e32 v26, v26, v28
	v_add_f32_e32 v21, v21, v27
	s_andn2_b64 exec, exec, s[6:7]
	s_cbranch_execnz .LBB72_41
; %bb.42:
	s_or_b64 exec, exec, s[6:7]
	v_mov_b32_e32 v22, 0
	ds_read_b64 v[22:23], v22 offset:56
	s_waitcnt lgkmcnt(0)
	v_mul_f32_e32 v25, v21, v23
	v_mul_f32_e32 v23, v26, v23
	v_fma_f32 v25, v26, v22, -v25
	v_fmac_f32_e32 v23, v21, v22
	buffer_store_dword v25, off, s[0:3], 0 offset:56
	buffer_store_dword v23, off, s[0:3], 0 offset:60
.LBB72_43:
	s_or_b64 exec, exec, s[4:5]
	s_waitcnt lgkmcnt(0)
	; wave barrier
	buffer_load_dword v22, off, s[0:3], 0 offset:64
	buffer_load_dword v23, off, s[0:3], 0 offset:68
	v_cmp_ne_u32_e32 vcc, 8, v0
	s_waitcnt vmcnt(0)
	ds_write_b64 v1, v[22:23]
	s_waitcnt lgkmcnt(0)
	; wave barrier
	s_waitcnt lgkmcnt(0)
	s_and_saveexec_b64 s[4:5], vcc
	s_cbranch_execz .LBB72_47
; %bb.44:
	v_add_u32_e32 v21, 0x50, v24
	v_add_u32_e32 v22, 0, v24
	s_mov_b64 s[6:7], 0
	v_mov_b32_e32 v1, 0
	v_mov_b32_e32 v23, 0
.LBB72_45:                              ; =>This Inner Loop Header: Depth=1
	buffer_load_dword v26, v22, s[0:3], 0 offen offset:4
	buffer_load_dword v27, v22, s[0:3], 0 offen
	ds_read_b64 v[24:25], v21
	v_add_u32_e32 v20, 1, v20
	v_cmp_lt_u32_e32 vcc, 6, v20
	v_add_u32_e32 v21, 8, v21
	v_add_u32_e32 v22, 8, v22
	s_or_b64 s[6:7], vcc, s[6:7]
	s_waitcnt vmcnt(1) lgkmcnt(0)
	v_mul_f32_e32 v28, v25, v26
	v_mul_f32_e32 v26, v24, v26
	s_waitcnt vmcnt(0)
	v_fma_f32 v24, v24, v27, -v28
	v_fmac_f32_e32 v26, v25, v27
	v_add_f32_e32 v23, v23, v24
	v_add_f32_e32 v1, v1, v26
	s_andn2_b64 exec, exec, s[6:7]
	s_cbranch_execnz .LBB72_45
; %bb.46:
	s_or_b64 exec, exec, s[6:7]
	v_mov_b32_e32 v20, 0
	ds_read_b64 v[20:21], v20 offset:64
	s_waitcnt lgkmcnt(0)
	v_mul_f32_e32 v22, v1, v21
	v_mul_f32_e32 v21, v23, v21
	v_fma_f32 v22, v23, v20, -v22
	v_fmac_f32_e32 v21, v1, v20
	buffer_store_dword v22, off, s[0:3], 0 offset:64
	buffer_store_dword v21, off, s[0:3], 0 offset:68
.LBB72_47:
	s_or_b64 exec, exec, s[4:5]
	s_mov_b64 s[6:7], -1
	s_waitcnt lgkmcnt(0)
	; wave barrier
.LBB72_48:
	s_and_b64 vcc, exec, s[6:7]
	s_cbranch_vccz .LBB72_50
; %bb.49:
	s_lshl_b64 s[4:5], s[8:9], 2
	s_add_u32 s4, s14, s4
	s_addc_u32 s5, s15, s5
	v_mov_b32_e32 v1, 0
	global_load_dword v1, v1, s[4:5]
	s_waitcnt vmcnt(0)
	v_cmp_ne_u32_e32 vcc, 0, v1
	s_cbranch_vccz .LBB72_51
.LBB72_50:
	s_endpgm
.LBB72_51:
	v_mov_b32_e32 v1, 0x50
	v_lshl_add_u32 v1, v0, 3, v1
	v_cmp_eq_u32_e32 vcc, 8, v0
	s_and_saveexec_b64 s[4:5], vcc
	s_cbranch_execz .LBB72_53
; %bb.52:
	buffer_load_dword v20, off, s[0:3], 0 offset:56
	buffer_load_dword v21, off, s[0:3], 0 offset:60
	v_mov_b32_e32 v22, 0
	buffer_store_dword v22, off, s[0:3], 0 offset:56
	buffer_store_dword v22, off, s[0:3], 0 offset:60
	s_waitcnt vmcnt(2)
	ds_write_b64 v1, v[20:21]
.LBB72_53:
	s_or_b64 exec, exec, s[4:5]
	s_waitcnt lgkmcnt(0)
	; wave barrier
	s_waitcnt lgkmcnt(0)
	buffer_load_dword v23, off, s[0:3], 0 offset:68
	buffer_load_dword v22, off, s[0:3], 0 offset:64
	buffer_load_dword v24, off, s[0:3], 0 offset:56
	buffer_load_dword v25, off, s[0:3], 0 offset:60
	v_mov_b32_e32 v20, 0
	ds_read_b64 v[26:27], v20 offset:144
	v_cmp_lt_u32_e32 vcc, 6, v0
	s_waitcnt vmcnt(3)
	v_mov_b32_e32 v28, v23
	s_waitcnt lgkmcnt(0)
	v_pk_mul_f32 v[28:29], v[26:27], v[28:29] op_sel_hi:[1,0]
	s_waitcnt vmcnt(2)
	v_pk_fma_f32 v[30:31], v[26:27], v[22:23], v[28:29] op_sel:[0,0,1] op_sel_hi:[1,1,0] neg_lo:[0,0,1] neg_hi:[0,0,1]
	v_pk_fma_f32 v[22:23], v[26:27], v[22:23], v[28:29] op_sel:[0,0,1] op_sel_hi:[1,0,0]
	v_mov_b32_e32 v31, v23
	v_pk_add_f32 v[22:23], v[30:31], 0 op_sel_hi:[1,0]
	s_waitcnt vmcnt(0)
	v_pk_add_f32 v[22:23], v[24:25], v[22:23] neg_lo:[0,1] neg_hi:[0,1]
	buffer_store_dword v22, off, s[0:3], 0 offset:56
	buffer_store_dword v23, off, s[0:3], 0 offset:60
	s_and_saveexec_b64 s[4:5], vcc
	s_cbranch_execz .LBB72_55
; %bb.54:
	buffer_load_dword v22, off, s[0:3], 0 offset:48
	buffer_load_dword v23, off, s[0:3], 0 offset:52
	s_waitcnt vmcnt(0)
	ds_write_b64 v1, v[22:23]
	buffer_store_dword v20, off, s[0:3], 0 offset:48
	buffer_store_dword v20, off, s[0:3], 0 offset:52
.LBB72_55:
	s_or_b64 exec, exec, s[4:5]
	s_waitcnt lgkmcnt(0)
	; wave barrier
	s_waitcnt lgkmcnt(0)
	buffer_load_dword v25, off, s[0:3], 0 offset:60
	buffer_load_dword v27, off, s[0:3], 0 offset:68
	;; [unrolled: 1-line block ×6, first 2 shown]
	ds_read2_b64 v[20:23], v20 offset0:17 offset1:18
	v_cmp_lt_u32_e32 vcc, 5, v0
	s_waitcnt vmcnt(5)
	v_mov_b32_e32 v30, v25
	s_waitcnt vmcnt(4)
	v_mov_b32_e32 v32, v27
	s_waitcnt lgkmcnt(0)
	v_pk_mul_f32 v[30:31], v[20:21], v[30:31] op_sel_hi:[1,0]
	v_pk_mul_f32 v[32:33], v[22:23], v[32:33] op_sel_hi:[1,0]
	s_waitcnt vmcnt(3)
	v_pk_fma_f32 v[34:35], v[20:21], v[24:25], v[30:31] op_sel:[0,0,1] op_sel_hi:[1,1,0] neg_lo:[0,0,1] neg_hi:[0,0,1]
	v_pk_fma_f32 v[20:21], v[20:21], v[24:25], v[30:31] op_sel:[0,0,1] op_sel_hi:[1,0,0]
	s_waitcnt vmcnt(2)
	v_pk_fma_f32 v[24:25], v[22:23], v[26:27], v[32:33] op_sel:[0,0,1] op_sel_hi:[1,1,0] neg_lo:[0,0,1] neg_hi:[0,0,1]
	v_pk_fma_f32 v[22:23], v[22:23], v[26:27], v[32:33] op_sel:[0,0,1] op_sel_hi:[1,0,0]
	v_mov_b32_e32 v35, v21
	v_mov_b32_e32 v25, v23
	v_pk_add_f32 v[20:21], v[34:35], 0 op_sel_hi:[1,0]
	v_pk_add_f32 v[20:21], v[20:21], v[24:25]
	s_waitcnt vmcnt(0)
	v_pk_add_f32 v[20:21], v[28:29], v[20:21] neg_lo:[0,1] neg_hi:[0,1]
	buffer_store_dword v20, off, s[0:3], 0 offset:48
	buffer_store_dword v21, off, s[0:3], 0 offset:52
	s_and_saveexec_b64 s[4:5], vcc
	s_cbranch_execz .LBB72_57
; %bb.56:
	buffer_load_dword v20, off, s[0:3], 0 offset:40
	buffer_load_dword v21, off, s[0:3], 0 offset:44
	v_mov_b32_e32 v22, 0
	buffer_store_dword v22, off, s[0:3], 0 offset:40
	buffer_store_dword v22, off, s[0:3], 0 offset:44
	s_waitcnt vmcnt(2)
	ds_write_b64 v1, v[20:21]
.LBB72_57:
	s_or_b64 exec, exec, s[4:5]
	s_waitcnt lgkmcnt(0)
	; wave barrier
	s_waitcnt lgkmcnt(0)
	buffer_load_dword v27, off, s[0:3], 0 offset:52
	buffer_load_dword v29, off, s[0:3], 0 offset:60
	;; [unrolled: 1-line block ×8, first 2 shown]
	v_mov_b32_e32 v20, 0
	ds_read_b128 v[22:25], v20 offset:128
	ds_read_b64 v[34:35], v20 offset:144
	v_cmp_lt_u32_e32 vcc, 4, v0
	s_waitcnt vmcnt(7)
	v_mov_b32_e32 v36, v27
	s_waitcnt vmcnt(6)
	v_mov_b32_e32 v38, v29
	s_waitcnt lgkmcnt(1)
	v_pk_mul_f32 v[36:37], v[22:23], v[36:37] op_sel_hi:[1,0]
	s_waitcnt vmcnt(5)
	v_mov_b32_e32 v40, v31
	v_pk_mul_f32 v[38:39], v[24:25], v[38:39] op_sel_hi:[1,0]
	s_waitcnt vmcnt(4)
	v_pk_fma_f32 v[42:43], v[22:23], v[26:27], v[36:37] op_sel:[0,0,1] op_sel_hi:[1,1,0] neg_lo:[0,0,1] neg_hi:[0,0,1]
	v_pk_fma_f32 v[22:23], v[22:23], v[26:27], v[36:37] op_sel:[0,0,1] op_sel_hi:[1,0,0]
	s_waitcnt lgkmcnt(0)
	v_pk_mul_f32 v[40:41], v[34:35], v[40:41] op_sel_hi:[1,0]
	s_waitcnt vmcnt(3)
	v_pk_fma_f32 v[26:27], v[24:25], v[28:29], v[38:39] op_sel:[0,0,1] op_sel_hi:[1,1,0] neg_lo:[0,0,1] neg_hi:[0,0,1]
	v_pk_fma_f32 v[24:25], v[24:25], v[28:29], v[38:39] op_sel:[0,0,1] op_sel_hi:[1,0,0]
	v_mov_b32_e32 v43, v23
	s_waitcnt vmcnt(2)
	v_pk_fma_f32 v[28:29], v[34:35], v[30:31], v[40:41] op_sel:[0,0,1] op_sel_hi:[1,1,0] neg_lo:[0,0,1] neg_hi:[0,0,1]
	v_pk_fma_f32 v[30:31], v[34:35], v[30:31], v[40:41] op_sel:[0,0,1] op_sel_hi:[1,0,0]
	v_mov_b32_e32 v27, v25
	v_pk_add_f32 v[22:23], v[42:43], 0 op_sel_hi:[1,0]
	v_mov_b32_e32 v29, v31
	v_pk_add_f32 v[22:23], v[22:23], v[26:27]
	v_pk_add_f32 v[22:23], v[22:23], v[28:29]
	s_waitcnt vmcnt(0)
	v_pk_add_f32 v[22:23], v[32:33], v[22:23] neg_lo:[0,1] neg_hi:[0,1]
	buffer_store_dword v22, off, s[0:3], 0 offset:40
	buffer_store_dword v23, off, s[0:3], 0 offset:44
	s_and_saveexec_b64 s[4:5], vcc
	s_cbranch_execz .LBB72_59
; %bb.58:
	buffer_load_dword v22, off, s[0:3], 0 offset:32
	buffer_load_dword v23, off, s[0:3], 0 offset:36
	s_waitcnt vmcnt(0)
	ds_write_b64 v1, v[22:23]
	buffer_store_dword v20, off, s[0:3], 0 offset:32
	buffer_store_dword v20, off, s[0:3], 0 offset:36
.LBB72_59:
	s_or_b64 exec, exec, s[4:5]
	s_waitcnt lgkmcnt(0)
	; wave barrier
	s_waitcnt lgkmcnt(0)
	buffer_load_dword v31, off, s[0:3], 0 offset:44
	buffer_load_dword v33, off, s[0:3], 0 offset:52
	;; [unrolled: 1-line block ×10, first 2 shown]
	ds_read2_b64 v[22:25], v20 offset0:15 offset1:16
	ds_read2_b64 v[26:29], v20 offset0:17 offset1:18
	v_cmp_lt_u32_e32 vcc, 3, v0
	s_waitcnt vmcnt(9)
	v_mov_b32_e32 v20, v31
	s_waitcnt vmcnt(8)
	v_mov_b32_e32 v40, v33
	s_waitcnt lgkmcnt(1)
	v_pk_mul_f32 v[20:21], v[22:23], v[20:21] op_sel_hi:[1,0]
	s_waitcnt vmcnt(7)
	v_mov_b32_e32 v42, v35
	v_pk_mul_f32 v[40:41], v[24:25], v[40:41] op_sel_hi:[1,0]
	s_waitcnt vmcnt(5)
	v_pk_fma_f32 v[46:47], v[22:23], v[30:31], v[20:21] op_sel:[0,0,1] op_sel_hi:[1,1,0] neg_lo:[0,0,1] neg_hi:[0,0,1]
	v_pk_fma_f32 v[20:21], v[22:23], v[30:31], v[20:21] op_sel:[0,0,1] op_sel_hi:[1,0,0]
	v_mov_b32_e32 v44, v37
	s_waitcnt lgkmcnt(0)
	v_pk_mul_f32 v[42:43], v[26:27], v[42:43] op_sel_hi:[1,0]
	s_waitcnt vmcnt(4)
	v_pk_fma_f32 v[22:23], v[24:25], v[32:33], v[40:41] op_sel:[0,0,1] op_sel_hi:[1,1,0] neg_lo:[0,0,1] neg_hi:[0,0,1]
	v_pk_fma_f32 v[24:25], v[24:25], v[32:33], v[40:41] op_sel:[0,0,1] op_sel_hi:[1,0,0]
	v_mov_b32_e32 v47, v21
	v_pk_mul_f32 v[44:45], v[28:29], v[44:45] op_sel_hi:[1,0]
	s_waitcnt vmcnt(3)
	v_pk_fma_f32 v[30:31], v[26:27], v[34:35], v[42:43] op_sel:[0,0,1] op_sel_hi:[1,1,0] neg_lo:[0,0,1] neg_hi:[0,0,1]
	v_pk_fma_f32 v[26:27], v[26:27], v[34:35], v[42:43] op_sel:[0,0,1] op_sel_hi:[1,0,0]
	v_mov_b32_e32 v23, v25
	v_pk_add_f32 v[20:21], v[46:47], 0 op_sel_hi:[1,0]
	s_waitcnt vmcnt(2)
	v_pk_fma_f32 v[32:33], v[28:29], v[36:37], v[44:45] op_sel:[0,0,1] op_sel_hi:[1,1,0] neg_lo:[0,0,1] neg_hi:[0,0,1]
	v_pk_fma_f32 v[28:29], v[28:29], v[36:37], v[44:45] op_sel:[0,0,1] op_sel_hi:[1,0,0]
	v_mov_b32_e32 v31, v27
	v_pk_add_f32 v[20:21], v[20:21], v[22:23]
	v_mov_b32_e32 v33, v29
	v_pk_add_f32 v[20:21], v[20:21], v[30:31]
	v_pk_add_f32 v[20:21], v[20:21], v[32:33]
	s_waitcnt vmcnt(0)
	v_pk_add_f32 v[20:21], v[38:39], v[20:21] neg_lo:[0,1] neg_hi:[0,1]
	buffer_store_dword v20, off, s[0:3], 0 offset:32
	buffer_store_dword v21, off, s[0:3], 0 offset:36
	s_and_saveexec_b64 s[4:5], vcc
	s_cbranch_execz .LBB72_61
; %bb.60:
	buffer_load_dword v20, off, s[0:3], 0 offset:24
	buffer_load_dword v21, off, s[0:3], 0 offset:28
	v_mov_b32_e32 v22, 0
	buffer_store_dword v22, off, s[0:3], 0 offset:24
	buffer_store_dword v22, off, s[0:3], 0 offset:28
	s_waitcnt vmcnt(2)
	ds_write_b64 v1, v[20:21]
.LBB72_61:
	s_or_b64 exec, exec, s[4:5]
	s_waitcnt lgkmcnt(0)
	; wave barrier
	s_waitcnt lgkmcnt(0)
	buffer_load_dword v31, off, s[0:3], 0 offset:36
	buffer_load_dword v33, off, s[0:3], 0 offset:44
	;; [unrolled: 1-line block ×12, first 2 shown]
	v_mov_b32_e32 v20, 0
	ds_read_b128 v[22:25], v20 offset:112
	ds_read_b128 v[26:29], v20 offset:128
	ds_read_b64 v[42:43], v20 offset:144
	v_cmp_lt_u32_e32 vcc, 2, v0
	s_waitcnt vmcnt(11)
	v_mov_b32_e32 v44, v31
	s_waitcnt vmcnt(10)
	v_mov_b32_e32 v46, v33
	s_waitcnt lgkmcnt(2)
	v_pk_mul_f32 v[44:45], v[22:23], v[44:45] op_sel_hi:[1,0]
	s_waitcnt vmcnt(9)
	v_mov_b32_e32 v48, v35
	v_pk_mul_f32 v[46:47], v[24:25], v[46:47] op_sel_hi:[1,0]
	s_waitcnt vmcnt(6)
	v_pk_fma_f32 v[54:55], v[22:23], v[30:31], v[44:45] op_sel:[0,0,1] op_sel_hi:[1,1,0] neg_lo:[0,0,1] neg_hi:[0,0,1]
	v_pk_fma_f32 v[22:23], v[22:23], v[30:31], v[44:45] op_sel:[0,0,1] op_sel_hi:[1,0,0]
	v_mov_b32_e32 v50, v37
	s_waitcnt lgkmcnt(1)
	v_pk_mul_f32 v[48:49], v[26:27], v[48:49] op_sel_hi:[1,0]
	s_waitcnt vmcnt(5)
	v_pk_fma_f32 v[30:31], v[24:25], v[32:33], v[46:47] op_sel:[0,0,1] op_sel_hi:[1,1,0] neg_lo:[0,0,1] neg_hi:[0,0,1]
	v_pk_fma_f32 v[24:25], v[24:25], v[32:33], v[46:47] op_sel:[0,0,1] op_sel_hi:[1,0,0]
	v_mov_b32_e32 v55, v23
	v_mov_b32_e32 v52, v39
	v_pk_mul_f32 v[50:51], v[28:29], v[50:51] op_sel_hi:[1,0]
	s_waitcnt vmcnt(4)
	v_pk_fma_f32 v[32:33], v[26:27], v[34:35], v[48:49] op_sel:[0,0,1] op_sel_hi:[1,1,0] neg_lo:[0,0,1] neg_hi:[0,0,1]
	v_pk_fma_f32 v[26:27], v[26:27], v[34:35], v[48:49] op_sel:[0,0,1] op_sel_hi:[1,0,0]
	v_mov_b32_e32 v31, v25
	v_pk_add_f32 v[22:23], v[54:55], 0 op_sel_hi:[1,0]
	s_waitcnt lgkmcnt(0)
	v_pk_mul_f32 v[52:53], v[42:43], v[52:53] op_sel_hi:[1,0]
	s_waitcnt vmcnt(3)
	v_pk_fma_f32 v[34:35], v[28:29], v[36:37], v[50:51] op_sel:[0,0,1] op_sel_hi:[1,1,0] neg_lo:[0,0,1] neg_hi:[0,0,1]
	v_pk_fma_f32 v[28:29], v[28:29], v[36:37], v[50:51] op_sel:[0,0,1] op_sel_hi:[1,0,0]
	v_mov_b32_e32 v33, v27
	v_pk_add_f32 v[22:23], v[22:23], v[30:31]
	s_waitcnt vmcnt(2)
	v_pk_fma_f32 v[36:37], v[42:43], v[38:39], v[52:53] op_sel:[0,0,1] op_sel_hi:[1,1,0] neg_lo:[0,0,1] neg_hi:[0,0,1]
	v_pk_fma_f32 v[38:39], v[42:43], v[38:39], v[52:53] op_sel:[0,0,1] op_sel_hi:[1,0,0]
	v_mov_b32_e32 v35, v29
	v_pk_add_f32 v[22:23], v[22:23], v[32:33]
	v_mov_b32_e32 v37, v39
	v_pk_add_f32 v[22:23], v[22:23], v[34:35]
	v_pk_add_f32 v[22:23], v[22:23], v[36:37]
	s_waitcnt vmcnt(0)
	v_pk_add_f32 v[22:23], v[40:41], v[22:23] neg_lo:[0,1] neg_hi:[0,1]
	buffer_store_dword v22, off, s[0:3], 0 offset:24
	buffer_store_dword v23, off, s[0:3], 0 offset:28
	s_and_saveexec_b64 s[4:5], vcc
	s_cbranch_execz .LBB72_63
; %bb.62:
	buffer_load_dword v22, off, s[0:3], 0 offset:16
	buffer_load_dword v23, off, s[0:3], 0 offset:20
	s_waitcnt vmcnt(0)
	ds_write_b64 v1, v[22:23]
	buffer_store_dword v20, off, s[0:3], 0 offset:16
	buffer_store_dword v20, off, s[0:3], 0 offset:20
.LBB72_63:
	s_or_b64 exec, exec, s[4:5]
	s_waitcnt lgkmcnt(0)
	; wave barrier
	s_waitcnt lgkmcnt(0)
	buffer_load_dword v35, off, s[0:3], 0 offset:28
	buffer_load_dword v37, off, s[0:3], 0 offset:36
	buffer_load_dword v39, off, s[0:3], 0 offset:44
	buffer_load_dword v41, off, s[0:3], 0 offset:52
	buffer_load_dword v43, off, s[0:3], 0 offset:60
	buffer_load_dword v45, off, s[0:3], 0 offset:68
	buffer_load_dword v34, off, s[0:3], 0 offset:24
	buffer_load_dword v36, off, s[0:3], 0 offset:32
	buffer_load_dword v38, off, s[0:3], 0 offset:40
	buffer_load_dword v40, off, s[0:3], 0 offset:48
	buffer_load_dword v42, off, s[0:3], 0 offset:56
	buffer_load_dword v44, off, s[0:3], 0 offset:64
	buffer_load_dword v46, off, s[0:3], 0 offset:16
	buffer_load_dword v47, off, s[0:3], 0 offset:20
	ds_read2_b64 v[22:25], v20 offset0:13 offset1:14
	ds_read2_b64 v[26:29], v20 offset0:15 offset1:16
	;; [unrolled: 1-line block ×3, first 2 shown]
	v_cmp_lt_u32_e32 vcc, 1, v0
	s_waitcnt vmcnt(13)
	v_mov_b32_e32 v20, v35
	s_waitcnt vmcnt(12)
	v_mov_b32_e32 v48, v37
	s_waitcnt lgkmcnt(2)
	v_pk_mul_f32 v[20:21], v[22:23], v[20:21] op_sel_hi:[1,0]
	s_waitcnt vmcnt(11)
	v_mov_b32_e32 v50, v39
	v_pk_mul_f32 v[48:49], v[24:25], v[48:49] op_sel_hi:[1,0]
	s_waitcnt vmcnt(10)
	v_mov_b32_e32 v52, v41
	s_waitcnt vmcnt(7)
	v_pk_fma_f32 v[58:59], v[22:23], v[34:35], v[20:21] op_sel:[0,0,1] op_sel_hi:[1,1,0] neg_lo:[0,0,1] neg_hi:[0,0,1]
	v_pk_fma_f32 v[20:21], v[22:23], v[34:35], v[20:21] op_sel:[0,0,1] op_sel_hi:[1,0,0]
	s_waitcnt lgkmcnt(1)
	v_pk_mul_f32 v[50:51], v[26:27], v[50:51] op_sel_hi:[1,0]
	s_waitcnt vmcnt(6)
	v_pk_fma_f32 v[22:23], v[24:25], v[36:37], v[48:49] op_sel:[0,0,1] op_sel_hi:[1,1,0] neg_lo:[0,0,1] neg_hi:[0,0,1]
	v_pk_fma_f32 v[24:25], v[24:25], v[36:37], v[48:49] op_sel:[0,0,1] op_sel_hi:[1,0,0]
	v_mov_b32_e32 v59, v21
	v_mov_b32_e32 v54, v43
	v_pk_mul_f32 v[52:53], v[28:29], v[52:53] op_sel_hi:[1,0]
	s_waitcnt vmcnt(5)
	v_pk_fma_f32 v[34:35], v[26:27], v[38:39], v[50:51] op_sel:[0,0,1] op_sel_hi:[1,1,0] neg_lo:[0,0,1] neg_hi:[0,0,1]
	v_pk_fma_f32 v[26:27], v[26:27], v[38:39], v[50:51] op_sel:[0,0,1] op_sel_hi:[1,0,0]
	v_mov_b32_e32 v23, v25
	v_pk_add_f32 v[20:21], v[58:59], 0 op_sel_hi:[1,0]
	v_mov_b32_e32 v56, v45
	s_waitcnt lgkmcnt(0)
	v_pk_mul_f32 v[54:55], v[30:31], v[54:55] op_sel_hi:[1,0]
	s_waitcnt vmcnt(4)
	v_pk_fma_f32 v[36:37], v[28:29], v[40:41], v[52:53] op_sel:[0,0,1] op_sel_hi:[1,1,0] neg_lo:[0,0,1] neg_hi:[0,0,1]
	v_pk_fma_f32 v[28:29], v[28:29], v[40:41], v[52:53] op_sel:[0,0,1] op_sel_hi:[1,0,0]
	v_mov_b32_e32 v35, v27
	v_pk_add_f32 v[20:21], v[20:21], v[22:23]
	v_pk_mul_f32 v[56:57], v[32:33], v[56:57] op_sel_hi:[1,0]
	s_waitcnt vmcnt(3)
	v_pk_fma_f32 v[38:39], v[30:31], v[42:43], v[54:55] op_sel:[0,0,1] op_sel_hi:[1,1,0] neg_lo:[0,0,1] neg_hi:[0,0,1]
	v_pk_fma_f32 v[30:31], v[30:31], v[42:43], v[54:55] op_sel:[0,0,1] op_sel_hi:[1,0,0]
	v_mov_b32_e32 v37, v29
	v_pk_add_f32 v[20:21], v[20:21], v[34:35]
	s_waitcnt vmcnt(2)
	v_pk_fma_f32 v[40:41], v[32:33], v[44:45], v[56:57] op_sel:[0,0,1] op_sel_hi:[1,1,0] neg_lo:[0,0,1] neg_hi:[0,0,1]
	v_pk_fma_f32 v[32:33], v[32:33], v[44:45], v[56:57] op_sel:[0,0,1] op_sel_hi:[1,0,0]
	v_mov_b32_e32 v39, v31
	v_pk_add_f32 v[20:21], v[20:21], v[36:37]
	v_mov_b32_e32 v41, v33
	v_pk_add_f32 v[20:21], v[20:21], v[38:39]
	v_pk_add_f32 v[20:21], v[20:21], v[40:41]
	s_waitcnt vmcnt(0)
	v_pk_add_f32 v[20:21], v[46:47], v[20:21] neg_lo:[0,1] neg_hi:[0,1]
	buffer_store_dword v20, off, s[0:3], 0 offset:16
	buffer_store_dword v21, off, s[0:3], 0 offset:20
	s_and_saveexec_b64 s[4:5], vcc
	s_cbranch_execz .LBB72_65
; %bb.64:
	buffer_load_dword v20, off, s[0:3], 0 offset:8
	buffer_load_dword v21, off, s[0:3], 0 offset:12
	v_mov_b32_e32 v22, 0
	buffer_store_dword v22, off, s[0:3], 0 offset:8
	buffer_store_dword v22, off, s[0:3], 0 offset:12
	s_waitcnt vmcnt(2)
	ds_write_b64 v1, v[20:21]
.LBB72_65:
	s_or_b64 exec, exec, s[4:5]
	s_waitcnt lgkmcnt(0)
	; wave barrier
	s_waitcnt lgkmcnt(0)
	buffer_load_dword v35, off, s[0:3], 0 offset:20
	buffer_load_dword v37, off, s[0:3], 0 offset:28
	;; [unrolled: 1-line block ×16, first 2 shown]
	v_mov_b32_e32 v20, 0
	ds_read_b128 v[22:25], v20 offset:96
	ds_read_b128 v[26:29], v20 offset:112
	;; [unrolled: 1-line block ×3, first 2 shown]
	ds_read_b64 v[50:51], v20 offset:144
	v_cmp_ne_u32_e32 vcc, 0, v0
	s_waitcnt vmcnt(15)
	v_mov_b32_e32 v52, v35
	s_waitcnt vmcnt(14)
	v_mov_b32_e32 v54, v37
	s_waitcnt lgkmcnt(3)
	v_pk_mul_f32 v[52:53], v[22:23], v[52:53] op_sel_hi:[1,0]
	s_waitcnt vmcnt(13)
	v_mov_b32_e32 v56, v39
	v_pk_mul_f32 v[54:55], v[24:25], v[54:55] op_sel_hi:[1,0]
	s_waitcnt vmcnt(12)
	v_mov_b32_e32 v58, v41
	s_waitcnt lgkmcnt(2)
	v_pk_mul_f32 v[56:57], v[26:27], v[56:57] op_sel_hi:[1,0]
	s_waitcnt vmcnt(8)
	v_pk_fma_f32 v[66:67], v[22:23], v[34:35], v[52:53] op_sel:[0,0,1] op_sel_hi:[1,1,0] neg_lo:[0,0,1] neg_hi:[0,0,1]
	v_pk_fma_f32 v[22:23], v[22:23], v[34:35], v[52:53] op_sel:[0,0,1] op_sel_hi:[1,0,0]
	s_waitcnt vmcnt(7)
	v_pk_fma_f32 v[34:35], v[24:25], v[36:37], v[54:55] op_sel:[0,0,1] op_sel_hi:[1,1,0] neg_lo:[0,0,1] neg_hi:[0,0,1]
	v_pk_fma_f32 v[24:25], v[24:25], v[36:37], v[54:55] op_sel:[0,0,1] op_sel_hi:[1,0,0]
	v_mov_b32_e32 v67, v23
	v_mov_b32_e32 v60, v43
	v_pk_mul_f32 v[58:59], v[28:29], v[58:59] op_sel_hi:[1,0]
	s_waitcnt vmcnt(6)
	v_pk_fma_f32 v[36:37], v[26:27], v[38:39], v[56:57] op_sel:[0,0,1] op_sel_hi:[1,1,0] neg_lo:[0,0,1] neg_hi:[0,0,1]
	v_pk_fma_f32 v[26:27], v[26:27], v[38:39], v[56:57] op_sel:[0,0,1] op_sel_hi:[1,0,0]
	v_mov_b32_e32 v35, v25
	v_pk_add_f32 v[22:23], v[66:67], 0 op_sel_hi:[1,0]
	v_mov_b32_e32 v62, v45
	s_waitcnt lgkmcnt(1)
	v_pk_mul_f32 v[60:61], v[30:31], v[60:61] op_sel_hi:[1,0]
	s_waitcnt vmcnt(5)
	v_pk_fma_f32 v[38:39], v[28:29], v[40:41], v[58:59] op_sel:[0,0,1] op_sel_hi:[1,1,0] neg_lo:[0,0,1] neg_hi:[0,0,1]
	v_pk_fma_f32 v[28:29], v[28:29], v[40:41], v[58:59] op_sel:[0,0,1] op_sel_hi:[1,0,0]
	v_mov_b32_e32 v37, v27
	v_pk_add_f32 v[22:23], v[22:23], v[34:35]
	v_mov_b32_e32 v64, v47
	v_pk_mul_f32 v[62:63], v[32:33], v[62:63] op_sel_hi:[1,0]
	s_waitcnt vmcnt(4)
	v_pk_fma_f32 v[40:41], v[30:31], v[42:43], v[60:61] op_sel:[0,0,1] op_sel_hi:[1,1,0] neg_lo:[0,0,1] neg_hi:[0,0,1]
	v_pk_fma_f32 v[30:31], v[30:31], v[42:43], v[60:61] op_sel:[0,0,1] op_sel_hi:[1,0,0]
	v_mov_b32_e32 v39, v29
	v_pk_add_f32 v[22:23], v[22:23], v[36:37]
	s_waitcnt lgkmcnt(0)
	v_pk_mul_f32 v[64:65], v[50:51], v[64:65] op_sel_hi:[1,0]
	s_waitcnt vmcnt(3)
	v_pk_fma_f32 v[42:43], v[32:33], v[44:45], v[62:63] op_sel:[0,0,1] op_sel_hi:[1,1,0] neg_lo:[0,0,1] neg_hi:[0,0,1]
	v_pk_fma_f32 v[32:33], v[32:33], v[44:45], v[62:63] op_sel:[0,0,1] op_sel_hi:[1,0,0]
	v_mov_b32_e32 v41, v31
	v_pk_add_f32 v[22:23], v[22:23], v[38:39]
	s_waitcnt vmcnt(2)
	v_pk_fma_f32 v[44:45], v[50:51], v[46:47], v[64:65] op_sel:[0,0,1] op_sel_hi:[1,1,0] neg_lo:[0,0,1] neg_hi:[0,0,1]
	v_pk_fma_f32 v[46:47], v[50:51], v[46:47], v[64:65] op_sel:[0,0,1] op_sel_hi:[1,0,0]
	v_mov_b32_e32 v43, v33
	v_pk_add_f32 v[22:23], v[22:23], v[40:41]
	v_mov_b32_e32 v45, v47
	v_pk_add_f32 v[22:23], v[22:23], v[42:43]
	v_pk_add_f32 v[22:23], v[22:23], v[44:45]
	s_waitcnt vmcnt(0)
	v_pk_add_f32 v[22:23], v[48:49], v[22:23] neg_lo:[0,1] neg_hi:[0,1]
	buffer_store_dword v22, off, s[0:3], 0 offset:8
	buffer_store_dword v23, off, s[0:3], 0 offset:12
	s_and_saveexec_b64 s[4:5], vcc
	s_cbranch_execz .LBB72_67
; %bb.66:
	buffer_load_dword v22, off, s[0:3], 0
	buffer_load_dword v23, off, s[0:3], 0 offset:4
	s_waitcnt vmcnt(0)
	ds_write_b64 v1, v[22:23]
	buffer_store_dword v20, off, s[0:3], 0
	buffer_store_dword v20, off, s[0:3], 0 offset:4
.LBB72_67:
	s_or_b64 exec, exec, s[4:5]
	s_waitcnt lgkmcnt(0)
	; wave barrier
	s_waitcnt lgkmcnt(0)
	buffer_load_dword v1, off, s[0:3], 0 offset:12
	buffer_load_dword v39, off, s[0:3], 0 offset:20
	;; [unrolled: 1-line block ×16, first 2 shown]
	buffer_load_dword v52, off, s[0:3], 0
	buffer_load_dword v53, off, s[0:3], 0 offset:4
	ds_read2_b64 v[22:25], v20 offset0:11 offset1:12
	ds_read2_b64 v[26:29], v20 offset0:13 offset1:14
	;; [unrolled: 1-line block ×4, first 2 shown]
	s_and_b64 vcc, exec, s[16:17]
	s_waitcnt vmcnt(17)
	v_mov_b32_e32 v20, v1
	s_waitcnt vmcnt(16)
	v_mov_b32_e32 v54, v39
	s_waitcnt lgkmcnt(3)
	v_pk_mul_f32 v[20:21], v[22:23], v[20:21] op_sel_hi:[1,0]
	s_waitcnt vmcnt(15)
	v_mov_b32_e32 v56, v41
	v_pk_mul_f32 v[54:55], v[24:25], v[54:55] op_sel_hi:[1,0]
	s_waitcnt vmcnt(14)
	v_mov_b32_e32 v58, v43
	s_waitcnt lgkmcnt(2)
	v_pk_mul_f32 v[56:57], v[26:27], v[56:57] op_sel_hi:[1,0]
	s_waitcnt vmcnt(13)
	v_mov_b32_e32 v60, v45
	s_waitcnt vmcnt(9)
	v_pk_fma_f32 v[68:69], v[22:23], v[0:1], v[20:21] op_sel:[0,0,1] op_sel_hi:[1,1,0] neg_lo:[0,0,1] neg_hi:[0,0,1]
	v_pk_fma_f32 v[0:1], v[22:23], v[0:1], v[20:21] op_sel:[0,0,1] op_sel_hi:[1,0,0]
	s_waitcnt vmcnt(8)
	v_pk_fma_f32 v[20:21], v[24:25], v[38:39], v[54:55] op_sel:[0,0,1] op_sel_hi:[1,1,0] neg_lo:[0,0,1] neg_hi:[0,0,1]
	v_pk_fma_f32 v[22:23], v[24:25], v[38:39], v[54:55] op_sel:[0,0,1] op_sel_hi:[1,0,0]
	v_mov_b32_e32 v69, v1
	v_pk_mul_f32 v[58:59], v[28:29], v[58:59] op_sel_hi:[1,0]
	s_waitcnt vmcnt(7)
	v_pk_fma_f32 v[24:25], v[26:27], v[40:41], v[56:57] op_sel:[0,0,1] op_sel_hi:[1,1,0] neg_lo:[0,0,1] neg_hi:[0,0,1]
	v_pk_fma_f32 v[26:27], v[26:27], v[40:41], v[56:57] op_sel:[0,0,1] op_sel_hi:[1,0,0]
	v_mov_b32_e32 v21, v23
	v_pk_add_f32 v[0:1], v[68:69], 0 op_sel_hi:[1,0]
	v_mov_b32_e32 v62, v47
	s_waitcnt lgkmcnt(1)
	v_pk_mul_f32 v[60:61], v[30:31], v[60:61] op_sel_hi:[1,0]
	s_waitcnt vmcnt(6)
	v_pk_fma_f32 v[38:39], v[28:29], v[42:43], v[58:59] op_sel:[0,0,1] op_sel_hi:[1,1,0] neg_lo:[0,0,1] neg_hi:[0,0,1]
	v_pk_fma_f32 v[28:29], v[28:29], v[42:43], v[58:59] op_sel:[0,0,1] op_sel_hi:[1,0,0]
	v_mov_b32_e32 v25, v27
	v_pk_add_f32 v[0:1], v[0:1], v[20:21]
	v_mov_b32_e32 v64, v49
	v_pk_mul_f32 v[62:63], v[32:33], v[62:63] op_sel_hi:[1,0]
	s_waitcnt vmcnt(5)
	v_pk_fma_f32 v[40:41], v[30:31], v[44:45], v[60:61] op_sel:[0,0,1] op_sel_hi:[1,1,0] neg_lo:[0,0,1] neg_hi:[0,0,1]
	v_pk_fma_f32 v[30:31], v[30:31], v[44:45], v[60:61] op_sel:[0,0,1] op_sel_hi:[1,0,0]
	v_mov_b32_e32 v39, v29
	v_pk_add_f32 v[0:1], v[0:1], v[24:25]
	v_mov_b32_e32 v66, v51
	s_waitcnt lgkmcnt(0)
	v_pk_mul_f32 v[64:65], v[34:35], v[64:65] op_sel_hi:[1,0]
	s_waitcnt vmcnt(4)
	v_pk_fma_f32 v[42:43], v[32:33], v[46:47], v[62:63] op_sel:[0,0,1] op_sel_hi:[1,1,0] neg_lo:[0,0,1] neg_hi:[0,0,1]
	v_pk_fma_f32 v[32:33], v[32:33], v[46:47], v[62:63] op_sel:[0,0,1] op_sel_hi:[1,0,0]
	v_mov_b32_e32 v41, v31
	v_pk_add_f32 v[0:1], v[0:1], v[38:39]
	v_pk_mul_f32 v[66:67], v[36:37], v[66:67] op_sel_hi:[1,0]
	s_waitcnt vmcnt(3)
	v_pk_fma_f32 v[44:45], v[34:35], v[48:49], v[64:65] op_sel:[0,0,1] op_sel_hi:[1,1,0] neg_lo:[0,0,1] neg_hi:[0,0,1]
	v_pk_fma_f32 v[34:35], v[34:35], v[48:49], v[64:65] op_sel:[0,0,1] op_sel_hi:[1,0,0]
	v_mov_b32_e32 v43, v33
	v_pk_add_f32 v[0:1], v[0:1], v[40:41]
	s_waitcnt vmcnt(2)
	v_pk_fma_f32 v[46:47], v[36:37], v[50:51], v[66:67] op_sel:[0,0,1] op_sel_hi:[1,1,0] neg_lo:[0,0,1] neg_hi:[0,0,1]
	v_pk_fma_f32 v[36:37], v[36:37], v[50:51], v[66:67] op_sel:[0,0,1] op_sel_hi:[1,0,0]
	v_mov_b32_e32 v45, v35
	v_pk_add_f32 v[0:1], v[0:1], v[42:43]
	v_mov_b32_e32 v47, v37
	v_pk_add_f32 v[0:1], v[0:1], v[44:45]
	v_pk_add_f32 v[0:1], v[0:1], v[46:47]
	s_waitcnt vmcnt(0)
	v_pk_add_f32 v[0:1], v[52:53], v[0:1] neg_lo:[0,1] neg_hi:[0,1]
	buffer_store_dword v0, off, s[0:3], 0
	buffer_store_dword v1, off, s[0:3], 0 offset:4
	s_cbranch_vccz .LBB72_85
; %bb.68:
	v_pk_mov_b32 v[0:1], s[10:11], s[10:11] op_sel:[0,1]
	flat_load_dword v0, v[0:1] offset:28
	s_waitcnt vmcnt(0) lgkmcnt(0)
	v_add_u32_e32 v0, -1, v0
	v_cmp_ne_u32_e32 vcc, 7, v0
	s_and_saveexec_b64 s[4:5], vcc
	s_cbranch_execz .LBB72_70
; %bb.69:
	v_mov_b32_e32 v1, 0
	v_lshl_add_u32 v0, v0, 3, v1
	buffer_load_dword v1, v0, s[0:3], 0 offen
	buffer_load_dword v20, v0, s[0:3], 0 offen offset:4
	buffer_load_dword v21, off, s[0:3], 0 offset:56
	buffer_load_dword v22, off, s[0:3], 0 offset:60
	s_waitcnt vmcnt(3)
	buffer_store_dword v1, off, s[0:3], 0 offset:56
	s_waitcnt vmcnt(3)
	buffer_store_dword v20, off, s[0:3], 0 offset:60
	s_waitcnt vmcnt(3)
	buffer_store_dword v21, v0, s[0:3], 0 offen
	s_waitcnt vmcnt(3)
	buffer_store_dword v22, v0, s[0:3], 0 offen offset:4
.LBB72_70:
	s_or_b64 exec, exec, s[4:5]
	v_pk_mov_b32 v[0:1], s[10:11], s[10:11] op_sel:[0,1]
	flat_load_dword v0, v[0:1] offset:24
	s_waitcnt vmcnt(0) lgkmcnt(0)
	v_add_u32_e32 v0, -1, v0
	v_cmp_ne_u32_e32 vcc, 6, v0
	s_and_saveexec_b64 s[4:5], vcc
	s_cbranch_execz .LBB72_72
; %bb.71:
	v_mov_b32_e32 v1, 0
	v_lshl_add_u32 v0, v0, 3, v1
	buffer_load_dword v1, v0, s[0:3], 0 offen
	buffer_load_dword v20, v0, s[0:3], 0 offen offset:4
	buffer_load_dword v21, off, s[0:3], 0 offset:52
	buffer_load_dword v22, off, s[0:3], 0 offset:48
	s_waitcnt vmcnt(3)
	buffer_store_dword v1, off, s[0:3], 0 offset:48
	s_waitcnt vmcnt(3)
	buffer_store_dword v20, off, s[0:3], 0 offset:52
	s_waitcnt vmcnt(3)
	buffer_store_dword v21, v0, s[0:3], 0 offen offset:4
	s_waitcnt vmcnt(3)
	buffer_store_dword v22, v0, s[0:3], 0 offen
.LBB72_72:
	s_or_b64 exec, exec, s[4:5]
	v_pk_mov_b32 v[0:1], s[10:11], s[10:11] op_sel:[0,1]
	flat_load_dword v0, v[0:1] offset:20
	s_waitcnt vmcnt(0) lgkmcnt(0)
	v_add_u32_e32 v0, -1, v0
	v_cmp_ne_u32_e32 vcc, 5, v0
	s_and_saveexec_b64 s[4:5], vcc
	s_cbranch_execz .LBB72_74
; %bb.73:
	v_mov_b32_e32 v1, 0
	v_lshl_add_u32 v0, v0, 3, v1
	buffer_load_dword v1, v0, s[0:3], 0 offen
	buffer_load_dword v20, v0, s[0:3], 0 offen offset:4
	buffer_load_dword v21, off, s[0:3], 0 offset:40
	buffer_load_dword v22, off, s[0:3], 0 offset:44
	s_waitcnt vmcnt(3)
	buffer_store_dword v1, off, s[0:3], 0 offset:40
	s_waitcnt vmcnt(3)
	buffer_store_dword v20, off, s[0:3], 0 offset:44
	s_waitcnt vmcnt(3)
	buffer_store_dword v21, v0, s[0:3], 0 offen
	s_waitcnt vmcnt(3)
	buffer_store_dword v22, v0, s[0:3], 0 offen offset:4
.LBB72_74:
	s_or_b64 exec, exec, s[4:5]
	v_pk_mov_b32 v[0:1], s[10:11], s[10:11] op_sel:[0,1]
	flat_load_dword v0, v[0:1] offset:16
	s_waitcnt vmcnt(0) lgkmcnt(0)
	v_add_u32_e32 v0, -1, v0
	v_cmp_ne_u32_e32 vcc, 4, v0
	s_and_saveexec_b64 s[4:5], vcc
	s_cbranch_execz .LBB72_76
; %bb.75:
	v_mov_b32_e32 v1, 0
	v_lshl_add_u32 v0, v0, 3, v1
	buffer_load_dword v1, v0, s[0:3], 0 offen
	buffer_load_dword v20, v0, s[0:3], 0 offen offset:4
	buffer_load_dword v21, off, s[0:3], 0 offset:36
	buffer_load_dword v22, off, s[0:3], 0 offset:32
	s_waitcnt vmcnt(3)
	buffer_store_dword v1, off, s[0:3], 0 offset:32
	s_waitcnt vmcnt(3)
	buffer_store_dword v20, off, s[0:3], 0 offset:36
	s_waitcnt vmcnt(3)
	buffer_store_dword v21, v0, s[0:3], 0 offen offset:4
	s_waitcnt vmcnt(3)
	buffer_store_dword v22, v0, s[0:3], 0 offen
.LBB72_76:
	s_or_b64 exec, exec, s[4:5]
	;; [unrolled: 48-line block ×3, first 2 shown]
	v_pk_mov_b32 v[0:1], s[10:11], s[10:11] op_sel:[0,1]
	flat_load_dword v0, v[0:1] offset:4
	s_waitcnt vmcnt(0) lgkmcnt(0)
	v_add_u32_e32 v0, -1, v0
	v_cmp_ne_u32_e32 vcc, 1, v0
	s_and_saveexec_b64 s[4:5], vcc
	s_cbranch_execz .LBB72_82
; %bb.81:
	v_mov_b32_e32 v1, 0
	v_lshl_add_u32 v0, v0, 3, v1
	buffer_load_dword v1, v0, s[0:3], 0 offen
	buffer_load_dword v20, v0, s[0:3], 0 offen offset:4
	buffer_load_dword v21, off, s[0:3], 0 offset:8
	buffer_load_dword v22, off, s[0:3], 0 offset:12
	s_waitcnt vmcnt(3)
	buffer_store_dword v1, off, s[0:3], 0 offset:8
	s_waitcnt vmcnt(3)
	buffer_store_dword v20, off, s[0:3], 0 offset:12
	s_waitcnt vmcnt(3)
	buffer_store_dword v21, v0, s[0:3], 0 offen
	s_waitcnt vmcnt(3)
	buffer_store_dword v22, v0, s[0:3], 0 offen offset:4
.LBB72_82:
	s_or_b64 exec, exec, s[4:5]
	v_pk_mov_b32 v[0:1], s[10:11], s[10:11] op_sel:[0,1]
	flat_load_dword v20, v[0:1]
	s_nop 0
	buffer_load_dword v0, off, s[0:3], 0
	buffer_load_dword v1, off, s[0:3], 0 offset:4
	s_waitcnt vmcnt(0) lgkmcnt(0)
	v_add_u32_e32 v20, -1, v20
	v_cmp_ne_u32_e32 vcc, 0, v20
	s_and_saveexec_b64 s[4:5], vcc
	s_cbranch_execz .LBB72_84
; %bb.83:
	v_mov_b32_e32 v21, 0
	v_lshl_add_u32 v20, v20, 3, v21
	buffer_load_dword v21, v20, s[0:3], 0 offen offset:4
	buffer_load_dword v22, v20, s[0:3], 0 offen
	s_waitcnt vmcnt(1)
	buffer_store_dword v21, off, s[0:3], 0 offset:4
	s_waitcnt vmcnt(1)
	buffer_store_dword v22, off, s[0:3], 0
	buffer_store_dword v1, v20, s[0:3], 0 offen offset:4
	buffer_store_dword v0, v20, s[0:3], 0 offen
	buffer_load_dword v0, off, s[0:3], 0
	s_nop 0
	buffer_load_dword v1, off, s[0:3], 0 offset:4
.LBB72_84:
	s_or_b64 exec, exec, s[4:5]
.LBB72_85:
	buffer_load_dword v20, off, s[0:3], 0 offset:8
	buffer_load_dword v21, off, s[0:3], 0 offset:12
	;; [unrolled: 1-line block ×16, first 2 shown]
	s_waitcnt vmcnt(16)
	global_store_dwordx2 v[2:3], v[0:1], off
	s_waitcnt vmcnt(15)
	global_store_dwordx2 v[4:5], v[20:21], off
	s_waitcnt vmcnt(14)
	global_store_dwordx2 v[6:7], v[22:23], off
	s_waitcnt vmcnt(13)
	global_store_dwordx2 v[8:9], v[24:25], off
	s_waitcnt vmcnt(12)
	global_store_dwordx2 v[10:11], v[26:27], off
	s_waitcnt vmcnt(11)
	global_store_dwordx2 v[12:13], v[28:29], off
	s_waitcnt vmcnt(10)
	global_store_dwordx2 v[14:15], v[30:31], off
	s_waitcnt vmcnt(9)
	global_store_dwordx2 v[16:17], v[32:33], off
	s_waitcnt vmcnt(8)
	global_store_dwordx2 v[18:19], v[34:35], off
	s_endpgm
	.section	.rodata,"a",@progbits
	.p2align	6, 0x0
	.amdhsa_kernel _ZN9rocsolver6v33100L18getri_kernel_smallILi9E19rocblas_complex_numIfEPKPS3_EEvT1_iilPiilS8_bb
		.amdhsa_group_segment_fixed_size 152
		.amdhsa_private_segment_fixed_size 80
		.amdhsa_kernarg_size 60
		.amdhsa_user_sgpr_count 8
		.amdhsa_user_sgpr_private_segment_buffer 1
		.amdhsa_user_sgpr_dispatch_ptr 0
		.amdhsa_user_sgpr_queue_ptr 0
		.amdhsa_user_sgpr_kernarg_segment_ptr 1
		.amdhsa_user_sgpr_dispatch_id 0
		.amdhsa_user_sgpr_flat_scratch_init 1
		.amdhsa_user_sgpr_kernarg_preload_length 0
		.amdhsa_user_sgpr_kernarg_preload_offset 0
		.amdhsa_user_sgpr_private_segment_size 0
		.amdhsa_uses_dynamic_stack 0
		.amdhsa_system_sgpr_private_segment_wavefront_offset 1
		.amdhsa_system_sgpr_workgroup_id_x 1
		.amdhsa_system_sgpr_workgroup_id_y 0
		.amdhsa_system_sgpr_workgroup_id_z 0
		.amdhsa_system_sgpr_workgroup_info 0
		.amdhsa_system_vgpr_workitem_id 0
		.amdhsa_next_free_vgpr 70
		.amdhsa_next_free_sgpr 22
		.amdhsa_accum_offset 72
		.amdhsa_reserve_vcc 1
		.amdhsa_reserve_flat_scratch 1
		.amdhsa_float_round_mode_32 0
		.amdhsa_float_round_mode_16_64 0
		.amdhsa_float_denorm_mode_32 3
		.amdhsa_float_denorm_mode_16_64 3
		.amdhsa_dx10_clamp 1
		.amdhsa_ieee_mode 1
		.amdhsa_fp16_overflow 0
		.amdhsa_tg_split 0
		.amdhsa_exception_fp_ieee_invalid_op 0
		.amdhsa_exception_fp_denorm_src 0
		.amdhsa_exception_fp_ieee_div_zero 0
		.amdhsa_exception_fp_ieee_overflow 0
		.amdhsa_exception_fp_ieee_underflow 0
		.amdhsa_exception_fp_ieee_inexact 0
		.amdhsa_exception_int_div_zero 0
	.end_amdhsa_kernel
	.section	.text._ZN9rocsolver6v33100L18getri_kernel_smallILi9E19rocblas_complex_numIfEPKPS3_EEvT1_iilPiilS8_bb,"axG",@progbits,_ZN9rocsolver6v33100L18getri_kernel_smallILi9E19rocblas_complex_numIfEPKPS3_EEvT1_iilPiilS8_bb,comdat
.Lfunc_end72:
	.size	_ZN9rocsolver6v33100L18getri_kernel_smallILi9E19rocblas_complex_numIfEPKPS3_EEvT1_iilPiilS8_bb, .Lfunc_end72-_ZN9rocsolver6v33100L18getri_kernel_smallILi9E19rocblas_complex_numIfEPKPS3_EEvT1_iilPiilS8_bb
                                        ; -- End function
	.section	.AMDGPU.csdata,"",@progbits
; Kernel info:
; codeLenInByte = 7988
; NumSgprs: 28
; NumVgprs: 70
; NumAgprs: 0
; TotalNumVgprs: 70
; ScratchSize: 80
; MemoryBound: 0
; FloatMode: 240
; IeeeMode: 1
; LDSByteSize: 152 bytes/workgroup (compile time only)
; SGPRBlocks: 3
; VGPRBlocks: 8
; NumSGPRsForWavesPerEU: 28
; NumVGPRsForWavesPerEU: 70
; AccumOffset: 72
; Occupancy: 7
; WaveLimiterHint : 1
; COMPUTE_PGM_RSRC2:SCRATCH_EN: 1
; COMPUTE_PGM_RSRC2:USER_SGPR: 8
; COMPUTE_PGM_RSRC2:TRAP_HANDLER: 0
; COMPUTE_PGM_RSRC2:TGID_X_EN: 1
; COMPUTE_PGM_RSRC2:TGID_Y_EN: 0
; COMPUTE_PGM_RSRC2:TGID_Z_EN: 0
; COMPUTE_PGM_RSRC2:TIDIG_COMP_CNT: 0
; COMPUTE_PGM_RSRC3_GFX90A:ACCUM_OFFSET: 17
; COMPUTE_PGM_RSRC3_GFX90A:TG_SPLIT: 0
	.section	.text._ZN9rocsolver6v33100L18getri_kernel_smallILi10E19rocblas_complex_numIfEPKPS3_EEvT1_iilPiilS8_bb,"axG",@progbits,_ZN9rocsolver6v33100L18getri_kernel_smallILi10E19rocblas_complex_numIfEPKPS3_EEvT1_iilPiilS8_bb,comdat
	.globl	_ZN9rocsolver6v33100L18getri_kernel_smallILi10E19rocblas_complex_numIfEPKPS3_EEvT1_iilPiilS8_bb ; -- Begin function _ZN9rocsolver6v33100L18getri_kernel_smallILi10E19rocblas_complex_numIfEPKPS3_EEvT1_iilPiilS8_bb
	.p2align	8
	.type	_ZN9rocsolver6v33100L18getri_kernel_smallILi10E19rocblas_complex_numIfEPKPS3_EEvT1_iilPiilS8_bb,@function
_ZN9rocsolver6v33100L18getri_kernel_smallILi10E19rocblas_complex_numIfEPKPS3_EEvT1_iilPiilS8_bb: ; @_ZN9rocsolver6v33100L18getri_kernel_smallILi10E19rocblas_complex_numIfEPKPS3_EEvT1_iilPiilS8_bb
; %bb.0:
	s_add_u32 flat_scratch_lo, s6, s9
	s_addc_u32 flat_scratch_hi, s7, 0
	s_add_u32 s0, s0, s9
	s_addc_u32 s1, s1, 0
	v_cmp_gt_u32_e32 vcc, 10, v0
	s_and_saveexec_b64 s[6:7], vcc
	s_cbranch_execz .LBB73_54
; %bb.1:
	s_load_dword s18, s[4:5], 0x38
	s_load_dwordx2 s[6:7], s[4:5], 0x0
	s_load_dwordx4 s[12:15], s[4:5], 0x28
	s_waitcnt lgkmcnt(0)
	s_bitcmp1_b32 s18, 8
	s_cselect_b64 s[16:17], -1, 0
	s_ashr_i32 s9, s8, 31
	s_lshl_b64 s[10:11], s[8:9], 3
	s_add_u32 s6, s6, s10
	s_addc_u32 s7, s7, s11
	s_load_dwordx2 s[6:7], s[6:7], 0x0
	s_bfe_u32 s10, s18, 0x10008
	s_cmp_eq_u32 s10, 0
                                        ; implicit-def: $sgpr10_sgpr11
	s_cbranch_scc1 .LBB73_3
; %bb.2:
	s_load_dword s10, s[4:5], 0x20
	s_load_dwordx2 s[20:21], s[4:5], 0x18
	s_mul_i32 s11, s8, s13
	s_mul_hi_u32 s13, s8, s12
	s_add_i32 s13, s13, s11
	s_mul_i32 s19, s9, s12
	s_add_i32 s13, s13, s19
	s_mul_i32 s12, s8, s12
	s_waitcnt lgkmcnt(0)
	s_ashr_i32 s11, s10, 31
	s_lshl_b64 s[12:13], s[12:13], 2
	s_add_u32 s12, s20, s12
	s_addc_u32 s13, s21, s13
	s_lshl_b64 s[10:11], s[10:11], 2
	s_add_u32 s10, s12, s10
	s_addc_u32 s11, s13, s11
.LBB73_3:
	s_load_dwordx2 s[4:5], s[4:5], 0x8
	v_lshlrev_b32_e32 v26, 3, v0
	s_waitcnt lgkmcnt(0)
	s_ashr_i32 s13, s4, 31
	s_mov_b32 s12, s4
	s_lshl_b64 s[12:13], s[12:13], 3
	s_add_u32 s6, s6, s12
	s_addc_u32 s7, s7, s13
	v_mov_b32_e32 v1, s7
	v_add_co_u32_e32 v2, vcc, s6, v26
	s_ashr_i32 s13, s5, 31
	s_mov_b32 s12, s5
	s_add_i32 s4, s5, s5
	v_addc_co_u32_e32 v3, vcc, 0, v1, vcc
	s_lshl_b64 s[12:13], s[12:13], 3
	v_add_u32_e32 v8, s4, v0
	v_mov_b32_e32 v1, s13
	v_add_co_u32_e32 v4, vcc, s12, v2
	v_ashrrev_i32_e32 v9, 31, v8
	v_addc_co_u32_e32 v5, vcc, v3, v1, vcc
	v_lshlrev_b64 v[6:7], 3, v[8:9]
	v_add_u32_e32 v10, s5, v8
	v_mov_b32_e32 v1, s7
	v_add_co_u32_e32 v6, vcc, s6, v6
	v_ashrrev_i32_e32 v11, 31, v10
	v_addc_co_u32_e32 v7, vcc, v1, v7, vcc
	v_lshlrev_b64 v[8:9], 3, v[10:11]
	v_add_u32_e32 v12, s5, v10
	v_add_co_u32_e32 v8, vcc, s6, v8
	v_ashrrev_i32_e32 v13, 31, v12
	v_addc_co_u32_e32 v9, vcc, v1, v9, vcc
	v_lshlrev_b64 v[10:11], 3, v[12:13]
	v_add_u32_e32 v14, s5, v12
	;; [unrolled: 5-line block ×5, first 2 shown]
	v_add_co_u32_e32 v16, vcc, s6, v16
	v_ashrrev_i32_e32 v21, 31, v20
	v_addc_co_u32_e32 v17, vcc, v1, v17, vcc
	v_lshlrev_b64 v[18:19], 3, v[20:21]
	v_add_co_u32_e32 v18, vcc, s6, v18
	global_load_dwordx2 v[22:23], v26, s[6:7]
	global_load_dwordx2 v[24:25], v[4:5], off
	global_load_dwordx2 v[28:29], v[6:7], off
	;; [unrolled: 1-line block ×4, first 2 shown]
	v_addc_co_u32_e32 v19, vcc, v1, v19, vcc
	global_load_dwordx2 v[34:35], v[12:13], off
	global_load_dwordx2 v[36:37], v[14:15], off
	;; [unrolled: 1-line block ×4, first 2 shown]
	v_add_u32_e32 v20, s5, v20
	v_ashrrev_i32_e32 v21, 31, v20
	v_lshlrev_b64 v[20:21], 3, v[20:21]
	v_add_co_u32_e32 v20, vcc, s6, v20
	v_addc_co_u32_e32 v21, vcc, v1, v21, vcc
	global_load_dwordx2 v[42:43], v[20:21], off
	s_bitcmp0_b32 s18, 0
	s_mov_b64 s[6:7], -1
	s_waitcnt vmcnt(9)
	buffer_store_dword v23, off, s[0:3], 0 offset:4
	buffer_store_dword v22, off, s[0:3], 0
	s_waitcnt vmcnt(10)
	buffer_store_dword v25, off, s[0:3], 0 offset:12
	buffer_store_dword v24, off, s[0:3], 0 offset:8
	s_waitcnt vmcnt(11)
	buffer_store_dword v29, off, s[0:3], 0 offset:20
	buffer_store_dword v28, off, s[0:3], 0 offset:16
	;; [unrolled: 3-line block ×9, first 2 shown]
	s_cbranch_scc1 .LBB73_52
; %bb.4:
	v_cmp_eq_u32_e64 s[4:5], 0, v0
	s_and_saveexec_b64 s[6:7], s[4:5]
	s_cbranch_execz .LBB73_6
; %bb.5:
	v_mov_b32_e32 v1, 0
	ds_write_b32 v1, v1 offset:160
.LBB73_6:
	s_or_b64 exec, exec, s[6:7]
	v_mov_b32_e32 v1, 0
	v_lshl_add_u32 v27, v0, 3, v1
	s_waitcnt lgkmcnt(0)
	; wave barrier
	s_waitcnt lgkmcnt(0)
	buffer_load_dword v1, v27, s[0:3], 0 offen
	buffer_load_dword v22, v27, s[0:3], 0 offen offset:4
	s_waitcnt vmcnt(1)
	v_cmp_eq_f32_e32 vcc, 0, v1
	s_waitcnt vmcnt(0)
	v_cmp_eq_f32_e64 s[6:7], 0, v22
	s_and_b64 s[6:7], vcc, s[6:7]
	s_and_saveexec_b64 s[12:13], s[6:7]
	s_cbranch_execz .LBB73_10
; %bb.7:
	v_mov_b32_e32 v1, 0
	ds_read_b32 v23, v1 offset:160
	v_add_u32_e32 v22, 1, v0
	s_waitcnt lgkmcnt(0)
	v_readfirstlane_b32 s6, v23
	s_cmp_eq_u32 s6, 0
	s_cselect_b64 s[18:19], -1, 0
	v_cmp_gt_i32_e32 vcc, s6, v22
	s_or_b64 s[18:19], s[18:19], vcc
	s_and_b64 exec, exec, s[18:19]
	s_cbranch_execz .LBB73_10
; %bb.8:
	s_mov_b64 s[18:19], 0
	v_mov_b32_e32 v23, s6
.LBB73_9:                               ; =>This Inner Loop Header: Depth=1
	ds_cmpst_rtn_b32 v23, v1, v23, v22 offset:160
	s_waitcnt lgkmcnt(0)
	v_cmp_ne_u32_e32 vcc, 0, v23
	v_cmp_le_i32_e64 s[6:7], v23, v22
	s_and_b64 s[6:7], vcc, s[6:7]
	s_and_b64 s[6:7], exec, s[6:7]
	s_or_b64 s[18:19], s[6:7], s[18:19]
	s_andn2_b64 exec, exec, s[18:19]
	s_cbranch_execnz .LBB73_9
.LBB73_10:
	s_or_b64 exec, exec, s[12:13]
	v_mov_b32_e32 v22, 0
	s_waitcnt lgkmcnt(0)
	; wave barrier
	ds_read_b32 v1, v22 offset:160
	s_and_saveexec_b64 s[6:7], s[4:5]
	s_cbranch_execz .LBB73_12
; %bb.11:
	s_lshl_b64 s[12:13], s[8:9], 2
	s_add_u32 s12, s14, s12
	s_addc_u32 s13, s15, s13
	s_waitcnt lgkmcnt(0)
	global_store_dword v22, v1, s[12:13]
.LBB73_12:
	s_or_b64 exec, exec, s[6:7]
	s_waitcnt lgkmcnt(0)
	v_cmp_ne_u32_e32 vcc, 0, v1
	s_mov_b64 s[6:7], 0
	s_cbranch_vccnz .LBB73_52
; %bb.13:
	buffer_load_dword v28, v27, s[0:3], 0 offen offset:4
	buffer_load_dword v23, v27, s[0:3], 0 offen
	s_waitcnt vmcnt(1)
	v_cmp_gt_f32_e32 vcc, 0, v28
	v_cndmask_b32_e64 v1, v28, -v28, vcc
	s_waitcnt vmcnt(0)
	v_cmp_gt_f32_e32 vcc, 0, v23
	v_cndmask_b32_e64 v22, v23, -v23, vcc
	v_cmp_ngt_f32_e32 vcc, v22, v1
                                        ; implicit-def: $vgpr1
                                        ; implicit-def: $vgpr22
	s_and_saveexec_b64 s[6:7], vcc
	s_xor_b64 s[6:7], exec, s[6:7]
                                        ; implicit-def: $vgpr24_vgpr25
	s_cbranch_execz .LBB73_15
; %bb.14:
	v_div_scale_f32 v1, s[12:13], v28, v28, v23
	v_rcp_f32_e32 v22, v1
	v_div_scale_f32 v24, vcc, v23, v28, v23
	v_fma_f32 v25, -v1, v22, 1.0
	v_fmac_f32_e32 v22, v25, v22
	v_mul_f32_e32 v25, v24, v22
	v_fma_f32 v29, -v1, v25, v24
	v_fmac_f32_e32 v25, v29, v22
	v_fma_f32 v1, -v1, v25, v24
	v_div_fmas_f32 v1, v1, v22, v25
	v_div_fixup_f32 v22, v1, v28, v23
	v_fmac_f32_e32 v28, v23, v22
	v_div_scale_f32 v1, s[12:13], v28, v28, -1.0
	v_rcp_f32_e32 v23, v1
	v_fma_f32 v24, -v1, v23, 1.0
	v_fmac_f32_e32 v23, v24, v23
	v_div_scale_f32 v24, vcc, -1.0, v28, -1.0
	v_mul_f32_e32 v25, v24, v23
	v_fma_f32 v29, -v1, v25, v24
	v_fmac_f32_e32 v25, v29, v23
	v_fma_f32 v1, -v1, v25, v24
	v_div_fmas_f32 v1, v1, v23, v25
	v_div_fixup_f32 v1, v1, v28, -1.0
	v_mul_f32_e32 v22, v22, v1
	v_xor_b32_e32 v24, 0x80000000, v22
                                        ; implicit-def: $vgpr23
                                        ; implicit-def: $vgpr28
.LBB73_15:
	s_andn2_saveexec_b64 s[6:7], s[6:7]
	s_cbranch_execz .LBB73_17
; %bb.16:
	v_div_scale_f32 v1, s[12:13], v23, v23, v28
	v_rcp_f32_e32 v22, v1
	v_div_scale_f32 v24, vcc, v28, v23, v28
	v_fma_f32 v25, -v1, v22, 1.0
	v_fmac_f32_e32 v22, v25, v22
	v_mul_f32_e32 v25, v24, v22
	v_fma_f32 v29, -v1, v25, v24
	v_fmac_f32_e32 v25, v29, v22
	v_fma_f32 v1, -v1, v25, v24
	v_div_fmas_f32 v1, v1, v22, v25
	v_div_fixup_f32 v1, v1, v23, v28
	v_fmac_f32_e32 v23, v28, v1
	v_div_scale_f32 v22, s[12:13], v23, v23, 1.0
	v_rcp_f32_e32 v24, v22
	v_fma_f32 v25, -v22, v24, 1.0
	v_fmac_f32_e32 v24, v25, v24
	v_div_scale_f32 v25, vcc, 1.0, v23, 1.0
	v_mul_f32_e32 v28, v25, v24
	v_fma_f32 v29, -v22, v28, v25
	v_fmac_f32_e32 v28, v29, v24
	v_fma_f32 v22, -v22, v28, v25
	v_div_fmas_f32 v22, v22, v24, v28
	v_div_fixup_f32 v24, v22, v23, 1.0
	v_xor_b32_e32 v22, 0x80000000, v24
	v_mul_f32_e64 v1, v1, -v24
.LBB73_17:
	s_or_b64 exec, exec, s[6:7]
	buffer_store_dword v1, v27, s[0:3], 0 offen offset:4
	buffer_store_dword v24, v27, s[0:3], 0 offen
	buffer_load_dword v25, off, s[0:3], 0 offset:12
	s_nop 0
	buffer_load_dword v24, off, s[0:3], 0 offset:8
	v_xor_b32_e32 v23, 0x80000000, v1
	v_add_u32_e32 v1, 0x50, v26
	s_waitcnt vmcnt(0)
	ds_write2_b64 v26, v[22:23], v[24:25] offset1:10
	s_waitcnt lgkmcnt(0)
	; wave barrier
	s_waitcnt lgkmcnt(0)
	s_and_saveexec_b64 s[6:7], s[4:5]
	s_cbranch_execz .LBB73_19
; %bb.18:
	buffer_load_dword v28, v27, s[0:3], 0 offen offset:4
	buffer_load_dword v29, v27, s[0:3], 0 offen
	ds_read_b64 v[22:23], v1
	v_mov_b32_e32 v24, 0
	ds_read_b64 v[24:25], v24 offset:8
	s_waitcnt vmcnt(1) lgkmcnt(1)
	v_mul_f32_e32 v30, v23, v28
	v_mul_f32_e32 v28, v22, v28
	s_waitcnt vmcnt(0)
	v_fmac_f32_e32 v28, v23, v29
	v_fma_f32 v22, v22, v29, -v30
	v_add_f32_e32 v23, 0, v28
	v_add_f32_e32 v22, 0, v22
	s_waitcnt lgkmcnt(0)
	v_mul_f32_e32 v28, v23, v25
	v_mul_f32_e32 v25, v22, v25
	v_fma_f32 v22, v22, v24, -v28
	v_fmac_f32_e32 v25, v23, v24
	buffer_store_dword v22, off, s[0:3], 0 offset:8
	buffer_store_dword v25, off, s[0:3], 0 offset:12
.LBB73_19:
	s_or_b64 exec, exec, s[6:7]
	s_waitcnt lgkmcnt(0)
	; wave barrier
	buffer_load_dword v22, off, s[0:3], 0 offset:16
	buffer_load_dword v23, off, s[0:3], 0 offset:20
	v_cmp_gt_u32_e32 vcc, 2, v0
	s_waitcnt vmcnt(0)
	ds_write_b64 v1, v[22:23]
	s_waitcnt lgkmcnt(0)
	; wave barrier
	s_waitcnt lgkmcnt(0)
	s_and_saveexec_b64 s[6:7], vcc
	s_cbranch_execz .LBB73_23
; %bb.20:
	buffer_load_dword v24, v27, s[0:3], 0 offen offset:4
	buffer_load_dword v25, v27, s[0:3], 0 offen
	ds_read_b64 v[22:23], v1
	s_waitcnt vmcnt(1) lgkmcnt(0)
	v_mul_f32_e32 v27, v23, v24
	v_mul_f32_e32 v24, v22, v24
	s_waitcnt vmcnt(0)
	v_fma_f32 v22, v22, v25, -v27
	v_fmac_f32_e32 v24, v23, v25
	v_add_f32_e32 v23, 0, v22
	v_add_f32_e32 v22, 0, v24
	s_and_saveexec_b64 s[12:13], s[4:5]
	s_cbranch_execz .LBB73_22
; %bb.21:
	buffer_load_dword v27, off, s[0:3], 0 offset:12
	buffer_load_dword v28, off, s[0:3], 0 offset:8
	v_mov_b32_e32 v24, 0
	ds_read_b64 v[24:25], v24 offset:88
	s_waitcnt vmcnt(1) lgkmcnt(0)
	v_mul_f32_e32 v29, v24, v27
	v_mul_f32_e32 v27, v25, v27
	s_waitcnt vmcnt(0)
	v_fmac_f32_e32 v29, v25, v28
	v_fma_f32 v24, v24, v28, -v27
	v_add_f32_e32 v22, v22, v29
	v_add_f32_e32 v23, v23, v24
.LBB73_22:
	s_or_b64 exec, exec, s[12:13]
	v_mov_b32_e32 v24, 0
	ds_read_b64 v[24:25], v24 offset:16
	s_waitcnt lgkmcnt(0)
	v_mul_f32_e32 v27, v22, v25
	v_mul_f32_e32 v25, v23, v25
	v_fma_f32 v23, v23, v24, -v27
	v_fmac_f32_e32 v25, v22, v24
	buffer_store_dword v23, off, s[0:3], 0 offset:16
	buffer_store_dword v25, off, s[0:3], 0 offset:20
.LBB73_23:
	s_or_b64 exec, exec, s[6:7]
	s_waitcnt lgkmcnt(0)
	; wave barrier
	buffer_load_dword v22, off, s[0:3], 0 offset:24
	buffer_load_dword v23, off, s[0:3], 0 offset:28
	v_cmp_gt_u32_e32 vcc, 3, v0
	s_waitcnt vmcnt(0)
	ds_write_b64 v1, v[22:23]
	v_add_u32_e32 v22, -1, v0
	s_waitcnt lgkmcnt(0)
	; wave barrier
	s_waitcnt lgkmcnt(0)
	s_and_saveexec_b64 s[4:5], vcc
	s_cbranch_execz .LBB73_27
; %bb.24:
	v_add_u32_e32 v24, -1, v0
	v_add_u32_e32 v25, 0x50, v26
	v_add_u32_e32 v27, 0, v26
	s_mov_b64 s[6:7], 0
	v_mov_b32_e32 v23, 0
	v_mov_b32_e32 v28, 0
.LBB73_25:                              ; =>This Inner Loop Header: Depth=1
	buffer_load_dword v29, v27, s[0:3], 0 offen offset:4
	buffer_load_dword v32, v27, s[0:3], 0 offen
	ds_read_b64 v[30:31], v25
	v_add_u32_e32 v24, 1, v24
	v_cmp_lt_u32_e32 vcc, 1, v24
	v_add_u32_e32 v25, 8, v25
	v_add_u32_e32 v27, 8, v27
	s_or_b64 s[6:7], vcc, s[6:7]
	s_waitcnt vmcnt(1) lgkmcnt(0)
	v_mul_f32_e32 v33, v31, v29
	v_mul_f32_e32 v29, v30, v29
	s_waitcnt vmcnt(0)
	v_fma_f32 v30, v30, v32, -v33
	v_fmac_f32_e32 v29, v31, v32
	v_add_f32_e32 v28, v28, v30
	v_add_f32_e32 v23, v23, v29
	s_andn2_b64 exec, exec, s[6:7]
	s_cbranch_execnz .LBB73_25
; %bb.26:
	s_or_b64 exec, exec, s[6:7]
	v_mov_b32_e32 v24, 0
	ds_read_b64 v[24:25], v24 offset:24
	s_waitcnt lgkmcnt(0)
	v_mul_f32_e32 v27, v23, v25
	v_mul_f32_e32 v25, v28, v25
	v_fma_f32 v27, v28, v24, -v27
	v_fmac_f32_e32 v25, v23, v24
	buffer_store_dword v27, off, s[0:3], 0 offset:24
	buffer_store_dword v25, off, s[0:3], 0 offset:28
.LBB73_27:
	s_or_b64 exec, exec, s[4:5]
	s_waitcnt lgkmcnt(0)
	; wave barrier
	buffer_load_dword v24, off, s[0:3], 0 offset:32
	buffer_load_dword v25, off, s[0:3], 0 offset:36
	v_cmp_gt_u32_e32 vcc, 4, v0
	s_waitcnt vmcnt(0)
	ds_write_b64 v1, v[24:25]
	s_waitcnt lgkmcnt(0)
	; wave barrier
	s_waitcnt lgkmcnt(0)
	s_and_saveexec_b64 s[4:5], vcc
	s_cbranch_execz .LBB73_31
; %bb.28:
	v_add_u32_e32 v24, -1, v0
	v_add_u32_e32 v25, 0x50, v26
	v_add_u32_e32 v27, 0, v26
	s_mov_b64 s[6:7], 0
	v_mov_b32_e32 v23, 0
	v_mov_b32_e32 v28, 0
.LBB73_29:                              ; =>This Inner Loop Header: Depth=1
	buffer_load_dword v29, v27, s[0:3], 0 offen offset:4
	buffer_load_dword v32, v27, s[0:3], 0 offen
	ds_read_b64 v[30:31], v25
	v_add_u32_e32 v24, 1, v24
	v_cmp_lt_u32_e32 vcc, 2, v24
	v_add_u32_e32 v25, 8, v25
	v_add_u32_e32 v27, 8, v27
	s_or_b64 s[6:7], vcc, s[6:7]
	s_waitcnt vmcnt(1) lgkmcnt(0)
	v_mul_f32_e32 v33, v31, v29
	v_mul_f32_e32 v29, v30, v29
	s_waitcnt vmcnt(0)
	v_fma_f32 v30, v30, v32, -v33
	v_fmac_f32_e32 v29, v31, v32
	v_add_f32_e32 v28, v28, v30
	v_add_f32_e32 v23, v23, v29
	s_andn2_b64 exec, exec, s[6:7]
	s_cbranch_execnz .LBB73_29
; %bb.30:
	s_or_b64 exec, exec, s[6:7]
	v_mov_b32_e32 v24, 0
	ds_read_b64 v[24:25], v24 offset:32
	s_waitcnt lgkmcnt(0)
	v_mul_f32_e32 v27, v23, v25
	v_mul_f32_e32 v25, v28, v25
	v_fma_f32 v27, v28, v24, -v27
	v_fmac_f32_e32 v25, v23, v24
	buffer_store_dword v27, off, s[0:3], 0 offset:32
	buffer_store_dword v25, off, s[0:3], 0 offset:36
.LBB73_31:
	s_or_b64 exec, exec, s[4:5]
	s_waitcnt lgkmcnt(0)
	; wave barrier
	buffer_load_dword v24, off, s[0:3], 0 offset:40
	buffer_load_dword v25, off, s[0:3], 0 offset:44
	v_cmp_gt_u32_e32 vcc, 5, v0
	s_waitcnt vmcnt(0)
	ds_write_b64 v1, v[24:25]
	;; [unrolled: 51-line block ×5, first 2 shown]
	s_waitcnt lgkmcnt(0)
	; wave barrier
	s_waitcnt lgkmcnt(0)
	s_and_saveexec_b64 s[4:5], vcc
	s_cbranch_execz .LBB73_47
; %bb.44:
	v_add_u32_e32 v24, -1, v0
	v_add_u32_e32 v25, 0x50, v26
	v_add_u32_e32 v27, 0, v26
	s_mov_b64 s[6:7], 0
	v_mov_b32_e32 v23, 0
	v_mov_b32_e32 v28, 0
.LBB73_45:                              ; =>This Inner Loop Header: Depth=1
	buffer_load_dword v29, v27, s[0:3], 0 offen offset:4
	buffer_load_dword v32, v27, s[0:3], 0 offen
	ds_read_b64 v[30:31], v25
	v_add_u32_e32 v24, 1, v24
	v_cmp_lt_u32_e32 vcc, 6, v24
	v_add_u32_e32 v25, 8, v25
	v_add_u32_e32 v27, 8, v27
	s_or_b64 s[6:7], vcc, s[6:7]
	s_waitcnt vmcnt(1) lgkmcnt(0)
	v_mul_f32_e32 v33, v31, v29
	v_mul_f32_e32 v29, v30, v29
	s_waitcnt vmcnt(0)
	v_fma_f32 v30, v30, v32, -v33
	v_fmac_f32_e32 v29, v31, v32
	v_add_f32_e32 v28, v28, v30
	v_add_f32_e32 v23, v23, v29
	s_andn2_b64 exec, exec, s[6:7]
	s_cbranch_execnz .LBB73_45
; %bb.46:
	s_or_b64 exec, exec, s[6:7]
	v_mov_b32_e32 v24, 0
	ds_read_b64 v[24:25], v24 offset:64
	s_waitcnt lgkmcnt(0)
	v_mul_f32_e32 v27, v23, v25
	v_mul_f32_e32 v25, v28, v25
	v_fma_f32 v27, v28, v24, -v27
	v_fmac_f32_e32 v25, v23, v24
	buffer_store_dword v27, off, s[0:3], 0 offset:64
	buffer_store_dword v25, off, s[0:3], 0 offset:68
.LBB73_47:
	s_or_b64 exec, exec, s[4:5]
	s_waitcnt lgkmcnt(0)
	; wave barrier
	buffer_load_dword v24, off, s[0:3], 0 offset:72
	buffer_load_dword v25, off, s[0:3], 0 offset:76
	v_cmp_ne_u32_e32 vcc, 9, v0
	s_waitcnt vmcnt(0)
	ds_write_b64 v1, v[24:25]
	s_waitcnt lgkmcnt(0)
	; wave barrier
	s_waitcnt lgkmcnt(0)
	s_and_saveexec_b64 s[4:5], vcc
	s_cbranch_execz .LBB73_51
; %bb.48:
	v_add_u32_e32 v23, 0x50, v26
	v_add_u32_e32 v24, 0, v26
	s_mov_b64 s[6:7], 0
	v_mov_b32_e32 v1, 0
	v_mov_b32_e32 v25, 0
.LBB73_49:                              ; =>This Inner Loop Header: Depth=1
	buffer_load_dword v28, v24, s[0:3], 0 offen offset:4
	buffer_load_dword v29, v24, s[0:3], 0 offen
	ds_read_b64 v[26:27], v23
	v_add_u32_e32 v22, 1, v22
	v_cmp_lt_u32_e32 vcc, 7, v22
	v_add_u32_e32 v23, 8, v23
	v_add_u32_e32 v24, 8, v24
	s_or_b64 s[6:7], vcc, s[6:7]
	s_waitcnt vmcnt(1) lgkmcnt(0)
	v_mul_f32_e32 v30, v27, v28
	v_mul_f32_e32 v28, v26, v28
	s_waitcnt vmcnt(0)
	v_fma_f32 v26, v26, v29, -v30
	v_fmac_f32_e32 v28, v27, v29
	v_add_f32_e32 v25, v25, v26
	v_add_f32_e32 v1, v1, v28
	s_andn2_b64 exec, exec, s[6:7]
	s_cbranch_execnz .LBB73_49
; %bb.50:
	s_or_b64 exec, exec, s[6:7]
	v_mov_b32_e32 v22, 0
	ds_read_b64 v[22:23], v22 offset:72
	s_waitcnt lgkmcnt(0)
	v_mul_f32_e32 v24, v1, v23
	v_mul_f32_e32 v23, v25, v23
	v_fma_f32 v24, v25, v22, -v24
	v_fmac_f32_e32 v23, v1, v22
	buffer_store_dword v24, off, s[0:3], 0 offset:72
	buffer_store_dword v23, off, s[0:3], 0 offset:76
.LBB73_51:
	s_or_b64 exec, exec, s[4:5]
	s_mov_b64 s[6:7], -1
	s_waitcnt lgkmcnt(0)
	; wave barrier
.LBB73_52:
	s_and_b64 vcc, exec, s[6:7]
	s_cbranch_vccz .LBB73_54
; %bb.53:
	s_lshl_b64 s[4:5], s[8:9], 2
	s_add_u32 s4, s14, s4
	s_addc_u32 s5, s15, s5
	v_mov_b32_e32 v1, 0
	global_load_dword v1, v1, s[4:5]
	s_waitcnt vmcnt(0)
	v_cmp_ne_u32_e32 vcc, 0, v1
	s_cbranch_vccz .LBB73_55
.LBB73_54:
	s_endpgm
.LBB73_55:
	v_mov_b32_e32 v1, 0x50
	v_lshl_add_u32 v1, v0, 3, v1
	v_cmp_eq_u32_e32 vcc, 9, v0
	s_and_saveexec_b64 s[4:5], vcc
	s_cbranch_execz .LBB73_57
; %bb.56:
	buffer_load_dword v22, off, s[0:3], 0 offset:64
	buffer_load_dword v23, off, s[0:3], 0 offset:68
	v_mov_b32_e32 v24, 0
	buffer_store_dword v24, off, s[0:3], 0 offset:64
	buffer_store_dword v24, off, s[0:3], 0 offset:68
	s_waitcnt vmcnt(2)
	ds_write_b64 v1, v[22:23]
.LBB73_57:
	s_or_b64 exec, exec, s[4:5]
	s_waitcnt lgkmcnt(0)
	; wave barrier
	s_waitcnt lgkmcnt(0)
	buffer_load_dword v25, off, s[0:3], 0 offset:76
	buffer_load_dword v24, off, s[0:3], 0 offset:72
	;; [unrolled: 1-line block ×4, first 2 shown]
	v_mov_b32_e32 v22, 0
	ds_read_b64 v[28:29], v22 offset:152
	v_cmp_lt_u32_e32 vcc, 7, v0
	s_waitcnt vmcnt(3)
	v_mov_b32_e32 v30, v25
	s_waitcnt lgkmcnt(0)
	v_pk_mul_f32 v[30:31], v[28:29], v[30:31] op_sel_hi:[1,0]
	s_waitcnt vmcnt(2)
	v_pk_fma_f32 v[32:33], v[28:29], v[24:25], v[30:31] op_sel:[0,0,1] op_sel_hi:[1,1,0] neg_lo:[0,0,1] neg_hi:[0,0,1]
	v_pk_fma_f32 v[24:25], v[28:29], v[24:25], v[30:31] op_sel:[0,0,1] op_sel_hi:[1,0,0]
	v_mov_b32_e32 v33, v25
	v_pk_add_f32 v[24:25], v[32:33], 0 op_sel_hi:[1,0]
	s_waitcnt vmcnt(0)
	v_pk_add_f32 v[24:25], v[26:27], v[24:25] neg_lo:[0,1] neg_hi:[0,1]
	buffer_store_dword v24, off, s[0:3], 0 offset:64
	buffer_store_dword v25, off, s[0:3], 0 offset:68
	s_and_saveexec_b64 s[4:5], vcc
	s_cbranch_execz .LBB73_59
; %bb.58:
	buffer_load_dword v24, off, s[0:3], 0 offset:56
	buffer_load_dword v25, off, s[0:3], 0 offset:60
	s_waitcnt vmcnt(0)
	ds_write_b64 v1, v[24:25]
	buffer_store_dword v22, off, s[0:3], 0 offset:56
	buffer_store_dword v22, off, s[0:3], 0 offset:60
.LBB73_59:
	s_or_b64 exec, exec, s[4:5]
	s_waitcnt lgkmcnt(0)
	; wave barrier
	s_waitcnt lgkmcnt(0)
	buffer_load_dword v27, off, s[0:3], 0 offset:68
	buffer_load_dword v29, off, s[0:3], 0 offset:76
	;; [unrolled: 1-line block ×6, first 2 shown]
	ds_read_b128 v[22:25], v22 offset:144
	v_cmp_lt_u32_e32 vcc, 6, v0
	s_waitcnt vmcnt(5)
	v_mov_b32_e32 v32, v27
	s_waitcnt vmcnt(4)
	v_mov_b32_e32 v34, v29
	s_waitcnt lgkmcnt(0)
	v_pk_mul_f32 v[32:33], v[22:23], v[32:33] op_sel_hi:[1,0]
	v_pk_mul_f32 v[34:35], v[24:25], v[34:35] op_sel_hi:[1,0]
	s_waitcnt vmcnt(3)
	v_pk_fma_f32 v[36:37], v[22:23], v[26:27], v[32:33] op_sel:[0,0,1] op_sel_hi:[1,1,0] neg_lo:[0,0,1] neg_hi:[0,0,1]
	v_pk_fma_f32 v[22:23], v[22:23], v[26:27], v[32:33] op_sel:[0,0,1] op_sel_hi:[1,0,0]
	s_waitcnt vmcnt(2)
	v_pk_fma_f32 v[26:27], v[24:25], v[28:29], v[34:35] op_sel:[0,0,1] op_sel_hi:[1,1,0] neg_lo:[0,0,1] neg_hi:[0,0,1]
	v_pk_fma_f32 v[24:25], v[24:25], v[28:29], v[34:35] op_sel:[0,0,1] op_sel_hi:[1,0,0]
	v_mov_b32_e32 v37, v23
	v_mov_b32_e32 v27, v25
	v_pk_add_f32 v[22:23], v[36:37], 0 op_sel_hi:[1,0]
	v_pk_add_f32 v[22:23], v[22:23], v[26:27]
	s_waitcnt vmcnt(0)
	v_pk_add_f32 v[22:23], v[30:31], v[22:23] neg_lo:[0,1] neg_hi:[0,1]
	buffer_store_dword v22, off, s[0:3], 0 offset:56
	buffer_store_dword v23, off, s[0:3], 0 offset:60
	s_and_saveexec_b64 s[4:5], vcc
	s_cbranch_execz .LBB73_61
; %bb.60:
	buffer_load_dword v22, off, s[0:3], 0 offset:48
	buffer_load_dword v23, off, s[0:3], 0 offset:52
	v_mov_b32_e32 v24, 0
	buffer_store_dword v24, off, s[0:3], 0 offset:48
	buffer_store_dword v24, off, s[0:3], 0 offset:52
	s_waitcnt vmcnt(2)
	ds_write_b64 v1, v[22:23]
.LBB73_61:
	s_or_b64 exec, exec, s[4:5]
	s_waitcnt lgkmcnt(0)
	; wave barrier
	s_waitcnt lgkmcnt(0)
	buffer_load_dword v29, off, s[0:3], 0 offset:60
	buffer_load_dword v31, off, s[0:3], 0 offset:68
	;; [unrolled: 1-line block ×8, first 2 shown]
	v_mov_b32_e32 v22, 0
	ds_read2_b64 v[24:27], v22 offset0:17 offset1:18
	ds_read_b64 v[36:37], v22 offset:152
	v_cmp_lt_u32_e32 vcc, 5, v0
	s_waitcnt vmcnt(7)
	v_mov_b32_e32 v38, v29
	s_waitcnt vmcnt(6)
	v_mov_b32_e32 v40, v31
	s_waitcnt lgkmcnt(1)
	v_pk_mul_f32 v[38:39], v[24:25], v[38:39] op_sel_hi:[1,0]
	s_waitcnt vmcnt(5)
	v_mov_b32_e32 v42, v33
	v_pk_mul_f32 v[40:41], v[26:27], v[40:41] op_sel_hi:[1,0]
	s_waitcnt vmcnt(4)
	v_pk_fma_f32 v[44:45], v[24:25], v[28:29], v[38:39] op_sel:[0,0,1] op_sel_hi:[1,1,0] neg_lo:[0,0,1] neg_hi:[0,0,1]
	v_pk_fma_f32 v[24:25], v[24:25], v[28:29], v[38:39] op_sel:[0,0,1] op_sel_hi:[1,0,0]
	s_waitcnt lgkmcnt(0)
	v_pk_mul_f32 v[42:43], v[36:37], v[42:43] op_sel_hi:[1,0]
	s_waitcnt vmcnt(3)
	v_pk_fma_f32 v[28:29], v[26:27], v[30:31], v[40:41] op_sel:[0,0,1] op_sel_hi:[1,1,0] neg_lo:[0,0,1] neg_hi:[0,0,1]
	v_pk_fma_f32 v[26:27], v[26:27], v[30:31], v[40:41] op_sel:[0,0,1] op_sel_hi:[1,0,0]
	v_mov_b32_e32 v45, v25
	s_waitcnt vmcnt(2)
	v_pk_fma_f32 v[30:31], v[36:37], v[32:33], v[42:43] op_sel:[0,0,1] op_sel_hi:[1,1,0] neg_lo:[0,0,1] neg_hi:[0,0,1]
	v_pk_fma_f32 v[32:33], v[36:37], v[32:33], v[42:43] op_sel:[0,0,1] op_sel_hi:[1,0,0]
	v_mov_b32_e32 v29, v27
	v_pk_add_f32 v[24:25], v[44:45], 0 op_sel_hi:[1,0]
	v_mov_b32_e32 v31, v33
	v_pk_add_f32 v[24:25], v[24:25], v[28:29]
	v_pk_add_f32 v[24:25], v[24:25], v[30:31]
	s_waitcnt vmcnt(0)
	v_pk_add_f32 v[24:25], v[34:35], v[24:25] neg_lo:[0,1] neg_hi:[0,1]
	buffer_store_dword v24, off, s[0:3], 0 offset:48
	buffer_store_dword v25, off, s[0:3], 0 offset:52
	s_and_saveexec_b64 s[4:5], vcc
	s_cbranch_execz .LBB73_63
; %bb.62:
	buffer_load_dword v24, off, s[0:3], 0 offset:40
	buffer_load_dword v25, off, s[0:3], 0 offset:44
	s_waitcnt vmcnt(0)
	ds_write_b64 v1, v[24:25]
	buffer_store_dword v22, off, s[0:3], 0 offset:40
	buffer_store_dword v22, off, s[0:3], 0 offset:44
.LBB73_63:
	s_or_b64 exec, exec, s[4:5]
	s_waitcnt lgkmcnt(0)
	; wave barrier
	s_waitcnt lgkmcnt(0)
	buffer_load_dword v33, off, s[0:3], 0 offset:52
	buffer_load_dword v35, off, s[0:3], 0 offset:60
	;; [unrolled: 1-line block ×10, first 2 shown]
	ds_read_b128 v[24:27], v22 offset:128
	ds_read_b128 v[28:31], v22 offset:144
	v_cmp_lt_u32_e32 vcc, 4, v0
	s_waitcnt vmcnt(9)
	v_mov_b32_e32 v22, v33
	s_waitcnt vmcnt(8)
	v_mov_b32_e32 v42, v35
	s_waitcnt lgkmcnt(1)
	v_pk_mul_f32 v[22:23], v[24:25], v[22:23] op_sel_hi:[1,0]
	s_waitcnt vmcnt(7)
	v_mov_b32_e32 v44, v37
	v_pk_mul_f32 v[42:43], v[26:27], v[42:43] op_sel_hi:[1,0]
	s_waitcnt vmcnt(5)
	v_pk_fma_f32 v[48:49], v[24:25], v[32:33], v[22:23] op_sel:[0,0,1] op_sel_hi:[1,1,0] neg_lo:[0,0,1] neg_hi:[0,0,1]
	v_pk_fma_f32 v[22:23], v[24:25], v[32:33], v[22:23] op_sel:[0,0,1] op_sel_hi:[1,0,0]
	v_mov_b32_e32 v46, v39
	s_waitcnt lgkmcnt(0)
	v_pk_mul_f32 v[44:45], v[28:29], v[44:45] op_sel_hi:[1,0]
	s_waitcnt vmcnt(4)
	v_pk_fma_f32 v[24:25], v[26:27], v[34:35], v[42:43] op_sel:[0,0,1] op_sel_hi:[1,1,0] neg_lo:[0,0,1] neg_hi:[0,0,1]
	v_pk_fma_f32 v[26:27], v[26:27], v[34:35], v[42:43] op_sel:[0,0,1] op_sel_hi:[1,0,0]
	v_mov_b32_e32 v49, v23
	v_pk_mul_f32 v[46:47], v[30:31], v[46:47] op_sel_hi:[1,0]
	s_waitcnt vmcnt(3)
	v_pk_fma_f32 v[32:33], v[28:29], v[36:37], v[44:45] op_sel:[0,0,1] op_sel_hi:[1,1,0] neg_lo:[0,0,1] neg_hi:[0,0,1]
	v_pk_fma_f32 v[28:29], v[28:29], v[36:37], v[44:45] op_sel:[0,0,1] op_sel_hi:[1,0,0]
	v_mov_b32_e32 v25, v27
	v_pk_add_f32 v[22:23], v[48:49], 0 op_sel_hi:[1,0]
	s_waitcnt vmcnt(2)
	v_pk_fma_f32 v[34:35], v[30:31], v[38:39], v[46:47] op_sel:[0,0,1] op_sel_hi:[1,1,0] neg_lo:[0,0,1] neg_hi:[0,0,1]
	v_pk_fma_f32 v[30:31], v[30:31], v[38:39], v[46:47] op_sel:[0,0,1] op_sel_hi:[1,0,0]
	v_mov_b32_e32 v33, v29
	v_pk_add_f32 v[22:23], v[22:23], v[24:25]
	v_mov_b32_e32 v35, v31
	v_pk_add_f32 v[22:23], v[22:23], v[32:33]
	v_pk_add_f32 v[22:23], v[22:23], v[34:35]
	s_waitcnt vmcnt(0)
	v_pk_add_f32 v[22:23], v[40:41], v[22:23] neg_lo:[0,1] neg_hi:[0,1]
	buffer_store_dword v22, off, s[0:3], 0 offset:40
	buffer_store_dword v23, off, s[0:3], 0 offset:44
	s_and_saveexec_b64 s[4:5], vcc
	s_cbranch_execz .LBB73_65
; %bb.64:
	buffer_load_dword v22, off, s[0:3], 0 offset:32
	buffer_load_dword v23, off, s[0:3], 0 offset:36
	v_mov_b32_e32 v24, 0
	buffer_store_dword v24, off, s[0:3], 0 offset:32
	buffer_store_dword v24, off, s[0:3], 0 offset:36
	s_waitcnt vmcnt(2)
	ds_write_b64 v1, v[22:23]
.LBB73_65:
	s_or_b64 exec, exec, s[4:5]
	s_waitcnt lgkmcnt(0)
	; wave barrier
	s_waitcnt lgkmcnt(0)
	buffer_load_dword v33, off, s[0:3], 0 offset:44
	buffer_load_dword v35, off, s[0:3], 0 offset:52
	;; [unrolled: 1-line block ×12, first 2 shown]
	v_mov_b32_e32 v22, 0
	ds_read2_b64 v[24:27], v22 offset0:15 offset1:16
	ds_read2_b64 v[28:31], v22 offset0:17 offset1:18
	ds_read_b64 v[44:45], v22 offset:152
	v_cmp_lt_u32_e32 vcc, 3, v0
	s_waitcnt vmcnt(11)
	v_mov_b32_e32 v46, v33
	s_waitcnt vmcnt(10)
	v_mov_b32_e32 v48, v35
	s_waitcnt lgkmcnt(2)
	v_pk_mul_f32 v[46:47], v[24:25], v[46:47] op_sel_hi:[1,0]
	s_waitcnt vmcnt(9)
	v_mov_b32_e32 v50, v37
	v_pk_mul_f32 v[48:49], v[26:27], v[48:49] op_sel_hi:[1,0]
	s_waitcnt vmcnt(6)
	v_pk_fma_f32 v[56:57], v[24:25], v[32:33], v[46:47] op_sel:[0,0,1] op_sel_hi:[1,1,0] neg_lo:[0,0,1] neg_hi:[0,0,1]
	v_pk_fma_f32 v[24:25], v[24:25], v[32:33], v[46:47] op_sel:[0,0,1] op_sel_hi:[1,0,0]
	v_mov_b32_e32 v52, v39
	s_waitcnt lgkmcnt(1)
	v_pk_mul_f32 v[50:51], v[28:29], v[50:51] op_sel_hi:[1,0]
	s_waitcnt vmcnt(5)
	v_pk_fma_f32 v[32:33], v[26:27], v[34:35], v[48:49] op_sel:[0,0,1] op_sel_hi:[1,1,0] neg_lo:[0,0,1] neg_hi:[0,0,1]
	v_pk_fma_f32 v[26:27], v[26:27], v[34:35], v[48:49] op_sel:[0,0,1] op_sel_hi:[1,0,0]
	v_mov_b32_e32 v57, v25
	v_mov_b32_e32 v54, v41
	v_pk_mul_f32 v[52:53], v[30:31], v[52:53] op_sel_hi:[1,0]
	s_waitcnt vmcnt(4)
	v_pk_fma_f32 v[34:35], v[28:29], v[36:37], v[50:51] op_sel:[0,0,1] op_sel_hi:[1,1,0] neg_lo:[0,0,1] neg_hi:[0,0,1]
	v_pk_fma_f32 v[28:29], v[28:29], v[36:37], v[50:51] op_sel:[0,0,1] op_sel_hi:[1,0,0]
	v_mov_b32_e32 v33, v27
	v_pk_add_f32 v[24:25], v[56:57], 0 op_sel_hi:[1,0]
	s_waitcnt lgkmcnt(0)
	v_pk_mul_f32 v[54:55], v[44:45], v[54:55] op_sel_hi:[1,0]
	s_waitcnt vmcnt(3)
	v_pk_fma_f32 v[36:37], v[30:31], v[38:39], v[52:53] op_sel:[0,0,1] op_sel_hi:[1,1,0] neg_lo:[0,0,1] neg_hi:[0,0,1]
	v_pk_fma_f32 v[30:31], v[30:31], v[38:39], v[52:53] op_sel:[0,0,1] op_sel_hi:[1,0,0]
	v_mov_b32_e32 v35, v29
	v_pk_add_f32 v[24:25], v[24:25], v[32:33]
	s_waitcnt vmcnt(2)
	v_pk_fma_f32 v[38:39], v[44:45], v[40:41], v[54:55] op_sel:[0,0,1] op_sel_hi:[1,1,0] neg_lo:[0,0,1] neg_hi:[0,0,1]
	v_pk_fma_f32 v[40:41], v[44:45], v[40:41], v[54:55] op_sel:[0,0,1] op_sel_hi:[1,0,0]
	v_mov_b32_e32 v37, v31
	v_pk_add_f32 v[24:25], v[24:25], v[34:35]
	v_mov_b32_e32 v39, v41
	v_pk_add_f32 v[24:25], v[24:25], v[36:37]
	v_pk_add_f32 v[24:25], v[24:25], v[38:39]
	s_waitcnt vmcnt(0)
	v_pk_add_f32 v[24:25], v[42:43], v[24:25] neg_lo:[0,1] neg_hi:[0,1]
	buffer_store_dword v24, off, s[0:3], 0 offset:32
	buffer_store_dword v25, off, s[0:3], 0 offset:36
	s_and_saveexec_b64 s[4:5], vcc
	s_cbranch_execz .LBB73_67
; %bb.66:
	buffer_load_dword v24, off, s[0:3], 0 offset:24
	buffer_load_dword v25, off, s[0:3], 0 offset:28
	s_waitcnt vmcnt(0)
	ds_write_b64 v1, v[24:25]
	buffer_store_dword v22, off, s[0:3], 0 offset:24
	buffer_store_dword v22, off, s[0:3], 0 offset:28
.LBB73_67:
	s_or_b64 exec, exec, s[4:5]
	s_waitcnt lgkmcnt(0)
	; wave barrier
	s_waitcnt lgkmcnt(0)
	buffer_load_dword v37, off, s[0:3], 0 offset:36
	buffer_load_dword v39, off, s[0:3], 0 offset:44
	buffer_load_dword v41, off, s[0:3], 0 offset:52
	buffer_load_dword v43, off, s[0:3], 0 offset:60
	buffer_load_dword v45, off, s[0:3], 0 offset:68
	buffer_load_dword v47, off, s[0:3], 0 offset:76
	buffer_load_dword v36, off, s[0:3], 0 offset:32
	buffer_load_dword v38, off, s[0:3], 0 offset:40
	buffer_load_dword v40, off, s[0:3], 0 offset:48
	buffer_load_dword v42, off, s[0:3], 0 offset:56
	buffer_load_dword v44, off, s[0:3], 0 offset:64
	buffer_load_dword v46, off, s[0:3], 0 offset:72
	buffer_load_dword v48, off, s[0:3], 0 offset:24
	buffer_load_dword v49, off, s[0:3], 0 offset:28
	ds_read_b128 v[24:27], v22 offset:112
	ds_read_b128 v[28:31], v22 offset:128
	;; [unrolled: 1-line block ×3, first 2 shown]
	v_cmp_lt_u32_e32 vcc, 2, v0
	s_waitcnt vmcnt(13)
	v_mov_b32_e32 v22, v37
	s_waitcnt vmcnt(12)
	v_mov_b32_e32 v50, v39
	s_waitcnt lgkmcnt(2)
	v_pk_mul_f32 v[22:23], v[24:25], v[22:23] op_sel_hi:[1,0]
	s_waitcnt vmcnt(11)
	v_mov_b32_e32 v52, v41
	v_pk_mul_f32 v[50:51], v[26:27], v[50:51] op_sel_hi:[1,0]
	s_waitcnt vmcnt(10)
	v_mov_b32_e32 v54, v43
	s_waitcnt vmcnt(7)
	v_pk_fma_f32 v[60:61], v[24:25], v[36:37], v[22:23] op_sel:[0,0,1] op_sel_hi:[1,1,0] neg_lo:[0,0,1] neg_hi:[0,0,1]
	v_pk_fma_f32 v[22:23], v[24:25], v[36:37], v[22:23] op_sel:[0,0,1] op_sel_hi:[1,0,0]
	s_waitcnt lgkmcnt(1)
	v_pk_mul_f32 v[52:53], v[28:29], v[52:53] op_sel_hi:[1,0]
	s_waitcnt vmcnt(6)
	v_pk_fma_f32 v[24:25], v[26:27], v[38:39], v[50:51] op_sel:[0,0,1] op_sel_hi:[1,1,0] neg_lo:[0,0,1] neg_hi:[0,0,1]
	v_pk_fma_f32 v[26:27], v[26:27], v[38:39], v[50:51] op_sel:[0,0,1] op_sel_hi:[1,0,0]
	v_mov_b32_e32 v61, v23
	v_mov_b32_e32 v56, v45
	v_pk_mul_f32 v[54:55], v[30:31], v[54:55] op_sel_hi:[1,0]
	s_waitcnt vmcnt(5)
	v_pk_fma_f32 v[36:37], v[28:29], v[40:41], v[52:53] op_sel:[0,0,1] op_sel_hi:[1,1,0] neg_lo:[0,0,1] neg_hi:[0,0,1]
	v_pk_fma_f32 v[28:29], v[28:29], v[40:41], v[52:53] op_sel:[0,0,1] op_sel_hi:[1,0,0]
	v_mov_b32_e32 v25, v27
	v_pk_add_f32 v[22:23], v[60:61], 0 op_sel_hi:[1,0]
	v_mov_b32_e32 v58, v47
	s_waitcnt lgkmcnt(0)
	v_pk_mul_f32 v[56:57], v[32:33], v[56:57] op_sel_hi:[1,0]
	s_waitcnt vmcnt(4)
	v_pk_fma_f32 v[38:39], v[30:31], v[42:43], v[54:55] op_sel:[0,0,1] op_sel_hi:[1,1,0] neg_lo:[0,0,1] neg_hi:[0,0,1]
	v_pk_fma_f32 v[30:31], v[30:31], v[42:43], v[54:55] op_sel:[0,0,1] op_sel_hi:[1,0,0]
	v_mov_b32_e32 v37, v29
	v_pk_add_f32 v[22:23], v[22:23], v[24:25]
	v_pk_mul_f32 v[58:59], v[34:35], v[58:59] op_sel_hi:[1,0]
	s_waitcnt vmcnt(3)
	v_pk_fma_f32 v[40:41], v[32:33], v[44:45], v[56:57] op_sel:[0,0,1] op_sel_hi:[1,1,0] neg_lo:[0,0,1] neg_hi:[0,0,1]
	v_pk_fma_f32 v[32:33], v[32:33], v[44:45], v[56:57] op_sel:[0,0,1] op_sel_hi:[1,0,0]
	v_mov_b32_e32 v39, v31
	v_pk_add_f32 v[22:23], v[22:23], v[36:37]
	s_waitcnt vmcnt(2)
	v_pk_fma_f32 v[42:43], v[34:35], v[46:47], v[58:59] op_sel:[0,0,1] op_sel_hi:[1,1,0] neg_lo:[0,0,1] neg_hi:[0,0,1]
	v_pk_fma_f32 v[34:35], v[34:35], v[46:47], v[58:59] op_sel:[0,0,1] op_sel_hi:[1,0,0]
	v_mov_b32_e32 v41, v33
	v_pk_add_f32 v[22:23], v[22:23], v[38:39]
	v_mov_b32_e32 v43, v35
	v_pk_add_f32 v[22:23], v[22:23], v[40:41]
	v_pk_add_f32 v[22:23], v[22:23], v[42:43]
	s_waitcnt vmcnt(0)
	v_pk_add_f32 v[22:23], v[48:49], v[22:23] neg_lo:[0,1] neg_hi:[0,1]
	buffer_store_dword v22, off, s[0:3], 0 offset:24
	buffer_store_dword v23, off, s[0:3], 0 offset:28
	s_and_saveexec_b64 s[4:5], vcc
	s_cbranch_execz .LBB73_69
; %bb.68:
	buffer_load_dword v22, off, s[0:3], 0 offset:16
	buffer_load_dword v23, off, s[0:3], 0 offset:20
	v_mov_b32_e32 v24, 0
	buffer_store_dword v24, off, s[0:3], 0 offset:16
	buffer_store_dword v24, off, s[0:3], 0 offset:20
	s_waitcnt vmcnt(2)
	ds_write_b64 v1, v[22:23]
.LBB73_69:
	s_or_b64 exec, exec, s[4:5]
	s_waitcnt lgkmcnt(0)
	; wave barrier
	s_waitcnt lgkmcnt(0)
	buffer_load_dword v37, off, s[0:3], 0 offset:28
	buffer_load_dword v39, off, s[0:3], 0 offset:36
	;; [unrolled: 1-line block ×16, first 2 shown]
	v_mov_b32_e32 v22, 0
	ds_read2_b64 v[24:27], v22 offset0:13 offset1:14
	ds_read2_b64 v[28:31], v22 offset0:15 offset1:16
	;; [unrolled: 1-line block ×3, first 2 shown]
	ds_read_b64 v[52:53], v22 offset:152
	v_cmp_lt_u32_e32 vcc, 1, v0
	s_waitcnt vmcnt(15)
	v_mov_b32_e32 v54, v37
	s_waitcnt vmcnt(14)
	v_mov_b32_e32 v56, v39
	s_waitcnt lgkmcnt(3)
	v_pk_mul_f32 v[54:55], v[24:25], v[54:55] op_sel_hi:[1,0]
	s_waitcnt vmcnt(13)
	v_mov_b32_e32 v58, v41
	v_pk_mul_f32 v[56:57], v[26:27], v[56:57] op_sel_hi:[1,0]
	s_waitcnt vmcnt(12)
	v_mov_b32_e32 v60, v43
	s_waitcnt lgkmcnt(2)
	v_pk_mul_f32 v[58:59], v[28:29], v[58:59] op_sel_hi:[1,0]
	s_waitcnt vmcnt(8)
	v_pk_fma_f32 v[68:69], v[24:25], v[36:37], v[54:55] op_sel:[0,0,1] op_sel_hi:[1,1,0] neg_lo:[0,0,1] neg_hi:[0,0,1]
	v_pk_fma_f32 v[24:25], v[24:25], v[36:37], v[54:55] op_sel:[0,0,1] op_sel_hi:[1,0,0]
	s_waitcnt vmcnt(7)
	v_pk_fma_f32 v[36:37], v[26:27], v[38:39], v[56:57] op_sel:[0,0,1] op_sel_hi:[1,1,0] neg_lo:[0,0,1] neg_hi:[0,0,1]
	v_pk_fma_f32 v[26:27], v[26:27], v[38:39], v[56:57] op_sel:[0,0,1] op_sel_hi:[1,0,0]
	v_mov_b32_e32 v69, v25
	v_mov_b32_e32 v62, v45
	v_pk_mul_f32 v[60:61], v[30:31], v[60:61] op_sel_hi:[1,0]
	s_waitcnt vmcnt(6)
	v_pk_fma_f32 v[38:39], v[28:29], v[40:41], v[58:59] op_sel:[0,0,1] op_sel_hi:[1,1,0] neg_lo:[0,0,1] neg_hi:[0,0,1]
	v_pk_fma_f32 v[28:29], v[28:29], v[40:41], v[58:59] op_sel:[0,0,1] op_sel_hi:[1,0,0]
	v_mov_b32_e32 v37, v27
	v_pk_add_f32 v[24:25], v[68:69], 0 op_sel_hi:[1,0]
	v_mov_b32_e32 v64, v47
	s_waitcnt lgkmcnt(1)
	v_pk_mul_f32 v[62:63], v[32:33], v[62:63] op_sel_hi:[1,0]
	s_waitcnt vmcnt(5)
	v_pk_fma_f32 v[40:41], v[30:31], v[42:43], v[60:61] op_sel:[0,0,1] op_sel_hi:[1,1,0] neg_lo:[0,0,1] neg_hi:[0,0,1]
	v_pk_fma_f32 v[30:31], v[30:31], v[42:43], v[60:61] op_sel:[0,0,1] op_sel_hi:[1,0,0]
	v_mov_b32_e32 v39, v29
	v_pk_add_f32 v[24:25], v[24:25], v[36:37]
	v_mov_b32_e32 v66, v49
	v_pk_mul_f32 v[64:65], v[34:35], v[64:65] op_sel_hi:[1,0]
	s_waitcnt vmcnt(4)
	v_pk_fma_f32 v[42:43], v[32:33], v[44:45], v[62:63] op_sel:[0,0,1] op_sel_hi:[1,1,0] neg_lo:[0,0,1] neg_hi:[0,0,1]
	v_pk_fma_f32 v[32:33], v[32:33], v[44:45], v[62:63] op_sel:[0,0,1] op_sel_hi:[1,0,0]
	v_mov_b32_e32 v41, v31
	v_pk_add_f32 v[24:25], v[24:25], v[38:39]
	s_waitcnt lgkmcnt(0)
	v_pk_mul_f32 v[66:67], v[52:53], v[66:67] op_sel_hi:[1,0]
	s_waitcnt vmcnt(3)
	v_pk_fma_f32 v[44:45], v[34:35], v[46:47], v[64:65] op_sel:[0,0,1] op_sel_hi:[1,1,0] neg_lo:[0,0,1] neg_hi:[0,0,1]
	v_pk_fma_f32 v[34:35], v[34:35], v[46:47], v[64:65] op_sel:[0,0,1] op_sel_hi:[1,0,0]
	v_mov_b32_e32 v43, v33
	v_pk_add_f32 v[24:25], v[24:25], v[40:41]
	s_waitcnt vmcnt(2)
	v_pk_fma_f32 v[46:47], v[52:53], v[48:49], v[66:67] op_sel:[0,0,1] op_sel_hi:[1,1,0] neg_lo:[0,0,1] neg_hi:[0,0,1]
	v_pk_fma_f32 v[48:49], v[52:53], v[48:49], v[66:67] op_sel:[0,0,1] op_sel_hi:[1,0,0]
	v_mov_b32_e32 v45, v35
	v_pk_add_f32 v[24:25], v[24:25], v[42:43]
	v_mov_b32_e32 v47, v49
	v_pk_add_f32 v[24:25], v[24:25], v[44:45]
	v_pk_add_f32 v[24:25], v[24:25], v[46:47]
	s_waitcnt vmcnt(0)
	v_pk_add_f32 v[24:25], v[50:51], v[24:25] neg_lo:[0,1] neg_hi:[0,1]
	buffer_store_dword v24, off, s[0:3], 0 offset:16
	buffer_store_dword v25, off, s[0:3], 0 offset:20
	s_and_saveexec_b64 s[4:5], vcc
	s_cbranch_execz .LBB73_71
; %bb.70:
	buffer_load_dword v24, off, s[0:3], 0 offset:8
	buffer_load_dword v25, off, s[0:3], 0 offset:12
	s_waitcnt vmcnt(0)
	ds_write_b64 v1, v[24:25]
	buffer_store_dword v22, off, s[0:3], 0 offset:8
	buffer_store_dword v22, off, s[0:3], 0 offset:12
.LBB73_71:
	s_or_b64 exec, exec, s[4:5]
	s_waitcnt lgkmcnt(0)
	; wave barrier
	s_waitcnt lgkmcnt(0)
	buffer_load_dword v41, off, s[0:3], 0 offset:20
	buffer_load_dword v43, off, s[0:3], 0 offset:28
	;; [unrolled: 1-line block ×18, first 2 shown]
	ds_read_b128 v[24:27], v22 offset:96
	ds_read_b128 v[28:31], v22 offset:112
	;; [unrolled: 1-line block ×4, first 2 shown]
	v_cmp_ne_u32_e32 vcc, 0, v0
	s_waitcnt vmcnt(17)
	v_mov_b32_e32 v22, v41
	s_waitcnt vmcnt(16)
	v_mov_b32_e32 v58, v43
	s_waitcnt lgkmcnt(3)
	v_pk_mul_f32 v[22:23], v[24:25], v[22:23] op_sel_hi:[1,0]
	s_waitcnt vmcnt(15)
	v_mov_b32_e32 v60, v45
	v_pk_mul_f32 v[58:59], v[26:27], v[58:59] op_sel_hi:[1,0]
	s_waitcnt vmcnt(14)
	v_mov_b32_e32 v62, v47
	s_waitcnt lgkmcnt(2)
	v_pk_mul_f32 v[60:61], v[28:29], v[60:61] op_sel_hi:[1,0]
	s_waitcnt vmcnt(13)
	v_mov_b32_e32 v64, v49
	s_waitcnt vmcnt(9)
	v_pk_fma_f32 v[72:73], v[24:25], v[40:41], v[22:23] op_sel:[0,0,1] op_sel_hi:[1,1,0] neg_lo:[0,0,1] neg_hi:[0,0,1]
	v_pk_fma_f32 v[22:23], v[24:25], v[40:41], v[22:23] op_sel:[0,0,1] op_sel_hi:[1,0,0]
	s_waitcnt vmcnt(8)
	v_pk_fma_f32 v[24:25], v[26:27], v[42:43], v[58:59] op_sel:[0,0,1] op_sel_hi:[1,1,0] neg_lo:[0,0,1] neg_hi:[0,0,1]
	v_pk_fma_f32 v[26:27], v[26:27], v[42:43], v[58:59] op_sel:[0,0,1] op_sel_hi:[1,0,0]
	v_mov_b32_e32 v73, v23
	v_pk_mul_f32 v[62:63], v[30:31], v[62:63] op_sel_hi:[1,0]
	s_waitcnt vmcnt(7)
	v_pk_fma_f32 v[40:41], v[28:29], v[44:45], v[60:61] op_sel:[0,0,1] op_sel_hi:[1,1,0] neg_lo:[0,0,1] neg_hi:[0,0,1]
	v_pk_fma_f32 v[28:29], v[28:29], v[44:45], v[60:61] op_sel:[0,0,1] op_sel_hi:[1,0,0]
	v_mov_b32_e32 v25, v27
	v_pk_add_f32 v[22:23], v[72:73], 0 op_sel_hi:[1,0]
	v_mov_b32_e32 v66, v51
	s_waitcnt lgkmcnt(1)
	v_pk_mul_f32 v[64:65], v[32:33], v[64:65] op_sel_hi:[1,0]
	s_waitcnt vmcnt(6)
	v_pk_fma_f32 v[42:43], v[30:31], v[46:47], v[62:63] op_sel:[0,0,1] op_sel_hi:[1,1,0] neg_lo:[0,0,1] neg_hi:[0,0,1]
	v_pk_fma_f32 v[30:31], v[30:31], v[46:47], v[62:63] op_sel:[0,0,1] op_sel_hi:[1,0,0]
	v_mov_b32_e32 v41, v29
	v_pk_add_f32 v[22:23], v[22:23], v[24:25]
	v_mov_b32_e32 v68, v53
	v_pk_mul_f32 v[66:67], v[34:35], v[66:67] op_sel_hi:[1,0]
	s_waitcnt vmcnt(5)
	v_pk_fma_f32 v[44:45], v[32:33], v[48:49], v[64:65] op_sel:[0,0,1] op_sel_hi:[1,1,0] neg_lo:[0,0,1] neg_hi:[0,0,1]
	v_pk_fma_f32 v[32:33], v[32:33], v[48:49], v[64:65] op_sel:[0,0,1] op_sel_hi:[1,0,0]
	v_mov_b32_e32 v43, v31
	v_pk_add_f32 v[22:23], v[22:23], v[40:41]
	v_mov_b32_e32 v70, v55
	s_waitcnt lgkmcnt(0)
	v_pk_mul_f32 v[68:69], v[36:37], v[68:69] op_sel_hi:[1,0]
	s_waitcnt vmcnt(4)
	v_pk_fma_f32 v[46:47], v[34:35], v[50:51], v[66:67] op_sel:[0,0,1] op_sel_hi:[1,1,0] neg_lo:[0,0,1] neg_hi:[0,0,1]
	v_pk_fma_f32 v[34:35], v[34:35], v[50:51], v[66:67] op_sel:[0,0,1] op_sel_hi:[1,0,0]
	v_mov_b32_e32 v45, v33
	v_pk_add_f32 v[22:23], v[22:23], v[42:43]
	v_pk_mul_f32 v[70:71], v[38:39], v[70:71] op_sel_hi:[1,0]
	s_waitcnt vmcnt(3)
	v_pk_fma_f32 v[48:49], v[36:37], v[52:53], v[68:69] op_sel:[0,0,1] op_sel_hi:[1,1,0] neg_lo:[0,0,1] neg_hi:[0,0,1]
	v_pk_fma_f32 v[36:37], v[36:37], v[52:53], v[68:69] op_sel:[0,0,1] op_sel_hi:[1,0,0]
	v_mov_b32_e32 v47, v35
	v_pk_add_f32 v[22:23], v[22:23], v[44:45]
	s_waitcnt vmcnt(2)
	v_pk_fma_f32 v[50:51], v[38:39], v[54:55], v[70:71] op_sel:[0,0,1] op_sel_hi:[1,1,0] neg_lo:[0,0,1] neg_hi:[0,0,1]
	v_pk_fma_f32 v[38:39], v[38:39], v[54:55], v[70:71] op_sel:[0,0,1] op_sel_hi:[1,0,0]
	v_mov_b32_e32 v49, v37
	v_pk_add_f32 v[22:23], v[22:23], v[46:47]
	v_mov_b32_e32 v51, v39
	v_pk_add_f32 v[22:23], v[22:23], v[48:49]
	v_pk_add_f32 v[22:23], v[22:23], v[50:51]
	s_waitcnt vmcnt(0)
	v_pk_add_f32 v[22:23], v[56:57], v[22:23] neg_lo:[0,1] neg_hi:[0,1]
	buffer_store_dword v22, off, s[0:3], 0 offset:8
	buffer_store_dword v23, off, s[0:3], 0 offset:12
	s_and_saveexec_b64 s[4:5], vcc
	s_cbranch_execz .LBB73_73
; %bb.72:
	buffer_load_dword v22, off, s[0:3], 0
	buffer_load_dword v23, off, s[0:3], 0 offset:4
	v_mov_b32_e32 v0, 0
	buffer_store_dword v0, off, s[0:3], 0
	buffer_store_dword v0, off, s[0:3], 0 offset:4
	s_waitcnt vmcnt(2)
	ds_write_b64 v1, v[22:23]
.LBB73_73:
	s_or_b64 exec, exec, s[4:5]
	s_waitcnt lgkmcnt(0)
	; wave barrier
	s_waitcnt lgkmcnt(0)
	buffer_load_dword v56, off, s[0:3], 0 offset:12
	buffer_load_dword v1, off, s[0:3], 0 offset:20
	;; [unrolled: 1-line block ×18, first 2 shown]
	buffer_load_dword v52, off, s[0:3], 0
	buffer_load_dword v53, off, s[0:3], 0 offset:4
	v_mov_b32_e32 v54, 0
	ds_read2_b64 v[22:25], v54 offset0:11 offset1:12
	ds_read2_b64 v[26:29], v54 offset0:13 offset1:14
	;; [unrolled: 1-line block ×4, first 2 shown]
	ds_read_b64 v[54:55], v54 offset:152
	s_and_b64 vcc, exec, s[16:17]
	s_waitcnt vmcnt(19) lgkmcnt(4)
	v_mul_f32_e32 v57, v22, v56
	v_mul_f32_e32 v56, v23, v56
	s_waitcnt vmcnt(18)
	v_mov_b32_e32 v58, v1
	s_waitcnt vmcnt(17)
	v_mov_b32_e32 v60, v39
	;; [unrolled: 2-line block ×8, first 2 shown]
	s_waitcnt vmcnt(10)
	v_fmac_f32_e32 v57, v23, v59
	v_fma_f32 v56, v22, v59, -v56
	v_pk_mul_f32 v[22:23], v[24:25], v[58:59] op_sel_hi:[1,0]
	s_waitcnt lgkmcnt(3)
	v_pk_mul_f32 v[58:59], v[26:27], v[60:61] op_sel_hi:[1,0]
	v_pk_mul_f32 v[60:61], v[28:29], v[62:63] op_sel_hi:[1,0]
	s_waitcnt lgkmcnt(2)
	v_pk_mul_f32 v[62:63], v[30:31], v[64:65] op_sel_hi:[1,0]
	;; [unrolled: 3-line block ×4, first 2 shown]
	s_waitcnt vmcnt(9)
	v_pk_fma_f32 v[72:73], v[24:25], v[0:1], v[22:23] op_sel:[0,0,1] op_sel_hi:[1,1,0] neg_lo:[0,0,1] neg_hi:[0,0,1]
	v_pk_fma_f32 v[0:1], v[24:25], v[0:1], v[22:23] op_sel:[0,0,1] op_sel_hi:[1,0,0]
	v_pk_add_f32 v[56:57], v[56:57], 0 op_sel_hi:[1,0]
	s_waitcnt vmcnt(8)
	v_pk_fma_f32 v[22:23], v[26:27], v[38:39], v[58:59] op_sel:[0,0,1] op_sel_hi:[1,1,0] neg_lo:[0,0,1] neg_hi:[0,0,1]
	v_pk_fma_f32 v[24:25], v[26:27], v[38:39], v[58:59] op_sel:[0,0,1] op_sel_hi:[1,0,0]
	v_mov_b32_e32 v73, v1
	s_waitcnt vmcnt(7)
	v_pk_fma_f32 v[26:27], v[28:29], v[40:41], v[60:61] op_sel:[0,0,1] op_sel_hi:[1,1,0] neg_lo:[0,0,1] neg_hi:[0,0,1]
	v_pk_fma_f32 v[28:29], v[28:29], v[40:41], v[60:61] op_sel:[0,0,1] op_sel_hi:[1,0,0]
	v_mov_b32_e32 v23, v25
	v_pk_add_f32 v[0:1], v[56:57], v[72:73]
	s_waitcnt vmcnt(6)
	v_pk_fma_f32 v[38:39], v[30:31], v[42:43], v[62:63] op_sel:[0,0,1] op_sel_hi:[1,1,0] neg_lo:[0,0,1] neg_hi:[0,0,1]
	v_pk_fma_f32 v[30:31], v[30:31], v[42:43], v[62:63] op_sel:[0,0,1] op_sel_hi:[1,0,0]
	v_mov_b32_e32 v27, v29
	v_pk_add_f32 v[0:1], v[0:1], v[22:23]
	;; [unrolled: 5-line block ×5, first 2 shown]
	v_pk_fma_f32 v[46:47], v[54:55], v[50:51], v[70:71] op_sel:[0,0,1] op_sel_hi:[1,1,0] neg_lo:[0,0,1] neg_hi:[0,0,1]
	v_pk_fma_f32 v[48:49], v[54:55], v[50:51], v[70:71] op_sel:[0,0,1] op_sel_hi:[1,0,0]
	v_mov_b32_e32 v45, v37
	v_pk_add_f32 v[0:1], v[0:1], v[42:43]
	v_mov_b32_e32 v47, v49
	v_pk_add_f32 v[0:1], v[0:1], v[44:45]
	v_pk_add_f32 v[0:1], v[0:1], v[46:47]
	s_waitcnt vmcnt(0)
	v_pk_add_f32 v[0:1], v[52:53], v[0:1] neg_lo:[0,1] neg_hi:[0,1]
	buffer_store_dword v0, off, s[0:3], 0
	buffer_store_dword v1, off, s[0:3], 0 offset:4
	s_cbranch_vccz .LBB73_93
; %bb.74:
	v_pk_mov_b32 v[0:1], s[10:11], s[10:11] op_sel:[0,1]
	flat_load_dword v0, v[0:1] offset:32
	s_waitcnt vmcnt(0) lgkmcnt(0)
	v_add_u32_e32 v0, -1, v0
	v_cmp_ne_u32_e32 vcc, 8, v0
	s_and_saveexec_b64 s[4:5], vcc
	s_cbranch_execz .LBB73_76
; %bb.75:
	v_mov_b32_e32 v1, 0
	v_lshl_add_u32 v0, v0, 3, v1
	buffer_load_dword v1, v0, s[0:3], 0 offen
	buffer_load_dword v22, v0, s[0:3], 0 offen offset:4
	buffer_load_dword v23, off, s[0:3], 0 offset:68
	buffer_load_dword v24, off, s[0:3], 0 offset:64
	s_waitcnt vmcnt(3)
	buffer_store_dword v1, off, s[0:3], 0 offset:64
	s_waitcnt vmcnt(3)
	buffer_store_dword v22, off, s[0:3], 0 offset:68
	s_waitcnt vmcnt(3)
	buffer_store_dword v23, v0, s[0:3], 0 offen offset:4
	s_waitcnt vmcnt(3)
	buffer_store_dword v24, v0, s[0:3], 0 offen
.LBB73_76:
	s_or_b64 exec, exec, s[4:5]
	v_pk_mov_b32 v[0:1], s[10:11], s[10:11] op_sel:[0,1]
	flat_load_dword v0, v[0:1] offset:28
	s_waitcnt vmcnt(0) lgkmcnt(0)
	v_add_u32_e32 v0, -1, v0
	v_cmp_ne_u32_e32 vcc, 7, v0
	s_and_saveexec_b64 s[4:5], vcc
	s_cbranch_execz .LBB73_78
; %bb.77:
	v_mov_b32_e32 v1, 0
	v_lshl_add_u32 v0, v0, 3, v1
	buffer_load_dword v1, v0, s[0:3], 0 offen
	buffer_load_dword v22, v0, s[0:3], 0 offen offset:4
	buffer_load_dword v23, off, s[0:3], 0 offset:56
	buffer_load_dword v24, off, s[0:3], 0 offset:60
	s_waitcnt vmcnt(3)
	buffer_store_dword v1, off, s[0:3], 0 offset:56
	s_waitcnt vmcnt(3)
	buffer_store_dword v22, off, s[0:3], 0 offset:60
	s_waitcnt vmcnt(3)
	buffer_store_dword v23, v0, s[0:3], 0 offen
	s_waitcnt vmcnt(3)
	buffer_store_dword v24, v0, s[0:3], 0 offen offset:4
.LBB73_78:
	s_or_b64 exec, exec, s[4:5]
	v_pk_mov_b32 v[0:1], s[10:11], s[10:11] op_sel:[0,1]
	flat_load_dword v0, v[0:1] offset:24
	s_waitcnt vmcnt(0) lgkmcnt(0)
	v_add_u32_e32 v0, -1, v0
	v_cmp_ne_u32_e32 vcc, 6, v0
	s_and_saveexec_b64 s[4:5], vcc
	s_cbranch_execz .LBB73_80
; %bb.79:
	v_mov_b32_e32 v1, 0
	v_lshl_add_u32 v0, v0, 3, v1
	buffer_load_dword v1, v0, s[0:3], 0 offen
	buffer_load_dword v22, v0, s[0:3], 0 offen offset:4
	buffer_load_dword v23, off, s[0:3], 0 offset:52
	buffer_load_dword v24, off, s[0:3], 0 offset:48
	s_waitcnt vmcnt(3)
	buffer_store_dword v1, off, s[0:3], 0 offset:48
	s_waitcnt vmcnt(3)
	buffer_store_dword v22, off, s[0:3], 0 offset:52
	s_waitcnt vmcnt(3)
	buffer_store_dword v23, v0, s[0:3], 0 offen offset:4
	s_waitcnt vmcnt(3)
	buffer_store_dword v24, v0, s[0:3], 0 offen
.LBB73_80:
	s_or_b64 exec, exec, s[4:5]
	v_pk_mov_b32 v[0:1], s[10:11], s[10:11] op_sel:[0,1]
	flat_load_dword v0, v[0:1] offset:20
	s_waitcnt vmcnt(0) lgkmcnt(0)
	v_add_u32_e32 v0, -1, v0
	v_cmp_ne_u32_e32 vcc, 5, v0
	s_and_saveexec_b64 s[4:5], vcc
	s_cbranch_execz .LBB73_82
; %bb.81:
	v_mov_b32_e32 v1, 0
	v_lshl_add_u32 v0, v0, 3, v1
	buffer_load_dword v1, v0, s[0:3], 0 offen
	buffer_load_dword v22, v0, s[0:3], 0 offen offset:4
	buffer_load_dword v23, off, s[0:3], 0 offset:40
	buffer_load_dword v24, off, s[0:3], 0 offset:44
	s_waitcnt vmcnt(3)
	buffer_store_dword v1, off, s[0:3], 0 offset:40
	s_waitcnt vmcnt(3)
	buffer_store_dword v22, off, s[0:3], 0 offset:44
	s_waitcnt vmcnt(3)
	buffer_store_dword v23, v0, s[0:3], 0 offen
	s_waitcnt vmcnt(3)
	buffer_store_dword v24, v0, s[0:3], 0 offen offset:4
.LBB73_82:
	s_or_b64 exec, exec, s[4:5]
	;; [unrolled: 48-line block ×4, first 2 shown]
	v_pk_mov_b32 v[0:1], s[10:11], s[10:11] op_sel:[0,1]
	flat_load_dword v22, v[0:1]
	s_nop 0
	buffer_load_dword v0, off, s[0:3], 0
	buffer_load_dword v1, off, s[0:3], 0 offset:4
	s_waitcnt vmcnt(0) lgkmcnt(0)
	v_add_u32_e32 v22, -1, v22
	v_cmp_ne_u32_e32 vcc, 0, v22
	s_and_saveexec_b64 s[4:5], vcc
	s_cbranch_execz .LBB73_92
; %bb.91:
	v_mov_b32_e32 v23, 0
	v_lshl_add_u32 v22, v22, 3, v23
	buffer_load_dword v23, v22, s[0:3], 0 offen offset:4
	buffer_load_dword v24, v22, s[0:3], 0 offen
	s_waitcnt vmcnt(1)
	buffer_store_dword v23, off, s[0:3], 0 offset:4
	s_waitcnt vmcnt(1)
	buffer_store_dword v24, off, s[0:3], 0
	buffer_store_dword v1, v22, s[0:3], 0 offen offset:4
	buffer_store_dword v0, v22, s[0:3], 0 offen
	buffer_load_dword v0, off, s[0:3], 0
	s_nop 0
	buffer_load_dword v1, off, s[0:3], 0 offset:4
.LBB73_92:
	s_or_b64 exec, exec, s[4:5]
.LBB73_93:
	buffer_load_dword v22, off, s[0:3], 0 offset:8
	buffer_load_dword v23, off, s[0:3], 0 offset:12
	buffer_load_dword v24, off, s[0:3], 0 offset:16
	buffer_load_dword v25, off, s[0:3], 0 offset:20
	buffer_load_dword v26, off, s[0:3], 0 offset:24
	buffer_load_dword v27, off, s[0:3], 0 offset:28
	buffer_load_dword v28, off, s[0:3], 0 offset:32
	buffer_load_dword v29, off, s[0:3], 0 offset:36
	buffer_load_dword v30, off, s[0:3], 0 offset:40
	buffer_load_dword v31, off, s[0:3], 0 offset:44
	buffer_load_dword v32, off, s[0:3], 0 offset:48
	buffer_load_dword v33, off, s[0:3], 0 offset:52
	buffer_load_dword v34, off, s[0:3], 0 offset:56
	buffer_load_dword v35, off, s[0:3], 0 offset:60
	buffer_load_dword v36, off, s[0:3], 0 offset:64
	buffer_load_dword v37, off, s[0:3], 0 offset:68
	buffer_load_dword v38, off, s[0:3], 0 offset:72
	buffer_load_dword v39, off, s[0:3], 0 offset:76
	s_waitcnt vmcnt(18)
	global_store_dwordx2 v[2:3], v[0:1], off
	s_waitcnt vmcnt(17)
	global_store_dwordx2 v[4:5], v[22:23], off
	;; [unrolled: 2-line block ×10, first 2 shown]
	s_endpgm
	.section	.rodata,"a",@progbits
	.p2align	6, 0x0
	.amdhsa_kernel _ZN9rocsolver6v33100L18getri_kernel_smallILi10E19rocblas_complex_numIfEPKPS3_EEvT1_iilPiilS8_bb
		.amdhsa_group_segment_fixed_size 164
		.amdhsa_private_segment_fixed_size 96
		.amdhsa_kernarg_size 60
		.amdhsa_user_sgpr_count 8
		.amdhsa_user_sgpr_private_segment_buffer 1
		.amdhsa_user_sgpr_dispatch_ptr 0
		.amdhsa_user_sgpr_queue_ptr 0
		.amdhsa_user_sgpr_kernarg_segment_ptr 1
		.amdhsa_user_sgpr_dispatch_id 0
		.amdhsa_user_sgpr_flat_scratch_init 1
		.amdhsa_user_sgpr_kernarg_preload_length 0
		.amdhsa_user_sgpr_kernarg_preload_offset 0
		.amdhsa_user_sgpr_private_segment_size 0
		.amdhsa_uses_dynamic_stack 0
		.amdhsa_system_sgpr_private_segment_wavefront_offset 1
		.amdhsa_system_sgpr_workgroup_id_x 1
		.amdhsa_system_sgpr_workgroup_id_y 0
		.amdhsa_system_sgpr_workgroup_id_z 0
		.amdhsa_system_sgpr_workgroup_info 0
		.amdhsa_system_vgpr_workitem_id 0
		.amdhsa_next_free_vgpr 74
		.amdhsa_next_free_sgpr 22
		.amdhsa_accum_offset 76
		.amdhsa_reserve_vcc 1
		.amdhsa_reserve_flat_scratch 1
		.amdhsa_float_round_mode_32 0
		.amdhsa_float_round_mode_16_64 0
		.amdhsa_float_denorm_mode_32 3
		.amdhsa_float_denorm_mode_16_64 3
		.amdhsa_dx10_clamp 1
		.amdhsa_ieee_mode 1
		.amdhsa_fp16_overflow 0
		.amdhsa_tg_split 0
		.amdhsa_exception_fp_ieee_invalid_op 0
		.amdhsa_exception_fp_denorm_src 0
		.amdhsa_exception_fp_ieee_div_zero 0
		.amdhsa_exception_fp_ieee_overflow 0
		.amdhsa_exception_fp_ieee_underflow 0
		.amdhsa_exception_fp_ieee_inexact 0
		.amdhsa_exception_int_div_zero 0
	.end_amdhsa_kernel
	.section	.text._ZN9rocsolver6v33100L18getri_kernel_smallILi10E19rocblas_complex_numIfEPKPS3_EEvT1_iilPiilS8_bb,"axG",@progbits,_ZN9rocsolver6v33100L18getri_kernel_smallILi10E19rocblas_complex_numIfEPKPS3_EEvT1_iilPiilS8_bb,comdat
.Lfunc_end73:
	.size	_ZN9rocsolver6v33100L18getri_kernel_smallILi10E19rocblas_complex_numIfEPKPS3_EEvT1_iilPiilS8_bb, .Lfunc_end73-_ZN9rocsolver6v33100L18getri_kernel_smallILi10E19rocblas_complex_numIfEPKPS3_EEvT1_iilPiilS8_bb
                                        ; -- End function
	.section	.AMDGPU.csdata,"",@progbits
; Kernel info:
; codeLenInByte = 9164
; NumSgprs: 28
; NumVgprs: 74
; NumAgprs: 0
; TotalNumVgprs: 74
; ScratchSize: 96
; MemoryBound: 0
; FloatMode: 240
; IeeeMode: 1
; LDSByteSize: 164 bytes/workgroup (compile time only)
; SGPRBlocks: 3
; VGPRBlocks: 9
; NumSGPRsForWavesPerEU: 28
; NumVGPRsForWavesPerEU: 74
; AccumOffset: 76
; Occupancy: 6
; WaveLimiterHint : 1
; COMPUTE_PGM_RSRC2:SCRATCH_EN: 1
; COMPUTE_PGM_RSRC2:USER_SGPR: 8
; COMPUTE_PGM_RSRC2:TRAP_HANDLER: 0
; COMPUTE_PGM_RSRC2:TGID_X_EN: 1
; COMPUTE_PGM_RSRC2:TGID_Y_EN: 0
; COMPUTE_PGM_RSRC2:TGID_Z_EN: 0
; COMPUTE_PGM_RSRC2:TIDIG_COMP_CNT: 0
; COMPUTE_PGM_RSRC3_GFX90A:ACCUM_OFFSET: 18
; COMPUTE_PGM_RSRC3_GFX90A:TG_SPLIT: 0
	.section	.text._ZN9rocsolver6v33100L18getri_kernel_smallILi11E19rocblas_complex_numIfEPKPS3_EEvT1_iilPiilS8_bb,"axG",@progbits,_ZN9rocsolver6v33100L18getri_kernel_smallILi11E19rocblas_complex_numIfEPKPS3_EEvT1_iilPiilS8_bb,comdat
	.globl	_ZN9rocsolver6v33100L18getri_kernel_smallILi11E19rocblas_complex_numIfEPKPS3_EEvT1_iilPiilS8_bb ; -- Begin function _ZN9rocsolver6v33100L18getri_kernel_smallILi11E19rocblas_complex_numIfEPKPS3_EEvT1_iilPiilS8_bb
	.p2align	8
	.type	_ZN9rocsolver6v33100L18getri_kernel_smallILi11E19rocblas_complex_numIfEPKPS3_EEvT1_iilPiilS8_bb,@function
_ZN9rocsolver6v33100L18getri_kernel_smallILi11E19rocblas_complex_numIfEPKPS3_EEvT1_iilPiilS8_bb: ; @_ZN9rocsolver6v33100L18getri_kernel_smallILi11E19rocblas_complex_numIfEPKPS3_EEvT1_iilPiilS8_bb
; %bb.0:
	s_add_u32 flat_scratch_lo, s6, s9
	s_addc_u32 flat_scratch_hi, s7, 0
	s_add_u32 s0, s0, s9
	s_addc_u32 s1, s1, 0
	v_cmp_gt_u32_e32 vcc, 11, v0
	s_and_saveexec_b64 s[6:7], vcc
	s_cbranch_execz .LBB74_58
; %bb.1:
	s_load_dword s18, s[4:5], 0x38
	s_load_dwordx2 s[6:7], s[4:5], 0x0
	s_load_dwordx4 s[12:15], s[4:5], 0x28
	s_waitcnt lgkmcnt(0)
	s_bitcmp1_b32 s18, 8
	s_cselect_b64 s[16:17], -1, 0
	s_ashr_i32 s9, s8, 31
	s_lshl_b64 s[10:11], s[8:9], 3
	s_add_u32 s6, s6, s10
	s_addc_u32 s7, s7, s11
	s_load_dwordx2 s[6:7], s[6:7], 0x0
	s_bfe_u32 s10, s18, 0x10008
	s_cmp_eq_u32 s10, 0
                                        ; implicit-def: $sgpr10_sgpr11
	s_cbranch_scc1 .LBB74_3
; %bb.2:
	s_load_dword s10, s[4:5], 0x20
	s_load_dwordx2 s[20:21], s[4:5], 0x18
	s_mul_i32 s11, s8, s13
	s_mul_hi_u32 s13, s8, s12
	s_add_i32 s13, s13, s11
	s_mul_i32 s19, s9, s12
	s_add_i32 s13, s13, s19
	s_mul_i32 s12, s8, s12
	s_waitcnt lgkmcnt(0)
	s_ashr_i32 s11, s10, 31
	s_lshl_b64 s[12:13], s[12:13], 2
	s_add_u32 s12, s20, s12
	s_addc_u32 s13, s21, s13
	s_lshl_b64 s[10:11], s[10:11], 2
	s_add_u32 s10, s12, s10
	s_addc_u32 s11, s13, s11
.LBB74_3:
	s_load_dwordx2 s[4:5], s[4:5], 0x8
	v_lshlrev_b32_e32 v28, 3, v0
	s_waitcnt lgkmcnt(0)
	s_ashr_i32 s13, s4, 31
	s_mov_b32 s12, s4
	s_lshl_b64 s[12:13], s[12:13], 3
	s_add_u32 s6, s6, s12
	s_addc_u32 s7, s7, s13
	v_mov_b32_e32 v1, s7
	v_add_co_u32_e32 v2, vcc, s6, v28
	s_ashr_i32 s13, s5, 31
	s_mov_b32 s12, s5
	s_add_i32 s4, s5, s5
	v_addc_co_u32_e32 v3, vcc, 0, v1, vcc
	s_lshl_b64 s[12:13], s[12:13], 3
	v_add_u32_e32 v8, s4, v0
	v_mov_b32_e32 v1, s13
	v_add_co_u32_e32 v4, vcc, s12, v2
	v_ashrrev_i32_e32 v9, 31, v8
	v_addc_co_u32_e32 v5, vcc, v3, v1, vcc
	v_lshlrev_b64 v[6:7], 3, v[8:9]
	v_add_u32_e32 v10, s5, v8
	v_mov_b32_e32 v1, s7
	v_add_co_u32_e32 v6, vcc, s6, v6
	v_ashrrev_i32_e32 v11, 31, v10
	v_addc_co_u32_e32 v7, vcc, v1, v7, vcc
	v_lshlrev_b64 v[8:9], 3, v[10:11]
	v_add_u32_e32 v12, s5, v10
	v_add_co_u32_e32 v8, vcc, s6, v8
	v_ashrrev_i32_e32 v13, 31, v12
	v_addc_co_u32_e32 v9, vcc, v1, v9, vcc
	v_lshlrev_b64 v[10:11], 3, v[12:13]
	v_add_u32_e32 v14, s5, v12
	;; [unrolled: 5-line block ×5, first 2 shown]
	v_add_co_u32_e32 v16, vcc, s6, v16
	v_ashrrev_i32_e32 v21, 31, v20
	v_addc_co_u32_e32 v17, vcc, v1, v17, vcc
	v_lshlrev_b64 v[18:19], 3, v[20:21]
	v_add_co_u32_e32 v18, vcc, s6, v18
	global_load_dwordx2 v[24:25], v28, s[6:7]
	global_load_dwordx2 v[26:27], v[4:5], off
	global_load_dwordx2 v[30:31], v[6:7], off
	;; [unrolled: 1-line block ×4, first 2 shown]
	v_addc_co_u32_e32 v19, vcc, v1, v19, vcc
	global_load_dwordx2 v[36:37], v[12:13], off
	global_load_dwordx2 v[38:39], v[14:15], off
	;; [unrolled: 1-line block ×4, first 2 shown]
	v_add_u32_e32 v22, s5, v20
	v_ashrrev_i32_e32 v23, 31, v22
	v_lshlrev_b64 v[20:21], 3, v[22:23]
	v_add_u32_e32 v22, s5, v22
	v_add_co_u32_e32 v20, vcc, s6, v20
	v_ashrrev_i32_e32 v23, 31, v22
	v_addc_co_u32_e32 v21, vcc, v1, v21, vcc
	v_lshlrev_b64 v[22:23], 3, v[22:23]
	global_load_dwordx2 v[44:45], v[20:21], off
	v_add_co_u32_e32 v22, vcc, s6, v22
	v_addc_co_u32_e32 v23, vcc, v1, v23, vcc
	global_load_dwordx2 v[46:47], v[22:23], off
	s_bitcmp0_b32 s18, 0
	s_mov_b64 s[6:7], -1
	s_waitcnt vmcnt(10)
	buffer_store_dword v25, off, s[0:3], 0 offset:4
	buffer_store_dword v24, off, s[0:3], 0
	s_waitcnt vmcnt(11)
	buffer_store_dword v27, off, s[0:3], 0 offset:12
	buffer_store_dword v26, off, s[0:3], 0 offset:8
	s_waitcnt vmcnt(12)
	buffer_store_dword v31, off, s[0:3], 0 offset:20
	buffer_store_dword v30, off, s[0:3], 0 offset:16
	;; [unrolled: 3-line block ×10, first 2 shown]
	s_cbranch_scc1 .LBB74_56
; %bb.4:
	v_cmp_eq_u32_e64 s[4:5], 0, v0
	s_and_saveexec_b64 s[6:7], s[4:5]
	s_cbranch_execz .LBB74_6
; %bb.5:
	v_mov_b32_e32 v1, 0
	ds_write_b32 v1, v1 offset:88
.LBB74_6:
	s_or_b64 exec, exec, s[6:7]
	v_mov_b32_e32 v1, 0
	v_lshl_add_u32 v29, v0, 3, v1
	s_waitcnt lgkmcnt(0)
	; wave barrier
	s_waitcnt lgkmcnt(0)
	buffer_load_dword v1, v29, s[0:3], 0 offen
	buffer_load_dword v24, v29, s[0:3], 0 offen offset:4
	s_waitcnt vmcnt(1)
	v_cmp_eq_f32_e32 vcc, 0, v1
	s_waitcnt vmcnt(0)
	v_cmp_eq_f32_e64 s[6:7], 0, v24
	s_and_b64 s[6:7], vcc, s[6:7]
	s_and_saveexec_b64 s[12:13], s[6:7]
	s_cbranch_execz .LBB74_10
; %bb.7:
	v_mov_b32_e32 v1, 0
	ds_read_b32 v25, v1 offset:88
	v_add_u32_e32 v24, 1, v0
	s_waitcnt lgkmcnt(0)
	v_readfirstlane_b32 s6, v25
	s_cmp_eq_u32 s6, 0
	s_cselect_b64 s[18:19], -1, 0
	v_cmp_gt_i32_e32 vcc, s6, v24
	s_or_b64 s[18:19], s[18:19], vcc
	s_and_b64 exec, exec, s[18:19]
	s_cbranch_execz .LBB74_10
; %bb.8:
	s_mov_b64 s[18:19], 0
	v_mov_b32_e32 v25, s6
.LBB74_9:                               ; =>This Inner Loop Header: Depth=1
	ds_cmpst_rtn_b32 v25, v1, v25, v24 offset:88
	s_waitcnt lgkmcnt(0)
	v_cmp_ne_u32_e32 vcc, 0, v25
	v_cmp_le_i32_e64 s[6:7], v25, v24
	s_and_b64 s[6:7], vcc, s[6:7]
	s_and_b64 s[6:7], exec, s[6:7]
	s_or_b64 s[18:19], s[6:7], s[18:19]
	s_andn2_b64 exec, exec, s[18:19]
	s_cbranch_execnz .LBB74_9
.LBB74_10:
	s_or_b64 exec, exec, s[12:13]
	v_mov_b32_e32 v24, 0
	s_waitcnt lgkmcnt(0)
	; wave barrier
	ds_read_b32 v1, v24 offset:88
	s_and_saveexec_b64 s[6:7], s[4:5]
	s_cbranch_execz .LBB74_12
; %bb.11:
	s_lshl_b64 s[12:13], s[8:9], 2
	s_add_u32 s12, s14, s12
	s_addc_u32 s13, s15, s13
	s_waitcnt lgkmcnt(0)
	global_store_dword v24, v1, s[12:13]
.LBB74_12:
	s_or_b64 exec, exec, s[6:7]
	s_waitcnt lgkmcnt(0)
	v_cmp_ne_u32_e32 vcc, 0, v1
	s_mov_b64 s[6:7], 0
	s_cbranch_vccnz .LBB74_56
; %bb.13:
	buffer_load_dword v30, v29, s[0:3], 0 offen offset:4
	buffer_load_dword v25, v29, s[0:3], 0 offen
	s_waitcnt vmcnt(1)
	v_cmp_gt_f32_e32 vcc, 0, v30
	v_cndmask_b32_e64 v1, v30, -v30, vcc
	s_waitcnt vmcnt(0)
	v_cmp_gt_f32_e32 vcc, 0, v25
	v_cndmask_b32_e64 v24, v25, -v25, vcc
	v_cmp_ngt_f32_e32 vcc, v24, v1
                                        ; implicit-def: $vgpr1
                                        ; implicit-def: $vgpr24
	s_and_saveexec_b64 s[6:7], vcc
	s_xor_b64 s[6:7], exec, s[6:7]
                                        ; implicit-def: $vgpr26_vgpr27
	s_cbranch_execz .LBB74_15
; %bb.14:
	v_div_scale_f32 v1, s[12:13], v30, v30, v25
	v_rcp_f32_e32 v24, v1
	v_div_scale_f32 v26, vcc, v25, v30, v25
	v_fma_f32 v27, -v1, v24, 1.0
	v_fmac_f32_e32 v24, v27, v24
	v_mul_f32_e32 v27, v26, v24
	v_fma_f32 v31, -v1, v27, v26
	v_fmac_f32_e32 v27, v31, v24
	v_fma_f32 v1, -v1, v27, v26
	v_div_fmas_f32 v1, v1, v24, v27
	v_div_fixup_f32 v24, v1, v30, v25
	v_fmac_f32_e32 v30, v25, v24
	v_div_scale_f32 v1, s[12:13], v30, v30, -1.0
	v_rcp_f32_e32 v25, v1
	v_fma_f32 v26, -v1, v25, 1.0
	v_fmac_f32_e32 v25, v26, v25
	v_div_scale_f32 v26, vcc, -1.0, v30, -1.0
	v_mul_f32_e32 v27, v26, v25
	v_fma_f32 v31, -v1, v27, v26
	v_fmac_f32_e32 v27, v31, v25
	v_fma_f32 v1, -v1, v27, v26
	v_div_fmas_f32 v1, v1, v25, v27
	v_div_fixup_f32 v1, v1, v30, -1.0
	v_mul_f32_e32 v24, v24, v1
	v_xor_b32_e32 v26, 0x80000000, v24
                                        ; implicit-def: $vgpr25
                                        ; implicit-def: $vgpr30
.LBB74_15:
	s_andn2_saveexec_b64 s[6:7], s[6:7]
	s_cbranch_execz .LBB74_17
; %bb.16:
	v_div_scale_f32 v1, s[12:13], v25, v25, v30
	v_rcp_f32_e32 v24, v1
	v_div_scale_f32 v26, vcc, v30, v25, v30
	v_fma_f32 v27, -v1, v24, 1.0
	v_fmac_f32_e32 v24, v27, v24
	v_mul_f32_e32 v27, v26, v24
	v_fma_f32 v31, -v1, v27, v26
	v_fmac_f32_e32 v27, v31, v24
	v_fma_f32 v1, -v1, v27, v26
	v_div_fmas_f32 v1, v1, v24, v27
	v_div_fixup_f32 v1, v1, v25, v30
	v_fmac_f32_e32 v25, v30, v1
	v_div_scale_f32 v24, s[12:13], v25, v25, 1.0
	v_rcp_f32_e32 v26, v24
	v_fma_f32 v27, -v24, v26, 1.0
	v_fmac_f32_e32 v26, v27, v26
	v_div_scale_f32 v27, vcc, 1.0, v25, 1.0
	v_mul_f32_e32 v30, v27, v26
	v_fma_f32 v31, -v24, v30, v27
	v_fmac_f32_e32 v30, v31, v26
	v_fma_f32 v24, -v24, v30, v27
	v_div_fmas_f32 v24, v24, v26, v30
	v_div_fixup_f32 v26, v24, v25, 1.0
	v_xor_b32_e32 v24, 0x80000000, v26
	v_mul_f32_e64 v1, v1, -v26
.LBB74_17:
	s_or_b64 exec, exec, s[6:7]
	buffer_store_dword v1, v29, s[0:3], 0 offen offset:4
	buffer_store_dword v26, v29, s[0:3], 0 offen
	buffer_load_dword v27, off, s[0:3], 0 offset:12
	s_nop 0
	buffer_load_dword v26, off, s[0:3], 0 offset:8
	v_xor_b32_e32 v25, 0x80000000, v1
	v_add_u32_e32 v1, 0x60, v28
	s_waitcnt vmcnt(0)
	ds_write2_b64 v28, v[24:25], v[26:27] offset1:12
	s_waitcnt lgkmcnt(0)
	; wave barrier
	s_waitcnt lgkmcnt(0)
	s_and_saveexec_b64 s[6:7], s[4:5]
	s_cbranch_execz .LBB74_19
; %bb.18:
	buffer_load_dword v30, v29, s[0:3], 0 offen offset:4
	buffer_load_dword v31, v29, s[0:3], 0 offen
	ds_read_b64 v[24:25], v1
	v_mov_b32_e32 v26, 0
	ds_read_b64 v[26:27], v26 offset:8
	s_waitcnt vmcnt(1) lgkmcnt(1)
	v_mul_f32_e32 v32, v25, v30
	v_mul_f32_e32 v30, v24, v30
	s_waitcnt vmcnt(0)
	v_fmac_f32_e32 v30, v25, v31
	v_fma_f32 v24, v24, v31, -v32
	v_add_f32_e32 v25, 0, v30
	v_add_f32_e32 v24, 0, v24
	s_waitcnt lgkmcnt(0)
	v_mul_f32_e32 v30, v25, v27
	v_mul_f32_e32 v27, v24, v27
	v_fma_f32 v24, v24, v26, -v30
	v_fmac_f32_e32 v27, v25, v26
	buffer_store_dword v24, off, s[0:3], 0 offset:8
	buffer_store_dword v27, off, s[0:3], 0 offset:12
.LBB74_19:
	s_or_b64 exec, exec, s[6:7]
	s_waitcnt lgkmcnt(0)
	; wave barrier
	buffer_load_dword v24, off, s[0:3], 0 offset:16
	buffer_load_dword v25, off, s[0:3], 0 offset:20
	v_cmp_gt_u32_e32 vcc, 2, v0
	s_waitcnt vmcnt(0)
	ds_write_b64 v1, v[24:25]
	s_waitcnt lgkmcnt(0)
	; wave barrier
	s_waitcnt lgkmcnt(0)
	s_and_saveexec_b64 s[6:7], vcc
	s_cbranch_execz .LBB74_23
; %bb.20:
	buffer_load_dword v26, v29, s[0:3], 0 offen offset:4
	buffer_load_dword v27, v29, s[0:3], 0 offen
	ds_read_b64 v[24:25], v1
	s_waitcnt vmcnt(1) lgkmcnt(0)
	v_mul_f32_e32 v29, v25, v26
	v_mul_f32_e32 v26, v24, v26
	s_waitcnt vmcnt(0)
	v_fma_f32 v24, v24, v27, -v29
	v_fmac_f32_e32 v26, v25, v27
	v_add_f32_e32 v25, 0, v24
	v_add_f32_e32 v24, 0, v26
	s_and_saveexec_b64 s[12:13], s[4:5]
	s_cbranch_execz .LBB74_22
; %bb.21:
	buffer_load_dword v29, off, s[0:3], 0 offset:12
	buffer_load_dword v30, off, s[0:3], 0 offset:8
	v_mov_b32_e32 v26, 0
	ds_read_b64 v[26:27], v26 offset:104
	s_waitcnt vmcnt(1) lgkmcnt(0)
	v_mul_f32_e32 v31, v26, v29
	v_mul_f32_e32 v29, v27, v29
	s_waitcnt vmcnt(0)
	v_fmac_f32_e32 v31, v27, v30
	v_fma_f32 v26, v26, v30, -v29
	v_add_f32_e32 v24, v24, v31
	v_add_f32_e32 v25, v25, v26
.LBB74_22:
	s_or_b64 exec, exec, s[12:13]
	v_mov_b32_e32 v26, 0
	ds_read_b64 v[26:27], v26 offset:16
	s_waitcnt lgkmcnt(0)
	v_mul_f32_e32 v29, v24, v27
	v_mul_f32_e32 v27, v25, v27
	v_fma_f32 v25, v25, v26, -v29
	v_fmac_f32_e32 v27, v24, v26
	buffer_store_dword v25, off, s[0:3], 0 offset:16
	buffer_store_dword v27, off, s[0:3], 0 offset:20
.LBB74_23:
	s_or_b64 exec, exec, s[6:7]
	s_waitcnt lgkmcnt(0)
	; wave barrier
	buffer_load_dword v24, off, s[0:3], 0 offset:24
	buffer_load_dword v25, off, s[0:3], 0 offset:28
	v_cmp_gt_u32_e32 vcc, 3, v0
	s_waitcnt vmcnt(0)
	ds_write_b64 v1, v[24:25]
	v_add_u32_e32 v24, -1, v0
	s_waitcnt lgkmcnt(0)
	; wave barrier
	s_waitcnt lgkmcnt(0)
	s_and_saveexec_b64 s[4:5], vcc
	s_cbranch_execz .LBB74_27
; %bb.24:
	v_add_u32_e32 v26, -1, v0
	v_add_u32_e32 v27, 0x60, v28
	v_add_u32_e32 v29, 0, v28
	s_mov_b64 s[6:7], 0
	v_mov_b32_e32 v25, 0
	v_mov_b32_e32 v30, 0
.LBB74_25:                              ; =>This Inner Loop Header: Depth=1
	buffer_load_dword v31, v29, s[0:3], 0 offen offset:4
	buffer_load_dword v34, v29, s[0:3], 0 offen
	ds_read_b64 v[32:33], v27
	v_add_u32_e32 v26, 1, v26
	v_cmp_lt_u32_e32 vcc, 1, v26
	v_add_u32_e32 v27, 8, v27
	v_add_u32_e32 v29, 8, v29
	s_or_b64 s[6:7], vcc, s[6:7]
	s_waitcnt vmcnt(1) lgkmcnt(0)
	v_mul_f32_e32 v35, v33, v31
	v_mul_f32_e32 v31, v32, v31
	s_waitcnt vmcnt(0)
	v_fma_f32 v32, v32, v34, -v35
	v_fmac_f32_e32 v31, v33, v34
	v_add_f32_e32 v30, v30, v32
	v_add_f32_e32 v25, v25, v31
	s_andn2_b64 exec, exec, s[6:7]
	s_cbranch_execnz .LBB74_25
; %bb.26:
	s_or_b64 exec, exec, s[6:7]
	v_mov_b32_e32 v26, 0
	ds_read_b64 v[26:27], v26 offset:24
	s_waitcnt lgkmcnt(0)
	v_mul_f32_e32 v29, v25, v27
	v_mul_f32_e32 v27, v30, v27
	v_fma_f32 v29, v30, v26, -v29
	v_fmac_f32_e32 v27, v25, v26
	buffer_store_dword v29, off, s[0:3], 0 offset:24
	buffer_store_dword v27, off, s[0:3], 0 offset:28
.LBB74_27:
	s_or_b64 exec, exec, s[4:5]
	s_waitcnt lgkmcnt(0)
	; wave barrier
	buffer_load_dword v26, off, s[0:3], 0 offset:32
	buffer_load_dword v27, off, s[0:3], 0 offset:36
	v_cmp_gt_u32_e32 vcc, 4, v0
	s_waitcnt vmcnt(0)
	ds_write_b64 v1, v[26:27]
	s_waitcnt lgkmcnt(0)
	; wave barrier
	s_waitcnt lgkmcnt(0)
	s_and_saveexec_b64 s[4:5], vcc
	s_cbranch_execz .LBB74_31
; %bb.28:
	v_add_u32_e32 v26, -1, v0
	v_add_u32_e32 v27, 0x60, v28
	v_add_u32_e32 v29, 0, v28
	s_mov_b64 s[6:7], 0
	v_mov_b32_e32 v25, 0
	v_mov_b32_e32 v30, 0
.LBB74_29:                              ; =>This Inner Loop Header: Depth=1
	buffer_load_dword v31, v29, s[0:3], 0 offen offset:4
	buffer_load_dword v34, v29, s[0:3], 0 offen
	ds_read_b64 v[32:33], v27
	v_add_u32_e32 v26, 1, v26
	v_cmp_lt_u32_e32 vcc, 2, v26
	v_add_u32_e32 v27, 8, v27
	v_add_u32_e32 v29, 8, v29
	s_or_b64 s[6:7], vcc, s[6:7]
	s_waitcnt vmcnt(1) lgkmcnt(0)
	v_mul_f32_e32 v35, v33, v31
	v_mul_f32_e32 v31, v32, v31
	s_waitcnt vmcnt(0)
	v_fma_f32 v32, v32, v34, -v35
	v_fmac_f32_e32 v31, v33, v34
	v_add_f32_e32 v30, v30, v32
	v_add_f32_e32 v25, v25, v31
	s_andn2_b64 exec, exec, s[6:7]
	s_cbranch_execnz .LBB74_29
; %bb.30:
	s_or_b64 exec, exec, s[6:7]
	v_mov_b32_e32 v26, 0
	ds_read_b64 v[26:27], v26 offset:32
	s_waitcnt lgkmcnt(0)
	v_mul_f32_e32 v29, v25, v27
	v_mul_f32_e32 v27, v30, v27
	v_fma_f32 v29, v30, v26, -v29
	v_fmac_f32_e32 v27, v25, v26
	buffer_store_dword v29, off, s[0:3], 0 offset:32
	buffer_store_dword v27, off, s[0:3], 0 offset:36
.LBB74_31:
	s_or_b64 exec, exec, s[4:5]
	s_waitcnt lgkmcnt(0)
	; wave barrier
	buffer_load_dword v26, off, s[0:3], 0 offset:40
	buffer_load_dword v27, off, s[0:3], 0 offset:44
	v_cmp_gt_u32_e32 vcc, 5, v0
	s_waitcnt vmcnt(0)
	ds_write_b64 v1, v[26:27]
	;; [unrolled: 51-line block ×6, first 2 shown]
	s_waitcnt lgkmcnt(0)
	; wave barrier
	s_waitcnt lgkmcnt(0)
	s_and_saveexec_b64 s[4:5], vcc
	s_cbranch_execz .LBB74_51
; %bb.48:
	v_add_u32_e32 v26, -1, v0
	v_add_u32_e32 v27, 0x60, v28
	v_add_u32_e32 v29, 0, v28
	s_mov_b64 s[6:7], 0
	v_mov_b32_e32 v25, 0
	v_mov_b32_e32 v30, 0
.LBB74_49:                              ; =>This Inner Loop Header: Depth=1
	buffer_load_dword v31, v29, s[0:3], 0 offen offset:4
	buffer_load_dword v34, v29, s[0:3], 0 offen
	ds_read_b64 v[32:33], v27
	v_add_u32_e32 v26, 1, v26
	v_cmp_lt_u32_e32 vcc, 7, v26
	v_add_u32_e32 v27, 8, v27
	v_add_u32_e32 v29, 8, v29
	s_or_b64 s[6:7], vcc, s[6:7]
	s_waitcnt vmcnt(1) lgkmcnt(0)
	v_mul_f32_e32 v35, v33, v31
	v_mul_f32_e32 v31, v32, v31
	s_waitcnt vmcnt(0)
	v_fma_f32 v32, v32, v34, -v35
	v_fmac_f32_e32 v31, v33, v34
	v_add_f32_e32 v30, v30, v32
	v_add_f32_e32 v25, v25, v31
	s_andn2_b64 exec, exec, s[6:7]
	s_cbranch_execnz .LBB74_49
; %bb.50:
	s_or_b64 exec, exec, s[6:7]
	v_mov_b32_e32 v26, 0
	ds_read_b64 v[26:27], v26 offset:72
	s_waitcnt lgkmcnt(0)
	v_mul_f32_e32 v29, v25, v27
	v_mul_f32_e32 v27, v30, v27
	v_fma_f32 v29, v30, v26, -v29
	v_fmac_f32_e32 v27, v25, v26
	buffer_store_dword v29, off, s[0:3], 0 offset:72
	buffer_store_dword v27, off, s[0:3], 0 offset:76
.LBB74_51:
	s_or_b64 exec, exec, s[4:5]
	s_waitcnt lgkmcnt(0)
	; wave barrier
	buffer_load_dword v26, off, s[0:3], 0 offset:80
	buffer_load_dword v27, off, s[0:3], 0 offset:84
	v_cmp_ne_u32_e32 vcc, 10, v0
	s_waitcnt vmcnt(0)
	ds_write_b64 v1, v[26:27]
	s_waitcnt lgkmcnt(0)
	; wave barrier
	s_waitcnt lgkmcnt(0)
	s_and_saveexec_b64 s[4:5], vcc
	s_cbranch_execz .LBB74_55
; %bb.52:
	v_add_u32_e32 v25, 0x60, v28
	v_add_u32_e32 v26, 0, v28
	s_mov_b64 s[6:7], 0
	v_mov_b32_e32 v1, 0
	v_mov_b32_e32 v27, 0
.LBB74_53:                              ; =>This Inner Loop Header: Depth=1
	buffer_load_dword v30, v26, s[0:3], 0 offen offset:4
	buffer_load_dword v31, v26, s[0:3], 0 offen
	ds_read_b64 v[28:29], v25
	v_add_u32_e32 v24, 1, v24
	v_cmp_lt_u32_e32 vcc, 8, v24
	v_add_u32_e32 v25, 8, v25
	v_add_u32_e32 v26, 8, v26
	s_or_b64 s[6:7], vcc, s[6:7]
	s_waitcnt vmcnt(1) lgkmcnt(0)
	v_mul_f32_e32 v32, v29, v30
	v_mul_f32_e32 v30, v28, v30
	s_waitcnt vmcnt(0)
	v_fma_f32 v28, v28, v31, -v32
	v_fmac_f32_e32 v30, v29, v31
	v_add_f32_e32 v27, v27, v28
	v_add_f32_e32 v1, v1, v30
	s_andn2_b64 exec, exec, s[6:7]
	s_cbranch_execnz .LBB74_53
; %bb.54:
	s_or_b64 exec, exec, s[6:7]
	v_mov_b32_e32 v24, 0
	ds_read_b64 v[24:25], v24 offset:80
	s_waitcnt lgkmcnt(0)
	v_mul_f32_e32 v26, v1, v25
	v_mul_f32_e32 v25, v27, v25
	v_fma_f32 v26, v27, v24, -v26
	v_fmac_f32_e32 v25, v1, v24
	buffer_store_dword v26, off, s[0:3], 0 offset:80
	buffer_store_dword v25, off, s[0:3], 0 offset:84
.LBB74_55:
	s_or_b64 exec, exec, s[4:5]
	s_mov_b64 s[6:7], -1
	s_waitcnt lgkmcnt(0)
	; wave barrier
.LBB74_56:
	s_and_b64 vcc, exec, s[6:7]
	s_cbranch_vccz .LBB74_58
; %bb.57:
	s_lshl_b64 s[4:5], s[8:9], 2
	s_add_u32 s4, s14, s4
	s_addc_u32 s5, s15, s5
	v_mov_b32_e32 v1, 0
	global_load_dword v1, v1, s[4:5]
	s_waitcnt vmcnt(0)
	v_cmp_ne_u32_e32 vcc, 0, v1
	s_cbranch_vccz .LBB74_59
.LBB74_58:
	s_endpgm
.LBB74_59:
	v_mov_b32_e32 v1, 0x60
	v_lshl_add_u32 v1, v0, 3, v1
	v_cmp_eq_u32_e32 vcc, 10, v0
	s_and_saveexec_b64 s[4:5], vcc
	s_cbranch_execz .LBB74_61
; %bb.60:
	buffer_load_dword v24, off, s[0:3], 0 offset:72
	buffer_load_dword v25, off, s[0:3], 0 offset:76
	v_mov_b32_e32 v26, 0
	buffer_store_dword v26, off, s[0:3], 0 offset:72
	buffer_store_dword v26, off, s[0:3], 0 offset:76
	s_waitcnt vmcnt(2)
	ds_write_b64 v1, v[24:25]
.LBB74_61:
	s_or_b64 exec, exec, s[4:5]
	s_waitcnt lgkmcnt(0)
	; wave barrier
	s_waitcnt lgkmcnt(0)
	buffer_load_dword v27, off, s[0:3], 0 offset:84
	buffer_load_dword v26, off, s[0:3], 0 offset:80
	;; [unrolled: 1-line block ×4, first 2 shown]
	v_mov_b32_e32 v24, 0
	ds_read_b64 v[30:31], v24 offset:176
	v_cmp_lt_u32_e32 vcc, 8, v0
	s_waitcnt vmcnt(3)
	v_mov_b32_e32 v32, v27
	s_waitcnt lgkmcnt(0)
	v_pk_mul_f32 v[32:33], v[30:31], v[32:33] op_sel_hi:[1,0]
	s_waitcnt vmcnt(2)
	v_pk_fma_f32 v[34:35], v[30:31], v[26:27], v[32:33] op_sel:[0,0,1] op_sel_hi:[1,1,0] neg_lo:[0,0,1] neg_hi:[0,0,1]
	v_pk_fma_f32 v[26:27], v[30:31], v[26:27], v[32:33] op_sel:[0,0,1] op_sel_hi:[1,0,0]
	v_mov_b32_e32 v35, v27
	v_pk_add_f32 v[26:27], v[34:35], 0 op_sel_hi:[1,0]
	s_waitcnt vmcnt(0)
	v_pk_add_f32 v[26:27], v[28:29], v[26:27] neg_lo:[0,1] neg_hi:[0,1]
	buffer_store_dword v26, off, s[0:3], 0 offset:72
	buffer_store_dword v27, off, s[0:3], 0 offset:76
	s_and_saveexec_b64 s[4:5], vcc
	s_cbranch_execz .LBB74_63
; %bb.62:
	buffer_load_dword v26, off, s[0:3], 0 offset:64
	buffer_load_dword v27, off, s[0:3], 0 offset:68
	s_waitcnt vmcnt(0)
	ds_write_b64 v1, v[26:27]
	buffer_store_dword v24, off, s[0:3], 0 offset:64
	buffer_store_dword v24, off, s[0:3], 0 offset:68
.LBB74_63:
	s_or_b64 exec, exec, s[4:5]
	s_waitcnt lgkmcnt(0)
	; wave barrier
	s_waitcnt lgkmcnt(0)
	buffer_load_dword v29, off, s[0:3], 0 offset:76
	buffer_load_dword v31, off, s[0:3], 0 offset:84
	;; [unrolled: 1-line block ×6, first 2 shown]
	ds_read2_b64 v[24:27], v24 offset0:21 offset1:22
	v_cmp_lt_u32_e32 vcc, 7, v0
	s_waitcnt vmcnt(5)
	v_mov_b32_e32 v34, v29
	s_waitcnt vmcnt(4)
	v_mov_b32_e32 v36, v31
	s_waitcnt lgkmcnt(0)
	v_pk_mul_f32 v[34:35], v[24:25], v[34:35] op_sel_hi:[1,0]
	v_pk_mul_f32 v[36:37], v[26:27], v[36:37] op_sel_hi:[1,0]
	s_waitcnt vmcnt(3)
	v_pk_fma_f32 v[38:39], v[24:25], v[28:29], v[34:35] op_sel:[0,0,1] op_sel_hi:[1,1,0] neg_lo:[0,0,1] neg_hi:[0,0,1]
	v_pk_fma_f32 v[24:25], v[24:25], v[28:29], v[34:35] op_sel:[0,0,1] op_sel_hi:[1,0,0]
	s_waitcnt vmcnt(2)
	v_pk_fma_f32 v[28:29], v[26:27], v[30:31], v[36:37] op_sel:[0,0,1] op_sel_hi:[1,1,0] neg_lo:[0,0,1] neg_hi:[0,0,1]
	v_pk_fma_f32 v[26:27], v[26:27], v[30:31], v[36:37] op_sel:[0,0,1] op_sel_hi:[1,0,0]
	v_mov_b32_e32 v39, v25
	v_mov_b32_e32 v29, v27
	v_pk_add_f32 v[24:25], v[38:39], 0 op_sel_hi:[1,0]
	v_pk_add_f32 v[24:25], v[24:25], v[28:29]
	s_waitcnt vmcnt(0)
	v_pk_add_f32 v[24:25], v[32:33], v[24:25] neg_lo:[0,1] neg_hi:[0,1]
	buffer_store_dword v24, off, s[0:3], 0 offset:64
	buffer_store_dword v25, off, s[0:3], 0 offset:68
	s_and_saveexec_b64 s[4:5], vcc
	s_cbranch_execz .LBB74_65
; %bb.64:
	buffer_load_dword v24, off, s[0:3], 0 offset:56
	buffer_load_dword v25, off, s[0:3], 0 offset:60
	v_mov_b32_e32 v26, 0
	buffer_store_dword v26, off, s[0:3], 0 offset:56
	buffer_store_dword v26, off, s[0:3], 0 offset:60
	s_waitcnt vmcnt(2)
	ds_write_b64 v1, v[24:25]
.LBB74_65:
	s_or_b64 exec, exec, s[4:5]
	s_waitcnt lgkmcnt(0)
	; wave barrier
	s_waitcnt lgkmcnt(0)
	buffer_load_dword v31, off, s[0:3], 0 offset:68
	buffer_load_dword v33, off, s[0:3], 0 offset:76
	;; [unrolled: 1-line block ×8, first 2 shown]
	v_mov_b32_e32 v24, 0
	ds_read_b128 v[26:29], v24 offset:160
	ds_read_b64 v[38:39], v24 offset:176
	v_cmp_lt_u32_e32 vcc, 6, v0
	s_waitcnt vmcnt(7)
	v_mov_b32_e32 v40, v31
	s_waitcnt vmcnt(6)
	v_mov_b32_e32 v42, v33
	s_waitcnt lgkmcnt(1)
	v_pk_mul_f32 v[40:41], v[26:27], v[40:41] op_sel_hi:[1,0]
	s_waitcnt vmcnt(5)
	v_mov_b32_e32 v44, v35
	v_pk_mul_f32 v[42:43], v[28:29], v[42:43] op_sel_hi:[1,0]
	s_waitcnt vmcnt(4)
	v_pk_fma_f32 v[46:47], v[26:27], v[30:31], v[40:41] op_sel:[0,0,1] op_sel_hi:[1,1,0] neg_lo:[0,0,1] neg_hi:[0,0,1]
	v_pk_fma_f32 v[26:27], v[26:27], v[30:31], v[40:41] op_sel:[0,0,1] op_sel_hi:[1,0,0]
	s_waitcnt lgkmcnt(0)
	v_pk_mul_f32 v[44:45], v[38:39], v[44:45] op_sel_hi:[1,0]
	s_waitcnt vmcnt(3)
	v_pk_fma_f32 v[30:31], v[28:29], v[32:33], v[42:43] op_sel:[0,0,1] op_sel_hi:[1,1,0] neg_lo:[0,0,1] neg_hi:[0,0,1]
	v_pk_fma_f32 v[28:29], v[28:29], v[32:33], v[42:43] op_sel:[0,0,1] op_sel_hi:[1,0,0]
	v_mov_b32_e32 v47, v27
	s_waitcnt vmcnt(2)
	v_pk_fma_f32 v[32:33], v[38:39], v[34:35], v[44:45] op_sel:[0,0,1] op_sel_hi:[1,1,0] neg_lo:[0,0,1] neg_hi:[0,0,1]
	v_pk_fma_f32 v[34:35], v[38:39], v[34:35], v[44:45] op_sel:[0,0,1] op_sel_hi:[1,0,0]
	v_mov_b32_e32 v31, v29
	v_pk_add_f32 v[26:27], v[46:47], 0 op_sel_hi:[1,0]
	v_mov_b32_e32 v33, v35
	v_pk_add_f32 v[26:27], v[26:27], v[30:31]
	v_pk_add_f32 v[26:27], v[26:27], v[32:33]
	s_waitcnt vmcnt(0)
	v_pk_add_f32 v[26:27], v[36:37], v[26:27] neg_lo:[0,1] neg_hi:[0,1]
	buffer_store_dword v26, off, s[0:3], 0 offset:56
	buffer_store_dword v27, off, s[0:3], 0 offset:60
	s_and_saveexec_b64 s[4:5], vcc
	s_cbranch_execz .LBB74_67
; %bb.66:
	buffer_load_dword v26, off, s[0:3], 0 offset:48
	buffer_load_dword v27, off, s[0:3], 0 offset:52
	s_waitcnt vmcnt(0)
	ds_write_b64 v1, v[26:27]
	buffer_store_dword v24, off, s[0:3], 0 offset:48
	buffer_store_dword v24, off, s[0:3], 0 offset:52
.LBB74_67:
	s_or_b64 exec, exec, s[4:5]
	s_waitcnt lgkmcnt(0)
	; wave barrier
	s_waitcnt lgkmcnt(0)
	buffer_load_dword v35, off, s[0:3], 0 offset:60
	buffer_load_dword v37, off, s[0:3], 0 offset:68
	;; [unrolled: 1-line block ×10, first 2 shown]
	ds_read2_b64 v[26:29], v24 offset0:19 offset1:20
	ds_read2_b64 v[30:33], v24 offset0:21 offset1:22
	v_cmp_lt_u32_e32 vcc, 5, v0
	s_waitcnt vmcnt(9)
	v_mov_b32_e32 v24, v35
	s_waitcnt vmcnt(8)
	v_mov_b32_e32 v44, v37
	s_waitcnt lgkmcnt(1)
	v_pk_mul_f32 v[24:25], v[26:27], v[24:25] op_sel_hi:[1,0]
	s_waitcnt vmcnt(7)
	v_mov_b32_e32 v46, v39
	v_pk_mul_f32 v[44:45], v[28:29], v[44:45] op_sel_hi:[1,0]
	s_waitcnt vmcnt(5)
	v_pk_fma_f32 v[50:51], v[26:27], v[34:35], v[24:25] op_sel:[0,0,1] op_sel_hi:[1,1,0] neg_lo:[0,0,1] neg_hi:[0,0,1]
	v_pk_fma_f32 v[24:25], v[26:27], v[34:35], v[24:25] op_sel:[0,0,1] op_sel_hi:[1,0,0]
	v_mov_b32_e32 v48, v41
	s_waitcnt lgkmcnt(0)
	v_pk_mul_f32 v[46:47], v[30:31], v[46:47] op_sel_hi:[1,0]
	s_waitcnt vmcnt(4)
	v_pk_fma_f32 v[26:27], v[28:29], v[36:37], v[44:45] op_sel:[0,0,1] op_sel_hi:[1,1,0] neg_lo:[0,0,1] neg_hi:[0,0,1]
	v_pk_fma_f32 v[28:29], v[28:29], v[36:37], v[44:45] op_sel:[0,0,1] op_sel_hi:[1,0,0]
	v_mov_b32_e32 v51, v25
	v_pk_mul_f32 v[48:49], v[32:33], v[48:49] op_sel_hi:[1,0]
	s_waitcnt vmcnt(3)
	v_pk_fma_f32 v[34:35], v[30:31], v[38:39], v[46:47] op_sel:[0,0,1] op_sel_hi:[1,1,0] neg_lo:[0,0,1] neg_hi:[0,0,1]
	v_pk_fma_f32 v[30:31], v[30:31], v[38:39], v[46:47] op_sel:[0,0,1] op_sel_hi:[1,0,0]
	v_mov_b32_e32 v27, v29
	v_pk_add_f32 v[24:25], v[50:51], 0 op_sel_hi:[1,0]
	s_waitcnt vmcnt(2)
	v_pk_fma_f32 v[36:37], v[32:33], v[40:41], v[48:49] op_sel:[0,0,1] op_sel_hi:[1,1,0] neg_lo:[0,0,1] neg_hi:[0,0,1]
	v_pk_fma_f32 v[32:33], v[32:33], v[40:41], v[48:49] op_sel:[0,0,1] op_sel_hi:[1,0,0]
	v_mov_b32_e32 v35, v31
	v_pk_add_f32 v[24:25], v[24:25], v[26:27]
	v_mov_b32_e32 v37, v33
	v_pk_add_f32 v[24:25], v[24:25], v[34:35]
	v_pk_add_f32 v[24:25], v[24:25], v[36:37]
	s_waitcnt vmcnt(0)
	v_pk_add_f32 v[24:25], v[42:43], v[24:25] neg_lo:[0,1] neg_hi:[0,1]
	buffer_store_dword v24, off, s[0:3], 0 offset:48
	buffer_store_dword v25, off, s[0:3], 0 offset:52
	s_and_saveexec_b64 s[4:5], vcc
	s_cbranch_execz .LBB74_69
; %bb.68:
	buffer_load_dword v24, off, s[0:3], 0 offset:40
	buffer_load_dword v25, off, s[0:3], 0 offset:44
	v_mov_b32_e32 v26, 0
	buffer_store_dword v26, off, s[0:3], 0 offset:40
	buffer_store_dword v26, off, s[0:3], 0 offset:44
	s_waitcnt vmcnt(2)
	ds_write_b64 v1, v[24:25]
.LBB74_69:
	s_or_b64 exec, exec, s[4:5]
	s_waitcnt lgkmcnt(0)
	; wave barrier
	s_waitcnt lgkmcnt(0)
	buffer_load_dword v35, off, s[0:3], 0 offset:52
	buffer_load_dword v37, off, s[0:3], 0 offset:60
	;; [unrolled: 1-line block ×12, first 2 shown]
	v_mov_b32_e32 v24, 0
	ds_read_b128 v[26:29], v24 offset:144
	ds_read_b128 v[30:33], v24 offset:160
	ds_read_b64 v[46:47], v24 offset:176
	v_cmp_lt_u32_e32 vcc, 4, v0
	s_waitcnt vmcnt(11)
	v_mov_b32_e32 v48, v35
	s_waitcnt vmcnt(10)
	v_mov_b32_e32 v50, v37
	s_waitcnt lgkmcnt(2)
	v_pk_mul_f32 v[48:49], v[26:27], v[48:49] op_sel_hi:[1,0]
	s_waitcnt vmcnt(9)
	v_mov_b32_e32 v52, v39
	v_pk_mul_f32 v[50:51], v[28:29], v[50:51] op_sel_hi:[1,0]
	s_waitcnt vmcnt(6)
	v_pk_fma_f32 v[58:59], v[26:27], v[34:35], v[48:49] op_sel:[0,0,1] op_sel_hi:[1,1,0] neg_lo:[0,0,1] neg_hi:[0,0,1]
	v_pk_fma_f32 v[26:27], v[26:27], v[34:35], v[48:49] op_sel:[0,0,1] op_sel_hi:[1,0,0]
	v_mov_b32_e32 v54, v41
	s_waitcnt lgkmcnt(1)
	v_pk_mul_f32 v[52:53], v[30:31], v[52:53] op_sel_hi:[1,0]
	s_waitcnt vmcnt(5)
	v_pk_fma_f32 v[34:35], v[28:29], v[36:37], v[50:51] op_sel:[0,0,1] op_sel_hi:[1,1,0] neg_lo:[0,0,1] neg_hi:[0,0,1]
	v_pk_fma_f32 v[28:29], v[28:29], v[36:37], v[50:51] op_sel:[0,0,1] op_sel_hi:[1,0,0]
	v_mov_b32_e32 v59, v27
	v_mov_b32_e32 v56, v43
	v_pk_mul_f32 v[54:55], v[32:33], v[54:55] op_sel_hi:[1,0]
	s_waitcnt vmcnt(4)
	v_pk_fma_f32 v[36:37], v[30:31], v[38:39], v[52:53] op_sel:[0,0,1] op_sel_hi:[1,1,0] neg_lo:[0,0,1] neg_hi:[0,0,1]
	v_pk_fma_f32 v[30:31], v[30:31], v[38:39], v[52:53] op_sel:[0,0,1] op_sel_hi:[1,0,0]
	v_mov_b32_e32 v35, v29
	v_pk_add_f32 v[26:27], v[58:59], 0 op_sel_hi:[1,0]
	s_waitcnt lgkmcnt(0)
	v_pk_mul_f32 v[56:57], v[46:47], v[56:57] op_sel_hi:[1,0]
	s_waitcnt vmcnt(3)
	v_pk_fma_f32 v[38:39], v[32:33], v[40:41], v[54:55] op_sel:[0,0,1] op_sel_hi:[1,1,0] neg_lo:[0,0,1] neg_hi:[0,0,1]
	v_pk_fma_f32 v[32:33], v[32:33], v[40:41], v[54:55] op_sel:[0,0,1] op_sel_hi:[1,0,0]
	v_mov_b32_e32 v37, v31
	v_pk_add_f32 v[26:27], v[26:27], v[34:35]
	s_waitcnt vmcnt(2)
	v_pk_fma_f32 v[40:41], v[46:47], v[42:43], v[56:57] op_sel:[0,0,1] op_sel_hi:[1,1,0] neg_lo:[0,0,1] neg_hi:[0,0,1]
	v_pk_fma_f32 v[42:43], v[46:47], v[42:43], v[56:57] op_sel:[0,0,1] op_sel_hi:[1,0,0]
	v_mov_b32_e32 v39, v33
	v_pk_add_f32 v[26:27], v[26:27], v[36:37]
	v_mov_b32_e32 v41, v43
	v_pk_add_f32 v[26:27], v[26:27], v[38:39]
	v_pk_add_f32 v[26:27], v[26:27], v[40:41]
	s_waitcnt vmcnt(0)
	v_pk_add_f32 v[26:27], v[44:45], v[26:27] neg_lo:[0,1] neg_hi:[0,1]
	buffer_store_dword v26, off, s[0:3], 0 offset:40
	buffer_store_dword v27, off, s[0:3], 0 offset:44
	s_and_saveexec_b64 s[4:5], vcc
	s_cbranch_execz .LBB74_71
; %bb.70:
	buffer_load_dword v26, off, s[0:3], 0 offset:32
	buffer_load_dword v27, off, s[0:3], 0 offset:36
	s_waitcnt vmcnt(0)
	ds_write_b64 v1, v[26:27]
	buffer_store_dword v24, off, s[0:3], 0 offset:32
	buffer_store_dword v24, off, s[0:3], 0 offset:36
.LBB74_71:
	s_or_b64 exec, exec, s[4:5]
	s_waitcnt lgkmcnt(0)
	; wave barrier
	s_waitcnt lgkmcnt(0)
	buffer_load_dword v39, off, s[0:3], 0 offset:44
	buffer_load_dword v41, off, s[0:3], 0 offset:52
	;; [unrolled: 1-line block ×14, first 2 shown]
	ds_read2_b64 v[26:29], v24 offset0:17 offset1:18
	ds_read2_b64 v[30:33], v24 offset0:19 offset1:20
	;; [unrolled: 1-line block ×3, first 2 shown]
	v_cmp_lt_u32_e32 vcc, 3, v0
	s_waitcnt vmcnt(13)
	v_mov_b32_e32 v24, v39
	s_waitcnt vmcnt(12)
	v_mov_b32_e32 v52, v41
	s_waitcnt lgkmcnt(2)
	v_pk_mul_f32 v[24:25], v[26:27], v[24:25] op_sel_hi:[1,0]
	s_waitcnt vmcnt(11)
	v_mov_b32_e32 v54, v43
	v_pk_mul_f32 v[52:53], v[28:29], v[52:53] op_sel_hi:[1,0]
	s_waitcnt vmcnt(10)
	v_mov_b32_e32 v56, v45
	s_waitcnt vmcnt(7)
	v_pk_fma_f32 v[62:63], v[26:27], v[38:39], v[24:25] op_sel:[0,0,1] op_sel_hi:[1,1,0] neg_lo:[0,0,1] neg_hi:[0,0,1]
	v_pk_fma_f32 v[24:25], v[26:27], v[38:39], v[24:25] op_sel:[0,0,1] op_sel_hi:[1,0,0]
	s_waitcnt lgkmcnt(1)
	v_pk_mul_f32 v[54:55], v[30:31], v[54:55] op_sel_hi:[1,0]
	s_waitcnt vmcnt(6)
	v_pk_fma_f32 v[26:27], v[28:29], v[40:41], v[52:53] op_sel:[0,0,1] op_sel_hi:[1,1,0] neg_lo:[0,0,1] neg_hi:[0,0,1]
	v_pk_fma_f32 v[28:29], v[28:29], v[40:41], v[52:53] op_sel:[0,0,1] op_sel_hi:[1,0,0]
	v_mov_b32_e32 v63, v25
	v_mov_b32_e32 v58, v47
	v_pk_mul_f32 v[56:57], v[32:33], v[56:57] op_sel_hi:[1,0]
	s_waitcnt vmcnt(5)
	v_pk_fma_f32 v[38:39], v[30:31], v[42:43], v[54:55] op_sel:[0,0,1] op_sel_hi:[1,1,0] neg_lo:[0,0,1] neg_hi:[0,0,1]
	v_pk_fma_f32 v[30:31], v[30:31], v[42:43], v[54:55] op_sel:[0,0,1] op_sel_hi:[1,0,0]
	v_mov_b32_e32 v27, v29
	v_pk_add_f32 v[24:25], v[62:63], 0 op_sel_hi:[1,0]
	v_mov_b32_e32 v60, v49
	s_waitcnt lgkmcnt(0)
	v_pk_mul_f32 v[58:59], v[34:35], v[58:59] op_sel_hi:[1,0]
	s_waitcnt vmcnt(4)
	v_pk_fma_f32 v[40:41], v[32:33], v[44:45], v[56:57] op_sel:[0,0,1] op_sel_hi:[1,1,0] neg_lo:[0,0,1] neg_hi:[0,0,1]
	v_pk_fma_f32 v[32:33], v[32:33], v[44:45], v[56:57] op_sel:[0,0,1] op_sel_hi:[1,0,0]
	v_mov_b32_e32 v39, v31
	v_pk_add_f32 v[24:25], v[24:25], v[26:27]
	v_pk_mul_f32 v[60:61], v[36:37], v[60:61] op_sel_hi:[1,0]
	s_waitcnt vmcnt(3)
	v_pk_fma_f32 v[42:43], v[34:35], v[46:47], v[58:59] op_sel:[0,0,1] op_sel_hi:[1,1,0] neg_lo:[0,0,1] neg_hi:[0,0,1]
	v_pk_fma_f32 v[34:35], v[34:35], v[46:47], v[58:59] op_sel:[0,0,1] op_sel_hi:[1,0,0]
	v_mov_b32_e32 v41, v33
	v_pk_add_f32 v[24:25], v[24:25], v[38:39]
	s_waitcnt vmcnt(2)
	v_pk_fma_f32 v[44:45], v[36:37], v[48:49], v[60:61] op_sel:[0,0,1] op_sel_hi:[1,1,0] neg_lo:[0,0,1] neg_hi:[0,0,1]
	v_pk_fma_f32 v[36:37], v[36:37], v[48:49], v[60:61] op_sel:[0,0,1] op_sel_hi:[1,0,0]
	v_mov_b32_e32 v43, v35
	v_pk_add_f32 v[24:25], v[24:25], v[40:41]
	v_mov_b32_e32 v45, v37
	v_pk_add_f32 v[24:25], v[24:25], v[42:43]
	v_pk_add_f32 v[24:25], v[24:25], v[44:45]
	s_waitcnt vmcnt(0)
	v_pk_add_f32 v[24:25], v[50:51], v[24:25] neg_lo:[0,1] neg_hi:[0,1]
	buffer_store_dword v24, off, s[0:3], 0 offset:32
	buffer_store_dword v25, off, s[0:3], 0 offset:36
	s_and_saveexec_b64 s[4:5], vcc
	s_cbranch_execz .LBB74_73
; %bb.72:
	buffer_load_dword v24, off, s[0:3], 0 offset:24
	buffer_load_dword v25, off, s[0:3], 0 offset:28
	v_mov_b32_e32 v26, 0
	buffer_store_dword v26, off, s[0:3], 0 offset:24
	buffer_store_dword v26, off, s[0:3], 0 offset:28
	s_waitcnt vmcnt(2)
	ds_write_b64 v1, v[24:25]
.LBB74_73:
	s_or_b64 exec, exec, s[4:5]
	s_waitcnt lgkmcnt(0)
	; wave barrier
	s_waitcnt lgkmcnt(0)
	buffer_load_dword v39, off, s[0:3], 0 offset:36
	buffer_load_dword v41, off, s[0:3], 0 offset:44
	;; [unrolled: 1-line block ×16, first 2 shown]
	v_mov_b32_e32 v24, 0
	ds_read_b128 v[26:29], v24 offset:128
	ds_read_b128 v[30:33], v24 offset:144
	;; [unrolled: 1-line block ×3, first 2 shown]
	ds_read_b64 v[54:55], v24 offset:176
	v_cmp_lt_u32_e32 vcc, 2, v0
	s_waitcnt vmcnt(15)
	v_mov_b32_e32 v56, v39
	s_waitcnt vmcnt(14)
	v_mov_b32_e32 v58, v41
	s_waitcnt lgkmcnt(3)
	v_pk_mul_f32 v[56:57], v[26:27], v[56:57] op_sel_hi:[1,0]
	s_waitcnt vmcnt(13)
	v_mov_b32_e32 v60, v43
	v_pk_mul_f32 v[58:59], v[28:29], v[58:59] op_sel_hi:[1,0]
	s_waitcnt vmcnt(12)
	v_mov_b32_e32 v62, v45
	s_waitcnt lgkmcnt(2)
	v_pk_mul_f32 v[60:61], v[30:31], v[60:61] op_sel_hi:[1,0]
	s_waitcnt vmcnt(8)
	v_pk_fma_f32 v[70:71], v[26:27], v[38:39], v[56:57] op_sel:[0,0,1] op_sel_hi:[1,1,0] neg_lo:[0,0,1] neg_hi:[0,0,1]
	v_pk_fma_f32 v[26:27], v[26:27], v[38:39], v[56:57] op_sel:[0,0,1] op_sel_hi:[1,0,0]
	s_waitcnt vmcnt(7)
	v_pk_fma_f32 v[38:39], v[28:29], v[40:41], v[58:59] op_sel:[0,0,1] op_sel_hi:[1,1,0] neg_lo:[0,0,1] neg_hi:[0,0,1]
	v_pk_fma_f32 v[28:29], v[28:29], v[40:41], v[58:59] op_sel:[0,0,1] op_sel_hi:[1,0,0]
	v_mov_b32_e32 v71, v27
	v_mov_b32_e32 v64, v47
	v_pk_mul_f32 v[62:63], v[32:33], v[62:63] op_sel_hi:[1,0]
	s_waitcnt vmcnt(6)
	v_pk_fma_f32 v[40:41], v[30:31], v[42:43], v[60:61] op_sel:[0,0,1] op_sel_hi:[1,1,0] neg_lo:[0,0,1] neg_hi:[0,0,1]
	v_pk_fma_f32 v[30:31], v[30:31], v[42:43], v[60:61] op_sel:[0,0,1] op_sel_hi:[1,0,0]
	v_mov_b32_e32 v39, v29
	v_pk_add_f32 v[26:27], v[70:71], 0 op_sel_hi:[1,0]
	v_mov_b32_e32 v66, v49
	s_waitcnt lgkmcnt(1)
	v_pk_mul_f32 v[64:65], v[34:35], v[64:65] op_sel_hi:[1,0]
	s_waitcnt vmcnt(5)
	v_pk_fma_f32 v[42:43], v[32:33], v[44:45], v[62:63] op_sel:[0,0,1] op_sel_hi:[1,1,0] neg_lo:[0,0,1] neg_hi:[0,0,1]
	v_pk_fma_f32 v[32:33], v[32:33], v[44:45], v[62:63] op_sel:[0,0,1] op_sel_hi:[1,0,0]
	v_mov_b32_e32 v41, v31
	v_pk_add_f32 v[26:27], v[26:27], v[38:39]
	v_mov_b32_e32 v68, v51
	v_pk_mul_f32 v[66:67], v[36:37], v[66:67] op_sel_hi:[1,0]
	s_waitcnt vmcnt(4)
	v_pk_fma_f32 v[44:45], v[34:35], v[46:47], v[64:65] op_sel:[0,0,1] op_sel_hi:[1,1,0] neg_lo:[0,0,1] neg_hi:[0,0,1]
	v_pk_fma_f32 v[34:35], v[34:35], v[46:47], v[64:65] op_sel:[0,0,1] op_sel_hi:[1,0,0]
	v_mov_b32_e32 v43, v33
	v_pk_add_f32 v[26:27], v[26:27], v[40:41]
	s_waitcnt lgkmcnt(0)
	v_pk_mul_f32 v[68:69], v[54:55], v[68:69] op_sel_hi:[1,0]
	s_waitcnt vmcnt(3)
	v_pk_fma_f32 v[46:47], v[36:37], v[48:49], v[66:67] op_sel:[0,0,1] op_sel_hi:[1,1,0] neg_lo:[0,0,1] neg_hi:[0,0,1]
	v_pk_fma_f32 v[36:37], v[36:37], v[48:49], v[66:67] op_sel:[0,0,1] op_sel_hi:[1,0,0]
	v_mov_b32_e32 v45, v35
	v_pk_add_f32 v[26:27], v[26:27], v[42:43]
	s_waitcnt vmcnt(2)
	v_pk_fma_f32 v[48:49], v[54:55], v[50:51], v[68:69] op_sel:[0,0,1] op_sel_hi:[1,1,0] neg_lo:[0,0,1] neg_hi:[0,0,1]
	v_pk_fma_f32 v[50:51], v[54:55], v[50:51], v[68:69] op_sel:[0,0,1] op_sel_hi:[1,0,0]
	v_mov_b32_e32 v47, v37
	v_pk_add_f32 v[26:27], v[26:27], v[44:45]
	v_mov_b32_e32 v49, v51
	v_pk_add_f32 v[26:27], v[26:27], v[46:47]
	v_pk_add_f32 v[26:27], v[26:27], v[48:49]
	s_waitcnt vmcnt(0)
	v_pk_add_f32 v[26:27], v[52:53], v[26:27] neg_lo:[0,1] neg_hi:[0,1]
	buffer_store_dword v26, off, s[0:3], 0 offset:24
	buffer_store_dword v27, off, s[0:3], 0 offset:28
	s_and_saveexec_b64 s[4:5], vcc
	s_cbranch_execz .LBB74_75
; %bb.74:
	buffer_load_dword v26, off, s[0:3], 0 offset:16
	buffer_load_dword v27, off, s[0:3], 0 offset:20
	s_waitcnt vmcnt(0)
	ds_write_b64 v1, v[26:27]
	buffer_store_dword v24, off, s[0:3], 0 offset:16
	buffer_store_dword v24, off, s[0:3], 0 offset:20
.LBB74_75:
	s_or_b64 exec, exec, s[4:5]
	s_waitcnt lgkmcnt(0)
	; wave barrier
	s_waitcnt lgkmcnt(0)
	buffer_load_dword v43, off, s[0:3], 0 offset:28
	buffer_load_dword v45, off, s[0:3], 0 offset:36
	;; [unrolled: 1-line block ×18, first 2 shown]
	ds_read2_b64 v[26:29], v24 offset0:15 offset1:16
	ds_read2_b64 v[30:33], v24 offset0:17 offset1:18
	;; [unrolled: 1-line block ×4, first 2 shown]
	v_cmp_lt_u32_e32 vcc, 1, v0
	s_waitcnt vmcnt(17)
	v_mov_b32_e32 v24, v43
	s_waitcnt vmcnt(16)
	v_mov_b32_e32 v60, v45
	s_waitcnt lgkmcnt(3)
	v_pk_mul_f32 v[24:25], v[26:27], v[24:25] op_sel_hi:[1,0]
	s_waitcnt vmcnt(15)
	v_mov_b32_e32 v62, v47
	v_pk_mul_f32 v[60:61], v[28:29], v[60:61] op_sel_hi:[1,0]
	s_waitcnt vmcnt(14)
	v_mov_b32_e32 v64, v49
	s_waitcnt lgkmcnt(2)
	v_pk_mul_f32 v[62:63], v[30:31], v[62:63] op_sel_hi:[1,0]
	s_waitcnt vmcnt(13)
	v_mov_b32_e32 v66, v51
	s_waitcnt vmcnt(9)
	v_pk_fma_f32 v[74:75], v[26:27], v[42:43], v[24:25] op_sel:[0,0,1] op_sel_hi:[1,1,0] neg_lo:[0,0,1] neg_hi:[0,0,1]
	v_pk_fma_f32 v[24:25], v[26:27], v[42:43], v[24:25] op_sel:[0,0,1] op_sel_hi:[1,0,0]
	s_waitcnt vmcnt(8)
	v_pk_fma_f32 v[26:27], v[28:29], v[44:45], v[60:61] op_sel:[0,0,1] op_sel_hi:[1,1,0] neg_lo:[0,0,1] neg_hi:[0,0,1]
	v_pk_fma_f32 v[28:29], v[28:29], v[44:45], v[60:61] op_sel:[0,0,1] op_sel_hi:[1,0,0]
	v_mov_b32_e32 v75, v25
	v_pk_mul_f32 v[64:65], v[32:33], v[64:65] op_sel_hi:[1,0]
	s_waitcnt vmcnt(7)
	v_pk_fma_f32 v[42:43], v[30:31], v[46:47], v[62:63] op_sel:[0,0,1] op_sel_hi:[1,1,0] neg_lo:[0,0,1] neg_hi:[0,0,1]
	v_pk_fma_f32 v[30:31], v[30:31], v[46:47], v[62:63] op_sel:[0,0,1] op_sel_hi:[1,0,0]
	v_mov_b32_e32 v27, v29
	v_pk_add_f32 v[24:25], v[74:75], 0 op_sel_hi:[1,0]
	v_mov_b32_e32 v68, v53
	s_waitcnt lgkmcnt(1)
	v_pk_mul_f32 v[66:67], v[34:35], v[66:67] op_sel_hi:[1,0]
	s_waitcnt vmcnt(6)
	v_pk_fma_f32 v[44:45], v[32:33], v[48:49], v[64:65] op_sel:[0,0,1] op_sel_hi:[1,1,0] neg_lo:[0,0,1] neg_hi:[0,0,1]
	v_pk_fma_f32 v[32:33], v[32:33], v[48:49], v[64:65] op_sel:[0,0,1] op_sel_hi:[1,0,0]
	v_mov_b32_e32 v43, v31
	v_pk_add_f32 v[24:25], v[24:25], v[26:27]
	v_mov_b32_e32 v70, v55
	v_pk_mul_f32 v[68:69], v[36:37], v[68:69] op_sel_hi:[1,0]
	s_waitcnt vmcnt(5)
	v_pk_fma_f32 v[46:47], v[34:35], v[50:51], v[66:67] op_sel:[0,0,1] op_sel_hi:[1,1,0] neg_lo:[0,0,1] neg_hi:[0,0,1]
	v_pk_fma_f32 v[34:35], v[34:35], v[50:51], v[66:67] op_sel:[0,0,1] op_sel_hi:[1,0,0]
	v_mov_b32_e32 v45, v33
	v_pk_add_f32 v[24:25], v[24:25], v[42:43]
	v_mov_b32_e32 v72, v57
	s_waitcnt lgkmcnt(0)
	v_pk_mul_f32 v[70:71], v[38:39], v[70:71] op_sel_hi:[1,0]
	s_waitcnt vmcnt(4)
	v_pk_fma_f32 v[48:49], v[36:37], v[52:53], v[68:69] op_sel:[0,0,1] op_sel_hi:[1,1,0] neg_lo:[0,0,1] neg_hi:[0,0,1]
	v_pk_fma_f32 v[36:37], v[36:37], v[52:53], v[68:69] op_sel:[0,0,1] op_sel_hi:[1,0,0]
	v_mov_b32_e32 v47, v35
	v_pk_add_f32 v[24:25], v[24:25], v[44:45]
	v_pk_mul_f32 v[72:73], v[40:41], v[72:73] op_sel_hi:[1,0]
	s_waitcnt vmcnt(3)
	v_pk_fma_f32 v[50:51], v[38:39], v[54:55], v[70:71] op_sel:[0,0,1] op_sel_hi:[1,1,0] neg_lo:[0,0,1] neg_hi:[0,0,1]
	v_pk_fma_f32 v[38:39], v[38:39], v[54:55], v[70:71] op_sel:[0,0,1] op_sel_hi:[1,0,0]
	v_mov_b32_e32 v49, v37
	v_pk_add_f32 v[24:25], v[24:25], v[46:47]
	s_waitcnt vmcnt(2)
	v_pk_fma_f32 v[52:53], v[40:41], v[56:57], v[72:73] op_sel:[0,0,1] op_sel_hi:[1,1,0] neg_lo:[0,0,1] neg_hi:[0,0,1]
	v_pk_fma_f32 v[40:41], v[40:41], v[56:57], v[72:73] op_sel:[0,0,1] op_sel_hi:[1,0,0]
	v_mov_b32_e32 v51, v39
	v_pk_add_f32 v[24:25], v[24:25], v[48:49]
	v_mov_b32_e32 v53, v41
	v_pk_add_f32 v[24:25], v[24:25], v[50:51]
	v_pk_add_f32 v[24:25], v[24:25], v[52:53]
	s_waitcnt vmcnt(0)
	v_pk_add_f32 v[24:25], v[58:59], v[24:25] neg_lo:[0,1] neg_hi:[0,1]
	buffer_store_dword v24, off, s[0:3], 0 offset:16
	buffer_store_dword v25, off, s[0:3], 0 offset:20
	s_and_saveexec_b64 s[4:5], vcc
	s_cbranch_execz .LBB74_77
; %bb.76:
	buffer_load_dword v24, off, s[0:3], 0 offset:8
	buffer_load_dword v25, off, s[0:3], 0 offset:12
	v_mov_b32_e32 v26, 0
	buffer_store_dword v26, off, s[0:3], 0 offset:8
	buffer_store_dword v26, off, s[0:3], 0 offset:12
	s_waitcnt vmcnt(2)
	ds_write_b64 v1, v[24:25]
.LBB74_77:
	s_or_b64 exec, exec, s[4:5]
	s_waitcnt lgkmcnt(0)
	; wave barrier
	s_waitcnt lgkmcnt(0)
	buffer_load_dword v25, off, s[0:3], 0 offset:20
	buffer_load_dword v43, off, s[0:3], 0 offset:28
	;; [unrolled: 1-line block ×20, first 2 shown]
	v_mov_b32_e32 v24, 0
	ds_read_b128 v[26:29], v24 offset:112
	ds_read_b128 v[30:33], v24 offset:128
	;; [unrolled: 1-line block ×4, first 2 shown]
	ds_read_b64 v[60:61], v24 offset:176
	v_cmp_ne_u32_e32 vcc, 0, v0
	s_waitcnt vmcnt(19) lgkmcnt(4)
	v_mul_f32_e32 v63, v26, v25
	v_mul_f32_e32 v25, v27, v25
	s_waitcnt vmcnt(18)
	v_mov_b32_e32 v64, v43
	s_waitcnt vmcnt(17)
	v_mov_b32_e32 v66, v45
	;; [unrolled: 2-line block ×8, first 2 shown]
	s_waitcnt vmcnt(10)
	v_fmac_f32_e32 v63, v27, v62
	v_fma_f32 v62, v26, v62, -v25
	v_pk_mul_f32 v[26:27], v[28:29], v[64:65] op_sel_hi:[1,0]
	s_waitcnt lgkmcnt(3)
	v_pk_mul_f32 v[64:65], v[30:31], v[66:67] op_sel_hi:[1,0]
	v_pk_mul_f32 v[66:67], v[32:33], v[68:69] op_sel_hi:[1,0]
	s_waitcnt lgkmcnt(2)
	v_pk_mul_f32 v[68:69], v[34:35], v[70:71] op_sel_hi:[1,0]
	;; [unrolled: 3-line block ×4, first 2 shown]
	s_waitcnt vmcnt(9)
	v_pk_fma_f32 v[78:79], v[28:29], v[42:43], v[26:27] op_sel:[0,0,1] op_sel_hi:[1,1,0] neg_lo:[0,0,1] neg_hi:[0,0,1]
	v_pk_fma_f32 v[26:27], v[28:29], v[42:43], v[26:27] op_sel:[0,0,1] op_sel_hi:[1,0,0]
	v_pk_add_f32 v[62:63], v[62:63], 0 op_sel_hi:[1,0]
	s_waitcnt vmcnt(8)
	v_pk_fma_f32 v[28:29], v[30:31], v[44:45], v[64:65] op_sel:[0,0,1] op_sel_hi:[1,1,0] neg_lo:[0,0,1] neg_hi:[0,0,1]
	v_pk_fma_f32 v[30:31], v[30:31], v[44:45], v[64:65] op_sel:[0,0,1] op_sel_hi:[1,0,0]
	v_mov_b32_e32 v79, v27
	s_waitcnt vmcnt(7)
	v_pk_fma_f32 v[42:43], v[32:33], v[46:47], v[66:67] op_sel:[0,0,1] op_sel_hi:[1,1,0] neg_lo:[0,0,1] neg_hi:[0,0,1]
	v_pk_fma_f32 v[32:33], v[32:33], v[46:47], v[66:67] op_sel:[0,0,1] op_sel_hi:[1,0,0]
	v_mov_b32_e32 v29, v31
	v_pk_add_f32 v[26:27], v[62:63], v[78:79]
	s_waitcnt vmcnt(6)
	v_pk_fma_f32 v[44:45], v[34:35], v[48:49], v[68:69] op_sel:[0,0,1] op_sel_hi:[1,1,0] neg_lo:[0,0,1] neg_hi:[0,0,1]
	v_pk_fma_f32 v[34:35], v[34:35], v[48:49], v[68:69] op_sel:[0,0,1] op_sel_hi:[1,0,0]
	v_mov_b32_e32 v43, v33
	v_pk_add_f32 v[26:27], v[26:27], v[28:29]
	;; [unrolled: 5-line block ×5, first 2 shown]
	v_pk_fma_f32 v[52:53], v[60:61], v[56:57], v[76:77] op_sel:[0,0,1] op_sel_hi:[1,1,0] neg_lo:[0,0,1] neg_hi:[0,0,1]
	v_pk_fma_f32 v[54:55], v[60:61], v[56:57], v[76:77] op_sel:[0,0,1] op_sel_hi:[1,0,0]
	v_mov_b32_e32 v51, v41
	v_pk_add_f32 v[26:27], v[26:27], v[48:49]
	v_mov_b32_e32 v53, v55
	v_pk_add_f32 v[26:27], v[26:27], v[50:51]
	v_pk_add_f32 v[26:27], v[26:27], v[52:53]
	s_waitcnt vmcnt(0)
	v_pk_add_f32 v[26:27], v[58:59], v[26:27] neg_lo:[0,1] neg_hi:[0,1]
	buffer_store_dword v26, off, s[0:3], 0 offset:8
	buffer_store_dword v27, off, s[0:3], 0 offset:12
	s_and_saveexec_b64 s[4:5], vcc
	s_cbranch_execz .LBB74_79
; %bb.78:
	buffer_load_dword v26, off, s[0:3], 0
	buffer_load_dword v27, off, s[0:3], 0 offset:4
	s_waitcnt vmcnt(0)
	ds_write_b64 v1, v[26:27]
	buffer_store_dword v24, off, s[0:3], 0
	buffer_store_dword v24, off, s[0:3], 0 offset:4
.LBB74_79:
	s_or_b64 exec, exec, s[4:5]
	s_waitcnt lgkmcnt(0)
	; wave barrier
	s_waitcnt lgkmcnt(0)
	buffer_load_dword v62, off, s[0:3], 0 offset:12
	buffer_load_dword v64, off, s[0:3], 0 offset:20
	;; [unrolled: 1-line block ×20, first 2 shown]
	buffer_load_dword v60, off, s[0:3], 0
	buffer_load_dword v61, off, s[0:3], 0 offset:4
	ds_read2_b64 v[26:29], v24 offset0:13 offset1:14
	ds_read2_b64 v[30:33], v24 offset0:15 offset1:16
	ds_read2_b64 v[34:37], v24 offset0:17 offset1:18
	ds_read2_b64 v[38:41], v24 offset0:19 offset1:20
	ds_read2_b64 v[42:45], v24 offset0:21 offset1:22
	s_and_b64 vcc, exec, s[16:17]
	s_waitcnt vmcnt(21) lgkmcnt(4)
	v_mul_f32_e32 v25, v26, v62
	s_waitcnt vmcnt(20)
	v_mul_f32_e32 v63, v28, v64
	v_mul_f32_e32 v24, v27, v62
	;; [unrolled: 1-line block ×3, first 2 shown]
	s_waitcnt vmcnt(19)
	v_mov_b32_e32 v64, v1
	s_waitcnt vmcnt(18)
	v_mov_b32_e32 v66, v47
	;; [unrolled: 2-line block ×5, first 2 shown]
	v_mov_b32_e32 v70, v51
	s_waitcnt vmcnt(11)
	v_fmac_f32_e32 v25, v27, v65
	v_fma_f32 v24, v26, v65, -v24
	s_waitcnt lgkmcnt(3)
	v_pk_mul_f32 v[26:27], v[30:31], v[64:65] op_sel_hi:[1,0]
	s_waitcnt vmcnt(10)
	v_fmac_f32_e32 v63, v29, v67
	v_fma_f32 v62, v28, v67, -v62
	v_pk_mul_f32 v[28:29], v[32:33], v[66:67] op_sel_hi:[1,0]
	s_waitcnt lgkmcnt(2)
	v_pk_mul_f32 v[64:65], v[34:35], v[68:69] op_sel_hi:[1,0]
	s_waitcnt lgkmcnt(1)
	;; [unrolled: 2-line block ×3, first 2 shown]
	v_pk_mul_f32 v[72:73], v[42:43], v[76:77] op_sel_hi:[1,0]
	v_pk_add_f32 v[24:25], v[24:25], 0 op_sel_hi:[1,0]
	s_waitcnt vmcnt(9)
	v_pk_fma_f32 v[76:77], v[30:31], v[0:1], v[26:27] op_sel:[0,0,1] op_sel_hi:[1,1,0] neg_lo:[0,0,1] neg_hi:[0,0,1]
	v_pk_fma_f32 v[0:1], v[30:31], v[0:1], v[26:27] op_sel:[0,0,1] op_sel_hi:[1,0,0]
	s_waitcnt vmcnt(8)
	v_pk_fma_f32 v[26:27], v[32:33], v[46:47], v[28:29] op_sel:[0,0,1] op_sel_hi:[1,1,0] neg_lo:[0,0,1] neg_hi:[0,0,1]
	v_pk_fma_f32 v[28:29], v[32:33], v[46:47], v[28:29] op_sel:[0,0,1] op_sel_hi:[1,0,0]
	v_pk_add_f32 v[24:25], v[24:25], v[62:63]
	v_mov_b32_e32 v77, v1
	v_pk_mul_f32 v[66:67], v[36:37], v[70:71] op_sel_hi:[1,0]
	s_waitcnt vmcnt(7)
	v_pk_fma_f32 v[30:31], v[34:35], v[48:49], v[64:65] op_sel:[0,0,1] op_sel_hi:[1,1,0] neg_lo:[0,0,1] neg_hi:[0,0,1]
	v_pk_fma_f32 v[32:33], v[34:35], v[48:49], v[64:65] op_sel:[0,0,1] op_sel_hi:[1,0,0]
	v_mov_b32_e32 v27, v29
	v_pk_add_f32 v[0:1], v[24:25], v[76:77]
	v_mov_b32_e32 v74, v55
	s_waitcnt vmcnt(6)
	v_pk_fma_f32 v[34:35], v[36:37], v[50:51], v[66:67] op_sel:[0,0,1] op_sel_hi:[1,1,0] neg_lo:[0,0,1] neg_hi:[0,0,1]
	v_pk_fma_f32 v[36:37], v[36:37], v[50:51], v[66:67] op_sel:[0,0,1] op_sel_hi:[1,0,0]
	v_mov_b32_e32 v31, v33
	v_pk_add_f32 v[0:1], v[0:1], v[26:27]
	v_pk_mul_f32 v[70:71], v[40:41], v[74:75] op_sel_hi:[1,0]
	s_waitcnt vmcnt(5)
	v_pk_fma_f32 v[46:47], v[38:39], v[52:53], v[68:69] op_sel:[0,0,1] op_sel_hi:[1,1,0] neg_lo:[0,0,1] neg_hi:[0,0,1]
	v_pk_fma_f32 v[38:39], v[38:39], v[52:53], v[68:69] op_sel:[0,0,1] op_sel_hi:[1,0,0]
	v_mov_b32_e32 v35, v37
	v_pk_add_f32 v[0:1], v[0:1], v[30:31]
	v_mov_b32_e32 v78, v59
	s_waitcnt vmcnt(2)
	v_pk_fma_f32 v[48:49], v[40:41], v[54:55], v[70:71] op_sel:[0,0,1] op_sel_hi:[1,1,0] neg_lo:[0,0,1] neg_hi:[0,0,1]
	v_pk_fma_f32 v[40:41], v[40:41], v[54:55], v[70:71] op_sel:[0,0,1] op_sel_hi:[1,0,0]
	v_mov_b32_e32 v47, v39
	v_pk_add_f32 v[0:1], v[0:1], v[34:35]
	v_pk_mul_f32 v[74:75], v[44:45], v[78:79] op_sel_hi:[1,0]
	v_pk_fma_f32 v[50:51], v[42:43], v[56:57], v[72:73] op_sel:[0,0,1] op_sel_hi:[1,1,0] neg_lo:[0,0,1] neg_hi:[0,0,1]
	v_pk_fma_f32 v[42:43], v[42:43], v[56:57], v[72:73] op_sel:[0,0,1] op_sel_hi:[1,0,0]
	v_mov_b32_e32 v49, v41
	v_pk_add_f32 v[0:1], v[0:1], v[46:47]
	v_pk_fma_f32 v[52:53], v[44:45], v[58:59], v[74:75] op_sel:[0,0,1] op_sel_hi:[1,1,0] neg_lo:[0,0,1] neg_hi:[0,0,1]
	v_pk_fma_f32 v[44:45], v[44:45], v[58:59], v[74:75] op_sel:[0,0,1] op_sel_hi:[1,0,0]
	v_mov_b32_e32 v51, v43
	v_pk_add_f32 v[0:1], v[0:1], v[48:49]
	v_mov_b32_e32 v53, v45
	v_pk_add_f32 v[0:1], v[0:1], v[50:51]
	v_pk_add_f32 v[0:1], v[0:1], v[52:53]
	s_waitcnt vmcnt(0)
	v_pk_add_f32 v[0:1], v[60:61], v[0:1] neg_lo:[0,1] neg_hi:[0,1]
	buffer_store_dword v0, off, s[0:3], 0
	buffer_store_dword v1, off, s[0:3], 0 offset:4
	s_cbranch_vccz .LBB74_101
; %bb.80:
	v_pk_mov_b32 v[0:1], s[10:11], s[10:11] op_sel:[0,1]
	flat_load_dword v0, v[0:1] offset:36
	s_waitcnt vmcnt(0) lgkmcnt(0)
	v_add_u32_e32 v0, -1, v0
	v_cmp_ne_u32_e32 vcc, 9, v0
	s_and_saveexec_b64 s[4:5], vcc
	s_cbranch_execz .LBB74_82
; %bb.81:
	v_mov_b32_e32 v1, 0
	v_lshl_add_u32 v0, v0, 3, v1
	buffer_load_dword v1, v0, s[0:3], 0 offen
	buffer_load_dword v24, v0, s[0:3], 0 offen offset:4
	buffer_load_dword v25, off, s[0:3], 0 offset:72
	buffer_load_dword v26, off, s[0:3], 0 offset:76
	s_waitcnt vmcnt(3)
	buffer_store_dword v1, off, s[0:3], 0 offset:72
	s_waitcnt vmcnt(3)
	buffer_store_dword v24, off, s[0:3], 0 offset:76
	s_waitcnt vmcnt(3)
	buffer_store_dword v25, v0, s[0:3], 0 offen
	s_waitcnt vmcnt(3)
	buffer_store_dword v26, v0, s[0:3], 0 offen offset:4
.LBB74_82:
	s_or_b64 exec, exec, s[4:5]
	v_pk_mov_b32 v[0:1], s[10:11], s[10:11] op_sel:[0,1]
	flat_load_dword v0, v[0:1] offset:32
	s_waitcnt vmcnt(0) lgkmcnt(0)
	v_add_u32_e32 v0, -1, v0
	v_cmp_ne_u32_e32 vcc, 8, v0
	s_and_saveexec_b64 s[4:5], vcc
	s_cbranch_execz .LBB74_84
; %bb.83:
	v_mov_b32_e32 v1, 0
	v_lshl_add_u32 v0, v0, 3, v1
	buffer_load_dword v1, v0, s[0:3], 0 offen
	buffer_load_dword v24, v0, s[0:3], 0 offen offset:4
	buffer_load_dword v25, off, s[0:3], 0 offset:68
	buffer_load_dword v26, off, s[0:3], 0 offset:64
	s_waitcnt vmcnt(3)
	buffer_store_dword v1, off, s[0:3], 0 offset:64
	s_waitcnt vmcnt(3)
	buffer_store_dword v24, off, s[0:3], 0 offset:68
	s_waitcnt vmcnt(3)
	buffer_store_dword v25, v0, s[0:3], 0 offen offset:4
	s_waitcnt vmcnt(3)
	buffer_store_dword v26, v0, s[0:3], 0 offen
.LBB74_84:
	s_or_b64 exec, exec, s[4:5]
	v_pk_mov_b32 v[0:1], s[10:11], s[10:11] op_sel:[0,1]
	flat_load_dword v0, v[0:1] offset:28
	s_waitcnt vmcnt(0) lgkmcnt(0)
	v_add_u32_e32 v0, -1, v0
	v_cmp_ne_u32_e32 vcc, 7, v0
	s_and_saveexec_b64 s[4:5], vcc
	s_cbranch_execz .LBB74_86
; %bb.85:
	v_mov_b32_e32 v1, 0
	v_lshl_add_u32 v0, v0, 3, v1
	buffer_load_dword v1, v0, s[0:3], 0 offen
	buffer_load_dword v24, v0, s[0:3], 0 offen offset:4
	buffer_load_dword v25, off, s[0:3], 0 offset:56
	buffer_load_dword v26, off, s[0:3], 0 offset:60
	s_waitcnt vmcnt(3)
	buffer_store_dword v1, off, s[0:3], 0 offset:56
	s_waitcnt vmcnt(3)
	buffer_store_dword v24, off, s[0:3], 0 offset:60
	s_waitcnt vmcnt(3)
	buffer_store_dword v25, v0, s[0:3], 0 offen
	s_waitcnt vmcnt(3)
	buffer_store_dword v26, v0, s[0:3], 0 offen offset:4
.LBB74_86:
	s_or_b64 exec, exec, s[4:5]
	v_pk_mov_b32 v[0:1], s[10:11], s[10:11] op_sel:[0,1]
	flat_load_dword v0, v[0:1] offset:24
	s_waitcnt vmcnt(0) lgkmcnt(0)
	v_add_u32_e32 v0, -1, v0
	v_cmp_ne_u32_e32 vcc, 6, v0
	s_and_saveexec_b64 s[4:5], vcc
	s_cbranch_execz .LBB74_88
; %bb.87:
	v_mov_b32_e32 v1, 0
	v_lshl_add_u32 v0, v0, 3, v1
	buffer_load_dword v1, v0, s[0:3], 0 offen
	buffer_load_dword v24, v0, s[0:3], 0 offen offset:4
	buffer_load_dword v25, off, s[0:3], 0 offset:52
	buffer_load_dword v26, off, s[0:3], 0 offset:48
	s_waitcnt vmcnt(3)
	buffer_store_dword v1, off, s[0:3], 0 offset:48
	s_waitcnt vmcnt(3)
	buffer_store_dword v24, off, s[0:3], 0 offset:52
	s_waitcnt vmcnt(3)
	buffer_store_dword v25, v0, s[0:3], 0 offen offset:4
	s_waitcnt vmcnt(3)
	buffer_store_dword v26, v0, s[0:3], 0 offen
.LBB74_88:
	s_or_b64 exec, exec, s[4:5]
	;; [unrolled: 48-line block ×4, first 2 shown]
	v_pk_mov_b32 v[0:1], s[10:11], s[10:11] op_sel:[0,1]
	flat_load_dword v0, v[0:1] offset:4
	s_waitcnt vmcnt(0) lgkmcnt(0)
	v_add_u32_e32 v0, -1, v0
	v_cmp_ne_u32_e32 vcc, 1, v0
	s_and_saveexec_b64 s[4:5], vcc
	s_cbranch_execz .LBB74_98
; %bb.97:
	v_mov_b32_e32 v1, 0
	v_lshl_add_u32 v0, v0, 3, v1
	buffer_load_dword v1, v0, s[0:3], 0 offen
	buffer_load_dword v24, v0, s[0:3], 0 offen offset:4
	buffer_load_dword v25, off, s[0:3], 0 offset:8
	buffer_load_dword v26, off, s[0:3], 0 offset:12
	s_waitcnt vmcnt(3)
	buffer_store_dword v1, off, s[0:3], 0 offset:8
	s_waitcnt vmcnt(3)
	buffer_store_dword v24, off, s[0:3], 0 offset:12
	s_waitcnt vmcnt(3)
	buffer_store_dword v25, v0, s[0:3], 0 offen
	s_waitcnt vmcnt(3)
	buffer_store_dword v26, v0, s[0:3], 0 offen offset:4
.LBB74_98:
	s_or_b64 exec, exec, s[4:5]
	v_pk_mov_b32 v[0:1], s[10:11], s[10:11] op_sel:[0,1]
	flat_load_dword v24, v[0:1]
	s_nop 0
	buffer_load_dword v0, off, s[0:3], 0
	buffer_load_dword v1, off, s[0:3], 0 offset:4
	s_waitcnt vmcnt(0) lgkmcnt(0)
	v_add_u32_e32 v24, -1, v24
	v_cmp_ne_u32_e32 vcc, 0, v24
	s_and_saveexec_b64 s[4:5], vcc
	s_cbranch_execz .LBB74_100
; %bb.99:
	v_mov_b32_e32 v25, 0
	v_lshl_add_u32 v24, v24, 3, v25
	buffer_load_dword v25, v24, s[0:3], 0 offen offset:4
	buffer_load_dword v26, v24, s[0:3], 0 offen
	s_waitcnt vmcnt(1)
	buffer_store_dword v25, off, s[0:3], 0 offset:4
	s_waitcnt vmcnt(1)
	buffer_store_dword v26, off, s[0:3], 0
	buffer_store_dword v1, v24, s[0:3], 0 offen offset:4
	buffer_store_dword v0, v24, s[0:3], 0 offen
	buffer_load_dword v0, off, s[0:3], 0
	s_nop 0
	buffer_load_dword v1, off, s[0:3], 0 offset:4
.LBB74_100:
	s_or_b64 exec, exec, s[4:5]
.LBB74_101:
	buffer_load_dword v24, off, s[0:3], 0 offset:8
	buffer_load_dword v25, off, s[0:3], 0 offset:12
	;; [unrolled: 1-line block ×20, first 2 shown]
	s_waitcnt vmcnt(20)
	global_store_dwordx2 v[2:3], v[0:1], off
	s_waitcnt vmcnt(19)
	global_store_dwordx2 v[4:5], v[24:25], off
	;; [unrolled: 2-line block ×11, first 2 shown]
	s_endpgm
	.section	.rodata,"a",@progbits
	.p2align	6, 0x0
	.amdhsa_kernel _ZN9rocsolver6v33100L18getri_kernel_smallILi11E19rocblas_complex_numIfEPKPS3_EEvT1_iilPiilS8_bb
		.amdhsa_group_segment_fixed_size 184
		.amdhsa_private_segment_fixed_size 96
		.amdhsa_kernarg_size 60
		.amdhsa_user_sgpr_count 8
		.amdhsa_user_sgpr_private_segment_buffer 1
		.amdhsa_user_sgpr_dispatch_ptr 0
		.amdhsa_user_sgpr_queue_ptr 0
		.amdhsa_user_sgpr_kernarg_segment_ptr 1
		.amdhsa_user_sgpr_dispatch_id 0
		.amdhsa_user_sgpr_flat_scratch_init 1
		.amdhsa_user_sgpr_kernarg_preload_length 0
		.amdhsa_user_sgpr_kernarg_preload_offset 0
		.amdhsa_user_sgpr_private_segment_size 0
		.amdhsa_uses_dynamic_stack 0
		.amdhsa_system_sgpr_private_segment_wavefront_offset 1
		.amdhsa_system_sgpr_workgroup_id_x 1
		.amdhsa_system_sgpr_workgroup_id_y 0
		.amdhsa_system_sgpr_workgroup_id_z 0
		.amdhsa_system_sgpr_workgroup_info 0
		.amdhsa_system_vgpr_workitem_id 0
		.amdhsa_next_free_vgpr 80
		.amdhsa_next_free_sgpr 22
		.amdhsa_accum_offset 80
		.amdhsa_reserve_vcc 1
		.amdhsa_reserve_flat_scratch 1
		.amdhsa_float_round_mode_32 0
		.amdhsa_float_round_mode_16_64 0
		.amdhsa_float_denorm_mode_32 3
		.amdhsa_float_denorm_mode_16_64 3
		.amdhsa_dx10_clamp 1
		.amdhsa_ieee_mode 1
		.amdhsa_fp16_overflow 0
		.amdhsa_tg_split 0
		.amdhsa_exception_fp_ieee_invalid_op 0
		.amdhsa_exception_fp_denorm_src 0
		.amdhsa_exception_fp_ieee_div_zero 0
		.amdhsa_exception_fp_ieee_overflow 0
		.amdhsa_exception_fp_ieee_underflow 0
		.amdhsa_exception_fp_ieee_inexact 0
		.amdhsa_exception_int_div_zero 0
	.end_amdhsa_kernel
	.section	.text._ZN9rocsolver6v33100L18getri_kernel_smallILi11E19rocblas_complex_numIfEPKPS3_EEvT1_iilPiilS8_bb,"axG",@progbits,_ZN9rocsolver6v33100L18getri_kernel_smallILi11E19rocblas_complex_numIfEPKPS3_EEvT1_iilPiilS8_bb,comdat
.Lfunc_end74:
	.size	_ZN9rocsolver6v33100L18getri_kernel_smallILi11E19rocblas_complex_numIfEPKPS3_EEvT1_iilPiilS8_bb, .Lfunc_end74-_ZN9rocsolver6v33100L18getri_kernel_smallILi11E19rocblas_complex_numIfEPKPS3_EEvT1_iilPiilS8_bb
                                        ; -- End function
	.section	.AMDGPU.csdata,"",@progbits
; Kernel info:
; codeLenInByte = 10368
; NumSgprs: 28
; NumVgprs: 80
; NumAgprs: 0
; TotalNumVgprs: 80
; ScratchSize: 96
; MemoryBound: 0
; FloatMode: 240
; IeeeMode: 1
; LDSByteSize: 184 bytes/workgroup (compile time only)
; SGPRBlocks: 3
; VGPRBlocks: 9
; NumSGPRsForWavesPerEU: 28
; NumVGPRsForWavesPerEU: 80
; AccumOffset: 80
; Occupancy: 6
; WaveLimiterHint : 1
; COMPUTE_PGM_RSRC2:SCRATCH_EN: 1
; COMPUTE_PGM_RSRC2:USER_SGPR: 8
; COMPUTE_PGM_RSRC2:TRAP_HANDLER: 0
; COMPUTE_PGM_RSRC2:TGID_X_EN: 1
; COMPUTE_PGM_RSRC2:TGID_Y_EN: 0
; COMPUTE_PGM_RSRC2:TGID_Z_EN: 0
; COMPUTE_PGM_RSRC2:TIDIG_COMP_CNT: 0
; COMPUTE_PGM_RSRC3_GFX90A:ACCUM_OFFSET: 19
; COMPUTE_PGM_RSRC3_GFX90A:TG_SPLIT: 0
	.section	.text._ZN9rocsolver6v33100L18getri_kernel_smallILi12E19rocblas_complex_numIfEPKPS3_EEvT1_iilPiilS8_bb,"axG",@progbits,_ZN9rocsolver6v33100L18getri_kernel_smallILi12E19rocblas_complex_numIfEPKPS3_EEvT1_iilPiilS8_bb,comdat
	.globl	_ZN9rocsolver6v33100L18getri_kernel_smallILi12E19rocblas_complex_numIfEPKPS3_EEvT1_iilPiilS8_bb ; -- Begin function _ZN9rocsolver6v33100L18getri_kernel_smallILi12E19rocblas_complex_numIfEPKPS3_EEvT1_iilPiilS8_bb
	.p2align	8
	.type	_ZN9rocsolver6v33100L18getri_kernel_smallILi12E19rocblas_complex_numIfEPKPS3_EEvT1_iilPiilS8_bb,@function
_ZN9rocsolver6v33100L18getri_kernel_smallILi12E19rocblas_complex_numIfEPKPS3_EEvT1_iilPiilS8_bb: ; @_ZN9rocsolver6v33100L18getri_kernel_smallILi12E19rocblas_complex_numIfEPKPS3_EEvT1_iilPiilS8_bb
; %bb.0:
	s_add_u32 flat_scratch_lo, s6, s9
	s_addc_u32 flat_scratch_hi, s7, 0
	s_add_u32 s0, s0, s9
	s_addc_u32 s1, s1, 0
	v_cmp_gt_u32_e32 vcc, 12, v0
	s_and_saveexec_b64 s[6:7], vcc
	s_cbranch_execz .LBB75_62
; %bb.1:
	s_load_dword s18, s[4:5], 0x38
	s_load_dwordx2 s[6:7], s[4:5], 0x0
	s_load_dwordx4 s[12:15], s[4:5], 0x28
	s_waitcnt lgkmcnt(0)
	s_bitcmp1_b32 s18, 8
	s_cselect_b64 s[16:17], -1, 0
	s_ashr_i32 s9, s8, 31
	s_lshl_b64 s[10:11], s[8:9], 3
	s_add_u32 s6, s6, s10
	s_addc_u32 s7, s7, s11
	s_load_dwordx2 s[6:7], s[6:7], 0x0
	s_bfe_u32 s10, s18, 0x10008
	s_cmp_eq_u32 s10, 0
                                        ; implicit-def: $sgpr10_sgpr11
	s_cbranch_scc1 .LBB75_3
; %bb.2:
	s_load_dword s10, s[4:5], 0x20
	s_load_dwordx2 s[20:21], s[4:5], 0x18
	s_mul_i32 s11, s8, s13
	s_mul_hi_u32 s13, s8, s12
	s_add_i32 s13, s13, s11
	s_mul_i32 s19, s9, s12
	s_add_i32 s13, s13, s19
	s_mul_i32 s12, s8, s12
	s_waitcnt lgkmcnt(0)
	s_ashr_i32 s11, s10, 31
	s_lshl_b64 s[12:13], s[12:13], 2
	s_add_u32 s12, s20, s12
	s_addc_u32 s13, s21, s13
	s_lshl_b64 s[10:11], s[10:11], 2
	s_add_u32 s10, s12, s10
	s_addc_u32 s11, s13, s11
.LBB75_3:
	s_load_dwordx2 s[4:5], s[4:5], 0x8
	v_lshlrev_b32_e32 v30, 3, v0
	s_waitcnt lgkmcnt(0)
	s_ashr_i32 s13, s4, 31
	s_mov_b32 s12, s4
	s_lshl_b64 s[12:13], s[12:13], 3
	s_add_u32 s6, s6, s12
	s_addc_u32 s7, s7, s13
	v_mov_b32_e32 v1, s7
	v_add_co_u32_e32 v2, vcc, s6, v30
	s_ashr_i32 s13, s5, 31
	s_mov_b32 s12, s5
	s_add_i32 s4, s5, s5
	v_addc_co_u32_e32 v3, vcc, 0, v1, vcc
	s_lshl_b64 s[12:13], s[12:13], 3
	v_add_u32_e32 v8, s4, v0
	v_mov_b32_e32 v1, s13
	v_add_co_u32_e32 v4, vcc, s12, v2
	v_ashrrev_i32_e32 v9, 31, v8
	v_addc_co_u32_e32 v5, vcc, v3, v1, vcc
	v_lshlrev_b64 v[6:7], 3, v[8:9]
	v_add_u32_e32 v10, s5, v8
	v_mov_b32_e32 v1, s7
	v_add_co_u32_e32 v6, vcc, s6, v6
	v_ashrrev_i32_e32 v11, 31, v10
	v_addc_co_u32_e32 v7, vcc, v1, v7, vcc
	v_lshlrev_b64 v[8:9], 3, v[10:11]
	v_add_u32_e32 v12, s5, v10
	v_add_co_u32_e32 v8, vcc, s6, v8
	v_ashrrev_i32_e32 v13, 31, v12
	v_addc_co_u32_e32 v9, vcc, v1, v9, vcc
	v_lshlrev_b64 v[10:11], 3, v[12:13]
	v_add_u32_e32 v14, s5, v12
	;; [unrolled: 5-line block ×7, first 2 shown]
	v_add_co_u32_e32 v20, vcc, s6, v20
	v_ashrrev_i32_e32 v25, 31, v24
	v_addc_co_u32_e32 v21, vcc, v1, v21, vcc
	v_lshlrev_b64 v[22:23], 3, v[24:25]
	v_add_co_u32_e32 v22, vcc, s6, v22
	global_load_dwordx2 v[26:27], v30, s[6:7]
	global_load_dwordx2 v[28:29], v[4:5], off
	global_load_dwordx2 v[32:33], v[6:7], off
	;; [unrolled: 1-line block ×8, first 2 shown]
	v_addc_co_u32_e32 v23, vcc, v1, v23, vcc
	global_load_dwordx2 v[46:47], v[20:21], off
	global_load_dwordx2 v[48:49], v[22:23], off
	v_add_u32_e32 v24, s5, v24
	v_ashrrev_i32_e32 v25, 31, v24
	v_lshlrev_b64 v[24:25], 3, v[24:25]
	v_add_co_u32_e32 v24, vcc, s6, v24
	v_addc_co_u32_e32 v25, vcc, v1, v25, vcc
	global_load_dwordx2 v[50:51], v[24:25], off
	s_bitcmp0_b32 s18, 0
	s_mov_b64 s[6:7], -1
	s_waitcnt vmcnt(11)
	buffer_store_dword v27, off, s[0:3], 0 offset:4
	buffer_store_dword v26, off, s[0:3], 0
	s_waitcnt vmcnt(12)
	buffer_store_dword v29, off, s[0:3], 0 offset:12
	buffer_store_dword v28, off, s[0:3], 0 offset:8
	s_waitcnt vmcnt(13)
	buffer_store_dword v33, off, s[0:3], 0 offset:20
	buffer_store_dword v32, off, s[0:3], 0 offset:16
	;; [unrolled: 3-line block ×11, first 2 shown]
	s_cbranch_scc1 .LBB75_60
; %bb.4:
	v_cmp_eq_u32_e64 s[4:5], 0, v0
	s_and_saveexec_b64 s[6:7], s[4:5]
	s_cbranch_execz .LBB75_6
; %bb.5:
	v_mov_b32_e32 v1, 0
	ds_write_b32 v1, v1 offset:192
.LBB75_6:
	s_or_b64 exec, exec, s[6:7]
	v_mov_b32_e32 v1, 0
	v_lshl_add_u32 v31, v0, 3, v1
	s_waitcnt lgkmcnt(0)
	; wave barrier
	s_waitcnt lgkmcnt(0)
	buffer_load_dword v1, v31, s[0:3], 0 offen
	buffer_load_dword v26, v31, s[0:3], 0 offen offset:4
	s_waitcnt vmcnt(1)
	v_cmp_eq_f32_e32 vcc, 0, v1
	s_waitcnt vmcnt(0)
	v_cmp_eq_f32_e64 s[6:7], 0, v26
	s_and_b64 s[6:7], vcc, s[6:7]
	s_and_saveexec_b64 s[12:13], s[6:7]
	s_cbranch_execz .LBB75_10
; %bb.7:
	v_mov_b32_e32 v1, 0
	ds_read_b32 v27, v1 offset:192
	v_add_u32_e32 v26, 1, v0
	s_waitcnt lgkmcnt(0)
	v_readfirstlane_b32 s6, v27
	s_cmp_eq_u32 s6, 0
	s_cselect_b64 s[18:19], -1, 0
	v_cmp_gt_i32_e32 vcc, s6, v26
	s_or_b64 s[18:19], s[18:19], vcc
	s_and_b64 exec, exec, s[18:19]
	s_cbranch_execz .LBB75_10
; %bb.8:
	s_mov_b64 s[18:19], 0
	v_mov_b32_e32 v27, s6
.LBB75_9:                               ; =>This Inner Loop Header: Depth=1
	ds_cmpst_rtn_b32 v27, v1, v27, v26 offset:192
	s_waitcnt lgkmcnt(0)
	v_cmp_ne_u32_e32 vcc, 0, v27
	v_cmp_le_i32_e64 s[6:7], v27, v26
	s_and_b64 s[6:7], vcc, s[6:7]
	s_and_b64 s[6:7], exec, s[6:7]
	s_or_b64 s[18:19], s[6:7], s[18:19]
	s_andn2_b64 exec, exec, s[18:19]
	s_cbranch_execnz .LBB75_9
.LBB75_10:
	s_or_b64 exec, exec, s[12:13]
	v_mov_b32_e32 v26, 0
	s_waitcnt lgkmcnt(0)
	; wave barrier
	ds_read_b32 v1, v26 offset:192
	s_and_saveexec_b64 s[6:7], s[4:5]
	s_cbranch_execz .LBB75_12
; %bb.11:
	s_lshl_b64 s[12:13], s[8:9], 2
	s_add_u32 s12, s14, s12
	s_addc_u32 s13, s15, s13
	s_waitcnt lgkmcnt(0)
	global_store_dword v26, v1, s[12:13]
.LBB75_12:
	s_or_b64 exec, exec, s[6:7]
	s_waitcnt lgkmcnt(0)
	v_cmp_ne_u32_e32 vcc, 0, v1
	s_mov_b64 s[6:7], 0
	s_cbranch_vccnz .LBB75_60
; %bb.13:
	buffer_load_dword v32, v31, s[0:3], 0 offen offset:4
	buffer_load_dword v27, v31, s[0:3], 0 offen
	s_waitcnt vmcnt(1)
	v_cmp_gt_f32_e32 vcc, 0, v32
	v_cndmask_b32_e64 v1, v32, -v32, vcc
	s_waitcnt vmcnt(0)
	v_cmp_gt_f32_e32 vcc, 0, v27
	v_cndmask_b32_e64 v26, v27, -v27, vcc
	v_cmp_ngt_f32_e32 vcc, v26, v1
                                        ; implicit-def: $vgpr1
                                        ; implicit-def: $vgpr26
	s_and_saveexec_b64 s[6:7], vcc
	s_xor_b64 s[6:7], exec, s[6:7]
                                        ; implicit-def: $vgpr28_vgpr29
	s_cbranch_execz .LBB75_15
; %bb.14:
	v_div_scale_f32 v1, s[12:13], v32, v32, v27
	v_rcp_f32_e32 v26, v1
	v_div_scale_f32 v28, vcc, v27, v32, v27
	v_fma_f32 v29, -v1, v26, 1.0
	v_fmac_f32_e32 v26, v29, v26
	v_mul_f32_e32 v29, v28, v26
	v_fma_f32 v33, -v1, v29, v28
	v_fmac_f32_e32 v29, v33, v26
	v_fma_f32 v1, -v1, v29, v28
	v_div_fmas_f32 v1, v1, v26, v29
	v_div_fixup_f32 v26, v1, v32, v27
	v_fmac_f32_e32 v32, v27, v26
	v_div_scale_f32 v1, s[12:13], v32, v32, -1.0
	v_rcp_f32_e32 v27, v1
	v_fma_f32 v28, -v1, v27, 1.0
	v_fmac_f32_e32 v27, v28, v27
	v_div_scale_f32 v28, vcc, -1.0, v32, -1.0
	v_mul_f32_e32 v29, v28, v27
	v_fma_f32 v33, -v1, v29, v28
	v_fmac_f32_e32 v29, v33, v27
	v_fma_f32 v1, -v1, v29, v28
	v_div_fmas_f32 v1, v1, v27, v29
	v_div_fixup_f32 v1, v1, v32, -1.0
	v_mul_f32_e32 v26, v26, v1
	v_xor_b32_e32 v28, 0x80000000, v26
                                        ; implicit-def: $vgpr27
                                        ; implicit-def: $vgpr32
.LBB75_15:
	s_andn2_saveexec_b64 s[6:7], s[6:7]
	s_cbranch_execz .LBB75_17
; %bb.16:
	v_div_scale_f32 v1, s[12:13], v27, v27, v32
	v_rcp_f32_e32 v26, v1
	v_div_scale_f32 v28, vcc, v32, v27, v32
	v_fma_f32 v29, -v1, v26, 1.0
	v_fmac_f32_e32 v26, v29, v26
	v_mul_f32_e32 v29, v28, v26
	v_fma_f32 v33, -v1, v29, v28
	v_fmac_f32_e32 v29, v33, v26
	v_fma_f32 v1, -v1, v29, v28
	v_div_fmas_f32 v1, v1, v26, v29
	v_div_fixup_f32 v1, v1, v27, v32
	v_fmac_f32_e32 v27, v32, v1
	v_div_scale_f32 v26, s[12:13], v27, v27, 1.0
	v_rcp_f32_e32 v28, v26
	v_fma_f32 v29, -v26, v28, 1.0
	v_fmac_f32_e32 v28, v29, v28
	v_div_scale_f32 v29, vcc, 1.0, v27, 1.0
	v_mul_f32_e32 v32, v29, v28
	v_fma_f32 v33, -v26, v32, v29
	v_fmac_f32_e32 v32, v33, v28
	v_fma_f32 v26, -v26, v32, v29
	v_div_fmas_f32 v26, v26, v28, v32
	v_div_fixup_f32 v28, v26, v27, 1.0
	v_xor_b32_e32 v26, 0x80000000, v28
	v_mul_f32_e64 v1, v1, -v28
.LBB75_17:
	s_or_b64 exec, exec, s[6:7]
	buffer_store_dword v1, v31, s[0:3], 0 offen offset:4
	buffer_store_dword v28, v31, s[0:3], 0 offen
	buffer_load_dword v29, off, s[0:3], 0 offset:12
	s_nop 0
	buffer_load_dword v28, off, s[0:3], 0 offset:8
	v_xor_b32_e32 v27, 0x80000000, v1
	v_add_u32_e32 v1, 0x60, v30
	s_waitcnt vmcnt(0)
	ds_write2_b64 v30, v[26:27], v[28:29] offset1:12
	s_waitcnt lgkmcnt(0)
	; wave barrier
	s_waitcnt lgkmcnt(0)
	s_and_saveexec_b64 s[6:7], s[4:5]
	s_cbranch_execz .LBB75_19
; %bb.18:
	buffer_load_dword v32, v31, s[0:3], 0 offen offset:4
	buffer_load_dword v33, v31, s[0:3], 0 offen
	ds_read_b64 v[26:27], v1
	v_mov_b32_e32 v28, 0
	ds_read_b64 v[28:29], v28 offset:8
	s_waitcnt vmcnt(1) lgkmcnt(1)
	v_mul_f32_e32 v34, v27, v32
	v_mul_f32_e32 v32, v26, v32
	s_waitcnt vmcnt(0)
	v_fmac_f32_e32 v32, v27, v33
	v_fma_f32 v26, v26, v33, -v34
	v_add_f32_e32 v27, 0, v32
	v_add_f32_e32 v26, 0, v26
	s_waitcnt lgkmcnt(0)
	v_mul_f32_e32 v32, v27, v29
	v_mul_f32_e32 v29, v26, v29
	v_fma_f32 v26, v26, v28, -v32
	v_fmac_f32_e32 v29, v27, v28
	buffer_store_dword v26, off, s[0:3], 0 offset:8
	buffer_store_dword v29, off, s[0:3], 0 offset:12
.LBB75_19:
	s_or_b64 exec, exec, s[6:7]
	s_waitcnt lgkmcnt(0)
	; wave barrier
	buffer_load_dword v26, off, s[0:3], 0 offset:16
	buffer_load_dword v27, off, s[0:3], 0 offset:20
	v_cmp_gt_u32_e32 vcc, 2, v0
	s_waitcnt vmcnt(0)
	ds_write_b64 v1, v[26:27]
	s_waitcnt lgkmcnt(0)
	; wave barrier
	s_waitcnt lgkmcnt(0)
	s_and_saveexec_b64 s[6:7], vcc
	s_cbranch_execz .LBB75_23
; %bb.20:
	buffer_load_dword v28, v31, s[0:3], 0 offen offset:4
	buffer_load_dword v29, v31, s[0:3], 0 offen
	ds_read_b64 v[26:27], v1
	s_waitcnt vmcnt(1) lgkmcnt(0)
	v_mul_f32_e32 v31, v27, v28
	v_mul_f32_e32 v28, v26, v28
	s_waitcnt vmcnt(0)
	v_fma_f32 v26, v26, v29, -v31
	v_fmac_f32_e32 v28, v27, v29
	v_add_f32_e32 v27, 0, v26
	v_add_f32_e32 v26, 0, v28
	s_and_saveexec_b64 s[12:13], s[4:5]
	s_cbranch_execz .LBB75_22
; %bb.21:
	buffer_load_dword v31, off, s[0:3], 0 offset:12
	buffer_load_dword v32, off, s[0:3], 0 offset:8
	v_mov_b32_e32 v28, 0
	ds_read_b64 v[28:29], v28 offset:104
	s_waitcnt vmcnt(1) lgkmcnt(0)
	v_mul_f32_e32 v33, v28, v31
	v_mul_f32_e32 v31, v29, v31
	s_waitcnt vmcnt(0)
	v_fmac_f32_e32 v33, v29, v32
	v_fma_f32 v28, v28, v32, -v31
	v_add_f32_e32 v26, v26, v33
	v_add_f32_e32 v27, v27, v28
.LBB75_22:
	s_or_b64 exec, exec, s[12:13]
	v_mov_b32_e32 v28, 0
	ds_read_b64 v[28:29], v28 offset:16
	s_waitcnt lgkmcnt(0)
	v_mul_f32_e32 v31, v26, v29
	v_mul_f32_e32 v29, v27, v29
	v_fma_f32 v27, v27, v28, -v31
	v_fmac_f32_e32 v29, v26, v28
	buffer_store_dword v27, off, s[0:3], 0 offset:16
	buffer_store_dword v29, off, s[0:3], 0 offset:20
.LBB75_23:
	s_or_b64 exec, exec, s[6:7]
	s_waitcnt lgkmcnt(0)
	; wave barrier
	buffer_load_dword v26, off, s[0:3], 0 offset:24
	buffer_load_dword v27, off, s[0:3], 0 offset:28
	v_cmp_gt_u32_e32 vcc, 3, v0
	s_waitcnt vmcnt(0)
	ds_write_b64 v1, v[26:27]
	v_add_u32_e32 v26, -1, v0
	s_waitcnt lgkmcnt(0)
	; wave barrier
	s_waitcnt lgkmcnt(0)
	s_and_saveexec_b64 s[4:5], vcc
	s_cbranch_execz .LBB75_27
; %bb.24:
	v_add_u32_e32 v28, -1, v0
	v_add_u32_e32 v29, 0x60, v30
	v_add_u32_e32 v31, 0, v30
	s_mov_b64 s[6:7], 0
	v_mov_b32_e32 v27, 0
	v_mov_b32_e32 v32, 0
.LBB75_25:                              ; =>This Inner Loop Header: Depth=1
	buffer_load_dword v33, v31, s[0:3], 0 offen offset:4
	buffer_load_dword v36, v31, s[0:3], 0 offen
	ds_read_b64 v[34:35], v29
	v_add_u32_e32 v28, 1, v28
	v_cmp_lt_u32_e32 vcc, 1, v28
	v_add_u32_e32 v29, 8, v29
	v_add_u32_e32 v31, 8, v31
	s_or_b64 s[6:7], vcc, s[6:7]
	s_waitcnt vmcnt(1) lgkmcnt(0)
	v_mul_f32_e32 v37, v35, v33
	v_mul_f32_e32 v33, v34, v33
	s_waitcnt vmcnt(0)
	v_fma_f32 v34, v34, v36, -v37
	v_fmac_f32_e32 v33, v35, v36
	v_add_f32_e32 v32, v32, v34
	v_add_f32_e32 v27, v27, v33
	s_andn2_b64 exec, exec, s[6:7]
	s_cbranch_execnz .LBB75_25
; %bb.26:
	s_or_b64 exec, exec, s[6:7]
	v_mov_b32_e32 v28, 0
	ds_read_b64 v[28:29], v28 offset:24
	s_waitcnt lgkmcnt(0)
	v_mul_f32_e32 v31, v27, v29
	v_mul_f32_e32 v29, v32, v29
	v_fma_f32 v31, v32, v28, -v31
	v_fmac_f32_e32 v29, v27, v28
	buffer_store_dword v31, off, s[0:3], 0 offset:24
	buffer_store_dword v29, off, s[0:3], 0 offset:28
.LBB75_27:
	s_or_b64 exec, exec, s[4:5]
	s_waitcnt lgkmcnt(0)
	; wave barrier
	buffer_load_dword v28, off, s[0:3], 0 offset:32
	buffer_load_dword v29, off, s[0:3], 0 offset:36
	v_cmp_gt_u32_e32 vcc, 4, v0
	s_waitcnt vmcnt(0)
	ds_write_b64 v1, v[28:29]
	s_waitcnt lgkmcnt(0)
	; wave barrier
	s_waitcnt lgkmcnt(0)
	s_and_saveexec_b64 s[4:5], vcc
	s_cbranch_execz .LBB75_31
; %bb.28:
	v_add_u32_e32 v28, -1, v0
	v_add_u32_e32 v29, 0x60, v30
	v_add_u32_e32 v31, 0, v30
	s_mov_b64 s[6:7], 0
	v_mov_b32_e32 v27, 0
	v_mov_b32_e32 v32, 0
.LBB75_29:                              ; =>This Inner Loop Header: Depth=1
	buffer_load_dword v33, v31, s[0:3], 0 offen offset:4
	buffer_load_dword v36, v31, s[0:3], 0 offen
	ds_read_b64 v[34:35], v29
	v_add_u32_e32 v28, 1, v28
	v_cmp_lt_u32_e32 vcc, 2, v28
	v_add_u32_e32 v29, 8, v29
	v_add_u32_e32 v31, 8, v31
	s_or_b64 s[6:7], vcc, s[6:7]
	s_waitcnt vmcnt(1) lgkmcnt(0)
	v_mul_f32_e32 v37, v35, v33
	v_mul_f32_e32 v33, v34, v33
	s_waitcnt vmcnt(0)
	v_fma_f32 v34, v34, v36, -v37
	v_fmac_f32_e32 v33, v35, v36
	v_add_f32_e32 v32, v32, v34
	v_add_f32_e32 v27, v27, v33
	s_andn2_b64 exec, exec, s[6:7]
	s_cbranch_execnz .LBB75_29
; %bb.30:
	s_or_b64 exec, exec, s[6:7]
	v_mov_b32_e32 v28, 0
	ds_read_b64 v[28:29], v28 offset:32
	s_waitcnt lgkmcnt(0)
	v_mul_f32_e32 v31, v27, v29
	v_mul_f32_e32 v29, v32, v29
	v_fma_f32 v31, v32, v28, -v31
	v_fmac_f32_e32 v29, v27, v28
	buffer_store_dword v31, off, s[0:3], 0 offset:32
	buffer_store_dword v29, off, s[0:3], 0 offset:36
.LBB75_31:
	s_or_b64 exec, exec, s[4:5]
	s_waitcnt lgkmcnt(0)
	; wave barrier
	buffer_load_dword v28, off, s[0:3], 0 offset:40
	buffer_load_dword v29, off, s[0:3], 0 offset:44
	v_cmp_gt_u32_e32 vcc, 5, v0
	s_waitcnt vmcnt(0)
	ds_write_b64 v1, v[28:29]
	;; [unrolled: 51-line block ×7, first 2 shown]
	s_waitcnt lgkmcnt(0)
	; wave barrier
	s_waitcnt lgkmcnt(0)
	s_and_saveexec_b64 s[4:5], vcc
	s_cbranch_execz .LBB75_55
; %bb.52:
	v_add_u32_e32 v28, -1, v0
	v_add_u32_e32 v29, 0x60, v30
	v_add_u32_e32 v31, 0, v30
	s_mov_b64 s[6:7], 0
	v_mov_b32_e32 v27, 0
	v_mov_b32_e32 v32, 0
.LBB75_53:                              ; =>This Inner Loop Header: Depth=1
	buffer_load_dword v33, v31, s[0:3], 0 offen offset:4
	buffer_load_dword v36, v31, s[0:3], 0 offen
	ds_read_b64 v[34:35], v29
	v_add_u32_e32 v28, 1, v28
	v_cmp_lt_u32_e32 vcc, 8, v28
	v_add_u32_e32 v29, 8, v29
	v_add_u32_e32 v31, 8, v31
	s_or_b64 s[6:7], vcc, s[6:7]
	s_waitcnt vmcnt(1) lgkmcnt(0)
	v_mul_f32_e32 v37, v35, v33
	v_mul_f32_e32 v33, v34, v33
	s_waitcnt vmcnt(0)
	v_fma_f32 v34, v34, v36, -v37
	v_fmac_f32_e32 v33, v35, v36
	v_add_f32_e32 v32, v32, v34
	v_add_f32_e32 v27, v27, v33
	s_andn2_b64 exec, exec, s[6:7]
	s_cbranch_execnz .LBB75_53
; %bb.54:
	s_or_b64 exec, exec, s[6:7]
	v_mov_b32_e32 v28, 0
	ds_read_b64 v[28:29], v28 offset:80
	s_waitcnt lgkmcnt(0)
	v_mul_f32_e32 v31, v27, v29
	v_mul_f32_e32 v29, v32, v29
	v_fma_f32 v31, v32, v28, -v31
	v_fmac_f32_e32 v29, v27, v28
	buffer_store_dword v31, off, s[0:3], 0 offset:80
	buffer_store_dword v29, off, s[0:3], 0 offset:84
.LBB75_55:
	s_or_b64 exec, exec, s[4:5]
	s_waitcnt lgkmcnt(0)
	; wave barrier
	buffer_load_dword v28, off, s[0:3], 0 offset:88
	buffer_load_dword v29, off, s[0:3], 0 offset:92
	v_cmp_ne_u32_e32 vcc, 11, v0
	s_waitcnt vmcnt(0)
	ds_write_b64 v1, v[28:29]
	s_waitcnt lgkmcnt(0)
	; wave barrier
	s_waitcnt lgkmcnt(0)
	s_and_saveexec_b64 s[4:5], vcc
	s_cbranch_execz .LBB75_59
; %bb.56:
	v_add_u32_e32 v27, 0x60, v30
	v_add_u32_e32 v28, 0, v30
	s_mov_b64 s[6:7], 0
	v_mov_b32_e32 v1, 0
	v_mov_b32_e32 v29, 0
.LBB75_57:                              ; =>This Inner Loop Header: Depth=1
	buffer_load_dword v32, v28, s[0:3], 0 offen offset:4
	buffer_load_dword v33, v28, s[0:3], 0 offen
	ds_read_b64 v[30:31], v27
	v_add_u32_e32 v26, 1, v26
	v_cmp_lt_u32_e32 vcc, 9, v26
	v_add_u32_e32 v27, 8, v27
	v_add_u32_e32 v28, 8, v28
	s_or_b64 s[6:7], vcc, s[6:7]
	s_waitcnt vmcnt(1) lgkmcnt(0)
	v_mul_f32_e32 v34, v31, v32
	v_mul_f32_e32 v32, v30, v32
	s_waitcnt vmcnt(0)
	v_fma_f32 v30, v30, v33, -v34
	v_fmac_f32_e32 v32, v31, v33
	v_add_f32_e32 v29, v29, v30
	v_add_f32_e32 v1, v1, v32
	s_andn2_b64 exec, exec, s[6:7]
	s_cbranch_execnz .LBB75_57
; %bb.58:
	s_or_b64 exec, exec, s[6:7]
	v_mov_b32_e32 v26, 0
	ds_read_b64 v[26:27], v26 offset:88
	s_waitcnt lgkmcnt(0)
	v_mul_f32_e32 v28, v1, v27
	v_mul_f32_e32 v27, v29, v27
	v_fma_f32 v28, v29, v26, -v28
	v_fmac_f32_e32 v27, v1, v26
	buffer_store_dword v28, off, s[0:3], 0 offset:88
	buffer_store_dword v27, off, s[0:3], 0 offset:92
.LBB75_59:
	s_or_b64 exec, exec, s[4:5]
	s_mov_b64 s[6:7], -1
	s_waitcnt lgkmcnt(0)
	; wave barrier
.LBB75_60:
	s_and_b64 vcc, exec, s[6:7]
	s_cbranch_vccz .LBB75_62
; %bb.61:
	s_lshl_b64 s[4:5], s[8:9], 2
	s_add_u32 s4, s14, s4
	s_addc_u32 s5, s15, s5
	v_mov_b32_e32 v1, 0
	global_load_dword v1, v1, s[4:5]
	s_waitcnt vmcnt(0)
	v_cmp_ne_u32_e32 vcc, 0, v1
	s_cbranch_vccz .LBB75_63
.LBB75_62:
	s_endpgm
.LBB75_63:
	v_mov_b32_e32 v1, 0x60
	v_lshl_add_u32 v1, v0, 3, v1
	v_cmp_eq_u32_e32 vcc, 11, v0
	s_and_saveexec_b64 s[4:5], vcc
	s_cbranch_execz .LBB75_65
; %bb.64:
	buffer_load_dword v26, off, s[0:3], 0 offset:80
	buffer_load_dword v27, off, s[0:3], 0 offset:84
	v_mov_b32_e32 v28, 0
	buffer_store_dword v28, off, s[0:3], 0 offset:80
	buffer_store_dword v28, off, s[0:3], 0 offset:84
	s_waitcnt vmcnt(2)
	ds_write_b64 v1, v[26:27]
.LBB75_65:
	s_or_b64 exec, exec, s[4:5]
	s_waitcnt lgkmcnt(0)
	; wave barrier
	s_waitcnt lgkmcnt(0)
	buffer_load_dword v29, off, s[0:3], 0 offset:92
	buffer_load_dword v28, off, s[0:3], 0 offset:88
	;; [unrolled: 1-line block ×4, first 2 shown]
	v_mov_b32_e32 v26, 0
	ds_read_b64 v[32:33], v26 offset:184
	v_cmp_lt_u32_e32 vcc, 9, v0
	s_waitcnt vmcnt(3)
	v_mov_b32_e32 v34, v29
	s_waitcnt lgkmcnt(0)
	v_pk_mul_f32 v[34:35], v[32:33], v[34:35] op_sel_hi:[1,0]
	s_waitcnt vmcnt(2)
	v_pk_fma_f32 v[36:37], v[32:33], v[28:29], v[34:35] op_sel:[0,0,1] op_sel_hi:[1,1,0] neg_lo:[0,0,1] neg_hi:[0,0,1]
	v_pk_fma_f32 v[28:29], v[32:33], v[28:29], v[34:35] op_sel:[0,0,1] op_sel_hi:[1,0,0]
	v_mov_b32_e32 v37, v29
	v_pk_add_f32 v[28:29], v[36:37], 0 op_sel_hi:[1,0]
	s_waitcnt vmcnt(0)
	v_pk_add_f32 v[28:29], v[30:31], v[28:29] neg_lo:[0,1] neg_hi:[0,1]
	buffer_store_dword v28, off, s[0:3], 0 offset:80
	buffer_store_dword v29, off, s[0:3], 0 offset:84
	s_and_saveexec_b64 s[4:5], vcc
	s_cbranch_execz .LBB75_67
; %bb.66:
	buffer_load_dword v28, off, s[0:3], 0 offset:72
	buffer_load_dword v29, off, s[0:3], 0 offset:76
	s_waitcnt vmcnt(0)
	ds_write_b64 v1, v[28:29]
	buffer_store_dword v26, off, s[0:3], 0 offset:72
	buffer_store_dword v26, off, s[0:3], 0 offset:76
.LBB75_67:
	s_or_b64 exec, exec, s[4:5]
	s_waitcnt lgkmcnt(0)
	; wave barrier
	s_waitcnt lgkmcnt(0)
	buffer_load_dword v31, off, s[0:3], 0 offset:84
	buffer_load_dword v33, off, s[0:3], 0 offset:92
	;; [unrolled: 1-line block ×6, first 2 shown]
	ds_read_b128 v[26:29], v26 offset:176
	v_cmp_lt_u32_e32 vcc, 8, v0
	s_waitcnt vmcnt(5)
	v_mov_b32_e32 v36, v31
	s_waitcnt vmcnt(4)
	v_mov_b32_e32 v38, v33
	s_waitcnt lgkmcnt(0)
	v_pk_mul_f32 v[36:37], v[26:27], v[36:37] op_sel_hi:[1,0]
	v_pk_mul_f32 v[38:39], v[28:29], v[38:39] op_sel_hi:[1,0]
	s_waitcnt vmcnt(3)
	v_pk_fma_f32 v[40:41], v[26:27], v[30:31], v[36:37] op_sel:[0,0,1] op_sel_hi:[1,1,0] neg_lo:[0,0,1] neg_hi:[0,0,1]
	v_pk_fma_f32 v[26:27], v[26:27], v[30:31], v[36:37] op_sel:[0,0,1] op_sel_hi:[1,0,0]
	s_waitcnt vmcnt(2)
	v_pk_fma_f32 v[30:31], v[28:29], v[32:33], v[38:39] op_sel:[0,0,1] op_sel_hi:[1,1,0] neg_lo:[0,0,1] neg_hi:[0,0,1]
	v_pk_fma_f32 v[28:29], v[28:29], v[32:33], v[38:39] op_sel:[0,0,1] op_sel_hi:[1,0,0]
	v_mov_b32_e32 v41, v27
	v_mov_b32_e32 v31, v29
	v_pk_add_f32 v[26:27], v[40:41], 0 op_sel_hi:[1,0]
	v_pk_add_f32 v[26:27], v[26:27], v[30:31]
	s_waitcnt vmcnt(0)
	v_pk_add_f32 v[26:27], v[34:35], v[26:27] neg_lo:[0,1] neg_hi:[0,1]
	buffer_store_dword v26, off, s[0:3], 0 offset:72
	buffer_store_dword v27, off, s[0:3], 0 offset:76
	s_and_saveexec_b64 s[4:5], vcc
	s_cbranch_execz .LBB75_69
; %bb.68:
	buffer_load_dword v26, off, s[0:3], 0 offset:64
	buffer_load_dword v27, off, s[0:3], 0 offset:68
	v_mov_b32_e32 v28, 0
	buffer_store_dword v28, off, s[0:3], 0 offset:64
	buffer_store_dword v28, off, s[0:3], 0 offset:68
	s_waitcnt vmcnt(2)
	ds_write_b64 v1, v[26:27]
.LBB75_69:
	s_or_b64 exec, exec, s[4:5]
	s_waitcnt lgkmcnt(0)
	; wave barrier
	s_waitcnt lgkmcnt(0)
	buffer_load_dword v33, off, s[0:3], 0 offset:76
	buffer_load_dword v35, off, s[0:3], 0 offset:84
	;; [unrolled: 1-line block ×8, first 2 shown]
	v_mov_b32_e32 v26, 0
	ds_read2_b64 v[28:31], v26 offset0:21 offset1:22
	ds_read_b64 v[40:41], v26 offset:184
	v_cmp_lt_u32_e32 vcc, 7, v0
	s_waitcnt vmcnt(7)
	v_mov_b32_e32 v42, v33
	s_waitcnt vmcnt(6)
	v_mov_b32_e32 v44, v35
	s_waitcnt lgkmcnt(1)
	v_pk_mul_f32 v[42:43], v[28:29], v[42:43] op_sel_hi:[1,0]
	s_waitcnt vmcnt(5)
	v_mov_b32_e32 v46, v37
	v_pk_mul_f32 v[44:45], v[30:31], v[44:45] op_sel_hi:[1,0]
	s_waitcnt vmcnt(4)
	v_pk_fma_f32 v[48:49], v[28:29], v[32:33], v[42:43] op_sel:[0,0,1] op_sel_hi:[1,1,0] neg_lo:[0,0,1] neg_hi:[0,0,1]
	v_pk_fma_f32 v[28:29], v[28:29], v[32:33], v[42:43] op_sel:[0,0,1] op_sel_hi:[1,0,0]
	s_waitcnt lgkmcnt(0)
	v_pk_mul_f32 v[46:47], v[40:41], v[46:47] op_sel_hi:[1,0]
	s_waitcnt vmcnt(3)
	v_pk_fma_f32 v[32:33], v[30:31], v[34:35], v[44:45] op_sel:[0,0,1] op_sel_hi:[1,1,0] neg_lo:[0,0,1] neg_hi:[0,0,1]
	v_pk_fma_f32 v[30:31], v[30:31], v[34:35], v[44:45] op_sel:[0,0,1] op_sel_hi:[1,0,0]
	v_mov_b32_e32 v49, v29
	s_waitcnt vmcnt(2)
	v_pk_fma_f32 v[34:35], v[40:41], v[36:37], v[46:47] op_sel:[0,0,1] op_sel_hi:[1,1,0] neg_lo:[0,0,1] neg_hi:[0,0,1]
	v_pk_fma_f32 v[36:37], v[40:41], v[36:37], v[46:47] op_sel:[0,0,1] op_sel_hi:[1,0,0]
	v_mov_b32_e32 v33, v31
	v_pk_add_f32 v[28:29], v[48:49], 0 op_sel_hi:[1,0]
	v_mov_b32_e32 v35, v37
	v_pk_add_f32 v[28:29], v[28:29], v[32:33]
	v_pk_add_f32 v[28:29], v[28:29], v[34:35]
	s_waitcnt vmcnt(0)
	v_pk_add_f32 v[28:29], v[38:39], v[28:29] neg_lo:[0,1] neg_hi:[0,1]
	buffer_store_dword v28, off, s[0:3], 0 offset:64
	buffer_store_dword v29, off, s[0:3], 0 offset:68
	s_and_saveexec_b64 s[4:5], vcc
	s_cbranch_execz .LBB75_71
; %bb.70:
	buffer_load_dword v28, off, s[0:3], 0 offset:56
	buffer_load_dword v29, off, s[0:3], 0 offset:60
	s_waitcnt vmcnt(0)
	ds_write_b64 v1, v[28:29]
	buffer_store_dword v26, off, s[0:3], 0 offset:56
	buffer_store_dword v26, off, s[0:3], 0 offset:60
.LBB75_71:
	s_or_b64 exec, exec, s[4:5]
	s_waitcnt lgkmcnt(0)
	; wave barrier
	s_waitcnt lgkmcnt(0)
	buffer_load_dword v37, off, s[0:3], 0 offset:68
	buffer_load_dword v39, off, s[0:3], 0 offset:76
	;; [unrolled: 1-line block ×10, first 2 shown]
	ds_read_b128 v[28:31], v26 offset:160
	ds_read_b128 v[32:35], v26 offset:176
	v_cmp_lt_u32_e32 vcc, 6, v0
	s_waitcnt vmcnt(9)
	v_mov_b32_e32 v26, v37
	s_waitcnt vmcnt(8)
	v_mov_b32_e32 v46, v39
	s_waitcnt lgkmcnt(1)
	v_pk_mul_f32 v[26:27], v[28:29], v[26:27] op_sel_hi:[1,0]
	s_waitcnt vmcnt(7)
	v_mov_b32_e32 v48, v41
	v_pk_mul_f32 v[46:47], v[30:31], v[46:47] op_sel_hi:[1,0]
	s_waitcnt vmcnt(5)
	v_pk_fma_f32 v[52:53], v[28:29], v[36:37], v[26:27] op_sel:[0,0,1] op_sel_hi:[1,1,0] neg_lo:[0,0,1] neg_hi:[0,0,1]
	v_pk_fma_f32 v[26:27], v[28:29], v[36:37], v[26:27] op_sel:[0,0,1] op_sel_hi:[1,0,0]
	v_mov_b32_e32 v50, v43
	s_waitcnt lgkmcnt(0)
	v_pk_mul_f32 v[48:49], v[32:33], v[48:49] op_sel_hi:[1,0]
	s_waitcnt vmcnt(4)
	v_pk_fma_f32 v[28:29], v[30:31], v[38:39], v[46:47] op_sel:[0,0,1] op_sel_hi:[1,1,0] neg_lo:[0,0,1] neg_hi:[0,0,1]
	v_pk_fma_f32 v[30:31], v[30:31], v[38:39], v[46:47] op_sel:[0,0,1] op_sel_hi:[1,0,0]
	v_mov_b32_e32 v53, v27
	v_pk_mul_f32 v[50:51], v[34:35], v[50:51] op_sel_hi:[1,0]
	s_waitcnt vmcnt(3)
	v_pk_fma_f32 v[36:37], v[32:33], v[40:41], v[48:49] op_sel:[0,0,1] op_sel_hi:[1,1,0] neg_lo:[0,0,1] neg_hi:[0,0,1]
	v_pk_fma_f32 v[32:33], v[32:33], v[40:41], v[48:49] op_sel:[0,0,1] op_sel_hi:[1,0,0]
	v_mov_b32_e32 v29, v31
	v_pk_add_f32 v[26:27], v[52:53], 0 op_sel_hi:[1,0]
	s_waitcnt vmcnt(2)
	v_pk_fma_f32 v[38:39], v[34:35], v[42:43], v[50:51] op_sel:[0,0,1] op_sel_hi:[1,1,0] neg_lo:[0,0,1] neg_hi:[0,0,1]
	v_pk_fma_f32 v[34:35], v[34:35], v[42:43], v[50:51] op_sel:[0,0,1] op_sel_hi:[1,0,0]
	v_mov_b32_e32 v37, v33
	v_pk_add_f32 v[26:27], v[26:27], v[28:29]
	v_mov_b32_e32 v39, v35
	v_pk_add_f32 v[26:27], v[26:27], v[36:37]
	v_pk_add_f32 v[26:27], v[26:27], v[38:39]
	s_waitcnt vmcnt(0)
	v_pk_add_f32 v[26:27], v[44:45], v[26:27] neg_lo:[0,1] neg_hi:[0,1]
	buffer_store_dword v26, off, s[0:3], 0 offset:56
	buffer_store_dword v27, off, s[0:3], 0 offset:60
	s_and_saveexec_b64 s[4:5], vcc
	s_cbranch_execz .LBB75_73
; %bb.72:
	buffer_load_dword v26, off, s[0:3], 0 offset:48
	buffer_load_dword v27, off, s[0:3], 0 offset:52
	v_mov_b32_e32 v28, 0
	buffer_store_dword v28, off, s[0:3], 0 offset:48
	buffer_store_dword v28, off, s[0:3], 0 offset:52
	s_waitcnt vmcnt(2)
	ds_write_b64 v1, v[26:27]
.LBB75_73:
	s_or_b64 exec, exec, s[4:5]
	s_waitcnt lgkmcnt(0)
	; wave barrier
	s_waitcnt lgkmcnt(0)
	buffer_load_dword v37, off, s[0:3], 0 offset:60
	buffer_load_dword v39, off, s[0:3], 0 offset:68
	;; [unrolled: 1-line block ×12, first 2 shown]
	v_mov_b32_e32 v26, 0
	ds_read2_b64 v[28:31], v26 offset0:19 offset1:20
	ds_read2_b64 v[32:35], v26 offset0:21 offset1:22
	ds_read_b64 v[48:49], v26 offset:184
	v_cmp_lt_u32_e32 vcc, 5, v0
	s_waitcnt vmcnt(11)
	v_mov_b32_e32 v50, v37
	s_waitcnt vmcnt(10)
	v_mov_b32_e32 v52, v39
	s_waitcnt lgkmcnt(2)
	v_pk_mul_f32 v[50:51], v[28:29], v[50:51] op_sel_hi:[1,0]
	s_waitcnt vmcnt(9)
	v_mov_b32_e32 v54, v41
	v_pk_mul_f32 v[52:53], v[30:31], v[52:53] op_sel_hi:[1,0]
	s_waitcnt vmcnt(6)
	v_pk_fma_f32 v[60:61], v[28:29], v[36:37], v[50:51] op_sel:[0,0,1] op_sel_hi:[1,1,0] neg_lo:[0,0,1] neg_hi:[0,0,1]
	v_pk_fma_f32 v[28:29], v[28:29], v[36:37], v[50:51] op_sel:[0,0,1] op_sel_hi:[1,0,0]
	v_mov_b32_e32 v56, v43
	s_waitcnt lgkmcnt(1)
	v_pk_mul_f32 v[54:55], v[32:33], v[54:55] op_sel_hi:[1,0]
	s_waitcnt vmcnt(5)
	v_pk_fma_f32 v[36:37], v[30:31], v[38:39], v[52:53] op_sel:[0,0,1] op_sel_hi:[1,1,0] neg_lo:[0,0,1] neg_hi:[0,0,1]
	v_pk_fma_f32 v[30:31], v[30:31], v[38:39], v[52:53] op_sel:[0,0,1] op_sel_hi:[1,0,0]
	v_mov_b32_e32 v61, v29
	v_mov_b32_e32 v58, v45
	v_pk_mul_f32 v[56:57], v[34:35], v[56:57] op_sel_hi:[1,0]
	s_waitcnt vmcnt(4)
	v_pk_fma_f32 v[38:39], v[32:33], v[40:41], v[54:55] op_sel:[0,0,1] op_sel_hi:[1,1,0] neg_lo:[0,0,1] neg_hi:[0,0,1]
	v_pk_fma_f32 v[32:33], v[32:33], v[40:41], v[54:55] op_sel:[0,0,1] op_sel_hi:[1,0,0]
	v_mov_b32_e32 v37, v31
	v_pk_add_f32 v[28:29], v[60:61], 0 op_sel_hi:[1,0]
	s_waitcnt lgkmcnt(0)
	v_pk_mul_f32 v[58:59], v[48:49], v[58:59] op_sel_hi:[1,0]
	s_waitcnt vmcnt(3)
	v_pk_fma_f32 v[40:41], v[34:35], v[42:43], v[56:57] op_sel:[0,0,1] op_sel_hi:[1,1,0] neg_lo:[0,0,1] neg_hi:[0,0,1]
	v_pk_fma_f32 v[34:35], v[34:35], v[42:43], v[56:57] op_sel:[0,0,1] op_sel_hi:[1,0,0]
	v_mov_b32_e32 v39, v33
	v_pk_add_f32 v[28:29], v[28:29], v[36:37]
	s_waitcnt vmcnt(2)
	v_pk_fma_f32 v[42:43], v[48:49], v[44:45], v[58:59] op_sel:[0,0,1] op_sel_hi:[1,1,0] neg_lo:[0,0,1] neg_hi:[0,0,1]
	v_pk_fma_f32 v[44:45], v[48:49], v[44:45], v[58:59] op_sel:[0,0,1] op_sel_hi:[1,0,0]
	v_mov_b32_e32 v41, v35
	v_pk_add_f32 v[28:29], v[28:29], v[38:39]
	v_mov_b32_e32 v43, v45
	v_pk_add_f32 v[28:29], v[28:29], v[40:41]
	v_pk_add_f32 v[28:29], v[28:29], v[42:43]
	s_waitcnt vmcnt(0)
	v_pk_add_f32 v[28:29], v[46:47], v[28:29] neg_lo:[0,1] neg_hi:[0,1]
	buffer_store_dword v28, off, s[0:3], 0 offset:48
	buffer_store_dword v29, off, s[0:3], 0 offset:52
	s_and_saveexec_b64 s[4:5], vcc
	s_cbranch_execz .LBB75_75
; %bb.74:
	buffer_load_dword v28, off, s[0:3], 0 offset:40
	buffer_load_dword v29, off, s[0:3], 0 offset:44
	s_waitcnt vmcnt(0)
	ds_write_b64 v1, v[28:29]
	buffer_store_dword v26, off, s[0:3], 0 offset:40
	buffer_store_dword v26, off, s[0:3], 0 offset:44
.LBB75_75:
	s_or_b64 exec, exec, s[4:5]
	s_waitcnt lgkmcnt(0)
	; wave barrier
	s_waitcnt lgkmcnt(0)
	buffer_load_dword v41, off, s[0:3], 0 offset:52
	buffer_load_dword v43, off, s[0:3], 0 offset:60
	;; [unrolled: 1-line block ×14, first 2 shown]
	ds_read_b128 v[28:31], v26 offset:144
	ds_read_b128 v[32:35], v26 offset:160
	;; [unrolled: 1-line block ×3, first 2 shown]
	v_cmp_lt_u32_e32 vcc, 4, v0
	s_waitcnt vmcnt(13)
	v_mov_b32_e32 v26, v41
	s_waitcnt vmcnt(12)
	v_mov_b32_e32 v54, v43
	s_waitcnt lgkmcnt(2)
	v_pk_mul_f32 v[26:27], v[28:29], v[26:27] op_sel_hi:[1,0]
	s_waitcnt vmcnt(11)
	v_mov_b32_e32 v56, v45
	v_pk_mul_f32 v[54:55], v[30:31], v[54:55] op_sel_hi:[1,0]
	s_waitcnt vmcnt(10)
	v_mov_b32_e32 v58, v47
	s_waitcnt vmcnt(7)
	v_pk_fma_f32 v[64:65], v[28:29], v[40:41], v[26:27] op_sel:[0,0,1] op_sel_hi:[1,1,0] neg_lo:[0,0,1] neg_hi:[0,0,1]
	v_pk_fma_f32 v[26:27], v[28:29], v[40:41], v[26:27] op_sel:[0,0,1] op_sel_hi:[1,0,0]
	s_waitcnt lgkmcnt(1)
	v_pk_mul_f32 v[56:57], v[32:33], v[56:57] op_sel_hi:[1,0]
	s_waitcnt vmcnt(6)
	v_pk_fma_f32 v[28:29], v[30:31], v[42:43], v[54:55] op_sel:[0,0,1] op_sel_hi:[1,1,0] neg_lo:[0,0,1] neg_hi:[0,0,1]
	v_pk_fma_f32 v[30:31], v[30:31], v[42:43], v[54:55] op_sel:[0,0,1] op_sel_hi:[1,0,0]
	v_mov_b32_e32 v65, v27
	v_mov_b32_e32 v60, v49
	v_pk_mul_f32 v[58:59], v[34:35], v[58:59] op_sel_hi:[1,0]
	s_waitcnt vmcnt(5)
	v_pk_fma_f32 v[40:41], v[32:33], v[44:45], v[56:57] op_sel:[0,0,1] op_sel_hi:[1,1,0] neg_lo:[0,0,1] neg_hi:[0,0,1]
	v_pk_fma_f32 v[32:33], v[32:33], v[44:45], v[56:57] op_sel:[0,0,1] op_sel_hi:[1,0,0]
	v_mov_b32_e32 v29, v31
	v_pk_add_f32 v[26:27], v[64:65], 0 op_sel_hi:[1,0]
	v_mov_b32_e32 v62, v51
	s_waitcnt lgkmcnt(0)
	v_pk_mul_f32 v[60:61], v[36:37], v[60:61] op_sel_hi:[1,0]
	s_waitcnt vmcnt(4)
	v_pk_fma_f32 v[42:43], v[34:35], v[46:47], v[58:59] op_sel:[0,0,1] op_sel_hi:[1,1,0] neg_lo:[0,0,1] neg_hi:[0,0,1]
	v_pk_fma_f32 v[34:35], v[34:35], v[46:47], v[58:59] op_sel:[0,0,1] op_sel_hi:[1,0,0]
	v_mov_b32_e32 v41, v33
	v_pk_add_f32 v[26:27], v[26:27], v[28:29]
	v_pk_mul_f32 v[62:63], v[38:39], v[62:63] op_sel_hi:[1,0]
	s_waitcnt vmcnt(3)
	v_pk_fma_f32 v[44:45], v[36:37], v[48:49], v[60:61] op_sel:[0,0,1] op_sel_hi:[1,1,0] neg_lo:[0,0,1] neg_hi:[0,0,1]
	v_pk_fma_f32 v[36:37], v[36:37], v[48:49], v[60:61] op_sel:[0,0,1] op_sel_hi:[1,0,0]
	v_mov_b32_e32 v43, v35
	v_pk_add_f32 v[26:27], v[26:27], v[40:41]
	s_waitcnt vmcnt(2)
	v_pk_fma_f32 v[46:47], v[38:39], v[50:51], v[62:63] op_sel:[0,0,1] op_sel_hi:[1,1,0] neg_lo:[0,0,1] neg_hi:[0,0,1]
	v_pk_fma_f32 v[38:39], v[38:39], v[50:51], v[62:63] op_sel:[0,0,1] op_sel_hi:[1,0,0]
	v_mov_b32_e32 v45, v37
	v_pk_add_f32 v[26:27], v[26:27], v[42:43]
	v_mov_b32_e32 v47, v39
	v_pk_add_f32 v[26:27], v[26:27], v[44:45]
	v_pk_add_f32 v[26:27], v[26:27], v[46:47]
	s_waitcnt vmcnt(0)
	v_pk_add_f32 v[26:27], v[52:53], v[26:27] neg_lo:[0,1] neg_hi:[0,1]
	buffer_store_dword v26, off, s[0:3], 0 offset:40
	buffer_store_dword v27, off, s[0:3], 0 offset:44
	s_and_saveexec_b64 s[4:5], vcc
	s_cbranch_execz .LBB75_77
; %bb.76:
	buffer_load_dword v26, off, s[0:3], 0 offset:32
	buffer_load_dword v27, off, s[0:3], 0 offset:36
	v_mov_b32_e32 v28, 0
	buffer_store_dword v28, off, s[0:3], 0 offset:32
	buffer_store_dword v28, off, s[0:3], 0 offset:36
	s_waitcnt vmcnt(2)
	ds_write_b64 v1, v[26:27]
.LBB75_77:
	s_or_b64 exec, exec, s[4:5]
	s_waitcnt lgkmcnt(0)
	; wave barrier
	s_waitcnt lgkmcnt(0)
	buffer_load_dword v41, off, s[0:3], 0 offset:44
	buffer_load_dword v43, off, s[0:3], 0 offset:52
	;; [unrolled: 1-line block ×16, first 2 shown]
	v_mov_b32_e32 v26, 0
	ds_read2_b64 v[28:31], v26 offset0:17 offset1:18
	ds_read2_b64 v[32:35], v26 offset0:19 offset1:20
	;; [unrolled: 1-line block ×3, first 2 shown]
	ds_read_b64 v[56:57], v26 offset:184
	v_cmp_lt_u32_e32 vcc, 3, v0
	s_waitcnt vmcnt(15)
	v_mov_b32_e32 v58, v41
	s_waitcnt vmcnt(14)
	v_mov_b32_e32 v60, v43
	s_waitcnt lgkmcnt(3)
	v_pk_mul_f32 v[58:59], v[28:29], v[58:59] op_sel_hi:[1,0]
	s_waitcnt vmcnt(13)
	v_mov_b32_e32 v62, v45
	v_pk_mul_f32 v[60:61], v[30:31], v[60:61] op_sel_hi:[1,0]
	s_waitcnt vmcnt(12)
	v_mov_b32_e32 v64, v47
	s_waitcnt lgkmcnt(2)
	v_pk_mul_f32 v[62:63], v[32:33], v[62:63] op_sel_hi:[1,0]
	s_waitcnt vmcnt(8)
	v_pk_fma_f32 v[72:73], v[28:29], v[40:41], v[58:59] op_sel:[0,0,1] op_sel_hi:[1,1,0] neg_lo:[0,0,1] neg_hi:[0,0,1]
	v_pk_fma_f32 v[28:29], v[28:29], v[40:41], v[58:59] op_sel:[0,0,1] op_sel_hi:[1,0,0]
	s_waitcnt vmcnt(7)
	v_pk_fma_f32 v[40:41], v[30:31], v[42:43], v[60:61] op_sel:[0,0,1] op_sel_hi:[1,1,0] neg_lo:[0,0,1] neg_hi:[0,0,1]
	v_pk_fma_f32 v[30:31], v[30:31], v[42:43], v[60:61] op_sel:[0,0,1] op_sel_hi:[1,0,0]
	v_mov_b32_e32 v73, v29
	v_mov_b32_e32 v66, v49
	v_pk_mul_f32 v[64:65], v[34:35], v[64:65] op_sel_hi:[1,0]
	s_waitcnt vmcnt(6)
	v_pk_fma_f32 v[42:43], v[32:33], v[44:45], v[62:63] op_sel:[0,0,1] op_sel_hi:[1,1,0] neg_lo:[0,0,1] neg_hi:[0,0,1]
	v_pk_fma_f32 v[32:33], v[32:33], v[44:45], v[62:63] op_sel:[0,0,1] op_sel_hi:[1,0,0]
	v_mov_b32_e32 v41, v31
	v_pk_add_f32 v[28:29], v[72:73], 0 op_sel_hi:[1,0]
	v_mov_b32_e32 v68, v51
	s_waitcnt lgkmcnt(1)
	v_pk_mul_f32 v[66:67], v[36:37], v[66:67] op_sel_hi:[1,0]
	s_waitcnt vmcnt(5)
	v_pk_fma_f32 v[44:45], v[34:35], v[46:47], v[64:65] op_sel:[0,0,1] op_sel_hi:[1,1,0] neg_lo:[0,0,1] neg_hi:[0,0,1]
	v_pk_fma_f32 v[34:35], v[34:35], v[46:47], v[64:65] op_sel:[0,0,1] op_sel_hi:[1,0,0]
	v_mov_b32_e32 v43, v33
	v_pk_add_f32 v[28:29], v[28:29], v[40:41]
	v_mov_b32_e32 v70, v53
	v_pk_mul_f32 v[68:69], v[38:39], v[68:69] op_sel_hi:[1,0]
	s_waitcnt vmcnt(4)
	v_pk_fma_f32 v[46:47], v[36:37], v[48:49], v[66:67] op_sel:[0,0,1] op_sel_hi:[1,1,0] neg_lo:[0,0,1] neg_hi:[0,0,1]
	v_pk_fma_f32 v[36:37], v[36:37], v[48:49], v[66:67] op_sel:[0,0,1] op_sel_hi:[1,0,0]
	v_mov_b32_e32 v45, v35
	v_pk_add_f32 v[28:29], v[28:29], v[42:43]
	s_waitcnt lgkmcnt(0)
	v_pk_mul_f32 v[70:71], v[56:57], v[70:71] op_sel_hi:[1,0]
	s_waitcnt vmcnt(3)
	v_pk_fma_f32 v[48:49], v[38:39], v[50:51], v[68:69] op_sel:[0,0,1] op_sel_hi:[1,1,0] neg_lo:[0,0,1] neg_hi:[0,0,1]
	v_pk_fma_f32 v[38:39], v[38:39], v[50:51], v[68:69] op_sel:[0,0,1] op_sel_hi:[1,0,0]
	v_mov_b32_e32 v47, v37
	v_pk_add_f32 v[28:29], v[28:29], v[44:45]
	s_waitcnt vmcnt(2)
	v_pk_fma_f32 v[50:51], v[56:57], v[52:53], v[70:71] op_sel:[0,0,1] op_sel_hi:[1,1,0] neg_lo:[0,0,1] neg_hi:[0,0,1]
	v_pk_fma_f32 v[52:53], v[56:57], v[52:53], v[70:71] op_sel:[0,0,1] op_sel_hi:[1,0,0]
	v_mov_b32_e32 v49, v39
	v_pk_add_f32 v[28:29], v[28:29], v[46:47]
	v_mov_b32_e32 v51, v53
	v_pk_add_f32 v[28:29], v[28:29], v[48:49]
	v_pk_add_f32 v[28:29], v[28:29], v[50:51]
	s_waitcnt vmcnt(0)
	v_pk_add_f32 v[28:29], v[54:55], v[28:29] neg_lo:[0,1] neg_hi:[0,1]
	buffer_store_dword v28, off, s[0:3], 0 offset:32
	buffer_store_dword v29, off, s[0:3], 0 offset:36
	s_and_saveexec_b64 s[4:5], vcc
	s_cbranch_execz .LBB75_79
; %bb.78:
	buffer_load_dword v28, off, s[0:3], 0 offset:24
	buffer_load_dword v29, off, s[0:3], 0 offset:28
	s_waitcnt vmcnt(0)
	ds_write_b64 v1, v[28:29]
	buffer_store_dword v26, off, s[0:3], 0 offset:24
	buffer_store_dword v26, off, s[0:3], 0 offset:28
.LBB75_79:
	s_or_b64 exec, exec, s[4:5]
	s_waitcnt lgkmcnt(0)
	; wave barrier
	s_waitcnt lgkmcnt(0)
	buffer_load_dword v45, off, s[0:3], 0 offset:36
	buffer_load_dword v47, off, s[0:3], 0 offset:44
	;; [unrolled: 1-line block ×18, first 2 shown]
	ds_read_b128 v[28:31], v26 offset:128
	ds_read_b128 v[32:35], v26 offset:144
	ds_read_b128 v[36:39], v26 offset:160
	ds_read_b128 v[40:43], v26 offset:176
	v_cmp_lt_u32_e32 vcc, 2, v0
	s_waitcnt vmcnt(17)
	v_mov_b32_e32 v26, v45
	s_waitcnt vmcnt(16)
	v_mov_b32_e32 v62, v47
	s_waitcnt lgkmcnt(3)
	v_pk_mul_f32 v[26:27], v[28:29], v[26:27] op_sel_hi:[1,0]
	s_waitcnt vmcnt(15)
	v_mov_b32_e32 v64, v49
	v_pk_mul_f32 v[62:63], v[30:31], v[62:63] op_sel_hi:[1,0]
	s_waitcnt vmcnt(14)
	v_mov_b32_e32 v66, v51
	s_waitcnt lgkmcnt(2)
	v_pk_mul_f32 v[64:65], v[32:33], v[64:65] op_sel_hi:[1,0]
	s_waitcnt vmcnt(13)
	v_mov_b32_e32 v68, v53
	s_waitcnt vmcnt(9)
	v_pk_fma_f32 v[76:77], v[28:29], v[44:45], v[26:27] op_sel:[0,0,1] op_sel_hi:[1,1,0] neg_lo:[0,0,1] neg_hi:[0,0,1]
	v_pk_fma_f32 v[26:27], v[28:29], v[44:45], v[26:27] op_sel:[0,0,1] op_sel_hi:[1,0,0]
	s_waitcnt vmcnt(8)
	v_pk_fma_f32 v[28:29], v[30:31], v[46:47], v[62:63] op_sel:[0,0,1] op_sel_hi:[1,1,0] neg_lo:[0,0,1] neg_hi:[0,0,1]
	v_pk_fma_f32 v[30:31], v[30:31], v[46:47], v[62:63] op_sel:[0,0,1] op_sel_hi:[1,0,0]
	v_mov_b32_e32 v77, v27
	v_pk_mul_f32 v[66:67], v[34:35], v[66:67] op_sel_hi:[1,0]
	s_waitcnt vmcnt(7)
	v_pk_fma_f32 v[44:45], v[32:33], v[48:49], v[64:65] op_sel:[0,0,1] op_sel_hi:[1,1,0] neg_lo:[0,0,1] neg_hi:[0,0,1]
	v_pk_fma_f32 v[32:33], v[32:33], v[48:49], v[64:65] op_sel:[0,0,1] op_sel_hi:[1,0,0]
	v_mov_b32_e32 v29, v31
	v_pk_add_f32 v[26:27], v[76:77], 0 op_sel_hi:[1,0]
	v_mov_b32_e32 v70, v55
	s_waitcnt lgkmcnt(1)
	v_pk_mul_f32 v[68:69], v[36:37], v[68:69] op_sel_hi:[1,0]
	s_waitcnt vmcnt(6)
	v_pk_fma_f32 v[46:47], v[34:35], v[50:51], v[66:67] op_sel:[0,0,1] op_sel_hi:[1,1,0] neg_lo:[0,0,1] neg_hi:[0,0,1]
	v_pk_fma_f32 v[34:35], v[34:35], v[50:51], v[66:67] op_sel:[0,0,1] op_sel_hi:[1,0,0]
	v_mov_b32_e32 v45, v33
	v_pk_add_f32 v[26:27], v[26:27], v[28:29]
	v_mov_b32_e32 v72, v57
	v_pk_mul_f32 v[70:71], v[38:39], v[70:71] op_sel_hi:[1,0]
	s_waitcnt vmcnt(5)
	v_pk_fma_f32 v[48:49], v[36:37], v[52:53], v[68:69] op_sel:[0,0,1] op_sel_hi:[1,1,0] neg_lo:[0,0,1] neg_hi:[0,0,1]
	v_pk_fma_f32 v[36:37], v[36:37], v[52:53], v[68:69] op_sel:[0,0,1] op_sel_hi:[1,0,0]
	v_mov_b32_e32 v47, v35
	v_pk_add_f32 v[26:27], v[26:27], v[44:45]
	v_mov_b32_e32 v74, v59
	s_waitcnt lgkmcnt(0)
	v_pk_mul_f32 v[72:73], v[40:41], v[72:73] op_sel_hi:[1,0]
	s_waitcnt vmcnt(4)
	v_pk_fma_f32 v[50:51], v[38:39], v[54:55], v[70:71] op_sel:[0,0,1] op_sel_hi:[1,1,0] neg_lo:[0,0,1] neg_hi:[0,0,1]
	v_pk_fma_f32 v[38:39], v[38:39], v[54:55], v[70:71] op_sel:[0,0,1] op_sel_hi:[1,0,0]
	v_mov_b32_e32 v49, v37
	v_pk_add_f32 v[26:27], v[26:27], v[46:47]
	v_pk_mul_f32 v[74:75], v[42:43], v[74:75] op_sel_hi:[1,0]
	s_waitcnt vmcnt(3)
	v_pk_fma_f32 v[52:53], v[40:41], v[56:57], v[72:73] op_sel:[0,0,1] op_sel_hi:[1,1,0] neg_lo:[0,0,1] neg_hi:[0,0,1]
	v_pk_fma_f32 v[40:41], v[40:41], v[56:57], v[72:73] op_sel:[0,0,1] op_sel_hi:[1,0,0]
	v_mov_b32_e32 v51, v39
	v_pk_add_f32 v[26:27], v[26:27], v[48:49]
	s_waitcnt vmcnt(2)
	v_pk_fma_f32 v[54:55], v[42:43], v[58:59], v[74:75] op_sel:[0,0,1] op_sel_hi:[1,1,0] neg_lo:[0,0,1] neg_hi:[0,0,1]
	v_pk_fma_f32 v[42:43], v[42:43], v[58:59], v[74:75] op_sel:[0,0,1] op_sel_hi:[1,0,0]
	v_mov_b32_e32 v53, v41
	v_pk_add_f32 v[26:27], v[26:27], v[50:51]
	v_mov_b32_e32 v55, v43
	v_pk_add_f32 v[26:27], v[26:27], v[52:53]
	v_pk_add_f32 v[26:27], v[26:27], v[54:55]
	s_waitcnt vmcnt(0)
	v_pk_add_f32 v[26:27], v[60:61], v[26:27] neg_lo:[0,1] neg_hi:[0,1]
	buffer_store_dword v26, off, s[0:3], 0 offset:24
	buffer_store_dword v27, off, s[0:3], 0 offset:28
	s_and_saveexec_b64 s[4:5], vcc
	s_cbranch_execz .LBB75_81
; %bb.80:
	buffer_load_dword v26, off, s[0:3], 0 offset:16
	buffer_load_dword v27, off, s[0:3], 0 offset:20
	v_mov_b32_e32 v28, 0
	buffer_store_dword v28, off, s[0:3], 0 offset:16
	buffer_store_dword v28, off, s[0:3], 0 offset:20
	s_waitcnt vmcnt(2)
	ds_write_b64 v1, v[26:27]
.LBB75_81:
	s_or_b64 exec, exec, s[4:5]
	s_waitcnt lgkmcnt(0)
	; wave barrier
	s_waitcnt lgkmcnt(0)
	buffer_load_dword v27, off, s[0:3], 0 offset:28
	buffer_load_dword v45, off, s[0:3], 0 offset:36
	;; [unrolled: 1-line block ×20, first 2 shown]
	v_mov_b32_e32 v26, 0
	ds_read2_b64 v[28:31], v26 offset0:15 offset1:16
	ds_read2_b64 v[32:35], v26 offset0:17 offset1:18
	;; [unrolled: 1-line block ×4, first 2 shown]
	ds_read_b64 v[62:63], v26 offset:184
	v_cmp_lt_u32_e32 vcc, 1, v0
	s_waitcnt vmcnt(19) lgkmcnt(4)
	v_mul_f32_e32 v65, v28, v27
	v_mul_f32_e32 v27, v29, v27
	s_waitcnt vmcnt(18)
	v_mov_b32_e32 v66, v45
	s_waitcnt vmcnt(17)
	v_mov_b32_e32 v68, v47
	;; [unrolled: 2-line block ×8, first 2 shown]
	s_waitcnt vmcnt(10)
	v_fmac_f32_e32 v65, v29, v64
	v_fma_f32 v64, v28, v64, -v27
	v_pk_mul_f32 v[28:29], v[30:31], v[66:67] op_sel_hi:[1,0]
	s_waitcnt lgkmcnt(3)
	v_pk_mul_f32 v[66:67], v[32:33], v[68:69] op_sel_hi:[1,0]
	v_pk_mul_f32 v[68:69], v[34:35], v[70:71] op_sel_hi:[1,0]
	s_waitcnt lgkmcnt(2)
	v_pk_mul_f32 v[70:71], v[36:37], v[72:73] op_sel_hi:[1,0]
	;; [unrolled: 3-line block ×4, first 2 shown]
	s_waitcnt vmcnt(9)
	v_pk_fma_f32 v[80:81], v[30:31], v[44:45], v[28:29] op_sel:[0,0,1] op_sel_hi:[1,1,0] neg_lo:[0,0,1] neg_hi:[0,0,1]
	v_pk_fma_f32 v[28:29], v[30:31], v[44:45], v[28:29] op_sel:[0,0,1] op_sel_hi:[1,0,0]
	v_pk_add_f32 v[64:65], v[64:65], 0 op_sel_hi:[1,0]
	s_waitcnt vmcnt(8)
	v_pk_fma_f32 v[30:31], v[32:33], v[46:47], v[66:67] op_sel:[0,0,1] op_sel_hi:[1,1,0] neg_lo:[0,0,1] neg_hi:[0,0,1]
	v_pk_fma_f32 v[32:33], v[32:33], v[46:47], v[66:67] op_sel:[0,0,1] op_sel_hi:[1,0,0]
	v_mov_b32_e32 v81, v29
	s_waitcnt vmcnt(7)
	v_pk_fma_f32 v[44:45], v[34:35], v[48:49], v[68:69] op_sel:[0,0,1] op_sel_hi:[1,1,0] neg_lo:[0,0,1] neg_hi:[0,0,1]
	v_pk_fma_f32 v[34:35], v[34:35], v[48:49], v[68:69] op_sel:[0,0,1] op_sel_hi:[1,0,0]
	v_mov_b32_e32 v31, v33
	v_pk_add_f32 v[28:29], v[64:65], v[80:81]
	s_waitcnt vmcnt(6)
	v_pk_fma_f32 v[46:47], v[36:37], v[50:51], v[70:71] op_sel:[0,0,1] op_sel_hi:[1,1,0] neg_lo:[0,0,1] neg_hi:[0,0,1]
	v_pk_fma_f32 v[36:37], v[36:37], v[50:51], v[70:71] op_sel:[0,0,1] op_sel_hi:[1,0,0]
	v_mov_b32_e32 v45, v35
	v_pk_add_f32 v[28:29], v[28:29], v[30:31]
	;; [unrolled: 5-line block ×5, first 2 shown]
	v_pk_fma_f32 v[54:55], v[62:63], v[58:59], v[78:79] op_sel:[0,0,1] op_sel_hi:[1,1,0] neg_lo:[0,0,1] neg_hi:[0,0,1]
	v_pk_fma_f32 v[56:57], v[62:63], v[58:59], v[78:79] op_sel:[0,0,1] op_sel_hi:[1,0,0]
	v_mov_b32_e32 v53, v43
	v_pk_add_f32 v[28:29], v[28:29], v[50:51]
	v_mov_b32_e32 v55, v57
	v_pk_add_f32 v[28:29], v[28:29], v[52:53]
	v_pk_add_f32 v[28:29], v[28:29], v[54:55]
	s_waitcnt vmcnt(0)
	v_pk_add_f32 v[28:29], v[60:61], v[28:29] neg_lo:[0,1] neg_hi:[0,1]
	buffer_store_dword v28, off, s[0:3], 0 offset:16
	buffer_store_dword v29, off, s[0:3], 0 offset:20
	s_and_saveexec_b64 s[4:5], vcc
	s_cbranch_execz .LBB75_83
; %bb.82:
	buffer_load_dword v28, off, s[0:3], 0 offset:8
	buffer_load_dword v29, off, s[0:3], 0 offset:12
	s_waitcnt vmcnt(0)
	ds_write_b64 v1, v[28:29]
	buffer_store_dword v26, off, s[0:3], 0 offset:8
	buffer_store_dword v26, off, s[0:3], 0 offset:12
.LBB75_83:
	s_or_b64 exec, exec, s[4:5]
	s_waitcnt lgkmcnt(0)
	; wave barrier
	s_waitcnt lgkmcnt(0)
	buffer_load_dword v66, off, s[0:3], 0 offset:20
	buffer_load_dword v68, off, s[0:3], 0 offset:28
	;; [unrolled: 1-line block ×22, first 2 shown]
	ds_read_b128 v[28:31], v26 offset:112
	ds_read_b128 v[32:35], v26 offset:128
	;; [unrolled: 1-line block ×5, first 2 shown]
	v_cmp_ne_u32_e32 vcc, 0, v0
	s_waitcnt vmcnt(21) lgkmcnt(4)
	v_mul_f32_e32 v27, v28, v66
	s_waitcnt vmcnt(20)
	v_mul_f32_e32 v67, v30, v68
	v_mul_f32_e32 v26, v29, v66
	;; [unrolled: 1-line block ×3, first 2 shown]
	s_waitcnt vmcnt(19)
	v_mov_b32_e32 v68, v49
	s_waitcnt vmcnt(18)
	v_mov_b32_e32 v70, v51
	;; [unrolled: 2-line block ×5, first 2 shown]
	v_mov_b32_e32 v74, v55
	s_waitcnt vmcnt(11)
	v_fmac_f32_e32 v27, v29, v69
	v_fma_f32 v26, v28, v69, -v26
	s_waitcnt lgkmcnt(3)
	v_pk_mul_f32 v[28:29], v[32:33], v[68:69] op_sel_hi:[1,0]
	s_waitcnt vmcnt(10)
	v_fmac_f32_e32 v67, v31, v71
	v_fma_f32 v66, v30, v71, -v66
	v_pk_mul_f32 v[30:31], v[34:35], v[70:71] op_sel_hi:[1,0]
	s_waitcnt lgkmcnt(2)
	v_pk_mul_f32 v[68:69], v[36:37], v[72:73] op_sel_hi:[1,0]
	s_waitcnt lgkmcnt(1)
	;; [unrolled: 2-line block ×3, first 2 shown]
	v_pk_mul_f32 v[76:77], v[44:45], v[80:81] op_sel_hi:[1,0]
	v_pk_add_f32 v[26:27], v[26:27], 0 op_sel_hi:[1,0]
	s_waitcnt vmcnt(9)
	v_pk_fma_f32 v[80:81], v[32:33], v[48:49], v[28:29] op_sel:[0,0,1] op_sel_hi:[1,1,0] neg_lo:[0,0,1] neg_hi:[0,0,1]
	v_pk_fma_f32 v[28:29], v[32:33], v[48:49], v[28:29] op_sel:[0,0,1] op_sel_hi:[1,0,0]
	s_waitcnt vmcnt(8)
	v_pk_fma_f32 v[32:33], v[34:35], v[50:51], v[30:31] op_sel:[0,0,1] op_sel_hi:[1,1,0] neg_lo:[0,0,1] neg_hi:[0,0,1]
	v_pk_fma_f32 v[30:31], v[34:35], v[50:51], v[30:31] op_sel:[0,0,1] op_sel_hi:[1,0,0]
	v_pk_add_f32 v[26:27], v[26:27], v[66:67]
	v_mov_b32_e32 v81, v29
	v_pk_mul_f32 v[70:71], v[38:39], v[74:75] op_sel_hi:[1,0]
	s_waitcnt vmcnt(7)
	v_pk_fma_f32 v[34:35], v[36:37], v[52:53], v[68:69] op_sel:[0,0,1] op_sel_hi:[1,1,0] neg_lo:[0,0,1] neg_hi:[0,0,1]
	v_pk_fma_f32 v[36:37], v[36:37], v[52:53], v[68:69] op_sel:[0,0,1] op_sel_hi:[1,0,0]
	v_mov_b32_e32 v33, v31
	v_pk_add_f32 v[26:27], v[26:27], v[80:81]
	v_mov_b32_e32 v78, v59
	s_waitcnt vmcnt(6)
	v_pk_fma_f32 v[48:49], v[38:39], v[54:55], v[70:71] op_sel:[0,0,1] op_sel_hi:[1,1,0] neg_lo:[0,0,1] neg_hi:[0,0,1]
	v_pk_fma_f32 v[38:39], v[38:39], v[54:55], v[70:71] op_sel:[0,0,1] op_sel_hi:[1,0,0]
	v_mov_b32_e32 v35, v37
	v_pk_add_f32 v[26:27], v[26:27], v[32:33]
	v_pk_mul_f32 v[74:75], v[42:43], v[78:79] op_sel_hi:[1,0]
	s_waitcnt vmcnt(5)
	v_pk_fma_f32 v[50:51], v[40:41], v[56:57], v[72:73] op_sel:[0,0,1] op_sel_hi:[1,1,0] neg_lo:[0,0,1] neg_hi:[0,0,1]
	v_pk_fma_f32 v[40:41], v[40:41], v[56:57], v[72:73] op_sel:[0,0,1] op_sel_hi:[1,0,0]
	v_mov_b32_e32 v49, v39
	v_pk_add_f32 v[26:27], v[26:27], v[34:35]
	v_mov_b32_e32 v82, v63
	s_waitcnt vmcnt(2)
	v_pk_fma_f32 v[52:53], v[42:43], v[58:59], v[74:75] op_sel:[0,0,1] op_sel_hi:[1,1,0] neg_lo:[0,0,1] neg_hi:[0,0,1]
	v_pk_fma_f32 v[42:43], v[42:43], v[58:59], v[74:75] op_sel:[0,0,1] op_sel_hi:[1,0,0]
	v_mov_b32_e32 v51, v41
	v_pk_add_f32 v[26:27], v[26:27], v[48:49]
	v_pk_mul_f32 v[78:79], v[46:47], v[82:83] op_sel_hi:[1,0]
	v_pk_fma_f32 v[54:55], v[44:45], v[60:61], v[76:77] op_sel:[0,0,1] op_sel_hi:[1,1,0] neg_lo:[0,0,1] neg_hi:[0,0,1]
	v_pk_fma_f32 v[44:45], v[44:45], v[60:61], v[76:77] op_sel:[0,0,1] op_sel_hi:[1,0,0]
	v_mov_b32_e32 v53, v43
	v_pk_add_f32 v[26:27], v[26:27], v[50:51]
	v_pk_fma_f32 v[56:57], v[46:47], v[62:63], v[78:79] op_sel:[0,0,1] op_sel_hi:[1,1,0] neg_lo:[0,0,1] neg_hi:[0,0,1]
	v_pk_fma_f32 v[46:47], v[46:47], v[62:63], v[78:79] op_sel:[0,0,1] op_sel_hi:[1,0,0]
	v_mov_b32_e32 v55, v45
	v_pk_add_f32 v[26:27], v[26:27], v[52:53]
	v_mov_b32_e32 v57, v47
	v_pk_add_f32 v[26:27], v[26:27], v[54:55]
	v_pk_add_f32 v[26:27], v[26:27], v[56:57]
	s_waitcnt vmcnt(0)
	v_pk_add_f32 v[26:27], v[64:65], v[26:27] neg_lo:[0,1] neg_hi:[0,1]
	buffer_store_dword v26, off, s[0:3], 0 offset:8
	buffer_store_dword v27, off, s[0:3], 0 offset:12
	s_and_saveexec_b64 s[4:5], vcc
	s_cbranch_execz .LBB75_85
; %bb.84:
	buffer_load_dword v26, off, s[0:3], 0
	buffer_load_dword v27, off, s[0:3], 0 offset:4
	v_mov_b32_e32 v0, 0
	buffer_store_dword v0, off, s[0:3], 0
	buffer_store_dword v0, off, s[0:3], 0 offset:4
	s_waitcnt vmcnt(2)
	ds_write_b64 v1, v[26:27]
.LBB75_85:
	s_or_b64 exec, exec, s[4:5]
	s_waitcnt lgkmcnt(0)
	; wave barrier
	s_waitcnt lgkmcnt(0)
	buffer_load_dword v64, off, s[0:3], 0 offset:12
	buffer_load_dword v66, off, s[0:3], 0 offset:20
	;; [unrolled: 1-line block ×22, first 2 shown]
	buffer_load_dword v60, off, s[0:3], 0
	buffer_load_dword v61, off, s[0:3], 0 offset:4
	v_mov_b32_e32 v62, 0
	ds_read2_b64 v[26:29], v62 offset0:13 offset1:14
	ds_read2_b64 v[30:33], v62 offset0:15 offset1:16
	;; [unrolled: 1-line block ×5, first 2 shown]
	ds_read_b64 v[62:63], v62 offset:184
	s_and_b64 vcc, exec, s[16:17]
	s_waitcnt vmcnt(23) lgkmcnt(5)
	v_mul_f32_e32 v77, v26, v64
	v_mul_f32_e32 v64, v27, v64
	s_waitcnt vmcnt(22)
	v_mul_f32_e32 v65, v28, v66
	s_waitcnt vmcnt(21) lgkmcnt(4)
	v_mul_f32_e32 v67, v30, v68
	v_mul_f32_e32 v66, v29, v66
	;; [unrolled: 1-line block ×3, first 2 shown]
	s_waitcnt vmcnt(20)
	v_mov_b32_e32 v68, v1
	s_waitcnt vmcnt(19)
	v_mov_b32_e32 v70, v47
	;; [unrolled: 2-line block ×5, first 2 shown]
	s_waitcnt vmcnt(12)
	v_fmac_f32_e32 v77, v27, v69
	v_fma_f32 v79, v26, v69, -v64
	v_mov_b32_e32 v78, v55
	s_waitcnt vmcnt(11)
	v_fmac_f32_e32 v65, v29, v71
	s_waitcnt vmcnt(10)
	v_fmac_f32_e32 v67, v31, v73
	v_fma_f32 v64, v28, v71, -v66
	v_fma_f32 v66, v30, v73, -v75
	v_pk_mul_f32 v[26:27], v[32:33], v[68:69] op_sel_hi:[1,0]
	s_waitcnt lgkmcnt(3)
	v_pk_mul_f32 v[28:29], v[34:35], v[70:71] op_sel_hi:[1,0]
	v_pk_mul_f32 v[30:31], v[36:37], v[72:73] op_sel_hi:[1,0]
	s_waitcnt lgkmcnt(2)
	v_pk_mul_f32 v[68:69], v[38:39], v[74:75] op_sel_hi:[1,0]
	v_pk_mul_f32 v[70:71], v[40:41], v[76:77] op_sel_hi:[1,0]
	v_add_f32_e32 v77, 0, v77
	v_add_f32_e32 v76, 0, v79
	s_waitcnt lgkmcnt(1)
	v_pk_mul_f32 v[72:73], v[42:43], v[78:79] op_sel_hi:[1,0]
	s_waitcnt vmcnt(9)
	v_pk_fma_f32 v[78:79], v[32:33], v[0:1], v[26:27] op_sel:[0,0,1] op_sel_hi:[1,1,0] neg_lo:[0,0,1] neg_hi:[0,0,1]
	v_pk_fma_f32 v[0:1], v[32:33], v[0:1], v[26:27] op_sel:[0,0,1] op_sel_hi:[1,0,0]
	s_waitcnt vmcnt(8)
	v_pk_fma_f32 v[26:27], v[34:35], v[46:47], v[28:29] op_sel:[0,0,1] op_sel_hi:[1,1,0] neg_lo:[0,0,1] neg_hi:[0,0,1]
	v_pk_fma_f32 v[28:29], v[34:35], v[46:47], v[28:29] op_sel:[0,0,1] op_sel_hi:[1,0,0]
	;; [unrolled: 3-line block ×4, first 2 shown]
	v_pk_add_f32 v[50:51], v[76:77], v[64:65]
	v_mov_b32_e32 v79, v1
	v_pk_add_f32 v[0:1], v[50:51], v[66:67]
	v_mov_b32_e32 v27, v29
	;; [unrolled: 2-line block ×4, first 2 shown]
	s_waitcnt vmcnt(2)
	v_pk_fma_f32 v[38:39], v[40:41], v[52:53], v[70:71] op_sel:[0,0,1] op_sel_hi:[1,1,0] neg_lo:[0,0,1] neg_hi:[0,0,1]
	v_pk_fma_f32 v[40:41], v[40:41], v[52:53], v[70:71] op_sel:[0,0,1] op_sel_hi:[1,0,0]
	v_mov_b32_e32 v35, v37
	v_pk_add_f32 v[0:1], v[0:1], v[32:33]
	v_mov_b32_e32 v82, v59
	v_pk_mul_f32 v[74:75], v[44:45], v[80:81] op_sel_hi:[1,0]
	v_pk_fma_f32 v[46:47], v[42:43], v[54:55], v[72:73] op_sel:[0,0,1] op_sel_hi:[1,1,0] neg_lo:[0,0,1] neg_hi:[0,0,1]
	v_pk_fma_f32 v[42:43], v[42:43], v[54:55], v[72:73] op_sel:[0,0,1] op_sel_hi:[1,0,0]
	v_mov_b32_e32 v39, v41
	v_pk_add_f32 v[0:1], v[0:1], v[34:35]
	v_pk_fma_f32 v[48:49], v[44:45], v[56:57], v[74:75] op_sel:[0,0,1] op_sel_hi:[1,1,0] neg_lo:[0,0,1] neg_hi:[0,0,1]
	v_pk_fma_f32 v[44:45], v[44:45], v[56:57], v[74:75] op_sel:[0,0,1] op_sel_hi:[1,0,0]
	v_mov_b32_e32 v47, v43
	v_pk_add_f32 v[0:1], v[0:1], v[38:39]
	s_waitcnt lgkmcnt(0)
	v_pk_mul_f32 v[26:27], v[62:63], v[82:83] op_sel_hi:[1,0]
	v_mov_b32_e32 v49, v45
	v_pk_add_f32 v[0:1], v[0:1], v[46:47]
	v_pk_fma_f32 v[28:29], v[62:63], v[58:59], v[26:27] op_sel:[0,0,1] op_sel_hi:[1,1,0] neg_lo:[0,0,1] neg_hi:[0,0,1]
	v_pk_fma_f32 v[26:27], v[62:63], v[58:59], v[26:27] op_sel:[0,0,1] op_sel_hi:[1,0,0]
	v_pk_add_f32 v[0:1], v[0:1], v[48:49]
	v_mov_b32_e32 v29, v27
	v_pk_add_f32 v[0:1], v[0:1], v[28:29]
	s_waitcnt vmcnt(0)
	v_pk_add_f32 v[0:1], v[60:61], v[0:1] neg_lo:[0,1] neg_hi:[0,1]
	buffer_store_dword v1, off, s[0:3], 0 offset:4
	buffer_store_dword v0, off, s[0:3], 0
	s_cbranch_vccz .LBB75_109
; %bb.86:
	v_pk_mov_b32 v[0:1], s[10:11], s[10:11] op_sel:[0,1]
	flat_load_dword v0, v[0:1] offset:40
	s_waitcnt vmcnt(0) lgkmcnt(0)
	v_add_u32_e32 v0, -1, v0
	v_cmp_ne_u32_e32 vcc, 10, v0
	s_and_saveexec_b64 s[4:5], vcc
	s_cbranch_execz .LBB75_88
; %bb.87:
	v_mov_b32_e32 v1, 0
	v_lshl_add_u32 v0, v0, 3, v1
	buffer_load_dword v1, v0, s[0:3], 0 offen
	buffer_load_dword v26, v0, s[0:3], 0 offen offset:4
	buffer_load_dword v27, off, s[0:3], 0 offset:84
	buffer_load_dword v28, off, s[0:3], 0 offset:80
	s_waitcnt vmcnt(3)
	buffer_store_dword v1, off, s[0:3], 0 offset:80
	s_waitcnt vmcnt(3)
	buffer_store_dword v26, off, s[0:3], 0 offset:84
	s_waitcnt vmcnt(3)
	buffer_store_dword v27, v0, s[0:3], 0 offen offset:4
	s_waitcnt vmcnt(3)
	buffer_store_dword v28, v0, s[0:3], 0 offen
.LBB75_88:
	s_or_b64 exec, exec, s[4:5]
	v_pk_mov_b32 v[0:1], s[10:11], s[10:11] op_sel:[0,1]
	flat_load_dword v0, v[0:1] offset:36
	s_waitcnt vmcnt(0) lgkmcnt(0)
	v_add_u32_e32 v0, -1, v0
	v_cmp_ne_u32_e32 vcc, 9, v0
	s_and_saveexec_b64 s[4:5], vcc
	s_cbranch_execz .LBB75_90
; %bb.89:
	v_mov_b32_e32 v1, 0
	v_lshl_add_u32 v0, v0, 3, v1
	buffer_load_dword v1, v0, s[0:3], 0 offen
	buffer_load_dword v26, v0, s[0:3], 0 offen offset:4
	buffer_load_dword v27, off, s[0:3], 0 offset:72
	buffer_load_dword v28, off, s[0:3], 0 offset:76
	s_waitcnt vmcnt(3)
	buffer_store_dword v1, off, s[0:3], 0 offset:72
	s_waitcnt vmcnt(3)
	buffer_store_dword v26, off, s[0:3], 0 offset:76
	s_waitcnt vmcnt(3)
	buffer_store_dword v27, v0, s[0:3], 0 offen
	s_waitcnt vmcnt(3)
	buffer_store_dword v28, v0, s[0:3], 0 offen offset:4
.LBB75_90:
	s_or_b64 exec, exec, s[4:5]
	v_pk_mov_b32 v[0:1], s[10:11], s[10:11] op_sel:[0,1]
	flat_load_dword v0, v[0:1] offset:32
	s_waitcnt vmcnt(0) lgkmcnt(0)
	v_add_u32_e32 v0, -1, v0
	v_cmp_ne_u32_e32 vcc, 8, v0
	s_and_saveexec_b64 s[4:5], vcc
	s_cbranch_execz .LBB75_92
; %bb.91:
	v_mov_b32_e32 v1, 0
	v_lshl_add_u32 v0, v0, 3, v1
	buffer_load_dword v1, v0, s[0:3], 0 offen
	buffer_load_dword v26, v0, s[0:3], 0 offen offset:4
	buffer_load_dword v27, off, s[0:3], 0 offset:68
	buffer_load_dword v28, off, s[0:3], 0 offset:64
	s_waitcnt vmcnt(3)
	buffer_store_dword v1, off, s[0:3], 0 offset:64
	s_waitcnt vmcnt(3)
	buffer_store_dword v26, off, s[0:3], 0 offset:68
	s_waitcnt vmcnt(3)
	buffer_store_dword v27, v0, s[0:3], 0 offen offset:4
	s_waitcnt vmcnt(3)
	buffer_store_dword v28, v0, s[0:3], 0 offen
.LBB75_92:
	s_or_b64 exec, exec, s[4:5]
	v_pk_mov_b32 v[0:1], s[10:11], s[10:11] op_sel:[0,1]
	flat_load_dword v0, v[0:1] offset:28
	s_waitcnt vmcnt(0) lgkmcnt(0)
	v_add_u32_e32 v0, -1, v0
	v_cmp_ne_u32_e32 vcc, 7, v0
	s_and_saveexec_b64 s[4:5], vcc
	s_cbranch_execz .LBB75_94
; %bb.93:
	v_mov_b32_e32 v1, 0
	v_lshl_add_u32 v0, v0, 3, v1
	buffer_load_dword v1, v0, s[0:3], 0 offen
	buffer_load_dword v26, v0, s[0:3], 0 offen offset:4
	buffer_load_dword v27, off, s[0:3], 0 offset:56
	buffer_load_dword v28, off, s[0:3], 0 offset:60
	s_waitcnt vmcnt(3)
	buffer_store_dword v1, off, s[0:3], 0 offset:56
	s_waitcnt vmcnt(3)
	buffer_store_dword v26, off, s[0:3], 0 offset:60
	s_waitcnt vmcnt(3)
	buffer_store_dword v27, v0, s[0:3], 0 offen
	s_waitcnt vmcnt(3)
	buffer_store_dword v28, v0, s[0:3], 0 offen offset:4
.LBB75_94:
	s_or_b64 exec, exec, s[4:5]
	;; [unrolled: 48-line block ×5, first 2 shown]
	v_pk_mov_b32 v[0:1], s[10:11], s[10:11] op_sel:[0,1]
	flat_load_dword v26, v[0:1]
	s_nop 0
	buffer_load_dword v0, off, s[0:3], 0
	buffer_load_dword v1, off, s[0:3], 0 offset:4
	s_waitcnt vmcnt(0) lgkmcnt(0)
	v_add_u32_e32 v26, -1, v26
	v_cmp_ne_u32_e32 vcc, 0, v26
	s_and_saveexec_b64 s[4:5], vcc
	s_cbranch_execz .LBB75_108
; %bb.107:
	v_mov_b32_e32 v27, 0
	v_lshl_add_u32 v26, v26, 3, v27
	buffer_load_dword v27, v26, s[0:3], 0 offen offset:4
	buffer_load_dword v28, v26, s[0:3], 0 offen
	s_waitcnt vmcnt(1)
	buffer_store_dword v27, off, s[0:3], 0 offset:4
	s_waitcnt vmcnt(1)
	buffer_store_dword v28, off, s[0:3], 0
	buffer_store_dword v1, v26, s[0:3], 0 offen offset:4
	buffer_store_dword v0, v26, s[0:3], 0 offen
	buffer_load_dword v0, off, s[0:3], 0
	s_nop 0
	buffer_load_dword v1, off, s[0:3], 0 offset:4
.LBB75_108:
	s_or_b64 exec, exec, s[4:5]
.LBB75_109:
	buffer_load_dword v26, off, s[0:3], 0 offset:8
	buffer_load_dword v27, off, s[0:3], 0 offset:12
	;; [unrolled: 1-line block ×22, first 2 shown]
	s_waitcnt vmcnt(22)
	global_store_dwordx2 v[2:3], v[0:1], off
	s_waitcnt vmcnt(21)
	global_store_dwordx2 v[4:5], v[26:27], off
	;; [unrolled: 2-line block ×12, first 2 shown]
	s_endpgm
	.section	.rodata,"a",@progbits
	.p2align	6, 0x0
	.amdhsa_kernel _ZN9rocsolver6v33100L18getri_kernel_smallILi12E19rocblas_complex_numIfEPKPS3_EEvT1_iilPiilS8_bb
		.amdhsa_group_segment_fixed_size 196
		.amdhsa_private_segment_fixed_size 112
		.amdhsa_kernarg_size 60
		.amdhsa_user_sgpr_count 8
		.amdhsa_user_sgpr_private_segment_buffer 1
		.amdhsa_user_sgpr_dispatch_ptr 0
		.amdhsa_user_sgpr_queue_ptr 0
		.amdhsa_user_sgpr_kernarg_segment_ptr 1
		.amdhsa_user_sgpr_dispatch_id 0
		.amdhsa_user_sgpr_flat_scratch_init 1
		.amdhsa_user_sgpr_kernarg_preload_length 0
		.amdhsa_user_sgpr_kernarg_preload_offset 0
		.amdhsa_user_sgpr_private_segment_size 0
		.amdhsa_uses_dynamic_stack 0
		.amdhsa_system_sgpr_private_segment_wavefront_offset 1
		.amdhsa_system_sgpr_workgroup_id_x 1
		.amdhsa_system_sgpr_workgroup_id_y 0
		.amdhsa_system_sgpr_workgroup_id_z 0
		.amdhsa_system_sgpr_workgroup_info 0
		.amdhsa_system_vgpr_workitem_id 0
		.amdhsa_next_free_vgpr 84
		.amdhsa_next_free_sgpr 22
		.amdhsa_accum_offset 84
		.amdhsa_reserve_vcc 1
		.amdhsa_reserve_flat_scratch 1
		.amdhsa_float_round_mode_32 0
		.amdhsa_float_round_mode_16_64 0
		.amdhsa_float_denorm_mode_32 3
		.amdhsa_float_denorm_mode_16_64 3
		.amdhsa_dx10_clamp 1
		.amdhsa_ieee_mode 1
		.amdhsa_fp16_overflow 0
		.amdhsa_tg_split 0
		.amdhsa_exception_fp_ieee_invalid_op 0
		.amdhsa_exception_fp_denorm_src 0
		.amdhsa_exception_fp_ieee_div_zero 0
		.amdhsa_exception_fp_ieee_overflow 0
		.amdhsa_exception_fp_ieee_underflow 0
		.amdhsa_exception_fp_ieee_inexact 0
		.amdhsa_exception_int_div_zero 0
	.end_amdhsa_kernel
	.section	.text._ZN9rocsolver6v33100L18getri_kernel_smallILi12E19rocblas_complex_numIfEPKPS3_EEvT1_iilPiilS8_bb,"axG",@progbits,_ZN9rocsolver6v33100L18getri_kernel_smallILi12E19rocblas_complex_numIfEPKPS3_EEvT1_iilPiilS8_bb,comdat
.Lfunc_end75:
	.size	_ZN9rocsolver6v33100L18getri_kernel_smallILi12E19rocblas_complex_numIfEPKPS3_EEvT1_iilPiilS8_bb, .Lfunc_end75-_ZN9rocsolver6v33100L18getri_kernel_smallILi12E19rocblas_complex_numIfEPKPS3_EEvT1_iilPiilS8_bb
                                        ; -- End function
	.section	.AMDGPU.csdata,"",@progbits
; Kernel info:
; codeLenInByte = 11636
; NumSgprs: 28
; NumVgprs: 84
; NumAgprs: 0
; TotalNumVgprs: 84
; ScratchSize: 112
; MemoryBound: 0
; FloatMode: 240
; IeeeMode: 1
; LDSByteSize: 196 bytes/workgroup (compile time only)
; SGPRBlocks: 3
; VGPRBlocks: 10
; NumSGPRsForWavesPerEU: 28
; NumVGPRsForWavesPerEU: 84
; AccumOffset: 84
; Occupancy: 5
; WaveLimiterHint : 1
; COMPUTE_PGM_RSRC2:SCRATCH_EN: 1
; COMPUTE_PGM_RSRC2:USER_SGPR: 8
; COMPUTE_PGM_RSRC2:TRAP_HANDLER: 0
; COMPUTE_PGM_RSRC2:TGID_X_EN: 1
; COMPUTE_PGM_RSRC2:TGID_Y_EN: 0
; COMPUTE_PGM_RSRC2:TGID_Z_EN: 0
; COMPUTE_PGM_RSRC2:TIDIG_COMP_CNT: 0
; COMPUTE_PGM_RSRC3_GFX90A:ACCUM_OFFSET: 20
; COMPUTE_PGM_RSRC3_GFX90A:TG_SPLIT: 0
	.section	.text._ZN9rocsolver6v33100L18getri_kernel_smallILi13E19rocblas_complex_numIfEPKPS3_EEvT1_iilPiilS8_bb,"axG",@progbits,_ZN9rocsolver6v33100L18getri_kernel_smallILi13E19rocblas_complex_numIfEPKPS3_EEvT1_iilPiilS8_bb,comdat
	.globl	_ZN9rocsolver6v33100L18getri_kernel_smallILi13E19rocblas_complex_numIfEPKPS3_EEvT1_iilPiilS8_bb ; -- Begin function _ZN9rocsolver6v33100L18getri_kernel_smallILi13E19rocblas_complex_numIfEPKPS3_EEvT1_iilPiilS8_bb
	.p2align	8
	.type	_ZN9rocsolver6v33100L18getri_kernel_smallILi13E19rocblas_complex_numIfEPKPS3_EEvT1_iilPiilS8_bb,@function
_ZN9rocsolver6v33100L18getri_kernel_smallILi13E19rocblas_complex_numIfEPKPS3_EEvT1_iilPiilS8_bb: ; @_ZN9rocsolver6v33100L18getri_kernel_smallILi13E19rocblas_complex_numIfEPKPS3_EEvT1_iilPiilS8_bb
; %bb.0:
	s_add_u32 flat_scratch_lo, s6, s9
	s_addc_u32 flat_scratch_hi, s7, 0
	s_add_u32 s0, s0, s9
	s_addc_u32 s1, s1, 0
	v_cmp_gt_u32_e32 vcc, 13, v0
	s_and_saveexec_b64 s[6:7], vcc
	s_cbranch_execz .LBB76_66
; %bb.1:
	s_load_dword s18, s[4:5], 0x38
	s_load_dwordx2 s[6:7], s[4:5], 0x0
	s_load_dwordx4 s[12:15], s[4:5], 0x28
	s_waitcnt lgkmcnt(0)
	s_bitcmp1_b32 s18, 8
	s_cselect_b64 s[16:17], -1, 0
	s_ashr_i32 s9, s8, 31
	s_lshl_b64 s[10:11], s[8:9], 3
	s_add_u32 s6, s6, s10
	s_addc_u32 s7, s7, s11
	s_load_dwordx2 s[6:7], s[6:7], 0x0
	s_bfe_u32 s10, s18, 0x10008
	s_cmp_eq_u32 s10, 0
                                        ; implicit-def: $sgpr10_sgpr11
	s_cbranch_scc1 .LBB76_3
; %bb.2:
	s_load_dword s10, s[4:5], 0x20
	s_load_dwordx2 s[20:21], s[4:5], 0x18
	s_mul_i32 s11, s8, s13
	s_mul_hi_u32 s13, s8, s12
	s_add_i32 s13, s13, s11
	s_mul_i32 s19, s9, s12
	s_add_i32 s13, s13, s19
	s_mul_i32 s12, s8, s12
	s_waitcnt lgkmcnt(0)
	s_ashr_i32 s11, s10, 31
	s_lshl_b64 s[12:13], s[12:13], 2
	s_add_u32 s12, s20, s12
	s_addc_u32 s13, s21, s13
	s_lshl_b64 s[10:11], s[10:11], 2
	s_add_u32 s10, s12, s10
	s_addc_u32 s11, s13, s11
.LBB76_3:
	s_load_dwordx2 s[4:5], s[4:5], 0x8
	v_lshlrev_b32_e32 v32, 3, v0
	s_waitcnt lgkmcnt(0)
	s_ashr_i32 s13, s4, 31
	s_mov_b32 s12, s4
	s_lshl_b64 s[12:13], s[12:13], 3
	s_add_u32 s6, s6, s12
	s_addc_u32 s7, s7, s13
	v_mov_b32_e32 v1, s7
	v_add_co_u32_e32 v2, vcc, s6, v32
	s_ashr_i32 s13, s5, 31
	s_mov_b32 s12, s5
	s_add_i32 s4, s5, s5
	v_addc_co_u32_e32 v3, vcc, 0, v1, vcc
	s_lshl_b64 s[12:13], s[12:13], 3
	v_add_u32_e32 v8, s4, v0
	v_mov_b32_e32 v1, s13
	v_add_co_u32_e32 v4, vcc, s12, v2
	v_ashrrev_i32_e32 v9, 31, v8
	v_addc_co_u32_e32 v5, vcc, v3, v1, vcc
	v_lshlrev_b64 v[6:7], 3, v[8:9]
	v_add_u32_e32 v10, s5, v8
	v_mov_b32_e32 v1, s7
	v_add_co_u32_e32 v6, vcc, s6, v6
	v_ashrrev_i32_e32 v11, 31, v10
	v_addc_co_u32_e32 v7, vcc, v1, v7, vcc
	v_lshlrev_b64 v[8:9], 3, v[10:11]
	v_add_u32_e32 v12, s5, v10
	v_add_co_u32_e32 v8, vcc, s6, v8
	v_ashrrev_i32_e32 v13, 31, v12
	v_addc_co_u32_e32 v9, vcc, v1, v9, vcc
	v_lshlrev_b64 v[10:11], 3, v[12:13]
	v_add_u32_e32 v14, s5, v12
	;; [unrolled: 5-line block ×8, first 2 shown]
	v_add_co_u32_e32 v22, vcc, s6, v22
	v_ashrrev_i32_e32 v27, 31, v26
	v_addc_co_u32_e32 v23, vcc, v1, v23, vcc
	v_lshlrev_b64 v[24:25], 3, v[26:27]
	v_add_co_u32_e32 v24, vcc, s6, v24
	global_load_dwordx2 v[28:29], v32, s[6:7]
	global_load_dwordx2 v[30:31], v[4:5], off
	global_load_dwordx2 v[34:35], v[6:7], off
	;; [unrolled: 1-line block ×8, first 2 shown]
	v_addc_co_u32_e32 v25, vcc, v1, v25, vcc
	global_load_dwordx2 v[48:49], v[20:21], off
	global_load_dwordx2 v[50:51], v[22:23], off
	;; [unrolled: 1-line block ×3, first 2 shown]
	v_add_u32_e32 v26, s5, v26
	v_ashrrev_i32_e32 v27, 31, v26
	v_lshlrev_b64 v[26:27], 3, v[26:27]
	v_add_co_u32_e32 v26, vcc, s6, v26
	v_addc_co_u32_e32 v27, vcc, v1, v27, vcc
	global_load_dwordx2 v[54:55], v[26:27], off
	s_bitcmp0_b32 s18, 0
	s_mov_b64 s[6:7], -1
	s_waitcnt vmcnt(12)
	buffer_store_dword v29, off, s[0:3], 0 offset:4
	buffer_store_dword v28, off, s[0:3], 0
	s_waitcnt vmcnt(13)
	buffer_store_dword v31, off, s[0:3], 0 offset:12
	buffer_store_dword v30, off, s[0:3], 0 offset:8
	s_waitcnt vmcnt(14)
	buffer_store_dword v35, off, s[0:3], 0 offset:20
	buffer_store_dword v34, off, s[0:3], 0 offset:16
	;; [unrolled: 3-line block ×12, first 2 shown]
	s_cbranch_scc1 .LBB76_64
; %bb.4:
	v_cmp_eq_u32_e64 s[4:5], 0, v0
	s_and_saveexec_b64 s[6:7], s[4:5]
	s_cbranch_execz .LBB76_6
; %bb.5:
	v_mov_b32_e32 v1, 0
	ds_write_b32 v1, v1 offset:104
.LBB76_6:
	s_or_b64 exec, exec, s[6:7]
	v_mov_b32_e32 v1, 0
	v_lshl_add_u32 v33, v0, 3, v1
	s_waitcnt lgkmcnt(0)
	; wave barrier
	s_waitcnt lgkmcnt(0)
	buffer_load_dword v1, v33, s[0:3], 0 offen
	buffer_load_dword v28, v33, s[0:3], 0 offen offset:4
	s_waitcnt vmcnt(1)
	v_cmp_eq_f32_e32 vcc, 0, v1
	s_waitcnt vmcnt(0)
	v_cmp_eq_f32_e64 s[6:7], 0, v28
	s_and_b64 s[6:7], vcc, s[6:7]
	s_and_saveexec_b64 s[12:13], s[6:7]
	s_cbranch_execz .LBB76_10
; %bb.7:
	v_mov_b32_e32 v1, 0
	ds_read_b32 v29, v1 offset:104
	v_add_u32_e32 v28, 1, v0
	s_waitcnt lgkmcnt(0)
	v_readfirstlane_b32 s6, v29
	s_cmp_eq_u32 s6, 0
	s_cselect_b64 s[18:19], -1, 0
	v_cmp_gt_i32_e32 vcc, s6, v28
	s_or_b64 s[18:19], s[18:19], vcc
	s_and_b64 exec, exec, s[18:19]
	s_cbranch_execz .LBB76_10
; %bb.8:
	s_mov_b64 s[18:19], 0
	v_mov_b32_e32 v29, s6
.LBB76_9:                               ; =>This Inner Loop Header: Depth=1
	ds_cmpst_rtn_b32 v29, v1, v29, v28 offset:104
	s_waitcnt lgkmcnt(0)
	v_cmp_ne_u32_e32 vcc, 0, v29
	v_cmp_le_i32_e64 s[6:7], v29, v28
	s_and_b64 s[6:7], vcc, s[6:7]
	s_and_b64 s[6:7], exec, s[6:7]
	s_or_b64 s[18:19], s[6:7], s[18:19]
	s_andn2_b64 exec, exec, s[18:19]
	s_cbranch_execnz .LBB76_9
.LBB76_10:
	s_or_b64 exec, exec, s[12:13]
	v_mov_b32_e32 v28, 0
	s_waitcnt lgkmcnt(0)
	; wave barrier
	ds_read_b32 v1, v28 offset:104
	s_and_saveexec_b64 s[6:7], s[4:5]
	s_cbranch_execz .LBB76_12
; %bb.11:
	s_lshl_b64 s[12:13], s[8:9], 2
	s_add_u32 s12, s14, s12
	s_addc_u32 s13, s15, s13
	s_waitcnt lgkmcnt(0)
	global_store_dword v28, v1, s[12:13]
.LBB76_12:
	s_or_b64 exec, exec, s[6:7]
	s_waitcnt lgkmcnt(0)
	v_cmp_ne_u32_e32 vcc, 0, v1
	s_mov_b64 s[6:7], 0
	s_cbranch_vccnz .LBB76_64
; %bb.13:
	buffer_load_dword v34, v33, s[0:3], 0 offen offset:4
	buffer_load_dword v29, v33, s[0:3], 0 offen
	s_waitcnt vmcnt(1)
	v_cmp_gt_f32_e32 vcc, 0, v34
	v_cndmask_b32_e64 v1, v34, -v34, vcc
	s_waitcnt vmcnt(0)
	v_cmp_gt_f32_e32 vcc, 0, v29
	v_cndmask_b32_e64 v28, v29, -v29, vcc
	v_cmp_ngt_f32_e32 vcc, v28, v1
                                        ; implicit-def: $vgpr1
                                        ; implicit-def: $vgpr28
	s_and_saveexec_b64 s[6:7], vcc
	s_xor_b64 s[6:7], exec, s[6:7]
                                        ; implicit-def: $vgpr30_vgpr31
	s_cbranch_execz .LBB76_15
; %bb.14:
	v_div_scale_f32 v1, s[12:13], v34, v34, v29
	v_rcp_f32_e32 v28, v1
	v_div_scale_f32 v30, vcc, v29, v34, v29
	v_fma_f32 v31, -v1, v28, 1.0
	v_fmac_f32_e32 v28, v31, v28
	v_mul_f32_e32 v31, v30, v28
	v_fma_f32 v35, -v1, v31, v30
	v_fmac_f32_e32 v31, v35, v28
	v_fma_f32 v1, -v1, v31, v30
	v_div_fmas_f32 v1, v1, v28, v31
	v_div_fixup_f32 v28, v1, v34, v29
	v_fmac_f32_e32 v34, v29, v28
	v_div_scale_f32 v1, s[12:13], v34, v34, -1.0
	v_rcp_f32_e32 v29, v1
	v_fma_f32 v30, -v1, v29, 1.0
	v_fmac_f32_e32 v29, v30, v29
	v_div_scale_f32 v30, vcc, -1.0, v34, -1.0
	v_mul_f32_e32 v31, v30, v29
	v_fma_f32 v35, -v1, v31, v30
	v_fmac_f32_e32 v31, v35, v29
	v_fma_f32 v1, -v1, v31, v30
	v_div_fmas_f32 v1, v1, v29, v31
	v_div_fixup_f32 v1, v1, v34, -1.0
	v_mul_f32_e32 v28, v28, v1
	v_xor_b32_e32 v30, 0x80000000, v28
                                        ; implicit-def: $vgpr29
                                        ; implicit-def: $vgpr34
.LBB76_15:
	s_andn2_saveexec_b64 s[6:7], s[6:7]
	s_cbranch_execz .LBB76_17
; %bb.16:
	v_div_scale_f32 v1, s[12:13], v29, v29, v34
	v_rcp_f32_e32 v28, v1
	v_div_scale_f32 v30, vcc, v34, v29, v34
	v_fma_f32 v31, -v1, v28, 1.0
	v_fmac_f32_e32 v28, v31, v28
	v_mul_f32_e32 v31, v30, v28
	v_fma_f32 v35, -v1, v31, v30
	v_fmac_f32_e32 v31, v35, v28
	v_fma_f32 v1, -v1, v31, v30
	v_div_fmas_f32 v1, v1, v28, v31
	v_div_fixup_f32 v1, v1, v29, v34
	v_fmac_f32_e32 v29, v34, v1
	v_div_scale_f32 v28, s[12:13], v29, v29, 1.0
	v_rcp_f32_e32 v30, v28
	v_fma_f32 v31, -v28, v30, 1.0
	v_fmac_f32_e32 v30, v31, v30
	v_div_scale_f32 v31, vcc, 1.0, v29, 1.0
	v_mul_f32_e32 v34, v31, v30
	v_fma_f32 v35, -v28, v34, v31
	v_fmac_f32_e32 v34, v35, v30
	v_fma_f32 v28, -v28, v34, v31
	v_div_fmas_f32 v28, v28, v30, v34
	v_div_fixup_f32 v30, v28, v29, 1.0
	v_xor_b32_e32 v28, 0x80000000, v30
	v_mul_f32_e64 v1, v1, -v30
.LBB76_17:
	s_or_b64 exec, exec, s[6:7]
	buffer_store_dword v1, v33, s[0:3], 0 offen offset:4
	buffer_store_dword v30, v33, s[0:3], 0 offen
	buffer_load_dword v31, off, s[0:3], 0 offset:12
	s_nop 0
	buffer_load_dword v30, off, s[0:3], 0 offset:8
	v_xor_b32_e32 v29, 0x80000000, v1
	v_add_u32_e32 v1, 0x70, v32
	s_waitcnt vmcnt(0)
	ds_write2_b64 v32, v[28:29], v[30:31] offset1:14
	s_waitcnt lgkmcnt(0)
	; wave barrier
	s_waitcnt lgkmcnt(0)
	s_and_saveexec_b64 s[6:7], s[4:5]
	s_cbranch_execz .LBB76_19
; %bb.18:
	buffer_load_dword v34, v33, s[0:3], 0 offen offset:4
	buffer_load_dword v35, v33, s[0:3], 0 offen
	ds_read_b64 v[28:29], v1
	v_mov_b32_e32 v30, 0
	ds_read_b64 v[30:31], v30 offset:8
	s_waitcnt vmcnt(1) lgkmcnt(1)
	v_mul_f32_e32 v36, v29, v34
	v_mul_f32_e32 v34, v28, v34
	s_waitcnt vmcnt(0)
	v_fmac_f32_e32 v34, v29, v35
	v_fma_f32 v28, v28, v35, -v36
	v_add_f32_e32 v29, 0, v34
	v_add_f32_e32 v28, 0, v28
	s_waitcnt lgkmcnt(0)
	v_mul_f32_e32 v34, v29, v31
	v_mul_f32_e32 v31, v28, v31
	v_fma_f32 v28, v28, v30, -v34
	v_fmac_f32_e32 v31, v29, v30
	buffer_store_dword v28, off, s[0:3], 0 offset:8
	buffer_store_dword v31, off, s[0:3], 0 offset:12
.LBB76_19:
	s_or_b64 exec, exec, s[6:7]
	s_waitcnt lgkmcnt(0)
	; wave barrier
	buffer_load_dword v28, off, s[0:3], 0 offset:16
	buffer_load_dword v29, off, s[0:3], 0 offset:20
	v_cmp_gt_u32_e32 vcc, 2, v0
	s_waitcnt vmcnt(0)
	ds_write_b64 v1, v[28:29]
	s_waitcnt lgkmcnt(0)
	; wave barrier
	s_waitcnt lgkmcnt(0)
	s_and_saveexec_b64 s[6:7], vcc
	s_cbranch_execz .LBB76_23
; %bb.20:
	buffer_load_dword v30, v33, s[0:3], 0 offen offset:4
	buffer_load_dword v31, v33, s[0:3], 0 offen
	ds_read_b64 v[28:29], v1
	s_waitcnt vmcnt(1) lgkmcnt(0)
	v_mul_f32_e32 v33, v29, v30
	v_mul_f32_e32 v30, v28, v30
	s_waitcnt vmcnt(0)
	v_fma_f32 v28, v28, v31, -v33
	v_fmac_f32_e32 v30, v29, v31
	v_add_f32_e32 v29, 0, v28
	v_add_f32_e32 v28, 0, v30
	s_and_saveexec_b64 s[12:13], s[4:5]
	s_cbranch_execz .LBB76_22
; %bb.21:
	buffer_load_dword v33, off, s[0:3], 0 offset:12
	buffer_load_dword v34, off, s[0:3], 0 offset:8
	v_mov_b32_e32 v30, 0
	ds_read_b64 v[30:31], v30 offset:120
	s_waitcnt vmcnt(1) lgkmcnt(0)
	v_mul_f32_e32 v35, v30, v33
	v_mul_f32_e32 v33, v31, v33
	s_waitcnt vmcnt(0)
	v_fmac_f32_e32 v35, v31, v34
	v_fma_f32 v30, v30, v34, -v33
	v_add_f32_e32 v28, v28, v35
	v_add_f32_e32 v29, v29, v30
.LBB76_22:
	s_or_b64 exec, exec, s[12:13]
	v_mov_b32_e32 v30, 0
	ds_read_b64 v[30:31], v30 offset:16
	s_waitcnt lgkmcnt(0)
	v_mul_f32_e32 v33, v28, v31
	v_mul_f32_e32 v31, v29, v31
	v_fma_f32 v29, v29, v30, -v33
	v_fmac_f32_e32 v31, v28, v30
	buffer_store_dword v29, off, s[0:3], 0 offset:16
	buffer_store_dword v31, off, s[0:3], 0 offset:20
.LBB76_23:
	s_or_b64 exec, exec, s[6:7]
	s_waitcnt lgkmcnt(0)
	; wave barrier
	buffer_load_dword v28, off, s[0:3], 0 offset:24
	buffer_load_dword v29, off, s[0:3], 0 offset:28
	v_cmp_gt_u32_e32 vcc, 3, v0
	s_waitcnt vmcnt(0)
	ds_write_b64 v1, v[28:29]
	v_add_u32_e32 v28, -1, v0
	s_waitcnt lgkmcnt(0)
	; wave barrier
	s_waitcnt lgkmcnt(0)
	s_and_saveexec_b64 s[4:5], vcc
	s_cbranch_execz .LBB76_27
; %bb.24:
	v_add_u32_e32 v30, -1, v0
	v_add_u32_e32 v31, 0x70, v32
	v_add_u32_e32 v33, 0, v32
	s_mov_b64 s[6:7], 0
	v_mov_b32_e32 v29, 0
	v_mov_b32_e32 v34, 0
.LBB76_25:                              ; =>This Inner Loop Header: Depth=1
	buffer_load_dword v35, v33, s[0:3], 0 offen offset:4
	buffer_load_dword v38, v33, s[0:3], 0 offen
	ds_read_b64 v[36:37], v31
	v_add_u32_e32 v30, 1, v30
	v_cmp_lt_u32_e32 vcc, 1, v30
	v_add_u32_e32 v31, 8, v31
	v_add_u32_e32 v33, 8, v33
	s_or_b64 s[6:7], vcc, s[6:7]
	s_waitcnt vmcnt(1) lgkmcnt(0)
	v_mul_f32_e32 v39, v37, v35
	v_mul_f32_e32 v35, v36, v35
	s_waitcnt vmcnt(0)
	v_fma_f32 v36, v36, v38, -v39
	v_fmac_f32_e32 v35, v37, v38
	v_add_f32_e32 v34, v34, v36
	v_add_f32_e32 v29, v29, v35
	s_andn2_b64 exec, exec, s[6:7]
	s_cbranch_execnz .LBB76_25
; %bb.26:
	s_or_b64 exec, exec, s[6:7]
	v_mov_b32_e32 v30, 0
	ds_read_b64 v[30:31], v30 offset:24
	s_waitcnt lgkmcnt(0)
	v_mul_f32_e32 v33, v29, v31
	v_mul_f32_e32 v31, v34, v31
	v_fma_f32 v33, v34, v30, -v33
	v_fmac_f32_e32 v31, v29, v30
	buffer_store_dword v33, off, s[0:3], 0 offset:24
	buffer_store_dword v31, off, s[0:3], 0 offset:28
.LBB76_27:
	s_or_b64 exec, exec, s[4:5]
	s_waitcnt lgkmcnt(0)
	; wave barrier
	buffer_load_dword v30, off, s[0:3], 0 offset:32
	buffer_load_dword v31, off, s[0:3], 0 offset:36
	v_cmp_gt_u32_e32 vcc, 4, v0
	s_waitcnt vmcnt(0)
	ds_write_b64 v1, v[30:31]
	s_waitcnt lgkmcnt(0)
	; wave barrier
	s_waitcnt lgkmcnt(0)
	s_and_saveexec_b64 s[4:5], vcc
	s_cbranch_execz .LBB76_31
; %bb.28:
	v_add_u32_e32 v30, -1, v0
	v_add_u32_e32 v31, 0x70, v32
	v_add_u32_e32 v33, 0, v32
	s_mov_b64 s[6:7], 0
	v_mov_b32_e32 v29, 0
	v_mov_b32_e32 v34, 0
.LBB76_29:                              ; =>This Inner Loop Header: Depth=1
	buffer_load_dword v35, v33, s[0:3], 0 offen offset:4
	buffer_load_dword v38, v33, s[0:3], 0 offen
	ds_read_b64 v[36:37], v31
	v_add_u32_e32 v30, 1, v30
	v_cmp_lt_u32_e32 vcc, 2, v30
	v_add_u32_e32 v31, 8, v31
	v_add_u32_e32 v33, 8, v33
	s_or_b64 s[6:7], vcc, s[6:7]
	s_waitcnt vmcnt(1) lgkmcnt(0)
	v_mul_f32_e32 v39, v37, v35
	v_mul_f32_e32 v35, v36, v35
	s_waitcnt vmcnt(0)
	v_fma_f32 v36, v36, v38, -v39
	v_fmac_f32_e32 v35, v37, v38
	v_add_f32_e32 v34, v34, v36
	v_add_f32_e32 v29, v29, v35
	s_andn2_b64 exec, exec, s[6:7]
	s_cbranch_execnz .LBB76_29
; %bb.30:
	s_or_b64 exec, exec, s[6:7]
	v_mov_b32_e32 v30, 0
	ds_read_b64 v[30:31], v30 offset:32
	s_waitcnt lgkmcnt(0)
	v_mul_f32_e32 v33, v29, v31
	v_mul_f32_e32 v31, v34, v31
	v_fma_f32 v33, v34, v30, -v33
	v_fmac_f32_e32 v31, v29, v30
	buffer_store_dword v33, off, s[0:3], 0 offset:32
	buffer_store_dword v31, off, s[0:3], 0 offset:36
.LBB76_31:
	s_or_b64 exec, exec, s[4:5]
	s_waitcnt lgkmcnt(0)
	; wave barrier
	buffer_load_dword v30, off, s[0:3], 0 offset:40
	buffer_load_dword v31, off, s[0:3], 0 offset:44
	v_cmp_gt_u32_e32 vcc, 5, v0
	s_waitcnt vmcnt(0)
	ds_write_b64 v1, v[30:31]
	;; [unrolled: 51-line block ×8, first 2 shown]
	s_waitcnt lgkmcnt(0)
	; wave barrier
	s_waitcnt lgkmcnt(0)
	s_and_saveexec_b64 s[4:5], vcc
	s_cbranch_execz .LBB76_59
; %bb.56:
	v_add_u32_e32 v30, -1, v0
	v_add_u32_e32 v31, 0x70, v32
	v_add_u32_e32 v33, 0, v32
	s_mov_b64 s[6:7], 0
	v_mov_b32_e32 v29, 0
	v_mov_b32_e32 v34, 0
.LBB76_57:                              ; =>This Inner Loop Header: Depth=1
	buffer_load_dword v35, v33, s[0:3], 0 offen offset:4
	buffer_load_dword v38, v33, s[0:3], 0 offen
	ds_read_b64 v[36:37], v31
	v_add_u32_e32 v30, 1, v30
	v_cmp_lt_u32_e32 vcc, 9, v30
	v_add_u32_e32 v31, 8, v31
	v_add_u32_e32 v33, 8, v33
	s_or_b64 s[6:7], vcc, s[6:7]
	s_waitcnt vmcnt(1) lgkmcnt(0)
	v_mul_f32_e32 v39, v37, v35
	v_mul_f32_e32 v35, v36, v35
	s_waitcnt vmcnt(0)
	v_fma_f32 v36, v36, v38, -v39
	v_fmac_f32_e32 v35, v37, v38
	v_add_f32_e32 v34, v34, v36
	v_add_f32_e32 v29, v29, v35
	s_andn2_b64 exec, exec, s[6:7]
	s_cbranch_execnz .LBB76_57
; %bb.58:
	s_or_b64 exec, exec, s[6:7]
	v_mov_b32_e32 v30, 0
	ds_read_b64 v[30:31], v30 offset:88
	s_waitcnt lgkmcnt(0)
	v_mul_f32_e32 v33, v29, v31
	v_mul_f32_e32 v31, v34, v31
	v_fma_f32 v33, v34, v30, -v33
	v_fmac_f32_e32 v31, v29, v30
	buffer_store_dword v33, off, s[0:3], 0 offset:88
	buffer_store_dword v31, off, s[0:3], 0 offset:92
.LBB76_59:
	s_or_b64 exec, exec, s[4:5]
	s_waitcnt lgkmcnt(0)
	; wave barrier
	buffer_load_dword v30, off, s[0:3], 0 offset:96
	buffer_load_dword v31, off, s[0:3], 0 offset:100
	v_cmp_ne_u32_e32 vcc, 12, v0
	s_waitcnt vmcnt(0)
	ds_write_b64 v1, v[30:31]
	s_waitcnt lgkmcnt(0)
	; wave barrier
	s_waitcnt lgkmcnt(0)
	s_and_saveexec_b64 s[4:5], vcc
	s_cbranch_execz .LBB76_63
; %bb.60:
	v_add_u32_e32 v29, 0x70, v32
	v_add_u32_e32 v30, 0, v32
	s_mov_b64 s[6:7], 0
	v_mov_b32_e32 v1, 0
	v_mov_b32_e32 v31, 0
.LBB76_61:                              ; =>This Inner Loop Header: Depth=1
	buffer_load_dword v34, v30, s[0:3], 0 offen offset:4
	buffer_load_dword v35, v30, s[0:3], 0 offen
	ds_read_b64 v[32:33], v29
	v_add_u32_e32 v28, 1, v28
	v_cmp_lt_u32_e32 vcc, 10, v28
	v_add_u32_e32 v29, 8, v29
	v_add_u32_e32 v30, 8, v30
	s_or_b64 s[6:7], vcc, s[6:7]
	s_waitcnt vmcnt(1) lgkmcnt(0)
	v_mul_f32_e32 v36, v33, v34
	v_mul_f32_e32 v34, v32, v34
	s_waitcnt vmcnt(0)
	v_fma_f32 v32, v32, v35, -v36
	v_fmac_f32_e32 v34, v33, v35
	v_add_f32_e32 v31, v31, v32
	v_add_f32_e32 v1, v1, v34
	s_andn2_b64 exec, exec, s[6:7]
	s_cbranch_execnz .LBB76_61
; %bb.62:
	s_or_b64 exec, exec, s[6:7]
	v_mov_b32_e32 v28, 0
	ds_read_b64 v[28:29], v28 offset:96
	s_waitcnt lgkmcnt(0)
	v_mul_f32_e32 v30, v1, v29
	v_mul_f32_e32 v29, v31, v29
	v_fma_f32 v30, v31, v28, -v30
	v_fmac_f32_e32 v29, v1, v28
	buffer_store_dword v30, off, s[0:3], 0 offset:96
	buffer_store_dword v29, off, s[0:3], 0 offset:100
.LBB76_63:
	s_or_b64 exec, exec, s[4:5]
	s_mov_b64 s[6:7], -1
	s_waitcnt lgkmcnt(0)
	; wave barrier
.LBB76_64:
	s_and_b64 vcc, exec, s[6:7]
	s_cbranch_vccz .LBB76_66
; %bb.65:
	s_lshl_b64 s[4:5], s[8:9], 2
	s_add_u32 s4, s14, s4
	s_addc_u32 s5, s15, s5
	v_mov_b32_e32 v1, 0
	global_load_dword v1, v1, s[4:5]
	s_waitcnt vmcnt(0)
	v_cmp_ne_u32_e32 vcc, 0, v1
	s_cbranch_vccz .LBB76_67
.LBB76_66:
	s_endpgm
.LBB76_67:
	v_mov_b32_e32 v1, 0x70
	v_lshl_add_u32 v1, v0, 3, v1
	v_cmp_eq_u32_e32 vcc, 12, v0
	s_and_saveexec_b64 s[4:5], vcc
	s_cbranch_execz .LBB76_69
; %bb.68:
	buffer_load_dword v28, off, s[0:3], 0 offset:88
	buffer_load_dword v29, off, s[0:3], 0 offset:92
	v_mov_b32_e32 v30, 0
	buffer_store_dword v30, off, s[0:3], 0 offset:88
	buffer_store_dword v30, off, s[0:3], 0 offset:92
	s_waitcnt vmcnt(2)
	ds_write_b64 v1, v[28:29]
.LBB76_69:
	s_or_b64 exec, exec, s[4:5]
	s_waitcnt lgkmcnt(0)
	; wave barrier
	s_waitcnt lgkmcnt(0)
	buffer_load_dword v31, off, s[0:3], 0 offset:100
	buffer_load_dword v30, off, s[0:3], 0 offset:96
	;; [unrolled: 1-line block ×4, first 2 shown]
	v_mov_b32_e32 v28, 0
	ds_read_b64 v[34:35], v28 offset:208
	v_cmp_lt_u32_e32 vcc, 10, v0
	s_waitcnt vmcnt(3)
	v_mov_b32_e32 v36, v31
	s_waitcnt lgkmcnt(0)
	v_pk_mul_f32 v[36:37], v[34:35], v[36:37] op_sel_hi:[1,0]
	s_waitcnt vmcnt(2)
	v_pk_fma_f32 v[38:39], v[34:35], v[30:31], v[36:37] op_sel:[0,0,1] op_sel_hi:[1,1,0] neg_lo:[0,0,1] neg_hi:[0,0,1]
	v_pk_fma_f32 v[30:31], v[34:35], v[30:31], v[36:37] op_sel:[0,0,1] op_sel_hi:[1,0,0]
	v_mov_b32_e32 v39, v31
	v_pk_add_f32 v[30:31], v[38:39], 0 op_sel_hi:[1,0]
	s_waitcnt vmcnt(0)
	v_pk_add_f32 v[30:31], v[32:33], v[30:31] neg_lo:[0,1] neg_hi:[0,1]
	buffer_store_dword v30, off, s[0:3], 0 offset:88
	buffer_store_dword v31, off, s[0:3], 0 offset:92
	s_and_saveexec_b64 s[4:5], vcc
	s_cbranch_execz .LBB76_71
; %bb.70:
	buffer_load_dword v30, off, s[0:3], 0 offset:80
	buffer_load_dword v31, off, s[0:3], 0 offset:84
	s_waitcnt vmcnt(0)
	ds_write_b64 v1, v[30:31]
	buffer_store_dword v28, off, s[0:3], 0 offset:80
	buffer_store_dword v28, off, s[0:3], 0 offset:84
.LBB76_71:
	s_or_b64 exec, exec, s[4:5]
	s_waitcnt lgkmcnt(0)
	; wave barrier
	s_waitcnt lgkmcnt(0)
	buffer_load_dword v33, off, s[0:3], 0 offset:92
	buffer_load_dword v35, off, s[0:3], 0 offset:100
	;; [unrolled: 1-line block ×6, first 2 shown]
	ds_read2_b64 v[28:31], v28 offset0:25 offset1:26
	v_cmp_lt_u32_e32 vcc, 9, v0
	s_waitcnt vmcnt(5)
	v_mov_b32_e32 v38, v33
	s_waitcnt vmcnt(4)
	v_mov_b32_e32 v40, v35
	s_waitcnt lgkmcnt(0)
	v_pk_mul_f32 v[38:39], v[28:29], v[38:39] op_sel_hi:[1,0]
	v_pk_mul_f32 v[40:41], v[30:31], v[40:41] op_sel_hi:[1,0]
	s_waitcnt vmcnt(3)
	v_pk_fma_f32 v[42:43], v[28:29], v[32:33], v[38:39] op_sel:[0,0,1] op_sel_hi:[1,1,0] neg_lo:[0,0,1] neg_hi:[0,0,1]
	v_pk_fma_f32 v[28:29], v[28:29], v[32:33], v[38:39] op_sel:[0,0,1] op_sel_hi:[1,0,0]
	s_waitcnt vmcnt(2)
	v_pk_fma_f32 v[32:33], v[30:31], v[34:35], v[40:41] op_sel:[0,0,1] op_sel_hi:[1,1,0] neg_lo:[0,0,1] neg_hi:[0,0,1]
	v_pk_fma_f32 v[30:31], v[30:31], v[34:35], v[40:41] op_sel:[0,0,1] op_sel_hi:[1,0,0]
	v_mov_b32_e32 v43, v29
	v_mov_b32_e32 v33, v31
	v_pk_add_f32 v[28:29], v[42:43], 0 op_sel_hi:[1,0]
	v_pk_add_f32 v[28:29], v[28:29], v[32:33]
	s_waitcnt vmcnt(0)
	v_pk_add_f32 v[28:29], v[36:37], v[28:29] neg_lo:[0,1] neg_hi:[0,1]
	buffer_store_dword v28, off, s[0:3], 0 offset:80
	buffer_store_dword v29, off, s[0:3], 0 offset:84
	s_and_saveexec_b64 s[4:5], vcc
	s_cbranch_execz .LBB76_73
; %bb.72:
	buffer_load_dword v28, off, s[0:3], 0 offset:72
	buffer_load_dword v29, off, s[0:3], 0 offset:76
	v_mov_b32_e32 v30, 0
	buffer_store_dword v30, off, s[0:3], 0 offset:72
	buffer_store_dword v30, off, s[0:3], 0 offset:76
	s_waitcnt vmcnt(2)
	ds_write_b64 v1, v[28:29]
.LBB76_73:
	s_or_b64 exec, exec, s[4:5]
	s_waitcnt lgkmcnt(0)
	; wave barrier
	s_waitcnt lgkmcnt(0)
	buffer_load_dword v35, off, s[0:3], 0 offset:84
	buffer_load_dword v37, off, s[0:3], 0 offset:92
	;; [unrolled: 1-line block ×8, first 2 shown]
	v_mov_b32_e32 v28, 0
	ds_read_b128 v[30:33], v28 offset:192
	ds_read_b64 v[42:43], v28 offset:208
	v_cmp_lt_u32_e32 vcc, 8, v0
	s_waitcnt vmcnt(7)
	v_mov_b32_e32 v44, v35
	s_waitcnt vmcnt(6)
	v_mov_b32_e32 v46, v37
	s_waitcnt lgkmcnt(1)
	v_pk_mul_f32 v[44:45], v[30:31], v[44:45] op_sel_hi:[1,0]
	s_waitcnt vmcnt(5)
	v_mov_b32_e32 v48, v39
	v_pk_mul_f32 v[46:47], v[32:33], v[46:47] op_sel_hi:[1,0]
	s_waitcnt vmcnt(4)
	v_pk_fma_f32 v[50:51], v[30:31], v[34:35], v[44:45] op_sel:[0,0,1] op_sel_hi:[1,1,0] neg_lo:[0,0,1] neg_hi:[0,0,1]
	v_pk_fma_f32 v[30:31], v[30:31], v[34:35], v[44:45] op_sel:[0,0,1] op_sel_hi:[1,0,0]
	s_waitcnt lgkmcnt(0)
	v_pk_mul_f32 v[48:49], v[42:43], v[48:49] op_sel_hi:[1,0]
	s_waitcnt vmcnt(3)
	v_pk_fma_f32 v[34:35], v[32:33], v[36:37], v[46:47] op_sel:[0,0,1] op_sel_hi:[1,1,0] neg_lo:[0,0,1] neg_hi:[0,0,1]
	v_pk_fma_f32 v[32:33], v[32:33], v[36:37], v[46:47] op_sel:[0,0,1] op_sel_hi:[1,0,0]
	v_mov_b32_e32 v51, v31
	s_waitcnt vmcnt(2)
	v_pk_fma_f32 v[36:37], v[42:43], v[38:39], v[48:49] op_sel:[0,0,1] op_sel_hi:[1,1,0] neg_lo:[0,0,1] neg_hi:[0,0,1]
	v_pk_fma_f32 v[38:39], v[42:43], v[38:39], v[48:49] op_sel:[0,0,1] op_sel_hi:[1,0,0]
	v_mov_b32_e32 v35, v33
	v_pk_add_f32 v[30:31], v[50:51], 0 op_sel_hi:[1,0]
	v_mov_b32_e32 v37, v39
	v_pk_add_f32 v[30:31], v[30:31], v[34:35]
	v_pk_add_f32 v[30:31], v[30:31], v[36:37]
	s_waitcnt vmcnt(0)
	v_pk_add_f32 v[30:31], v[40:41], v[30:31] neg_lo:[0,1] neg_hi:[0,1]
	buffer_store_dword v30, off, s[0:3], 0 offset:72
	buffer_store_dword v31, off, s[0:3], 0 offset:76
	s_and_saveexec_b64 s[4:5], vcc
	s_cbranch_execz .LBB76_75
; %bb.74:
	buffer_load_dword v30, off, s[0:3], 0 offset:64
	buffer_load_dword v31, off, s[0:3], 0 offset:68
	s_waitcnt vmcnt(0)
	ds_write_b64 v1, v[30:31]
	buffer_store_dword v28, off, s[0:3], 0 offset:64
	buffer_store_dword v28, off, s[0:3], 0 offset:68
.LBB76_75:
	s_or_b64 exec, exec, s[4:5]
	s_waitcnt lgkmcnt(0)
	; wave barrier
	s_waitcnt lgkmcnt(0)
	buffer_load_dword v39, off, s[0:3], 0 offset:76
	buffer_load_dword v41, off, s[0:3], 0 offset:84
	buffer_load_dword v43, off, s[0:3], 0 offset:92
	buffer_load_dword v45, off, s[0:3], 0 offset:100
	buffer_load_dword v38, off, s[0:3], 0 offset:72
	buffer_load_dword v40, off, s[0:3], 0 offset:80
	buffer_load_dword v42, off, s[0:3], 0 offset:88
	buffer_load_dword v44, off, s[0:3], 0 offset:96
	buffer_load_dword v46, off, s[0:3], 0 offset:64
	buffer_load_dword v47, off, s[0:3], 0 offset:68
	ds_read2_b64 v[30:33], v28 offset0:23 offset1:24
	ds_read2_b64 v[34:37], v28 offset0:25 offset1:26
	v_cmp_lt_u32_e32 vcc, 7, v0
	s_waitcnt vmcnt(9)
	v_mov_b32_e32 v28, v39
	s_waitcnt vmcnt(8)
	v_mov_b32_e32 v48, v41
	s_waitcnt lgkmcnt(1)
	v_pk_mul_f32 v[28:29], v[30:31], v[28:29] op_sel_hi:[1,0]
	s_waitcnt vmcnt(7)
	v_mov_b32_e32 v50, v43
	v_pk_mul_f32 v[48:49], v[32:33], v[48:49] op_sel_hi:[1,0]
	s_waitcnt vmcnt(5)
	v_pk_fma_f32 v[54:55], v[30:31], v[38:39], v[28:29] op_sel:[0,0,1] op_sel_hi:[1,1,0] neg_lo:[0,0,1] neg_hi:[0,0,1]
	v_pk_fma_f32 v[28:29], v[30:31], v[38:39], v[28:29] op_sel:[0,0,1] op_sel_hi:[1,0,0]
	v_mov_b32_e32 v52, v45
	s_waitcnt lgkmcnt(0)
	v_pk_mul_f32 v[50:51], v[34:35], v[50:51] op_sel_hi:[1,0]
	s_waitcnt vmcnt(4)
	v_pk_fma_f32 v[30:31], v[32:33], v[40:41], v[48:49] op_sel:[0,0,1] op_sel_hi:[1,1,0] neg_lo:[0,0,1] neg_hi:[0,0,1]
	v_pk_fma_f32 v[32:33], v[32:33], v[40:41], v[48:49] op_sel:[0,0,1] op_sel_hi:[1,0,0]
	v_mov_b32_e32 v55, v29
	v_pk_mul_f32 v[52:53], v[36:37], v[52:53] op_sel_hi:[1,0]
	s_waitcnt vmcnt(3)
	v_pk_fma_f32 v[38:39], v[34:35], v[42:43], v[50:51] op_sel:[0,0,1] op_sel_hi:[1,1,0] neg_lo:[0,0,1] neg_hi:[0,0,1]
	v_pk_fma_f32 v[34:35], v[34:35], v[42:43], v[50:51] op_sel:[0,0,1] op_sel_hi:[1,0,0]
	v_mov_b32_e32 v31, v33
	v_pk_add_f32 v[28:29], v[54:55], 0 op_sel_hi:[1,0]
	s_waitcnt vmcnt(2)
	v_pk_fma_f32 v[40:41], v[36:37], v[44:45], v[52:53] op_sel:[0,0,1] op_sel_hi:[1,1,0] neg_lo:[0,0,1] neg_hi:[0,0,1]
	v_pk_fma_f32 v[36:37], v[36:37], v[44:45], v[52:53] op_sel:[0,0,1] op_sel_hi:[1,0,0]
	v_mov_b32_e32 v39, v35
	v_pk_add_f32 v[28:29], v[28:29], v[30:31]
	v_mov_b32_e32 v41, v37
	v_pk_add_f32 v[28:29], v[28:29], v[38:39]
	v_pk_add_f32 v[28:29], v[28:29], v[40:41]
	s_waitcnt vmcnt(0)
	v_pk_add_f32 v[28:29], v[46:47], v[28:29] neg_lo:[0,1] neg_hi:[0,1]
	buffer_store_dword v28, off, s[0:3], 0 offset:64
	buffer_store_dword v29, off, s[0:3], 0 offset:68
	s_and_saveexec_b64 s[4:5], vcc
	s_cbranch_execz .LBB76_77
; %bb.76:
	buffer_load_dword v28, off, s[0:3], 0 offset:56
	buffer_load_dword v29, off, s[0:3], 0 offset:60
	v_mov_b32_e32 v30, 0
	buffer_store_dword v30, off, s[0:3], 0 offset:56
	buffer_store_dword v30, off, s[0:3], 0 offset:60
	s_waitcnt vmcnt(2)
	ds_write_b64 v1, v[28:29]
.LBB76_77:
	s_or_b64 exec, exec, s[4:5]
	s_waitcnt lgkmcnt(0)
	; wave barrier
	s_waitcnt lgkmcnt(0)
	buffer_load_dword v39, off, s[0:3], 0 offset:68
	buffer_load_dword v41, off, s[0:3], 0 offset:76
	;; [unrolled: 1-line block ×12, first 2 shown]
	v_mov_b32_e32 v28, 0
	ds_read_b128 v[30:33], v28 offset:176
	ds_read_b128 v[34:37], v28 offset:192
	ds_read_b64 v[50:51], v28 offset:208
	v_cmp_lt_u32_e32 vcc, 6, v0
	s_waitcnt vmcnt(11)
	v_mov_b32_e32 v52, v39
	s_waitcnt vmcnt(10)
	v_mov_b32_e32 v54, v41
	s_waitcnt lgkmcnt(2)
	v_pk_mul_f32 v[52:53], v[30:31], v[52:53] op_sel_hi:[1,0]
	s_waitcnt vmcnt(9)
	v_mov_b32_e32 v56, v43
	v_pk_mul_f32 v[54:55], v[32:33], v[54:55] op_sel_hi:[1,0]
	s_waitcnt vmcnt(6)
	v_pk_fma_f32 v[62:63], v[30:31], v[38:39], v[52:53] op_sel:[0,0,1] op_sel_hi:[1,1,0] neg_lo:[0,0,1] neg_hi:[0,0,1]
	v_pk_fma_f32 v[30:31], v[30:31], v[38:39], v[52:53] op_sel:[0,0,1] op_sel_hi:[1,0,0]
	v_mov_b32_e32 v58, v45
	s_waitcnt lgkmcnt(1)
	v_pk_mul_f32 v[56:57], v[34:35], v[56:57] op_sel_hi:[1,0]
	s_waitcnt vmcnt(5)
	v_pk_fma_f32 v[38:39], v[32:33], v[40:41], v[54:55] op_sel:[0,0,1] op_sel_hi:[1,1,0] neg_lo:[0,0,1] neg_hi:[0,0,1]
	v_pk_fma_f32 v[32:33], v[32:33], v[40:41], v[54:55] op_sel:[0,0,1] op_sel_hi:[1,0,0]
	v_mov_b32_e32 v63, v31
	v_mov_b32_e32 v60, v47
	v_pk_mul_f32 v[58:59], v[36:37], v[58:59] op_sel_hi:[1,0]
	s_waitcnt vmcnt(4)
	v_pk_fma_f32 v[40:41], v[34:35], v[42:43], v[56:57] op_sel:[0,0,1] op_sel_hi:[1,1,0] neg_lo:[0,0,1] neg_hi:[0,0,1]
	v_pk_fma_f32 v[34:35], v[34:35], v[42:43], v[56:57] op_sel:[0,0,1] op_sel_hi:[1,0,0]
	v_mov_b32_e32 v39, v33
	v_pk_add_f32 v[30:31], v[62:63], 0 op_sel_hi:[1,0]
	s_waitcnt lgkmcnt(0)
	v_pk_mul_f32 v[60:61], v[50:51], v[60:61] op_sel_hi:[1,0]
	s_waitcnt vmcnt(3)
	v_pk_fma_f32 v[42:43], v[36:37], v[44:45], v[58:59] op_sel:[0,0,1] op_sel_hi:[1,1,0] neg_lo:[0,0,1] neg_hi:[0,0,1]
	v_pk_fma_f32 v[36:37], v[36:37], v[44:45], v[58:59] op_sel:[0,0,1] op_sel_hi:[1,0,0]
	v_mov_b32_e32 v41, v35
	v_pk_add_f32 v[30:31], v[30:31], v[38:39]
	s_waitcnt vmcnt(2)
	v_pk_fma_f32 v[44:45], v[50:51], v[46:47], v[60:61] op_sel:[0,0,1] op_sel_hi:[1,1,0] neg_lo:[0,0,1] neg_hi:[0,0,1]
	v_pk_fma_f32 v[46:47], v[50:51], v[46:47], v[60:61] op_sel:[0,0,1] op_sel_hi:[1,0,0]
	v_mov_b32_e32 v43, v37
	v_pk_add_f32 v[30:31], v[30:31], v[40:41]
	v_mov_b32_e32 v45, v47
	v_pk_add_f32 v[30:31], v[30:31], v[42:43]
	v_pk_add_f32 v[30:31], v[30:31], v[44:45]
	s_waitcnt vmcnt(0)
	v_pk_add_f32 v[30:31], v[48:49], v[30:31] neg_lo:[0,1] neg_hi:[0,1]
	buffer_store_dword v30, off, s[0:3], 0 offset:56
	buffer_store_dword v31, off, s[0:3], 0 offset:60
	s_and_saveexec_b64 s[4:5], vcc
	s_cbranch_execz .LBB76_79
; %bb.78:
	buffer_load_dword v30, off, s[0:3], 0 offset:48
	buffer_load_dword v31, off, s[0:3], 0 offset:52
	s_waitcnt vmcnt(0)
	ds_write_b64 v1, v[30:31]
	buffer_store_dword v28, off, s[0:3], 0 offset:48
	buffer_store_dword v28, off, s[0:3], 0 offset:52
.LBB76_79:
	s_or_b64 exec, exec, s[4:5]
	s_waitcnt lgkmcnt(0)
	; wave barrier
	s_waitcnt lgkmcnt(0)
	buffer_load_dword v43, off, s[0:3], 0 offset:60
	buffer_load_dword v45, off, s[0:3], 0 offset:68
	;; [unrolled: 1-line block ×14, first 2 shown]
	ds_read2_b64 v[30:33], v28 offset0:21 offset1:22
	ds_read2_b64 v[34:37], v28 offset0:23 offset1:24
	;; [unrolled: 1-line block ×3, first 2 shown]
	v_cmp_lt_u32_e32 vcc, 5, v0
	s_waitcnt vmcnt(13)
	v_mov_b32_e32 v28, v43
	s_waitcnt vmcnt(12)
	v_mov_b32_e32 v56, v45
	s_waitcnt lgkmcnt(2)
	v_pk_mul_f32 v[28:29], v[30:31], v[28:29] op_sel_hi:[1,0]
	s_waitcnt vmcnt(11)
	v_mov_b32_e32 v58, v47
	v_pk_mul_f32 v[56:57], v[32:33], v[56:57] op_sel_hi:[1,0]
	s_waitcnt vmcnt(10)
	v_mov_b32_e32 v60, v49
	s_waitcnt vmcnt(7)
	v_pk_fma_f32 v[66:67], v[30:31], v[42:43], v[28:29] op_sel:[0,0,1] op_sel_hi:[1,1,0] neg_lo:[0,0,1] neg_hi:[0,0,1]
	v_pk_fma_f32 v[28:29], v[30:31], v[42:43], v[28:29] op_sel:[0,0,1] op_sel_hi:[1,0,0]
	s_waitcnt lgkmcnt(1)
	v_pk_mul_f32 v[58:59], v[34:35], v[58:59] op_sel_hi:[1,0]
	s_waitcnt vmcnt(6)
	v_pk_fma_f32 v[30:31], v[32:33], v[44:45], v[56:57] op_sel:[0,0,1] op_sel_hi:[1,1,0] neg_lo:[0,0,1] neg_hi:[0,0,1]
	v_pk_fma_f32 v[32:33], v[32:33], v[44:45], v[56:57] op_sel:[0,0,1] op_sel_hi:[1,0,0]
	v_mov_b32_e32 v67, v29
	v_mov_b32_e32 v62, v51
	v_pk_mul_f32 v[60:61], v[36:37], v[60:61] op_sel_hi:[1,0]
	s_waitcnt vmcnt(5)
	v_pk_fma_f32 v[42:43], v[34:35], v[46:47], v[58:59] op_sel:[0,0,1] op_sel_hi:[1,1,0] neg_lo:[0,0,1] neg_hi:[0,0,1]
	v_pk_fma_f32 v[34:35], v[34:35], v[46:47], v[58:59] op_sel:[0,0,1] op_sel_hi:[1,0,0]
	v_mov_b32_e32 v31, v33
	v_pk_add_f32 v[28:29], v[66:67], 0 op_sel_hi:[1,0]
	v_mov_b32_e32 v64, v53
	s_waitcnt lgkmcnt(0)
	v_pk_mul_f32 v[62:63], v[38:39], v[62:63] op_sel_hi:[1,0]
	s_waitcnt vmcnt(4)
	v_pk_fma_f32 v[44:45], v[36:37], v[48:49], v[60:61] op_sel:[0,0,1] op_sel_hi:[1,1,0] neg_lo:[0,0,1] neg_hi:[0,0,1]
	v_pk_fma_f32 v[36:37], v[36:37], v[48:49], v[60:61] op_sel:[0,0,1] op_sel_hi:[1,0,0]
	v_mov_b32_e32 v43, v35
	v_pk_add_f32 v[28:29], v[28:29], v[30:31]
	v_pk_mul_f32 v[64:65], v[40:41], v[64:65] op_sel_hi:[1,0]
	s_waitcnt vmcnt(3)
	v_pk_fma_f32 v[46:47], v[38:39], v[50:51], v[62:63] op_sel:[0,0,1] op_sel_hi:[1,1,0] neg_lo:[0,0,1] neg_hi:[0,0,1]
	v_pk_fma_f32 v[38:39], v[38:39], v[50:51], v[62:63] op_sel:[0,0,1] op_sel_hi:[1,0,0]
	v_mov_b32_e32 v45, v37
	v_pk_add_f32 v[28:29], v[28:29], v[42:43]
	s_waitcnt vmcnt(2)
	v_pk_fma_f32 v[48:49], v[40:41], v[52:53], v[64:65] op_sel:[0,0,1] op_sel_hi:[1,1,0] neg_lo:[0,0,1] neg_hi:[0,0,1]
	v_pk_fma_f32 v[40:41], v[40:41], v[52:53], v[64:65] op_sel:[0,0,1] op_sel_hi:[1,0,0]
	v_mov_b32_e32 v47, v39
	v_pk_add_f32 v[28:29], v[28:29], v[44:45]
	v_mov_b32_e32 v49, v41
	v_pk_add_f32 v[28:29], v[28:29], v[46:47]
	v_pk_add_f32 v[28:29], v[28:29], v[48:49]
	s_waitcnt vmcnt(0)
	v_pk_add_f32 v[28:29], v[54:55], v[28:29] neg_lo:[0,1] neg_hi:[0,1]
	buffer_store_dword v28, off, s[0:3], 0 offset:48
	buffer_store_dword v29, off, s[0:3], 0 offset:52
	s_and_saveexec_b64 s[4:5], vcc
	s_cbranch_execz .LBB76_81
; %bb.80:
	buffer_load_dword v28, off, s[0:3], 0 offset:40
	buffer_load_dword v29, off, s[0:3], 0 offset:44
	v_mov_b32_e32 v30, 0
	buffer_store_dword v30, off, s[0:3], 0 offset:40
	buffer_store_dword v30, off, s[0:3], 0 offset:44
	s_waitcnt vmcnt(2)
	ds_write_b64 v1, v[28:29]
.LBB76_81:
	s_or_b64 exec, exec, s[4:5]
	s_waitcnt lgkmcnt(0)
	; wave barrier
	s_waitcnt lgkmcnt(0)
	buffer_load_dword v43, off, s[0:3], 0 offset:52
	buffer_load_dword v45, off, s[0:3], 0 offset:60
	;; [unrolled: 1-line block ×16, first 2 shown]
	v_mov_b32_e32 v28, 0
	ds_read_b128 v[30:33], v28 offset:160
	ds_read_b128 v[34:37], v28 offset:176
	;; [unrolled: 1-line block ×3, first 2 shown]
	ds_read_b64 v[58:59], v28 offset:208
	v_cmp_lt_u32_e32 vcc, 4, v0
	s_waitcnt vmcnt(15)
	v_mov_b32_e32 v60, v43
	s_waitcnt vmcnt(14)
	v_mov_b32_e32 v62, v45
	s_waitcnt lgkmcnt(3)
	v_pk_mul_f32 v[60:61], v[30:31], v[60:61] op_sel_hi:[1,0]
	s_waitcnt vmcnt(13)
	v_mov_b32_e32 v64, v47
	v_pk_mul_f32 v[62:63], v[32:33], v[62:63] op_sel_hi:[1,0]
	s_waitcnt vmcnt(12)
	v_mov_b32_e32 v66, v49
	s_waitcnt lgkmcnt(2)
	v_pk_mul_f32 v[64:65], v[34:35], v[64:65] op_sel_hi:[1,0]
	s_waitcnt vmcnt(8)
	v_pk_fma_f32 v[74:75], v[30:31], v[42:43], v[60:61] op_sel:[0,0,1] op_sel_hi:[1,1,0] neg_lo:[0,0,1] neg_hi:[0,0,1]
	v_pk_fma_f32 v[30:31], v[30:31], v[42:43], v[60:61] op_sel:[0,0,1] op_sel_hi:[1,0,0]
	s_waitcnt vmcnt(7)
	v_pk_fma_f32 v[42:43], v[32:33], v[44:45], v[62:63] op_sel:[0,0,1] op_sel_hi:[1,1,0] neg_lo:[0,0,1] neg_hi:[0,0,1]
	v_pk_fma_f32 v[32:33], v[32:33], v[44:45], v[62:63] op_sel:[0,0,1] op_sel_hi:[1,0,0]
	v_mov_b32_e32 v75, v31
	v_mov_b32_e32 v68, v51
	v_pk_mul_f32 v[66:67], v[36:37], v[66:67] op_sel_hi:[1,0]
	s_waitcnt vmcnt(6)
	v_pk_fma_f32 v[44:45], v[34:35], v[46:47], v[64:65] op_sel:[0,0,1] op_sel_hi:[1,1,0] neg_lo:[0,0,1] neg_hi:[0,0,1]
	v_pk_fma_f32 v[34:35], v[34:35], v[46:47], v[64:65] op_sel:[0,0,1] op_sel_hi:[1,0,0]
	v_mov_b32_e32 v43, v33
	v_pk_add_f32 v[30:31], v[74:75], 0 op_sel_hi:[1,0]
	v_mov_b32_e32 v70, v53
	s_waitcnt lgkmcnt(1)
	v_pk_mul_f32 v[68:69], v[38:39], v[68:69] op_sel_hi:[1,0]
	s_waitcnt vmcnt(5)
	v_pk_fma_f32 v[46:47], v[36:37], v[48:49], v[66:67] op_sel:[0,0,1] op_sel_hi:[1,1,0] neg_lo:[0,0,1] neg_hi:[0,0,1]
	v_pk_fma_f32 v[36:37], v[36:37], v[48:49], v[66:67] op_sel:[0,0,1] op_sel_hi:[1,0,0]
	v_mov_b32_e32 v45, v35
	v_pk_add_f32 v[30:31], v[30:31], v[42:43]
	v_mov_b32_e32 v72, v55
	v_pk_mul_f32 v[70:71], v[40:41], v[70:71] op_sel_hi:[1,0]
	s_waitcnt vmcnt(4)
	v_pk_fma_f32 v[48:49], v[38:39], v[50:51], v[68:69] op_sel:[0,0,1] op_sel_hi:[1,1,0] neg_lo:[0,0,1] neg_hi:[0,0,1]
	v_pk_fma_f32 v[38:39], v[38:39], v[50:51], v[68:69] op_sel:[0,0,1] op_sel_hi:[1,0,0]
	v_mov_b32_e32 v47, v37
	v_pk_add_f32 v[30:31], v[30:31], v[44:45]
	s_waitcnt lgkmcnt(0)
	v_pk_mul_f32 v[72:73], v[58:59], v[72:73] op_sel_hi:[1,0]
	s_waitcnt vmcnt(3)
	v_pk_fma_f32 v[50:51], v[40:41], v[52:53], v[70:71] op_sel:[0,0,1] op_sel_hi:[1,1,0] neg_lo:[0,0,1] neg_hi:[0,0,1]
	v_pk_fma_f32 v[40:41], v[40:41], v[52:53], v[70:71] op_sel:[0,0,1] op_sel_hi:[1,0,0]
	v_mov_b32_e32 v49, v39
	v_pk_add_f32 v[30:31], v[30:31], v[46:47]
	s_waitcnt vmcnt(2)
	v_pk_fma_f32 v[52:53], v[58:59], v[54:55], v[72:73] op_sel:[0,0,1] op_sel_hi:[1,1,0] neg_lo:[0,0,1] neg_hi:[0,0,1]
	v_pk_fma_f32 v[54:55], v[58:59], v[54:55], v[72:73] op_sel:[0,0,1] op_sel_hi:[1,0,0]
	v_mov_b32_e32 v51, v41
	v_pk_add_f32 v[30:31], v[30:31], v[48:49]
	v_mov_b32_e32 v53, v55
	v_pk_add_f32 v[30:31], v[30:31], v[50:51]
	v_pk_add_f32 v[30:31], v[30:31], v[52:53]
	s_waitcnt vmcnt(0)
	v_pk_add_f32 v[30:31], v[56:57], v[30:31] neg_lo:[0,1] neg_hi:[0,1]
	buffer_store_dword v30, off, s[0:3], 0 offset:40
	buffer_store_dword v31, off, s[0:3], 0 offset:44
	s_and_saveexec_b64 s[4:5], vcc
	s_cbranch_execz .LBB76_83
; %bb.82:
	buffer_load_dword v30, off, s[0:3], 0 offset:32
	buffer_load_dword v31, off, s[0:3], 0 offset:36
	s_waitcnt vmcnt(0)
	ds_write_b64 v1, v[30:31]
	buffer_store_dword v28, off, s[0:3], 0 offset:32
	buffer_store_dword v28, off, s[0:3], 0 offset:36
.LBB76_83:
	s_or_b64 exec, exec, s[4:5]
	s_waitcnt lgkmcnt(0)
	; wave barrier
	s_waitcnt lgkmcnt(0)
	buffer_load_dword v47, off, s[0:3], 0 offset:44
	buffer_load_dword v49, off, s[0:3], 0 offset:52
	;; [unrolled: 1-line block ×18, first 2 shown]
	ds_read2_b64 v[30:33], v28 offset0:19 offset1:20
	ds_read2_b64 v[34:37], v28 offset0:21 offset1:22
	;; [unrolled: 1-line block ×4, first 2 shown]
	v_cmp_lt_u32_e32 vcc, 3, v0
	s_waitcnt vmcnt(17)
	v_mov_b32_e32 v28, v47
	s_waitcnt vmcnt(16)
	v_mov_b32_e32 v64, v49
	s_waitcnt lgkmcnt(3)
	v_pk_mul_f32 v[28:29], v[30:31], v[28:29] op_sel_hi:[1,0]
	s_waitcnt vmcnt(15)
	v_mov_b32_e32 v66, v51
	v_pk_mul_f32 v[64:65], v[32:33], v[64:65] op_sel_hi:[1,0]
	s_waitcnt vmcnt(14)
	v_mov_b32_e32 v68, v53
	s_waitcnt lgkmcnt(2)
	v_pk_mul_f32 v[66:67], v[34:35], v[66:67] op_sel_hi:[1,0]
	s_waitcnt vmcnt(13)
	v_mov_b32_e32 v70, v55
	s_waitcnt vmcnt(9)
	v_pk_fma_f32 v[78:79], v[30:31], v[46:47], v[28:29] op_sel:[0,0,1] op_sel_hi:[1,1,0] neg_lo:[0,0,1] neg_hi:[0,0,1]
	v_pk_fma_f32 v[28:29], v[30:31], v[46:47], v[28:29] op_sel:[0,0,1] op_sel_hi:[1,0,0]
	s_waitcnt vmcnt(8)
	v_pk_fma_f32 v[30:31], v[32:33], v[48:49], v[64:65] op_sel:[0,0,1] op_sel_hi:[1,1,0] neg_lo:[0,0,1] neg_hi:[0,0,1]
	v_pk_fma_f32 v[32:33], v[32:33], v[48:49], v[64:65] op_sel:[0,0,1] op_sel_hi:[1,0,0]
	v_mov_b32_e32 v79, v29
	v_pk_mul_f32 v[68:69], v[36:37], v[68:69] op_sel_hi:[1,0]
	s_waitcnt vmcnt(7)
	v_pk_fma_f32 v[46:47], v[34:35], v[50:51], v[66:67] op_sel:[0,0,1] op_sel_hi:[1,1,0] neg_lo:[0,0,1] neg_hi:[0,0,1]
	v_pk_fma_f32 v[34:35], v[34:35], v[50:51], v[66:67] op_sel:[0,0,1] op_sel_hi:[1,0,0]
	v_mov_b32_e32 v31, v33
	v_pk_add_f32 v[28:29], v[78:79], 0 op_sel_hi:[1,0]
	v_mov_b32_e32 v72, v57
	s_waitcnt lgkmcnt(1)
	v_pk_mul_f32 v[70:71], v[38:39], v[70:71] op_sel_hi:[1,0]
	s_waitcnt vmcnt(6)
	v_pk_fma_f32 v[48:49], v[36:37], v[52:53], v[68:69] op_sel:[0,0,1] op_sel_hi:[1,1,0] neg_lo:[0,0,1] neg_hi:[0,0,1]
	v_pk_fma_f32 v[36:37], v[36:37], v[52:53], v[68:69] op_sel:[0,0,1] op_sel_hi:[1,0,0]
	v_mov_b32_e32 v47, v35
	v_pk_add_f32 v[28:29], v[28:29], v[30:31]
	v_mov_b32_e32 v74, v59
	v_pk_mul_f32 v[72:73], v[40:41], v[72:73] op_sel_hi:[1,0]
	s_waitcnt vmcnt(5)
	v_pk_fma_f32 v[50:51], v[38:39], v[54:55], v[70:71] op_sel:[0,0,1] op_sel_hi:[1,1,0] neg_lo:[0,0,1] neg_hi:[0,0,1]
	v_pk_fma_f32 v[38:39], v[38:39], v[54:55], v[70:71] op_sel:[0,0,1] op_sel_hi:[1,0,0]
	v_mov_b32_e32 v49, v37
	v_pk_add_f32 v[28:29], v[28:29], v[46:47]
	v_mov_b32_e32 v76, v61
	s_waitcnt lgkmcnt(0)
	v_pk_mul_f32 v[74:75], v[42:43], v[74:75] op_sel_hi:[1,0]
	s_waitcnt vmcnt(4)
	v_pk_fma_f32 v[52:53], v[40:41], v[56:57], v[72:73] op_sel:[0,0,1] op_sel_hi:[1,1,0] neg_lo:[0,0,1] neg_hi:[0,0,1]
	v_pk_fma_f32 v[40:41], v[40:41], v[56:57], v[72:73] op_sel:[0,0,1] op_sel_hi:[1,0,0]
	v_mov_b32_e32 v51, v39
	v_pk_add_f32 v[28:29], v[28:29], v[48:49]
	v_pk_mul_f32 v[76:77], v[44:45], v[76:77] op_sel_hi:[1,0]
	s_waitcnt vmcnt(3)
	v_pk_fma_f32 v[54:55], v[42:43], v[58:59], v[74:75] op_sel:[0,0,1] op_sel_hi:[1,1,0] neg_lo:[0,0,1] neg_hi:[0,0,1]
	v_pk_fma_f32 v[42:43], v[42:43], v[58:59], v[74:75] op_sel:[0,0,1] op_sel_hi:[1,0,0]
	v_mov_b32_e32 v53, v41
	v_pk_add_f32 v[28:29], v[28:29], v[50:51]
	s_waitcnt vmcnt(2)
	v_pk_fma_f32 v[56:57], v[44:45], v[60:61], v[76:77] op_sel:[0,0,1] op_sel_hi:[1,1,0] neg_lo:[0,0,1] neg_hi:[0,0,1]
	v_pk_fma_f32 v[44:45], v[44:45], v[60:61], v[76:77] op_sel:[0,0,1] op_sel_hi:[1,0,0]
	v_mov_b32_e32 v55, v43
	v_pk_add_f32 v[28:29], v[28:29], v[52:53]
	v_mov_b32_e32 v57, v45
	v_pk_add_f32 v[28:29], v[28:29], v[54:55]
	v_pk_add_f32 v[28:29], v[28:29], v[56:57]
	s_waitcnt vmcnt(0)
	v_pk_add_f32 v[28:29], v[62:63], v[28:29] neg_lo:[0,1] neg_hi:[0,1]
	buffer_store_dword v28, off, s[0:3], 0 offset:32
	buffer_store_dword v29, off, s[0:3], 0 offset:36
	s_and_saveexec_b64 s[4:5], vcc
	s_cbranch_execz .LBB76_85
; %bb.84:
	buffer_load_dword v28, off, s[0:3], 0 offset:24
	buffer_load_dword v29, off, s[0:3], 0 offset:28
	v_mov_b32_e32 v30, 0
	buffer_store_dword v30, off, s[0:3], 0 offset:24
	buffer_store_dword v30, off, s[0:3], 0 offset:28
	s_waitcnt vmcnt(2)
	ds_write_b64 v1, v[28:29]
.LBB76_85:
	s_or_b64 exec, exec, s[4:5]
	s_waitcnt lgkmcnt(0)
	; wave barrier
	s_waitcnt lgkmcnt(0)
	buffer_load_dword v29, off, s[0:3], 0 offset:36
	buffer_load_dword v47, off, s[0:3], 0 offset:44
	;; [unrolled: 1-line block ×20, first 2 shown]
	v_mov_b32_e32 v28, 0
	ds_read_b128 v[30:33], v28 offset:144
	ds_read_b128 v[34:37], v28 offset:160
	;; [unrolled: 1-line block ×4, first 2 shown]
	ds_read_b64 v[64:65], v28 offset:208
	v_cmp_lt_u32_e32 vcc, 2, v0
	s_waitcnt vmcnt(19) lgkmcnt(4)
	v_mul_f32_e32 v67, v30, v29
	v_mul_f32_e32 v29, v31, v29
	s_waitcnt vmcnt(18)
	v_mov_b32_e32 v68, v47
	s_waitcnt vmcnt(17)
	v_mov_b32_e32 v70, v49
	;; [unrolled: 2-line block ×8, first 2 shown]
	s_waitcnt vmcnt(10)
	v_fmac_f32_e32 v67, v31, v66
	v_fma_f32 v66, v30, v66, -v29
	v_pk_mul_f32 v[30:31], v[32:33], v[68:69] op_sel_hi:[1,0]
	s_waitcnt lgkmcnt(3)
	v_pk_mul_f32 v[68:69], v[34:35], v[70:71] op_sel_hi:[1,0]
	v_pk_mul_f32 v[70:71], v[36:37], v[72:73] op_sel_hi:[1,0]
	s_waitcnt lgkmcnt(2)
	v_pk_mul_f32 v[72:73], v[38:39], v[74:75] op_sel_hi:[1,0]
	v_pk_mul_f32 v[74:75], v[40:41], v[76:77] op_sel_hi:[1,0]
	s_waitcnt lgkmcnt(1)
	v_pk_mul_f32 v[76:77], v[42:43], v[78:79] op_sel_hi:[1,0]
	v_pk_mul_f32 v[78:79], v[44:45], v[80:81] op_sel_hi:[1,0]
	s_waitcnt lgkmcnt(0)
	v_pk_mul_f32 v[80:81], v[64:65], v[82:83] op_sel_hi:[1,0]
	s_waitcnt vmcnt(9)
	v_pk_fma_f32 v[82:83], v[32:33], v[46:47], v[30:31] op_sel:[0,0,1] op_sel_hi:[1,1,0] neg_lo:[0,0,1] neg_hi:[0,0,1]
	v_pk_fma_f32 v[30:31], v[32:33], v[46:47], v[30:31] op_sel:[0,0,1] op_sel_hi:[1,0,0]
	v_pk_add_f32 v[66:67], v[66:67], 0 op_sel_hi:[1,0]
	s_waitcnt vmcnt(8)
	v_pk_fma_f32 v[32:33], v[34:35], v[48:49], v[68:69] op_sel:[0,0,1] op_sel_hi:[1,1,0] neg_lo:[0,0,1] neg_hi:[0,0,1]
	v_pk_fma_f32 v[34:35], v[34:35], v[48:49], v[68:69] op_sel:[0,0,1] op_sel_hi:[1,0,0]
	v_mov_b32_e32 v83, v31
	s_waitcnt vmcnt(7)
	v_pk_fma_f32 v[46:47], v[36:37], v[50:51], v[70:71] op_sel:[0,0,1] op_sel_hi:[1,1,0] neg_lo:[0,0,1] neg_hi:[0,0,1]
	v_pk_fma_f32 v[36:37], v[36:37], v[50:51], v[70:71] op_sel:[0,0,1] op_sel_hi:[1,0,0]
	v_mov_b32_e32 v33, v35
	v_pk_add_f32 v[30:31], v[66:67], v[82:83]
	s_waitcnt vmcnt(6)
	v_pk_fma_f32 v[48:49], v[38:39], v[52:53], v[72:73] op_sel:[0,0,1] op_sel_hi:[1,1,0] neg_lo:[0,0,1] neg_hi:[0,0,1]
	v_pk_fma_f32 v[38:39], v[38:39], v[52:53], v[72:73] op_sel:[0,0,1] op_sel_hi:[1,0,0]
	v_mov_b32_e32 v47, v37
	v_pk_add_f32 v[30:31], v[30:31], v[32:33]
	;; [unrolled: 5-line block ×5, first 2 shown]
	v_pk_fma_f32 v[56:57], v[64:65], v[60:61], v[80:81] op_sel:[0,0,1] op_sel_hi:[1,1,0] neg_lo:[0,0,1] neg_hi:[0,0,1]
	v_pk_fma_f32 v[58:59], v[64:65], v[60:61], v[80:81] op_sel:[0,0,1] op_sel_hi:[1,0,0]
	v_mov_b32_e32 v55, v45
	v_pk_add_f32 v[30:31], v[30:31], v[52:53]
	v_mov_b32_e32 v57, v59
	v_pk_add_f32 v[30:31], v[30:31], v[54:55]
	v_pk_add_f32 v[30:31], v[30:31], v[56:57]
	s_waitcnt vmcnt(0)
	v_pk_add_f32 v[30:31], v[62:63], v[30:31] neg_lo:[0,1] neg_hi:[0,1]
	buffer_store_dword v30, off, s[0:3], 0 offset:24
	buffer_store_dword v31, off, s[0:3], 0 offset:28
	s_and_saveexec_b64 s[4:5], vcc
	s_cbranch_execz .LBB76_87
; %bb.86:
	buffer_load_dword v30, off, s[0:3], 0 offset:16
	buffer_load_dword v31, off, s[0:3], 0 offset:20
	s_waitcnt vmcnt(0)
	ds_write_b64 v1, v[30:31]
	buffer_store_dword v28, off, s[0:3], 0 offset:16
	buffer_store_dword v28, off, s[0:3], 0 offset:20
.LBB76_87:
	s_or_b64 exec, exec, s[4:5]
	s_waitcnt lgkmcnt(0)
	; wave barrier
	s_waitcnt lgkmcnt(0)
	buffer_load_dword v68, off, s[0:3], 0 offset:28
	buffer_load_dword v70, off, s[0:3], 0 offset:36
	;; [unrolled: 1-line block ×22, first 2 shown]
	ds_read2_b64 v[30:33], v28 offset0:17 offset1:18
	ds_read2_b64 v[34:37], v28 offset0:19 offset1:20
	;; [unrolled: 1-line block ×5, first 2 shown]
	v_cmp_lt_u32_e32 vcc, 1, v0
	s_waitcnt vmcnt(21) lgkmcnt(4)
	v_mul_f32_e32 v29, v30, v68
	s_waitcnt vmcnt(20)
	v_mul_f32_e32 v69, v32, v70
	v_mul_f32_e32 v28, v31, v68
	;; [unrolled: 1-line block ×3, first 2 shown]
	s_waitcnt vmcnt(19)
	v_mov_b32_e32 v70, v51
	s_waitcnt vmcnt(18)
	v_mov_b32_e32 v72, v53
	;; [unrolled: 2-line block ×5, first 2 shown]
	v_mov_b32_e32 v76, v57
	s_waitcnt vmcnt(11)
	v_fmac_f32_e32 v29, v31, v71
	v_fma_f32 v28, v30, v71, -v28
	s_waitcnt lgkmcnt(3)
	v_pk_mul_f32 v[30:31], v[34:35], v[70:71] op_sel_hi:[1,0]
	s_waitcnt vmcnt(10)
	v_fmac_f32_e32 v69, v33, v73
	v_fma_f32 v68, v32, v73, -v68
	v_pk_mul_f32 v[32:33], v[36:37], v[72:73] op_sel_hi:[1,0]
	s_waitcnt lgkmcnt(2)
	v_pk_mul_f32 v[70:71], v[38:39], v[74:75] op_sel_hi:[1,0]
	s_waitcnt lgkmcnt(1)
	;; [unrolled: 2-line block ×3, first 2 shown]
	v_pk_mul_f32 v[78:79], v[46:47], v[82:83] op_sel_hi:[1,0]
	v_pk_add_f32 v[28:29], v[28:29], 0 op_sel_hi:[1,0]
	s_waitcnt vmcnt(9)
	v_pk_fma_f32 v[82:83], v[34:35], v[50:51], v[30:31] op_sel:[0,0,1] op_sel_hi:[1,1,0] neg_lo:[0,0,1] neg_hi:[0,0,1]
	v_pk_fma_f32 v[30:31], v[34:35], v[50:51], v[30:31] op_sel:[0,0,1] op_sel_hi:[1,0,0]
	s_waitcnt vmcnt(8)
	v_pk_fma_f32 v[34:35], v[36:37], v[52:53], v[32:33] op_sel:[0,0,1] op_sel_hi:[1,1,0] neg_lo:[0,0,1] neg_hi:[0,0,1]
	v_pk_fma_f32 v[32:33], v[36:37], v[52:53], v[32:33] op_sel:[0,0,1] op_sel_hi:[1,0,0]
	v_pk_add_f32 v[28:29], v[28:29], v[68:69]
	v_mov_b32_e32 v83, v31
	v_pk_mul_f32 v[72:73], v[40:41], v[76:77] op_sel_hi:[1,0]
	s_waitcnt vmcnt(7)
	v_pk_fma_f32 v[36:37], v[38:39], v[54:55], v[70:71] op_sel:[0,0,1] op_sel_hi:[1,1,0] neg_lo:[0,0,1] neg_hi:[0,0,1]
	v_pk_fma_f32 v[38:39], v[38:39], v[54:55], v[70:71] op_sel:[0,0,1] op_sel_hi:[1,0,0]
	v_mov_b32_e32 v35, v33
	v_pk_add_f32 v[28:29], v[28:29], v[82:83]
	v_mov_b32_e32 v80, v61
	s_waitcnt vmcnt(6)
	v_pk_fma_f32 v[50:51], v[40:41], v[56:57], v[72:73] op_sel:[0,0,1] op_sel_hi:[1,1,0] neg_lo:[0,0,1] neg_hi:[0,0,1]
	v_pk_fma_f32 v[40:41], v[40:41], v[56:57], v[72:73] op_sel:[0,0,1] op_sel_hi:[1,0,0]
	v_mov_b32_e32 v37, v39
	v_pk_add_f32 v[28:29], v[28:29], v[34:35]
	v_pk_mul_f32 v[76:77], v[44:45], v[80:81] op_sel_hi:[1,0]
	s_waitcnt vmcnt(5)
	v_pk_fma_f32 v[52:53], v[42:43], v[58:59], v[74:75] op_sel:[0,0,1] op_sel_hi:[1,1,0] neg_lo:[0,0,1] neg_hi:[0,0,1]
	v_pk_fma_f32 v[42:43], v[42:43], v[58:59], v[74:75] op_sel:[0,0,1] op_sel_hi:[1,0,0]
	v_mov_b32_e32 v51, v41
	v_pk_add_f32 v[28:29], v[28:29], v[36:37]
	v_mov_b32_e32 v84, v65
	s_waitcnt vmcnt(2)
	v_pk_fma_f32 v[54:55], v[44:45], v[60:61], v[76:77] op_sel:[0,0,1] op_sel_hi:[1,1,0] neg_lo:[0,0,1] neg_hi:[0,0,1]
	v_pk_fma_f32 v[44:45], v[44:45], v[60:61], v[76:77] op_sel:[0,0,1] op_sel_hi:[1,0,0]
	v_mov_b32_e32 v53, v43
	v_pk_add_f32 v[28:29], v[28:29], v[50:51]
	v_pk_mul_f32 v[80:81], v[48:49], v[84:85] op_sel_hi:[1,0]
	v_pk_fma_f32 v[56:57], v[46:47], v[62:63], v[78:79] op_sel:[0,0,1] op_sel_hi:[1,1,0] neg_lo:[0,0,1] neg_hi:[0,0,1]
	v_pk_fma_f32 v[46:47], v[46:47], v[62:63], v[78:79] op_sel:[0,0,1] op_sel_hi:[1,0,0]
	v_mov_b32_e32 v55, v45
	v_pk_add_f32 v[28:29], v[28:29], v[52:53]
	v_pk_fma_f32 v[58:59], v[48:49], v[64:65], v[80:81] op_sel:[0,0,1] op_sel_hi:[1,1,0] neg_lo:[0,0,1] neg_hi:[0,0,1]
	v_pk_fma_f32 v[48:49], v[48:49], v[64:65], v[80:81] op_sel:[0,0,1] op_sel_hi:[1,0,0]
	v_mov_b32_e32 v57, v47
	v_pk_add_f32 v[28:29], v[28:29], v[54:55]
	v_mov_b32_e32 v59, v49
	v_pk_add_f32 v[28:29], v[28:29], v[56:57]
	v_pk_add_f32 v[28:29], v[28:29], v[58:59]
	s_waitcnt vmcnt(0)
	v_pk_add_f32 v[28:29], v[66:67], v[28:29] neg_lo:[0,1] neg_hi:[0,1]
	buffer_store_dword v28, off, s[0:3], 0 offset:16
	buffer_store_dword v29, off, s[0:3], 0 offset:20
	s_and_saveexec_b64 s[4:5], vcc
	s_cbranch_execz .LBB76_89
; %bb.88:
	buffer_load_dword v28, off, s[0:3], 0 offset:8
	buffer_load_dword v29, off, s[0:3], 0 offset:12
	v_mov_b32_e32 v30, 0
	buffer_store_dword v30, off, s[0:3], 0 offset:8
	buffer_store_dword v30, off, s[0:3], 0 offset:12
	s_waitcnt vmcnt(2)
	ds_write_b64 v1, v[28:29]
.LBB76_89:
	s_or_b64 exec, exec, s[4:5]
	s_waitcnt lgkmcnt(0)
	; wave barrier
	s_waitcnt lgkmcnt(0)
	buffer_load_dword v29, off, s[0:3], 0 offset:20
	buffer_load_dword v70, off, s[0:3], 0 offset:28
	;; [unrolled: 1-line block ×24, first 2 shown]
	v_mov_b32_e32 v28, 0
	ds_read_b128 v[30:33], v28 offset:128
	ds_read_b128 v[34:37], v28 offset:144
	;; [unrolled: 1-line block ×5, first 2 shown]
	ds_read_b64 v[68:69], v28 offset:208
	v_cmp_ne_u32_e32 vcc, 0, v0
	s_waitcnt vmcnt(23) lgkmcnt(5)
	v_mul_f32_e32 v83, v30, v29
	v_mul_f32_e32 v29, v31, v29
	s_waitcnt vmcnt(22)
	v_mul_f32_e32 v71, v32, v70
	s_waitcnt vmcnt(21) lgkmcnt(4)
	v_mul_f32_e32 v73, v34, v72
	v_mul_f32_e32 v70, v33, v70
	;; [unrolled: 1-line block ×3, first 2 shown]
	s_waitcnt vmcnt(20)
	v_mov_b32_e32 v74, v51
	s_waitcnt vmcnt(19)
	v_mov_b32_e32 v76, v53
	;; [unrolled: 2-line block ×5, first 2 shown]
	s_waitcnt vmcnt(12)
	v_fmac_f32_e32 v83, v31, v75
	v_fma_f32 v29, v30, v75, -v29
	v_mov_b32_e32 v84, v61
	s_waitcnt vmcnt(11)
	v_fmac_f32_e32 v71, v33, v77
	s_waitcnt vmcnt(10)
	v_fmac_f32_e32 v73, v35, v79
	v_fma_f32 v70, v32, v77, -v70
	v_fma_f32 v72, v34, v79, -v72
	v_pk_mul_f32 v[30:31], v[36:37], v[74:75] op_sel_hi:[1,0]
	s_waitcnt lgkmcnt(3)
	v_pk_mul_f32 v[32:33], v[38:39], v[76:77] op_sel_hi:[1,0]
	v_pk_mul_f32 v[34:35], v[40:41], v[78:79] op_sel_hi:[1,0]
	s_waitcnt lgkmcnt(2)
	v_pk_mul_f32 v[74:75], v[42:43], v[80:81] op_sel_hi:[1,0]
	v_pk_mul_f32 v[76:77], v[44:45], v[82:83] op_sel_hi:[1,0]
	v_add_f32_e32 v83, 0, v83
	v_add_f32_e32 v82, 0, v29
	s_waitcnt lgkmcnt(1)
	v_pk_mul_f32 v[78:79], v[46:47], v[84:85] op_sel_hi:[1,0]
	s_waitcnt vmcnt(9)
	v_pk_fma_f32 v[84:85], v[36:37], v[50:51], v[30:31] op_sel:[0,0,1] op_sel_hi:[1,1,0] neg_lo:[0,0,1] neg_hi:[0,0,1]
	v_pk_fma_f32 v[30:31], v[36:37], v[50:51], v[30:31] op_sel:[0,0,1] op_sel_hi:[1,0,0]
	s_waitcnt vmcnt(8)
	v_pk_fma_f32 v[36:37], v[38:39], v[52:53], v[32:33] op_sel:[0,0,1] op_sel_hi:[1,1,0] neg_lo:[0,0,1] neg_hi:[0,0,1]
	v_pk_fma_f32 v[32:33], v[38:39], v[52:53], v[32:33] op_sel:[0,0,1] op_sel_hi:[1,0,0]
	;; [unrolled: 3-line block ×4, first 2 shown]
	v_pk_add_f32 v[56:57], v[82:83], v[70:71]
	v_mov_b32_e32 v85, v31
	v_pk_add_f32 v[30:31], v[56:57], v[72:73]
	v_mov_b32_e32 v37, v33
	;; [unrolled: 2-line block ×4, first 2 shown]
	s_waitcnt vmcnt(2)
	v_pk_fma_f32 v[50:51], v[44:45], v[58:59], v[76:77] op_sel:[0,0,1] op_sel_hi:[1,1,0] neg_lo:[0,0,1] neg_hi:[0,0,1]
	v_pk_fma_f32 v[44:45], v[44:45], v[58:59], v[76:77] op_sel:[0,0,1] op_sel_hi:[1,0,0]
	v_mov_b32_e32 v41, v43
	v_pk_add_f32 v[30:31], v[30:31], v[38:39]
	v_mov_b32_e32 v88, v65
	v_pk_mul_f32 v[80:81], v[48:49], v[86:87] op_sel_hi:[1,0]
	v_pk_fma_f32 v[52:53], v[46:47], v[60:61], v[78:79] op_sel:[0,0,1] op_sel_hi:[1,1,0] neg_lo:[0,0,1] neg_hi:[0,0,1]
	v_pk_fma_f32 v[46:47], v[46:47], v[60:61], v[78:79] op_sel:[0,0,1] op_sel_hi:[1,0,0]
	v_mov_b32_e32 v51, v45
	v_pk_add_f32 v[30:31], v[30:31], v[40:41]
	v_pk_fma_f32 v[54:55], v[48:49], v[62:63], v[80:81] op_sel:[0,0,1] op_sel_hi:[1,1,0] neg_lo:[0,0,1] neg_hi:[0,0,1]
	v_pk_fma_f32 v[48:49], v[48:49], v[62:63], v[80:81] op_sel:[0,0,1] op_sel_hi:[1,0,0]
	v_mov_b32_e32 v53, v47
	v_pk_add_f32 v[30:31], v[30:31], v[50:51]
	s_waitcnt lgkmcnt(0)
	v_pk_mul_f32 v[32:33], v[68:69], v[88:89] op_sel_hi:[1,0]
	v_mov_b32_e32 v55, v49
	v_pk_add_f32 v[30:31], v[30:31], v[52:53]
	v_pk_fma_f32 v[34:35], v[68:69], v[64:65], v[32:33] op_sel:[0,0,1] op_sel_hi:[1,1,0] neg_lo:[0,0,1] neg_hi:[0,0,1]
	v_pk_fma_f32 v[32:33], v[68:69], v[64:65], v[32:33] op_sel:[0,0,1] op_sel_hi:[1,0,0]
	v_pk_add_f32 v[30:31], v[30:31], v[54:55]
	v_mov_b32_e32 v35, v33
	v_pk_add_f32 v[30:31], v[30:31], v[34:35]
	s_waitcnt vmcnt(0)
	v_pk_add_f32 v[30:31], v[66:67], v[30:31] neg_lo:[0,1] neg_hi:[0,1]
	buffer_store_dword v31, off, s[0:3], 0 offset:12
	buffer_store_dword v30, off, s[0:3], 0 offset:8
	s_and_saveexec_b64 s[4:5], vcc
	s_cbranch_execz .LBB76_91
; %bb.90:
	buffer_load_dword v30, off, s[0:3], 0
	buffer_load_dword v31, off, s[0:3], 0 offset:4
	s_waitcnt vmcnt(0)
	ds_write_b64 v1, v[30:31]
	buffer_store_dword v28, off, s[0:3], 0
	buffer_store_dword v28, off, s[0:3], 0 offset:4
.LBB76_91:
	s_or_b64 exec, exec, s[4:5]
	s_waitcnt lgkmcnt(0)
	; wave barrier
	s_waitcnt lgkmcnt(0)
	buffer_load_dword v70, off, s[0:3], 0 offset:12
	buffer_load_dword v72, off, s[0:3], 0 offset:20
	;; [unrolled: 1-line block ×24, first 2 shown]
	buffer_load_dword v68, off, s[0:3], 0
	buffer_load_dword v69, off, s[0:3], 0 offset:4
	ds_read2_b64 v[30:33], v28 offset0:15 offset1:16
	ds_read2_b64 v[34:37], v28 offset0:17 offset1:18
	;; [unrolled: 1-line block ×6, first 2 shown]
	s_and_b64 vcc, exec, s[16:17]
	s_waitcnt vmcnt(25) lgkmcnt(5)
	v_mul_f32_e32 v83, v30, v70
	v_mul_f32_e32 v28, v31, v70
	s_waitcnt vmcnt(24)
	v_mul_f32_e32 v84, v32, v72
	s_waitcnt vmcnt(23) lgkmcnt(4)
	v_mul_f32_e32 v29, v34, v73
	s_waitcnt vmcnt(22)
	v_mul_f32_e32 v71, v36, v74
	v_mul_f32_e32 v70, v33, v72
	;; [unrolled: 1-line block ×4, first 2 shown]
	s_waitcnt vmcnt(21)
	v_mov_b32_e32 v72, v1
	s_waitcnt vmcnt(20)
	v_mov_b32_e32 v74, v55
	;; [unrolled: 2-line block ×3, first 2 shown]
	s_waitcnt vmcnt(15)
	v_fmac_f32_e32 v83, v31, v75
	v_fma_f32 v86, v30, v75, -v28
	v_mov_b32_e32 v76, v57
	s_waitcnt vmcnt(14)
	v_fmac_f32_e32 v84, v33, v77
	s_waitcnt vmcnt(13)
	v_fmac_f32_e32 v29, v35, v79
	;; [unrolled: 2-line block ×3, first 2 shown]
	v_fma_f32 v87, v32, v77, -v70
	v_fma_f32 v28, v34, v79, -v73
	;; [unrolled: 1-line block ×3, first 2 shown]
	s_waitcnt lgkmcnt(3)
	v_pk_mul_f32 v[30:31], v[38:39], v[72:73] op_sel_hi:[1,0]
	v_pk_mul_f32 v[32:33], v[40:41], v[74:75] op_sel_hi:[1,0]
	s_waitcnt lgkmcnt(2)
	v_pk_mul_f32 v[36:37], v[44:45], v[78:79] op_sel_hi:[1,0]
	v_add_f32_e32 v78, 0, v83
	v_add_f32_e32 v79, 0, v86
	v_pk_mul_f32 v[34:35], v[42:43], v[76:77] op_sel_hi:[1,0]
	s_waitcnt vmcnt(11)
	v_pk_fma_f32 v[76:77], v[38:39], v[0:1], v[30:31] op_sel:[0,0,1] op_sel_hi:[1,1,0] neg_lo:[0,0,1] neg_hi:[0,0,1]
	v_pk_fma_f32 v[0:1], v[38:39], v[0:1], v[30:31] op_sel:[0,0,1] op_sel_hi:[1,0,0]
	s_waitcnt vmcnt(10)
	v_pk_fma_f32 v[30:31], v[40:41], v[54:55], v[32:33] op_sel:[0,0,1] op_sel_hi:[1,1,0] neg_lo:[0,0,1] neg_hi:[0,0,1]
	v_pk_fma_f32 v[32:33], v[40:41], v[54:55], v[32:33] op_sel:[0,0,1] op_sel_hi:[1,0,0]
	v_add_f32_e32 v55, v78, v84
	v_add_f32_e32 v54, v79, v87
	v_mov_b32_e32 v77, v1
	v_pk_add_f32 v[0:1], v[54:55], v[28:29]
	v_pk_add_f32 v[0:1], v[0:1], v[70:71]
	v_mov_b32_e32 v80, v61
	s_waitcnt vmcnt(9)
	v_pk_fma_f32 v[38:39], v[42:43], v[56:57], v[34:35] op_sel:[0,0,1] op_sel_hi:[1,1,0] neg_lo:[0,0,1] neg_hi:[0,0,1]
	v_pk_fma_f32 v[34:35], v[42:43], v[56:57], v[34:35] op_sel:[0,0,1] op_sel_hi:[1,0,0]
	v_mov_b32_e32 v31, v33
	v_pk_add_f32 v[0:1], v[0:1], v[76:77]
	v_mov_b32_e32 v82, v63
	s_waitcnt lgkmcnt(1)
	v_pk_mul_f32 v[72:73], v[46:47], v[80:81] op_sel_hi:[1,0]
	s_waitcnt vmcnt(5)
	v_pk_fma_f32 v[40:41], v[44:45], v[58:59], v[36:37] op_sel:[0,0,1] op_sel_hi:[1,1,0] neg_lo:[0,0,1] neg_hi:[0,0,1]
	v_pk_fma_f32 v[36:37], v[44:45], v[58:59], v[36:37] op_sel:[0,0,1] op_sel_hi:[1,0,0]
	v_mov_b32_e32 v39, v35
	v_pk_add_f32 v[0:1], v[0:1], v[30:31]
	s_waitcnt vmcnt(4)
	v_mov_b32_e32 v28, v65
	v_pk_mul_f32 v[74:75], v[48:49], v[82:83] op_sel_hi:[1,0]
	v_pk_fma_f32 v[42:43], v[46:47], v[60:61], v[72:73] op_sel:[0,0,1] op_sel_hi:[1,1,0] neg_lo:[0,0,1] neg_hi:[0,0,1]
	v_pk_fma_f32 v[44:45], v[46:47], v[60:61], v[72:73] op_sel:[0,0,1] op_sel_hi:[1,0,0]
	v_mov_b32_e32 v41, v37
	v_pk_add_f32 v[0:1], v[0:1], v[38:39]
	s_waitcnt lgkmcnt(0)
	v_pk_mul_f32 v[28:29], v[50:51], v[28:29] op_sel_hi:[1,0]
	v_pk_fma_f32 v[46:47], v[48:49], v[62:63], v[74:75] op_sel:[0,0,1] op_sel_hi:[1,1,0] neg_lo:[0,0,1] neg_hi:[0,0,1]
	v_pk_fma_f32 v[48:49], v[48:49], v[62:63], v[74:75] op_sel:[0,0,1] op_sel_hi:[1,0,0]
	v_mov_b32_e32 v43, v45
	v_pk_add_f32 v[0:1], v[0:1], v[40:41]
	v_pk_fma_f32 v[30:31], v[50:51], v[64:65], v[28:29] op_sel:[0,0,1] op_sel_hi:[1,1,0] neg_lo:[0,0,1] neg_hi:[0,0,1]
	v_pk_fma_f32 v[28:29], v[50:51], v[64:65], v[28:29] op_sel:[0,0,1] op_sel_hi:[1,0,0]
	v_mov_b32_e32 v47, v49
	v_pk_add_f32 v[0:1], v[0:1], v[42:43]
	s_waitcnt vmcnt(3)
	v_mov_b32_e32 v28, v67
	v_pk_add_f32 v[0:1], v[0:1], v[46:47]
	v_mov_b32_e32 v31, v29
	v_pk_mul_f32 v[28:29], v[52:53], v[28:29] op_sel_hi:[1,0]
	v_pk_add_f32 v[0:1], v[0:1], v[30:31]
	s_waitcnt vmcnt(2)
	v_pk_fma_f32 v[30:31], v[52:53], v[66:67], v[28:29] op_sel:[0,0,1] op_sel_hi:[1,1,0] neg_lo:[0,0,1] neg_hi:[0,0,1]
	v_pk_fma_f32 v[28:29], v[52:53], v[66:67], v[28:29] op_sel:[0,0,1] op_sel_hi:[1,0,0]
	v_mov_b32_e32 v31, v29
	v_pk_add_f32 v[0:1], v[0:1], v[30:31]
	s_waitcnt vmcnt(0)
	v_pk_add_f32 v[0:1], v[68:69], v[0:1] neg_lo:[0,1] neg_hi:[0,1]
	buffer_store_dword v1, off, s[0:3], 0 offset:4
	buffer_store_dword v0, off, s[0:3], 0
	s_cbranch_vccz .LBB76_117
; %bb.92:
	v_pk_mov_b32 v[0:1], s[10:11], s[10:11] op_sel:[0,1]
	flat_load_dword v0, v[0:1] offset:44
	s_waitcnt vmcnt(0) lgkmcnt(0)
	v_add_u32_e32 v0, -1, v0
	v_cmp_ne_u32_e32 vcc, 11, v0
	s_and_saveexec_b64 s[4:5], vcc
	s_cbranch_execz .LBB76_94
; %bb.93:
	v_mov_b32_e32 v1, 0
	v_lshl_add_u32 v0, v0, 3, v1
	buffer_load_dword v1, v0, s[0:3], 0 offen
	buffer_load_dword v28, v0, s[0:3], 0 offen offset:4
	buffer_load_dword v29, off, s[0:3], 0 offset:88
	buffer_load_dword v30, off, s[0:3], 0 offset:92
	s_waitcnt vmcnt(3)
	buffer_store_dword v1, off, s[0:3], 0 offset:88
	s_waitcnt vmcnt(3)
	buffer_store_dword v28, off, s[0:3], 0 offset:92
	s_waitcnt vmcnt(3)
	buffer_store_dword v29, v0, s[0:3], 0 offen
	s_waitcnt vmcnt(3)
	buffer_store_dword v30, v0, s[0:3], 0 offen offset:4
.LBB76_94:
	s_or_b64 exec, exec, s[4:5]
	v_pk_mov_b32 v[0:1], s[10:11], s[10:11] op_sel:[0,1]
	flat_load_dword v0, v[0:1] offset:40
	s_waitcnt vmcnt(0) lgkmcnt(0)
	v_add_u32_e32 v0, -1, v0
	v_cmp_ne_u32_e32 vcc, 10, v0
	s_and_saveexec_b64 s[4:5], vcc
	s_cbranch_execz .LBB76_96
; %bb.95:
	v_mov_b32_e32 v1, 0
	v_lshl_add_u32 v0, v0, 3, v1
	buffer_load_dword v1, v0, s[0:3], 0 offen
	buffer_load_dword v28, v0, s[0:3], 0 offen offset:4
	buffer_load_dword v29, off, s[0:3], 0 offset:84
	buffer_load_dword v30, off, s[0:3], 0 offset:80
	s_waitcnt vmcnt(3)
	buffer_store_dword v1, off, s[0:3], 0 offset:80
	s_waitcnt vmcnt(3)
	buffer_store_dword v28, off, s[0:3], 0 offset:84
	s_waitcnt vmcnt(3)
	buffer_store_dword v29, v0, s[0:3], 0 offen offset:4
	s_waitcnt vmcnt(3)
	buffer_store_dword v30, v0, s[0:3], 0 offen
.LBB76_96:
	s_or_b64 exec, exec, s[4:5]
	v_pk_mov_b32 v[0:1], s[10:11], s[10:11] op_sel:[0,1]
	flat_load_dword v0, v[0:1] offset:36
	s_waitcnt vmcnt(0) lgkmcnt(0)
	v_add_u32_e32 v0, -1, v0
	v_cmp_ne_u32_e32 vcc, 9, v0
	s_and_saveexec_b64 s[4:5], vcc
	s_cbranch_execz .LBB76_98
; %bb.97:
	v_mov_b32_e32 v1, 0
	v_lshl_add_u32 v0, v0, 3, v1
	buffer_load_dword v1, v0, s[0:3], 0 offen
	buffer_load_dword v28, v0, s[0:3], 0 offen offset:4
	buffer_load_dword v29, off, s[0:3], 0 offset:72
	buffer_load_dword v30, off, s[0:3], 0 offset:76
	s_waitcnt vmcnt(3)
	buffer_store_dword v1, off, s[0:3], 0 offset:72
	s_waitcnt vmcnt(3)
	buffer_store_dword v28, off, s[0:3], 0 offset:76
	s_waitcnt vmcnt(3)
	buffer_store_dword v29, v0, s[0:3], 0 offen
	s_waitcnt vmcnt(3)
	buffer_store_dword v30, v0, s[0:3], 0 offen offset:4
.LBB76_98:
	s_or_b64 exec, exec, s[4:5]
	v_pk_mov_b32 v[0:1], s[10:11], s[10:11] op_sel:[0,1]
	flat_load_dword v0, v[0:1] offset:32
	s_waitcnt vmcnt(0) lgkmcnt(0)
	v_add_u32_e32 v0, -1, v0
	v_cmp_ne_u32_e32 vcc, 8, v0
	s_and_saveexec_b64 s[4:5], vcc
	s_cbranch_execz .LBB76_100
; %bb.99:
	v_mov_b32_e32 v1, 0
	v_lshl_add_u32 v0, v0, 3, v1
	buffer_load_dword v1, v0, s[0:3], 0 offen
	buffer_load_dword v28, v0, s[0:3], 0 offen offset:4
	buffer_load_dword v29, off, s[0:3], 0 offset:68
	buffer_load_dword v30, off, s[0:3], 0 offset:64
	s_waitcnt vmcnt(3)
	buffer_store_dword v1, off, s[0:3], 0 offset:64
	s_waitcnt vmcnt(3)
	buffer_store_dword v28, off, s[0:3], 0 offset:68
	s_waitcnt vmcnt(3)
	buffer_store_dword v29, v0, s[0:3], 0 offen offset:4
	s_waitcnt vmcnt(3)
	buffer_store_dword v30, v0, s[0:3], 0 offen
.LBB76_100:
	s_or_b64 exec, exec, s[4:5]
	;; [unrolled: 48-line block ×5, first 2 shown]
	v_pk_mov_b32 v[0:1], s[10:11], s[10:11] op_sel:[0,1]
	flat_load_dword v0, v[0:1] offset:4
	s_waitcnt vmcnt(0) lgkmcnt(0)
	v_add_u32_e32 v0, -1, v0
	v_cmp_ne_u32_e32 vcc, 1, v0
	s_and_saveexec_b64 s[4:5], vcc
	s_cbranch_execz .LBB76_114
; %bb.113:
	v_mov_b32_e32 v1, 0
	v_lshl_add_u32 v0, v0, 3, v1
	buffer_load_dword v1, v0, s[0:3], 0 offen
	buffer_load_dword v28, v0, s[0:3], 0 offen offset:4
	buffer_load_dword v29, off, s[0:3], 0 offset:8
	buffer_load_dword v30, off, s[0:3], 0 offset:12
	s_waitcnt vmcnt(3)
	buffer_store_dword v1, off, s[0:3], 0 offset:8
	s_waitcnt vmcnt(3)
	buffer_store_dword v28, off, s[0:3], 0 offset:12
	s_waitcnt vmcnt(3)
	buffer_store_dword v29, v0, s[0:3], 0 offen
	s_waitcnt vmcnt(3)
	buffer_store_dword v30, v0, s[0:3], 0 offen offset:4
.LBB76_114:
	s_or_b64 exec, exec, s[4:5]
	v_pk_mov_b32 v[0:1], s[10:11], s[10:11] op_sel:[0,1]
	flat_load_dword v28, v[0:1]
	s_nop 0
	buffer_load_dword v0, off, s[0:3], 0
	buffer_load_dword v1, off, s[0:3], 0 offset:4
	s_waitcnt vmcnt(0) lgkmcnt(0)
	v_add_u32_e32 v28, -1, v28
	v_cmp_ne_u32_e32 vcc, 0, v28
	s_and_saveexec_b64 s[4:5], vcc
	s_cbranch_execz .LBB76_116
; %bb.115:
	v_mov_b32_e32 v29, 0
	v_lshl_add_u32 v28, v28, 3, v29
	buffer_load_dword v29, v28, s[0:3], 0 offen offset:4
	buffer_load_dword v30, v28, s[0:3], 0 offen
	s_waitcnt vmcnt(1)
	buffer_store_dword v29, off, s[0:3], 0 offset:4
	s_waitcnt vmcnt(1)
	buffer_store_dword v30, off, s[0:3], 0
	buffer_store_dword v1, v28, s[0:3], 0 offen offset:4
	buffer_store_dword v0, v28, s[0:3], 0 offen
	buffer_load_dword v0, off, s[0:3], 0
	s_nop 0
	buffer_load_dword v1, off, s[0:3], 0 offset:4
.LBB76_116:
	s_or_b64 exec, exec, s[4:5]
.LBB76_117:
	buffer_load_dword v28, off, s[0:3], 0 offset:8
	buffer_load_dword v29, off, s[0:3], 0 offset:12
	;; [unrolled: 1-line block ×24, first 2 shown]
	s_waitcnt vmcnt(24)
	global_store_dwordx2 v[2:3], v[0:1], off
	s_waitcnt vmcnt(23)
	global_store_dwordx2 v[4:5], v[28:29], off
	;; [unrolled: 2-line block ×13, first 2 shown]
	s_endpgm
	.section	.rodata,"a",@progbits
	.p2align	6, 0x0
	.amdhsa_kernel _ZN9rocsolver6v33100L18getri_kernel_smallILi13E19rocblas_complex_numIfEPKPS3_EEvT1_iilPiilS8_bb
		.amdhsa_group_segment_fixed_size 216
		.amdhsa_private_segment_fixed_size 112
		.amdhsa_kernarg_size 60
		.amdhsa_user_sgpr_count 8
		.amdhsa_user_sgpr_private_segment_buffer 1
		.amdhsa_user_sgpr_dispatch_ptr 0
		.amdhsa_user_sgpr_queue_ptr 0
		.amdhsa_user_sgpr_kernarg_segment_ptr 1
		.amdhsa_user_sgpr_dispatch_id 0
		.amdhsa_user_sgpr_flat_scratch_init 1
		.amdhsa_user_sgpr_kernarg_preload_length 0
		.amdhsa_user_sgpr_kernarg_preload_offset 0
		.amdhsa_user_sgpr_private_segment_size 0
		.amdhsa_uses_dynamic_stack 0
		.amdhsa_system_sgpr_private_segment_wavefront_offset 1
		.amdhsa_system_sgpr_workgroup_id_x 1
		.amdhsa_system_sgpr_workgroup_id_y 0
		.amdhsa_system_sgpr_workgroup_id_z 0
		.amdhsa_system_sgpr_workgroup_info 0
		.amdhsa_system_vgpr_workitem_id 0
		.amdhsa_next_free_vgpr 90
		.amdhsa_next_free_sgpr 22
		.amdhsa_accum_offset 92
		.amdhsa_reserve_vcc 1
		.amdhsa_reserve_flat_scratch 1
		.amdhsa_float_round_mode_32 0
		.amdhsa_float_round_mode_16_64 0
		.amdhsa_float_denorm_mode_32 3
		.amdhsa_float_denorm_mode_16_64 3
		.amdhsa_dx10_clamp 1
		.amdhsa_ieee_mode 1
		.amdhsa_fp16_overflow 0
		.amdhsa_tg_split 0
		.amdhsa_exception_fp_ieee_invalid_op 0
		.amdhsa_exception_fp_denorm_src 0
		.amdhsa_exception_fp_ieee_div_zero 0
		.amdhsa_exception_fp_ieee_overflow 0
		.amdhsa_exception_fp_ieee_underflow 0
		.amdhsa_exception_fp_ieee_inexact 0
		.amdhsa_exception_int_div_zero 0
	.end_amdhsa_kernel
	.section	.text._ZN9rocsolver6v33100L18getri_kernel_smallILi13E19rocblas_complex_numIfEPKPS3_EEvT1_iilPiilS8_bb,"axG",@progbits,_ZN9rocsolver6v33100L18getri_kernel_smallILi13E19rocblas_complex_numIfEPKPS3_EEvT1_iilPiilS8_bb,comdat
.Lfunc_end76:
	.size	_ZN9rocsolver6v33100L18getri_kernel_smallILi13E19rocblas_complex_numIfEPKPS3_EEvT1_iilPiilS8_bb, .Lfunc_end76-_ZN9rocsolver6v33100L18getri_kernel_smallILi13E19rocblas_complex_numIfEPKPS3_EEvT1_iilPiilS8_bb
                                        ; -- End function
	.section	.AMDGPU.csdata,"",@progbits
; Kernel info:
; codeLenInByte = 12948
; NumSgprs: 28
; NumVgprs: 90
; NumAgprs: 0
; TotalNumVgprs: 90
; ScratchSize: 112
; MemoryBound: 0
; FloatMode: 240
; IeeeMode: 1
; LDSByteSize: 216 bytes/workgroup (compile time only)
; SGPRBlocks: 3
; VGPRBlocks: 11
; NumSGPRsForWavesPerEU: 28
; NumVGPRsForWavesPerEU: 90
; AccumOffset: 92
; Occupancy: 5
; WaveLimiterHint : 1
; COMPUTE_PGM_RSRC2:SCRATCH_EN: 1
; COMPUTE_PGM_RSRC2:USER_SGPR: 8
; COMPUTE_PGM_RSRC2:TRAP_HANDLER: 0
; COMPUTE_PGM_RSRC2:TGID_X_EN: 1
; COMPUTE_PGM_RSRC2:TGID_Y_EN: 0
; COMPUTE_PGM_RSRC2:TGID_Z_EN: 0
; COMPUTE_PGM_RSRC2:TIDIG_COMP_CNT: 0
; COMPUTE_PGM_RSRC3_GFX90A:ACCUM_OFFSET: 22
; COMPUTE_PGM_RSRC3_GFX90A:TG_SPLIT: 0
	.section	.text._ZN9rocsolver6v33100L18getri_kernel_smallILi14E19rocblas_complex_numIfEPKPS3_EEvT1_iilPiilS8_bb,"axG",@progbits,_ZN9rocsolver6v33100L18getri_kernel_smallILi14E19rocblas_complex_numIfEPKPS3_EEvT1_iilPiilS8_bb,comdat
	.globl	_ZN9rocsolver6v33100L18getri_kernel_smallILi14E19rocblas_complex_numIfEPKPS3_EEvT1_iilPiilS8_bb ; -- Begin function _ZN9rocsolver6v33100L18getri_kernel_smallILi14E19rocblas_complex_numIfEPKPS3_EEvT1_iilPiilS8_bb
	.p2align	8
	.type	_ZN9rocsolver6v33100L18getri_kernel_smallILi14E19rocblas_complex_numIfEPKPS3_EEvT1_iilPiilS8_bb,@function
_ZN9rocsolver6v33100L18getri_kernel_smallILi14E19rocblas_complex_numIfEPKPS3_EEvT1_iilPiilS8_bb: ; @_ZN9rocsolver6v33100L18getri_kernel_smallILi14E19rocblas_complex_numIfEPKPS3_EEvT1_iilPiilS8_bb
; %bb.0:
	s_add_u32 flat_scratch_lo, s6, s9
	s_addc_u32 flat_scratch_hi, s7, 0
	s_add_u32 s0, s0, s9
	s_addc_u32 s1, s1, 0
	v_cmp_gt_u32_e32 vcc, 14, v0
	s_and_saveexec_b64 s[6:7], vcc
	s_cbranch_execz .LBB77_70
; %bb.1:
	s_load_dword s18, s[4:5], 0x38
	s_load_dwordx2 s[6:7], s[4:5], 0x0
	s_load_dwordx4 s[12:15], s[4:5], 0x28
	s_waitcnt lgkmcnt(0)
	s_bitcmp1_b32 s18, 8
	s_cselect_b64 s[16:17], -1, 0
	s_ashr_i32 s9, s8, 31
	s_lshl_b64 s[10:11], s[8:9], 3
	s_add_u32 s6, s6, s10
	s_addc_u32 s7, s7, s11
	s_load_dwordx2 s[6:7], s[6:7], 0x0
	s_bfe_u32 s10, s18, 0x10008
	s_cmp_eq_u32 s10, 0
                                        ; implicit-def: $sgpr10_sgpr11
	s_cbranch_scc1 .LBB77_3
; %bb.2:
	s_load_dword s10, s[4:5], 0x20
	s_load_dwordx2 s[20:21], s[4:5], 0x18
	s_mul_i32 s11, s8, s13
	s_mul_hi_u32 s13, s8, s12
	s_add_i32 s13, s13, s11
	s_mul_i32 s19, s9, s12
	s_add_i32 s13, s13, s19
	s_mul_i32 s12, s8, s12
	s_waitcnt lgkmcnt(0)
	s_ashr_i32 s11, s10, 31
	s_lshl_b64 s[12:13], s[12:13], 2
	s_add_u32 s12, s20, s12
	s_addc_u32 s13, s21, s13
	s_lshl_b64 s[10:11], s[10:11], 2
	s_add_u32 s10, s12, s10
	s_addc_u32 s11, s13, s11
.LBB77_3:
	s_load_dwordx2 s[4:5], s[4:5], 0x8
	v_lshlrev_b32_e32 v34, 3, v0
	s_waitcnt lgkmcnt(0)
	s_ashr_i32 s13, s4, 31
	s_mov_b32 s12, s4
	s_lshl_b64 s[12:13], s[12:13], 3
	s_add_u32 s6, s6, s12
	s_addc_u32 s7, s7, s13
	v_mov_b32_e32 v1, s7
	v_add_co_u32_e32 v2, vcc, s6, v34
	s_ashr_i32 s13, s5, 31
	s_mov_b32 s12, s5
	s_add_i32 s4, s5, s5
	v_addc_co_u32_e32 v3, vcc, 0, v1, vcc
	s_lshl_b64 s[12:13], s[12:13], 3
	v_add_u32_e32 v8, s4, v0
	v_mov_b32_e32 v1, s13
	v_add_co_u32_e32 v4, vcc, s12, v2
	v_ashrrev_i32_e32 v9, 31, v8
	v_addc_co_u32_e32 v5, vcc, v3, v1, vcc
	v_lshlrev_b64 v[6:7], 3, v[8:9]
	v_add_u32_e32 v10, s5, v8
	v_mov_b32_e32 v1, s7
	v_add_co_u32_e32 v6, vcc, s6, v6
	v_ashrrev_i32_e32 v11, 31, v10
	v_addc_co_u32_e32 v7, vcc, v1, v7, vcc
	v_lshlrev_b64 v[8:9], 3, v[10:11]
	v_add_u32_e32 v12, s5, v10
	v_add_co_u32_e32 v8, vcc, s6, v8
	v_ashrrev_i32_e32 v13, 31, v12
	v_addc_co_u32_e32 v9, vcc, v1, v9, vcc
	v_lshlrev_b64 v[10:11], 3, v[12:13]
	v_add_u32_e32 v14, s5, v12
	;; [unrolled: 5-line block ×9, first 2 shown]
	v_add_co_u32_e32 v24, vcc, s6, v24
	v_ashrrev_i32_e32 v29, 31, v28
	v_addc_co_u32_e32 v25, vcc, v1, v25, vcc
	v_lshlrev_b64 v[26:27], 3, v[28:29]
	v_add_co_u32_e32 v26, vcc, s6, v26
	global_load_dwordx2 v[30:31], v34, s[6:7]
	global_load_dwordx2 v[32:33], v[4:5], off
	global_load_dwordx2 v[36:37], v[6:7], off
	;; [unrolled: 1-line block ×8, first 2 shown]
	v_addc_co_u32_e32 v27, vcc, v1, v27, vcc
	global_load_dwordx2 v[50:51], v[20:21], off
	global_load_dwordx2 v[52:53], v[22:23], off
	;; [unrolled: 1-line block ×4, first 2 shown]
	v_add_u32_e32 v28, s5, v28
	v_ashrrev_i32_e32 v29, 31, v28
	v_lshlrev_b64 v[28:29], 3, v[28:29]
	v_add_co_u32_e32 v28, vcc, s6, v28
	v_addc_co_u32_e32 v29, vcc, v1, v29, vcc
	global_load_dwordx2 v[58:59], v[28:29], off
	s_bitcmp0_b32 s18, 0
	s_mov_b64 s[6:7], -1
	s_waitcnt vmcnt(13)
	buffer_store_dword v31, off, s[0:3], 0 offset:4
	buffer_store_dword v30, off, s[0:3], 0
	s_waitcnt vmcnt(14)
	buffer_store_dword v33, off, s[0:3], 0 offset:12
	buffer_store_dword v32, off, s[0:3], 0 offset:8
	s_waitcnt vmcnt(15)
	buffer_store_dword v37, off, s[0:3], 0 offset:20
	buffer_store_dword v36, off, s[0:3], 0 offset:16
	;; [unrolled: 3-line block ×13, first 2 shown]
	s_cbranch_scc1 .LBB77_68
; %bb.4:
	v_cmp_eq_u32_e64 s[4:5], 0, v0
	s_and_saveexec_b64 s[6:7], s[4:5]
	s_cbranch_execz .LBB77_6
; %bb.5:
	v_mov_b32_e32 v1, 0
	ds_write_b32 v1, v1 offset:224
.LBB77_6:
	s_or_b64 exec, exec, s[6:7]
	v_mov_b32_e32 v1, 0
	v_lshl_add_u32 v35, v0, 3, v1
	s_waitcnt lgkmcnt(0)
	; wave barrier
	s_waitcnt lgkmcnt(0)
	buffer_load_dword v1, v35, s[0:3], 0 offen
	buffer_load_dword v30, v35, s[0:3], 0 offen offset:4
	s_waitcnt vmcnt(1)
	v_cmp_eq_f32_e32 vcc, 0, v1
	s_waitcnt vmcnt(0)
	v_cmp_eq_f32_e64 s[6:7], 0, v30
	s_and_b64 s[6:7], vcc, s[6:7]
	s_and_saveexec_b64 s[12:13], s[6:7]
	s_cbranch_execz .LBB77_10
; %bb.7:
	v_mov_b32_e32 v1, 0
	ds_read_b32 v31, v1 offset:224
	v_add_u32_e32 v30, 1, v0
	s_waitcnt lgkmcnt(0)
	v_readfirstlane_b32 s6, v31
	s_cmp_eq_u32 s6, 0
	s_cselect_b64 s[18:19], -1, 0
	v_cmp_gt_i32_e32 vcc, s6, v30
	s_or_b64 s[18:19], s[18:19], vcc
	s_and_b64 exec, exec, s[18:19]
	s_cbranch_execz .LBB77_10
; %bb.8:
	s_mov_b64 s[18:19], 0
	v_mov_b32_e32 v31, s6
.LBB77_9:                               ; =>This Inner Loop Header: Depth=1
	ds_cmpst_rtn_b32 v31, v1, v31, v30 offset:224
	s_waitcnt lgkmcnt(0)
	v_cmp_ne_u32_e32 vcc, 0, v31
	v_cmp_le_i32_e64 s[6:7], v31, v30
	s_and_b64 s[6:7], vcc, s[6:7]
	s_and_b64 s[6:7], exec, s[6:7]
	s_or_b64 s[18:19], s[6:7], s[18:19]
	s_andn2_b64 exec, exec, s[18:19]
	s_cbranch_execnz .LBB77_9
.LBB77_10:
	s_or_b64 exec, exec, s[12:13]
	v_mov_b32_e32 v30, 0
	s_waitcnt lgkmcnt(0)
	; wave barrier
	ds_read_b32 v1, v30 offset:224
	s_and_saveexec_b64 s[6:7], s[4:5]
	s_cbranch_execz .LBB77_12
; %bb.11:
	s_lshl_b64 s[12:13], s[8:9], 2
	s_add_u32 s12, s14, s12
	s_addc_u32 s13, s15, s13
	s_waitcnt lgkmcnt(0)
	global_store_dword v30, v1, s[12:13]
.LBB77_12:
	s_or_b64 exec, exec, s[6:7]
	s_waitcnt lgkmcnt(0)
	v_cmp_ne_u32_e32 vcc, 0, v1
	s_mov_b64 s[6:7], 0
	s_cbranch_vccnz .LBB77_68
; %bb.13:
	buffer_load_dword v36, v35, s[0:3], 0 offen offset:4
	buffer_load_dword v31, v35, s[0:3], 0 offen
	s_waitcnt vmcnt(1)
	v_cmp_gt_f32_e32 vcc, 0, v36
	v_cndmask_b32_e64 v1, v36, -v36, vcc
	s_waitcnt vmcnt(0)
	v_cmp_gt_f32_e32 vcc, 0, v31
	v_cndmask_b32_e64 v30, v31, -v31, vcc
	v_cmp_ngt_f32_e32 vcc, v30, v1
                                        ; implicit-def: $vgpr1
                                        ; implicit-def: $vgpr30
	s_and_saveexec_b64 s[6:7], vcc
	s_xor_b64 s[6:7], exec, s[6:7]
                                        ; implicit-def: $vgpr32_vgpr33
	s_cbranch_execz .LBB77_15
; %bb.14:
	v_div_scale_f32 v1, s[12:13], v36, v36, v31
	v_rcp_f32_e32 v30, v1
	v_div_scale_f32 v32, vcc, v31, v36, v31
	v_fma_f32 v33, -v1, v30, 1.0
	v_fmac_f32_e32 v30, v33, v30
	v_mul_f32_e32 v33, v32, v30
	v_fma_f32 v37, -v1, v33, v32
	v_fmac_f32_e32 v33, v37, v30
	v_fma_f32 v1, -v1, v33, v32
	v_div_fmas_f32 v1, v1, v30, v33
	v_div_fixup_f32 v30, v1, v36, v31
	v_fmac_f32_e32 v36, v31, v30
	v_div_scale_f32 v1, s[12:13], v36, v36, -1.0
	v_rcp_f32_e32 v31, v1
	v_fma_f32 v32, -v1, v31, 1.0
	v_fmac_f32_e32 v31, v32, v31
	v_div_scale_f32 v32, vcc, -1.0, v36, -1.0
	v_mul_f32_e32 v33, v32, v31
	v_fma_f32 v37, -v1, v33, v32
	v_fmac_f32_e32 v33, v37, v31
	v_fma_f32 v1, -v1, v33, v32
	v_div_fmas_f32 v1, v1, v31, v33
	v_div_fixup_f32 v1, v1, v36, -1.0
	v_mul_f32_e32 v30, v30, v1
	v_xor_b32_e32 v32, 0x80000000, v30
                                        ; implicit-def: $vgpr31
                                        ; implicit-def: $vgpr36
.LBB77_15:
	s_andn2_saveexec_b64 s[6:7], s[6:7]
	s_cbranch_execz .LBB77_17
; %bb.16:
	v_div_scale_f32 v1, s[12:13], v31, v31, v36
	v_rcp_f32_e32 v30, v1
	v_div_scale_f32 v32, vcc, v36, v31, v36
	v_fma_f32 v33, -v1, v30, 1.0
	v_fmac_f32_e32 v30, v33, v30
	v_mul_f32_e32 v33, v32, v30
	v_fma_f32 v37, -v1, v33, v32
	v_fmac_f32_e32 v33, v37, v30
	v_fma_f32 v1, -v1, v33, v32
	v_div_fmas_f32 v1, v1, v30, v33
	v_div_fixup_f32 v1, v1, v31, v36
	v_fmac_f32_e32 v31, v36, v1
	v_div_scale_f32 v30, s[12:13], v31, v31, 1.0
	v_rcp_f32_e32 v32, v30
	v_fma_f32 v33, -v30, v32, 1.0
	v_fmac_f32_e32 v32, v33, v32
	v_div_scale_f32 v33, vcc, 1.0, v31, 1.0
	v_mul_f32_e32 v36, v33, v32
	v_fma_f32 v37, -v30, v36, v33
	v_fmac_f32_e32 v36, v37, v32
	v_fma_f32 v30, -v30, v36, v33
	v_div_fmas_f32 v30, v30, v32, v36
	v_div_fixup_f32 v32, v30, v31, 1.0
	v_xor_b32_e32 v30, 0x80000000, v32
	v_mul_f32_e64 v1, v1, -v32
.LBB77_17:
	s_or_b64 exec, exec, s[6:7]
	buffer_store_dword v1, v35, s[0:3], 0 offen offset:4
	buffer_store_dword v32, v35, s[0:3], 0 offen
	buffer_load_dword v33, off, s[0:3], 0 offset:12
	s_nop 0
	buffer_load_dword v32, off, s[0:3], 0 offset:8
	v_xor_b32_e32 v31, 0x80000000, v1
	v_add_u32_e32 v1, 0x70, v34
	s_waitcnt vmcnt(0)
	ds_write2_b64 v34, v[30:31], v[32:33] offset1:14
	s_waitcnt lgkmcnt(0)
	; wave barrier
	s_waitcnt lgkmcnt(0)
	s_and_saveexec_b64 s[6:7], s[4:5]
	s_cbranch_execz .LBB77_19
; %bb.18:
	buffer_load_dword v36, v35, s[0:3], 0 offen offset:4
	buffer_load_dword v37, v35, s[0:3], 0 offen
	ds_read_b64 v[30:31], v1
	v_mov_b32_e32 v32, 0
	ds_read_b64 v[32:33], v32 offset:8
	s_waitcnt vmcnt(1) lgkmcnt(1)
	v_mul_f32_e32 v38, v31, v36
	v_mul_f32_e32 v36, v30, v36
	s_waitcnt vmcnt(0)
	v_fmac_f32_e32 v36, v31, v37
	v_fma_f32 v30, v30, v37, -v38
	v_add_f32_e32 v31, 0, v36
	v_add_f32_e32 v30, 0, v30
	s_waitcnt lgkmcnt(0)
	v_mul_f32_e32 v36, v31, v33
	v_mul_f32_e32 v33, v30, v33
	v_fma_f32 v30, v30, v32, -v36
	v_fmac_f32_e32 v33, v31, v32
	buffer_store_dword v30, off, s[0:3], 0 offset:8
	buffer_store_dword v33, off, s[0:3], 0 offset:12
.LBB77_19:
	s_or_b64 exec, exec, s[6:7]
	s_waitcnt lgkmcnt(0)
	; wave barrier
	buffer_load_dword v30, off, s[0:3], 0 offset:16
	buffer_load_dword v31, off, s[0:3], 0 offset:20
	v_cmp_gt_u32_e32 vcc, 2, v0
	s_waitcnt vmcnt(0)
	ds_write_b64 v1, v[30:31]
	s_waitcnt lgkmcnt(0)
	; wave barrier
	s_waitcnt lgkmcnt(0)
	s_and_saveexec_b64 s[6:7], vcc
	s_cbranch_execz .LBB77_23
; %bb.20:
	buffer_load_dword v32, v35, s[0:3], 0 offen offset:4
	buffer_load_dword v33, v35, s[0:3], 0 offen
	ds_read_b64 v[30:31], v1
	s_waitcnt vmcnt(1) lgkmcnt(0)
	v_mul_f32_e32 v35, v31, v32
	v_mul_f32_e32 v32, v30, v32
	s_waitcnt vmcnt(0)
	v_fma_f32 v30, v30, v33, -v35
	v_fmac_f32_e32 v32, v31, v33
	v_add_f32_e32 v31, 0, v30
	v_add_f32_e32 v30, 0, v32
	s_and_saveexec_b64 s[12:13], s[4:5]
	s_cbranch_execz .LBB77_22
; %bb.21:
	buffer_load_dword v35, off, s[0:3], 0 offset:12
	buffer_load_dword v36, off, s[0:3], 0 offset:8
	v_mov_b32_e32 v32, 0
	ds_read_b64 v[32:33], v32 offset:120
	s_waitcnt vmcnt(1) lgkmcnt(0)
	v_mul_f32_e32 v37, v32, v35
	v_mul_f32_e32 v35, v33, v35
	s_waitcnt vmcnt(0)
	v_fmac_f32_e32 v37, v33, v36
	v_fma_f32 v32, v32, v36, -v35
	v_add_f32_e32 v30, v30, v37
	v_add_f32_e32 v31, v31, v32
.LBB77_22:
	s_or_b64 exec, exec, s[12:13]
	v_mov_b32_e32 v32, 0
	ds_read_b64 v[32:33], v32 offset:16
	s_waitcnt lgkmcnt(0)
	v_mul_f32_e32 v35, v30, v33
	v_mul_f32_e32 v33, v31, v33
	v_fma_f32 v31, v31, v32, -v35
	v_fmac_f32_e32 v33, v30, v32
	buffer_store_dword v31, off, s[0:3], 0 offset:16
	buffer_store_dword v33, off, s[0:3], 0 offset:20
.LBB77_23:
	s_or_b64 exec, exec, s[6:7]
	s_waitcnt lgkmcnt(0)
	; wave barrier
	buffer_load_dword v30, off, s[0:3], 0 offset:24
	buffer_load_dword v31, off, s[0:3], 0 offset:28
	v_cmp_gt_u32_e32 vcc, 3, v0
	s_waitcnt vmcnt(0)
	ds_write_b64 v1, v[30:31]
	v_add_u32_e32 v30, -1, v0
	s_waitcnt lgkmcnt(0)
	; wave barrier
	s_waitcnt lgkmcnt(0)
	s_and_saveexec_b64 s[4:5], vcc
	s_cbranch_execz .LBB77_27
; %bb.24:
	v_add_u32_e32 v32, -1, v0
	v_add_u32_e32 v33, 0x70, v34
	v_add_u32_e32 v35, 0, v34
	s_mov_b64 s[6:7], 0
	v_mov_b32_e32 v31, 0
	v_mov_b32_e32 v36, 0
.LBB77_25:                              ; =>This Inner Loop Header: Depth=1
	buffer_load_dword v37, v35, s[0:3], 0 offen offset:4
	buffer_load_dword v40, v35, s[0:3], 0 offen
	ds_read_b64 v[38:39], v33
	v_add_u32_e32 v32, 1, v32
	v_cmp_lt_u32_e32 vcc, 1, v32
	v_add_u32_e32 v33, 8, v33
	v_add_u32_e32 v35, 8, v35
	s_or_b64 s[6:7], vcc, s[6:7]
	s_waitcnt vmcnt(1) lgkmcnt(0)
	v_mul_f32_e32 v41, v39, v37
	v_mul_f32_e32 v37, v38, v37
	s_waitcnt vmcnt(0)
	v_fma_f32 v38, v38, v40, -v41
	v_fmac_f32_e32 v37, v39, v40
	v_add_f32_e32 v36, v36, v38
	v_add_f32_e32 v31, v31, v37
	s_andn2_b64 exec, exec, s[6:7]
	s_cbranch_execnz .LBB77_25
; %bb.26:
	s_or_b64 exec, exec, s[6:7]
	v_mov_b32_e32 v32, 0
	ds_read_b64 v[32:33], v32 offset:24
	s_waitcnt lgkmcnt(0)
	v_mul_f32_e32 v35, v31, v33
	v_mul_f32_e32 v33, v36, v33
	v_fma_f32 v35, v36, v32, -v35
	v_fmac_f32_e32 v33, v31, v32
	buffer_store_dword v35, off, s[0:3], 0 offset:24
	buffer_store_dword v33, off, s[0:3], 0 offset:28
.LBB77_27:
	s_or_b64 exec, exec, s[4:5]
	s_waitcnt lgkmcnt(0)
	; wave barrier
	buffer_load_dword v32, off, s[0:3], 0 offset:32
	buffer_load_dword v33, off, s[0:3], 0 offset:36
	v_cmp_gt_u32_e32 vcc, 4, v0
	s_waitcnt vmcnt(0)
	ds_write_b64 v1, v[32:33]
	s_waitcnt lgkmcnt(0)
	; wave barrier
	s_waitcnt lgkmcnt(0)
	s_and_saveexec_b64 s[4:5], vcc
	s_cbranch_execz .LBB77_31
; %bb.28:
	v_add_u32_e32 v32, -1, v0
	v_add_u32_e32 v33, 0x70, v34
	v_add_u32_e32 v35, 0, v34
	s_mov_b64 s[6:7], 0
	v_mov_b32_e32 v31, 0
	v_mov_b32_e32 v36, 0
.LBB77_29:                              ; =>This Inner Loop Header: Depth=1
	buffer_load_dword v37, v35, s[0:3], 0 offen offset:4
	buffer_load_dword v40, v35, s[0:3], 0 offen
	ds_read_b64 v[38:39], v33
	v_add_u32_e32 v32, 1, v32
	v_cmp_lt_u32_e32 vcc, 2, v32
	v_add_u32_e32 v33, 8, v33
	v_add_u32_e32 v35, 8, v35
	s_or_b64 s[6:7], vcc, s[6:7]
	s_waitcnt vmcnt(1) lgkmcnt(0)
	v_mul_f32_e32 v41, v39, v37
	v_mul_f32_e32 v37, v38, v37
	s_waitcnt vmcnt(0)
	v_fma_f32 v38, v38, v40, -v41
	v_fmac_f32_e32 v37, v39, v40
	v_add_f32_e32 v36, v36, v38
	v_add_f32_e32 v31, v31, v37
	s_andn2_b64 exec, exec, s[6:7]
	s_cbranch_execnz .LBB77_29
; %bb.30:
	s_or_b64 exec, exec, s[6:7]
	v_mov_b32_e32 v32, 0
	ds_read_b64 v[32:33], v32 offset:32
	s_waitcnt lgkmcnt(0)
	v_mul_f32_e32 v35, v31, v33
	v_mul_f32_e32 v33, v36, v33
	v_fma_f32 v35, v36, v32, -v35
	v_fmac_f32_e32 v33, v31, v32
	buffer_store_dword v35, off, s[0:3], 0 offset:32
	buffer_store_dword v33, off, s[0:3], 0 offset:36
.LBB77_31:
	s_or_b64 exec, exec, s[4:5]
	s_waitcnt lgkmcnt(0)
	; wave barrier
	buffer_load_dword v32, off, s[0:3], 0 offset:40
	buffer_load_dword v33, off, s[0:3], 0 offset:44
	v_cmp_gt_u32_e32 vcc, 5, v0
	s_waitcnt vmcnt(0)
	ds_write_b64 v1, v[32:33]
	;; [unrolled: 51-line block ×9, first 2 shown]
	s_waitcnt lgkmcnt(0)
	; wave barrier
	s_waitcnt lgkmcnt(0)
	s_and_saveexec_b64 s[4:5], vcc
	s_cbranch_execz .LBB77_63
; %bb.60:
	v_add_u32_e32 v32, -1, v0
	v_add_u32_e32 v33, 0x70, v34
	v_add_u32_e32 v35, 0, v34
	s_mov_b64 s[6:7], 0
	v_mov_b32_e32 v31, 0
	v_mov_b32_e32 v36, 0
.LBB77_61:                              ; =>This Inner Loop Header: Depth=1
	buffer_load_dword v37, v35, s[0:3], 0 offen offset:4
	buffer_load_dword v40, v35, s[0:3], 0 offen
	ds_read_b64 v[38:39], v33
	v_add_u32_e32 v32, 1, v32
	v_cmp_lt_u32_e32 vcc, 10, v32
	v_add_u32_e32 v33, 8, v33
	v_add_u32_e32 v35, 8, v35
	s_or_b64 s[6:7], vcc, s[6:7]
	s_waitcnt vmcnt(1) lgkmcnt(0)
	v_mul_f32_e32 v41, v39, v37
	v_mul_f32_e32 v37, v38, v37
	s_waitcnt vmcnt(0)
	v_fma_f32 v38, v38, v40, -v41
	v_fmac_f32_e32 v37, v39, v40
	v_add_f32_e32 v36, v36, v38
	v_add_f32_e32 v31, v31, v37
	s_andn2_b64 exec, exec, s[6:7]
	s_cbranch_execnz .LBB77_61
; %bb.62:
	s_or_b64 exec, exec, s[6:7]
	v_mov_b32_e32 v32, 0
	ds_read_b64 v[32:33], v32 offset:96
	s_waitcnt lgkmcnt(0)
	v_mul_f32_e32 v35, v31, v33
	v_mul_f32_e32 v33, v36, v33
	v_fma_f32 v35, v36, v32, -v35
	v_fmac_f32_e32 v33, v31, v32
	buffer_store_dword v35, off, s[0:3], 0 offset:96
	buffer_store_dword v33, off, s[0:3], 0 offset:100
.LBB77_63:
	s_or_b64 exec, exec, s[4:5]
	s_waitcnt lgkmcnt(0)
	; wave barrier
	buffer_load_dword v32, off, s[0:3], 0 offset:104
	buffer_load_dword v33, off, s[0:3], 0 offset:108
	v_cmp_ne_u32_e32 vcc, 13, v0
	s_waitcnt vmcnt(0)
	ds_write_b64 v1, v[32:33]
	s_waitcnt lgkmcnt(0)
	; wave barrier
	s_waitcnt lgkmcnt(0)
	s_and_saveexec_b64 s[4:5], vcc
	s_cbranch_execz .LBB77_67
; %bb.64:
	v_add_u32_e32 v31, 0x70, v34
	v_add_u32_e32 v32, 0, v34
	s_mov_b64 s[6:7], 0
	v_mov_b32_e32 v1, 0
	v_mov_b32_e32 v33, 0
.LBB77_65:                              ; =>This Inner Loop Header: Depth=1
	buffer_load_dword v36, v32, s[0:3], 0 offen offset:4
	buffer_load_dword v37, v32, s[0:3], 0 offen
	ds_read_b64 v[34:35], v31
	v_add_u32_e32 v30, 1, v30
	v_cmp_lt_u32_e32 vcc, 11, v30
	v_add_u32_e32 v31, 8, v31
	v_add_u32_e32 v32, 8, v32
	s_or_b64 s[6:7], vcc, s[6:7]
	s_waitcnt vmcnt(1) lgkmcnt(0)
	v_mul_f32_e32 v38, v35, v36
	v_mul_f32_e32 v36, v34, v36
	s_waitcnt vmcnt(0)
	v_fma_f32 v34, v34, v37, -v38
	v_fmac_f32_e32 v36, v35, v37
	v_add_f32_e32 v33, v33, v34
	v_add_f32_e32 v1, v1, v36
	s_andn2_b64 exec, exec, s[6:7]
	s_cbranch_execnz .LBB77_65
; %bb.66:
	s_or_b64 exec, exec, s[6:7]
	v_mov_b32_e32 v30, 0
	ds_read_b64 v[30:31], v30 offset:104
	s_waitcnt lgkmcnt(0)
	v_mul_f32_e32 v32, v1, v31
	v_mul_f32_e32 v31, v33, v31
	v_fma_f32 v32, v33, v30, -v32
	v_fmac_f32_e32 v31, v1, v30
	buffer_store_dword v32, off, s[0:3], 0 offset:104
	buffer_store_dword v31, off, s[0:3], 0 offset:108
.LBB77_67:
	s_or_b64 exec, exec, s[4:5]
	s_mov_b64 s[6:7], -1
	s_waitcnt lgkmcnt(0)
	; wave barrier
.LBB77_68:
	s_and_b64 vcc, exec, s[6:7]
	s_cbranch_vccz .LBB77_70
; %bb.69:
	s_lshl_b64 s[4:5], s[8:9], 2
	s_add_u32 s4, s14, s4
	s_addc_u32 s5, s15, s5
	v_mov_b32_e32 v1, 0
	global_load_dword v1, v1, s[4:5]
	s_waitcnt vmcnt(0)
	v_cmp_ne_u32_e32 vcc, 0, v1
	s_cbranch_vccz .LBB77_71
.LBB77_70:
	s_endpgm
.LBB77_71:
	v_mov_b32_e32 v1, 0x70
	v_lshl_add_u32 v1, v0, 3, v1
	v_cmp_eq_u32_e32 vcc, 13, v0
	s_and_saveexec_b64 s[4:5], vcc
	s_cbranch_execz .LBB77_73
; %bb.72:
	buffer_load_dword v30, off, s[0:3], 0 offset:96
	buffer_load_dword v31, off, s[0:3], 0 offset:100
	v_mov_b32_e32 v32, 0
	buffer_store_dword v32, off, s[0:3], 0 offset:96
	buffer_store_dword v32, off, s[0:3], 0 offset:100
	s_waitcnt vmcnt(2)
	ds_write_b64 v1, v[30:31]
.LBB77_73:
	s_or_b64 exec, exec, s[4:5]
	s_waitcnt lgkmcnt(0)
	; wave barrier
	s_waitcnt lgkmcnt(0)
	buffer_load_dword v33, off, s[0:3], 0 offset:108
	buffer_load_dword v32, off, s[0:3], 0 offset:104
	;; [unrolled: 1-line block ×4, first 2 shown]
	v_mov_b32_e32 v30, 0
	ds_read_b64 v[36:37], v30 offset:216
	v_cmp_lt_u32_e32 vcc, 11, v0
	s_waitcnt vmcnt(3)
	v_mov_b32_e32 v38, v33
	s_waitcnt lgkmcnt(0)
	v_pk_mul_f32 v[38:39], v[36:37], v[38:39] op_sel_hi:[1,0]
	s_waitcnt vmcnt(2)
	v_pk_fma_f32 v[40:41], v[36:37], v[32:33], v[38:39] op_sel:[0,0,1] op_sel_hi:[1,1,0] neg_lo:[0,0,1] neg_hi:[0,0,1]
	v_pk_fma_f32 v[32:33], v[36:37], v[32:33], v[38:39] op_sel:[0,0,1] op_sel_hi:[1,0,0]
	v_mov_b32_e32 v41, v33
	v_pk_add_f32 v[32:33], v[40:41], 0 op_sel_hi:[1,0]
	s_waitcnt vmcnt(0)
	v_pk_add_f32 v[32:33], v[34:35], v[32:33] neg_lo:[0,1] neg_hi:[0,1]
	buffer_store_dword v32, off, s[0:3], 0 offset:96
	buffer_store_dword v33, off, s[0:3], 0 offset:100
	s_and_saveexec_b64 s[4:5], vcc
	s_cbranch_execz .LBB77_75
; %bb.74:
	buffer_load_dword v32, off, s[0:3], 0 offset:88
	buffer_load_dword v33, off, s[0:3], 0 offset:92
	s_waitcnt vmcnt(0)
	ds_write_b64 v1, v[32:33]
	buffer_store_dword v30, off, s[0:3], 0 offset:88
	buffer_store_dword v30, off, s[0:3], 0 offset:92
.LBB77_75:
	s_or_b64 exec, exec, s[4:5]
	s_waitcnt lgkmcnt(0)
	; wave barrier
	s_waitcnt lgkmcnt(0)
	buffer_load_dword v35, off, s[0:3], 0 offset:100
	buffer_load_dword v37, off, s[0:3], 0 offset:108
	;; [unrolled: 1-line block ×6, first 2 shown]
	ds_read_b128 v[30:33], v30 offset:208
	v_cmp_lt_u32_e32 vcc, 10, v0
	s_waitcnt vmcnt(5)
	v_mov_b32_e32 v40, v35
	s_waitcnt vmcnt(4)
	v_mov_b32_e32 v42, v37
	s_waitcnt lgkmcnt(0)
	v_pk_mul_f32 v[40:41], v[30:31], v[40:41] op_sel_hi:[1,0]
	v_pk_mul_f32 v[42:43], v[32:33], v[42:43] op_sel_hi:[1,0]
	s_waitcnt vmcnt(3)
	v_pk_fma_f32 v[44:45], v[30:31], v[34:35], v[40:41] op_sel:[0,0,1] op_sel_hi:[1,1,0] neg_lo:[0,0,1] neg_hi:[0,0,1]
	v_pk_fma_f32 v[30:31], v[30:31], v[34:35], v[40:41] op_sel:[0,0,1] op_sel_hi:[1,0,0]
	s_waitcnt vmcnt(2)
	v_pk_fma_f32 v[34:35], v[32:33], v[36:37], v[42:43] op_sel:[0,0,1] op_sel_hi:[1,1,0] neg_lo:[0,0,1] neg_hi:[0,0,1]
	v_pk_fma_f32 v[32:33], v[32:33], v[36:37], v[42:43] op_sel:[0,0,1] op_sel_hi:[1,0,0]
	v_mov_b32_e32 v45, v31
	v_mov_b32_e32 v35, v33
	v_pk_add_f32 v[30:31], v[44:45], 0 op_sel_hi:[1,0]
	v_pk_add_f32 v[30:31], v[30:31], v[34:35]
	s_waitcnt vmcnt(0)
	v_pk_add_f32 v[30:31], v[38:39], v[30:31] neg_lo:[0,1] neg_hi:[0,1]
	buffer_store_dword v30, off, s[0:3], 0 offset:88
	buffer_store_dword v31, off, s[0:3], 0 offset:92
	s_and_saveexec_b64 s[4:5], vcc
	s_cbranch_execz .LBB77_77
; %bb.76:
	buffer_load_dword v30, off, s[0:3], 0 offset:80
	buffer_load_dword v31, off, s[0:3], 0 offset:84
	v_mov_b32_e32 v32, 0
	buffer_store_dword v32, off, s[0:3], 0 offset:80
	buffer_store_dword v32, off, s[0:3], 0 offset:84
	s_waitcnt vmcnt(2)
	ds_write_b64 v1, v[30:31]
.LBB77_77:
	s_or_b64 exec, exec, s[4:5]
	s_waitcnt lgkmcnt(0)
	; wave barrier
	s_waitcnt lgkmcnt(0)
	buffer_load_dword v37, off, s[0:3], 0 offset:92
	buffer_load_dword v39, off, s[0:3], 0 offset:100
	;; [unrolled: 1-line block ×8, first 2 shown]
	v_mov_b32_e32 v30, 0
	ds_read2_b64 v[32:35], v30 offset0:25 offset1:26
	ds_read_b64 v[44:45], v30 offset:216
	v_cmp_lt_u32_e32 vcc, 9, v0
	s_waitcnt vmcnt(7)
	v_mov_b32_e32 v46, v37
	s_waitcnt vmcnt(6)
	v_mov_b32_e32 v48, v39
	s_waitcnt lgkmcnt(1)
	v_pk_mul_f32 v[46:47], v[32:33], v[46:47] op_sel_hi:[1,0]
	s_waitcnt vmcnt(5)
	v_mov_b32_e32 v50, v41
	v_pk_mul_f32 v[48:49], v[34:35], v[48:49] op_sel_hi:[1,0]
	s_waitcnt vmcnt(4)
	v_pk_fma_f32 v[52:53], v[32:33], v[36:37], v[46:47] op_sel:[0,0,1] op_sel_hi:[1,1,0] neg_lo:[0,0,1] neg_hi:[0,0,1]
	v_pk_fma_f32 v[32:33], v[32:33], v[36:37], v[46:47] op_sel:[0,0,1] op_sel_hi:[1,0,0]
	s_waitcnt lgkmcnt(0)
	v_pk_mul_f32 v[50:51], v[44:45], v[50:51] op_sel_hi:[1,0]
	s_waitcnt vmcnt(3)
	v_pk_fma_f32 v[36:37], v[34:35], v[38:39], v[48:49] op_sel:[0,0,1] op_sel_hi:[1,1,0] neg_lo:[0,0,1] neg_hi:[0,0,1]
	v_pk_fma_f32 v[34:35], v[34:35], v[38:39], v[48:49] op_sel:[0,0,1] op_sel_hi:[1,0,0]
	v_mov_b32_e32 v53, v33
	s_waitcnt vmcnt(2)
	v_pk_fma_f32 v[38:39], v[44:45], v[40:41], v[50:51] op_sel:[0,0,1] op_sel_hi:[1,1,0] neg_lo:[0,0,1] neg_hi:[0,0,1]
	v_pk_fma_f32 v[40:41], v[44:45], v[40:41], v[50:51] op_sel:[0,0,1] op_sel_hi:[1,0,0]
	v_mov_b32_e32 v37, v35
	v_pk_add_f32 v[32:33], v[52:53], 0 op_sel_hi:[1,0]
	v_mov_b32_e32 v39, v41
	v_pk_add_f32 v[32:33], v[32:33], v[36:37]
	v_pk_add_f32 v[32:33], v[32:33], v[38:39]
	s_waitcnt vmcnt(0)
	v_pk_add_f32 v[32:33], v[42:43], v[32:33] neg_lo:[0,1] neg_hi:[0,1]
	buffer_store_dword v32, off, s[0:3], 0 offset:80
	buffer_store_dword v33, off, s[0:3], 0 offset:84
	s_and_saveexec_b64 s[4:5], vcc
	s_cbranch_execz .LBB77_79
; %bb.78:
	buffer_load_dword v32, off, s[0:3], 0 offset:72
	buffer_load_dword v33, off, s[0:3], 0 offset:76
	s_waitcnt vmcnt(0)
	ds_write_b64 v1, v[32:33]
	buffer_store_dword v30, off, s[0:3], 0 offset:72
	buffer_store_dword v30, off, s[0:3], 0 offset:76
.LBB77_79:
	s_or_b64 exec, exec, s[4:5]
	s_waitcnt lgkmcnt(0)
	; wave barrier
	s_waitcnt lgkmcnt(0)
	buffer_load_dword v41, off, s[0:3], 0 offset:84
	buffer_load_dword v43, off, s[0:3], 0 offset:92
	;; [unrolled: 1-line block ×10, first 2 shown]
	ds_read_b128 v[32:35], v30 offset:192
	ds_read_b128 v[36:39], v30 offset:208
	v_cmp_lt_u32_e32 vcc, 8, v0
	s_waitcnt vmcnt(9)
	v_mov_b32_e32 v30, v41
	s_waitcnt vmcnt(8)
	v_mov_b32_e32 v50, v43
	s_waitcnt lgkmcnt(1)
	v_pk_mul_f32 v[30:31], v[32:33], v[30:31] op_sel_hi:[1,0]
	s_waitcnt vmcnt(7)
	v_mov_b32_e32 v52, v45
	v_pk_mul_f32 v[50:51], v[34:35], v[50:51] op_sel_hi:[1,0]
	s_waitcnt vmcnt(5)
	v_pk_fma_f32 v[56:57], v[32:33], v[40:41], v[30:31] op_sel:[0,0,1] op_sel_hi:[1,1,0] neg_lo:[0,0,1] neg_hi:[0,0,1]
	v_pk_fma_f32 v[30:31], v[32:33], v[40:41], v[30:31] op_sel:[0,0,1] op_sel_hi:[1,0,0]
	v_mov_b32_e32 v54, v47
	s_waitcnt lgkmcnt(0)
	v_pk_mul_f32 v[52:53], v[36:37], v[52:53] op_sel_hi:[1,0]
	s_waitcnt vmcnt(4)
	v_pk_fma_f32 v[32:33], v[34:35], v[42:43], v[50:51] op_sel:[0,0,1] op_sel_hi:[1,1,0] neg_lo:[0,0,1] neg_hi:[0,0,1]
	v_pk_fma_f32 v[34:35], v[34:35], v[42:43], v[50:51] op_sel:[0,0,1] op_sel_hi:[1,0,0]
	v_mov_b32_e32 v57, v31
	v_pk_mul_f32 v[54:55], v[38:39], v[54:55] op_sel_hi:[1,0]
	s_waitcnt vmcnt(3)
	v_pk_fma_f32 v[40:41], v[36:37], v[44:45], v[52:53] op_sel:[0,0,1] op_sel_hi:[1,1,0] neg_lo:[0,0,1] neg_hi:[0,0,1]
	v_pk_fma_f32 v[36:37], v[36:37], v[44:45], v[52:53] op_sel:[0,0,1] op_sel_hi:[1,0,0]
	v_mov_b32_e32 v33, v35
	v_pk_add_f32 v[30:31], v[56:57], 0 op_sel_hi:[1,0]
	s_waitcnt vmcnt(2)
	v_pk_fma_f32 v[42:43], v[38:39], v[46:47], v[54:55] op_sel:[0,0,1] op_sel_hi:[1,1,0] neg_lo:[0,0,1] neg_hi:[0,0,1]
	v_pk_fma_f32 v[38:39], v[38:39], v[46:47], v[54:55] op_sel:[0,0,1] op_sel_hi:[1,0,0]
	v_mov_b32_e32 v41, v37
	v_pk_add_f32 v[30:31], v[30:31], v[32:33]
	v_mov_b32_e32 v43, v39
	v_pk_add_f32 v[30:31], v[30:31], v[40:41]
	v_pk_add_f32 v[30:31], v[30:31], v[42:43]
	s_waitcnt vmcnt(0)
	v_pk_add_f32 v[30:31], v[48:49], v[30:31] neg_lo:[0,1] neg_hi:[0,1]
	buffer_store_dword v30, off, s[0:3], 0 offset:72
	buffer_store_dword v31, off, s[0:3], 0 offset:76
	s_and_saveexec_b64 s[4:5], vcc
	s_cbranch_execz .LBB77_81
; %bb.80:
	buffer_load_dword v30, off, s[0:3], 0 offset:64
	buffer_load_dword v31, off, s[0:3], 0 offset:68
	v_mov_b32_e32 v32, 0
	buffer_store_dword v32, off, s[0:3], 0 offset:64
	buffer_store_dword v32, off, s[0:3], 0 offset:68
	s_waitcnt vmcnt(2)
	ds_write_b64 v1, v[30:31]
.LBB77_81:
	s_or_b64 exec, exec, s[4:5]
	s_waitcnt lgkmcnt(0)
	; wave barrier
	s_waitcnt lgkmcnt(0)
	buffer_load_dword v41, off, s[0:3], 0 offset:76
	buffer_load_dword v43, off, s[0:3], 0 offset:84
	;; [unrolled: 1-line block ×12, first 2 shown]
	v_mov_b32_e32 v30, 0
	ds_read2_b64 v[32:35], v30 offset0:23 offset1:24
	ds_read2_b64 v[36:39], v30 offset0:25 offset1:26
	ds_read_b64 v[52:53], v30 offset:216
	v_cmp_lt_u32_e32 vcc, 7, v0
	s_waitcnt vmcnt(11)
	v_mov_b32_e32 v54, v41
	s_waitcnt vmcnt(10)
	v_mov_b32_e32 v56, v43
	s_waitcnt lgkmcnt(2)
	v_pk_mul_f32 v[54:55], v[32:33], v[54:55] op_sel_hi:[1,0]
	s_waitcnt vmcnt(9)
	v_mov_b32_e32 v58, v45
	v_pk_mul_f32 v[56:57], v[34:35], v[56:57] op_sel_hi:[1,0]
	s_waitcnt vmcnt(6)
	v_pk_fma_f32 v[64:65], v[32:33], v[40:41], v[54:55] op_sel:[0,0,1] op_sel_hi:[1,1,0] neg_lo:[0,0,1] neg_hi:[0,0,1]
	v_pk_fma_f32 v[32:33], v[32:33], v[40:41], v[54:55] op_sel:[0,0,1] op_sel_hi:[1,0,0]
	v_mov_b32_e32 v60, v47
	s_waitcnt lgkmcnt(1)
	v_pk_mul_f32 v[58:59], v[36:37], v[58:59] op_sel_hi:[1,0]
	s_waitcnt vmcnt(5)
	v_pk_fma_f32 v[40:41], v[34:35], v[42:43], v[56:57] op_sel:[0,0,1] op_sel_hi:[1,1,0] neg_lo:[0,0,1] neg_hi:[0,0,1]
	v_pk_fma_f32 v[34:35], v[34:35], v[42:43], v[56:57] op_sel:[0,0,1] op_sel_hi:[1,0,0]
	v_mov_b32_e32 v65, v33
	v_mov_b32_e32 v62, v49
	v_pk_mul_f32 v[60:61], v[38:39], v[60:61] op_sel_hi:[1,0]
	s_waitcnt vmcnt(4)
	v_pk_fma_f32 v[42:43], v[36:37], v[44:45], v[58:59] op_sel:[0,0,1] op_sel_hi:[1,1,0] neg_lo:[0,0,1] neg_hi:[0,0,1]
	v_pk_fma_f32 v[36:37], v[36:37], v[44:45], v[58:59] op_sel:[0,0,1] op_sel_hi:[1,0,0]
	v_mov_b32_e32 v41, v35
	v_pk_add_f32 v[32:33], v[64:65], 0 op_sel_hi:[1,0]
	s_waitcnt lgkmcnt(0)
	v_pk_mul_f32 v[62:63], v[52:53], v[62:63] op_sel_hi:[1,0]
	s_waitcnt vmcnt(3)
	v_pk_fma_f32 v[44:45], v[38:39], v[46:47], v[60:61] op_sel:[0,0,1] op_sel_hi:[1,1,0] neg_lo:[0,0,1] neg_hi:[0,0,1]
	v_pk_fma_f32 v[38:39], v[38:39], v[46:47], v[60:61] op_sel:[0,0,1] op_sel_hi:[1,0,0]
	v_mov_b32_e32 v43, v37
	v_pk_add_f32 v[32:33], v[32:33], v[40:41]
	s_waitcnt vmcnt(2)
	v_pk_fma_f32 v[46:47], v[52:53], v[48:49], v[62:63] op_sel:[0,0,1] op_sel_hi:[1,1,0] neg_lo:[0,0,1] neg_hi:[0,0,1]
	v_pk_fma_f32 v[48:49], v[52:53], v[48:49], v[62:63] op_sel:[0,0,1] op_sel_hi:[1,0,0]
	v_mov_b32_e32 v45, v39
	v_pk_add_f32 v[32:33], v[32:33], v[42:43]
	v_mov_b32_e32 v47, v49
	v_pk_add_f32 v[32:33], v[32:33], v[44:45]
	v_pk_add_f32 v[32:33], v[32:33], v[46:47]
	s_waitcnt vmcnt(0)
	v_pk_add_f32 v[32:33], v[50:51], v[32:33] neg_lo:[0,1] neg_hi:[0,1]
	buffer_store_dword v32, off, s[0:3], 0 offset:64
	buffer_store_dword v33, off, s[0:3], 0 offset:68
	s_and_saveexec_b64 s[4:5], vcc
	s_cbranch_execz .LBB77_83
; %bb.82:
	buffer_load_dword v32, off, s[0:3], 0 offset:56
	buffer_load_dword v33, off, s[0:3], 0 offset:60
	s_waitcnt vmcnt(0)
	ds_write_b64 v1, v[32:33]
	buffer_store_dword v30, off, s[0:3], 0 offset:56
	buffer_store_dword v30, off, s[0:3], 0 offset:60
.LBB77_83:
	s_or_b64 exec, exec, s[4:5]
	s_waitcnt lgkmcnt(0)
	; wave barrier
	s_waitcnt lgkmcnt(0)
	buffer_load_dword v45, off, s[0:3], 0 offset:68
	buffer_load_dword v47, off, s[0:3], 0 offset:76
	;; [unrolled: 1-line block ×14, first 2 shown]
	ds_read_b128 v[32:35], v30 offset:176
	ds_read_b128 v[36:39], v30 offset:192
	;; [unrolled: 1-line block ×3, first 2 shown]
	v_cmp_lt_u32_e32 vcc, 6, v0
	s_waitcnt vmcnt(13)
	v_mov_b32_e32 v30, v45
	s_waitcnt vmcnt(12)
	v_mov_b32_e32 v58, v47
	s_waitcnt lgkmcnt(2)
	v_pk_mul_f32 v[30:31], v[32:33], v[30:31] op_sel_hi:[1,0]
	s_waitcnt vmcnt(11)
	v_mov_b32_e32 v60, v49
	v_pk_mul_f32 v[58:59], v[34:35], v[58:59] op_sel_hi:[1,0]
	s_waitcnt vmcnt(10)
	v_mov_b32_e32 v62, v51
	s_waitcnt vmcnt(7)
	v_pk_fma_f32 v[68:69], v[32:33], v[44:45], v[30:31] op_sel:[0,0,1] op_sel_hi:[1,1,0] neg_lo:[0,0,1] neg_hi:[0,0,1]
	v_pk_fma_f32 v[30:31], v[32:33], v[44:45], v[30:31] op_sel:[0,0,1] op_sel_hi:[1,0,0]
	s_waitcnt lgkmcnt(1)
	v_pk_mul_f32 v[60:61], v[36:37], v[60:61] op_sel_hi:[1,0]
	s_waitcnt vmcnt(6)
	v_pk_fma_f32 v[32:33], v[34:35], v[46:47], v[58:59] op_sel:[0,0,1] op_sel_hi:[1,1,0] neg_lo:[0,0,1] neg_hi:[0,0,1]
	v_pk_fma_f32 v[34:35], v[34:35], v[46:47], v[58:59] op_sel:[0,0,1] op_sel_hi:[1,0,0]
	v_mov_b32_e32 v69, v31
	v_mov_b32_e32 v64, v53
	v_pk_mul_f32 v[62:63], v[38:39], v[62:63] op_sel_hi:[1,0]
	s_waitcnt vmcnt(5)
	v_pk_fma_f32 v[44:45], v[36:37], v[48:49], v[60:61] op_sel:[0,0,1] op_sel_hi:[1,1,0] neg_lo:[0,0,1] neg_hi:[0,0,1]
	v_pk_fma_f32 v[36:37], v[36:37], v[48:49], v[60:61] op_sel:[0,0,1] op_sel_hi:[1,0,0]
	v_mov_b32_e32 v33, v35
	v_pk_add_f32 v[30:31], v[68:69], 0 op_sel_hi:[1,0]
	v_mov_b32_e32 v66, v55
	s_waitcnt lgkmcnt(0)
	v_pk_mul_f32 v[64:65], v[40:41], v[64:65] op_sel_hi:[1,0]
	s_waitcnt vmcnt(4)
	v_pk_fma_f32 v[46:47], v[38:39], v[50:51], v[62:63] op_sel:[0,0,1] op_sel_hi:[1,1,0] neg_lo:[0,0,1] neg_hi:[0,0,1]
	v_pk_fma_f32 v[38:39], v[38:39], v[50:51], v[62:63] op_sel:[0,0,1] op_sel_hi:[1,0,0]
	v_mov_b32_e32 v45, v37
	v_pk_add_f32 v[30:31], v[30:31], v[32:33]
	v_pk_mul_f32 v[66:67], v[42:43], v[66:67] op_sel_hi:[1,0]
	s_waitcnt vmcnt(3)
	v_pk_fma_f32 v[48:49], v[40:41], v[52:53], v[64:65] op_sel:[0,0,1] op_sel_hi:[1,1,0] neg_lo:[0,0,1] neg_hi:[0,0,1]
	v_pk_fma_f32 v[40:41], v[40:41], v[52:53], v[64:65] op_sel:[0,0,1] op_sel_hi:[1,0,0]
	v_mov_b32_e32 v47, v39
	v_pk_add_f32 v[30:31], v[30:31], v[44:45]
	s_waitcnt vmcnt(2)
	v_pk_fma_f32 v[50:51], v[42:43], v[54:55], v[66:67] op_sel:[0,0,1] op_sel_hi:[1,1,0] neg_lo:[0,0,1] neg_hi:[0,0,1]
	v_pk_fma_f32 v[42:43], v[42:43], v[54:55], v[66:67] op_sel:[0,0,1] op_sel_hi:[1,0,0]
	v_mov_b32_e32 v49, v41
	v_pk_add_f32 v[30:31], v[30:31], v[46:47]
	v_mov_b32_e32 v51, v43
	v_pk_add_f32 v[30:31], v[30:31], v[48:49]
	v_pk_add_f32 v[30:31], v[30:31], v[50:51]
	s_waitcnt vmcnt(0)
	v_pk_add_f32 v[30:31], v[56:57], v[30:31] neg_lo:[0,1] neg_hi:[0,1]
	buffer_store_dword v30, off, s[0:3], 0 offset:56
	buffer_store_dword v31, off, s[0:3], 0 offset:60
	s_and_saveexec_b64 s[4:5], vcc
	s_cbranch_execz .LBB77_85
; %bb.84:
	buffer_load_dword v30, off, s[0:3], 0 offset:48
	buffer_load_dword v31, off, s[0:3], 0 offset:52
	v_mov_b32_e32 v32, 0
	buffer_store_dword v32, off, s[0:3], 0 offset:48
	buffer_store_dword v32, off, s[0:3], 0 offset:52
	s_waitcnt vmcnt(2)
	ds_write_b64 v1, v[30:31]
.LBB77_85:
	s_or_b64 exec, exec, s[4:5]
	s_waitcnt lgkmcnt(0)
	; wave barrier
	s_waitcnt lgkmcnt(0)
	buffer_load_dword v45, off, s[0:3], 0 offset:60
	buffer_load_dword v47, off, s[0:3], 0 offset:68
	;; [unrolled: 1-line block ×16, first 2 shown]
	v_mov_b32_e32 v30, 0
	ds_read2_b64 v[32:35], v30 offset0:21 offset1:22
	ds_read2_b64 v[36:39], v30 offset0:23 offset1:24
	;; [unrolled: 1-line block ×3, first 2 shown]
	ds_read_b64 v[60:61], v30 offset:216
	v_cmp_lt_u32_e32 vcc, 5, v0
	s_waitcnt vmcnt(15)
	v_mov_b32_e32 v62, v45
	s_waitcnt vmcnt(14)
	v_mov_b32_e32 v64, v47
	s_waitcnt lgkmcnt(3)
	v_pk_mul_f32 v[62:63], v[32:33], v[62:63] op_sel_hi:[1,0]
	s_waitcnt vmcnt(13)
	v_mov_b32_e32 v66, v49
	v_pk_mul_f32 v[64:65], v[34:35], v[64:65] op_sel_hi:[1,0]
	s_waitcnt vmcnt(12)
	v_mov_b32_e32 v68, v51
	s_waitcnt lgkmcnt(2)
	v_pk_mul_f32 v[66:67], v[36:37], v[66:67] op_sel_hi:[1,0]
	s_waitcnt vmcnt(8)
	v_pk_fma_f32 v[76:77], v[32:33], v[44:45], v[62:63] op_sel:[0,0,1] op_sel_hi:[1,1,0] neg_lo:[0,0,1] neg_hi:[0,0,1]
	v_pk_fma_f32 v[32:33], v[32:33], v[44:45], v[62:63] op_sel:[0,0,1] op_sel_hi:[1,0,0]
	s_waitcnt vmcnt(7)
	v_pk_fma_f32 v[44:45], v[34:35], v[46:47], v[64:65] op_sel:[0,0,1] op_sel_hi:[1,1,0] neg_lo:[0,0,1] neg_hi:[0,0,1]
	v_pk_fma_f32 v[34:35], v[34:35], v[46:47], v[64:65] op_sel:[0,0,1] op_sel_hi:[1,0,0]
	v_mov_b32_e32 v77, v33
	v_mov_b32_e32 v70, v53
	v_pk_mul_f32 v[68:69], v[38:39], v[68:69] op_sel_hi:[1,0]
	s_waitcnt vmcnt(6)
	v_pk_fma_f32 v[46:47], v[36:37], v[48:49], v[66:67] op_sel:[0,0,1] op_sel_hi:[1,1,0] neg_lo:[0,0,1] neg_hi:[0,0,1]
	v_pk_fma_f32 v[36:37], v[36:37], v[48:49], v[66:67] op_sel:[0,0,1] op_sel_hi:[1,0,0]
	v_mov_b32_e32 v45, v35
	v_pk_add_f32 v[32:33], v[76:77], 0 op_sel_hi:[1,0]
	v_mov_b32_e32 v72, v55
	s_waitcnt lgkmcnt(1)
	v_pk_mul_f32 v[70:71], v[40:41], v[70:71] op_sel_hi:[1,0]
	s_waitcnt vmcnt(5)
	v_pk_fma_f32 v[48:49], v[38:39], v[50:51], v[68:69] op_sel:[0,0,1] op_sel_hi:[1,1,0] neg_lo:[0,0,1] neg_hi:[0,0,1]
	v_pk_fma_f32 v[38:39], v[38:39], v[50:51], v[68:69] op_sel:[0,0,1] op_sel_hi:[1,0,0]
	v_mov_b32_e32 v47, v37
	v_pk_add_f32 v[32:33], v[32:33], v[44:45]
	v_mov_b32_e32 v74, v57
	v_pk_mul_f32 v[72:73], v[42:43], v[72:73] op_sel_hi:[1,0]
	s_waitcnt vmcnt(4)
	v_pk_fma_f32 v[50:51], v[40:41], v[52:53], v[70:71] op_sel:[0,0,1] op_sel_hi:[1,1,0] neg_lo:[0,0,1] neg_hi:[0,0,1]
	v_pk_fma_f32 v[40:41], v[40:41], v[52:53], v[70:71] op_sel:[0,0,1] op_sel_hi:[1,0,0]
	v_mov_b32_e32 v49, v39
	v_pk_add_f32 v[32:33], v[32:33], v[46:47]
	s_waitcnt lgkmcnt(0)
	v_pk_mul_f32 v[74:75], v[60:61], v[74:75] op_sel_hi:[1,0]
	s_waitcnt vmcnt(3)
	v_pk_fma_f32 v[52:53], v[42:43], v[54:55], v[72:73] op_sel:[0,0,1] op_sel_hi:[1,1,0] neg_lo:[0,0,1] neg_hi:[0,0,1]
	v_pk_fma_f32 v[42:43], v[42:43], v[54:55], v[72:73] op_sel:[0,0,1] op_sel_hi:[1,0,0]
	v_mov_b32_e32 v51, v41
	v_pk_add_f32 v[32:33], v[32:33], v[48:49]
	s_waitcnt vmcnt(2)
	v_pk_fma_f32 v[54:55], v[60:61], v[56:57], v[74:75] op_sel:[0,0,1] op_sel_hi:[1,1,0] neg_lo:[0,0,1] neg_hi:[0,0,1]
	v_pk_fma_f32 v[56:57], v[60:61], v[56:57], v[74:75] op_sel:[0,0,1] op_sel_hi:[1,0,0]
	v_mov_b32_e32 v53, v43
	v_pk_add_f32 v[32:33], v[32:33], v[50:51]
	v_mov_b32_e32 v55, v57
	v_pk_add_f32 v[32:33], v[32:33], v[52:53]
	v_pk_add_f32 v[32:33], v[32:33], v[54:55]
	s_waitcnt vmcnt(0)
	v_pk_add_f32 v[32:33], v[58:59], v[32:33] neg_lo:[0,1] neg_hi:[0,1]
	buffer_store_dword v32, off, s[0:3], 0 offset:48
	buffer_store_dword v33, off, s[0:3], 0 offset:52
	s_and_saveexec_b64 s[4:5], vcc
	s_cbranch_execz .LBB77_87
; %bb.86:
	buffer_load_dword v32, off, s[0:3], 0 offset:40
	buffer_load_dword v33, off, s[0:3], 0 offset:44
	s_waitcnt vmcnt(0)
	ds_write_b64 v1, v[32:33]
	buffer_store_dword v30, off, s[0:3], 0 offset:40
	buffer_store_dword v30, off, s[0:3], 0 offset:44
.LBB77_87:
	s_or_b64 exec, exec, s[4:5]
	s_waitcnt lgkmcnt(0)
	; wave barrier
	s_waitcnt lgkmcnt(0)
	buffer_load_dword v49, off, s[0:3], 0 offset:52
	buffer_load_dword v51, off, s[0:3], 0 offset:60
	;; [unrolled: 1-line block ×18, first 2 shown]
	ds_read_b128 v[32:35], v30 offset:160
	ds_read_b128 v[36:39], v30 offset:176
	ds_read_b128 v[40:43], v30 offset:192
	ds_read_b128 v[44:47], v30 offset:208
	v_cmp_lt_u32_e32 vcc, 4, v0
	s_waitcnt vmcnt(17)
	v_mov_b32_e32 v30, v49
	s_waitcnt vmcnt(16)
	v_mov_b32_e32 v66, v51
	s_waitcnt lgkmcnt(3)
	v_pk_mul_f32 v[30:31], v[32:33], v[30:31] op_sel_hi:[1,0]
	s_waitcnt vmcnt(15)
	v_mov_b32_e32 v68, v53
	v_pk_mul_f32 v[66:67], v[34:35], v[66:67] op_sel_hi:[1,0]
	s_waitcnt vmcnt(14)
	v_mov_b32_e32 v70, v55
	s_waitcnt lgkmcnt(2)
	v_pk_mul_f32 v[68:69], v[36:37], v[68:69] op_sel_hi:[1,0]
	s_waitcnt vmcnt(13)
	v_mov_b32_e32 v72, v57
	s_waitcnt vmcnt(9)
	v_pk_fma_f32 v[80:81], v[32:33], v[48:49], v[30:31] op_sel:[0,0,1] op_sel_hi:[1,1,0] neg_lo:[0,0,1] neg_hi:[0,0,1]
	v_pk_fma_f32 v[30:31], v[32:33], v[48:49], v[30:31] op_sel:[0,0,1] op_sel_hi:[1,0,0]
	s_waitcnt vmcnt(8)
	v_pk_fma_f32 v[32:33], v[34:35], v[50:51], v[66:67] op_sel:[0,0,1] op_sel_hi:[1,1,0] neg_lo:[0,0,1] neg_hi:[0,0,1]
	v_pk_fma_f32 v[34:35], v[34:35], v[50:51], v[66:67] op_sel:[0,0,1] op_sel_hi:[1,0,0]
	v_mov_b32_e32 v81, v31
	v_pk_mul_f32 v[70:71], v[38:39], v[70:71] op_sel_hi:[1,0]
	s_waitcnt vmcnt(7)
	v_pk_fma_f32 v[48:49], v[36:37], v[52:53], v[68:69] op_sel:[0,0,1] op_sel_hi:[1,1,0] neg_lo:[0,0,1] neg_hi:[0,0,1]
	v_pk_fma_f32 v[36:37], v[36:37], v[52:53], v[68:69] op_sel:[0,0,1] op_sel_hi:[1,0,0]
	v_mov_b32_e32 v33, v35
	v_pk_add_f32 v[30:31], v[80:81], 0 op_sel_hi:[1,0]
	v_mov_b32_e32 v74, v59
	s_waitcnt lgkmcnt(1)
	v_pk_mul_f32 v[72:73], v[40:41], v[72:73] op_sel_hi:[1,0]
	s_waitcnt vmcnt(6)
	v_pk_fma_f32 v[50:51], v[38:39], v[54:55], v[70:71] op_sel:[0,0,1] op_sel_hi:[1,1,0] neg_lo:[0,0,1] neg_hi:[0,0,1]
	v_pk_fma_f32 v[38:39], v[38:39], v[54:55], v[70:71] op_sel:[0,0,1] op_sel_hi:[1,0,0]
	v_mov_b32_e32 v49, v37
	v_pk_add_f32 v[30:31], v[30:31], v[32:33]
	v_mov_b32_e32 v76, v61
	v_pk_mul_f32 v[74:75], v[42:43], v[74:75] op_sel_hi:[1,0]
	s_waitcnt vmcnt(5)
	v_pk_fma_f32 v[52:53], v[40:41], v[56:57], v[72:73] op_sel:[0,0,1] op_sel_hi:[1,1,0] neg_lo:[0,0,1] neg_hi:[0,0,1]
	v_pk_fma_f32 v[40:41], v[40:41], v[56:57], v[72:73] op_sel:[0,0,1] op_sel_hi:[1,0,0]
	v_mov_b32_e32 v51, v39
	v_pk_add_f32 v[30:31], v[30:31], v[48:49]
	v_mov_b32_e32 v78, v63
	s_waitcnt lgkmcnt(0)
	v_pk_mul_f32 v[76:77], v[44:45], v[76:77] op_sel_hi:[1,0]
	s_waitcnt vmcnt(4)
	v_pk_fma_f32 v[54:55], v[42:43], v[58:59], v[74:75] op_sel:[0,0,1] op_sel_hi:[1,1,0] neg_lo:[0,0,1] neg_hi:[0,0,1]
	v_pk_fma_f32 v[42:43], v[42:43], v[58:59], v[74:75] op_sel:[0,0,1] op_sel_hi:[1,0,0]
	v_mov_b32_e32 v53, v41
	v_pk_add_f32 v[30:31], v[30:31], v[50:51]
	v_pk_mul_f32 v[78:79], v[46:47], v[78:79] op_sel_hi:[1,0]
	s_waitcnt vmcnt(3)
	v_pk_fma_f32 v[56:57], v[44:45], v[60:61], v[76:77] op_sel:[0,0,1] op_sel_hi:[1,1,0] neg_lo:[0,0,1] neg_hi:[0,0,1]
	v_pk_fma_f32 v[44:45], v[44:45], v[60:61], v[76:77] op_sel:[0,0,1] op_sel_hi:[1,0,0]
	v_mov_b32_e32 v55, v43
	v_pk_add_f32 v[30:31], v[30:31], v[52:53]
	s_waitcnt vmcnt(2)
	v_pk_fma_f32 v[58:59], v[46:47], v[62:63], v[78:79] op_sel:[0,0,1] op_sel_hi:[1,1,0] neg_lo:[0,0,1] neg_hi:[0,0,1]
	v_pk_fma_f32 v[46:47], v[46:47], v[62:63], v[78:79] op_sel:[0,0,1] op_sel_hi:[1,0,0]
	v_mov_b32_e32 v57, v45
	v_pk_add_f32 v[30:31], v[30:31], v[54:55]
	v_mov_b32_e32 v59, v47
	v_pk_add_f32 v[30:31], v[30:31], v[56:57]
	v_pk_add_f32 v[30:31], v[30:31], v[58:59]
	s_waitcnt vmcnt(0)
	v_pk_add_f32 v[30:31], v[64:65], v[30:31] neg_lo:[0,1] neg_hi:[0,1]
	buffer_store_dword v30, off, s[0:3], 0 offset:40
	buffer_store_dword v31, off, s[0:3], 0 offset:44
	s_and_saveexec_b64 s[4:5], vcc
	s_cbranch_execz .LBB77_89
; %bb.88:
	buffer_load_dword v30, off, s[0:3], 0 offset:32
	buffer_load_dword v31, off, s[0:3], 0 offset:36
	v_mov_b32_e32 v32, 0
	buffer_store_dword v32, off, s[0:3], 0 offset:32
	buffer_store_dword v32, off, s[0:3], 0 offset:36
	s_waitcnt vmcnt(2)
	ds_write_b64 v1, v[30:31]
.LBB77_89:
	s_or_b64 exec, exec, s[4:5]
	s_waitcnt lgkmcnt(0)
	; wave barrier
	s_waitcnt lgkmcnt(0)
	buffer_load_dword v31, off, s[0:3], 0 offset:44
	buffer_load_dword v49, off, s[0:3], 0 offset:52
	;; [unrolled: 1-line block ×20, first 2 shown]
	v_mov_b32_e32 v30, 0
	ds_read2_b64 v[32:35], v30 offset0:19 offset1:20
	ds_read2_b64 v[36:39], v30 offset0:21 offset1:22
	;; [unrolled: 1-line block ×4, first 2 shown]
	ds_read_b64 v[66:67], v30 offset:216
	v_cmp_lt_u32_e32 vcc, 3, v0
	s_waitcnt vmcnt(19) lgkmcnt(4)
	v_mul_f32_e32 v69, v32, v31
	v_mul_f32_e32 v31, v33, v31
	s_waitcnt vmcnt(18)
	v_mov_b32_e32 v70, v49
	s_waitcnt vmcnt(17)
	v_mov_b32_e32 v72, v51
	;; [unrolled: 2-line block ×8, first 2 shown]
	s_waitcnt vmcnt(10)
	v_fmac_f32_e32 v69, v33, v68
	v_fma_f32 v68, v32, v68, -v31
	v_pk_mul_f32 v[32:33], v[34:35], v[70:71] op_sel_hi:[1,0]
	s_waitcnt lgkmcnt(3)
	v_pk_mul_f32 v[70:71], v[36:37], v[72:73] op_sel_hi:[1,0]
	v_pk_mul_f32 v[72:73], v[38:39], v[74:75] op_sel_hi:[1,0]
	s_waitcnt lgkmcnt(2)
	v_pk_mul_f32 v[74:75], v[40:41], v[76:77] op_sel_hi:[1,0]
	;; [unrolled: 3-line block ×4, first 2 shown]
	s_waitcnt vmcnt(9)
	v_pk_fma_f32 v[84:85], v[34:35], v[48:49], v[32:33] op_sel:[0,0,1] op_sel_hi:[1,1,0] neg_lo:[0,0,1] neg_hi:[0,0,1]
	v_pk_fma_f32 v[32:33], v[34:35], v[48:49], v[32:33] op_sel:[0,0,1] op_sel_hi:[1,0,0]
	v_pk_add_f32 v[68:69], v[68:69], 0 op_sel_hi:[1,0]
	s_waitcnt vmcnt(8)
	v_pk_fma_f32 v[34:35], v[36:37], v[50:51], v[70:71] op_sel:[0,0,1] op_sel_hi:[1,1,0] neg_lo:[0,0,1] neg_hi:[0,0,1]
	v_pk_fma_f32 v[36:37], v[36:37], v[50:51], v[70:71] op_sel:[0,0,1] op_sel_hi:[1,0,0]
	v_mov_b32_e32 v85, v33
	s_waitcnt vmcnt(7)
	v_pk_fma_f32 v[48:49], v[38:39], v[52:53], v[72:73] op_sel:[0,0,1] op_sel_hi:[1,1,0] neg_lo:[0,0,1] neg_hi:[0,0,1]
	v_pk_fma_f32 v[38:39], v[38:39], v[52:53], v[72:73] op_sel:[0,0,1] op_sel_hi:[1,0,0]
	v_mov_b32_e32 v35, v37
	v_pk_add_f32 v[32:33], v[68:69], v[84:85]
	s_waitcnt vmcnt(6)
	v_pk_fma_f32 v[50:51], v[40:41], v[54:55], v[74:75] op_sel:[0,0,1] op_sel_hi:[1,1,0] neg_lo:[0,0,1] neg_hi:[0,0,1]
	v_pk_fma_f32 v[40:41], v[40:41], v[54:55], v[74:75] op_sel:[0,0,1] op_sel_hi:[1,0,0]
	v_mov_b32_e32 v49, v39
	v_pk_add_f32 v[32:33], v[32:33], v[34:35]
	;; [unrolled: 5-line block ×5, first 2 shown]
	v_pk_fma_f32 v[58:59], v[66:67], v[62:63], v[82:83] op_sel:[0,0,1] op_sel_hi:[1,1,0] neg_lo:[0,0,1] neg_hi:[0,0,1]
	v_pk_fma_f32 v[60:61], v[66:67], v[62:63], v[82:83] op_sel:[0,0,1] op_sel_hi:[1,0,0]
	v_mov_b32_e32 v57, v47
	v_pk_add_f32 v[32:33], v[32:33], v[54:55]
	v_mov_b32_e32 v59, v61
	v_pk_add_f32 v[32:33], v[32:33], v[56:57]
	v_pk_add_f32 v[32:33], v[32:33], v[58:59]
	s_waitcnt vmcnt(0)
	v_pk_add_f32 v[32:33], v[64:65], v[32:33] neg_lo:[0,1] neg_hi:[0,1]
	buffer_store_dword v32, off, s[0:3], 0 offset:32
	buffer_store_dword v33, off, s[0:3], 0 offset:36
	s_and_saveexec_b64 s[4:5], vcc
	s_cbranch_execz .LBB77_91
; %bb.90:
	buffer_load_dword v32, off, s[0:3], 0 offset:24
	buffer_load_dword v33, off, s[0:3], 0 offset:28
	s_waitcnt vmcnt(0)
	ds_write_b64 v1, v[32:33]
	buffer_store_dword v30, off, s[0:3], 0 offset:24
	buffer_store_dword v30, off, s[0:3], 0 offset:28
.LBB77_91:
	s_or_b64 exec, exec, s[4:5]
	s_waitcnt lgkmcnt(0)
	; wave barrier
	s_waitcnt lgkmcnt(0)
	buffer_load_dword v70, off, s[0:3], 0 offset:36
	buffer_load_dword v72, off, s[0:3], 0 offset:44
	;; [unrolled: 1-line block ×22, first 2 shown]
	ds_read_b128 v[32:35], v30 offset:144
	ds_read_b128 v[36:39], v30 offset:160
	;; [unrolled: 1-line block ×5, first 2 shown]
	v_cmp_lt_u32_e32 vcc, 2, v0
	s_waitcnt vmcnt(21) lgkmcnt(4)
	v_mul_f32_e32 v31, v32, v70
	s_waitcnt vmcnt(20)
	v_mul_f32_e32 v71, v34, v72
	v_mul_f32_e32 v30, v33, v70
	;; [unrolled: 1-line block ×3, first 2 shown]
	s_waitcnt vmcnt(19)
	v_mov_b32_e32 v72, v53
	s_waitcnt vmcnt(18)
	v_mov_b32_e32 v74, v55
	;; [unrolled: 2-line block ×5, first 2 shown]
	v_mov_b32_e32 v78, v59
	s_waitcnt vmcnt(11)
	v_fmac_f32_e32 v31, v33, v73
	v_fma_f32 v30, v32, v73, -v30
	s_waitcnt lgkmcnt(3)
	v_pk_mul_f32 v[32:33], v[36:37], v[72:73] op_sel_hi:[1,0]
	s_waitcnt vmcnt(10)
	v_fmac_f32_e32 v71, v35, v75
	v_fma_f32 v70, v34, v75, -v70
	v_pk_mul_f32 v[34:35], v[38:39], v[74:75] op_sel_hi:[1,0]
	s_waitcnt lgkmcnt(2)
	v_pk_mul_f32 v[72:73], v[40:41], v[76:77] op_sel_hi:[1,0]
	s_waitcnt lgkmcnt(1)
	;; [unrolled: 2-line block ×3, first 2 shown]
	v_pk_mul_f32 v[80:81], v[48:49], v[84:85] op_sel_hi:[1,0]
	v_pk_add_f32 v[30:31], v[30:31], 0 op_sel_hi:[1,0]
	s_waitcnt vmcnt(9)
	v_pk_fma_f32 v[84:85], v[36:37], v[52:53], v[32:33] op_sel:[0,0,1] op_sel_hi:[1,1,0] neg_lo:[0,0,1] neg_hi:[0,0,1]
	v_pk_fma_f32 v[32:33], v[36:37], v[52:53], v[32:33] op_sel:[0,0,1] op_sel_hi:[1,0,0]
	s_waitcnt vmcnt(8)
	v_pk_fma_f32 v[36:37], v[38:39], v[54:55], v[34:35] op_sel:[0,0,1] op_sel_hi:[1,1,0] neg_lo:[0,0,1] neg_hi:[0,0,1]
	v_pk_fma_f32 v[34:35], v[38:39], v[54:55], v[34:35] op_sel:[0,0,1] op_sel_hi:[1,0,0]
	v_pk_add_f32 v[30:31], v[30:31], v[70:71]
	v_mov_b32_e32 v85, v33
	v_pk_mul_f32 v[74:75], v[42:43], v[78:79] op_sel_hi:[1,0]
	s_waitcnt vmcnt(7)
	v_pk_fma_f32 v[38:39], v[40:41], v[56:57], v[72:73] op_sel:[0,0,1] op_sel_hi:[1,1,0] neg_lo:[0,0,1] neg_hi:[0,0,1]
	v_pk_fma_f32 v[40:41], v[40:41], v[56:57], v[72:73] op_sel:[0,0,1] op_sel_hi:[1,0,0]
	v_mov_b32_e32 v37, v35
	v_pk_add_f32 v[30:31], v[30:31], v[84:85]
	v_mov_b32_e32 v82, v63
	s_waitcnt vmcnt(6)
	v_pk_fma_f32 v[52:53], v[42:43], v[58:59], v[74:75] op_sel:[0,0,1] op_sel_hi:[1,1,0] neg_lo:[0,0,1] neg_hi:[0,0,1]
	v_pk_fma_f32 v[42:43], v[42:43], v[58:59], v[74:75] op_sel:[0,0,1] op_sel_hi:[1,0,0]
	v_mov_b32_e32 v39, v41
	v_pk_add_f32 v[30:31], v[30:31], v[36:37]
	v_pk_mul_f32 v[78:79], v[46:47], v[82:83] op_sel_hi:[1,0]
	s_waitcnt vmcnt(5)
	v_pk_fma_f32 v[54:55], v[44:45], v[60:61], v[76:77] op_sel:[0,0,1] op_sel_hi:[1,1,0] neg_lo:[0,0,1] neg_hi:[0,0,1]
	v_pk_fma_f32 v[44:45], v[44:45], v[60:61], v[76:77] op_sel:[0,0,1] op_sel_hi:[1,0,0]
	v_mov_b32_e32 v53, v43
	v_pk_add_f32 v[30:31], v[30:31], v[38:39]
	v_mov_b32_e32 v86, v67
	s_waitcnt vmcnt(2)
	v_pk_fma_f32 v[56:57], v[46:47], v[62:63], v[78:79] op_sel:[0,0,1] op_sel_hi:[1,1,0] neg_lo:[0,0,1] neg_hi:[0,0,1]
	v_pk_fma_f32 v[46:47], v[46:47], v[62:63], v[78:79] op_sel:[0,0,1] op_sel_hi:[1,0,0]
	v_mov_b32_e32 v55, v45
	v_pk_add_f32 v[30:31], v[30:31], v[52:53]
	v_pk_mul_f32 v[82:83], v[50:51], v[86:87] op_sel_hi:[1,0]
	v_pk_fma_f32 v[58:59], v[48:49], v[64:65], v[80:81] op_sel:[0,0,1] op_sel_hi:[1,1,0] neg_lo:[0,0,1] neg_hi:[0,0,1]
	v_pk_fma_f32 v[48:49], v[48:49], v[64:65], v[80:81] op_sel:[0,0,1] op_sel_hi:[1,0,0]
	v_mov_b32_e32 v57, v47
	v_pk_add_f32 v[30:31], v[30:31], v[54:55]
	v_pk_fma_f32 v[60:61], v[50:51], v[66:67], v[82:83] op_sel:[0,0,1] op_sel_hi:[1,1,0] neg_lo:[0,0,1] neg_hi:[0,0,1]
	v_pk_fma_f32 v[50:51], v[50:51], v[66:67], v[82:83] op_sel:[0,0,1] op_sel_hi:[1,0,0]
	v_mov_b32_e32 v59, v49
	v_pk_add_f32 v[30:31], v[30:31], v[56:57]
	v_mov_b32_e32 v61, v51
	v_pk_add_f32 v[30:31], v[30:31], v[58:59]
	v_pk_add_f32 v[30:31], v[30:31], v[60:61]
	s_waitcnt vmcnt(0)
	v_pk_add_f32 v[30:31], v[68:69], v[30:31] neg_lo:[0,1] neg_hi:[0,1]
	buffer_store_dword v30, off, s[0:3], 0 offset:24
	buffer_store_dword v31, off, s[0:3], 0 offset:28
	s_and_saveexec_b64 s[4:5], vcc
	s_cbranch_execz .LBB77_93
; %bb.92:
	buffer_load_dword v30, off, s[0:3], 0 offset:16
	buffer_load_dword v31, off, s[0:3], 0 offset:20
	v_mov_b32_e32 v32, 0
	buffer_store_dword v32, off, s[0:3], 0 offset:16
	buffer_store_dword v32, off, s[0:3], 0 offset:20
	s_waitcnt vmcnt(2)
	ds_write_b64 v1, v[30:31]
.LBB77_93:
	s_or_b64 exec, exec, s[4:5]
	s_waitcnt lgkmcnt(0)
	; wave barrier
	s_waitcnt lgkmcnt(0)
	buffer_load_dword v31, off, s[0:3], 0 offset:28
	buffer_load_dword v72, off, s[0:3], 0 offset:36
	;; [unrolled: 1-line block ×24, first 2 shown]
	v_mov_b32_e32 v30, 0
	ds_read2_b64 v[32:35], v30 offset0:17 offset1:18
	ds_read2_b64 v[36:39], v30 offset0:19 offset1:20
	;; [unrolled: 1-line block ×5, first 2 shown]
	ds_read_b64 v[70:71], v30 offset:216
	v_cmp_lt_u32_e32 vcc, 1, v0
	s_waitcnt vmcnt(23) lgkmcnt(5)
	v_mul_f32_e32 v85, v32, v31
	v_mul_f32_e32 v31, v33, v31
	s_waitcnt vmcnt(22)
	v_mul_f32_e32 v73, v34, v72
	s_waitcnt vmcnt(21) lgkmcnt(4)
	v_mul_f32_e32 v75, v36, v74
	v_mul_f32_e32 v72, v35, v72
	;; [unrolled: 1-line block ×3, first 2 shown]
	s_waitcnt vmcnt(20)
	v_mov_b32_e32 v76, v53
	s_waitcnt vmcnt(19)
	v_mov_b32_e32 v78, v55
	;; [unrolled: 2-line block ×5, first 2 shown]
	s_waitcnt vmcnt(12)
	v_fmac_f32_e32 v85, v33, v77
	v_fma_f32 v31, v32, v77, -v31
	v_mov_b32_e32 v86, v63
	s_waitcnt vmcnt(11)
	v_fmac_f32_e32 v73, v35, v79
	s_waitcnt vmcnt(10)
	v_fmac_f32_e32 v75, v37, v81
	v_fma_f32 v72, v34, v79, -v72
	v_fma_f32 v74, v36, v81, -v74
	v_pk_mul_f32 v[32:33], v[38:39], v[76:77] op_sel_hi:[1,0]
	s_waitcnt lgkmcnt(3)
	v_pk_mul_f32 v[34:35], v[40:41], v[78:79] op_sel_hi:[1,0]
	v_pk_mul_f32 v[36:37], v[42:43], v[80:81] op_sel_hi:[1,0]
	s_waitcnt lgkmcnt(2)
	v_pk_mul_f32 v[76:77], v[44:45], v[82:83] op_sel_hi:[1,0]
	v_pk_mul_f32 v[78:79], v[46:47], v[84:85] op_sel_hi:[1,0]
	v_add_f32_e32 v85, 0, v85
	v_add_f32_e32 v84, 0, v31
	s_waitcnt lgkmcnt(1)
	v_pk_mul_f32 v[80:81], v[48:49], v[86:87] op_sel_hi:[1,0]
	s_waitcnt vmcnt(9)
	v_pk_fma_f32 v[86:87], v[38:39], v[52:53], v[32:33] op_sel:[0,0,1] op_sel_hi:[1,1,0] neg_lo:[0,0,1] neg_hi:[0,0,1]
	v_pk_fma_f32 v[32:33], v[38:39], v[52:53], v[32:33] op_sel:[0,0,1] op_sel_hi:[1,0,0]
	s_waitcnt vmcnt(8)
	v_pk_fma_f32 v[38:39], v[40:41], v[54:55], v[34:35] op_sel:[0,0,1] op_sel_hi:[1,1,0] neg_lo:[0,0,1] neg_hi:[0,0,1]
	v_pk_fma_f32 v[34:35], v[40:41], v[54:55], v[34:35] op_sel:[0,0,1] op_sel_hi:[1,0,0]
	s_waitcnt vmcnt(7)
	v_pk_fma_f32 v[40:41], v[42:43], v[56:57], v[36:37] op_sel:[0,0,1] op_sel_hi:[1,1,0] neg_lo:[0,0,1] neg_hi:[0,0,1]
	v_pk_fma_f32 v[36:37], v[42:43], v[56:57], v[36:37] op_sel:[0,0,1] op_sel_hi:[1,0,0]
	s_waitcnt vmcnt(6)
	v_pk_fma_f32 v[42:43], v[44:45], v[58:59], v[76:77] op_sel:[0,0,1] op_sel_hi:[1,1,0] neg_lo:[0,0,1] neg_hi:[0,0,1]
	v_pk_fma_f32 v[44:45], v[44:45], v[58:59], v[76:77] op_sel:[0,0,1] op_sel_hi:[1,0,0]
	v_pk_add_f32 v[58:59], v[84:85], v[72:73]
	v_mov_b32_e32 v87, v33
	v_pk_add_f32 v[32:33], v[58:59], v[74:75]
	v_mov_b32_e32 v39, v35
	;; [unrolled: 2-line block ×4, first 2 shown]
	s_waitcnt vmcnt(2)
	v_pk_fma_f32 v[52:53], v[46:47], v[60:61], v[78:79] op_sel:[0,0,1] op_sel_hi:[1,1,0] neg_lo:[0,0,1] neg_hi:[0,0,1]
	v_pk_fma_f32 v[46:47], v[46:47], v[60:61], v[78:79] op_sel:[0,0,1] op_sel_hi:[1,0,0]
	v_mov_b32_e32 v43, v45
	v_pk_add_f32 v[32:33], v[32:33], v[40:41]
	v_mov_b32_e32 v90, v67
	v_pk_mul_f32 v[82:83], v[50:51], v[88:89] op_sel_hi:[1,0]
	v_pk_fma_f32 v[54:55], v[48:49], v[62:63], v[80:81] op_sel:[0,0,1] op_sel_hi:[1,1,0] neg_lo:[0,0,1] neg_hi:[0,0,1]
	v_pk_fma_f32 v[48:49], v[48:49], v[62:63], v[80:81] op_sel:[0,0,1] op_sel_hi:[1,0,0]
	v_mov_b32_e32 v53, v47
	v_pk_add_f32 v[32:33], v[32:33], v[42:43]
	v_pk_fma_f32 v[56:57], v[50:51], v[64:65], v[82:83] op_sel:[0,0,1] op_sel_hi:[1,1,0] neg_lo:[0,0,1] neg_hi:[0,0,1]
	v_pk_fma_f32 v[50:51], v[50:51], v[64:65], v[82:83] op_sel:[0,0,1] op_sel_hi:[1,0,0]
	v_mov_b32_e32 v55, v49
	v_pk_add_f32 v[32:33], v[32:33], v[52:53]
	s_waitcnt lgkmcnt(0)
	v_pk_mul_f32 v[34:35], v[70:71], v[90:91] op_sel_hi:[1,0]
	v_mov_b32_e32 v57, v51
	v_pk_add_f32 v[32:33], v[32:33], v[54:55]
	v_pk_fma_f32 v[36:37], v[70:71], v[66:67], v[34:35] op_sel:[0,0,1] op_sel_hi:[1,1,0] neg_lo:[0,0,1] neg_hi:[0,0,1]
	v_pk_fma_f32 v[34:35], v[70:71], v[66:67], v[34:35] op_sel:[0,0,1] op_sel_hi:[1,0,0]
	v_pk_add_f32 v[32:33], v[32:33], v[56:57]
	v_mov_b32_e32 v37, v35
	v_pk_add_f32 v[32:33], v[32:33], v[36:37]
	s_waitcnt vmcnt(0)
	v_pk_add_f32 v[32:33], v[68:69], v[32:33] neg_lo:[0,1] neg_hi:[0,1]
	buffer_store_dword v33, off, s[0:3], 0 offset:20
	buffer_store_dword v32, off, s[0:3], 0 offset:16
	s_and_saveexec_b64 s[4:5], vcc
	s_cbranch_execz .LBB77_95
; %bb.94:
	buffer_load_dword v32, off, s[0:3], 0 offset:8
	buffer_load_dword v33, off, s[0:3], 0 offset:12
	s_waitcnt vmcnt(0)
	ds_write_b64 v1, v[32:33]
	buffer_store_dword v30, off, s[0:3], 0 offset:8
	buffer_store_dword v30, off, s[0:3], 0 offset:12
.LBB77_95:
	s_or_b64 exec, exec, s[4:5]
	s_waitcnt lgkmcnt(0)
	; wave barrier
	s_waitcnt lgkmcnt(0)
	buffer_load_dword v74, off, s[0:3], 0 offset:20
	buffer_load_dword v76, off, s[0:3], 0 offset:28
	;; [unrolled: 1-line block ×26, first 2 shown]
	ds_read_b128 v[32:35], v30 offset:128
	ds_read_b128 v[36:39], v30 offset:144
	ds_read_b128 v[40:43], v30 offset:160
	ds_read_b128 v[44:47], v30 offset:176
	ds_read_b128 v[48:51], v30 offset:192
	ds_read_b128 v[52:55], v30 offset:208
	v_cmp_ne_u32_e32 vcc, 0, v0
	s_waitcnt vmcnt(25) lgkmcnt(5)
	v_mul_f32_e32 v87, v32, v74
	v_mul_f32_e32 v30, v33, v74
	s_waitcnt vmcnt(24)
	v_mul_f32_e32 v88, v34, v76
	s_waitcnt vmcnt(23) lgkmcnt(4)
	v_mul_f32_e32 v31, v36, v77
	s_waitcnt vmcnt(22)
	v_mul_f32_e32 v75, v38, v78
	v_mul_f32_e32 v74, v35, v76
	;; [unrolled: 1-line block ×4, first 2 shown]
	s_waitcnt vmcnt(21)
	v_mov_b32_e32 v76, v57
	s_waitcnt vmcnt(20)
	v_mov_b32_e32 v78, v59
	;; [unrolled: 2-line block ×3, first 2 shown]
	s_waitcnt vmcnt(15)
	v_fmac_f32_e32 v87, v33, v79
	v_fma_f32 v90, v32, v79, -v30
	v_mov_b32_e32 v80, v61
	s_waitcnt vmcnt(14)
	v_fmac_f32_e32 v88, v35, v81
	s_waitcnt vmcnt(13)
	v_fmac_f32_e32 v31, v37, v83
	;; [unrolled: 2-line block ×3, first 2 shown]
	v_fma_f32 v91, v34, v81, -v74
	v_fma_f32 v30, v36, v83, -v77
	;; [unrolled: 1-line block ×3, first 2 shown]
	s_waitcnt lgkmcnt(3)
	v_pk_mul_f32 v[32:33], v[40:41], v[76:77] op_sel_hi:[1,0]
	v_pk_mul_f32 v[34:35], v[42:43], v[78:79] op_sel_hi:[1,0]
	s_waitcnt lgkmcnt(2)
	v_pk_mul_f32 v[38:39], v[46:47], v[82:83] op_sel_hi:[1,0]
	v_add_f32_e32 v82, 0, v87
	v_add_f32_e32 v83, 0, v90
	v_pk_mul_f32 v[36:37], v[44:45], v[80:81] op_sel_hi:[1,0]
	s_waitcnt vmcnt(11)
	v_pk_fma_f32 v[80:81], v[40:41], v[56:57], v[32:33] op_sel:[0,0,1] op_sel_hi:[1,1,0] neg_lo:[0,0,1] neg_hi:[0,0,1]
	v_pk_fma_f32 v[32:33], v[40:41], v[56:57], v[32:33] op_sel:[0,0,1] op_sel_hi:[1,0,0]
	s_waitcnt vmcnt(10)
	v_pk_fma_f32 v[40:41], v[42:43], v[58:59], v[34:35] op_sel:[0,0,1] op_sel_hi:[1,1,0] neg_lo:[0,0,1] neg_hi:[0,0,1]
	v_pk_fma_f32 v[34:35], v[42:43], v[58:59], v[34:35] op_sel:[0,0,1] op_sel_hi:[1,0,0]
	v_add_f32_e32 v59, v82, v88
	v_add_f32_e32 v58, v83, v91
	v_pk_add_f32 v[30:31], v[58:59], v[30:31]
	v_mov_b32_e32 v81, v33
	v_pk_add_f32 v[30:31], v[30:31], v[74:75]
	v_mov_b32_e32 v84, v65
	s_waitcnt vmcnt(9)
	v_pk_fma_f32 v[42:43], v[44:45], v[60:61], v[36:37] op_sel:[0,0,1] op_sel_hi:[1,1,0] neg_lo:[0,0,1] neg_hi:[0,0,1]
	v_pk_fma_f32 v[36:37], v[44:45], v[60:61], v[36:37] op_sel:[0,0,1] op_sel_hi:[1,0,0]
	v_mov_b32_e32 v41, v35
	v_pk_add_f32 v[30:31], v[30:31], v[80:81]
	v_mov_b32_e32 v86, v67
	s_waitcnt lgkmcnt(1)
	v_pk_mul_f32 v[76:77], v[48:49], v[84:85] op_sel_hi:[1,0]
	s_waitcnt vmcnt(5)
	v_pk_fma_f32 v[44:45], v[46:47], v[62:63], v[38:39] op_sel:[0,0,1] op_sel_hi:[1,1,0] neg_lo:[0,0,1] neg_hi:[0,0,1]
	v_pk_fma_f32 v[38:39], v[46:47], v[62:63], v[38:39] op_sel:[0,0,1] op_sel_hi:[1,0,0]
	v_mov_b32_e32 v43, v37
	v_pk_add_f32 v[30:31], v[30:31], v[40:41]
	s_waitcnt vmcnt(4)
	v_mov_b32_e32 v32, v69
	v_pk_mul_f32 v[78:79], v[50:51], v[86:87] op_sel_hi:[1,0]
	v_pk_fma_f32 v[46:47], v[48:49], v[64:65], v[76:77] op_sel:[0,0,1] op_sel_hi:[1,1,0] neg_lo:[0,0,1] neg_hi:[0,0,1]
	v_pk_fma_f32 v[48:49], v[48:49], v[64:65], v[76:77] op_sel:[0,0,1] op_sel_hi:[1,0,0]
	v_mov_b32_e32 v45, v39
	v_pk_add_f32 v[30:31], v[30:31], v[42:43]
	s_waitcnt lgkmcnt(0)
	v_pk_mul_f32 v[32:33], v[52:53], v[32:33] op_sel_hi:[1,0]
	v_pk_fma_f32 v[56:57], v[50:51], v[66:67], v[78:79] op_sel:[0,0,1] op_sel_hi:[1,1,0] neg_lo:[0,0,1] neg_hi:[0,0,1]
	v_pk_fma_f32 v[50:51], v[50:51], v[66:67], v[78:79] op_sel:[0,0,1] op_sel_hi:[1,0,0]
	v_mov_b32_e32 v47, v49
	v_pk_add_f32 v[30:31], v[30:31], v[44:45]
	v_pk_fma_f32 v[34:35], v[52:53], v[68:69], v[32:33] op_sel:[0,0,1] op_sel_hi:[1,1,0] neg_lo:[0,0,1] neg_hi:[0,0,1]
	v_pk_fma_f32 v[32:33], v[52:53], v[68:69], v[32:33] op_sel:[0,0,1] op_sel_hi:[1,0,0]
	v_mov_b32_e32 v57, v51
	v_pk_add_f32 v[30:31], v[30:31], v[46:47]
	s_waitcnt vmcnt(3)
	v_mov_b32_e32 v32, v71
	v_pk_add_f32 v[30:31], v[30:31], v[56:57]
	v_mov_b32_e32 v35, v33
	v_pk_mul_f32 v[32:33], v[54:55], v[32:33] op_sel_hi:[1,0]
	v_pk_add_f32 v[30:31], v[30:31], v[34:35]
	s_waitcnt vmcnt(2)
	v_pk_fma_f32 v[34:35], v[54:55], v[70:71], v[32:33] op_sel:[0,0,1] op_sel_hi:[1,1,0] neg_lo:[0,0,1] neg_hi:[0,0,1]
	v_pk_fma_f32 v[32:33], v[54:55], v[70:71], v[32:33] op_sel:[0,0,1] op_sel_hi:[1,0,0]
	v_mov_b32_e32 v35, v33
	v_pk_add_f32 v[30:31], v[30:31], v[34:35]
	s_waitcnt vmcnt(0)
	v_pk_add_f32 v[30:31], v[72:73], v[30:31] neg_lo:[0,1] neg_hi:[0,1]
	buffer_store_dword v31, off, s[0:3], 0 offset:12
	buffer_store_dword v30, off, s[0:3], 0 offset:8
	s_and_saveexec_b64 s[4:5], vcc
	s_cbranch_execz .LBB77_97
; %bb.96:
	buffer_load_dword v30, off, s[0:3], 0
	buffer_load_dword v31, off, s[0:3], 0 offset:4
	v_mov_b32_e32 v0, 0
	buffer_store_dword v0, off, s[0:3], 0
	buffer_store_dword v0, off, s[0:3], 0 offset:4
	s_waitcnt vmcnt(2)
	ds_write_b64 v1, v[30:31]
.LBB77_97:
	s_or_b64 exec, exec, s[4:5]
	s_waitcnt lgkmcnt(0)
	; wave barrier
	s_waitcnt lgkmcnt(0)
	buffer_load_dword v72, off, s[0:3], 0 offset:12
	buffer_load_dword v74, off, s[0:3], 0 offset:20
	;; [unrolled: 1-line block ×26, first 2 shown]
	buffer_load_dword v68, off, s[0:3], 0
	buffer_load_dword v69, off, s[0:3], 0 offset:4
	v_mov_b32_e32 v70, 0
	ds_read2_b64 v[30:33], v70 offset0:15 offset1:16
	ds_read2_b64 v[34:37], v70 offset0:17 offset1:18
	;; [unrolled: 1-line block ×6, first 2 shown]
	ds_read_b64 v[70:71], v70 offset:216
	s_and_b64 vcc, exec, s[16:17]
	s_waitcnt vmcnt(27) lgkmcnt(6)
	v_mul_f32_e32 v87, v30, v72
	s_waitcnt vmcnt(26)
	v_mul_f32_e32 v88, v32, v74
	v_mul_f32_e32 v72, v31, v72
	;; [unrolled: 1-line block ×3, first 2 shown]
	s_waitcnt vmcnt(23) lgkmcnt(4)
	v_mul_f32_e32 v75, v38, v78
	v_mul_f32_e32 v89, v34, v76
	;; [unrolled: 1-line block ×6, first 2 shown]
	s_waitcnt vmcnt(22)
	v_mov_b32_e32 v76, v1
	s_waitcnt vmcnt(21)
	v_mov_b32_e32 v78, v55
	s_waitcnt vmcnt(17)
	v_fmac_f32_e32 v87, v31, v79
	s_waitcnt vmcnt(16)
	v_fmac_f32_e32 v88, v33, v81
	;; [unrolled: 2-line block ×3, first 2 shown]
	v_fma_f32 v39, v30, v79, -v72
	v_fma_f32 v79, v32, v81, -v74
	v_pk_mul_f32 v[30:31], v[40:41], v[76:77] op_sel_hi:[1,0]
	s_waitcnt lgkmcnt(3)
	v_pk_mul_f32 v[32:33], v[42:43], v[78:79] op_sel_hi:[1,0]
	v_fma_f32 v72, v36, v85, -v77
	v_fma_f32 v74, v38, v86, -v91
	v_add_f32_e32 v76, 0, v87
	v_add_f32_e32 v77, 0, v39
	s_waitcnt vmcnt(12)
	v_pk_fma_f32 v[38:39], v[40:41], v[0:1], v[30:31] op_sel:[0,0,1] op_sel_hi:[1,1,0] neg_lo:[0,0,1] neg_hi:[0,0,1]
	v_pk_fma_f32 v[0:1], v[40:41], v[0:1], v[30:31] op_sel:[0,0,1] op_sel_hi:[1,0,0]
	s_waitcnt vmcnt(11)
	v_pk_fma_f32 v[30:31], v[42:43], v[54:55], v[32:33] op_sel:[0,0,1] op_sel_hi:[1,1,0] neg_lo:[0,0,1] neg_hi:[0,0,1]
	v_pk_fma_f32 v[32:33], v[42:43], v[54:55], v[32:33] op_sel:[0,0,1] op_sel_hi:[1,0,0]
	v_fmac_f32_e32 v89, v35, v83
	v_fma_f32 v81, v34, v83, -v90
	v_add_f32_e32 v0, v76, v88
	v_add_f32_e32 v32, v77, v79
	v_fmac_f32_e32 v73, v37, v85
	v_mov_b32_e32 v39, v1
	v_add_f32_e32 v1, v0, v89
	v_add_f32_e32 v0, v32, v81
	v_pk_add_f32 v[0:1], v[0:1], v[72:73]
	v_mov_b32_e32 v80, v57
	v_pk_add_f32 v[0:1], v[0:1], v[74:75]
	v_mov_b32_e32 v82, v59
	v_mov_b32_e32 v84, v61
	v_pk_mul_f32 v[34:35], v[44:45], v[80:81] op_sel_hi:[1,0]
	v_mov_b32_e32 v31, v33
	v_pk_add_f32 v[0:1], v[0:1], v[38:39]
	s_waitcnt lgkmcnt(2)
	v_pk_mul_f32 v[36:37], v[46:47], v[82:83] op_sel_hi:[1,0]
	s_waitcnt vmcnt(7)
	v_pk_fma_f32 v[40:41], v[44:45], v[56:57], v[34:35] op_sel:[0,0,1] op_sel_hi:[1,1,0] neg_lo:[0,0,1] neg_hi:[0,0,1]
	v_pk_fma_f32 v[34:35], v[44:45], v[56:57], v[34:35] op_sel:[0,0,1] op_sel_hi:[1,0,0]
	v_pk_add_f32 v[0:1], v[0:1], v[30:31]
	v_pk_mul_f32 v[30:31], v[48:49], v[84:85] op_sel_hi:[1,0]
	v_pk_fma_f32 v[42:43], v[46:47], v[58:59], v[36:37] op_sel:[0,0,1] op_sel_hi:[1,1,0] neg_lo:[0,0,1] neg_hi:[0,0,1]
	v_pk_fma_f32 v[36:37], v[46:47], v[58:59], v[36:37] op_sel:[0,0,1] op_sel_hi:[1,0,0]
	v_mov_b32_e32 v41, v35
	v_pk_fma_f32 v[32:33], v[48:49], v[60:61], v[30:31] op_sel:[0,0,1] op_sel_hi:[1,1,0] neg_lo:[0,0,1] neg_hi:[0,0,1]
	v_pk_fma_f32 v[30:31], v[48:49], v[60:61], v[30:31] op_sel:[0,0,1] op_sel_hi:[1,0,0]
	v_mov_b32_e32 v43, v37
	v_pk_add_f32 v[0:1], v[0:1], v[40:41]
	s_waitcnt vmcnt(6)
	v_mov_b32_e32 v30, v63
	v_pk_add_f32 v[0:1], v[0:1], v[42:43]
	v_mov_b32_e32 v33, v31
	s_waitcnt lgkmcnt(1)
	v_pk_mul_f32 v[30:31], v[50:51], v[30:31] op_sel_hi:[1,0]
	v_pk_add_f32 v[0:1], v[0:1], v[32:33]
	v_pk_fma_f32 v[32:33], v[50:51], v[62:63], v[30:31] op_sel:[0,0,1] op_sel_hi:[1,1,0] neg_lo:[0,0,1] neg_hi:[0,0,1]
	v_pk_fma_f32 v[30:31], v[50:51], v[62:63], v[30:31] op_sel:[0,0,1] op_sel_hi:[1,0,0]
	s_waitcnt vmcnt(5)
	v_mov_b32_e32 v30, v65
	v_mov_b32_e32 v33, v31
	v_pk_mul_f32 v[30:31], v[52:53], v[30:31] op_sel_hi:[1,0]
	v_pk_add_f32 v[0:1], v[0:1], v[32:33]
	s_waitcnt vmcnt(3)
	v_pk_fma_f32 v[32:33], v[52:53], v[64:65], v[30:31] op_sel:[0,0,1] op_sel_hi:[1,1,0] neg_lo:[0,0,1] neg_hi:[0,0,1]
	v_pk_fma_f32 v[30:31], v[52:53], v[64:65], v[30:31] op_sel:[0,0,1] op_sel_hi:[1,0,0]
	s_waitcnt vmcnt(2)
	v_mov_b32_e32 v30, v67
	v_mov_b32_e32 v33, v31
	s_waitcnt lgkmcnt(0)
	v_pk_mul_f32 v[30:31], v[70:71], v[30:31] op_sel_hi:[1,0]
	v_pk_add_f32 v[0:1], v[0:1], v[32:33]
	v_pk_fma_f32 v[32:33], v[70:71], v[66:67], v[30:31] op_sel:[0,0,1] op_sel_hi:[1,1,0] neg_lo:[0,0,1] neg_hi:[0,0,1]
	v_pk_fma_f32 v[30:31], v[70:71], v[66:67], v[30:31] op_sel:[0,0,1] op_sel_hi:[1,0,0]
	v_mov_b32_e32 v33, v31
	v_pk_add_f32 v[0:1], v[0:1], v[32:33]
	s_waitcnt vmcnt(0)
	v_pk_add_f32 v[0:1], v[68:69], v[0:1] neg_lo:[0,1] neg_hi:[0,1]
	buffer_store_dword v1, off, s[0:3], 0 offset:4
	buffer_store_dword v0, off, s[0:3], 0
	s_cbranch_vccz .LBB77_125
; %bb.98:
	v_pk_mov_b32 v[0:1], s[10:11], s[10:11] op_sel:[0,1]
	flat_load_dword v0, v[0:1] offset:48
	s_waitcnt vmcnt(0) lgkmcnt(0)
	v_add_u32_e32 v0, -1, v0
	v_cmp_ne_u32_e32 vcc, 12, v0
	s_and_saveexec_b64 s[4:5], vcc
	s_cbranch_execz .LBB77_100
; %bb.99:
	v_mov_b32_e32 v1, 0
	v_lshl_add_u32 v0, v0, 3, v1
	buffer_load_dword v1, v0, s[0:3], 0 offen
	buffer_load_dword v30, v0, s[0:3], 0 offen offset:4
	buffer_load_dword v31, off, s[0:3], 0 offset:100
	buffer_load_dword v32, off, s[0:3], 0 offset:96
	s_waitcnt vmcnt(3)
	buffer_store_dword v1, off, s[0:3], 0 offset:96
	s_waitcnt vmcnt(3)
	buffer_store_dword v30, off, s[0:3], 0 offset:100
	s_waitcnt vmcnt(3)
	buffer_store_dword v31, v0, s[0:3], 0 offen offset:4
	s_waitcnt vmcnt(3)
	buffer_store_dword v32, v0, s[0:3], 0 offen
.LBB77_100:
	s_or_b64 exec, exec, s[4:5]
	v_pk_mov_b32 v[0:1], s[10:11], s[10:11] op_sel:[0,1]
	flat_load_dword v0, v[0:1] offset:44
	s_waitcnt vmcnt(0) lgkmcnt(0)
	v_add_u32_e32 v0, -1, v0
	v_cmp_ne_u32_e32 vcc, 11, v0
	s_and_saveexec_b64 s[4:5], vcc
	s_cbranch_execz .LBB77_102
; %bb.101:
	v_mov_b32_e32 v1, 0
	v_lshl_add_u32 v0, v0, 3, v1
	buffer_load_dword v1, v0, s[0:3], 0 offen
	buffer_load_dword v30, v0, s[0:3], 0 offen offset:4
	buffer_load_dword v31, off, s[0:3], 0 offset:88
	buffer_load_dword v32, off, s[0:3], 0 offset:92
	s_waitcnt vmcnt(3)
	buffer_store_dword v1, off, s[0:3], 0 offset:88
	s_waitcnt vmcnt(3)
	buffer_store_dword v30, off, s[0:3], 0 offset:92
	s_waitcnt vmcnt(3)
	buffer_store_dword v31, v0, s[0:3], 0 offen
	s_waitcnt vmcnt(3)
	buffer_store_dword v32, v0, s[0:3], 0 offen offset:4
.LBB77_102:
	s_or_b64 exec, exec, s[4:5]
	v_pk_mov_b32 v[0:1], s[10:11], s[10:11] op_sel:[0,1]
	flat_load_dword v0, v[0:1] offset:40
	s_waitcnt vmcnt(0) lgkmcnt(0)
	v_add_u32_e32 v0, -1, v0
	v_cmp_ne_u32_e32 vcc, 10, v0
	s_and_saveexec_b64 s[4:5], vcc
	s_cbranch_execz .LBB77_104
; %bb.103:
	v_mov_b32_e32 v1, 0
	v_lshl_add_u32 v0, v0, 3, v1
	buffer_load_dword v1, v0, s[0:3], 0 offen
	buffer_load_dword v30, v0, s[0:3], 0 offen offset:4
	buffer_load_dword v31, off, s[0:3], 0 offset:84
	buffer_load_dword v32, off, s[0:3], 0 offset:80
	s_waitcnt vmcnt(3)
	buffer_store_dword v1, off, s[0:3], 0 offset:80
	s_waitcnt vmcnt(3)
	buffer_store_dword v30, off, s[0:3], 0 offset:84
	s_waitcnt vmcnt(3)
	buffer_store_dword v31, v0, s[0:3], 0 offen offset:4
	s_waitcnt vmcnt(3)
	buffer_store_dword v32, v0, s[0:3], 0 offen
.LBB77_104:
	s_or_b64 exec, exec, s[4:5]
	v_pk_mov_b32 v[0:1], s[10:11], s[10:11] op_sel:[0,1]
	flat_load_dword v0, v[0:1] offset:36
	s_waitcnt vmcnt(0) lgkmcnt(0)
	v_add_u32_e32 v0, -1, v0
	v_cmp_ne_u32_e32 vcc, 9, v0
	s_and_saveexec_b64 s[4:5], vcc
	s_cbranch_execz .LBB77_106
; %bb.105:
	v_mov_b32_e32 v1, 0
	v_lshl_add_u32 v0, v0, 3, v1
	buffer_load_dword v1, v0, s[0:3], 0 offen
	buffer_load_dword v30, v0, s[0:3], 0 offen offset:4
	buffer_load_dword v31, off, s[0:3], 0 offset:72
	buffer_load_dword v32, off, s[0:3], 0 offset:76
	s_waitcnt vmcnt(3)
	buffer_store_dword v1, off, s[0:3], 0 offset:72
	s_waitcnt vmcnt(3)
	buffer_store_dword v30, off, s[0:3], 0 offset:76
	s_waitcnt vmcnt(3)
	buffer_store_dword v31, v0, s[0:3], 0 offen
	s_waitcnt vmcnt(3)
	buffer_store_dword v32, v0, s[0:3], 0 offen offset:4
.LBB77_106:
	s_or_b64 exec, exec, s[4:5]
	;; [unrolled: 48-line block ×6, first 2 shown]
	v_pk_mov_b32 v[0:1], s[10:11], s[10:11] op_sel:[0,1]
	flat_load_dword v30, v[0:1]
	s_nop 0
	buffer_load_dword v0, off, s[0:3], 0
	buffer_load_dword v1, off, s[0:3], 0 offset:4
	s_waitcnt vmcnt(0) lgkmcnt(0)
	v_add_u32_e32 v30, -1, v30
	v_cmp_ne_u32_e32 vcc, 0, v30
	s_and_saveexec_b64 s[4:5], vcc
	s_cbranch_execz .LBB77_124
; %bb.123:
	v_mov_b32_e32 v31, 0
	v_lshl_add_u32 v30, v30, 3, v31
	buffer_load_dword v31, v30, s[0:3], 0 offen offset:4
	buffer_load_dword v32, v30, s[0:3], 0 offen
	s_waitcnt vmcnt(1)
	buffer_store_dword v31, off, s[0:3], 0 offset:4
	s_waitcnt vmcnt(1)
	buffer_store_dword v32, off, s[0:3], 0
	buffer_store_dword v1, v30, s[0:3], 0 offen offset:4
	buffer_store_dword v0, v30, s[0:3], 0 offen
	buffer_load_dword v0, off, s[0:3], 0
	s_nop 0
	buffer_load_dword v1, off, s[0:3], 0 offset:4
.LBB77_124:
	s_or_b64 exec, exec, s[4:5]
.LBB77_125:
	buffer_load_dword v30, off, s[0:3], 0 offset:8
	buffer_load_dword v31, off, s[0:3], 0 offset:12
	;; [unrolled: 1-line block ×26, first 2 shown]
	s_waitcnt vmcnt(26)
	global_store_dwordx2 v[2:3], v[0:1], off
	s_waitcnt vmcnt(25)
	global_store_dwordx2 v[4:5], v[30:31], off
	;; [unrolled: 2-line block ×14, first 2 shown]
	s_endpgm
	.section	.rodata,"a",@progbits
	.p2align	6, 0x0
	.amdhsa_kernel _ZN9rocsolver6v33100L18getri_kernel_smallILi14E19rocblas_complex_numIfEPKPS3_EEvT1_iilPiilS8_bb
		.amdhsa_group_segment_fixed_size 228
		.amdhsa_private_segment_fixed_size 128
		.amdhsa_kernarg_size 60
		.amdhsa_user_sgpr_count 8
		.amdhsa_user_sgpr_private_segment_buffer 1
		.amdhsa_user_sgpr_dispatch_ptr 0
		.amdhsa_user_sgpr_queue_ptr 0
		.amdhsa_user_sgpr_kernarg_segment_ptr 1
		.amdhsa_user_sgpr_dispatch_id 0
		.amdhsa_user_sgpr_flat_scratch_init 1
		.amdhsa_user_sgpr_kernarg_preload_length 0
		.amdhsa_user_sgpr_kernarg_preload_offset 0
		.amdhsa_user_sgpr_private_segment_size 0
		.amdhsa_uses_dynamic_stack 0
		.amdhsa_system_sgpr_private_segment_wavefront_offset 1
		.amdhsa_system_sgpr_workgroup_id_x 1
		.amdhsa_system_sgpr_workgroup_id_y 0
		.amdhsa_system_sgpr_workgroup_id_z 0
		.amdhsa_system_sgpr_workgroup_info 0
		.amdhsa_system_vgpr_workitem_id 0
		.amdhsa_next_free_vgpr 92
		.amdhsa_next_free_sgpr 22
		.amdhsa_accum_offset 92
		.amdhsa_reserve_vcc 1
		.amdhsa_reserve_flat_scratch 1
		.amdhsa_float_round_mode_32 0
		.amdhsa_float_round_mode_16_64 0
		.amdhsa_float_denorm_mode_32 3
		.amdhsa_float_denorm_mode_16_64 3
		.amdhsa_dx10_clamp 1
		.amdhsa_ieee_mode 1
		.amdhsa_fp16_overflow 0
		.amdhsa_tg_split 0
		.amdhsa_exception_fp_ieee_invalid_op 0
		.amdhsa_exception_fp_denorm_src 0
		.amdhsa_exception_fp_ieee_div_zero 0
		.amdhsa_exception_fp_ieee_overflow 0
		.amdhsa_exception_fp_ieee_underflow 0
		.amdhsa_exception_fp_ieee_inexact 0
		.amdhsa_exception_int_div_zero 0
	.end_amdhsa_kernel
	.section	.text._ZN9rocsolver6v33100L18getri_kernel_smallILi14E19rocblas_complex_numIfEPKPS3_EEvT1_iilPiilS8_bb,"axG",@progbits,_ZN9rocsolver6v33100L18getri_kernel_smallILi14E19rocblas_complex_numIfEPKPS3_EEvT1_iilPiilS8_bb,comdat
.Lfunc_end77:
	.size	_ZN9rocsolver6v33100L18getri_kernel_smallILi14E19rocblas_complex_numIfEPKPS3_EEvT1_iilPiilS8_bb, .Lfunc_end77-_ZN9rocsolver6v33100L18getri_kernel_smallILi14E19rocblas_complex_numIfEPKPS3_EEvT1_iilPiilS8_bb
                                        ; -- End function
	.section	.AMDGPU.csdata,"",@progbits
; Kernel info:
; codeLenInByte = 14308
; NumSgprs: 28
; NumVgprs: 92
; NumAgprs: 0
; TotalNumVgprs: 92
; ScratchSize: 128
; MemoryBound: 0
; FloatMode: 240
; IeeeMode: 1
; LDSByteSize: 228 bytes/workgroup (compile time only)
; SGPRBlocks: 3
; VGPRBlocks: 11
; NumSGPRsForWavesPerEU: 28
; NumVGPRsForWavesPerEU: 92
; AccumOffset: 92
; Occupancy: 5
; WaveLimiterHint : 1
; COMPUTE_PGM_RSRC2:SCRATCH_EN: 1
; COMPUTE_PGM_RSRC2:USER_SGPR: 8
; COMPUTE_PGM_RSRC2:TRAP_HANDLER: 0
; COMPUTE_PGM_RSRC2:TGID_X_EN: 1
; COMPUTE_PGM_RSRC2:TGID_Y_EN: 0
; COMPUTE_PGM_RSRC2:TGID_Z_EN: 0
; COMPUTE_PGM_RSRC2:TIDIG_COMP_CNT: 0
; COMPUTE_PGM_RSRC3_GFX90A:ACCUM_OFFSET: 22
; COMPUTE_PGM_RSRC3_GFX90A:TG_SPLIT: 0
	.section	.text._ZN9rocsolver6v33100L18getri_kernel_smallILi15E19rocblas_complex_numIfEPKPS3_EEvT1_iilPiilS8_bb,"axG",@progbits,_ZN9rocsolver6v33100L18getri_kernel_smallILi15E19rocblas_complex_numIfEPKPS3_EEvT1_iilPiilS8_bb,comdat
	.globl	_ZN9rocsolver6v33100L18getri_kernel_smallILi15E19rocblas_complex_numIfEPKPS3_EEvT1_iilPiilS8_bb ; -- Begin function _ZN9rocsolver6v33100L18getri_kernel_smallILi15E19rocblas_complex_numIfEPKPS3_EEvT1_iilPiilS8_bb
	.p2align	8
	.type	_ZN9rocsolver6v33100L18getri_kernel_smallILi15E19rocblas_complex_numIfEPKPS3_EEvT1_iilPiilS8_bb,@function
_ZN9rocsolver6v33100L18getri_kernel_smallILi15E19rocblas_complex_numIfEPKPS3_EEvT1_iilPiilS8_bb: ; @_ZN9rocsolver6v33100L18getri_kernel_smallILi15E19rocblas_complex_numIfEPKPS3_EEvT1_iilPiilS8_bb
; %bb.0:
	s_add_u32 flat_scratch_lo, s6, s9
	s_addc_u32 flat_scratch_hi, s7, 0
	s_add_u32 s0, s0, s9
	s_addc_u32 s1, s1, 0
	v_cmp_gt_u32_e32 vcc, 15, v0
	s_and_saveexec_b64 s[6:7], vcc
	s_cbranch_execz .LBB78_74
; %bb.1:
	s_load_dword s20, s[4:5], 0x38
	s_load_dwordx2 s[6:7], s[4:5], 0x0
	s_load_dwordx4 s[12:15], s[4:5], 0x28
	s_waitcnt lgkmcnt(0)
	s_bitcmp1_b32 s20, 8
	s_cselect_b64 s[16:17], -1, 0
	s_ashr_i32 s9, s8, 31
	s_lshl_b64 s[10:11], s[8:9], 3
	s_add_u32 s6, s6, s10
	s_addc_u32 s7, s7, s11
	s_load_dwordx2 s[18:19], s[6:7], 0x0
	s_bfe_u32 s6, s20, 0x10008
	s_cmp_eq_u32 s6, 0
                                        ; implicit-def: $sgpr10_sgpr11
	s_cbranch_scc1 .LBB78_3
; %bb.2:
	s_load_dword s6, s[4:5], 0x20
	s_load_dwordx2 s[10:11], s[4:5], 0x18
	s_mul_i32 s7, s8, s13
	s_mul_hi_u32 s13, s8, s12
	s_add_i32 s13, s13, s7
	s_mul_i32 s21, s9, s12
	s_add_i32 s13, s13, s21
	s_mul_i32 s12, s8, s12
	s_waitcnt lgkmcnt(0)
	s_ashr_i32 s7, s6, 31
	s_lshl_b64 s[12:13], s[12:13], 2
	s_add_u32 s10, s10, s12
	s_addc_u32 s11, s11, s13
	s_lshl_b64 s[6:7], s[6:7], 2
	s_add_u32 s10, s10, s6
	s_addc_u32 s11, s11, s7
.LBB78_3:
	s_load_dwordx2 s[6:7], s[4:5], 0x8
	v_lshlrev_b32_e32 v36, 3, v0
	s_waitcnt lgkmcnt(0)
	s_ashr_i32 s5, s6, 31
	s_mov_b32 s4, s6
	s_lshl_b64 s[4:5], s[4:5], 3
	s_add_u32 s4, s18, s4
	s_addc_u32 s5, s19, s5
	v_mov_b32_e32 v1, s5
	v_add_co_u32_e32 v2, vcc, s4, v36
	s_ashr_i32 s13, s7, 31
	s_mov_b32 s12, s7
	s_add_i32 s6, s7, s7
	v_addc_co_u32_e32 v3, vcc, 0, v1, vcc
	s_lshl_b64 s[12:13], s[12:13], 3
	v_add_u32_e32 v8, s6, v0
	v_mov_b32_e32 v1, s13
	v_add_co_u32_e32 v4, vcc, s12, v2
	v_ashrrev_i32_e32 v9, 31, v8
	v_addc_co_u32_e32 v5, vcc, v3, v1, vcc
	v_lshlrev_b64 v[6:7], 3, v[8:9]
	v_add_u32_e32 v10, s7, v8
	v_mov_b32_e32 v1, s5
	v_add_co_u32_e32 v6, vcc, s4, v6
	v_ashrrev_i32_e32 v11, 31, v10
	v_addc_co_u32_e32 v7, vcc, v1, v7, vcc
	v_lshlrev_b64 v[8:9], 3, v[10:11]
	v_add_u32_e32 v12, s7, v10
	v_add_co_u32_e32 v8, vcc, s4, v8
	v_ashrrev_i32_e32 v13, 31, v12
	v_addc_co_u32_e32 v9, vcc, v1, v9, vcc
	v_lshlrev_b64 v[10:11], 3, v[12:13]
	v_add_u32_e32 v14, s7, v12
	;; [unrolled: 5-line block ×10, first 2 shown]
	v_add_co_u32_e32 v26, vcc, s4, v26
	v_ashrrev_i32_e32 v31, 31, v30
	v_addc_co_u32_e32 v27, vcc, v1, v27, vcc
	v_lshlrev_b64 v[28:29], 3, v[30:31]
	v_add_co_u32_e32 v28, vcc, s4, v28
	global_load_dwordx2 v[32:33], v36, s[4:5]
	global_load_dwordx2 v[34:35], v[4:5], off
	global_load_dwordx2 v[38:39], v[6:7], off
	;; [unrolled: 1-line block ×8, first 2 shown]
	v_addc_co_u32_e32 v29, vcc, v1, v29, vcc
	global_load_dwordx2 v[52:53], v[20:21], off
	global_load_dwordx2 v[54:55], v[22:23], off
	;; [unrolled: 1-line block ×5, first 2 shown]
	v_add_u32_e32 v30, s7, v30
	v_ashrrev_i32_e32 v31, 31, v30
	v_lshlrev_b64 v[30:31], 3, v[30:31]
	v_add_co_u32_e32 v30, vcc, s4, v30
	v_addc_co_u32_e32 v31, vcc, v1, v31, vcc
	global_load_dwordx2 v[62:63], v[30:31], off
	s_bitcmp0_b32 s20, 0
	s_mov_b64 s[6:7], -1
	s_waitcnt vmcnt(14)
	buffer_store_dword v33, off, s[0:3], 0 offset:4
	buffer_store_dword v32, off, s[0:3], 0
	s_waitcnt vmcnt(15)
	buffer_store_dword v35, off, s[0:3], 0 offset:12
	buffer_store_dword v34, off, s[0:3], 0 offset:8
	s_waitcnt vmcnt(16)
	buffer_store_dword v39, off, s[0:3], 0 offset:20
	buffer_store_dword v38, off, s[0:3], 0 offset:16
	;; [unrolled: 3-line block ×14, first 2 shown]
	s_cbranch_scc1 .LBB78_72
; %bb.4:
	v_cmp_eq_u32_e64 s[4:5], 0, v0
	s_and_saveexec_b64 s[6:7], s[4:5]
	s_cbranch_execz .LBB78_6
; %bb.5:
	v_mov_b32_e32 v1, 0
	ds_write_b32 v1, v1 offset:120
.LBB78_6:
	s_or_b64 exec, exec, s[6:7]
	v_mov_b32_e32 v1, 0
	v_lshl_add_u32 v37, v0, 3, v1
	s_waitcnt lgkmcnt(0)
	; wave barrier
	s_waitcnt lgkmcnt(0)
	buffer_load_dword v1, v37, s[0:3], 0 offen
	buffer_load_dword v32, v37, s[0:3], 0 offen offset:4
	s_waitcnt vmcnt(1)
	v_cmp_eq_f32_e32 vcc, 0, v1
	s_waitcnt vmcnt(0)
	v_cmp_eq_f32_e64 s[6:7], 0, v32
	s_and_b64 s[6:7], vcc, s[6:7]
	s_and_saveexec_b64 s[12:13], s[6:7]
	s_cbranch_execz .LBB78_10
; %bb.7:
	v_mov_b32_e32 v1, 0
	ds_read_b32 v33, v1 offset:120
	v_add_u32_e32 v32, 1, v0
	s_waitcnt lgkmcnt(0)
	v_readfirstlane_b32 s6, v33
	s_cmp_eq_u32 s6, 0
	s_cselect_b64 s[18:19], -1, 0
	v_cmp_gt_i32_e32 vcc, s6, v32
	s_or_b64 s[18:19], s[18:19], vcc
	s_and_b64 exec, exec, s[18:19]
	s_cbranch_execz .LBB78_10
; %bb.8:
	s_mov_b64 s[18:19], 0
	v_mov_b32_e32 v33, s6
.LBB78_9:                               ; =>This Inner Loop Header: Depth=1
	ds_cmpst_rtn_b32 v33, v1, v33, v32 offset:120
	s_waitcnt lgkmcnt(0)
	v_cmp_ne_u32_e32 vcc, 0, v33
	v_cmp_le_i32_e64 s[6:7], v33, v32
	s_and_b64 s[6:7], vcc, s[6:7]
	s_and_b64 s[6:7], exec, s[6:7]
	s_or_b64 s[18:19], s[6:7], s[18:19]
	s_andn2_b64 exec, exec, s[18:19]
	s_cbranch_execnz .LBB78_9
.LBB78_10:
	s_or_b64 exec, exec, s[12:13]
	v_mov_b32_e32 v32, 0
	s_waitcnt lgkmcnt(0)
	; wave barrier
	ds_read_b32 v1, v32 offset:120
	s_and_saveexec_b64 s[6:7], s[4:5]
	s_cbranch_execz .LBB78_12
; %bb.11:
	s_lshl_b64 s[12:13], s[8:9], 2
	s_add_u32 s12, s14, s12
	s_addc_u32 s13, s15, s13
	s_waitcnt lgkmcnt(0)
	global_store_dword v32, v1, s[12:13]
.LBB78_12:
	s_or_b64 exec, exec, s[6:7]
	s_waitcnt lgkmcnt(0)
	v_cmp_ne_u32_e32 vcc, 0, v1
	s_mov_b64 s[6:7], 0
	s_cbranch_vccnz .LBB78_72
; %bb.13:
	buffer_load_dword v38, v37, s[0:3], 0 offen offset:4
	buffer_load_dword v33, v37, s[0:3], 0 offen
	s_waitcnt vmcnt(1)
	v_cmp_gt_f32_e32 vcc, 0, v38
	v_cndmask_b32_e64 v1, v38, -v38, vcc
	s_waitcnt vmcnt(0)
	v_cmp_gt_f32_e32 vcc, 0, v33
	v_cndmask_b32_e64 v32, v33, -v33, vcc
	v_cmp_ngt_f32_e32 vcc, v32, v1
                                        ; implicit-def: $vgpr1
                                        ; implicit-def: $vgpr32
	s_and_saveexec_b64 s[6:7], vcc
	s_xor_b64 s[6:7], exec, s[6:7]
                                        ; implicit-def: $vgpr34_vgpr35
	s_cbranch_execz .LBB78_15
; %bb.14:
	v_div_scale_f32 v1, s[12:13], v38, v38, v33
	v_rcp_f32_e32 v32, v1
	v_div_scale_f32 v34, vcc, v33, v38, v33
	v_fma_f32 v35, -v1, v32, 1.0
	v_fmac_f32_e32 v32, v35, v32
	v_mul_f32_e32 v35, v34, v32
	v_fma_f32 v39, -v1, v35, v34
	v_fmac_f32_e32 v35, v39, v32
	v_fma_f32 v1, -v1, v35, v34
	v_div_fmas_f32 v1, v1, v32, v35
	v_div_fixup_f32 v32, v1, v38, v33
	v_fmac_f32_e32 v38, v33, v32
	v_div_scale_f32 v1, s[12:13], v38, v38, -1.0
	v_rcp_f32_e32 v33, v1
	v_fma_f32 v34, -v1, v33, 1.0
	v_fmac_f32_e32 v33, v34, v33
	v_div_scale_f32 v34, vcc, -1.0, v38, -1.0
	v_mul_f32_e32 v35, v34, v33
	v_fma_f32 v39, -v1, v35, v34
	v_fmac_f32_e32 v35, v39, v33
	v_fma_f32 v1, -v1, v35, v34
	v_div_fmas_f32 v1, v1, v33, v35
	v_div_fixup_f32 v1, v1, v38, -1.0
	v_mul_f32_e32 v32, v32, v1
	v_xor_b32_e32 v34, 0x80000000, v32
                                        ; implicit-def: $vgpr33
                                        ; implicit-def: $vgpr38
.LBB78_15:
	s_andn2_saveexec_b64 s[6:7], s[6:7]
	s_cbranch_execz .LBB78_17
; %bb.16:
	v_div_scale_f32 v1, s[12:13], v33, v33, v38
	v_rcp_f32_e32 v32, v1
	v_div_scale_f32 v34, vcc, v38, v33, v38
	v_fma_f32 v35, -v1, v32, 1.0
	v_fmac_f32_e32 v32, v35, v32
	v_mul_f32_e32 v35, v34, v32
	v_fma_f32 v39, -v1, v35, v34
	v_fmac_f32_e32 v35, v39, v32
	v_fma_f32 v1, -v1, v35, v34
	v_div_fmas_f32 v1, v1, v32, v35
	v_div_fixup_f32 v1, v1, v33, v38
	v_fmac_f32_e32 v33, v38, v1
	v_div_scale_f32 v32, s[12:13], v33, v33, 1.0
	v_rcp_f32_e32 v34, v32
	v_fma_f32 v35, -v32, v34, 1.0
	v_fmac_f32_e32 v34, v35, v34
	v_div_scale_f32 v35, vcc, 1.0, v33, 1.0
	v_mul_f32_e32 v38, v35, v34
	v_fma_f32 v39, -v32, v38, v35
	v_fmac_f32_e32 v38, v39, v34
	v_fma_f32 v32, -v32, v38, v35
	v_div_fmas_f32 v32, v32, v34, v38
	v_div_fixup_f32 v34, v32, v33, 1.0
	v_xor_b32_e32 v32, 0x80000000, v34
	v_mul_f32_e64 v1, v1, -v34
.LBB78_17:
	s_or_b64 exec, exec, s[6:7]
	buffer_store_dword v1, v37, s[0:3], 0 offen offset:4
	buffer_store_dword v34, v37, s[0:3], 0 offen
	buffer_load_dword v35, off, s[0:3], 0 offset:12
	s_nop 0
	buffer_load_dword v34, off, s[0:3], 0 offset:8
	v_xor_b32_e32 v33, 0x80000000, v1
	v_add_u32_e32 v1, 0x80, v36
	s_waitcnt vmcnt(0)
	ds_write2_b64 v36, v[32:33], v[34:35] offset1:16
	s_waitcnt lgkmcnt(0)
	; wave barrier
	s_waitcnt lgkmcnt(0)
	s_and_saveexec_b64 s[6:7], s[4:5]
	s_cbranch_execz .LBB78_19
; %bb.18:
	buffer_load_dword v38, v37, s[0:3], 0 offen offset:4
	buffer_load_dword v39, v37, s[0:3], 0 offen
	ds_read_b64 v[32:33], v1
	v_mov_b32_e32 v34, 0
	ds_read_b64 v[34:35], v34 offset:8
	s_waitcnt vmcnt(1) lgkmcnt(1)
	v_mul_f32_e32 v40, v33, v38
	v_mul_f32_e32 v38, v32, v38
	s_waitcnt vmcnt(0)
	v_fmac_f32_e32 v38, v33, v39
	v_fma_f32 v32, v32, v39, -v40
	v_add_f32_e32 v33, 0, v38
	v_add_f32_e32 v32, 0, v32
	s_waitcnt lgkmcnt(0)
	v_mul_f32_e32 v38, v33, v35
	v_mul_f32_e32 v35, v32, v35
	v_fma_f32 v32, v32, v34, -v38
	v_fmac_f32_e32 v35, v33, v34
	buffer_store_dword v32, off, s[0:3], 0 offset:8
	buffer_store_dword v35, off, s[0:3], 0 offset:12
.LBB78_19:
	s_or_b64 exec, exec, s[6:7]
	s_waitcnt lgkmcnt(0)
	; wave barrier
	buffer_load_dword v32, off, s[0:3], 0 offset:16
	buffer_load_dword v33, off, s[0:3], 0 offset:20
	v_cmp_gt_u32_e32 vcc, 2, v0
	s_waitcnt vmcnt(0)
	ds_write_b64 v1, v[32:33]
	s_waitcnt lgkmcnt(0)
	; wave barrier
	s_waitcnt lgkmcnt(0)
	s_and_saveexec_b64 s[6:7], vcc
	s_cbranch_execz .LBB78_23
; %bb.20:
	buffer_load_dword v34, v37, s[0:3], 0 offen offset:4
	buffer_load_dword v35, v37, s[0:3], 0 offen
	ds_read_b64 v[32:33], v1
	s_waitcnt vmcnt(1) lgkmcnt(0)
	v_mul_f32_e32 v37, v33, v34
	v_mul_f32_e32 v34, v32, v34
	s_waitcnt vmcnt(0)
	v_fma_f32 v32, v32, v35, -v37
	v_fmac_f32_e32 v34, v33, v35
	v_add_f32_e32 v33, 0, v32
	v_add_f32_e32 v32, 0, v34
	s_and_saveexec_b64 s[12:13], s[4:5]
	s_cbranch_execz .LBB78_22
; %bb.21:
	buffer_load_dword v37, off, s[0:3], 0 offset:12
	buffer_load_dword v38, off, s[0:3], 0 offset:8
	v_mov_b32_e32 v34, 0
	ds_read_b64 v[34:35], v34 offset:136
	s_waitcnt vmcnt(1) lgkmcnt(0)
	v_mul_f32_e32 v39, v34, v37
	v_mul_f32_e32 v37, v35, v37
	s_waitcnt vmcnt(0)
	v_fmac_f32_e32 v39, v35, v38
	v_fma_f32 v34, v34, v38, -v37
	v_add_f32_e32 v32, v32, v39
	v_add_f32_e32 v33, v33, v34
.LBB78_22:
	s_or_b64 exec, exec, s[12:13]
	v_mov_b32_e32 v34, 0
	ds_read_b64 v[34:35], v34 offset:16
	s_waitcnt lgkmcnt(0)
	v_mul_f32_e32 v37, v32, v35
	v_mul_f32_e32 v35, v33, v35
	v_fma_f32 v33, v33, v34, -v37
	v_fmac_f32_e32 v35, v32, v34
	buffer_store_dword v33, off, s[0:3], 0 offset:16
	buffer_store_dword v35, off, s[0:3], 0 offset:20
.LBB78_23:
	s_or_b64 exec, exec, s[6:7]
	s_waitcnt lgkmcnt(0)
	; wave barrier
	buffer_load_dword v32, off, s[0:3], 0 offset:24
	buffer_load_dword v33, off, s[0:3], 0 offset:28
	v_cmp_gt_u32_e32 vcc, 3, v0
	s_waitcnt vmcnt(0)
	ds_write_b64 v1, v[32:33]
	v_add_u32_e32 v32, -1, v0
	s_waitcnt lgkmcnt(0)
	; wave barrier
	s_waitcnt lgkmcnt(0)
	s_and_saveexec_b64 s[4:5], vcc
	s_cbranch_execz .LBB78_27
; %bb.24:
	v_add_u32_e32 v34, -1, v0
	v_add_u32_e32 v35, 0x80, v36
	v_add_u32_e32 v37, 0, v36
	s_mov_b64 s[6:7], 0
	v_mov_b32_e32 v33, 0
	v_mov_b32_e32 v38, 0
.LBB78_25:                              ; =>This Inner Loop Header: Depth=1
	buffer_load_dword v39, v37, s[0:3], 0 offen offset:4
	buffer_load_dword v42, v37, s[0:3], 0 offen
	ds_read_b64 v[40:41], v35
	v_add_u32_e32 v34, 1, v34
	v_cmp_lt_u32_e32 vcc, 1, v34
	v_add_u32_e32 v35, 8, v35
	v_add_u32_e32 v37, 8, v37
	s_or_b64 s[6:7], vcc, s[6:7]
	s_waitcnt vmcnt(1) lgkmcnt(0)
	v_mul_f32_e32 v43, v41, v39
	v_mul_f32_e32 v39, v40, v39
	s_waitcnt vmcnt(0)
	v_fma_f32 v40, v40, v42, -v43
	v_fmac_f32_e32 v39, v41, v42
	v_add_f32_e32 v38, v38, v40
	v_add_f32_e32 v33, v33, v39
	s_andn2_b64 exec, exec, s[6:7]
	s_cbranch_execnz .LBB78_25
; %bb.26:
	s_or_b64 exec, exec, s[6:7]
	v_mov_b32_e32 v34, 0
	ds_read_b64 v[34:35], v34 offset:24
	s_waitcnt lgkmcnt(0)
	v_mul_f32_e32 v37, v33, v35
	v_mul_f32_e32 v35, v38, v35
	v_fma_f32 v37, v38, v34, -v37
	v_fmac_f32_e32 v35, v33, v34
	buffer_store_dword v37, off, s[0:3], 0 offset:24
	buffer_store_dword v35, off, s[0:3], 0 offset:28
.LBB78_27:
	s_or_b64 exec, exec, s[4:5]
	s_waitcnt lgkmcnt(0)
	; wave barrier
	buffer_load_dword v34, off, s[0:3], 0 offset:32
	buffer_load_dword v35, off, s[0:3], 0 offset:36
	v_cmp_gt_u32_e32 vcc, 4, v0
	s_waitcnt vmcnt(0)
	ds_write_b64 v1, v[34:35]
	s_waitcnt lgkmcnt(0)
	; wave barrier
	s_waitcnt lgkmcnt(0)
	s_and_saveexec_b64 s[4:5], vcc
	s_cbranch_execz .LBB78_31
; %bb.28:
	v_add_u32_e32 v34, -1, v0
	v_add_u32_e32 v35, 0x80, v36
	v_add_u32_e32 v37, 0, v36
	s_mov_b64 s[6:7], 0
	v_mov_b32_e32 v33, 0
	v_mov_b32_e32 v38, 0
.LBB78_29:                              ; =>This Inner Loop Header: Depth=1
	buffer_load_dword v39, v37, s[0:3], 0 offen offset:4
	buffer_load_dword v42, v37, s[0:3], 0 offen
	ds_read_b64 v[40:41], v35
	v_add_u32_e32 v34, 1, v34
	v_cmp_lt_u32_e32 vcc, 2, v34
	v_add_u32_e32 v35, 8, v35
	v_add_u32_e32 v37, 8, v37
	s_or_b64 s[6:7], vcc, s[6:7]
	s_waitcnt vmcnt(1) lgkmcnt(0)
	v_mul_f32_e32 v43, v41, v39
	v_mul_f32_e32 v39, v40, v39
	s_waitcnt vmcnt(0)
	v_fma_f32 v40, v40, v42, -v43
	v_fmac_f32_e32 v39, v41, v42
	v_add_f32_e32 v38, v38, v40
	v_add_f32_e32 v33, v33, v39
	s_andn2_b64 exec, exec, s[6:7]
	s_cbranch_execnz .LBB78_29
; %bb.30:
	s_or_b64 exec, exec, s[6:7]
	v_mov_b32_e32 v34, 0
	ds_read_b64 v[34:35], v34 offset:32
	s_waitcnt lgkmcnt(0)
	v_mul_f32_e32 v37, v33, v35
	v_mul_f32_e32 v35, v38, v35
	v_fma_f32 v37, v38, v34, -v37
	v_fmac_f32_e32 v35, v33, v34
	buffer_store_dword v37, off, s[0:3], 0 offset:32
	buffer_store_dword v35, off, s[0:3], 0 offset:36
.LBB78_31:
	s_or_b64 exec, exec, s[4:5]
	s_waitcnt lgkmcnt(0)
	; wave barrier
	buffer_load_dword v34, off, s[0:3], 0 offset:40
	buffer_load_dword v35, off, s[0:3], 0 offset:44
	v_cmp_gt_u32_e32 vcc, 5, v0
	s_waitcnt vmcnt(0)
	ds_write_b64 v1, v[34:35]
	;; [unrolled: 51-line block ×10, first 2 shown]
	s_waitcnt lgkmcnt(0)
	; wave barrier
	s_waitcnt lgkmcnt(0)
	s_and_saveexec_b64 s[4:5], vcc
	s_cbranch_execz .LBB78_67
; %bb.64:
	v_add_u32_e32 v34, -1, v0
	v_add_u32_e32 v35, 0x80, v36
	v_add_u32_e32 v37, 0, v36
	s_mov_b64 s[6:7], 0
	v_mov_b32_e32 v33, 0
	v_mov_b32_e32 v38, 0
.LBB78_65:                              ; =>This Inner Loop Header: Depth=1
	buffer_load_dword v39, v37, s[0:3], 0 offen offset:4
	buffer_load_dword v42, v37, s[0:3], 0 offen
	ds_read_b64 v[40:41], v35
	v_add_u32_e32 v34, 1, v34
	v_cmp_lt_u32_e32 vcc, 11, v34
	v_add_u32_e32 v35, 8, v35
	v_add_u32_e32 v37, 8, v37
	s_or_b64 s[6:7], vcc, s[6:7]
	s_waitcnt vmcnt(1) lgkmcnt(0)
	v_mul_f32_e32 v43, v41, v39
	v_mul_f32_e32 v39, v40, v39
	s_waitcnt vmcnt(0)
	v_fma_f32 v40, v40, v42, -v43
	v_fmac_f32_e32 v39, v41, v42
	v_add_f32_e32 v38, v38, v40
	v_add_f32_e32 v33, v33, v39
	s_andn2_b64 exec, exec, s[6:7]
	s_cbranch_execnz .LBB78_65
; %bb.66:
	s_or_b64 exec, exec, s[6:7]
	v_mov_b32_e32 v34, 0
	ds_read_b64 v[34:35], v34 offset:104
	s_waitcnt lgkmcnt(0)
	v_mul_f32_e32 v37, v33, v35
	v_mul_f32_e32 v35, v38, v35
	v_fma_f32 v37, v38, v34, -v37
	v_fmac_f32_e32 v35, v33, v34
	buffer_store_dword v37, off, s[0:3], 0 offset:104
	buffer_store_dword v35, off, s[0:3], 0 offset:108
.LBB78_67:
	s_or_b64 exec, exec, s[4:5]
	s_waitcnt lgkmcnt(0)
	; wave barrier
	buffer_load_dword v34, off, s[0:3], 0 offset:112
	buffer_load_dword v35, off, s[0:3], 0 offset:116
	v_cmp_ne_u32_e32 vcc, 14, v0
	s_waitcnt vmcnt(0)
	ds_write_b64 v1, v[34:35]
	s_waitcnt lgkmcnt(0)
	; wave barrier
	s_waitcnt lgkmcnt(0)
	s_and_saveexec_b64 s[4:5], vcc
	s_cbranch_execz .LBB78_71
; %bb.68:
	v_add_u32_e32 v33, 0x80, v36
	v_add_u32_e32 v34, 0, v36
	s_mov_b64 s[6:7], 0
	v_mov_b32_e32 v1, 0
	v_mov_b32_e32 v35, 0
.LBB78_69:                              ; =>This Inner Loop Header: Depth=1
	buffer_load_dword v38, v34, s[0:3], 0 offen offset:4
	buffer_load_dword v39, v34, s[0:3], 0 offen
	ds_read_b64 v[36:37], v33
	v_add_u32_e32 v32, 1, v32
	v_cmp_lt_u32_e32 vcc, 12, v32
	v_add_u32_e32 v33, 8, v33
	v_add_u32_e32 v34, 8, v34
	s_or_b64 s[6:7], vcc, s[6:7]
	s_waitcnt vmcnt(1) lgkmcnt(0)
	v_mul_f32_e32 v40, v37, v38
	v_mul_f32_e32 v38, v36, v38
	s_waitcnt vmcnt(0)
	v_fma_f32 v36, v36, v39, -v40
	v_fmac_f32_e32 v38, v37, v39
	v_add_f32_e32 v35, v35, v36
	v_add_f32_e32 v1, v1, v38
	s_andn2_b64 exec, exec, s[6:7]
	s_cbranch_execnz .LBB78_69
; %bb.70:
	s_or_b64 exec, exec, s[6:7]
	v_mov_b32_e32 v32, 0
	ds_read_b64 v[32:33], v32 offset:112
	s_waitcnt lgkmcnt(0)
	v_mul_f32_e32 v34, v1, v33
	v_mul_f32_e32 v33, v35, v33
	v_fma_f32 v34, v35, v32, -v34
	v_fmac_f32_e32 v33, v1, v32
	buffer_store_dword v34, off, s[0:3], 0 offset:112
	buffer_store_dword v33, off, s[0:3], 0 offset:116
.LBB78_71:
	s_or_b64 exec, exec, s[4:5]
	s_mov_b64 s[6:7], -1
	s_waitcnt lgkmcnt(0)
	; wave barrier
.LBB78_72:
	s_and_b64 vcc, exec, s[6:7]
	s_cbranch_vccz .LBB78_74
; %bb.73:
	s_lshl_b64 s[4:5], s[8:9], 2
	s_add_u32 s4, s14, s4
	s_addc_u32 s5, s15, s5
	v_mov_b32_e32 v1, 0
	global_load_dword v1, v1, s[4:5]
	s_waitcnt vmcnt(0)
	v_cmp_ne_u32_e32 vcc, 0, v1
	s_cbranch_vccz .LBB78_75
.LBB78_74:
	s_endpgm
.LBB78_75:
	v_mov_b32_e32 v1, 0x80
	v_lshl_add_u32 v1, v0, 3, v1
	v_cmp_eq_u32_e32 vcc, 14, v0
	s_and_saveexec_b64 s[4:5], vcc
	s_cbranch_execz .LBB78_77
; %bb.76:
	buffer_load_dword v32, off, s[0:3], 0 offset:104
	buffer_load_dword v33, off, s[0:3], 0 offset:108
	v_mov_b32_e32 v34, 0
	buffer_store_dword v34, off, s[0:3], 0 offset:104
	buffer_store_dword v34, off, s[0:3], 0 offset:108
	s_waitcnt vmcnt(2)
	ds_write_b64 v1, v[32:33]
.LBB78_77:
	s_or_b64 exec, exec, s[4:5]
	s_waitcnt lgkmcnt(0)
	; wave barrier
	s_waitcnt lgkmcnt(0)
	buffer_load_dword v35, off, s[0:3], 0 offset:116
	buffer_load_dword v34, off, s[0:3], 0 offset:112
	;; [unrolled: 1-line block ×4, first 2 shown]
	v_mov_b32_e32 v32, 0
	ds_read_b64 v[38:39], v32 offset:240
	v_cmp_lt_u32_e32 vcc, 12, v0
	s_waitcnt vmcnt(3)
	v_mov_b32_e32 v40, v35
	s_waitcnt lgkmcnt(0)
	v_pk_mul_f32 v[40:41], v[38:39], v[40:41] op_sel_hi:[1,0]
	s_waitcnt vmcnt(2)
	v_pk_fma_f32 v[42:43], v[38:39], v[34:35], v[40:41] op_sel:[0,0,1] op_sel_hi:[1,1,0] neg_lo:[0,0,1] neg_hi:[0,0,1]
	v_pk_fma_f32 v[34:35], v[38:39], v[34:35], v[40:41] op_sel:[0,0,1] op_sel_hi:[1,0,0]
	v_mov_b32_e32 v43, v35
	v_pk_add_f32 v[34:35], v[42:43], 0 op_sel_hi:[1,0]
	s_waitcnt vmcnt(0)
	v_pk_add_f32 v[34:35], v[36:37], v[34:35] neg_lo:[0,1] neg_hi:[0,1]
	buffer_store_dword v34, off, s[0:3], 0 offset:104
	buffer_store_dword v35, off, s[0:3], 0 offset:108
	s_and_saveexec_b64 s[4:5], vcc
	s_cbranch_execz .LBB78_79
; %bb.78:
	buffer_load_dword v34, off, s[0:3], 0 offset:96
	buffer_load_dword v35, off, s[0:3], 0 offset:100
	s_waitcnt vmcnt(0)
	ds_write_b64 v1, v[34:35]
	buffer_store_dword v32, off, s[0:3], 0 offset:96
	buffer_store_dword v32, off, s[0:3], 0 offset:100
.LBB78_79:
	s_or_b64 exec, exec, s[4:5]
	s_waitcnt lgkmcnt(0)
	; wave barrier
	s_waitcnt lgkmcnt(0)
	buffer_load_dword v37, off, s[0:3], 0 offset:108
	buffer_load_dword v39, off, s[0:3], 0 offset:116
	;; [unrolled: 1-line block ×6, first 2 shown]
	ds_read2_b64 v[32:35], v32 offset0:29 offset1:30
	v_cmp_lt_u32_e32 vcc, 11, v0
	s_waitcnt vmcnt(5)
	v_mov_b32_e32 v42, v37
	s_waitcnt vmcnt(4)
	v_mov_b32_e32 v44, v39
	s_waitcnt lgkmcnt(0)
	v_pk_mul_f32 v[42:43], v[32:33], v[42:43] op_sel_hi:[1,0]
	v_pk_mul_f32 v[44:45], v[34:35], v[44:45] op_sel_hi:[1,0]
	s_waitcnt vmcnt(3)
	v_pk_fma_f32 v[46:47], v[32:33], v[36:37], v[42:43] op_sel:[0,0,1] op_sel_hi:[1,1,0] neg_lo:[0,0,1] neg_hi:[0,0,1]
	v_pk_fma_f32 v[32:33], v[32:33], v[36:37], v[42:43] op_sel:[0,0,1] op_sel_hi:[1,0,0]
	s_waitcnt vmcnt(2)
	v_pk_fma_f32 v[36:37], v[34:35], v[38:39], v[44:45] op_sel:[0,0,1] op_sel_hi:[1,1,0] neg_lo:[0,0,1] neg_hi:[0,0,1]
	v_pk_fma_f32 v[34:35], v[34:35], v[38:39], v[44:45] op_sel:[0,0,1] op_sel_hi:[1,0,0]
	v_mov_b32_e32 v47, v33
	v_mov_b32_e32 v37, v35
	v_pk_add_f32 v[32:33], v[46:47], 0 op_sel_hi:[1,0]
	v_pk_add_f32 v[32:33], v[32:33], v[36:37]
	s_waitcnt vmcnt(0)
	v_pk_add_f32 v[32:33], v[40:41], v[32:33] neg_lo:[0,1] neg_hi:[0,1]
	buffer_store_dword v32, off, s[0:3], 0 offset:96
	buffer_store_dword v33, off, s[0:3], 0 offset:100
	s_and_saveexec_b64 s[4:5], vcc
	s_cbranch_execz .LBB78_81
; %bb.80:
	buffer_load_dword v32, off, s[0:3], 0 offset:88
	buffer_load_dword v33, off, s[0:3], 0 offset:92
	v_mov_b32_e32 v34, 0
	buffer_store_dword v34, off, s[0:3], 0 offset:88
	buffer_store_dword v34, off, s[0:3], 0 offset:92
	s_waitcnt vmcnt(2)
	ds_write_b64 v1, v[32:33]
.LBB78_81:
	s_or_b64 exec, exec, s[4:5]
	s_waitcnt lgkmcnt(0)
	; wave barrier
	s_waitcnt lgkmcnt(0)
	buffer_load_dword v39, off, s[0:3], 0 offset:100
	buffer_load_dword v41, off, s[0:3], 0 offset:108
	;; [unrolled: 1-line block ×8, first 2 shown]
	v_mov_b32_e32 v32, 0
	ds_read_b128 v[34:37], v32 offset:224
	ds_read_b64 v[46:47], v32 offset:240
	v_cmp_lt_u32_e32 vcc, 10, v0
	s_waitcnt vmcnt(7)
	v_mov_b32_e32 v48, v39
	s_waitcnt vmcnt(6)
	v_mov_b32_e32 v50, v41
	s_waitcnt lgkmcnt(1)
	v_pk_mul_f32 v[48:49], v[34:35], v[48:49] op_sel_hi:[1,0]
	s_waitcnt vmcnt(5)
	v_mov_b32_e32 v52, v43
	v_pk_mul_f32 v[50:51], v[36:37], v[50:51] op_sel_hi:[1,0]
	s_waitcnt vmcnt(4)
	v_pk_fma_f32 v[54:55], v[34:35], v[38:39], v[48:49] op_sel:[0,0,1] op_sel_hi:[1,1,0] neg_lo:[0,0,1] neg_hi:[0,0,1]
	v_pk_fma_f32 v[34:35], v[34:35], v[38:39], v[48:49] op_sel:[0,0,1] op_sel_hi:[1,0,0]
	s_waitcnt lgkmcnt(0)
	v_pk_mul_f32 v[52:53], v[46:47], v[52:53] op_sel_hi:[1,0]
	s_waitcnt vmcnt(3)
	v_pk_fma_f32 v[38:39], v[36:37], v[40:41], v[50:51] op_sel:[0,0,1] op_sel_hi:[1,1,0] neg_lo:[0,0,1] neg_hi:[0,0,1]
	v_pk_fma_f32 v[36:37], v[36:37], v[40:41], v[50:51] op_sel:[0,0,1] op_sel_hi:[1,0,0]
	v_mov_b32_e32 v55, v35
	s_waitcnt vmcnt(2)
	v_pk_fma_f32 v[40:41], v[46:47], v[42:43], v[52:53] op_sel:[0,0,1] op_sel_hi:[1,1,0] neg_lo:[0,0,1] neg_hi:[0,0,1]
	v_pk_fma_f32 v[42:43], v[46:47], v[42:43], v[52:53] op_sel:[0,0,1] op_sel_hi:[1,0,0]
	v_mov_b32_e32 v39, v37
	v_pk_add_f32 v[34:35], v[54:55], 0 op_sel_hi:[1,0]
	v_mov_b32_e32 v41, v43
	v_pk_add_f32 v[34:35], v[34:35], v[38:39]
	v_pk_add_f32 v[34:35], v[34:35], v[40:41]
	s_waitcnt vmcnt(0)
	v_pk_add_f32 v[34:35], v[44:45], v[34:35] neg_lo:[0,1] neg_hi:[0,1]
	buffer_store_dword v34, off, s[0:3], 0 offset:88
	buffer_store_dword v35, off, s[0:3], 0 offset:92
	s_and_saveexec_b64 s[4:5], vcc
	s_cbranch_execz .LBB78_83
; %bb.82:
	buffer_load_dword v34, off, s[0:3], 0 offset:80
	buffer_load_dword v35, off, s[0:3], 0 offset:84
	s_waitcnt vmcnt(0)
	ds_write_b64 v1, v[34:35]
	buffer_store_dword v32, off, s[0:3], 0 offset:80
	buffer_store_dword v32, off, s[0:3], 0 offset:84
.LBB78_83:
	s_or_b64 exec, exec, s[4:5]
	s_waitcnt lgkmcnt(0)
	; wave barrier
	s_waitcnt lgkmcnt(0)
	buffer_load_dword v43, off, s[0:3], 0 offset:92
	buffer_load_dword v45, off, s[0:3], 0 offset:100
	buffer_load_dword v47, off, s[0:3], 0 offset:108
	buffer_load_dword v49, off, s[0:3], 0 offset:116
	buffer_load_dword v42, off, s[0:3], 0 offset:88
	buffer_load_dword v44, off, s[0:3], 0 offset:96
	buffer_load_dword v46, off, s[0:3], 0 offset:104
	buffer_load_dword v48, off, s[0:3], 0 offset:112
	buffer_load_dword v50, off, s[0:3], 0 offset:80
	buffer_load_dword v51, off, s[0:3], 0 offset:84
	ds_read2_b64 v[34:37], v32 offset0:27 offset1:28
	ds_read2_b64 v[38:41], v32 offset0:29 offset1:30
	v_cmp_lt_u32_e32 vcc, 9, v0
	s_waitcnt vmcnt(9)
	v_mov_b32_e32 v32, v43
	s_waitcnt vmcnt(8)
	v_mov_b32_e32 v52, v45
	s_waitcnt lgkmcnt(1)
	v_pk_mul_f32 v[32:33], v[34:35], v[32:33] op_sel_hi:[1,0]
	s_waitcnt vmcnt(7)
	v_mov_b32_e32 v54, v47
	v_pk_mul_f32 v[52:53], v[36:37], v[52:53] op_sel_hi:[1,0]
	s_waitcnt vmcnt(5)
	v_pk_fma_f32 v[58:59], v[34:35], v[42:43], v[32:33] op_sel:[0,0,1] op_sel_hi:[1,1,0] neg_lo:[0,0,1] neg_hi:[0,0,1]
	v_pk_fma_f32 v[32:33], v[34:35], v[42:43], v[32:33] op_sel:[0,0,1] op_sel_hi:[1,0,0]
	v_mov_b32_e32 v56, v49
	s_waitcnt lgkmcnt(0)
	v_pk_mul_f32 v[54:55], v[38:39], v[54:55] op_sel_hi:[1,0]
	s_waitcnt vmcnt(4)
	v_pk_fma_f32 v[34:35], v[36:37], v[44:45], v[52:53] op_sel:[0,0,1] op_sel_hi:[1,1,0] neg_lo:[0,0,1] neg_hi:[0,0,1]
	v_pk_fma_f32 v[36:37], v[36:37], v[44:45], v[52:53] op_sel:[0,0,1] op_sel_hi:[1,0,0]
	v_mov_b32_e32 v59, v33
	v_pk_mul_f32 v[56:57], v[40:41], v[56:57] op_sel_hi:[1,0]
	s_waitcnt vmcnt(3)
	v_pk_fma_f32 v[42:43], v[38:39], v[46:47], v[54:55] op_sel:[0,0,1] op_sel_hi:[1,1,0] neg_lo:[0,0,1] neg_hi:[0,0,1]
	v_pk_fma_f32 v[38:39], v[38:39], v[46:47], v[54:55] op_sel:[0,0,1] op_sel_hi:[1,0,0]
	v_mov_b32_e32 v35, v37
	v_pk_add_f32 v[32:33], v[58:59], 0 op_sel_hi:[1,0]
	s_waitcnt vmcnt(2)
	v_pk_fma_f32 v[44:45], v[40:41], v[48:49], v[56:57] op_sel:[0,0,1] op_sel_hi:[1,1,0] neg_lo:[0,0,1] neg_hi:[0,0,1]
	v_pk_fma_f32 v[40:41], v[40:41], v[48:49], v[56:57] op_sel:[0,0,1] op_sel_hi:[1,0,0]
	v_mov_b32_e32 v43, v39
	v_pk_add_f32 v[32:33], v[32:33], v[34:35]
	v_mov_b32_e32 v45, v41
	v_pk_add_f32 v[32:33], v[32:33], v[42:43]
	v_pk_add_f32 v[32:33], v[32:33], v[44:45]
	s_waitcnt vmcnt(0)
	v_pk_add_f32 v[32:33], v[50:51], v[32:33] neg_lo:[0,1] neg_hi:[0,1]
	buffer_store_dword v32, off, s[0:3], 0 offset:80
	buffer_store_dword v33, off, s[0:3], 0 offset:84
	s_and_saveexec_b64 s[4:5], vcc
	s_cbranch_execz .LBB78_85
; %bb.84:
	buffer_load_dword v32, off, s[0:3], 0 offset:72
	buffer_load_dword v33, off, s[0:3], 0 offset:76
	v_mov_b32_e32 v34, 0
	buffer_store_dword v34, off, s[0:3], 0 offset:72
	buffer_store_dword v34, off, s[0:3], 0 offset:76
	s_waitcnt vmcnt(2)
	ds_write_b64 v1, v[32:33]
.LBB78_85:
	s_or_b64 exec, exec, s[4:5]
	s_waitcnt lgkmcnt(0)
	; wave barrier
	s_waitcnt lgkmcnt(0)
	buffer_load_dword v43, off, s[0:3], 0 offset:84
	buffer_load_dword v45, off, s[0:3], 0 offset:92
	;; [unrolled: 1-line block ×12, first 2 shown]
	v_mov_b32_e32 v32, 0
	ds_read_b128 v[34:37], v32 offset:208
	ds_read_b128 v[38:41], v32 offset:224
	ds_read_b64 v[54:55], v32 offset:240
	v_cmp_lt_u32_e32 vcc, 8, v0
	s_waitcnt vmcnt(11)
	v_mov_b32_e32 v56, v43
	s_waitcnt vmcnt(10)
	v_mov_b32_e32 v58, v45
	s_waitcnt lgkmcnt(2)
	v_pk_mul_f32 v[56:57], v[34:35], v[56:57] op_sel_hi:[1,0]
	s_waitcnt vmcnt(9)
	v_mov_b32_e32 v60, v47
	v_pk_mul_f32 v[58:59], v[36:37], v[58:59] op_sel_hi:[1,0]
	s_waitcnt vmcnt(6)
	v_pk_fma_f32 v[66:67], v[34:35], v[42:43], v[56:57] op_sel:[0,0,1] op_sel_hi:[1,1,0] neg_lo:[0,0,1] neg_hi:[0,0,1]
	v_pk_fma_f32 v[34:35], v[34:35], v[42:43], v[56:57] op_sel:[0,0,1] op_sel_hi:[1,0,0]
	v_mov_b32_e32 v62, v49
	s_waitcnt lgkmcnt(1)
	v_pk_mul_f32 v[60:61], v[38:39], v[60:61] op_sel_hi:[1,0]
	s_waitcnt vmcnt(5)
	v_pk_fma_f32 v[42:43], v[36:37], v[44:45], v[58:59] op_sel:[0,0,1] op_sel_hi:[1,1,0] neg_lo:[0,0,1] neg_hi:[0,0,1]
	v_pk_fma_f32 v[36:37], v[36:37], v[44:45], v[58:59] op_sel:[0,0,1] op_sel_hi:[1,0,0]
	v_mov_b32_e32 v67, v35
	v_mov_b32_e32 v64, v51
	v_pk_mul_f32 v[62:63], v[40:41], v[62:63] op_sel_hi:[1,0]
	s_waitcnt vmcnt(4)
	v_pk_fma_f32 v[44:45], v[38:39], v[46:47], v[60:61] op_sel:[0,0,1] op_sel_hi:[1,1,0] neg_lo:[0,0,1] neg_hi:[0,0,1]
	v_pk_fma_f32 v[38:39], v[38:39], v[46:47], v[60:61] op_sel:[0,0,1] op_sel_hi:[1,0,0]
	v_mov_b32_e32 v43, v37
	v_pk_add_f32 v[34:35], v[66:67], 0 op_sel_hi:[1,0]
	s_waitcnt lgkmcnt(0)
	v_pk_mul_f32 v[64:65], v[54:55], v[64:65] op_sel_hi:[1,0]
	s_waitcnt vmcnt(3)
	v_pk_fma_f32 v[46:47], v[40:41], v[48:49], v[62:63] op_sel:[0,0,1] op_sel_hi:[1,1,0] neg_lo:[0,0,1] neg_hi:[0,0,1]
	v_pk_fma_f32 v[40:41], v[40:41], v[48:49], v[62:63] op_sel:[0,0,1] op_sel_hi:[1,0,0]
	v_mov_b32_e32 v45, v39
	v_pk_add_f32 v[34:35], v[34:35], v[42:43]
	s_waitcnt vmcnt(2)
	v_pk_fma_f32 v[48:49], v[54:55], v[50:51], v[64:65] op_sel:[0,0,1] op_sel_hi:[1,1,0] neg_lo:[0,0,1] neg_hi:[0,0,1]
	v_pk_fma_f32 v[50:51], v[54:55], v[50:51], v[64:65] op_sel:[0,0,1] op_sel_hi:[1,0,0]
	v_mov_b32_e32 v47, v41
	v_pk_add_f32 v[34:35], v[34:35], v[44:45]
	v_mov_b32_e32 v49, v51
	v_pk_add_f32 v[34:35], v[34:35], v[46:47]
	v_pk_add_f32 v[34:35], v[34:35], v[48:49]
	s_waitcnt vmcnt(0)
	v_pk_add_f32 v[34:35], v[52:53], v[34:35] neg_lo:[0,1] neg_hi:[0,1]
	buffer_store_dword v34, off, s[0:3], 0 offset:72
	buffer_store_dword v35, off, s[0:3], 0 offset:76
	s_and_saveexec_b64 s[4:5], vcc
	s_cbranch_execz .LBB78_87
; %bb.86:
	buffer_load_dword v34, off, s[0:3], 0 offset:64
	buffer_load_dword v35, off, s[0:3], 0 offset:68
	s_waitcnt vmcnt(0)
	ds_write_b64 v1, v[34:35]
	buffer_store_dword v32, off, s[0:3], 0 offset:64
	buffer_store_dword v32, off, s[0:3], 0 offset:68
.LBB78_87:
	s_or_b64 exec, exec, s[4:5]
	s_waitcnt lgkmcnt(0)
	; wave barrier
	s_waitcnt lgkmcnt(0)
	buffer_load_dword v47, off, s[0:3], 0 offset:76
	buffer_load_dword v49, off, s[0:3], 0 offset:84
	buffer_load_dword v51, off, s[0:3], 0 offset:92
	buffer_load_dword v53, off, s[0:3], 0 offset:100
	buffer_load_dword v55, off, s[0:3], 0 offset:108
	buffer_load_dword v57, off, s[0:3], 0 offset:116
	buffer_load_dword v46, off, s[0:3], 0 offset:72
	buffer_load_dword v48, off, s[0:3], 0 offset:80
	buffer_load_dword v50, off, s[0:3], 0 offset:88
	buffer_load_dword v52, off, s[0:3], 0 offset:96
	buffer_load_dword v54, off, s[0:3], 0 offset:104
	buffer_load_dword v56, off, s[0:3], 0 offset:112
	buffer_load_dword v58, off, s[0:3], 0 offset:64
	buffer_load_dword v59, off, s[0:3], 0 offset:68
	ds_read2_b64 v[34:37], v32 offset0:25 offset1:26
	ds_read2_b64 v[38:41], v32 offset0:27 offset1:28
	;; [unrolled: 1-line block ×3, first 2 shown]
	v_cmp_lt_u32_e32 vcc, 7, v0
	s_waitcnt vmcnt(13)
	v_mov_b32_e32 v32, v47
	s_waitcnt vmcnt(12)
	v_mov_b32_e32 v60, v49
	s_waitcnt lgkmcnt(2)
	v_pk_mul_f32 v[32:33], v[34:35], v[32:33] op_sel_hi:[1,0]
	s_waitcnt vmcnt(11)
	v_mov_b32_e32 v62, v51
	v_pk_mul_f32 v[60:61], v[36:37], v[60:61] op_sel_hi:[1,0]
	s_waitcnt vmcnt(10)
	v_mov_b32_e32 v64, v53
	s_waitcnt vmcnt(7)
	v_pk_fma_f32 v[70:71], v[34:35], v[46:47], v[32:33] op_sel:[0,0,1] op_sel_hi:[1,1,0] neg_lo:[0,0,1] neg_hi:[0,0,1]
	v_pk_fma_f32 v[32:33], v[34:35], v[46:47], v[32:33] op_sel:[0,0,1] op_sel_hi:[1,0,0]
	s_waitcnt lgkmcnt(1)
	v_pk_mul_f32 v[62:63], v[38:39], v[62:63] op_sel_hi:[1,0]
	s_waitcnt vmcnt(6)
	v_pk_fma_f32 v[34:35], v[36:37], v[48:49], v[60:61] op_sel:[0,0,1] op_sel_hi:[1,1,0] neg_lo:[0,0,1] neg_hi:[0,0,1]
	v_pk_fma_f32 v[36:37], v[36:37], v[48:49], v[60:61] op_sel:[0,0,1] op_sel_hi:[1,0,0]
	v_mov_b32_e32 v71, v33
	v_mov_b32_e32 v66, v55
	v_pk_mul_f32 v[64:65], v[40:41], v[64:65] op_sel_hi:[1,0]
	s_waitcnt vmcnt(5)
	v_pk_fma_f32 v[46:47], v[38:39], v[50:51], v[62:63] op_sel:[0,0,1] op_sel_hi:[1,1,0] neg_lo:[0,0,1] neg_hi:[0,0,1]
	v_pk_fma_f32 v[38:39], v[38:39], v[50:51], v[62:63] op_sel:[0,0,1] op_sel_hi:[1,0,0]
	v_mov_b32_e32 v35, v37
	v_pk_add_f32 v[32:33], v[70:71], 0 op_sel_hi:[1,0]
	v_mov_b32_e32 v68, v57
	s_waitcnt lgkmcnt(0)
	v_pk_mul_f32 v[66:67], v[42:43], v[66:67] op_sel_hi:[1,0]
	s_waitcnt vmcnt(4)
	v_pk_fma_f32 v[48:49], v[40:41], v[52:53], v[64:65] op_sel:[0,0,1] op_sel_hi:[1,1,0] neg_lo:[0,0,1] neg_hi:[0,0,1]
	v_pk_fma_f32 v[40:41], v[40:41], v[52:53], v[64:65] op_sel:[0,0,1] op_sel_hi:[1,0,0]
	v_mov_b32_e32 v47, v39
	v_pk_add_f32 v[32:33], v[32:33], v[34:35]
	v_pk_mul_f32 v[68:69], v[44:45], v[68:69] op_sel_hi:[1,0]
	s_waitcnt vmcnt(3)
	v_pk_fma_f32 v[50:51], v[42:43], v[54:55], v[66:67] op_sel:[0,0,1] op_sel_hi:[1,1,0] neg_lo:[0,0,1] neg_hi:[0,0,1]
	v_pk_fma_f32 v[42:43], v[42:43], v[54:55], v[66:67] op_sel:[0,0,1] op_sel_hi:[1,0,0]
	v_mov_b32_e32 v49, v41
	v_pk_add_f32 v[32:33], v[32:33], v[46:47]
	s_waitcnt vmcnt(2)
	v_pk_fma_f32 v[52:53], v[44:45], v[56:57], v[68:69] op_sel:[0,0,1] op_sel_hi:[1,1,0] neg_lo:[0,0,1] neg_hi:[0,0,1]
	v_pk_fma_f32 v[44:45], v[44:45], v[56:57], v[68:69] op_sel:[0,0,1] op_sel_hi:[1,0,0]
	v_mov_b32_e32 v51, v43
	v_pk_add_f32 v[32:33], v[32:33], v[48:49]
	v_mov_b32_e32 v53, v45
	v_pk_add_f32 v[32:33], v[32:33], v[50:51]
	v_pk_add_f32 v[32:33], v[32:33], v[52:53]
	s_waitcnt vmcnt(0)
	v_pk_add_f32 v[32:33], v[58:59], v[32:33] neg_lo:[0,1] neg_hi:[0,1]
	buffer_store_dword v32, off, s[0:3], 0 offset:64
	buffer_store_dword v33, off, s[0:3], 0 offset:68
	s_and_saveexec_b64 s[4:5], vcc
	s_cbranch_execz .LBB78_89
; %bb.88:
	buffer_load_dword v32, off, s[0:3], 0 offset:56
	buffer_load_dword v33, off, s[0:3], 0 offset:60
	v_mov_b32_e32 v34, 0
	buffer_store_dword v34, off, s[0:3], 0 offset:56
	buffer_store_dword v34, off, s[0:3], 0 offset:60
	s_waitcnt vmcnt(2)
	ds_write_b64 v1, v[32:33]
.LBB78_89:
	s_or_b64 exec, exec, s[4:5]
	s_waitcnt lgkmcnt(0)
	; wave barrier
	s_waitcnt lgkmcnt(0)
	buffer_load_dword v47, off, s[0:3], 0 offset:68
	buffer_load_dword v49, off, s[0:3], 0 offset:76
	;; [unrolled: 1-line block ×16, first 2 shown]
	v_mov_b32_e32 v32, 0
	ds_read_b128 v[34:37], v32 offset:192
	ds_read_b128 v[38:41], v32 offset:208
	;; [unrolled: 1-line block ×3, first 2 shown]
	ds_read_b64 v[62:63], v32 offset:240
	v_cmp_lt_u32_e32 vcc, 6, v0
	s_waitcnt vmcnt(15)
	v_mov_b32_e32 v64, v47
	s_waitcnt vmcnt(14)
	v_mov_b32_e32 v66, v49
	s_waitcnt lgkmcnt(3)
	v_pk_mul_f32 v[64:65], v[34:35], v[64:65] op_sel_hi:[1,0]
	s_waitcnt vmcnt(13)
	v_mov_b32_e32 v68, v51
	v_pk_mul_f32 v[66:67], v[36:37], v[66:67] op_sel_hi:[1,0]
	s_waitcnt vmcnt(12)
	v_mov_b32_e32 v70, v53
	s_waitcnt lgkmcnt(2)
	v_pk_mul_f32 v[68:69], v[38:39], v[68:69] op_sel_hi:[1,0]
	s_waitcnt vmcnt(8)
	v_pk_fma_f32 v[78:79], v[34:35], v[46:47], v[64:65] op_sel:[0,0,1] op_sel_hi:[1,1,0] neg_lo:[0,0,1] neg_hi:[0,0,1]
	v_pk_fma_f32 v[34:35], v[34:35], v[46:47], v[64:65] op_sel:[0,0,1] op_sel_hi:[1,0,0]
	s_waitcnt vmcnt(7)
	v_pk_fma_f32 v[46:47], v[36:37], v[48:49], v[66:67] op_sel:[0,0,1] op_sel_hi:[1,1,0] neg_lo:[0,0,1] neg_hi:[0,0,1]
	v_pk_fma_f32 v[36:37], v[36:37], v[48:49], v[66:67] op_sel:[0,0,1] op_sel_hi:[1,0,0]
	v_mov_b32_e32 v79, v35
	v_mov_b32_e32 v72, v55
	v_pk_mul_f32 v[70:71], v[40:41], v[70:71] op_sel_hi:[1,0]
	s_waitcnt vmcnt(6)
	v_pk_fma_f32 v[48:49], v[38:39], v[50:51], v[68:69] op_sel:[0,0,1] op_sel_hi:[1,1,0] neg_lo:[0,0,1] neg_hi:[0,0,1]
	v_pk_fma_f32 v[38:39], v[38:39], v[50:51], v[68:69] op_sel:[0,0,1] op_sel_hi:[1,0,0]
	v_mov_b32_e32 v47, v37
	v_pk_add_f32 v[34:35], v[78:79], 0 op_sel_hi:[1,0]
	v_mov_b32_e32 v74, v57
	s_waitcnt lgkmcnt(1)
	v_pk_mul_f32 v[72:73], v[42:43], v[72:73] op_sel_hi:[1,0]
	s_waitcnt vmcnt(5)
	v_pk_fma_f32 v[50:51], v[40:41], v[52:53], v[70:71] op_sel:[0,0,1] op_sel_hi:[1,1,0] neg_lo:[0,0,1] neg_hi:[0,0,1]
	v_pk_fma_f32 v[40:41], v[40:41], v[52:53], v[70:71] op_sel:[0,0,1] op_sel_hi:[1,0,0]
	v_mov_b32_e32 v49, v39
	v_pk_add_f32 v[34:35], v[34:35], v[46:47]
	v_mov_b32_e32 v76, v59
	v_pk_mul_f32 v[74:75], v[44:45], v[74:75] op_sel_hi:[1,0]
	s_waitcnt vmcnt(4)
	v_pk_fma_f32 v[52:53], v[42:43], v[54:55], v[72:73] op_sel:[0,0,1] op_sel_hi:[1,1,0] neg_lo:[0,0,1] neg_hi:[0,0,1]
	v_pk_fma_f32 v[42:43], v[42:43], v[54:55], v[72:73] op_sel:[0,0,1] op_sel_hi:[1,0,0]
	v_mov_b32_e32 v51, v41
	v_pk_add_f32 v[34:35], v[34:35], v[48:49]
	s_waitcnt lgkmcnt(0)
	v_pk_mul_f32 v[76:77], v[62:63], v[76:77] op_sel_hi:[1,0]
	s_waitcnt vmcnt(3)
	v_pk_fma_f32 v[54:55], v[44:45], v[56:57], v[74:75] op_sel:[0,0,1] op_sel_hi:[1,1,0] neg_lo:[0,0,1] neg_hi:[0,0,1]
	v_pk_fma_f32 v[44:45], v[44:45], v[56:57], v[74:75] op_sel:[0,0,1] op_sel_hi:[1,0,0]
	v_mov_b32_e32 v53, v43
	v_pk_add_f32 v[34:35], v[34:35], v[50:51]
	s_waitcnt vmcnt(2)
	v_pk_fma_f32 v[56:57], v[62:63], v[58:59], v[76:77] op_sel:[0,0,1] op_sel_hi:[1,1,0] neg_lo:[0,0,1] neg_hi:[0,0,1]
	v_pk_fma_f32 v[58:59], v[62:63], v[58:59], v[76:77] op_sel:[0,0,1] op_sel_hi:[1,0,0]
	v_mov_b32_e32 v55, v45
	v_pk_add_f32 v[34:35], v[34:35], v[52:53]
	v_mov_b32_e32 v57, v59
	v_pk_add_f32 v[34:35], v[34:35], v[54:55]
	v_pk_add_f32 v[34:35], v[34:35], v[56:57]
	s_waitcnt vmcnt(0)
	v_pk_add_f32 v[34:35], v[60:61], v[34:35] neg_lo:[0,1] neg_hi:[0,1]
	buffer_store_dword v34, off, s[0:3], 0 offset:56
	buffer_store_dword v35, off, s[0:3], 0 offset:60
	s_and_saveexec_b64 s[4:5], vcc
	s_cbranch_execz .LBB78_91
; %bb.90:
	buffer_load_dword v34, off, s[0:3], 0 offset:48
	buffer_load_dword v35, off, s[0:3], 0 offset:52
	s_waitcnt vmcnt(0)
	ds_write_b64 v1, v[34:35]
	buffer_store_dword v32, off, s[0:3], 0 offset:48
	buffer_store_dword v32, off, s[0:3], 0 offset:52
.LBB78_91:
	s_or_b64 exec, exec, s[4:5]
	s_waitcnt lgkmcnt(0)
	; wave barrier
	s_waitcnt lgkmcnt(0)
	buffer_load_dword v51, off, s[0:3], 0 offset:60
	buffer_load_dword v53, off, s[0:3], 0 offset:68
	;; [unrolled: 1-line block ×18, first 2 shown]
	ds_read2_b64 v[34:37], v32 offset0:23 offset1:24
	ds_read2_b64 v[38:41], v32 offset0:25 offset1:26
	;; [unrolled: 1-line block ×4, first 2 shown]
	v_cmp_lt_u32_e32 vcc, 5, v0
	s_waitcnt vmcnt(17)
	v_mov_b32_e32 v32, v51
	s_waitcnt vmcnt(16)
	v_mov_b32_e32 v68, v53
	s_waitcnt lgkmcnt(3)
	v_pk_mul_f32 v[32:33], v[34:35], v[32:33] op_sel_hi:[1,0]
	s_waitcnt vmcnt(15)
	v_mov_b32_e32 v70, v55
	v_pk_mul_f32 v[68:69], v[36:37], v[68:69] op_sel_hi:[1,0]
	s_waitcnt vmcnt(14)
	v_mov_b32_e32 v72, v57
	s_waitcnt lgkmcnt(2)
	v_pk_mul_f32 v[70:71], v[38:39], v[70:71] op_sel_hi:[1,0]
	s_waitcnt vmcnt(13)
	v_mov_b32_e32 v74, v59
	s_waitcnt vmcnt(9)
	v_pk_fma_f32 v[82:83], v[34:35], v[50:51], v[32:33] op_sel:[0,0,1] op_sel_hi:[1,1,0] neg_lo:[0,0,1] neg_hi:[0,0,1]
	v_pk_fma_f32 v[32:33], v[34:35], v[50:51], v[32:33] op_sel:[0,0,1] op_sel_hi:[1,0,0]
	s_waitcnt vmcnt(8)
	v_pk_fma_f32 v[34:35], v[36:37], v[52:53], v[68:69] op_sel:[0,0,1] op_sel_hi:[1,1,0] neg_lo:[0,0,1] neg_hi:[0,0,1]
	v_pk_fma_f32 v[36:37], v[36:37], v[52:53], v[68:69] op_sel:[0,0,1] op_sel_hi:[1,0,0]
	v_mov_b32_e32 v83, v33
	v_pk_mul_f32 v[72:73], v[40:41], v[72:73] op_sel_hi:[1,0]
	s_waitcnt vmcnt(7)
	v_pk_fma_f32 v[50:51], v[38:39], v[54:55], v[70:71] op_sel:[0,0,1] op_sel_hi:[1,1,0] neg_lo:[0,0,1] neg_hi:[0,0,1]
	v_pk_fma_f32 v[38:39], v[38:39], v[54:55], v[70:71] op_sel:[0,0,1] op_sel_hi:[1,0,0]
	v_mov_b32_e32 v35, v37
	v_pk_add_f32 v[32:33], v[82:83], 0 op_sel_hi:[1,0]
	v_mov_b32_e32 v76, v61
	s_waitcnt lgkmcnt(1)
	v_pk_mul_f32 v[74:75], v[42:43], v[74:75] op_sel_hi:[1,0]
	s_waitcnt vmcnt(6)
	v_pk_fma_f32 v[52:53], v[40:41], v[56:57], v[72:73] op_sel:[0,0,1] op_sel_hi:[1,1,0] neg_lo:[0,0,1] neg_hi:[0,0,1]
	v_pk_fma_f32 v[40:41], v[40:41], v[56:57], v[72:73] op_sel:[0,0,1] op_sel_hi:[1,0,0]
	v_mov_b32_e32 v51, v39
	v_pk_add_f32 v[32:33], v[32:33], v[34:35]
	v_mov_b32_e32 v78, v63
	v_pk_mul_f32 v[76:77], v[44:45], v[76:77] op_sel_hi:[1,0]
	s_waitcnt vmcnt(5)
	v_pk_fma_f32 v[54:55], v[42:43], v[58:59], v[74:75] op_sel:[0,0,1] op_sel_hi:[1,1,0] neg_lo:[0,0,1] neg_hi:[0,0,1]
	v_pk_fma_f32 v[42:43], v[42:43], v[58:59], v[74:75] op_sel:[0,0,1] op_sel_hi:[1,0,0]
	v_mov_b32_e32 v53, v41
	v_pk_add_f32 v[32:33], v[32:33], v[50:51]
	v_mov_b32_e32 v80, v65
	s_waitcnt lgkmcnt(0)
	v_pk_mul_f32 v[78:79], v[46:47], v[78:79] op_sel_hi:[1,0]
	s_waitcnt vmcnt(4)
	v_pk_fma_f32 v[56:57], v[44:45], v[60:61], v[76:77] op_sel:[0,0,1] op_sel_hi:[1,1,0] neg_lo:[0,0,1] neg_hi:[0,0,1]
	v_pk_fma_f32 v[44:45], v[44:45], v[60:61], v[76:77] op_sel:[0,0,1] op_sel_hi:[1,0,0]
	v_mov_b32_e32 v55, v43
	v_pk_add_f32 v[32:33], v[32:33], v[52:53]
	v_pk_mul_f32 v[80:81], v[48:49], v[80:81] op_sel_hi:[1,0]
	s_waitcnt vmcnt(3)
	v_pk_fma_f32 v[58:59], v[46:47], v[62:63], v[78:79] op_sel:[0,0,1] op_sel_hi:[1,1,0] neg_lo:[0,0,1] neg_hi:[0,0,1]
	v_pk_fma_f32 v[46:47], v[46:47], v[62:63], v[78:79] op_sel:[0,0,1] op_sel_hi:[1,0,0]
	v_mov_b32_e32 v57, v45
	v_pk_add_f32 v[32:33], v[32:33], v[54:55]
	s_waitcnt vmcnt(2)
	v_pk_fma_f32 v[60:61], v[48:49], v[64:65], v[80:81] op_sel:[0,0,1] op_sel_hi:[1,1,0] neg_lo:[0,0,1] neg_hi:[0,0,1]
	v_pk_fma_f32 v[48:49], v[48:49], v[64:65], v[80:81] op_sel:[0,0,1] op_sel_hi:[1,0,0]
	v_mov_b32_e32 v59, v47
	v_pk_add_f32 v[32:33], v[32:33], v[56:57]
	v_mov_b32_e32 v61, v49
	v_pk_add_f32 v[32:33], v[32:33], v[58:59]
	v_pk_add_f32 v[32:33], v[32:33], v[60:61]
	s_waitcnt vmcnt(0)
	v_pk_add_f32 v[32:33], v[66:67], v[32:33] neg_lo:[0,1] neg_hi:[0,1]
	buffer_store_dword v32, off, s[0:3], 0 offset:48
	buffer_store_dword v33, off, s[0:3], 0 offset:52
	s_and_saveexec_b64 s[4:5], vcc
	s_cbranch_execz .LBB78_93
; %bb.92:
	buffer_load_dword v32, off, s[0:3], 0 offset:40
	buffer_load_dword v33, off, s[0:3], 0 offset:44
	v_mov_b32_e32 v34, 0
	buffer_store_dword v34, off, s[0:3], 0 offset:40
	buffer_store_dword v34, off, s[0:3], 0 offset:44
	s_waitcnt vmcnt(2)
	ds_write_b64 v1, v[32:33]
.LBB78_93:
	s_or_b64 exec, exec, s[4:5]
	s_waitcnt lgkmcnt(0)
	; wave barrier
	s_waitcnt lgkmcnt(0)
	buffer_load_dword v33, off, s[0:3], 0 offset:52
	buffer_load_dword v51, off, s[0:3], 0 offset:60
	;; [unrolled: 1-line block ×20, first 2 shown]
	v_mov_b32_e32 v32, 0
	ds_read_b128 v[34:37], v32 offset:176
	ds_read_b128 v[38:41], v32 offset:192
	;; [unrolled: 1-line block ×4, first 2 shown]
	ds_read_b64 v[68:69], v32 offset:240
	v_cmp_lt_u32_e32 vcc, 4, v0
	s_waitcnt vmcnt(19) lgkmcnt(4)
	v_mul_f32_e32 v71, v34, v33
	v_mul_f32_e32 v33, v35, v33
	s_waitcnt vmcnt(18)
	v_mov_b32_e32 v72, v51
	s_waitcnt vmcnt(17)
	v_mov_b32_e32 v74, v53
	;; [unrolled: 2-line block ×8, first 2 shown]
	s_waitcnt vmcnt(10)
	v_fmac_f32_e32 v71, v35, v70
	v_fma_f32 v70, v34, v70, -v33
	v_pk_mul_f32 v[34:35], v[36:37], v[72:73] op_sel_hi:[1,0]
	s_waitcnt lgkmcnt(3)
	v_pk_mul_f32 v[72:73], v[38:39], v[74:75] op_sel_hi:[1,0]
	v_pk_mul_f32 v[74:75], v[40:41], v[76:77] op_sel_hi:[1,0]
	s_waitcnt lgkmcnt(2)
	v_pk_mul_f32 v[76:77], v[42:43], v[78:79] op_sel_hi:[1,0]
	;; [unrolled: 3-line block ×4, first 2 shown]
	s_waitcnt vmcnt(9)
	v_pk_fma_f32 v[86:87], v[36:37], v[50:51], v[34:35] op_sel:[0,0,1] op_sel_hi:[1,1,0] neg_lo:[0,0,1] neg_hi:[0,0,1]
	v_pk_fma_f32 v[34:35], v[36:37], v[50:51], v[34:35] op_sel:[0,0,1] op_sel_hi:[1,0,0]
	v_pk_add_f32 v[70:71], v[70:71], 0 op_sel_hi:[1,0]
	s_waitcnt vmcnt(8)
	v_pk_fma_f32 v[36:37], v[38:39], v[52:53], v[72:73] op_sel:[0,0,1] op_sel_hi:[1,1,0] neg_lo:[0,0,1] neg_hi:[0,0,1]
	v_pk_fma_f32 v[38:39], v[38:39], v[52:53], v[72:73] op_sel:[0,0,1] op_sel_hi:[1,0,0]
	v_mov_b32_e32 v87, v35
	s_waitcnt vmcnt(7)
	v_pk_fma_f32 v[50:51], v[40:41], v[54:55], v[74:75] op_sel:[0,0,1] op_sel_hi:[1,1,0] neg_lo:[0,0,1] neg_hi:[0,0,1]
	v_pk_fma_f32 v[40:41], v[40:41], v[54:55], v[74:75] op_sel:[0,0,1] op_sel_hi:[1,0,0]
	v_mov_b32_e32 v37, v39
	v_pk_add_f32 v[34:35], v[70:71], v[86:87]
	s_waitcnt vmcnt(6)
	v_pk_fma_f32 v[52:53], v[42:43], v[56:57], v[76:77] op_sel:[0,0,1] op_sel_hi:[1,1,0] neg_lo:[0,0,1] neg_hi:[0,0,1]
	v_pk_fma_f32 v[42:43], v[42:43], v[56:57], v[76:77] op_sel:[0,0,1] op_sel_hi:[1,0,0]
	v_mov_b32_e32 v51, v41
	v_pk_add_f32 v[34:35], v[34:35], v[36:37]
	;; [unrolled: 5-line block ×5, first 2 shown]
	v_pk_fma_f32 v[60:61], v[68:69], v[64:65], v[84:85] op_sel:[0,0,1] op_sel_hi:[1,1,0] neg_lo:[0,0,1] neg_hi:[0,0,1]
	v_pk_fma_f32 v[62:63], v[68:69], v[64:65], v[84:85] op_sel:[0,0,1] op_sel_hi:[1,0,0]
	v_mov_b32_e32 v59, v49
	v_pk_add_f32 v[34:35], v[34:35], v[56:57]
	v_mov_b32_e32 v61, v63
	v_pk_add_f32 v[34:35], v[34:35], v[58:59]
	v_pk_add_f32 v[34:35], v[34:35], v[60:61]
	s_waitcnt vmcnt(0)
	v_pk_add_f32 v[34:35], v[66:67], v[34:35] neg_lo:[0,1] neg_hi:[0,1]
	buffer_store_dword v34, off, s[0:3], 0 offset:40
	buffer_store_dword v35, off, s[0:3], 0 offset:44
	s_and_saveexec_b64 s[4:5], vcc
	s_cbranch_execz .LBB78_95
; %bb.94:
	buffer_load_dword v34, off, s[0:3], 0 offset:32
	buffer_load_dword v35, off, s[0:3], 0 offset:36
	s_waitcnt vmcnt(0)
	ds_write_b64 v1, v[34:35]
	buffer_store_dword v32, off, s[0:3], 0 offset:32
	buffer_store_dword v32, off, s[0:3], 0 offset:36
.LBB78_95:
	s_or_b64 exec, exec, s[4:5]
	s_waitcnt lgkmcnt(0)
	; wave barrier
	s_waitcnt lgkmcnt(0)
	buffer_load_dword v72, off, s[0:3], 0 offset:44
	buffer_load_dword v74, off, s[0:3], 0 offset:52
	;; [unrolled: 1-line block ×22, first 2 shown]
	ds_read2_b64 v[34:37], v32 offset0:21 offset1:22
	ds_read2_b64 v[38:41], v32 offset0:23 offset1:24
	;; [unrolled: 1-line block ×5, first 2 shown]
	v_cmp_lt_u32_e32 vcc, 3, v0
	s_waitcnt vmcnt(21) lgkmcnt(4)
	v_mul_f32_e32 v33, v34, v72
	s_waitcnt vmcnt(20)
	v_mul_f32_e32 v73, v36, v74
	v_mul_f32_e32 v32, v35, v72
	;; [unrolled: 1-line block ×3, first 2 shown]
	s_waitcnt vmcnt(19)
	v_mov_b32_e32 v74, v55
	s_waitcnt vmcnt(18)
	v_mov_b32_e32 v76, v57
	;; [unrolled: 2-line block ×5, first 2 shown]
	v_mov_b32_e32 v80, v61
	s_waitcnt vmcnt(11)
	v_fmac_f32_e32 v33, v35, v75
	v_fma_f32 v32, v34, v75, -v32
	s_waitcnt lgkmcnt(3)
	v_pk_mul_f32 v[34:35], v[38:39], v[74:75] op_sel_hi:[1,0]
	s_waitcnt vmcnt(10)
	v_fmac_f32_e32 v73, v37, v77
	v_fma_f32 v72, v36, v77, -v72
	v_pk_mul_f32 v[36:37], v[40:41], v[76:77] op_sel_hi:[1,0]
	s_waitcnt lgkmcnt(2)
	v_pk_mul_f32 v[74:75], v[42:43], v[78:79] op_sel_hi:[1,0]
	s_waitcnt lgkmcnt(1)
	;; [unrolled: 2-line block ×3, first 2 shown]
	v_pk_mul_f32 v[82:83], v[50:51], v[86:87] op_sel_hi:[1,0]
	v_pk_add_f32 v[32:33], v[32:33], 0 op_sel_hi:[1,0]
	s_waitcnt vmcnt(9)
	v_pk_fma_f32 v[86:87], v[38:39], v[54:55], v[34:35] op_sel:[0,0,1] op_sel_hi:[1,1,0] neg_lo:[0,0,1] neg_hi:[0,0,1]
	v_pk_fma_f32 v[34:35], v[38:39], v[54:55], v[34:35] op_sel:[0,0,1] op_sel_hi:[1,0,0]
	s_waitcnt vmcnt(8)
	v_pk_fma_f32 v[38:39], v[40:41], v[56:57], v[36:37] op_sel:[0,0,1] op_sel_hi:[1,1,0] neg_lo:[0,0,1] neg_hi:[0,0,1]
	v_pk_fma_f32 v[36:37], v[40:41], v[56:57], v[36:37] op_sel:[0,0,1] op_sel_hi:[1,0,0]
	v_pk_add_f32 v[32:33], v[32:33], v[72:73]
	v_mov_b32_e32 v87, v35
	v_pk_mul_f32 v[76:77], v[44:45], v[80:81] op_sel_hi:[1,0]
	s_waitcnt vmcnt(7)
	v_pk_fma_f32 v[40:41], v[42:43], v[58:59], v[74:75] op_sel:[0,0,1] op_sel_hi:[1,1,0] neg_lo:[0,0,1] neg_hi:[0,0,1]
	v_pk_fma_f32 v[42:43], v[42:43], v[58:59], v[74:75] op_sel:[0,0,1] op_sel_hi:[1,0,0]
	v_mov_b32_e32 v39, v37
	v_pk_add_f32 v[32:33], v[32:33], v[86:87]
	v_mov_b32_e32 v84, v65
	s_waitcnt vmcnt(6)
	v_pk_fma_f32 v[54:55], v[44:45], v[60:61], v[76:77] op_sel:[0,0,1] op_sel_hi:[1,1,0] neg_lo:[0,0,1] neg_hi:[0,0,1]
	v_pk_fma_f32 v[44:45], v[44:45], v[60:61], v[76:77] op_sel:[0,0,1] op_sel_hi:[1,0,0]
	v_mov_b32_e32 v41, v43
	v_pk_add_f32 v[32:33], v[32:33], v[38:39]
	v_pk_mul_f32 v[80:81], v[48:49], v[84:85] op_sel_hi:[1,0]
	s_waitcnt vmcnt(5)
	v_pk_fma_f32 v[56:57], v[46:47], v[62:63], v[78:79] op_sel:[0,0,1] op_sel_hi:[1,1,0] neg_lo:[0,0,1] neg_hi:[0,0,1]
	v_pk_fma_f32 v[46:47], v[46:47], v[62:63], v[78:79] op_sel:[0,0,1] op_sel_hi:[1,0,0]
	v_mov_b32_e32 v55, v45
	v_pk_add_f32 v[32:33], v[32:33], v[40:41]
	v_mov_b32_e32 v88, v69
	s_waitcnt vmcnt(2)
	v_pk_fma_f32 v[58:59], v[48:49], v[64:65], v[80:81] op_sel:[0,0,1] op_sel_hi:[1,1,0] neg_lo:[0,0,1] neg_hi:[0,0,1]
	v_pk_fma_f32 v[48:49], v[48:49], v[64:65], v[80:81] op_sel:[0,0,1] op_sel_hi:[1,0,0]
	v_mov_b32_e32 v57, v47
	v_pk_add_f32 v[32:33], v[32:33], v[54:55]
	v_pk_mul_f32 v[84:85], v[52:53], v[88:89] op_sel_hi:[1,0]
	v_pk_fma_f32 v[60:61], v[50:51], v[66:67], v[82:83] op_sel:[0,0,1] op_sel_hi:[1,1,0] neg_lo:[0,0,1] neg_hi:[0,0,1]
	v_pk_fma_f32 v[50:51], v[50:51], v[66:67], v[82:83] op_sel:[0,0,1] op_sel_hi:[1,0,0]
	v_mov_b32_e32 v59, v49
	v_pk_add_f32 v[32:33], v[32:33], v[56:57]
	v_pk_fma_f32 v[62:63], v[52:53], v[68:69], v[84:85] op_sel:[0,0,1] op_sel_hi:[1,1,0] neg_lo:[0,0,1] neg_hi:[0,0,1]
	v_pk_fma_f32 v[52:53], v[52:53], v[68:69], v[84:85] op_sel:[0,0,1] op_sel_hi:[1,0,0]
	v_mov_b32_e32 v61, v51
	v_pk_add_f32 v[32:33], v[32:33], v[58:59]
	v_mov_b32_e32 v63, v53
	v_pk_add_f32 v[32:33], v[32:33], v[60:61]
	v_pk_add_f32 v[32:33], v[32:33], v[62:63]
	s_waitcnt vmcnt(0)
	v_pk_add_f32 v[32:33], v[70:71], v[32:33] neg_lo:[0,1] neg_hi:[0,1]
	buffer_store_dword v32, off, s[0:3], 0 offset:32
	buffer_store_dword v33, off, s[0:3], 0 offset:36
	s_and_saveexec_b64 s[4:5], vcc
	s_cbranch_execz .LBB78_97
; %bb.96:
	buffer_load_dword v32, off, s[0:3], 0 offset:24
	buffer_load_dword v33, off, s[0:3], 0 offset:28
	v_mov_b32_e32 v34, 0
	buffer_store_dword v34, off, s[0:3], 0 offset:24
	buffer_store_dword v34, off, s[0:3], 0 offset:28
	s_waitcnt vmcnt(2)
	ds_write_b64 v1, v[32:33]
.LBB78_97:
	s_or_b64 exec, exec, s[4:5]
	s_waitcnt lgkmcnt(0)
	; wave barrier
	s_waitcnt lgkmcnt(0)
	buffer_load_dword v33, off, s[0:3], 0 offset:36
	buffer_load_dword v74, off, s[0:3], 0 offset:44
	;; [unrolled: 1-line block ×24, first 2 shown]
	v_mov_b32_e32 v32, 0
	ds_read_b128 v[34:37], v32 offset:160
	ds_read_b128 v[38:41], v32 offset:176
	;; [unrolled: 1-line block ×5, first 2 shown]
	ds_read_b64 v[72:73], v32 offset:240
	v_cmp_lt_u32_e32 vcc, 2, v0
	s_waitcnt vmcnt(23) lgkmcnt(5)
	v_mul_f32_e32 v87, v34, v33
	v_mul_f32_e32 v33, v35, v33
	s_waitcnt vmcnt(22)
	v_mul_f32_e32 v75, v36, v74
	s_waitcnt vmcnt(21) lgkmcnt(4)
	v_mul_f32_e32 v77, v38, v76
	v_mul_f32_e32 v74, v37, v74
	;; [unrolled: 1-line block ×3, first 2 shown]
	s_waitcnt vmcnt(20)
	v_mov_b32_e32 v78, v55
	s_waitcnt vmcnt(19)
	v_mov_b32_e32 v80, v57
	;; [unrolled: 2-line block ×5, first 2 shown]
	s_waitcnt vmcnt(12)
	v_fmac_f32_e32 v87, v35, v79
	v_fma_f32 v33, v34, v79, -v33
	v_mov_b32_e32 v88, v65
	s_waitcnt vmcnt(11)
	v_fmac_f32_e32 v75, v37, v81
	s_waitcnt vmcnt(10)
	v_fmac_f32_e32 v77, v39, v83
	v_fma_f32 v74, v36, v81, -v74
	v_fma_f32 v76, v38, v83, -v76
	v_pk_mul_f32 v[34:35], v[40:41], v[78:79] op_sel_hi:[1,0]
	s_waitcnt lgkmcnt(3)
	v_pk_mul_f32 v[36:37], v[42:43], v[80:81] op_sel_hi:[1,0]
	v_pk_mul_f32 v[38:39], v[44:45], v[82:83] op_sel_hi:[1,0]
	s_waitcnt lgkmcnt(2)
	v_pk_mul_f32 v[78:79], v[46:47], v[84:85] op_sel_hi:[1,0]
	v_pk_mul_f32 v[80:81], v[48:49], v[86:87] op_sel_hi:[1,0]
	v_add_f32_e32 v87, 0, v87
	v_add_f32_e32 v86, 0, v33
	s_waitcnt lgkmcnt(1)
	v_pk_mul_f32 v[82:83], v[50:51], v[88:89] op_sel_hi:[1,0]
	s_waitcnt vmcnt(9)
	v_pk_fma_f32 v[88:89], v[40:41], v[54:55], v[34:35] op_sel:[0,0,1] op_sel_hi:[1,1,0] neg_lo:[0,0,1] neg_hi:[0,0,1]
	v_pk_fma_f32 v[34:35], v[40:41], v[54:55], v[34:35] op_sel:[0,0,1] op_sel_hi:[1,0,0]
	s_waitcnt vmcnt(8)
	v_pk_fma_f32 v[40:41], v[42:43], v[56:57], v[36:37] op_sel:[0,0,1] op_sel_hi:[1,1,0] neg_lo:[0,0,1] neg_hi:[0,0,1]
	v_pk_fma_f32 v[36:37], v[42:43], v[56:57], v[36:37] op_sel:[0,0,1] op_sel_hi:[1,0,0]
	;; [unrolled: 3-line block ×4, first 2 shown]
	v_pk_add_f32 v[60:61], v[86:87], v[74:75]
	v_mov_b32_e32 v89, v35
	v_pk_add_f32 v[34:35], v[60:61], v[76:77]
	v_mov_b32_e32 v41, v37
	;; [unrolled: 2-line block ×4, first 2 shown]
	s_waitcnt vmcnt(2)
	v_pk_fma_f32 v[54:55], v[48:49], v[62:63], v[80:81] op_sel:[0,0,1] op_sel_hi:[1,1,0] neg_lo:[0,0,1] neg_hi:[0,0,1]
	v_pk_fma_f32 v[48:49], v[48:49], v[62:63], v[80:81] op_sel:[0,0,1] op_sel_hi:[1,0,0]
	v_mov_b32_e32 v45, v47
	v_pk_add_f32 v[34:35], v[34:35], v[42:43]
	v_mov_b32_e32 v92, v69
	v_pk_mul_f32 v[84:85], v[52:53], v[90:91] op_sel_hi:[1,0]
	v_pk_fma_f32 v[56:57], v[50:51], v[64:65], v[82:83] op_sel:[0,0,1] op_sel_hi:[1,1,0] neg_lo:[0,0,1] neg_hi:[0,0,1]
	v_pk_fma_f32 v[50:51], v[50:51], v[64:65], v[82:83] op_sel:[0,0,1] op_sel_hi:[1,0,0]
	v_mov_b32_e32 v55, v49
	v_pk_add_f32 v[34:35], v[34:35], v[44:45]
	v_pk_fma_f32 v[58:59], v[52:53], v[66:67], v[84:85] op_sel:[0,0,1] op_sel_hi:[1,1,0] neg_lo:[0,0,1] neg_hi:[0,0,1]
	v_pk_fma_f32 v[52:53], v[52:53], v[66:67], v[84:85] op_sel:[0,0,1] op_sel_hi:[1,0,0]
	v_mov_b32_e32 v57, v51
	v_pk_add_f32 v[34:35], v[34:35], v[54:55]
	s_waitcnt lgkmcnt(0)
	v_pk_mul_f32 v[36:37], v[72:73], v[92:93] op_sel_hi:[1,0]
	v_mov_b32_e32 v59, v53
	v_pk_add_f32 v[34:35], v[34:35], v[56:57]
	v_pk_fma_f32 v[38:39], v[72:73], v[68:69], v[36:37] op_sel:[0,0,1] op_sel_hi:[1,1,0] neg_lo:[0,0,1] neg_hi:[0,0,1]
	v_pk_fma_f32 v[36:37], v[72:73], v[68:69], v[36:37] op_sel:[0,0,1] op_sel_hi:[1,0,0]
	v_pk_add_f32 v[34:35], v[34:35], v[58:59]
	v_mov_b32_e32 v39, v37
	v_pk_add_f32 v[34:35], v[34:35], v[38:39]
	s_waitcnt vmcnt(0)
	v_pk_add_f32 v[34:35], v[70:71], v[34:35] neg_lo:[0,1] neg_hi:[0,1]
	buffer_store_dword v35, off, s[0:3], 0 offset:28
	buffer_store_dword v34, off, s[0:3], 0 offset:24
	s_and_saveexec_b64 s[4:5], vcc
	s_cbranch_execz .LBB78_99
; %bb.98:
	buffer_load_dword v34, off, s[0:3], 0 offset:16
	buffer_load_dword v35, off, s[0:3], 0 offset:20
	s_waitcnt vmcnt(0)
	ds_write_b64 v1, v[34:35]
	buffer_store_dword v32, off, s[0:3], 0 offset:16
	buffer_store_dword v32, off, s[0:3], 0 offset:20
.LBB78_99:
	s_or_b64 exec, exec, s[4:5]
	s_waitcnt lgkmcnt(0)
	; wave barrier
	s_waitcnt lgkmcnt(0)
	buffer_load_dword v76, off, s[0:3], 0 offset:28
	buffer_load_dword v78, off, s[0:3], 0 offset:36
	;; [unrolled: 1-line block ×26, first 2 shown]
	ds_read2_b64 v[34:37], v32 offset0:19 offset1:20
	ds_read2_b64 v[38:41], v32 offset0:21 offset1:22
	;; [unrolled: 1-line block ×6, first 2 shown]
	v_cmp_lt_u32_e32 vcc, 1, v0
	s_waitcnt vmcnt(25) lgkmcnt(5)
	v_mul_f32_e32 v89, v34, v76
	v_mul_f32_e32 v32, v35, v76
	s_waitcnt vmcnt(24)
	v_mul_f32_e32 v90, v36, v78
	s_waitcnt vmcnt(23) lgkmcnt(4)
	v_mul_f32_e32 v33, v38, v79
	s_waitcnt vmcnt(22)
	v_mul_f32_e32 v77, v40, v80
	v_mul_f32_e32 v76, v37, v78
	v_mul_f32_e32 v79, v39, v79
	v_mul_f32_e32 v91, v41, v80
	s_waitcnt vmcnt(21)
	v_mov_b32_e32 v78, v59
	s_waitcnt vmcnt(20)
	v_mov_b32_e32 v80, v61
	;; [unrolled: 2-line block ×3, first 2 shown]
	s_waitcnt vmcnt(15)
	v_fmac_f32_e32 v89, v35, v81
	v_fma_f32 v92, v34, v81, -v32
	v_mov_b32_e32 v82, v63
	s_waitcnt vmcnt(14)
	v_fmac_f32_e32 v90, v37, v83
	s_waitcnt vmcnt(13)
	v_fmac_f32_e32 v33, v39, v85
	;; [unrolled: 2-line block ×3, first 2 shown]
	v_fma_f32 v93, v36, v83, -v76
	v_fma_f32 v32, v38, v85, -v79
	;; [unrolled: 1-line block ×3, first 2 shown]
	s_waitcnt lgkmcnt(3)
	v_pk_mul_f32 v[34:35], v[42:43], v[78:79] op_sel_hi:[1,0]
	v_pk_mul_f32 v[36:37], v[44:45], v[80:81] op_sel_hi:[1,0]
	s_waitcnt lgkmcnt(2)
	v_pk_mul_f32 v[40:41], v[48:49], v[84:85] op_sel_hi:[1,0]
	v_add_f32_e32 v84, 0, v89
	v_add_f32_e32 v85, 0, v92
	v_pk_mul_f32 v[38:39], v[46:47], v[82:83] op_sel_hi:[1,0]
	s_waitcnt vmcnt(11)
	v_pk_fma_f32 v[82:83], v[42:43], v[58:59], v[34:35] op_sel:[0,0,1] op_sel_hi:[1,1,0] neg_lo:[0,0,1] neg_hi:[0,0,1]
	v_pk_fma_f32 v[34:35], v[42:43], v[58:59], v[34:35] op_sel:[0,0,1] op_sel_hi:[1,0,0]
	s_waitcnt vmcnt(10)
	v_pk_fma_f32 v[42:43], v[44:45], v[60:61], v[36:37] op_sel:[0,0,1] op_sel_hi:[1,1,0] neg_lo:[0,0,1] neg_hi:[0,0,1]
	v_pk_fma_f32 v[36:37], v[44:45], v[60:61], v[36:37] op_sel:[0,0,1] op_sel_hi:[1,0,0]
	v_add_f32_e32 v61, v84, v90
	v_add_f32_e32 v60, v85, v93
	v_pk_add_f32 v[32:33], v[60:61], v[32:33]
	v_mov_b32_e32 v83, v35
	v_pk_add_f32 v[32:33], v[32:33], v[76:77]
	v_mov_b32_e32 v86, v67
	s_waitcnt vmcnt(9)
	v_pk_fma_f32 v[44:45], v[46:47], v[62:63], v[38:39] op_sel:[0,0,1] op_sel_hi:[1,1,0] neg_lo:[0,0,1] neg_hi:[0,0,1]
	v_pk_fma_f32 v[38:39], v[46:47], v[62:63], v[38:39] op_sel:[0,0,1] op_sel_hi:[1,0,0]
	v_mov_b32_e32 v43, v37
	v_pk_add_f32 v[32:33], v[32:33], v[82:83]
	v_mov_b32_e32 v88, v69
	s_waitcnt lgkmcnt(1)
	v_pk_mul_f32 v[78:79], v[50:51], v[86:87] op_sel_hi:[1,0]
	s_waitcnt vmcnt(5)
	v_pk_fma_f32 v[46:47], v[48:49], v[64:65], v[40:41] op_sel:[0,0,1] op_sel_hi:[1,1,0] neg_lo:[0,0,1] neg_hi:[0,0,1]
	v_pk_fma_f32 v[40:41], v[48:49], v[64:65], v[40:41] op_sel:[0,0,1] op_sel_hi:[1,0,0]
	v_mov_b32_e32 v45, v39
	v_pk_add_f32 v[32:33], v[32:33], v[42:43]
	s_waitcnt vmcnt(4)
	v_mov_b32_e32 v34, v71
	v_pk_mul_f32 v[80:81], v[52:53], v[88:89] op_sel_hi:[1,0]
	v_pk_fma_f32 v[48:49], v[50:51], v[66:67], v[78:79] op_sel:[0,0,1] op_sel_hi:[1,1,0] neg_lo:[0,0,1] neg_hi:[0,0,1]
	v_pk_fma_f32 v[50:51], v[50:51], v[66:67], v[78:79] op_sel:[0,0,1] op_sel_hi:[1,0,0]
	v_mov_b32_e32 v47, v41
	v_pk_add_f32 v[32:33], v[32:33], v[44:45]
	s_waitcnt lgkmcnt(0)
	v_pk_mul_f32 v[34:35], v[54:55], v[34:35] op_sel_hi:[1,0]
	v_pk_fma_f32 v[58:59], v[52:53], v[68:69], v[80:81] op_sel:[0,0,1] op_sel_hi:[1,1,0] neg_lo:[0,0,1] neg_hi:[0,0,1]
	v_pk_fma_f32 v[52:53], v[52:53], v[68:69], v[80:81] op_sel:[0,0,1] op_sel_hi:[1,0,0]
	v_mov_b32_e32 v49, v51
	v_pk_add_f32 v[32:33], v[32:33], v[46:47]
	v_pk_fma_f32 v[36:37], v[54:55], v[70:71], v[34:35] op_sel:[0,0,1] op_sel_hi:[1,1,0] neg_lo:[0,0,1] neg_hi:[0,0,1]
	v_pk_fma_f32 v[34:35], v[54:55], v[70:71], v[34:35] op_sel:[0,0,1] op_sel_hi:[1,0,0]
	v_mov_b32_e32 v59, v53
	v_pk_add_f32 v[32:33], v[32:33], v[48:49]
	s_waitcnt vmcnt(3)
	v_mov_b32_e32 v34, v73
	v_pk_add_f32 v[32:33], v[32:33], v[58:59]
	v_mov_b32_e32 v37, v35
	v_pk_mul_f32 v[34:35], v[56:57], v[34:35] op_sel_hi:[1,0]
	v_pk_add_f32 v[32:33], v[32:33], v[36:37]
	s_waitcnt vmcnt(2)
	v_pk_fma_f32 v[36:37], v[56:57], v[72:73], v[34:35] op_sel:[0,0,1] op_sel_hi:[1,1,0] neg_lo:[0,0,1] neg_hi:[0,0,1]
	v_pk_fma_f32 v[34:35], v[56:57], v[72:73], v[34:35] op_sel:[0,0,1] op_sel_hi:[1,0,0]
	v_mov_b32_e32 v37, v35
	v_pk_add_f32 v[32:33], v[32:33], v[36:37]
	s_waitcnt vmcnt(0)
	v_pk_add_f32 v[32:33], v[74:75], v[32:33] neg_lo:[0,1] neg_hi:[0,1]
	buffer_store_dword v33, off, s[0:3], 0 offset:20
	buffer_store_dword v32, off, s[0:3], 0 offset:16
	s_and_saveexec_b64 s[4:5], vcc
	s_cbranch_execz .LBB78_101
; %bb.100:
	buffer_load_dword v32, off, s[0:3], 0 offset:8
	buffer_load_dword v33, off, s[0:3], 0 offset:12
	v_mov_b32_e32 v34, 0
	buffer_store_dword v34, off, s[0:3], 0 offset:8
	buffer_store_dword v34, off, s[0:3], 0 offset:12
	s_waitcnt vmcnt(2)
	ds_write_b64 v1, v[32:33]
.LBB78_101:
	s_or_b64 exec, exec, s[4:5]
	s_waitcnt lgkmcnt(0)
	; wave barrier
	s_waitcnt lgkmcnt(0)
	buffer_load_dword v33, off, s[0:3], 0 offset:20
	buffer_load_dword v78, off, s[0:3], 0 offset:28
	;; [unrolled: 1-line block ×28, first 2 shown]
	v_mov_b32_e32 v32, 0
	ds_read_b128 v[34:37], v32 offset:144
	ds_read_b128 v[38:41], v32 offset:160
	;; [unrolled: 1-line block ×6, first 2 shown]
	ds_read_b64 v[76:77], v32 offset:240
	v_cmp_ne_u32_e32 vcc, 0, v0
	s_waitcnt vmcnt(27) lgkmcnt(6)
	v_mul_f32_e32 v93, v34, v33
	v_mul_f32_e32 v33, v35, v33
	s_waitcnt vmcnt(26)
	v_mul_f32_e32 v94, v36, v78
	s_waitcnt vmcnt(24) lgkmcnt(5)
	v_mul_f32_e32 v79, v40, v82
	s_waitcnt vmcnt(23) lgkmcnt(4)
	v_mul_f32_e32 v81, v42, v83
	v_mul_f32_e32 v96, v41, v82
	;; [unrolled: 1-line block ×3, first 2 shown]
	s_waitcnt vmcnt(22)
	v_mov_b32_e32 v82, v59
	v_mul_f32_e32 v95, v38, v80
	v_mul_f32_e32 v78, v37, v78
	;; [unrolled: 1-line block ×3, first 2 shown]
	s_waitcnt vmcnt(17)
	v_fmac_f32_e32 v93, v35, v85
	v_fma_f32 v33, v34, v85, -v33
	v_pk_mul_f32 v[34:35], v[44:45], v[82:83] op_sel_hi:[1,0]
	s_waitcnt vmcnt(16)
	v_fmac_f32_e32 v94, v37, v87
	s_waitcnt vmcnt(13)
	v_fmac_f32_e32 v81, v43, v92
	v_fma_f32 v85, v36, v87, -v78
	v_fma_f32 v87, v38, v89, -v80
	;; [unrolled: 1-line block ×3, first 2 shown]
	v_add_f32_e32 v82, 0, v93
	v_add_f32_e32 v33, 0, v33
	s_waitcnt vmcnt(12)
	v_pk_fma_f32 v[42:43], v[44:45], v[58:59], v[34:35] op_sel:[0,0,1] op_sel_hi:[1,1,0] neg_lo:[0,0,1] neg_hi:[0,0,1]
	v_pk_fma_f32 v[34:35], v[44:45], v[58:59], v[34:35] op_sel:[0,0,1] op_sel_hi:[1,0,0]
	v_fmac_f32_e32 v95, v39, v89
	v_add_f32_e32 v34, v82, v94
	v_add_f32_e32 v33, v33, v85
	v_mov_b32_e32 v84, v61
	v_fmac_f32_e32 v79, v41, v91
	v_fma_f32 v78, v40, v91, -v96
	v_mov_b32_e32 v43, v35
	v_add_f32_e32 v35, v34, v95
	v_add_f32_e32 v34, v33, v87
	v_mov_b32_e32 v86, v63
	s_waitcnt lgkmcnt(3)
	v_pk_mul_f32 v[36:37], v[46:47], v[84:85] op_sel_hi:[1,0]
	v_pk_add_f32 v[34:35], v[34:35], v[78:79]
	v_mov_b32_e32 v88, v65
	v_mov_b32_e32 v90, v67
	v_pk_mul_f32 v[38:39], v[48:49], v[86:87] op_sel_hi:[1,0]
	s_waitcnt vmcnt(11)
	v_pk_fma_f32 v[44:45], v[46:47], v[60:61], v[36:37] op_sel:[0,0,1] op_sel_hi:[1,1,0] neg_lo:[0,0,1] neg_hi:[0,0,1]
	v_pk_fma_f32 v[36:37], v[46:47], v[60:61], v[36:37] op_sel:[0,0,1] op_sel_hi:[1,0,0]
	v_pk_add_f32 v[34:35], v[34:35], v[80:81]
	s_waitcnt lgkmcnt(2)
	v_pk_mul_f32 v[40:41], v[50:51], v[88:89] op_sel_hi:[1,0]
	s_waitcnt vmcnt(10)
	v_pk_fma_f32 v[46:47], v[48:49], v[62:63], v[38:39] op_sel:[0,0,1] op_sel_hi:[1,1,0] neg_lo:[0,0,1] neg_hi:[0,0,1]
	v_pk_fma_f32 v[38:39], v[48:49], v[62:63], v[38:39] op_sel:[0,0,1] op_sel_hi:[1,0,0]
	v_mov_b32_e32 v45, v37
	v_pk_add_f32 v[34:35], v[34:35], v[42:43]
	v_pk_mul_f32 v[36:37], v[52:53], v[90:91] op_sel_hi:[1,0]
	s_waitcnt vmcnt(9)
	v_pk_fma_f32 v[48:49], v[50:51], v[64:65], v[40:41] op_sel:[0,0,1] op_sel_hi:[1,1,0] neg_lo:[0,0,1] neg_hi:[0,0,1]
	v_pk_fma_f32 v[40:41], v[50:51], v[64:65], v[40:41] op_sel:[0,0,1] op_sel_hi:[1,0,0]
	v_mov_b32_e32 v47, v39
	v_pk_add_f32 v[34:35], v[34:35], v[44:45]
	s_waitcnt vmcnt(8)
	v_pk_fma_f32 v[38:39], v[52:53], v[66:67], v[36:37] op_sel:[0,0,1] op_sel_hi:[1,1,0] neg_lo:[0,0,1] neg_hi:[0,0,1]
	v_pk_fma_f32 v[36:37], v[52:53], v[66:67], v[36:37] op_sel:[0,0,1] op_sel_hi:[1,0,0]
	v_mov_b32_e32 v49, v41
	v_pk_add_f32 v[34:35], v[34:35], v[46:47]
	s_waitcnt vmcnt(7)
	v_mov_b32_e32 v36, v69
	v_pk_add_f32 v[34:35], v[34:35], v[48:49]
	v_mov_b32_e32 v39, v37
	s_waitcnt lgkmcnt(1)
	v_pk_mul_f32 v[36:37], v[54:55], v[36:37] op_sel_hi:[1,0]
	v_pk_add_f32 v[34:35], v[34:35], v[38:39]
	s_waitcnt vmcnt(6)
	v_pk_fma_f32 v[38:39], v[54:55], v[68:69], v[36:37] op_sel:[0,0,1] op_sel_hi:[1,1,0] neg_lo:[0,0,1] neg_hi:[0,0,1]
	v_pk_fma_f32 v[36:37], v[54:55], v[68:69], v[36:37] op_sel:[0,0,1] op_sel_hi:[1,0,0]
	s_waitcnt vmcnt(5)
	v_mov_b32_e32 v36, v71
	v_mov_b32_e32 v39, v37
	v_pk_mul_f32 v[36:37], v[56:57], v[36:37] op_sel_hi:[1,0]
	v_pk_add_f32 v[34:35], v[34:35], v[38:39]
	s_waitcnt vmcnt(4)
	v_pk_fma_f32 v[38:39], v[56:57], v[70:71], v[36:37] op_sel:[0,0,1] op_sel_hi:[1,1,0] neg_lo:[0,0,1] neg_hi:[0,0,1]
	v_pk_fma_f32 v[36:37], v[56:57], v[70:71], v[36:37] op_sel:[0,0,1] op_sel_hi:[1,0,0]
	s_waitcnt vmcnt(2)
	v_mov_b32_e32 v36, v73
	v_mov_b32_e32 v39, v37
	s_waitcnt lgkmcnt(0)
	v_pk_mul_f32 v[36:37], v[76:77], v[36:37] op_sel_hi:[1,0]
	v_pk_add_f32 v[34:35], v[34:35], v[38:39]
	v_pk_fma_f32 v[38:39], v[76:77], v[72:73], v[36:37] op_sel:[0,0,1] op_sel_hi:[1,1,0] neg_lo:[0,0,1] neg_hi:[0,0,1]
	v_pk_fma_f32 v[36:37], v[76:77], v[72:73], v[36:37] op_sel:[0,0,1] op_sel_hi:[1,0,0]
	v_mov_b32_e32 v39, v37
	v_pk_add_f32 v[34:35], v[34:35], v[38:39]
	s_waitcnt vmcnt(0)
	v_pk_add_f32 v[34:35], v[74:75], v[34:35] neg_lo:[0,1] neg_hi:[0,1]
	buffer_store_dword v35, off, s[0:3], 0 offset:12
	buffer_store_dword v34, off, s[0:3], 0 offset:8
	s_and_saveexec_b64 s[4:5], vcc
	s_cbranch_execz .LBB78_103
; %bb.102:
	buffer_load_dword v34, off, s[0:3], 0
	buffer_load_dword v35, off, s[0:3], 0 offset:4
	s_waitcnt vmcnt(0)
	ds_write_b64 v1, v[34:35]
	buffer_store_dword v32, off, s[0:3], 0
	buffer_store_dword v32, off, s[0:3], 0 offset:4
.LBB78_103:
	s_or_b64 exec, exec, s[4:5]
	s_waitcnt lgkmcnt(0)
	; wave barrier
	s_waitcnt lgkmcnt(0)
	buffer_load_dword v78, off, s[0:3], 0 offset:12
	buffer_load_dword v80, off, s[0:3], 0 offset:20
	;; [unrolled: 1-line block ×27, first 2 shown]
	buffer_load_dword v76, off, s[0:3], 0
	buffer_load_dword v77, off, s[0:3], 0 offset:4
	buffer_load_dword v73, off, s[0:3], 0 offset:116
	ds_read2_b64 v[34:37], v32 offset0:17 offset1:18
	ds_read2_b64 v[38:41], v32 offset0:19 offset1:20
	;; [unrolled: 1-line block ×7, first 2 shown]
	s_and_b64 vcc, exec, s[16:17]
	s_waitcnt vmcnt(29) lgkmcnt(6)
	v_mul_f32_e32 v91, v34, v78
	s_waitcnt vmcnt(28)
	v_mul_f32_e32 v92, v36, v80
	s_waitcnt vmcnt(27) lgkmcnt(5)
	v_mul_f32_e32 v93, v38, v81
	v_mul_f32_e32 v81, v39, v81
	s_waitcnt vmcnt(26)
	v_mul_f32_e32 v94, v40, v82
	s_waitcnt vmcnt(25) lgkmcnt(4)
	v_mul_f32_e32 v33, v42, v83
	s_waitcnt vmcnt(24)
	v_mul_f32_e32 v79, v44, v84
	v_mul_f32_e32 v32, v35, v78
	;; [unrolled: 1-line block ×5, first 2 shown]
	s_waitcnt vmcnt(23)
	v_mov_b32_e32 v80, v1
	s_waitcnt vmcnt(22)
	v_mov_b32_e32 v82, v63
	s_waitcnt vmcnt(18)
	v_fma_f32 v81, v38, v87, -v81
	v_mul_f32_e32 v96, v45, v84
	v_fmac_f32_e32 v91, v35, v85
	v_fmac_f32_e32 v92, v37, v86
	s_waitcnt vmcnt(17)
	v_fmac_f32_e32 v94, v41, v88
	s_waitcnt vmcnt(15)
	v_fmac_f32_e32 v79, v45, v90
	v_fma_f32 v41, v34, v85, -v32
	v_fma_f32 v45, v36, v86, -v78
	s_waitcnt lgkmcnt(3)
	v_pk_mul_f32 v[34:35], v[46:47], v[80:81] op_sel_hi:[1,0]
	v_pk_mul_f32 v[36:37], v[48:49], v[82:83] op_sel_hi:[1,0]
	v_fma_f32 v85, v40, v88, -v95
	v_fma_f32 v78, v44, v90, -v96
	v_add_f32_e32 v44, 0, v91
	v_add_f32_e32 v80, 0, v41
	s_waitcnt vmcnt(14)
	v_pk_fma_f32 v[40:41], v[46:47], v[0:1], v[34:35] op_sel:[0,0,1] op_sel_hi:[1,1,0] neg_lo:[0,0,1] neg_hi:[0,0,1]
	v_pk_fma_f32 v[0:1], v[46:47], v[0:1], v[34:35] op_sel:[0,0,1] op_sel_hi:[1,0,0]
	s_waitcnt vmcnt(10)
	v_pk_fma_f32 v[34:35], v[48:49], v[62:63], v[36:37] op_sel:[0,0,1] op_sel_hi:[1,1,0] neg_lo:[0,0,1] neg_hi:[0,0,1]
	v_pk_fma_f32 v[36:37], v[48:49], v[62:63], v[36:37] op_sel:[0,0,1] op_sel_hi:[1,0,0]
	v_fmac_f32_e32 v93, v39, v87
	v_add_f32_e32 v0, v44, v92
	v_add_f32_e32 v36, v80, v45
	;; [unrolled: 1-line block ×4, first 2 shown]
	v_fmac_f32_e32 v33, v43, v89
	v_fma_f32 v32, v42, v89, -v83
	v_mov_b32_e32 v41, v1
	v_add_f32_e32 v1, v0, v94
	v_add_f32_e32 v0, v36, v85
	v_pk_add_f32 v[0:1], v[0:1], v[32:33]
	v_mov_b32_e32 v84, v65
	v_pk_add_f32 v[0:1], v[0:1], v[78:79]
	s_waitcnt vmcnt(9)
	v_mov_b32_e32 v32, v69
	s_waitcnt lgkmcnt(2)
	v_pk_mul_f32 v[38:39], v[50:51], v[84:85] op_sel_hi:[1,0]
	v_mov_b32_e32 v35, v37
	v_pk_add_f32 v[0:1], v[0:1], v[40:41]
	v_pk_mul_f32 v[32:33], v[52:53], v[32:33] op_sel_hi:[1,0]
	v_pk_fma_f32 v[42:43], v[50:51], v[64:65], v[38:39] op_sel:[0,0,1] op_sel_hi:[1,1,0] neg_lo:[0,0,1] neg_hi:[0,0,1]
	v_pk_fma_f32 v[38:39], v[50:51], v[64:65], v[38:39] op_sel:[0,0,1] op_sel_hi:[1,0,0]
	v_pk_add_f32 v[0:1], v[0:1], v[34:35]
	v_pk_fma_f32 v[34:35], v[52:53], v[68:69], v[32:33] op_sel:[0,0,1] op_sel_hi:[1,1,0] neg_lo:[0,0,1] neg_hi:[0,0,1]
	v_pk_fma_f32 v[32:33], v[52:53], v[68:69], v[32:33] op_sel:[0,0,1] op_sel_hi:[1,0,0]
	v_mov_b32_e32 v43, v39
	s_waitcnt vmcnt(8)
	v_mov_b32_e32 v32, v67
	v_pk_add_f32 v[0:1], v[0:1], v[42:43]
	v_mov_b32_e32 v35, v33
	s_waitcnt lgkmcnt(1)
	v_pk_mul_f32 v[32:33], v[54:55], v[32:33] op_sel_hi:[1,0]
	v_pk_add_f32 v[0:1], v[0:1], v[34:35]
	v_pk_fma_f32 v[34:35], v[54:55], v[66:67], v[32:33] op_sel:[0,0,1] op_sel_hi:[1,1,0] neg_lo:[0,0,1] neg_hi:[0,0,1]
	v_pk_fma_f32 v[32:33], v[54:55], v[66:67], v[32:33] op_sel:[0,0,1] op_sel_hi:[1,0,0]
	s_waitcnt vmcnt(7)
	v_mov_b32_e32 v32, v71
	v_mov_b32_e32 v35, v33
	v_pk_mul_f32 v[32:33], v[56:57], v[32:33] op_sel_hi:[1,0]
	v_pk_add_f32 v[0:1], v[0:1], v[34:35]
	s_waitcnt vmcnt(4)
	v_pk_fma_f32 v[34:35], v[56:57], v[70:71], v[32:33] op_sel:[0,0,1] op_sel_hi:[1,1,0] neg_lo:[0,0,1] neg_hi:[0,0,1]
	v_pk_fma_f32 v[32:33], v[56:57], v[70:71], v[32:33] op_sel:[0,0,1] op_sel_hi:[1,0,0]
	s_waitcnt vmcnt(3)
	v_mov_b32_e32 v32, v75
	v_mov_b32_e32 v35, v33
	s_waitcnt lgkmcnt(0)
	v_pk_mul_f32 v[32:33], v[58:59], v[32:33] op_sel_hi:[1,0]
	v_pk_add_f32 v[0:1], v[0:1], v[34:35]
	v_pk_fma_f32 v[34:35], v[58:59], v[74:75], v[32:33] op_sel:[0,0,1] op_sel_hi:[1,1,0] neg_lo:[0,0,1] neg_hi:[0,0,1]
	v_pk_fma_f32 v[32:33], v[58:59], v[74:75], v[32:33] op_sel:[0,0,1] op_sel_hi:[1,0,0]
	s_waitcnt vmcnt(0)
	v_mov_b32_e32 v32, v73
	v_mov_b32_e32 v35, v33
	v_pk_mul_f32 v[32:33], v[60:61], v[32:33] op_sel_hi:[1,0]
	v_pk_add_f32 v[0:1], v[0:1], v[34:35]
	v_pk_fma_f32 v[34:35], v[60:61], v[72:73], v[32:33] op_sel:[0,0,1] op_sel_hi:[1,1,0] neg_lo:[0,0,1] neg_hi:[0,0,1]
	v_pk_fma_f32 v[32:33], v[60:61], v[72:73], v[32:33] op_sel:[0,0,1] op_sel_hi:[1,0,0]
	v_mov_b32_e32 v35, v33
	v_pk_add_f32 v[0:1], v[0:1], v[34:35]
	v_pk_add_f32 v[0:1], v[76:77], v[0:1] neg_lo:[0,1] neg_hi:[0,1]
	buffer_store_dword v1, off, s[0:3], 0 offset:4
	buffer_store_dword v0, off, s[0:3], 0
	s_cbranch_vccz .LBB78_133
; %bb.104:
	v_pk_mov_b32 v[0:1], s[10:11], s[10:11] op_sel:[0,1]
	flat_load_dword v0, v[0:1] offset:52
	s_waitcnt vmcnt(0) lgkmcnt(0)
	v_add_u32_e32 v0, -1, v0
	v_cmp_ne_u32_e32 vcc, 13, v0
	s_and_saveexec_b64 s[4:5], vcc
	s_cbranch_execz .LBB78_106
; %bb.105:
	v_mov_b32_e32 v1, 0
	v_lshl_add_u32 v0, v0, 3, v1
	buffer_load_dword v1, v0, s[0:3], 0 offen
	buffer_load_dword v32, v0, s[0:3], 0 offen offset:4
	buffer_load_dword v33, off, s[0:3], 0 offset:104
	buffer_load_dword v34, off, s[0:3], 0 offset:108
	s_waitcnt vmcnt(3)
	buffer_store_dword v1, off, s[0:3], 0 offset:104
	s_waitcnt vmcnt(3)
	buffer_store_dword v32, off, s[0:3], 0 offset:108
	s_waitcnt vmcnt(3)
	buffer_store_dword v33, v0, s[0:3], 0 offen
	s_waitcnt vmcnt(3)
	buffer_store_dword v34, v0, s[0:3], 0 offen offset:4
.LBB78_106:
	s_or_b64 exec, exec, s[4:5]
	v_pk_mov_b32 v[0:1], s[10:11], s[10:11] op_sel:[0,1]
	flat_load_dword v0, v[0:1] offset:48
	s_waitcnt vmcnt(0) lgkmcnt(0)
	v_add_u32_e32 v0, -1, v0
	v_cmp_ne_u32_e32 vcc, 12, v0
	s_and_saveexec_b64 s[4:5], vcc
	s_cbranch_execz .LBB78_108
; %bb.107:
	v_mov_b32_e32 v1, 0
	v_lshl_add_u32 v0, v0, 3, v1
	buffer_load_dword v1, v0, s[0:3], 0 offen
	buffer_load_dword v32, v0, s[0:3], 0 offen offset:4
	buffer_load_dword v33, off, s[0:3], 0 offset:100
	buffer_load_dword v34, off, s[0:3], 0 offset:96
	s_waitcnt vmcnt(3)
	buffer_store_dword v1, off, s[0:3], 0 offset:96
	s_waitcnt vmcnt(3)
	buffer_store_dword v32, off, s[0:3], 0 offset:100
	s_waitcnt vmcnt(3)
	buffer_store_dword v33, v0, s[0:3], 0 offen offset:4
	s_waitcnt vmcnt(3)
	buffer_store_dword v34, v0, s[0:3], 0 offen
.LBB78_108:
	s_or_b64 exec, exec, s[4:5]
	v_pk_mov_b32 v[0:1], s[10:11], s[10:11] op_sel:[0,1]
	flat_load_dword v0, v[0:1] offset:44
	s_waitcnt vmcnt(0) lgkmcnt(0)
	v_add_u32_e32 v0, -1, v0
	v_cmp_ne_u32_e32 vcc, 11, v0
	s_and_saveexec_b64 s[4:5], vcc
	s_cbranch_execz .LBB78_110
; %bb.109:
	v_mov_b32_e32 v1, 0
	v_lshl_add_u32 v0, v0, 3, v1
	buffer_load_dword v1, v0, s[0:3], 0 offen
	buffer_load_dword v32, v0, s[0:3], 0 offen offset:4
	buffer_load_dword v33, off, s[0:3], 0 offset:88
	buffer_load_dword v34, off, s[0:3], 0 offset:92
	s_waitcnt vmcnt(3)
	buffer_store_dword v1, off, s[0:3], 0 offset:88
	s_waitcnt vmcnt(3)
	buffer_store_dword v32, off, s[0:3], 0 offset:92
	s_waitcnt vmcnt(3)
	buffer_store_dword v33, v0, s[0:3], 0 offen
	s_waitcnt vmcnt(3)
	buffer_store_dword v34, v0, s[0:3], 0 offen offset:4
.LBB78_110:
	s_or_b64 exec, exec, s[4:5]
	v_pk_mov_b32 v[0:1], s[10:11], s[10:11] op_sel:[0,1]
	flat_load_dword v0, v[0:1] offset:40
	s_waitcnt vmcnt(0) lgkmcnt(0)
	v_add_u32_e32 v0, -1, v0
	v_cmp_ne_u32_e32 vcc, 10, v0
	s_and_saveexec_b64 s[4:5], vcc
	s_cbranch_execz .LBB78_112
; %bb.111:
	v_mov_b32_e32 v1, 0
	v_lshl_add_u32 v0, v0, 3, v1
	buffer_load_dword v1, v0, s[0:3], 0 offen
	buffer_load_dword v32, v0, s[0:3], 0 offen offset:4
	buffer_load_dword v33, off, s[0:3], 0 offset:84
	buffer_load_dword v34, off, s[0:3], 0 offset:80
	s_waitcnt vmcnt(3)
	buffer_store_dword v1, off, s[0:3], 0 offset:80
	s_waitcnt vmcnt(3)
	buffer_store_dword v32, off, s[0:3], 0 offset:84
	s_waitcnt vmcnt(3)
	buffer_store_dword v33, v0, s[0:3], 0 offen offset:4
	s_waitcnt vmcnt(3)
	buffer_store_dword v34, v0, s[0:3], 0 offen
.LBB78_112:
	s_or_b64 exec, exec, s[4:5]
	;; [unrolled: 48-line block ×6, first 2 shown]
	v_pk_mov_b32 v[0:1], s[10:11], s[10:11] op_sel:[0,1]
	flat_load_dword v0, v[0:1] offset:4
	s_waitcnt vmcnt(0) lgkmcnt(0)
	v_add_u32_e32 v0, -1, v0
	v_cmp_ne_u32_e32 vcc, 1, v0
	s_and_saveexec_b64 s[4:5], vcc
	s_cbranch_execz .LBB78_130
; %bb.129:
	v_mov_b32_e32 v1, 0
	v_lshl_add_u32 v0, v0, 3, v1
	buffer_load_dword v1, v0, s[0:3], 0 offen
	buffer_load_dword v32, v0, s[0:3], 0 offen offset:4
	buffer_load_dword v33, off, s[0:3], 0 offset:8
	buffer_load_dword v34, off, s[0:3], 0 offset:12
	s_waitcnt vmcnt(3)
	buffer_store_dword v1, off, s[0:3], 0 offset:8
	s_waitcnt vmcnt(3)
	buffer_store_dword v32, off, s[0:3], 0 offset:12
	s_waitcnt vmcnt(3)
	buffer_store_dword v33, v0, s[0:3], 0 offen
	s_waitcnt vmcnt(3)
	buffer_store_dword v34, v0, s[0:3], 0 offen offset:4
.LBB78_130:
	s_or_b64 exec, exec, s[4:5]
	v_pk_mov_b32 v[0:1], s[10:11], s[10:11] op_sel:[0,1]
	flat_load_dword v32, v[0:1]
	s_nop 0
	buffer_load_dword v0, off, s[0:3], 0
	buffer_load_dword v1, off, s[0:3], 0 offset:4
	s_waitcnt vmcnt(0) lgkmcnt(0)
	v_add_u32_e32 v32, -1, v32
	v_cmp_ne_u32_e32 vcc, 0, v32
	s_and_saveexec_b64 s[4:5], vcc
	s_cbranch_execz .LBB78_132
; %bb.131:
	v_mov_b32_e32 v33, 0
	v_lshl_add_u32 v32, v32, 3, v33
	buffer_load_dword v33, v32, s[0:3], 0 offen offset:4
	buffer_load_dword v34, v32, s[0:3], 0 offen
	s_waitcnt vmcnt(1)
	buffer_store_dword v33, off, s[0:3], 0 offset:4
	s_waitcnt vmcnt(1)
	buffer_store_dword v34, off, s[0:3], 0
	buffer_store_dword v1, v32, s[0:3], 0 offen offset:4
	buffer_store_dword v0, v32, s[0:3], 0 offen
	buffer_load_dword v0, off, s[0:3], 0
	s_nop 0
	buffer_load_dword v1, off, s[0:3], 0 offset:4
.LBB78_132:
	s_or_b64 exec, exec, s[4:5]
.LBB78_133:
	buffer_load_dword v32, off, s[0:3], 0 offset:8
	buffer_load_dword v33, off, s[0:3], 0 offset:12
	;; [unrolled: 1-line block ×28, first 2 shown]
	s_waitcnt vmcnt(28)
	global_store_dwordx2 v[2:3], v[0:1], off
	s_waitcnt vmcnt(27)
	global_store_dwordx2 v[4:5], v[32:33], off
	;; [unrolled: 2-line block ×15, first 2 shown]
	s_endpgm
	.section	.rodata,"a",@progbits
	.p2align	6, 0x0
	.amdhsa_kernel _ZN9rocsolver6v33100L18getri_kernel_smallILi15E19rocblas_complex_numIfEPKPS3_EEvT1_iilPiilS8_bb
		.amdhsa_group_segment_fixed_size 248
		.amdhsa_private_segment_fixed_size 128
		.amdhsa_kernarg_size 60
		.amdhsa_user_sgpr_count 8
		.amdhsa_user_sgpr_private_segment_buffer 1
		.amdhsa_user_sgpr_dispatch_ptr 0
		.amdhsa_user_sgpr_queue_ptr 0
		.amdhsa_user_sgpr_kernarg_segment_ptr 1
		.amdhsa_user_sgpr_dispatch_id 0
		.amdhsa_user_sgpr_flat_scratch_init 1
		.amdhsa_user_sgpr_kernarg_preload_length 0
		.amdhsa_user_sgpr_kernarg_preload_offset 0
		.amdhsa_user_sgpr_private_segment_size 0
		.amdhsa_uses_dynamic_stack 0
		.amdhsa_system_sgpr_private_segment_wavefront_offset 1
		.amdhsa_system_sgpr_workgroup_id_x 1
		.amdhsa_system_sgpr_workgroup_id_y 0
		.amdhsa_system_sgpr_workgroup_id_z 0
		.amdhsa_system_sgpr_workgroup_info 0
		.amdhsa_system_vgpr_workitem_id 0
		.amdhsa_next_free_vgpr 97
		.amdhsa_next_free_sgpr 22
		.amdhsa_accum_offset 100
		.amdhsa_reserve_vcc 1
		.amdhsa_reserve_flat_scratch 1
		.amdhsa_float_round_mode_32 0
		.amdhsa_float_round_mode_16_64 0
		.amdhsa_float_denorm_mode_32 3
		.amdhsa_float_denorm_mode_16_64 3
		.amdhsa_dx10_clamp 1
		.amdhsa_ieee_mode 1
		.amdhsa_fp16_overflow 0
		.amdhsa_tg_split 0
		.amdhsa_exception_fp_ieee_invalid_op 0
		.amdhsa_exception_fp_denorm_src 0
		.amdhsa_exception_fp_ieee_div_zero 0
		.amdhsa_exception_fp_ieee_overflow 0
		.amdhsa_exception_fp_ieee_underflow 0
		.amdhsa_exception_fp_ieee_inexact 0
		.amdhsa_exception_int_div_zero 0
	.end_amdhsa_kernel
	.section	.text._ZN9rocsolver6v33100L18getri_kernel_smallILi15E19rocblas_complex_numIfEPKPS3_EEvT1_iilPiilS8_bb,"axG",@progbits,_ZN9rocsolver6v33100L18getri_kernel_smallILi15E19rocblas_complex_numIfEPKPS3_EEvT1_iilPiilS8_bb,comdat
.Lfunc_end78:
	.size	_ZN9rocsolver6v33100L18getri_kernel_smallILi15E19rocblas_complex_numIfEPKPS3_EEvT1_iilPiilS8_bb, .Lfunc_end78-_ZN9rocsolver6v33100L18getri_kernel_smallILi15E19rocblas_complex_numIfEPKPS3_EEvT1_iilPiilS8_bb
                                        ; -- End function
	.section	.AMDGPU.csdata,"",@progbits
; Kernel info:
; codeLenInByte = 15728
; NumSgprs: 28
; NumVgprs: 97
; NumAgprs: 0
; TotalNumVgprs: 97
; ScratchSize: 128
; MemoryBound: 0
; FloatMode: 240
; IeeeMode: 1
; LDSByteSize: 248 bytes/workgroup (compile time only)
; SGPRBlocks: 3
; VGPRBlocks: 12
; NumSGPRsForWavesPerEU: 28
; NumVGPRsForWavesPerEU: 97
; AccumOffset: 100
; Occupancy: 4
; WaveLimiterHint : 1
; COMPUTE_PGM_RSRC2:SCRATCH_EN: 1
; COMPUTE_PGM_RSRC2:USER_SGPR: 8
; COMPUTE_PGM_RSRC2:TRAP_HANDLER: 0
; COMPUTE_PGM_RSRC2:TGID_X_EN: 1
; COMPUTE_PGM_RSRC2:TGID_Y_EN: 0
; COMPUTE_PGM_RSRC2:TGID_Z_EN: 0
; COMPUTE_PGM_RSRC2:TIDIG_COMP_CNT: 0
; COMPUTE_PGM_RSRC3_GFX90A:ACCUM_OFFSET: 24
; COMPUTE_PGM_RSRC3_GFX90A:TG_SPLIT: 0
	.section	.text._ZN9rocsolver6v33100L18getri_kernel_smallILi16E19rocblas_complex_numIfEPKPS3_EEvT1_iilPiilS8_bb,"axG",@progbits,_ZN9rocsolver6v33100L18getri_kernel_smallILi16E19rocblas_complex_numIfEPKPS3_EEvT1_iilPiilS8_bb,comdat
	.globl	_ZN9rocsolver6v33100L18getri_kernel_smallILi16E19rocblas_complex_numIfEPKPS3_EEvT1_iilPiilS8_bb ; -- Begin function _ZN9rocsolver6v33100L18getri_kernel_smallILi16E19rocblas_complex_numIfEPKPS3_EEvT1_iilPiilS8_bb
	.p2align	8
	.type	_ZN9rocsolver6v33100L18getri_kernel_smallILi16E19rocblas_complex_numIfEPKPS3_EEvT1_iilPiilS8_bb,@function
_ZN9rocsolver6v33100L18getri_kernel_smallILi16E19rocblas_complex_numIfEPKPS3_EEvT1_iilPiilS8_bb: ; @_ZN9rocsolver6v33100L18getri_kernel_smallILi16E19rocblas_complex_numIfEPKPS3_EEvT1_iilPiilS8_bb
; %bb.0:
	s_add_u32 flat_scratch_lo, s6, s9
	s_addc_u32 flat_scratch_hi, s7, 0
	s_add_u32 s0, s0, s9
	s_addc_u32 s1, s1, 0
	v_cmp_gt_u32_e32 vcc, 16, v0
	s_and_saveexec_b64 s[6:7], vcc
	s_cbranch_execz .LBB79_78
; %bb.1:
	s_load_dword s20, s[4:5], 0x38
	s_load_dwordx2 s[6:7], s[4:5], 0x0
	s_load_dwordx4 s[12:15], s[4:5], 0x28
	s_waitcnt lgkmcnt(0)
	s_bitcmp1_b32 s20, 8
	s_cselect_b64 s[16:17], -1, 0
	s_ashr_i32 s9, s8, 31
	s_lshl_b64 s[10:11], s[8:9], 3
	s_add_u32 s6, s6, s10
	s_addc_u32 s7, s7, s11
	s_load_dwordx2 s[18:19], s[6:7], 0x0
	s_bfe_u32 s6, s20, 0x10008
	s_cmp_eq_u32 s6, 0
                                        ; implicit-def: $sgpr10_sgpr11
	s_cbranch_scc1 .LBB79_3
; %bb.2:
	s_load_dword s6, s[4:5], 0x20
	s_load_dwordx2 s[10:11], s[4:5], 0x18
	s_mul_i32 s7, s8, s13
	s_mul_hi_u32 s13, s8, s12
	s_add_i32 s13, s13, s7
	s_mul_i32 s21, s9, s12
	s_add_i32 s13, s13, s21
	s_mul_i32 s12, s8, s12
	s_waitcnt lgkmcnt(0)
	s_ashr_i32 s7, s6, 31
	s_lshl_b64 s[12:13], s[12:13], 2
	s_add_u32 s10, s10, s12
	s_addc_u32 s11, s11, s13
	s_lshl_b64 s[6:7], s[6:7], 2
	s_add_u32 s10, s10, s6
	s_addc_u32 s11, s11, s7
.LBB79_3:
	s_load_dwordx2 s[6:7], s[4:5], 0x8
	v_lshlrev_b32_e32 v38, 3, v0
	s_waitcnt lgkmcnt(0)
	s_ashr_i32 s5, s6, 31
	s_mov_b32 s4, s6
	s_lshl_b64 s[4:5], s[4:5], 3
	s_add_u32 s4, s18, s4
	s_addc_u32 s5, s19, s5
	v_mov_b32_e32 v1, s5
	v_add_co_u32_e32 v2, vcc, s4, v38
	s_ashr_i32 s13, s7, 31
	s_mov_b32 s12, s7
	s_add_i32 s6, s7, s7
	v_addc_co_u32_e32 v3, vcc, 0, v1, vcc
	s_lshl_b64 s[12:13], s[12:13], 3
	v_add_u32_e32 v6, s6, v0
	v_mov_b32_e32 v1, s13
	v_add_co_u32_e32 v4, vcc, s12, v2
	v_ashrrev_i32_e32 v7, 31, v6
	v_addc_co_u32_e32 v5, vcc, v3, v1, vcc
	v_add_u32_e32 v8, s7, v6
	v_lshlrev_b64 v[6:7], 3, v[6:7]
	v_mov_b32_e32 v1, s5
	v_ashrrev_i32_e32 v9, 31, v8
	v_add_co_u32_e32 v6, vcc, s4, v6
	v_add_u32_e32 v10, s7, v8
	v_addc_co_u32_e32 v7, vcc, v1, v7, vcc
	v_lshlrev_b64 v[8:9], 3, v[8:9]
	v_mov_b32_e32 v13, s5
	v_ashrrev_i32_e32 v11, 31, v10
	v_add_co_u32_e32 v8, vcc, s4, v8
	v_add_u32_e32 v12, s7, v10
	v_addc_co_u32_e32 v9, vcc, v13, v9, vcc
	;; [unrolled: 6-line block ×5, first 2 shown]
	v_lshlrev_b64 v[16:17], 3, v[16:17]
	v_mov_b32_e32 v21, s5
	v_add_co_u32_e32 v16, vcc, s4, v16
	v_ashrrev_i32_e32 v19, 31, v18
	v_add_u32_e32 v20, s7, v18
	v_addc_co_u32_e32 v17, vcc, v21, v17, vcc
	v_lshlrev_b64 v[18:19], 3, v[18:19]
	v_add_co_u32_e32 v18, vcc, s4, v18
	v_ashrrev_i32_e32 v21, 31, v20
	v_add_u32_e32 v22, s7, v20
	v_addc_co_u32_e32 v19, vcc, v1, v19, vcc
	v_lshlrev_b64 v[20:21], 3, v[20:21]
	v_add_co_u32_e32 v20, vcc, s4, v20
	v_ashrrev_i32_e32 v23, 31, v22
	v_add_u32_e32 v24, s7, v22
	v_addc_co_u32_e32 v21, vcc, v1, v21, vcc
	v_lshlrev_b64 v[22:23], 3, v[22:23]
	v_add_co_u32_e32 v22, vcc, s4, v22
	v_ashrrev_i32_e32 v25, 31, v24
	v_add_u32_e32 v26, s7, v24
	v_addc_co_u32_e32 v23, vcc, v1, v23, vcc
	v_lshlrev_b64 v[24:25], 3, v[24:25]
	v_add_co_u32_e32 v24, vcc, s4, v24
	v_ashrrev_i32_e32 v27, 31, v26
	v_add_u32_e32 v28, s7, v26
	v_addc_co_u32_e32 v25, vcc, v1, v25, vcc
	v_lshlrev_b64 v[26:27], 3, v[26:27]
	v_add_co_u32_e32 v26, vcc, s4, v26
	v_ashrrev_i32_e32 v29, 31, v28
	v_add_u32_e32 v30, s7, v28
	v_addc_co_u32_e32 v27, vcc, v1, v27, vcc
	v_lshlrev_b64 v[28:29], 3, v[28:29]
	v_add_co_u32_e32 v28, vcc, s4, v28
	v_ashrrev_i32_e32 v31, 31, v30
	v_add_u32_e32 v32, s7, v30
	v_addc_co_u32_e32 v29, vcc, v1, v29, vcc
	v_lshlrev_b64 v[30:31], 3, v[30:31]
	v_add_co_u32_e32 v30, vcc, s4, v30
	global_load_dwordx2 v[34:35], v38, s[4:5]
	global_load_dwordx2 v[36:37], v[4:5], off
	global_load_dwordx2 v[40:41], v[6:7], off
	;; [unrolled: 1-line block ×10, first 2 shown]
	v_addc_co_u32_e32 v31, vcc, v1, v31, vcc
	global_load_dwordx2 v[58:59], v[24:25], off
	global_load_dwordx2 v[60:61], v[26:27], off
	;; [unrolled: 1-line block ×4, first 2 shown]
	v_ashrrev_i32_e32 v33, 31, v32
	v_lshlrev_b64 v[32:33], 3, v[32:33]
	v_mov_b32_e32 v39, s5
	v_add_co_u32_e32 v32, vcc, s4, v32
	v_addc_co_u32_e32 v33, vcc, v39, v33, vcc
	global_load_dwordx2 v[66:67], v[32:33], off
	s_bitcmp0_b32 s20, 0
	s_mov_b64 s[6:7], -1
	s_waitcnt vmcnt(15)
	buffer_store_dword v35, off, s[0:3], 0 offset:4
	buffer_store_dword v34, off, s[0:3], 0
	s_waitcnt vmcnt(16)
	buffer_store_dword v37, off, s[0:3], 0 offset:12
	buffer_store_dword v36, off, s[0:3], 0 offset:8
	s_waitcnt vmcnt(17)
	buffer_store_dword v41, off, s[0:3], 0 offset:20
	buffer_store_dword v40, off, s[0:3], 0 offset:16
	;; [unrolled: 3-line block ×15, first 2 shown]
	s_cbranch_scc1 .LBB79_76
; %bb.4:
	v_cmp_eq_u32_e64 s[4:5], 0, v0
	s_and_saveexec_b64 s[6:7], s[4:5]
	s_cbranch_execz .LBB79_6
; %bb.5:
	v_mov_b32_e32 v1, 0
	ds_write_b32 v1, v1 offset:256
.LBB79_6:
	s_or_b64 exec, exec, s[6:7]
	v_mov_b32_e32 v1, 0
	v_lshl_add_u32 v39, v0, 3, v1
	s_waitcnt lgkmcnt(0)
	; wave barrier
	s_waitcnt lgkmcnt(0)
	buffer_load_dword v1, v39, s[0:3], 0 offen
	buffer_load_dword v34, v39, s[0:3], 0 offen offset:4
	s_waitcnt vmcnt(1)
	v_cmp_eq_f32_e32 vcc, 0, v1
	s_waitcnt vmcnt(0)
	v_cmp_eq_f32_e64 s[6:7], 0, v34
	s_and_b64 s[6:7], vcc, s[6:7]
	s_and_saveexec_b64 s[12:13], s[6:7]
	s_cbranch_execz .LBB79_10
; %bb.7:
	v_mov_b32_e32 v1, 0
	ds_read_b32 v35, v1 offset:256
	v_add_u32_e32 v34, 1, v0
	s_waitcnt lgkmcnt(0)
	v_readfirstlane_b32 s6, v35
	s_cmp_eq_u32 s6, 0
	s_cselect_b64 s[18:19], -1, 0
	v_cmp_gt_i32_e32 vcc, s6, v34
	s_or_b64 s[18:19], s[18:19], vcc
	s_and_b64 exec, exec, s[18:19]
	s_cbranch_execz .LBB79_10
; %bb.8:
	s_mov_b64 s[18:19], 0
	v_mov_b32_e32 v35, s6
.LBB79_9:                               ; =>This Inner Loop Header: Depth=1
	ds_cmpst_rtn_b32 v35, v1, v35, v34 offset:256
	s_waitcnt lgkmcnt(0)
	v_cmp_ne_u32_e32 vcc, 0, v35
	v_cmp_le_i32_e64 s[6:7], v35, v34
	s_and_b64 s[6:7], vcc, s[6:7]
	s_and_b64 s[6:7], exec, s[6:7]
	s_or_b64 s[18:19], s[6:7], s[18:19]
	s_andn2_b64 exec, exec, s[18:19]
	s_cbranch_execnz .LBB79_9
.LBB79_10:
	s_or_b64 exec, exec, s[12:13]
	v_mov_b32_e32 v34, 0
	s_waitcnt lgkmcnt(0)
	; wave barrier
	ds_read_b32 v1, v34 offset:256
	s_and_saveexec_b64 s[6:7], s[4:5]
	s_cbranch_execz .LBB79_12
; %bb.11:
	s_lshl_b64 s[12:13], s[8:9], 2
	s_add_u32 s12, s14, s12
	s_addc_u32 s13, s15, s13
	s_waitcnt lgkmcnt(0)
	global_store_dword v34, v1, s[12:13]
.LBB79_12:
	s_or_b64 exec, exec, s[6:7]
	s_waitcnt lgkmcnt(0)
	v_cmp_ne_u32_e32 vcc, 0, v1
	s_mov_b64 s[6:7], 0
	s_cbranch_vccnz .LBB79_76
; %bb.13:
	buffer_load_dword v40, v39, s[0:3], 0 offen offset:4
	buffer_load_dword v35, v39, s[0:3], 0 offen
	s_waitcnt vmcnt(1)
	v_cmp_gt_f32_e32 vcc, 0, v40
	v_cndmask_b32_e64 v1, v40, -v40, vcc
	s_waitcnt vmcnt(0)
	v_cmp_gt_f32_e32 vcc, 0, v35
	v_cndmask_b32_e64 v34, v35, -v35, vcc
	v_cmp_ngt_f32_e32 vcc, v34, v1
                                        ; implicit-def: $vgpr1
                                        ; implicit-def: $vgpr34
	s_and_saveexec_b64 s[6:7], vcc
	s_xor_b64 s[6:7], exec, s[6:7]
                                        ; implicit-def: $vgpr36_vgpr37
	s_cbranch_execz .LBB79_15
; %bb.14:
	v_div_scale_f32 v1, s[12:13], v40, v40, v35
	v_rcp_f32_e32 v34, v1
	v_div_scale_f32 v36, vcc, v35, v40, v35
	v_fma_f32 v37, -v1, v34, 1.0
	v_fmac_f32_e32 v34, v37, v34
	v_mul_f32_e32 v37, v36, v34
	v_fma_f32 v41, -v1, v37, v36
	v_fmac_f32_e32 v37, v41, v34
	v_fma_f32 v1, -v1, v37, v36
	v_div_fmas_f32 v1, v1, v34, v37
	v_div_fixup_f32 v34, v1, v40, v35
	v_fmac_f32_e32 v40, v35, v34
	v_div_scale_f32 v1, s[12:13], v40, v40, -1.0
	v_rcp_f32_e32 v35, v1
	v_fma_f32 v36, -v1, v35, 1.0
	v_fmac_f32_e32 v35, v36, v35
	v_div_scale_f32 v36, vcc, -1.0, v40, -1.0
	v_mul_f32_e32 v37, v36, v35
	v_fma_f32 v41, -v1, v37, v36
	v_fmac_f32_e32 v37, v41, v35
	v_fma_f32 v1, -v1, v37, v36
	v_div_fmas_f32 v1, v1, v35, v37
	v_div_fixup_f32 v1, v1, v40, -1.0
	v_mul_f32_e32 v34, v34, v1
	v_xor_b32_e32 v36, 0x80000000, v34
                                        ; implicit-def: $vgpr35
                                        ; implicit-def: $vgpr40
.LBB79_15:
	s_andn2_saveexec_b64 s[6:7], s[6:7]
	s_cbranch_execz .LBB79_17
; %bb.16:
	v_div_scale_f32 v1, s[12:13], v35, v35, v40
	v_rcp_f32_e32 v34, v1
	v_div_scale_f32 v36, vcc, v40, v35, v40
	v_fma_f32 v37, -v1, v34, 1.0
	v_fmac_f32_e32 v34, v37, v34
	v_mul_f32_e32 v37, v36, v34
	v_fma_f32 v41, -v1, v37, v36
	v_fmac_f32_e32 v37, v41, v34
	v_fma_f32 v1, -v1, v37, v36
	v_div_fmas_f32 v1, v1, v34, v37
	v_div_fixup_f32 v1, v1, v35, v40
	v_fmac_f32_e32 v35, v40, v1
	v_div_scale_f32 v34, s[12:13], v35, v35, 1.0
	v_rcp_f32_e32 v36, v34
	v_fma_f32 v37, -v34, v36, 1.0
	v_fmac_f32_e32 v36, v37, v36
	v_div_scale_f32 v37, vcc, 1.0, v35, 1.0
	v_mul_f32_e32 v40, v37, v36
	v_fma_f32 v41, -v34, v40, v37
	v_fmac_f32_e32 v40, v41, v36
	v_fma_f32 v34, -v34, v40, v37
	v_div_fmas_f32 v34, v34, v36, v40
	v_div_fixup_f32 v36, v34, v35, 1.0
	v_xor_b32_e32 v34, 0x80000000, v36
	v_mul_f32_e64 v1, v1, -v36
.LBB79_17:
	s_or_b64 exec, exec, s[6:7]
	buffer_store_dword v1, v39, s[0:3], 0 offen offset:4
	buffer_store_dword v36, v39, s[0:3], 0 offen
	buffer_load_dword v37, off, s[0:3], 0 offset:12
	s_nop 0
	buffer_load_dword v36, off, s[0:3], 0 offset:8
	v_xor_b32_e32 v35, 0x80000000, v1
	v_add_u32_e32 v1, 0x80, v38
	s_waitcnt vmcnt(0)
	ds_write2_b64 v38, v[34:35], v[36:37] offset1:16
	s_waitcnt lgkmcnt(0)
	; wave barrier
	s_waitcnt lgkmcnt(0)
	s_and_saveexec_b64 s[6:7], s[4:5]
	s_cbranch_execz .LBB79_19
; %bb.18:
	buffer_load_dword v40, v39, s[0:3], 0 offen offset:4
	buffer_load_dword v41, v39, s[0:3], 0 offen
	ds_read_b64 v[34:35], v1
	v_mov_b32_e32 v36, 0
	ds_read_b64 v[36:37], v36 offset:8
	s_waitcnt vmcnt(1) lgkmcnt(1)
	v_mul_f32_e32 v42, v35, v40
	v_mul_f32_e32 v40, v34, v40
	s_waitcnt vmcnt(0)
	v_fmac_f32_e32 v40, v35, v41
	v_fma_f32 v34, v34, v41, -v42
	v_add_f32_e32 v35, 0, v40
	v_add_f32_e32 v34, 0, v34
	s_waitcnt lgkmcnt(0)
	v_mul_f32_e32 v40, v35, v37
	v_mul_f32_e32 v37, v34, v37
	v_fma_f32 v34, v34, v36, -v40
	v_fmac_f32_e32 v37, v35, v36
	buffer_store_dword v34, off, s[0:3], 0 offset:8
	buffer_store_dword v37, off, s[0:3], 0 offset:12
.LBB79_19:
	s_or_b64 exec, exec, s[6:7]
	s_waitcnt lgkmcnt(0)
	; wave barrier
	buffer_load_dword v34, off, s[0:3], 0 offset:16
	buffer_load_dword v35, off, s[0:3], 0 offset:20
	v_cmp_gt_u32_e32 vcc, 2, v0
	s_waitcnt vmcnt(0)
	ds_write_b64 v1, v[34:35]
	s_waitcnt lgkmcnt(0)
	; wave barrier
	s_waitcnt lgkmcnt(0)
	s_and_saveexec_b64 s[6:7], vcc
	s_cbranch_execz .LBB79_23
; %bb.20:
	buffer_load_dword v36, v39, s[0:3], 0 offen offset:4
	buffer_load_dword v37, v39, s[0:3], 0 offen
	ds_read_b64 v[34:35], v1
	s_waitcnt vmcnt(1) lgkmcnt(0)
	v_mul_f32_e32 v39, v35, v36
	v_mul_f32_e32 v36, v34, v36
	s_waitcnt vmcnt(0)
	v_fma_f32 v34, v34, v37, -v39
	v_fmac_f32_e32 v36, v35, v37
	v_add_f32_e32 v35, 0, v34
	v_add_f32_e32 v34, 0, v36
	s_and_saveexec_b64 s[12:13], s[4:5]
	s_cbranch_execz .LBB79_22
; %bb.21:
	buffer_load_dword v39, off, s[0:3], 0 offset:12
	buffer_load_dword v40, off, s[0:3], 0 offset:8
	v_mov_b32_e32 v36, 0
	ds_read_b64 v[36:37], v36 offset:136
	s_waitcnt vmcnt(1) lgkmcnt(0)
	v_mul_f32_e32 v41, v36, v39
	v_mul_f32_e32 v39, v37, v39
	s_waitcnt vmcnt(0)
	v_fmac_f32_e32 v41, v37, v40
	v_fma_f32 v36, v36, v40, -v39
	v_add_f32_e32 v34, v34, v41
	v_add_f32_e32 v35, v35, v36
.LBB79_22:
	s_or_b64 exec, exec, s[12:13]
	v_mov_b32_e32 v36, 0
	ds_read_b64 v[36:37], v36 offset:16
	s_waitcnt lgkmcnt(0)
	v_mul_f32_e32 v39, v34, v37
	v_mul_f32_e32 v37, v35, v37
	v_fma_f32 v35, v35, v36, -v39
	v_fmac_f32_e32 v37, v34, v36
	buffer_store_dword v35, off, s[0:3], 0 offset:16
	buffer_store_dword v37, off, s[0:3], 0 offset:20
.LBB79_23:
	s_or_b64 exec, exec, s[6:7]
	s_waitcnt lgkmcnt(0)
	; wave barrier
	buffer_load_dword v34, off, s[0:3], 0 offset:24
	buffer_load_dword v35, off, s[0:3], 0 offset:28
	v_cmp_gt_u32_e32 vcc, 3, v0
	s_waitcnt vmcnt(0)
	ds_write_b64 v1, v[34:35]
	v_add_u32_e32 v34, -1, v0
	s_waitcnt lgkmcnt(0)
	; wave barrier
	s_waitcnt lgkmcnt(0)
	s_and_saveexec_b64 s[4:5], vcc
	s_cbranch_execz .LBB79_27
; %bb.24:
	v_add_u32_e32 v36, -1, v0
	v_add_u32_e32 v37, 0x80, v38
	v_add_u32_e32 v39, 0, v38
	s_mov_b64 s[6:7], 0
	v_mov_b32_e32 v35, 0
	v_mov_b32_e32 v40, 0
.LBB79_25:                              ; =>This Inner Loop Header: Depth=1
	buffer_load_dword v41, v39, s[0:3], 0 offen offset:4
	buffer_load_dword v44, v39, s[0:3], 0 offen
	ds_read_b64 v[42:43], v37
	v_add_u32_e32 v36, 1, v36
	v_cmp_lt_u32_e32 vcc, 1, v36
	v_add_u32_e32 v37, 8, v37
	v_add_u32_e32 v39, 8, v39
	s_or_b64 s[6:7], vcc, s[6:7]
	s_waitcnt vmcnt(1) lgkmcnt(0)
	v_mul_f32_e32 v45, v43, v41
	v_mul_f32_e32 v41, v42, v41
	s_waitcnt vmcnt(0)
	v_fma_f32 v42, v42, v44, -v45
	v_fmac_f32_e32 v41, v43, v44
	v_add_f32_e32 v40, v40, v42
	v_add_f32_e32 v35, v35, v41
	s_andn2_b64 exec, exec, s[6:7]
	s_cbranch_execnz .LBB79_25
; %bb.26:
	s_or_b64 exec, exec, s[6:7]
	v_mov_b32_e32 v36, 0
	ds_read_b64 v[36:37], v36 offset:24
	s_waitcnt lgkmcnt(0)
	v_mul_f32_e32 v39, v35, v37
	v_mul_f32_e32 v37, v40, v37
	v_fma_f32 v39, v40, v36, -v39
	v_fmac_f32_e32 v37, v35, v36
	buffer_store_dword v39, off, s[0:3], 0 offset:24
	buffer_store_dword v37, off, s[0:3], 0 offset:28
.LBB79_27:
	s_or_b64 exec, exec, s[4:5]
	s_waitcnt lgkmcnt(0)
	; wave barrier
	buffer_load_dword v36, off, s[0:3], 0 offset:32
	buffer_load_dword v37, off, s[0:3], 0 offset:36
	v_cmp_gt_u32_e32 vcc, 4, v0
	s_waitcnt vmcnt(0)
	ds_write_b64 v1, v[36:37]
	s_waitcnt lgkmcnt(0)
	; wave barrier
	s_waitcnt lgkmcnt(0)
	s_and_saveexec_b64 s[4:5], vcc
	s_cbranch_execz .LBB79_31
; %bb.28:
	v_add_u32_e32 v36, -1, v0
	v_add_u32_e32 v37, 0x80, v38
	v_add_u32_e32 v39, 0, v38
	s_mov_b64 s[6:7], 0
	v_mov_b32_e32 v35, 0
	v_mov_b32_e32 v40, 0
.LBB79_29:                              ; =>This Inner Loop Header: Depth=1
	buffer_load_dword v41, v39, s[0:3], 0 offen offset:4
	buffer_load_dword v44, v39, s[0:3], 0 offen
	ds_read_b64 v[42:43], v37
	v_add_u32_e32 v36, 1, v36
	v_cmp_lt_u32_e32 vcc, 2, v36
	v_add_u32_e32 v37, 8, v37
	v_add_u32_e32 v39, 8, v39
	s_or_b64 s[6:7], vcc, s[6:7]
	s_waitcnt vmcnt(1) lgkmcnt(0)
	v_mul_f32_e32 v45, v43, v41
	v_mul_f32_e32 v41, v42, v41
	s_waitcnt vmcnt(0)
	v_fma_f32 v42, v42, v44, -v45
	v_fmac_f32_e32 v41, v43, v44
	v_add_f32_e32 v40, v40, v42
	v_add_f32_e32 v35, v35, v41
	s_andn2_b64 exec, exec, s[6:7]
	s_cbranch_execnz .LBB79_29
; %bb.30:
	s_or_b64 exec, exec, s[6:7]
	v_mov_b32_e32 v36, 0
	ds_read_b64 v[36:37], v36 offset:32
	s_waitcnt lgkmcnt(0)
	v_mul_f32_e32 v39, v35, v37
	v_mul_f32_e32 v37, v40, v37
	v_fma_f32 v39, v40, v36, -v39
	v_fmac_f32_e32 v37, v35, v36
	buffer_store_dword v39, off, s[0:3], 0 offset:32
	buffer_store_dword v37, off, s[0:3], 0 offset:36
.LBB79_31:
	s_or_b64 exec, exec, s[4:5]
	s_waitcnt lgkmcnt(0)
	; wave barrier
	buffer_load_dword v36, off, s[0:3], 0 offset:40
	buffer_load_dword v37, off, s[0:3], 0 offset:44
	v_cmp_gt_u32_e32 vcc, 5, v0
	s_waitcnt vmcnt(0)
	ds_write_b64 v1, v[36:37]
	;; [unrolled: 51-line block ×11, first 2 shown]
	s_waitcnt lgkmcnt(0)
	; wave barrier
	s_waitcnt lgkmcnt(0)
	s_and_saveexec_b64 s[4:5], vcc
	s_cbranch_execz .LBB79_71
; %bb.68:
	v_add_u32_e32 v36, -1, v0
	v_add_u32_e32 v37, 0x80, v38
	v_add_u32_e32 v39, 0, v38
	s_mov_b64 s[6:7], 0
	v_mov_b32_e32 v35, 0
	v_mov_b32_e32 v40, 0
.LBB79_69:                              ; =>This Inner Loop Header: Depth=1
	buffer_load_dword v41, v39, s[0:3], 0 offen offset:4
	buffer_load_dword v44, v39, s[0:3], 0 offen
	ds_read_b64 v[42:43], v37
	v_add_u32_e32 v36, 1, v36
	v_cmp_lt_u32_e32 vcc, 12, v36
	v_add_u32_e32 v37, 8, v37
	v_add_u32_e32 v39, 8, v39
	s_or_b64 s[6:7], vcc, s[6:7]
	s_waitcnt vmcnt(1) lgkmcnt(0)
	v_mul_f32_e32 v45, v43, v41
	v_mul_f32_e32 v41, v42, v41
	s_waitcnt vmcnt(0)
	v_fma_f32 v42, v42, v44, -v45
	v_fmac_f32_e32 v41, v43, v44
	v_add_f32_e32 v40, v40, v42
	v_add_f32_e32 v35, v35, v41
	s_andn2_b64 exec, exec, s[6:7]
	s_cbranch_execnz .LBB79_69
; %bb.70:
	s_or_b64 exec, exec, s[6:7]
	v_mov_b32_e32 v36, 0
	ds_read_b64 v[36:37], v36 offset:112
	s_waitcnt lgkmcnt(0)
	v_mul_f32_e32 v39, v35, v37
	v_mul_f32_e32 v37, v40, v37
	v_fma_f32 v39, v40, v36, -v39
	v_fmac_f32_e32 v37, v35, v36
	buffer_store_dword v39, off, s[0:3], 0 offset:112
	buffer_store_dword v37, off, s[0:3], 0 offset:116
.LBB79_71:
	s_or_b64 exec, exec, s[4:5]
	s_waitcnt lgkmcnt(0)
	; wave barrier
	buffer_load_dword v36, off, s[0:3], 0 offset:120
	buffer_load_dword v37, off, s[0:3], 0 offset:124
	v_cmp_ne_u32_e32 vcc, 15, v0
	s_waitcnt vmcnt(0)
	ds_write_b64 v1, v[36:37]
	s_waitcnt lgkmcnt(0)
	; wave barrier
	s_waitcnt lgkmcnt(0)
	s_and_saveexec_b64 s[4:5], vcc
	s_cbranch_execz .LBB79_75
; %bb.72:
	v_add_u32_e32 v35, 0x80, v38
	v_add_u32_e32 v36, 0, v38
	s_mov_b64 s[6:7], 0
	v_mov_b32_e32 v1, 0
	v_mov_b32_e32 v37, 0
.LBB79_73:                              ; =>This Inner Loop Header: Depth=1
	buffer_load_dword v40, v36, s[0:3], 0 offen offset:4
	buffer_load_dword v41, v36, s[0:3], 0 offen
	ds_read_b64 v[38:39], v35
	v_add_u32_e32 v34, 1, v34
	v_cmp_lt_u32_e32 vcc, 13, v34
	v_add_u32_e32 v35, 8, v35
	v_add_u32_e32 v36, 8, v36
	s_or_b64 s[6:7], vcc, s[6:7]
	s_waitcnt vmcnt(1) lgkmcnt(0)
	v_mul_f32_e32 v42, v39, v40
	v_mul_f32_e32 v40, v38, v40
	s_waitcnt vmcnt(0)
	v_fma_f32 v38, v38, v41, -v42
	v_fmac_f32_e32 v40, v39, v41
	v_add_f32_e32 v37, v37, v38
	v_add_f32_e32 v1, v1, v40
	s_andn2_b64 exec, exec, s[6:7]
	s_cbranch_execnz .LBB79_73
; %bb.74:
	s_or_b64 exec, exec, s[6:7]
	v_mov_b32_e32 v34, 0
	ds_read_b64 v[34:35], v34 offset:120
	s_waitcnt lgkmcnt(0)
	v_mul_f32_e32 v36, v1, v35
	v_mul_f32_e32 v35, v37, v35
	v_fma_f32 v36, v37, v34, -v36
	v_fmac_f32_e32 v35, v1, v34
	buffer_store_dword v36, off, s[0:3], 0 offset:120
	buffer_store_dword v35, off, s[0:3], 0 offset:124
.LBB79_75:
	s_or_b64 exec, exec, s[4:5]
	s_mov_b64 s[6:7], -1
	s_waitcnt lgkmcnt(0)
	; wave barrier
.LBB79_76:
	s_and_b64 vcc, exec, s[6:7]
	s_cbranch_vccz .LBB79_78
; %bb.77:
	s_lshl_b64 s[4:5], s[8:9], 2
	s_add_u32 s4, s14, s4
	s_addc_u32 s5, s15, s5
	v_mov_b32_e32 v1, 0
	global_load_dword v1, v1, s[4:5]
	s_waitcnt vmcnt(0)
	v_cmp_ne_u32_e32 vcc, 0, v1
	s_cbranch_vccz .LBB79_79
.LBB79_78:
	s_endpgm
.LBB79_79:
	v_mov_b32_e32 v1, 0x80
	v_lshl_add_u32 v1, v0, 3, v1
	v_cmp_eq_u32_e32 vcc, 15, v0
	s_and_saveexec_b64 s[4:5], vcc
	s_cbranch_execz .LBB79_81
; %bb.80:
	buffer_load_dword v34, off, s[0:3], 0 offset:112
	buffer_load_dword v35, off, s[0:3], 0 offset:116
	v_mov_b32_e32 v36, 0
	buffer_store_dword v36, off, s[0:3], 0 offset:112
	buffer_store_dword v36, off, s[0:3], 0 offset:116
	s_waitcnt vmcnt(2)
	ds_write_b64 v1, v[34:35]
.LBB79_81:
	s_or_b64 exec, exec, s[4:5]
	s_waitcnt lgkmcnt(0)
	; wave barrier
	s_waitcnt lgkmcnt(0)
	buffer_load_dword v37, off, s[0:3], 0 offset:124
	buffer_load_dword v36, off, s[0:3], 0 offset:120
	;; [unrolled: 1-line block ×4, first 2 shown]
	v_mov_b32_e32 v34, 0
	ds_read_b64 v[40:41], v34 offset:248
	v_cmp_lt_u32_e32 vcc, 13, v0
	s_waitcnt vmcnt(3)
	v_mov_b32_e32 v42, v37
	s_waitcnt lgkmcnt(0)
	v_pk_mul_f32 v[42:43], v[40:41], v[42:43] op_sel_hi:[1,0]
	s_waitcnt vmcnt(2)
	v_pk_fma_f32 v[44:45], v[40:41], v[36:37], v[42:43] op_sel:[0,0,1] op_sel_hi:[1,1,0] neg_lo:[0,0,1] neg_hi:[0,0,1]
	v_pk_fma_f32 v[36:37], v[40:41], v[36:37], v[42:43] op_sel:[0,0,1] op_sel_hi:[1,0,0]
	v_mov_b32_e32 v45, v37
	v_pk_add_f32 v[36:37], v[44:45], 0 op_sel_hi:[1,0]
	s_waitcnt vmcnt(0)
	v_pk_add_f32 v[36:37], v[38:39], v[36:37] neg_lo:[0,1] neg_hi:[0,1]
	buffer_store_dword v36, off, s[0:3], 0 offset:112
	buffer_store_dword v37, off, s[0:3], 0 offset:116
	s_and_saveexec_b64 s[4:5], vcc
	s_cbranch_execz .LBB79_83
; %bb.82:
	buffer_load_dword v36, off, s[0:3], 0 offset:104
	buffer_load_dword v37, off, s[0:3], 0 offset:108
	s_waitcnt vmcnt(0)
	ds_write_b64 v1, v[36:37]
	buffer_store_dword v34, off, s[0:3], 0 offset:104
	buffer_store_dword v34, off, s[0:3], 0 offset:108
.LBB79_83:
	s_or_b64 exec, exec, s[4:5]
	s_waitcnt lgkmcnt(0)
	; wave barrier
	s_waitcnt lgkmcnt(0)
	buffer_load_dword v39, off, s[0:3], 0 offset:116
	buffer_load_dword v41, off, s[0:3], 0 offset:124
	buffer_load_dword v38, off, s[0:3], 0 offset:112
	buffer_load_dword v40, off, s[0:3], 0 offset:120
	buffer_load_dword v42, off, s[0:3], 0 offset:104
	buffer_load_dword v43, off, s[0:3], 0 offset:108
	ds_read_b128 v[34:37], v34 offset:240
	v_cmp_lt_u32_e32 vcc, 12, v0
	s_waitcnt vmcnt(5)
	v_mov_b32_e32 v44, v39
	s_waitcnt vmcnt(4)
	v_mov_b32_e32 v46, v41
	s_waitcnt lgkmcnt(0)
	v_pk_mul_f32 v[44:45], v[34:35], v[44:45] op_sel_hi:[1,0]
	v_pk_mul_f32 v[46:47], v[36:37], v[46:47] op_sel_hi:[1,0]
	s_waitcnt vmcnt(3)
	v_pk_fma_f32 v[48:49], v[34:35], v[38:39], v[44:45] op_sel:[0,0,1] op_sel_hi:[1,1,0] neg_lo:[0,0,1] neg_hi:[0,0,1]
	v_pk_fma_f32 v[34:35], v[34:35], v[38:39], v[44:45] op_sel:[0,0,1] op_sel_hi:[1,0,0]
	s_waitcnt vmcnt(2)
	v_pk_fma_f32 v[38:39], v[36:37], v[40:41], v[46:47] op_sel:[0,0,1] op_sel_hi:[1,1,0] neg_lo:[0,0,1] neg_hi:[0,0,1]
	v_pk_fma_f32 v[36:37], v[36:37], v[40:41], v[46:47] op_sel:[0,0,1] op_sel_hi:[1,0,0]
	v_mov_b32_e32 v49, v35
	v_mov_b32_e32 v39, v37
	v_pk_add_f32 v[34:35], v[48:49], 0 op_sel_hi:[1,0]
	v_pk_add_f32 v[34:35], v[34:35], v[38:39]
	s_waitcnt vmcnt(0)
	v_pk_add_f32 v[34:35], v[42:43], v[34:35] neg_lo:[0,1] neg_hi:[0,1]
	buffer_store_dword v34, off, s[0:3], 0 offset:104
	buffer_store_dword v35, off, s[0:3], 0 offset:108
	s_and_saveexec_b64 s[4:5], vcc
	s_cbranch_execz .LBB79_85
; %bb.84:
	buffer_load_dword v34, off, s[0:3], 0 offset:96
	buffer_load_dword v35, off, s[0:3], 0 offset:100
	v_mov_b32_e32 v36, 0
	buffer_store_dword v36, off, s[0:3], 0 offset:96
	buffer_store_dword v36, off, s[0:3], 0 offset:100
	s_waitcnt vmcnt(2)
	ds_write_b64 v1, v[34:35]
.LBB79_85:
	s_or_b64 exec, exec, s[4:5]
	s_waitcnt lgkmcnt(0)
	; wave barrier
	s_waitcnt lgkmcnt(0)
	buffer_load_dword v41, off, s[0:3], 0 offset:108
	buffer_load_dword v43, off, s[0:3], 0 offset:116
	;; [unrolled: 1-line block ×8, first 2 shown]
	v_mov_b32_e32 v34, 0
	ds_read2_b64 v[36:39], v34 offset0:29 offset1:30
	ds_read_b64 v[48:49], v34 offset:248
	v_cmp_lt_u32_e32 vcc, 11, v0
	s_waitcnt vmcnt(7)
	v_mov_b32_e32 v50, v41
	s_waitcnt vmcnt(6)
	v_mov_b32_e32 v52, v43
	s_waitcnt lgkmcnt(1)
	v_pk_mul_f32 v[50:51], v[36:37], v[50:51] op_sel_hi:[1,0]
	s_waitcnt vmcnt(5)
	v_mov_b32_e32 v54, v45
	v_pk_mul_f32 v[52:53], v[38:39], v[52:53] op_sel_hi:[1,0]
	s_waitcnt vmcnt(4)
	v_pk_fma_f32 v[56:57], v[36:37], v[40:41], v[50:51] op_sel:[0,0,1] op_sel_hi:[1,1,0] neg_lo:[0,0,1] neg_hi:[0,0,1]
	v_pk_fma_f32 v[36:37], v[36:37], v[40:41], v[50:51] op_sel:[0,0,1] op_sel_hi:[1,0,0]
	s_waitcnt lgkmcnt(0)
	v_pk_mul_f32 v[54:55], v[48:49], v[54:55] op_sel_hi:[1,0]
	s_waitcnt vmcnt(3)
	v_pk_fma_f32 v[40:41], v[38:39], v[42:43], v[52:53] op_sel:[0,0,1] op_sel_hi:[1,1,0] neg_lo:[0,0,1] neg_hi:[0,0,1]
	v_pk_fma_f32 v[38:39], v[38:39], v[42:43], v[52:53] op_sel:[0,0,1] op_sel_hi:[1,0,0]
	v_mov_b32_e32 v57, v37
	s_waitcnt vmcnt(2)
	v_pk_fma_f32 v[42:43], v[48:49], v[44:45], v[54:55] op_sel:[0,0,1] op_sel_hi:[1,1,0] neg_lo:[0,0,1] neg_hi:[0,0,1]
	v_pk_fma_f32 v[44:45], v[48:49], v[44:45], v[54:55] op_sel:[0,0,1] op_sel_hi:[1,0,0]
	v_mov_b32_e32 v41, v39
	v_pk_add_f32 v[36:37], v[56:57], 0 op_sel_hi:[1,0]
	v_mov_b32_e32 v43, v45
	v_pk_add_f32 v[36:37], v[36:37], v[40:41]
	v_pk_add_f32 v[36:37], v[36:37], v[42:43]
	s_waitcnt vmcnt(0)
	v_pk_add_f32 v[36:37], v[46:47], v[36:37] neg_lo:[0,1] neg_hi:[0,1]
	buffer_store_dword v36, off, s[0:3], 0 offset:96
	buffer_store_dword v37, off, s[0:3], 0 offset:100
	s_and_saveexec_b64 s[4:5], vcc
	s_cbranch_execz .LBB79_87
; %bb.86:
	buffer_load_dword v36, off, s[0:3], 0 offset:88
	buffer_load_dword v37, off, s[0:3], 0 offset:92
	s_waitcnt vmcnt(0)
	ds_write_b64 v1, v[36:37]
	buffer_store_dword v34, off, s[0:3], 0 offset:88
	buffer_store_dword v34, off, s[0:3], 0 offset:92
.LBB79_87:
	s_or_b64 exec, exec, s[4:5]
	s_waitcnt lgkmcnt(0)
	; wave barrier
	s_waitcnt lgkmcnt(0)
	buffer_load_dword v45, off, s[0:3], 0 offset:100
	buffer_load_dword v47, off, s[0:3], 0 offset:108
	buffer_load_dword v49, off, s[0:3], 0 offset:116
	buffer_load_dword v51, off, s[0:3], 0 offset:124
	buffer_load_dword v44, off, s[0:3], 0 offset:96
	buffer_load_dword v46, off, s[0:3], 0 offset:104
	buffer_load_dword v48, off, s[0:3], 0 offset:112
	buffer_load_dword v50, off, s[0:3], 0 offset:120
	buffer_load_dword v52, off, s[0:3], 0 offset:88
	buffer_load_dword v53, off, s[0:3], 0 offset:92
	ds_read_b128 v[36:39], v34 offset:224
	ds_read_b128 v[40:43], v34 offset:240
	v_cmp_lt_u32_e32 vcc, 10, v0
	s_waitcnt vmcnt(9)
	v_mov_b32_e32 v34, v45
	s_waitcnt vmcnt(8)
	v_mov_b32_e32 v54, v47
	s_waitcnt lgkmcnt(1)
	v_pk_mul_f32 v[34:35], v[36:37], v[34:35] op_sel_hi:[1,0]
	s_waitcnt vmcnt(7)
	v_mov_b32_e32 v56, v49
	v_pk_mul_f32 v[54:55], v[38:39], v[54:55] op_sel_hi:[1,0]
	s_waitcnt vmcnt(5)
	v_pk_fma_f32 v[60:61], v[36:37], v[44:45], v[34:35] op_sel:[0,0,1] op_sel_hi:[1,1,0] neg_lo:[0,0,1] neg_hi:[0,0,1]
	v_pk_fma_f32 v[34:35], v[36:37], v[44:45], v[34:35] op_sel:[0,0,1] op_sel_hi:[1,0,0]
	v_mov_b32_e32 v58, v51
	s_waitcnt lgkmcnt(0)
	v_pk_mul_f32 v[56:57], v[40:41], v[56:57] op_sel_hi:[1,0]
	s_waitcnt vmcnt(4)
	v_pk_fma_f32 v[36:37], v[38:39], v[46:47], v[54:55] op_sel:[0,0,1] op_sel_hi:[1,1,0] neg_lo:[0,0,1] neg_hi:[0,0,1]
	v_pk_fma_f32 v[38:39], v[38:39], v[46:47], v[54:55] op_sel:[0,0,1] op_sel_hi:[1,0,0]
	v_mov_b32_e32 v61, v35
	v_pk_mul_f32 v[58:59], v[42:43], v[58:59] op_sel_hi:[1,0]
	s_waitcnt vmcnt(3)
	v_pk_fma_f32 v[44:45], v[40:41], v[48:49], v[56:57] op_sel:[0,0,1] op_sel_hi:[1,1,0] neg_lo:[0,0,1] neg_hi:[0,0,1]
	v_pk_fma_f32 v[40:41], v[40:41], v[48:49], v[56:57] op_sel:[0,0,1] op_sel_hi:[1,0,0]
	v_mov_b32_e32 v37, v39
	v_pk_add_f32 v[34:35], v[60:61], 0 op_sel_hi:[1,0]
	s_waitcnt vmcnt(2)
	v_pk_fma_f32 v[46:47], v[42:43], v[50:51], v[58:59] op_sel:[0,0,1] op_sel_hi:[1,1,0] neg_lo:[0,0,1] neg_hi:[0,0,1]
	v_pk_fma_f32 v[42:43], v[42:43], v[50:51], v[58:59] op_sel:[0,0,1] op_sel_hi:[1,0,0]
	v_mov_b32_e32 v45, v41
	v_pk_add_f32 v[34:35], v[34:35], v[36:37]
	v_mov_b32_e32 v47, v43
	v_pk_add_f32 v[34:35], v[34:35], v[44:45]
	v_pk_add_f32 v[34:35], v[34:35], v[46:47]
	s_waitcnt vmcnt(0)
	v_pk_add_f32 v[34:35], v[52:53], v[34:35] neg_lo:[0,1] neg_hi:[0,1]
	buffer_store_dword v34, off, s[0:3], 0 offset:88
	buffer_store_dword v35, off, s[0:3], 0 offset:92
	s_and_saveexec_b64 s[4:5], vcc
	s_cbranch_execz .LBB79_89
; %bb.88:
	buffer_load_dword v34, off, s[0:3], 0 offset:80
	buffer_load_dword v35, off, s[0:3], 0 offset:84
	v_mov_b32_e32 v36, 0
	buffer_store_dword v36, off, s[0:3], 0 offset:80
	buffer_store_dword v36, off, s[0:3], 0 offset:84
	s_waitcnt vmcnt(2)
	ds_write_b64 v1, v[34:35]
.LBB79_89:
	s_or_b64 exec, exec, s[4:5]
	s_waitcnt lgkmcnt(0)
	; wave barrier
	s_waitcnt lgkmcnt(0)
	buffer_load_dword v45, off, s[0:3], 0 offset:92
	buffer_load_dword v47, off, s[0:3], 0 offset:100
	;; [unrolled: 1-line block ×12, first 2 shown]
	v_mov_b32_e32 v34, 0
	ds_read2_b64 v[36:39], v34 offset0:27 offset1:28
	ds_read2_b64 v[40:43], v34 offset0:29 offset1:30
	ds_read_b64 v[56:57], v34 offset:248
	v_cmp_lt_u32_e32 vcc, 9, v0
	s_waitcnt vmcnt(11)
	v_mov_b32_e32 v58, v45
	s_waitcnt vmcnt(10)
	v_mov_b32_e32 v60, v47
	s_waitcnt lgkmcnt(2)
	v_pk_mul_f32 v[58:59], v[36:37], v[58:59] op_sel_hi:[1,0]
	s_waitcnt vmcnt(9)
	v_mov_b32_e32 v62, v49
	v_pk_mul_f32 v[60:61], v[38:39], v[60:61] op_sel_hi:[1,0]
	s_waitcnt vmcnt(6)
	v_pk_fma_f32 v[68:69], v[36:37], v[44:45], v[58:59] op_sel:[0,0,1] op_sel_hi:[1,1,0] neg_lo:[0,0,1] neg_hi:[0,0,1]
	v_pk_fma_f32 v[36:37], v[36:37], v[44:45], v[58:59] op_sel:[0,0,1] op_sel_hi:[1,0,0]
	v_mov_b32_e32 v64, v51
	s_waitcnt lgkmcnt(1)
	v_pk_mul_f32 v[62:63], v[40:41], v[62:63] op_sel_hi:[1,0]
	s_waitcnt vmcnt(5)
	v_pk_fma_f32 v[44:45], v[38:39], v[46:47], v[60:61] op_sel:[0,0,1] op_sel_hi:[1,1,0] neg_lo:[0,0,1] neg_hi:[0,0,1]
	v_pk_fma_f32 v[38:39], v[38:39], v[46:47], v[60:61] op_sel:[0,0,1] op_sel_hi:[1,0,0]
	v_mov_b32_e32 v69, v37
	v_mov_b32_e32 v66, v53
	v_pk_mul_f32 v[64:65], v[42:43], v[64:65] op_sel_hi:[1,0]
	s_waitcnt vmcnt(4)
	v_pk_fma_f32 v[46:47], v[40:41], v[48:49], v[62:63] op_sel:[0,0,1] op_sel_hi:[1,1,0] neg_lo:[0,0,1] neg_hi:[0,0,1]
	v_pk_fma_f32 v[40:41], v[40:41], v[48:49], v[62:63] op_sel:[0,0,1] op_sel_hi:[1,0,0]
	v_mov_b32_e32 v45, v39
	v_pk_add_f32 v[36:37], v[68:69], 0 op_sel_hi:[1,0]
	s_waitcnt lgkmcnt(0)
	v_pk_mul_f32 v[66:67], v[56:57], v[66:67] op_sel_hi:[1,0]
	s_waitcnt vmcnt(3)
	v_pk_fma_f32 v[48:49], v[42:43], v[50:51], v[64:65] op_sel:[0,0,1] op_sel_hi:[1,1,0] neg_lo:[0,0,1] neg_hi:[0,0,1]
	v_pk_fma_f32 v[42:43], v[42:43], v[50:51], v[64:65] op_sel:[0,0,1] op_sel_hi:[1,0,0]
	v_mov_b32_e32 v47, v41
	v_pk_add_f32 v[36:37], v[36:37], v[44:45]
	s_waitcnt vmcnt(2)
	v_pk_fma_f32 v[50:51], v[56:57], v[52:53], v[66:67] op_sel:[0,0,1] op_sel_hi:[1,1,0] neg_lo:[0,0,1] neg_hi:[0,0,1]
	v_pk_fma_f32 v[52:53], v[56:57], v[52:53], v[66:67] op_sel:[0,0,1] op_sel_hi:[1,0,0]
	v_mov_b32_e32 v49, v43
	v_pk_add_f32 v[36:37], v[36:37], v[46:47]
	v_mov_b32_e32 v51, v53
	v_pk_add_f32 v[36:37], v[36:37], v[48:49]
	v_pk_add_f32 v[36:37], v[36:37], v[50:51]
	s_waitcnt vmcnt(0)
	v_pk_add_f32 v[36:37], v[54:55], v[36:37] neg_lo:[0,1] neg_hi:[0,1]
	buffer_store_dword v36, off, s[0:3], 0 offset:80
	buffer_store_dword v37, off, s[0:3], 0 offset:84
	s_and_saveexec_b64 s[4:5], vcc
	s_cbranch_execz .LBB79_91
; %bb.90:
	buffer_load_dword v36, off, s[0:3], 0 offset:72
	buffer_load_dword v37, off, s[0:3], 0 offset:76
	s_waitcnt vmcnt(0)
	ds_write_b64 v1, v[36:37]
	buffer_store_dword v34, off, s[0:3], 0 offset:72
	buffer_store_dword v34, off, s[0:3], 0 offset:76
.LBB79_91:
	s_or_b64 exec, exec, s[4:5]
	s_waitcnt lgkmcnt(0)
	; wave barrier
	s_waitcnt lgkmcnt(0)
	buffer_load_dword v49, off, s[0:3], 0 offset:84
	buffer_load_dword v51, off, s[0:3], 0 offset:92
	;; [unrolled: 1-line block ×14, first 2 shown]
	ds_read_b128 v[36:39], v34 offset:208
	ds_read_b128 v[40:43], v34 offset:224
	;; [unrolled: 1-line block ×3, first 2 shown]
	v_cmp_lt_u32_e32 vcc, 8, v0
	s_waitcnt vmcnt(13)
	v_mov_b32_e32 v34, v49
	s_waitcnt vmcnt(12)
	v_mov_b32_e32 v62, v51
	s_waitcnt lgkmcnt(2)
	v_pk_mul_f32 v[34:35], v[36:37], v[34:35] op_sel_hi:[1,0]
	s_waitcnt vmcnt(11)
	v_mov_b32_e32 v64, v53
	v_pk_mul_f32 v[62:63], v[38:39], v[62:63] op_sel_hi:[1,0]
	s_waitcnt vmcnt(10)
	v_mov_b32_e32 v66, v55
	s_waitcnt vmcnt(7)
	v_pk_fma_f32 v[72:73], v[36:37], v[48:49], v[34:35] op_sel:[0,0,1] op_sel_hi:[1,1,0] neg_lo:[0,0,1] neg_hi:[0,0,1]
	v_pk_fma_f32 v[34:35], v[36:37], v[48:49], v[34:35] op_sel:[0,0,1] op_sel_hi:[1,0,0]
	s_waitcnt lgkmcnt(1)
	v_pk_mul_f32 v[64:65], v[40:41], v[64:65] op_sel_hi:[1,0]
	s_waitcnt vmcnt(6)
	v_pk_fma_f32 v[36:37], v[38:39], v[50:51], v[62:63] op_sel:[0,0,1] op_sel_hi:[1,1,0] neg_lo:[0,0,1] neg_hi:[0,0,1]
	v_pk_fma_f32 v[38:39], v[38:39], v[50:51], v[62:63] op_sel:[0,0,1] op_sel_hi:[1,0,0]
	v_mov_b32_e32 v73, v35
	v_mov_b32_e32 v68, v57
	v_pk_mul_f32 v[66:67], v[42:43], v[66:67] op_sel_hi:[1,0]
	s_waitcnt vmcnt(5)
	v_pk_fma_f32 v[48:49], v[40:41], v[52:53], v[64:65] op_sel:[0,0,1] op_sel_hi:[1,1,0] neg_lo:[0,0,1] neg_hi:[0,0,1]
	v_pk_fma_f32 v[40:41], v[40:41], v[52:53], v[64:65] op_sel:[0,0,1] op_sel_hi:[1,0,0]
	v_mov_b32_e32 v37, v39
	v_pk_add_f32 v[34:35], v[72:73], 0 op_sel_hi:[1,0]
	v_mov_b32_e32 v70, v59
	s_waitcnt lgkmcnt(0)
	v_pk_mul_f32 v[68:69], v[44:45], v[68:69] op_sel_hi:[1,0]
	s_waitcnt vmcnt(4)
	v_pk_fma_f32 v[50:51], v[42:43], v[54:55], v[66:67] op_sel:[0,0,1] op_sel_hi:[1,1,0] neg_lo:[0,0,1] neg_hi:[0,0,1]
	v_pk_fma_f32 v[42:43], v[42:43], v[54:55], v[66:67] op_sel:[0,0,1] op_sel_hi:[1,0,0]
	v_mov_b32_e32 v49, v41
	v_pk_add_f32 v[34:35], v[34:35], v[36:37]
	v_pk_mul_f32 v[70:71], v[46:47], v[70:71] op_sel_hi:[1,0]
	s_waitcnt vmcnt(3)
	v_pk_fma_f32 v[52:53], v[44:45], v[56:57], v[68:69] op_sel:[0,0,1] op_sel_hi:[1,1,0] neg_lo:[0,0,1] neg_hi:[0,0,1]
	v_pk_fma_f32 v[44:45], v[44:45], v[56:57], v[68:69] op_sel:[0,0,1] op_sel_hi:[1,0,0]
	v_mov_b32_e32 v51, v43
	v_pk_add_f32 v[34:35], v[34:35], v[48:49]
	s_waitcnt vmcnt(2)
	v_pk_fma_f32 v[54:55], v[46:47], v[58:59], v[70:71] op_sel:[0,0,1] op_sel_hi:[1,1,0] neg_lo:[0,0,1] neg_hi:[0,0,1]
	v_pk_fma_f32 v[46:47], v[46:47], v[58:59], v[70:71] op_sel:[0,0,1] op_sel_hi:[1,0,0]
	v_mov_b32_e32 v53, v45
	v_pk_add_f32 v[34:35], v[34:35], v[50:51]
	v_mov_b32_e32 v55, v47
	v_pk_add_f32 v[34:35], v[34:35], v[52:53]
	v_pk_add_f32 v[34:35], v[34:35], v[54:55]
	s_waitcnt vmcnt(0)
	v_pk_add_f32 v[34:35], v[60:61], v[34:35] neg_lo:[0,1] neg_hi:[0,1]
	buffer_store_dword v34, off, s[0:3], 0 offset:72
	buffer_store_dword v35, off, s[0:3], 0 offset:76
	s_and_saveexec_b64 s[4:5], vcc
	s_cbranch_execz .LBB79_93
; %bb.92:
	buffer_load_dword v34, off, s[0:3], 0 offset:64
	buffer_load_dword v35, off, s[0:3], 0 offset:68
	v_mov_b32_e32 v36, 0
	buffer_store_dword v36, off, s[0:3], 0 offset:64
	buffer_store_dword v36, off, s[0:3], 0 offset:68
	s_waitcnt vmcnt(2)
	ds_write_b64 v1, v[34:35]
.LBB79_93:
	s_or_b64 exec, exec, s[4:5]
	s_waitcnt lgkmcnt(0)
	; wave barrier
	s_waitcnt lgkmcnt(0)
	buffer_load_dword v49, off, s[0:3], 0 offset:76
	buffer_load_dword v51, off, s[0:3], 0 offset:84
	;; [unrolled: 1-line block ×16, first 2 shown]
	v_mov_b32_e32 v34, 0
	ds_read2_b64 v[36:39], v34 offset0:25 offset1:26
	ds_read2_b64 v[40:43], v34 offset0:27 offset1:28
	;; [unrolled: 1-line block ×3, first 2 shown]
	ds_read_b64 v[64:65], v34 offset:248
	v_cmp_lt_u32_e32 vcc, 7, v0
	s_waitcnt vmcnt(15)
	v_mov_b32_e32 v66, v49
	s_waitcnt vmcnt(14)
	v_mov_b32_e32 v68, v51
	s_waitcnt lgkmcnt(3)
	v_pk_mul_f32 v[66:67], v[36:37], v[66:67] op_sel_hi:[1,0]
	s_waitcnt vmcnt(13)
	v_mov_b32_e32 v70, v53
	v_pk_mul_f32 v[68:69], v[38:39], v[68:69] op_sel_hi:[1,0]
	s_waitcnt vmcnt(12)
	v_mov_b32_e32 v72, v55
	s_waitcnt lgkmcnt(2)
	v_pk_mul_f32 v[70:71], v[40:41], v[70:71] op_sel_hi:[1,0]
	s_waitcnt vmcnt(8)
	v_pk_fma_f32 v[80:81], v[36:37], v[48:49], v[66:67] op_sel:[0,0,1] op_sel_hi:[1,1,0] neg_lo:[0,0,1] neg_hi:[0,0,1]
	v_pk_fma_f32 v[36:37], v[36:37], v[48:49], v[66:67] op_sel:[0,0,1] op_sel_hi:[1,0,0]
	s_waitcnt vmcnt(7)
	v_pk_fma_f32 v[48:49], v[38:39], v[50:51], v[68:69] op_sel:[0,0,1] op_sel_hi:[1,1,0] neg_lo:[0,0,1] neg_hi:[0,0,1]
	v_pk_fma_f32 v[38:39], v[38:39], v[50:51], v[68:69] op_sel:[0,0,1] op_sel_hi:[1,0,0]
	v_mov_b32_e32 v81, v37
	v_mov_b32_e32 v74, v57
	v_pk_mul_f32 v[72:73], v[42:43], v[72:73] op_sel_hi:[1,0]
	s_waitcnt vmcnt(6)
	v_pk_fma_f32 v[50:51], v[40:41], v[52:53], v[70:71] op_sel:[0,0,1] op_sel_hi:[1,1,0] neg_lo:[0,0,1] neg_hi:[0,0,1]
	v_pk_fma_f32 v[40:41], v[40:41], v[52:53], v[70:71] op_sel:[0,0,1] op_sel_hi:[1,0,0]
	v_mov_b32_e32 v49, v39
	v_pk_add_f32 v[36:37], v[80:81], 0 op_sel_hi:[1,0]
	v_mov_b32_e32 v76, v59
	s_waitcnt lgkmcnt(1)
	v_pk_mul_f32 v[74:75], v[44:45], v[74:75] op_sel_hi:[1,0]
	s_waitcnt vmcnt(5)
	v_pk_fma_f32 v[52:53], v[42:43], v[54:55], v[72:73] op_sel:[0,0,1] op_sel_hi:[1,1,0] neg_lo:[0,0,1] neg_hi:[0,0,1]
	v_pk_fma_f32 v[42:43], v[42:43], v[54:55], v[72:73] op_sel:[0,0,1] op_sel_hi:[1,0,0]
	v_mov_b32_e32 v51, v41
	v_pk_add_f32 v[36:37], v[36:37], v[48:49]
	v_mov_b32_e32 v78, v61
	v_pk_mul_f32 v[76:77], v[46:47], v[76:77] op_sel_hi:[1,0]
	s_waitcnt vmcnt(4)
	v_pk_fma_f32 v[54:55], v[44:45], v[56:57], v[74:75] op_sel:[0,0,1] op_sel_hi:[1,1,0] neg_lo:[0,0,1] neg_hi:[0,0,1]
	v_pk_fma_f32 v[44:45], v[44:45], v[56:57], v[74:75] op_sel:[0,0,1] op_sel_hi:[1,0,0]
	v_mov_b32_e32 v53, v43
	v_pk_add_f32 v[36:37], v[36:37], v[50:51]
	s_waitcnt lgkmcnt(0)
	v_pk_mul_f32 v[78:79], v[64:65], v[78:79] op_sel_hi:[1,0]
	s_waitcnt vmcnt(3)
	v_pk_fma_f32 v[56:57], v[46:47], v[58:59], v[76:77] op_sel:[0,0,1] op_sel_hi:[1,1,0] neg_lo:[0,0,1] neg_hi:[0,0,1]
	v_pk_fma_f32 v[46:47], v[46:47], v[58:59], v[76:77] op_sel:[0,0,1] op_sel_hi:[1,0,0]
	v_mov_b32_e32 v55, v45
	v_pk_add_f32 v[36:37], v[36:37], v[52:53]
	s_waitcnt vmcnt(2)
	v_pk_fma_f32 v[58:59], v[64:65], v[60:61], v[78:79] op_sel:[0,0,1] op_sel_hi:[1,1,0] neg_lo:[0,0,1] neg_hi:[0,0,1]
	v_pk_fma_f32 v[60:61], v[64:65], v[60:61], v[78:79] op_sel:[0,0,1] op_sel_hi:[1,0,0]
	v_mov_b32_e32 v57, v47
	v_pk_add_f32 v[36:37], v[36:37], v[54:55]
	v_mov_b32_e32 v59, v61
	v_pk_add_f32 v[36:37], v[36:37], v[56:57]
	v_pk_add_f32 v[36:37], v[36:37], v[58:59]
	s_waitcnt vmcnt(0)
	v_pk_add_f32 v[36:37], v[62:63], v[36:37] neg_lo:[0,1] neg_hi:[0,1]
	buffer_store_dword v36, off, s[0:3], 0 offset:64
	buffer_store_dword v37, off, s[0:3], 0 offset:68
	s_and_saveexec_b64 s[4:5], vcc
	s_cbranch_execz .LBB79_95
; %bb.94:
	buffer_load_dword v36, off, s[0:3], 0 offset:56
	buffer_load_dword v37, off, s[0:3], 0 offset:60
	s_waitcnt vmcnt(0)
	ds_write_b64 v1, v[36:37]
	buffer_store_dword v34, off, s[0:3], 0 offset:56
	buffer_store_dword v34, off, s[0:3], 0 offset:60
.LBB79_95:
	s_or_b64 exec, exec, s[4:5]
	s_waitcnt lgkmcnt(0)
	; wave barrier
	s_waitcnt lgkmcnt(0)
	buffer_load_dword v53, off, s[0:3], 0 offset:68
	buffer_load_dword v55, off, s[0:3], 0 offset:76
	;; [unrolled: 1-line block ×18, first 2 shown]
	ds_read_b128 v[36:39], v34 offset:192
	ds_read_b128 v[40:43], v34 offset:208
	ds_read_b128 v[44:47], v34 offset:224
	ds_read_b128 v[48:51], v34 offset:240
	v_cmp_lt_u32_e32 vcc, 6, v0
	s_waitcnt vmcnt(17)
	v_mov_b32_e32 v34, v53
	s_waitcnt vmcnt(16)
	v_mov_b32_e32 v70, v55
	s_waitcnt lgkmcnt(3)
	v_pk_mul_f32 v[34:35], v[36:37], v[34:35] op_sel_hi:[1,0]
	s_waitcnt vmcnt(15)
	v_mov_b32_e32 v72, v57
	v_pk_mul_f32 v[70:71], v[38:39], v[70:71] op_sel_hi:[1,0]
	s_waitcnt vmcnt(14)
	v_mov_b32_e32 v74, v59
	s_waitcnt lgkmcnt(2)
	v_pk_mul_f32 v[72:73], v[40:41], v[72:73] op_sel_hi:[1,0]
	s_waitcnt vmcnt(13)
	v_mov_b32_e32 v76, v61
	s_waitcnt vmcnt(9)
	v_pk_fma_f32 v[84:85], v[36:37], v[52:53], v[34:35] op_sel:[0,0,1] op_sel_hi:[1,1,0] neg_lo:[0,0,1] neg_hi:[0,0,1]
	v_pk_fma_f32 v[34:35], v[36:37], v[52:53], v[34:35] op_sel:[0,0,1] op_sel_hi:[1,0,0]
	s_waitcnt vmcnt(8)
	v_pk_fma_f32 v[36:37], v[38:39], v[54:55], v[70:71] op_sel:[0,0,1] op_sel_hi:[1,1,0] neg_lo:[0,0,1] neg_hi:[0,0,1]
	v_pk_fma_f32 v[38:39], v[38:39], v[54:55], v[70:71] op_sel:[0,0,1] op_sel_hi:[1,0,0]
	v_mov_b32_e32 v85, v35
	v_pk_mul_f32 v[74:75], v[42:43], v[74:75] op_sel_hi:[1,0]
	s_waitcnt vmcnt(7)
	v_pk_fma_f32 v[52:53], v[40:41], v[56:57], v[72:73] op_sel:[0,0,1] op_sel_hi:[1,1,0] neg_lo:[0,0,1] neg_hi:[0,0,1]
	v_pk_fma_f32 v[40:41], v[40:41], v[56:57], v[72:73] op_sel:[0,0,1] op_sel_hi:[1,0,0]
	v_mov_b32_e32 v37, v39
	v_pk_add_f32 v[34:35], v[84:85], 0 op_sel_hi:[1,0]
	v_mov_b32_e32 v78, v63
	s_waitcnt lgkmcnt(1)
	v_pk_mul_f32 v[76:77], v[44:45], v[76:77] op_sel_hi:[1,0]
	s_waitcnt vmcnt(6)
	v_pk_fma_f32 v[54:55], v[42:43], v[58:59], v[74:75] op_sel:[0,0,1] op_sel_hi:[1,1,0] neg_lo:[0,0,1] neg_hi:[0,0,1]
	v_pk_fma_f32 v[42:43], v[42:43], v[58:59], v[74:75] op_sel:[0,0,1] op_sel_hi:[1,0,0]
	v_mov_b32_e32 v53, v41
	v_pk_add_f32 v[34:35], v[34:35], v[36:37]
	v_mov_b32_e32 v80, v65
	v_pk_mul_f32 v[78:79], v[46:47], v[78:79] op_sel_hi:[1,0]
	s_waitcnt vmcnt(5)
	v_pk_fma_f32 v[56:57], v[44:45], v[60:61], v[76:77] op_sel:[0,0,1] op_sel_hi:[1,1,0] neg_lo:[0,0,1] neg_hi:[0,0,1]
	v_pk_fma_f32 v[44:45], v[44:45], v[60:61], v[76:77] op_sel:[0,0,1] op_sel_hi:[1,0,0]
	v_mov_b32_e32 v55, v43
	v_pk_add_f32 v[34:35], v[34:35], v[52:53]
	v_mov_b32_e32 v82, v67
	s_waitcnt lgkmcnt(0)
	v_pk_mul_f32 v[80:81], v[48:49], v[80:81] op_sel_hi:[1,0]
	s_waitcnt vmcnt(4)
	v_pk_fma_f32 v[58:59], v[46:47], v[62:63], v[78:79] op_sel:[0,0,1] op_sel_hi:[1,1,0] neg_lo:[0,0,1] neg_hi:[0,0,1]
	v_pk_fma_f32 v[46:47], v[46:47], v[62:63], v[78:79] op_sel:[0,0,1] op_sel_hi:[1,0,0]
	v_mov_b32_e32 v57, v45
	v_pk_add_f32 v[34:35], v[34:35], v[54:55]
	v_pk_mul_f32 v[82:83], v[50:51], v[82:83] op_sel_hi:[1,0]
	s_waitcnt vmcnt(3)
	v_pk_fma_f32 v[60:61], v[48:49], v[64:65], v[80:81] op_sel:[0,0,1] op_sel_hi:[1,1,0] neg_lo:[0,0,1] neg_hi:[0,0,1]
	v_pk_fma_f32 v[48:49], v[48:49], v[64:65], v[80:81] op_sel:[0,0,1] op_sel_hi:[1,0,0]
	v_mov_b32_e32 v59, v47
	v_pk_add_f32 v[34:35], v[34:35], v[56:57]
	s_waitcnt vmcnt(2)
	v_pk_fma_f32 v[62:63], v[50:51], v[66:67], v[82:83] op_sel:[0,0,1] op_sel_hi:[1,1,0] neg_lo:[0,0,1] neg_hi:[0,0,1]
	v_pk_fma_f32 v[50:51], v[50:51], v[66:67], v[82:83] op_sel:[0,0,1] op_sel_hi:[1,0,0]
	v_mov_b32_e32 v61, v49
	v_pk_add_f32 v[34:35], v[34:35], v[58:59]
	v_mov_b32_e32 v63, v51
	v_pk_add_f32 v[34:35], v[34:35], v[60:61]
	v_pk_add_f32 v[34:35], v[34:35], v[62:63]
	s_waitcnt vmcnt(0)
	v_pk_add_f32 v[34:35], v[68:69], v[34:35] neg_lo:[0,1] neg_hi:[0,1]
	buffer_store_dword v34, off, s[0:3], 0 offset:56
	buffer_store_dword v35, off, s[0:3], 0 offset:60
	s_and_saveexec_b64 s[4:5], vcc
	s_cbranch_execz .LBB79_97
; %bb.96:
	buffer_load_dword v34, off, s[0:3], 0 offset:48
	buffer_load_dword v35, off, s[0:3], 0 offset:52
	v_mov_b32_e32 v36, 0
	buffer_store_dword v36, off, s[0:3], 0 offset:48
	buffer_store_dword v36, off, s[0:3], 0 offset:52
	s_waitcnt vmcnt(2)
	ds_write_b64 v1, v[34:35]
.LBB79_97:
	s_or_b64 exec, exec, s[4:5]
	s_waitcnt lgkmcnt(0)
	; wave barrier
	s_waitcnt lgkmcnt(0)
	buffer_load_dword v35, off, s[0:3], 0 offset:60
	buffer_load_dword v53, off, s[0:3], 0 offset:68
	;; [unrolled: 1-line block ×20, first 2 shown]
	v_mov_b32_e32 v34, 0
	ds_read2_b64 v[36:39], v34 offset0:23 offset1:24
	ds_read2_b64 v[40:43], v34 offset0:25 offset1:26
	;; [unrolled: 1-line block ×4, first 2 shown]
	ds_read_b64 v[70:71], v34 offset:248
	v_cmp_lt_u32_e32 vcc, 5, v0
	s_waitcnt vmcnt(19) lgkmcnt(4)
	v_mul_f32_e32 v73, v36, v35
	v_mul_f32_e32 v35, v37, v35
	s_waitcnt vmcnt(18)
	v_mov_b32_e32 v74, v53
	s_waitcnt vmcnt(17)
	v_mov_b32_e32 v76, v55
	;; [unrolled: 2-line block ×8, first 2 shown]
	s_waitcnt vmcnt(10)
	v_fmac_f32_e32 v73, v37, v72
	v_fma_f32 v72, v36, v72, -v35
	v_pk_mul_f32 v[36:37], v[38:39], v[74:75] op_sel_hi:[1,0]
	s_waitcnt lgkmcnt(3)
	v_pk_mul_f32 v[74:75], v[40:41], v[76:77] op_sel_hi:[1,0]
	v_pk_mul_f32 v[76:77], v[42:43], v[78:79] op_sel_hi:[1,0]
	s_waitcnt lgkmcnt(2)
	v_pk_mul_f32 v[78:79], v[44:45], v[80:81] op_sel_hi:[1,0]
	;; [unrolled: 3-line block ×4, first 2 shown]
	s_waitcnt vmcnt(9)
	v_pk_fma_f32 v[88:89], v[38:39], v[52:53], v[36:37] op_sel:[0,0,1] op_sel_hi:[1,1,0] neg_lo:[0,0,1] neg_hi:[0,0,1]
	v_pk_fma_f32 v[36:37], v[38:39], v[52:53], v[36:37] op_sel:[0,0,1] op_sel_hi:[1,0,0]
	v_pk_add_f32 v[72:73], v[72:73], 0 op_sel_hi:[1,0]
	s_waitcnt vmcnt(8)
	v_pk_fma_f32 v[38:39], v[40:41], v[54:55], v[74:75] op_sel:[0,0,1] op_sel_hi:[1,1,0] neg_lo:[0,0,1] neg_hi:[0,0,1]
	v_pk_fma_f32 v[40:41], v[40:41], v[54:55], v[74:75] op_sel:[0,0,1] op_sel_hi:[1,0,0]
	v_mov_b32_e32 v89, v37
	s_waitcnt vmcnt(7)
	v_pk_fma_f32 v[52:53], v[42:43], v[56:57], v[76:77] op_sel:[0,0,1] op_sel_hi:[1,1,0] neg_lo:[0,0,1] neg_hi:[0,0,1]
	v_pk_fma_f32 v[42:43], v[42:43], v[56:57], v[76:77] op_sel:[0,0,1] op_sel_hi:[1,0,0]
	v_mov_b32_e32 v39, v41
	v_pk_add_f32 v[36:37], v[72:73], v[88:89]
	s_waitcnt vmcnt(6)
	v_pk_fma_f32 v[54:55], v[44:45], v[58:59], v[78:79] op_sel:[0,0,1] op_sel_hi:[1,1,0] neg_lo:[0,0,1] neg_hi:[0,0,1]
	v_pk_fma_f32 v[44:45], v[44:45], v[58:59], v[78:79] op_sel:[0,0,1] op_sel_hi:[1,0,0]
	v_mov_b32_e32 v53, v43
	v_pk_add_f32 v[36:37], v[36:37], v[38:39]
	;; [unrolled: 5-line block ×5, first 2 shown]
	v_pk_fma_f32 v[62:63], v[70:71], v[66:67], v[86:87] op_sel:[0,0,1] op_sel_hi:[1,1,0] neg_lo:[0,0,1] neg_hi:[0,0,1]
	v_pk_fma_f32 v[64:65], v[70:71], v[66:67], v[86:87] op_sel:[0,0,1] op_sel_hi:[1,0,0]
	v_mov_b32_e32 v61, v51
	v_pk_add_f32 v[36:37], v[36:37], v[58:59]
	v_mov_b32_e32 v63, v65
	v_pk_add_f32 v[36:37], v[36:37], v[60:61]
	v_pk_add_f32 v[36:37], v[36:37], v[62:63]
	s_waitcnt vmcnt(0)
	v_pk_add_f32 v[36:37], v[68:69], v[36:37] neg_lo:[0,1] neg_hi:[0,1]
	buffer_store_dword v36, off, s[0:3], 0 offset:48
	buffer_store_dword v37, off, s[0:3], 0 offset:52
	s_and_saveexec_b64 s[4:5], vcc
	s_cbranch_execz .LBB79_99
; %bb.98:
	buffer_load_dword v36, off, s[0:3], 0 offset:40
	buffer_load_dword v37, off, s[0:3], 0 offset:44
	s_waitcnt vmcnt(0)
	ds_write_b64 v1, v[36:37]
	buffer_store_dword v34, off, s[0:3], 0 offset:40
	buffer_store_dword v34, off, s[0:3], 0 offset:44
.LBB79_99:
	s_or_b64 exec, exec, s[4:5]
	s_waitcnt lgkmcnt(0)
	; wave barrier
	s_waitcnt lgkmcnt(0)
	buffer_load_dword v74, off, s[0:3], 0 offset:52
	buffer_load_dword v76, off, s[0:3], 0 offset:60
	;; [unrolled: 1-line block ×22, first 2 shown]
	ds_read_b128 v[36:39], v34 offset:176
	ds_read_b128 v[40:43], v34 offset:192
	;; [unrolled: 1-line block ×5, first 2 shown]
	v_cmp_lt_u32_e32 vcc, 4, v0
	s_waitcnt vmcnt(21) lgkmcnt(4)
	v_mul_f32_e32 v35, v36, v74
	s_waitcnt vmcnt(20)
	v_mul_f32_e32 v75, v38, v76
	v_mul_f32_e32 v34, v37, v74
	;; [unrolled: 1-line block ×3, first 2 shown]
	s_waitcnt vmcnt(19)
	v_mov_b32_e32 v76, v57
	s_waitcnt vmcnt(18)
	v_mov_b32_e32 v78, v59
	;; [unrolled: 2-line block ×5, first 2 shown]
	v_mov_b32_e32 v82, v63
	s_waitcnt vmcnt(11)
	v_fmac_f32_e32 v35, v37, v77
	v_fma_f32 v34, v36, v77, -v34
	s_waitcnt lgkmcnt(3)
	v_pk_mul_f32 v[36:37], v[40:41], v[76:77] op_sel_hi:[1,0]
	s_waitcnt vmcnt(10)
	v_fmac_f32_e32 v75, v39, v79
	v_fma_f32 v74, v38, v79, -v74
	v_pk_mul_f32 v[38:39], v[42:43], v[78:79] op_sel_hi:[1,0]
	s_waitcnt lgkmcnt(2)
	v_pk_mul_f32 v[76:77], v[44:45], v[80:81] op_sel_hi:[1,0]
	s_waitcnt lgkmcnt(1)
	;; [unrolled: 2-line block ×3, first 2 shown]
	v_pk_mul_f32 v[84:85], v[52:53], v[88:89] op_sel_hi:[1,0]
	v_pk_add_f32 v[34:35], v[34:35], 0 op_sel_hi:[1,0]
	s_waitcnt vmcnt(9)
	v_pk_fma_f32 v[88:89], v[40:41], v[56:57], v[36:37] op_sel:[0,0,1] op_sel_hi:[1,1,0] neg_lo:[0,0,1] neg_hi:[0,0,1]
	v_pk_fma_f32 v[36:37], v[40:41], v[56:57], v[36:37] op_sel:[0,0,1] op_sel_hi:[1,0,0]
	s_waitcnt vmcnt(8)
	v_pk_fma_f32 v[40:41], v[42:43], v[58:59], v[38:39] op_sel:[0,0,1] op_sel_hi:[1,1,0] neg_lo:[0,0,1] neg_hi:[0,0,1]
	v_pk_fma_f32 v[38:39], v[42:43], v[58:59], v[38:39] op_sel:[0,0,1] op_sel_hi:[1,0,0]
	v_pk_add_f32 v[34:35], v[34:35], v[74:75]
	v_mov_b32_e32 v89, v37
	v_pk_mul_f32 v[78:79], v[46:47], v[82:83] op_sel_hi:[1,0]
	s_waitcnt vmcnt(7)
	v_pk_fma_f32 v[42:43], v[44:45], v[60:61], v[76:77] op_sel:[0,0,1] op_sel_hi:[1,1,0] neg_lo:[0,0,1] neg_hi:[0,0,1]
	v_pk_fma_f32 v[44:45], v[44:45], v[60:61], v[76:77] op_sel:[0,0,1] op_sel_hi:[1,0,0]
	v_mov_b32_e32 v41, v39
	v_pk_add_f32 v[34:35], v[34:35], v[88:89]
	v_mov_b32_e32 v86, v67
	s_waitcnt vmcnt(6)
	v_pk_fma_f32 v[56:57], v[46:47], v[62:63], v[78:79] op_sel:[0,0,1] op_sel_hi:[1,1,0] neg_lo:[0,0,1] neg_hi:[0,0,1]
	v_pk_fma_f32 v[46:47], v[46:47], v[62:63], v[78:79] op_sel:[0,0,1] op_sel_hi:[1,0,0]
	v_mov_b32_e32 v43, v45
	v_pk_add_f32 v[34:35], v[34:35], v[40:41]
	v_pk_mul_f32 v[82:83], v[50:51], v[86:87] op_sel_hi:[1,0]
	s_waitcnt vmcnt(5)
	v_pk_fma_f32 v[58:59], v[48:49], v[64:65], v[80:81] op_sel:[0,0,1] op_sel_hi:[1,1,0] neg_lo:[0,0,1] neg_hi:[0,0,1]
	v_pk_fma_f32 v[48:49], v[48:49], v[64:65], v[80:81] op_sel:[0,0,1] op_sel_hi:[1,0,0]
	v_mov_b32_e32 v57, v47
	v_pk_add_f32 v[34:35], v[34:35], v[42:43]
	v_mov_b32_e32 v90, v71
	s_waitcnt vmcnt(2)
	v_pk_fma_f32 v[60:61], v[50:51], v[66:67], v[82:83] op_sel:[0,0,1] op_sel_hi:[1,1,0] neg_lo:[0,0,1] neg_hi:[0,0,1]
	v_pk_fma_f32 v[50:51], v[50:51], v[66:67], v[82:83] op_sel:[0,0,1] op_sel_hi:[1,0,0]
	v_mov_b32_e32 v59, v49
	v_pk_add_f32 v[34:35], v[34:35], v[56:57]
	v_pk_mul_f32 v[86:87], v[54:55], v[90:91] op_sel_hi:[1,0]
	v_pk_fma_f32 v[62:63], v[52:53], v[68:69], v[84:85] op_sel:[0,0,1] op_sel_hi:[1,1,0] neg_lo:[0,0,1] neg_hi:[0,0,1]
	v_pk_fma_f32 v[52:53], v[52:53], v[68:69], v[84:85] op_sel:[0,0,1] op_sel_hi:[1,0,0]
	v_mov_b32_e32 v61, v51
	v_pk_add_f32 v[34:35], v[34:35], v[58:59]
	v_pk_fma_f32 v[64:65], v[54:55], v[70:71], v[86:87] op_sel:[0,0,1] op_sel_hi:[1,1,0] neg_lo:[0,0,1] neg_hi:[0,0,1]
	v_pk_fma_f32 v[54:55], v[54:55], v[70:71], v[86:87] op_sel:[0,0,1] op_sel_hi:[1,0,0]
	v_mov_b32_e32 v63, v53
	v_pk_add_f32 v[34:35], v[34:35], v[60:61]
	v_mov_b32_e32 v65, v55
	v_pk_add_f32 v[34:35], v[34:35], v[62:63]
	v_pk_add_f32 v[34:35], v[34:35], v[64:65]
	s_waitcnt vmcnt(0)
	v_pk_add_f32 v[34:35], v[72:73], v[34:35] neg_lo:[0,1] neg_hi:[0,1]
	buffer_store_dword v34, off, s[0:3], 0 offset:40
	buffer_store_dword v35, off, s[0:3], 0 offset:44
	s_and_saveexec_b64 s[4:5], vcc
	s_cbranch_execz .LBB79_101
; %bb.100:
	buffer_load_dword v34, off, s[0:3], 0 offset:32
	buffer_load_dword v35, off, s[0:3], 0 offset:36
	v_mov_b32_e32 v36, 0
	buffer_store_dword v36, off, s[0:3], 0 offset:32
	buffer_store_dword v36, off, s[0:3], 0 offset:36
	s_waitcnt vmcnt(2)
	ds_write_b64 v1, v[34:35]
.LBB79_101:
	s_or_b64 exec, exec, s[4:5]
	s_waitcnt lgkmcnt(0)
	; wave barrier
	s_waitcnt lgkmcnt(0)
	buffer_load_dword v35, off, s[0:3], 0 offset:44
	buffer_load_dword v76, off, s[0:3], 0 offset:52
	;; [unrolled: 1-line block ×24, first 2 shown]
	v_mov_b32_e32 v34, 0
	ds_read2_b64 v[36:39], v34 offset0:21 offset1:22
	ds_read2_b64 v[40:43], v34 offset0:23 offset1:24
	;; [unrolled: 1-line block ×5, first 2 shown]
	ds_read_b64 v[74:75], v34 offset:248
	v_cmp_lt_u32_e32 vcc, 3, v0
	s_waitcnt vmcnt(23) lgkmcnt(5)
	v_mul_f32_e32 v89, v36, v35
	v_mul_f32_e32 v35, v37, v35
	s_waitcnt vmcnt(22)
	v_mul_f32_e32 v77, v38, v76
	s_waitcnt vmcnt(21) lgkmcnt(4)
	v_mul_f32_e32 v79, v40, v78
	v_mul_f32_e32 v76, v39, v76
	;; [unrolled: 1-line block ×3, first 2 shown]
	s_waitcnt vmcnt(20)
	v_mov_b32_e32 v80, v57
	s_waitcnt vmcnt(19)
	v_mov_b32_e32 v82, v59
	;; [unrolled: 2-line block ×5, first 2 shown]
	s_waitcnt vmcnt(12)
	v_fmac_f32_e32 v89, v37, v81
	v_fma_f32 v35, v36, v81, -v35
	v_mov_b32_e32 v90, v67
	s_waitcnt vmcnt(11)
	v_fmac_f32_e32 v77, v39, v83
	s_waitcnt vmcnt(10)
	v_fmac_f32_e32 v79, v41, v85
	v_fma_f32 v76, v38, v83, -v76
	v_fma_f32 v78, v40, v85, -v78
	v_pk_mul_f32 v[36:37], v[42:43], v[80:81] op_sel_hi:[1,0]
	s_waitcnt lgkmcnt(3)
	v_pk_mul_f32 v[38:39], v[44:45], v[82:83] op_sel_hi:[1,0]
	v_pk_mul_f32 v[40:41], v[46:47], v[84:85] op_sel_hi:[1,0]
	s_waitcnt lgkmcnt(2)
	v_pk_mul_f32 v[80:81], v[48:49], v[86:87] op_sel_hi:[1,0]
	v_pk_mul_f32 v[82:83], v[50:51], v[88:89] op_sel_hi:[1,0]
	v_add_f32_e32 v89, 0, v89
	v_add_f32_e32 v88, 0, v35
	s_waitcnt lgkmcnt(1)
	v_pk_mul_f32 v[84:85], v[52:53], v[90:91] op_sel_hi:[1,0]
	s_waitcnt vmcnt(9)
	v_pk_fma_f32 v[90:91], v[42:43], v[56:57], v[36:37] op_sel:[0,0,1] op_sel_hi:[1,1,0] neg_lo:[0,0,1] neg_hi:[0,0,1]
	v_pk_fma_f32 v[36:37], v[42:43], v[56:57], v[36:37] op_sel:[0,0,1] op_sel_hi:[1,0,0]
	s_waitcnt vmcnt(8)
	v_pk_fma_f32 v[42:43], v[44:45], v[58:59], v[38:39] op_sel:[0,0,1] op_sel_hi:[1,1,0] neg_lo:[0,0,1] neg_hi:[0,0,1]
	v_pk_fma_f32 v[38:39], v[44:45], v[58:59], v[38:39] op_sel:[0,0,1] op_sel_hi:[1,0,0]
	s_waitcnt vmcnt(7)
	v_pk_fma_f32 v[44:45], v[46:47], v[60:61], v[40:41] op_sel:[0,0,1] op_sel_hi:[1,1,0] neg_lo:[0,0,1] neg_hi:[0,0,1]
	v_pk_fma_f32 v[40:41], v[46:47], v[60:61], v[40:41] op_sel:[0,0,1] op_sel_hi:[1,0,0]
	s_waitcnt vmcnt(6)
	v_pk_fma_f32 v[46:47], v[48:49], v[62:63], v[80:81] op_sel:[0,0,1] op_sel_hi:[1,1,0] neg_lo:[0,0,1] neg_hi:[0,0,1]
	v_pk_fma_f32 v[48:49], v[48:49], v[62:63], v[80:81] op_sel:[0,0,1] op_sel_hi:[1,0,0]
	v_pk_add_f32 v[62:63], v[88:89], v[76:77]
	v_mov_b32_e32 v91, v37
	v_pk_add_f32 v[36:37], v[62:63], v[78:79]
	v_mov_b32_e32 v43, v39
	;; [unrolled: 2-line block ×4, first 2 shown]
	s_waitcnt vmcnt(2)
	v_pk_fma_f32 v[56:57], v[50:51], v[64:65], v[82:83] op_sel:[0,0,1] op_sel_hi:[1,1,0] neg_lo:[0,0,1] neg_hi:[0,0,1]
	v_pk_fma_f32 v[50:51], v[50:51], v[64:65], v[82:83] op_sel:[0,0,1] op_sel_hi:[1,0,0]
	v_mov_b32_e32 v47, v49
	v_pk_add_f32 v[36:37], v[36:37], v[44:45]
	v_mov_b32_e32 v94, v71
	v_pk_mul_f32 v[86:87], v[54:55], v[92:93] op_sel_hi:[1,0]
	v_pk_fma_f32 v[58:59], v[52:53], v[66:67], v[84:85] op_sel:[0,0,1] op_sel_hi:[1,1,0] neg_lo:[0,0,1] neg_hi:[0,0,1]
	v_pk_fma_f32 v[52:53], v[52:53], v[66:67], v[84:85] op_sel:[0,0,1] op_sel_hi:[1,0,0]
	v_mov_b32_e32 v57, v51
	v_pk_add_f32 v[36:37], v[36:37], v[46:47]
	v_pk_fma_f32 v[60:61], v[54:55], v[68:69], v[86:87] op_sel:[0,0,1] op_sel_hi:[1,1,0] neg_lo:[0,0,1] neg_hi:[0,0,1]
	v_pk_fma_f32 v[54:55], v[54:55], v[68:69], v[86:87] op_sel:[0,0,1] op_sel_hi:[1,0,0]
	v_mov_b32_e32 v59, v53
	v_pk_add_f32 v[36:37], v[36:37], v[56:57]
	s_waitcnt lgkmcnt(0)
	v_pk_mul_f32 v[38:39], v[74:75], v[94:95] op_sel_hi:[1,0]
	v_mov_b32_e32 v61, v55
	v_pk_add_f32 v[36:37], v[36:37], v[58:59]
	v_pk_fma_f32 v[40:41], v[74:75], v[70:71], v[38:39] op_sel:[0,0,1] op_sel_hi:[1,1,0] neg_lo:[0,0,1] neg_hi:[0,0,1]
	v_pk_fma_f32 v[38:39], v[74:75], v[70:71], v[38:39] op_sel:[0,0,1] op_sel_hi:[1,0,0]
	v_pk_add_f32 v[36:37], v[36:37], v[60:61]
	v_mov_b32_e32 v41, v39
	v_pk_add_f32 v[36:37], v[36:37], v[40:41]
	s_waitcnt vmcnt(0)
	v_pk_add_f32 v[36:37], v[72:73], v[36:37] neg_lo:[0,1] neg_hi:[0,1]
	buffer_store_dword v37, off, s[0:3], 0 offset:36
	buffer_store_dword v36, off, s[0:3], 0 offset:32
	s_and_saveexec_b64 s[4:5], vcc
	s_cbranch_execz .LBB79_103
; %bb.102:
	buffer_load_dword v36, off, s[0:3], 0 offset:24
	buffer_load_dword v37, off, s[0:3], 0 offset:28
	s_waitcnt vmcnt(0)
	ds_write_b64 v1, v[36:37]
	buffer_store_dword v34, off, s[0:3], 0 offset:24
	buffer_store_dword v34, off, s[0:3], 0 offset:28
.LBB79_103:
	s_or_b64 exec, exec, s[4:5]
	s_waitcnt lgkmcnt(0)
	; wave barrier
	s_waitcnt lgkmcnt(0)
	buffer_load_dword v78, off, s[0:3], 0 offset:36
	buffer_load_dword v80, off, s[0:3], 0 offset:44
	;; [unrolled: 1-line block ×26, first 2 shown]
	ds_read_b128 v[36:39], v34 offset:160
	ds_read_b128 v[40:43], v34 offset:176
	;; [unrolled: 1-line block ×6, first 2 shown]
	v_cmp_lt_u32_e32 vcc, 2, v0
	s_waitcnt vmcnt(25) lgkmcnt(5)
	v_mul_f32_e32 v91, v36, v78
	v_mul_f32_e32 v34, v37, v78
	s_waitcnt vmcnt(24)
	v_mul_f32_e32 v92, v38, v80
	s_waitcnt vmcnt(23) lgkmcnt(4)
	v_mul_f32_e32 v35, v40, v81
	s_waitcnt vmcnt(22)
	v_mul_f32_e32 v79, v42, v82
	v_mul_f32_e32 v78, v39, v80
	;; [unrolled: 1-line block ×4, first 2 shown]
	s_waitcnt vmcnt(21)
	v_mov_b32_e32 v80, v61
	s_waitcnt vmcnt(20)
	v_mov_b32_e32 v82, v63
	;; [unrolled: 2-line block ×3, first 2 shown]
	s_waitcnt vmcnt(15)
	v_fmac_f32_e32 v91, v37, v83
	v_fma_f32 v94, v36, v83, -v34
	v_mov_b32_e32 v84, v65
	s_waitcnt vmcnt(14)
	v_fmac_f32_e32 v92, v39, v85
	s_waitcnt vmcnt(13)
	v_fmac_f32_e32 v35, v41, v87
	;; [unrolled: 2-line block ×3, first 2 shown]
	v_fma_f32 v95, v38, v85, -v78
	v_fma_f32 v34, v40, v87, -v81
	;; [unrolled: 1-line block ×3, first 2 shown]
	s_waitcnt lgkmcnt(3)
	v_pk_mul_f32 v[36:37], v[44:45], v[80:81] op_sel_hi:[1,0]
	v_pk_mul_f32 v[38:39], v[46:47], v[82:83] op_sel_hi:[1,0]
	s_waitcnt lgkmcnt(2)
	v_pk_mul_f32 v[42:43], v[50:51], v[86:87] op_sel_hi:[1,0]
	v_add_f32_e32 v86, 0, v91
	v_add_f32_e32 v87, 0, v94
	v_pk_mul_f32 v[40:41], v[48:49], v[84:85] op_sel_hi:[1,0]
	s_waitcnt vmcnt(11)
	v_pk_fma_f32 v[84:85], v[44:45], v[60:61], v[36:37] op_sel:[0,0,1] op_sel_hi:[1,1,0] neg_lo:[0,0,1] neg_hi:[0,0,1]
	v_pk_fma_f32 v[36:37], v[44:45], v[60:61], v[36:37] op_sel:[0,0,1] op_sel_hi:[1,0,0]
	s_waitcnt vmcnt(10)
	v_pk_fma_f32 v[44:45], v[46:47], v[62:63], v[38:39] op_sel:[0,0,1] op_sel_hi:[1,1,0] neg_lo:[0,0,1] neg_hi:[0,0,1]
	v_pk_fma_f32 v[38:39], v[46:47], v[62:63], v[38:39] op_sel:[0,0,1] op_sel_hi:[1,0,0]
	v_add_f32_e32 v63, v86, v92
	v_add_f32_e32 v62, v87, v95
	v_pk_add_f32 v[34:35], v[62:63], v[34:35]
	v_mov_b32_e32 v85, v37
	v_pk_add_f32 v[34:35], v[34:35], v[78:79]
	v_mov_b32_e32 v88, v69
	s_waitcnt vmcnt(9)
	v_pk_fma_f32 v[46:47], v[48:49], v[64:65], v[40:41] op_sel:[0,0,1] op_sel_hi:[1,1,0] neg_lo:[0,0,1] neg_hi:[0,0,1]
	v_pk_fma_f32 v[40:41], v[48:49], v[64:65], v[40:41] op_sel:[0,0,1] op_sel_hi:[1,0,0]
	v_mov_b32_e32 v45, v39
	v_pk_add_f32 v[34:35], v[34:35], v[84:85]
	v_mov_b32_e32 v90, v71
	s_waitcnt lgkmcnt(1)
	v_pk_mul_f32 v[80:81], v[52:53], v[88:89] op_sel_hi:[1,0]
	s_waitcnt vmcnt(5)
	v_pk_fma_f32 v[48:49], v[50:51], v[66:67], v[42:43] op_sel:[0,0,1] op_sel_hi:[1,1,0] neg_lo:[0,0,1] neg_hi:[0,0,1]
	v_pk_fma_f32 v[42:43], v[50:51], v[66:67], v[42:43] op_sel:[0,0,1] op_sel_hi:[1,0,0]
	v_mov_b32_e32 v47, v41
	v_pk_add_f32 v[34:35], v[34:35], v[44:45]
	s_waitcnt vmcnt(4)
	v_mov_b32_e32 v36, v73
	v_pk_mul_f32 v[82:83], v[54:55], v[90:91] op_sel_hi:[1,0]
	v_pk_fma_f32 v[50:51], v[52:53], v[68:69], v[80:81] op_sel:[0,0,1] op_sel_hi:[1,1,0] neg_lo:[0,0,1] neg_hi:[0,0,1]
	v_pk_fma_f32 v[52:53], v[52:53], v[68:69], v[80:81] op_sel:[0,0,1] op_sel_hi:[1,0,0]
	v_mov_b32_e32 v49, v43
	v_pk_add_f32 v[34:35], v[34:35], v[46:47]
	s_waitcnt lgkmcnt(0)
	v_pk_mul_f32 v[36:37], v[56:57], v[36:37] op_sel_hi:[1,0]
	v_pk_fma_f32 v[60:61], v[54:55], v[70:71], v[82:83] op_sel:[0,0,1] op_sel_hi:[1,1,0] neg_lo:[0,0,1] neg_hi:[0,0,1]
	v_pk_fma_f32 v[54:55], v[54:55], v[70:71], v[82:83] op_sel:[0,0,1] op_sel_hi:[1,0,0]
	v_mov_b32_e32 v51, v53
	v_pk_add_f32 v[34:35], v[34:35], v[48:49]
	v_pk_fma_f32 v[38:39], v[56:57], v[72:73], v[36:37] op_sel:[0,0,1] op_sel_hi:[1,1,0] neg_lo:[0,0,1] neg_hi:[0,0,1]
	v_pk_fma_f32 v[36:37], v[56:57], v[72:73], v[36:37] op_sel:[0,0,1] op_sel_hi:[1,0,0]
	v_mov_b32_e32 v61, v55
	v_pk_add_f32 v[34:35], v[34:35], v[50:51]
	s_waitcnt vmcnt(3)
	v_mov_b32_e32 v36, v75
	v_pk_add_f32 v[34:35], v[34:35], v[60:61]
	v_mov_b32_e32 v39, v37
	v_pk_mul_f32 v[36:37], v[58:59], v[36:37] op_sel_hi:[1,0]
	v_pk_add_f32 v[34:35], v[34:35], v[38:39]
	s_waitcnt vmcnt(2)
	v_pk_fma_f32 v[38:39], v[58:59], v[74:75], v[36:37] op_sel:[0,0,1] op_sel_hi:[1,1,0] neg_lo:[0,0,1] neg_hi:[0,0,1]
	v_pk_fma_f32 v[36:37], v[58:59], v[74:75], v[36:37] op_sel:[0,0,1] op_sel_hi:[1,0,0]
	v_mov_b32_e32 v39, v37
	v_pk_add_f32 v[34:35], v[34:35], v[38:39]
	s_waitcnt vmcnt(0)
	v_pk_add_f32 v[34:35], v[76:77], v[34:35] neg_lo:[0,1] neg_hi:[0,1]
	buffer_store_dword v35, off, s[0:3], 0 offset:28
	buffer_store_dword v34, off, s[0:3], 0 offset:24
	s_and_saveexec_b64 s[4:5], vcc
	s_cbranch_execz .LBB79_105
; %bb.104:
	buffer_load_dword v34, off, s[0:3], 0 offset:16
	buffer_load_dword v35, off, s[0:3], 0 offset:20
	v_mov_b32_e32 v36, 0
	buffer_store_dword v36, off, s[0:3], 0 offset:16
	buffer_store_dword v36, off, s[0:3], 0 offset:20
	s_waitcnt vmcnt(2)
	ds_write_b64 v1, v[34:35]
.LBB79_105:
	s_or_b64 exec, exec, s[4:5]
	s_waitcnt lgkmcnt(0)
	; wave barrier
	s_waitcnt lgkmcnt(0)
	buffer_load_dword v35, off, s[0:3], 0 offset:28
	buffer_load_dword v80, off, s[0:3], 0 offset:36
	;; [unrolled: 1-line block ×28, first 2 shown]
	v_mov_b32_e32 v34, 0
	ds_read2_b64 v[36:39], v34 offset0:19 offset1:20
	ds_read2_b64 v[40:43], v34 offset0:21 offset1:22
	;; [unrolled: 1-line block ×6, first 2 shown]
	ds_read_b64 v[78:79], v34 offset:248
	v_cmp_lt_u32_e32 vcc, 1, v0
	s_waitcnt vmcnt(27) lgkmcnt(6)
	v_mul_f32_e32 v95, v36, v35
	v_mul_f32_e32 v35, v37, v35
	s_waitcnt vmcnt(26)
	v_mul_f32_e32 v96, v38, v80
	s_waitcnt vmcnt(24) lgkmcnt(5)
	v_mul_f32_e32 v81, v42, v84
	s_waitcnt vmcnt(23) lgkmcnt(4)
	v_mul_f32_e32 v83, v44, v85
	v_mul_f32_e32 v98, v43, v84
	;; [unrolled: 1-line block ×3, first 2 shown]
	s_waitcnt vmcnt(22)
	v_mov_b32_e32 v84, v61
	v_mul_f32_e32 v97, v40, v82
	v_mul_f32_e32 v80, v39, v80
	;; [unrolled: 1-line block ×3, first 2 shown]
	s_waitcnt vmcnt(17)
	v_fmac_f32_e32 v95, v37, v87
	v_fma_f32 v35, v36, v87, -v35
	v_pk_mul_f32 v[36:37], v[46:47], v[84:85] op_sel_hi:[1,0]
	s_waitcnt vmcnt(16)
	v_fmac_f32_e32 v96, v39, v89
	s_waitcnt vmcnt(13)
	v_fmac_f32_e32 v83, v45, v94
	v_fma_f32 v87, v38, v89, -v80
	v_fma_f32 v89, v40, v91, -v82
	;; [unrolled: 1-line block ×3, first 2 shown]
	v_add_f32_e32 v84, 0, v95
	v_add_f32_e32 v35, 0, v35
	s_waitcnt vmcnt(12)
	v_pk_fma_f32 v[44:45], v[46:47], v[60:61], v[36:37] op_sel:[0,0,1] op_sel_hi:[1,1,0] neg_lo:[0,0,1] neg_hi:[0,0,1]
	v_pk_fma_f32 v[36:37], v[46:47], v[60:61], v[36:37] op_sel:[0,0,1] op_sel_hi:[1,0,0]
	v_fmac_f32_e32 v97, v41, v91
	v_add_f32_e32 v36, v84, v96
	v_add_f32_e32 v35, v35, v87
	v_mov_b32_e32 v86, v63
	v_fmac_f32_e32 v81, v43, v93
	v_fma_f32 v80, v42, v93, -v98
	v_mov_b32_e32 v45, v37
	v_add_f32_e32 v37, v36, v97
	v_add_f32_e32 v36, v35, v89
	v_mov_b32_e32 v88, v65
	s_waitcnt lgkmcnt(3)
	v_pk_mul_f32 v[38:39], v[48:49], v[86:87] op_sel_hi:[1,0]
	v_pk_add_f32 v[36:37], v[36:37], v[80:81]
	v_mov_b32_e32 v90, v67
	v_mov_b32_e32 v92, v69
	v_pk_mul_f32 v[40:41], v[50:51], v[88:89] op_sel_hi:[1,0]
	s_waitcnt vmcnt(11)
	v_pk_fma_f32 v[46:47], v[48:49], v[62:63], v[38:39] op_sel:[0,0,1] op_sel_hi:[1,1,0] neg_lo:[0,0,1] neg_hi:[0,0,1]
	v_pk_fma_f32 v[38:39], v[48:49], v[62:63], v[38:39] op_sel:[0,0,1] op_sel_hi:[1,0,0]
	v_pk_add_f32 v[36:37], v[36:37], v[82:83]
	s_waitcnt lgkmcnt(2)
	v_pk_mul_f32 v[42:43], v[52:53], v[90:91] op_sel_hi:[1,0]
	s_waitcnt vmcnt(10)
	v_pk_fma_f32 v[48:49], v[50:51], v[64:65], v[40:41] op_sel:[0,0,1] op_sel_hi:[1,1,0] neg_lo:[0,0,1] neg_hi:[0,0,1]
	v_pk_fma_f32 v[40:41], v[50:51], v[64:65], v[40:41] op_sel:[0,0,1] op_sel_hi:[1,0,0]
	v_mov_b32_e32 v47, v39
	v_pk_add_f32 v[36:37], v[36:37], v[44:45]
	v_pk_mul_f32 v[38:39], v[54:55], v[92:93] op_sel_hi:[1,0]
	s_waitcnt vmcnt(9)
	v_pk_fma_f32 v[50:51], v[52:53], v[66:67], v[42:43] op_sel:[0,0,1] op_sel_hi:[1,1,0] neg_lo:[0,0,1] neg_hi:[0,0,1]
	v_pk_fma_f32 v[42:43], v[52:53], v[66:67], v[42:43] op_sel:[0,0,1] op_sel_hi:[1,0,0]
	v_mov_b32_e32 v49, v41
	v_pk_add_f32 v[36:37], v[36:37], v[46:47]
	s_waitcnt vmcnt(8)
	v_pk_fma_f32 v[40:41], v[54:55], v[68:69], v[38:39] op_sel:[0,0,1] op_sel_hi:[1,1,0] neg_lo:[0,0,1] neg_hi:[0,0,1]
	v_pk_fma_f32 v[38:39], v[54:55], v[68:69], v[38:39] op_sel:[0,0,1] op_sel_hi:[1,0,0]
	v_mov_b32_e32 v51, v43
	v_pk_add_f32 v[36:37], v[36:37], v[48:49]
	s_waitcnt vmcnt(7)
	v_mov_b32_e32 v38, v71
	v_pk_add_f32 v[36:37], v[36:37], v[50:51]
	v_mov_b32_e32 v41, v39
	s_waitcnt lgkmcnt(1)
	v_pk_mul_f32 v[38:39], v[56:57], v[38:39] op_sel_hi:[1,0]
	v_pk_add_f32 v[36:37], v[36:37], v[40:41]
	s_waitcnt vmcnt(6)
	v_pk_fma_f32 v[40:41], v[56:57], v[70:71], v[38:39] op_sel:[0,0,1] op_sel_hi:[1,1,0] neg_lo:[0,0,1] neg_hi:[0,0,1]
	v_pk_fma_f32 v[38:39], v[56:57], v[70:71], v[38:39] op_sel:[0,0,1] op_sel_hi:[1,0,0]
	s_waitcnt vmcnt(5)
	v_mov_b32_e32 v38, v73
	v_mov_b32_e32 v41, v39
	v_pk_mul_f32 v[38:39], v[58:59], v[38:39] op_sel_hi:[1,0]
	v_pk_add_f32 v[36:37], v[36:37], v[40:41]
	s_waitcnt vmcnt(4)
	v_pk_fma_f32 v[40:41], v[58:59], v[72:73], v[38:39] op_sel:[0,0,1] op_sel_hi:[1,1,0] neg_lo:[0,0,1] neg_hi:[0,0,1]
	v_pk_fma_f32 v[38:39], v[58:59], v[72:73], v[38:39] op_sel:[0,0,1] op_sel_hi:[1,0,0]
	s_waitcnt vmcnt(2)
	v_mov_b32_e32 v38, v75
	v_mov_b32_e32 v41, v39
	s_waitcnt lgkmcnt(0)
	v_pk_mul_f32 v[38:39], v[78:79], v[38:39] op_sel_hi:[1,0]
	v_pk_add_f32 v[36:37], v[36:37], v[40:41]
	v_pk_fma_f32 v[40:41], v[78:79], v[74:75], v[38:39] op_sel:[0,0,1] op_sel_hi:[1,1,0] neg_lo:[0,0,1] neg_hi:[0,0,1]
	v_pk_fma_f32 v[38:39], v[78:79], v[74:75], v[38:39] op_sel:[0,0,1] op_sel_hi:[1,0,0]
	v_mov_b32_e32 v41, v39
	v_pk_add_f32 v[36:37], v[36:37], v[40:41]
	s_waitcnt vmcnt(0)
	v_pk_add_f32 v[36:37], v[76:77], v[36:37] neg_lo:[0,1] neg_hi:[0,1]
	buffer_store_dword v37, off, s[0:3], 0 offset:20
	buffer_store_dword v36, off, s[0:3], 0 offset:16
	s_and_saveexec_b64 s[4:5], vcc
	s_cbranch_execz .LBB79_107
; %bb.106:
	buffer_load_dword v36, off, s[0:3], 0 offset:8
	buffer_load_dword v37, off, s[0:3], 0 offset:12
	s_waitcnt vmcnt(0)
	ds_write_b64 v1, v[36:37]
	buffer_store_dword v34, off, s[0:3], 0 offset:8
	buffer_store_dword v34, off, s[0:3], 0 offset:12
.LBB79_107:
	s_or_b64 exec, exec, s[4:5]
	s_waitcnt lgkmcnt(0)
	; wave barrier
	s_waitcnt lgkmcnt(0)
	buffer_load_dword v82, off, s[0:3], 0 offset:20
	buffer_load_dword v84, off, s[0:3], 0 offset:28
	;; [unrolled: 1-line block ×30, first 2 shown]
	ds_read_b128 v[36:39], v34 offset:144
	ds_read_b128 v[40:43], v34 offset:160
	;; [unrolled: 1-line block ×7, first 2 shown]
	v_cmp_ne_u32_e32 vcc, 0, v0
	s_waitcnt vmcnt(29) lgkmcnt(6)
	v_mul_f32_e32 v95, v36, v82
	s_waitcnt vmcnt(28)
	v_mul_f32_e32 v96, v38, v84
	s_waitcnt vmcnt(27) lgkmcnt(5)
	v_mul_f32_e32 v97, v40, v85
	v_mul_f32_e32 v85, v41, v85
	s_waitcnt vmcnt(26)
	v_mul_f32_e32 v98, v42, v86
	s_waitcnt vmcnt(25) lgkmcnt(4)
	v_mul_f32_e32 v35, v44, v87
	v_mul_f32_e32 v34, v37, v82
	;; [unrolled: 1-line block ×5, first 2 shown]
	s_waitcnt vmcnt(23)
	v_mov_b32_e32 v84, v65
	s_waitcnt vmcnt(22)
	v_mov_b32_e32 v86, v67
	s_waitcnt vmcnt(18)
	v_fma_f32 v85, v40, v91, -v85
	v_fmac_f32_e32 v95, v37, v89
	v_fmac_f32_e32 v96, v39, v90
	s_waitcnt vmcnt(17)
	v_fmac_f32_e32 v98, v43, v92
	v_fma_f32 v43, v36, v89, -v34
	v_fma_f32 v89, v38, v90, -v82
	s_waitcnt lgkmcnt(3)
	v_pk_mul_f32 v[36:37], v[48:49], v[84:85] op_sel_hi:[1,0]
	v_pk_mul_f32 v[38:39], v[50:51], v[86:87] op_sel_hi:[1,0]
	s_waitcnt vmcnt(16)
	v_fmac_f32_e32 v35, v45, v93
	v_fma_f32 v90, v42, v92, -v99
	v_fma_f32 v34, v44, v93, -v87
	v_add_f32_e32 v84, 0, v95
	v_add_f32_e32 v86, 0, v43
	s_waitcnt vmcnt(14)
	v_pk_fma_f32 v[42:43], v[48:49], v[64:65], v[36:37] op_sel:[0,0,1] op_sel_hi:[1,1,0] neg_lo:[0,0,1] neg_hi:[0,0,1]
	v_pk_fma_f32 v[36:37], v[48:49], v[64:65], v[36:37] op_sel:[0,0,1] op_sel_hi:[1,0,0]
	s_waitcnt vmcnt(10)
	v_pk_fma_f32 v[44:45], v[50:51], v[66:67], v[38:39] op_sel:[0,0,1] op_sel_hi:[1,1,0] neg_lo:[0,0,1] neg_hi:[0,0,1]
	v_pk_fma_f32 v[38:39], v[50:51], v[66:67], v[38:39] op_sel:[0,0,1] op_sel_hi:[1,0,0]
	v_fmac_f32_e32 v97, v41, v91
	v_add_f32_e32 v36, v84, v96
	v_add_f32_e32 v38, v86, v89
	;; [unrolled: 1-line block ×4, first 2 shown]
	v_mul_f32_e32 v83, v46, v88
	v_mul_f32_e32 v100, v47, v88
	v_mov_b32_e32 v43, v37
	v_add_f32_e32 v37, v36, v98
	v_add_f32_e32 v36, v38, v90
	v_mov_b32_e32 v88, v69
	v_fmac_f32_e32 v83, v47, v94
	v_fma_f32 v82, v46, v94, -v100
	v_pk_add_f32 v[34:35], v[36:37], v[34:35]
	s_waitcnt vmcnt(9)
	v_mov_b32_e32 v36, v73
	s_waitcnt lgkmcnt(2)
	v_pk_mul_f32 v[40:41], v[52:53], v[88:89] op_sel_hi:[1,0]
	v_pk_add_f32 v[34:35], v[34:35], v[82:83]
	v_pk_mul_f32 v[36:37], v[54:55], v[36:37] op_sel_hi:[1,0]
	v_pk_fma_f32 v[46:47], v[52:53], v[68:69], v[40:41] op_sel:[0,0,1] op_sel_hi:[1,1,0] neg_lo:[0,0,1] neg_hi:[0,0,1]
	v_pk_fma_f32 v[40:41], v[52:53], v[68:69], v[40:41] op_sel:[0,0,1] op_sel_hi:[1,0,0]
	v_mov_b32_e32 v45, v39
	v_pk_add_f32 v[34:35], v[34:35], v[42:43]
	v_pk_fma_f32 v[38:39], v[54:55], v[72:73], v[36:37] op_sel:[0,0,1] op_sel_hi:[1,1,0] neg_lo:[0,0,1] neg_hi:[0,0,1]
	v_pk_fma_f32 v[36:37], v[54:55], v[72:73], v[36:37] op_sel:[0,0,1] op_sel_hi:[1,0,0]
	v_mov_b32_e32 v47, v41
	v_pk_add_f32 v[34:35], v[34:35], v[44:45]
	s_waitcnt vmcnt(8)
	v_mov_b32_e32 v36, v71
	v_pk_add_f32 v[34:35], v[34:35], v[46:47]
	v_mov_b32_e32 v39, v37
	s_waitcnt lgkmcnt(1)
	v_pk_mul_f32 v[36:37], v[56:57], v[36:37] op_sel_hi:[1,0]
	v_pk_add_f32 v[34:35], v[34:35], v[38:39]
	v_pk_fma_f32 v[38:39], v[56:57], v[70:71], v[36:37] op_sel:[0,0,1] op_sel_hi:[1,1,0] neg_lo:[0,0,1] neg_hi:[0,0,1]
	v_pk_fma_f32 v[36:37], v[56:57], v[70:71], v[36:37] op_sel:[0,0,1] op_sel_hi:[1,0,0]
	s_waitcnt vmcnt(7)
	v_mov_b32_e32 v36, v75
	v_mov_b32_e32 v39, v37
	v_pk_mul_f32 v[36:37], v[58:59], v[36:37] op_sel_hi:[1,0]
	v_pk_add_f32 v[34:35], v[34:35], v[38:39]
	s_waitcnt vmcnt(4)
	v_pk_fma_f32 v[38:39], v[58:59], v[74:75], v[36:37] op_sel:[0,0,1] op_sel_hi:[1,1,0] neg_lo:[0,0,1] neg_hi:[0,0,1]
	v_pk_fma_f32 v[36:37], v[58:59], v[74:75], v[36:37] op_sel:[0,0,1] op_sel_hi:[1,0,0]
	s_waitcnt vmcnt(3)
	v_mov_b32_e32 v36, v79
	v_mov_b32_e32 v39, v37
	s_waitcnt lgkmcnt(0)
	v_pk_mul_f32 v[36:37], v[60:61], v[36:37] op_sel_hi:[1,0]
	v_pk_add_f32 v[34:35], v[34:35], v[38:39]
	v_pk_fma_f32 v[38:39], v[60:61], v[78:79], v[36:37] op_sel:[0,0,1] op_sel_hi:[1,1,0] neg_lo:[0,0,1] neg_hi:[0,0,1]
	v_pk_fma_f32 v[36:37], v[60:61], v[78:79], v[36:37] op_sel:[0,0,1] op_sel_hi:[1,0,0]
	s_waitcnt vmcnt(0)
	v_mov_b32_e32 v36, v77
	v_mov_b32_e32 v39, v37
	v_pk_mul_f32 v[36:37], v[62:63], v[36:37] op_sel_hi:[1,0]
	v_pk_add_f32 v[34:35], v[34:35], v[38:39]
	v_pk_fma_f32 v[38:39], v[62:63], v[76:77], v[36:37] op_sel:[0,0,1] op_sel_hi:[1,1,0] neg_lo:[0,0,1] neg_hi:[0,0,1]
	v_pk_fma_f32 v[36:37], v[62:63], v[76:77], v[36:37] op_sel:[0,0,1] op_sel_hi:[1,0,0]
	v_mov_b32_e32 v39, v37
	v_pk_add_f32 v[34:35], v[34:35], v[38:39]
	v_pk_add_f32 v[34:35], v[80:81], v[34:35] neg_lo:[0,1] neg_hi:[0,1]
	buffer_store_dword v35, off, s[0:3], 0 offset:12
	buffer_store_dword v34, off, s[0:3], 0 offset:8
	s_and_saveexec_b64 s[4:5], vcc
	s_cbranch_execz .LBB79_109
; %bb.108:
	buffer_load_dword v34, off, s[0:3], 0
	buffer_load_dword v35, off, s[0:3], 0 offset:4
	v_mov_b32_e32 v0, 0
	buffer_store_dword v0, off, s[0:3], 0
	buffer_store_dword v0, off, s[0:3], 0 offset:4
	s_waitcnt vmcnt(2)
	ds_write_b64 v1, v[34:35]
.LBB79_109:
	s_or_b64 exec, exec, s[4:5]
	s_waitcnt lgkmcnt(0)
	; wave barrier
	s_waitcnt lgkmcnt(0)
	buffer_load_dword v80, off, s[0:3], 0 offset:12
	buffer_load_dword v82, off, s[0:3], 0 offset:20
	;; [unrolled: 1-line block ×29, first 2 shown]
	buffer_load_dword v76, off, s[0:3], 0
	buffer_load_dword v77, off, s[0:3], 0 offset:4
	buffer_load_dword v71, off, s[0:3], 0 offset:124
	v_mov_b32_e32 v78, 0
	ds_read2_b64 v[34:37], v78 offset0:17 offset1:18
	ds_read2_b64 v[38:41], v78 offset0:19 offset1:20
	;; [unrolled: 1-line block ×7, first 2 shown]
	ds_read_b64 v[78:79], v78 offset:248
	s_and_b64 vcc, exec, s[16:17]
	s_waitcnt vmcnt(31) lgkmcnt(7)
	v_mul_f32_e32 v96, v34, v80
	s_waitcnt vmcnt(30)
	v_mul_f32_e32 v97, v36, v82
	s_waitcnt vmcnt(29) lgkmcnt(6)
	v_mul_f32_e32 v98, v38, v84
	s_waitcnt vmcnt(28)
	v_mul_f32_e32 v99, v40, v85
	v_mul_f32_e32 v80, v35, v80
	;; [unrolled: 1-line block ×4, first 2 shown]
	s_waitcnt vmcnt(24)
	v_mov_b32_e32 v84, v1
	s_waitcnt lgkmcnt(5)
	v_mul_f32_e32 v100, v42, v86
	v_mul_f32_e32 v82, v37, v82
	;; [unrolled: 1-line block ×3, first 2 shown]
	s_waitcnt vmcnt(22)
	v_fmac_f32_e32 v96, v35, v89
	s_waitcnt vmcnt(21)
	v_fmac_f32_e32 v97, v37, v90
	v_fma_f32 v37, v34, v89, -v80
	s_waitcnt lgkmcnt(4)
	v_pk_mul_f32 v[34:35], v[48:49], v[84:85] op_sel_hi:[1,0]
	s_waitcnt vmcnt(20)
	v_fmac_f32_e32 v98, v39, v91
	s_waitcnt vmcnt(19)
	v_fmac_f32_e32 v99, v41, v92
	;; [unrolled: 2-line block ×3, first 2 shown]
	v_fma_f32 v39, v36, v90, -v82
	v_fma_f32 v41, v42, v93, -v102
	v_add_f32_e32 v42, 0, v96
	v_add_f32_e32 v43, 0, v37
	s_waitcnt vmcnt(12)
	v_pk_fma_f32 v[36:37], v[48:49], v[0:1], v[34:35] op_sel:[0,0,1] op_sel_hi:[1,1,0] neg_lo:[0,0,1] neg_hi:[0,0,1]
	v_pk_fma_f32 v[0:1], v[48:49], v[0:1], v[34:35] op_sel:[0,0,1] op_sel_hi:[1,0,0]
	v_fma_f32 v38, v38, v91, -v101
	v_add_f32_e32 v0, v42, v97
	v_add_f32_e32 v34, v43, v39
	v_fma_f32 v40, v40, v92, -v85
	v_mov_b32_e32 v37, v1
	v_add_f32_e32 v0, v0, v98
	v_add_f32_e32 v1, v34, v38
	v_mul_f32_e32 v81, v44, v87
	v_mul_f32_e32 v87, v45, v87
	v_add_f32_e32 v0, v0, v99
	v_add_f32_e32 v34, v1, v40
	v_mul_f32_e32 v83, v46, v88
	v_mul_f32_e32 v88, v47, v88
	v_fmac_f32_e32 v81, v45, v94
	v_fma_f32 v80, v44, v94, -v87
	v_add_f32_e32 v1, v0, v100
	v_add_f32_e32 v0, v34, v41
	v_mov_b32_e32 v86, v63
	v_fmac_f32_e32 v83, v47, v95
	v_fma_f32 v82, v46, v95, -v88
	v_pk_add_f32 v[0:1], v[0:1], v[80:81]
	v_pk_add_f32 v[0:1], v[0:1], v[82:83]
	s_waitcnt lgkmcnt(3)
	v_pk_mul_f32 v[34:35], v[50:51], v[86:87] op_sel_hi:[1,0]
	v_pk_add_f32 v[0:1], v[0:1], v[36:37]
	v_pk_fma_f32 v[36:37], v[50:51], v[62:63], v[34:35] op_sel:[0,0,1] op_sel_hi:[1,1,0] neg_lo:[0,0,1] neg_hi:[0,0,1]
	v_pk_fma_f32 v[34:35], v[50:51], v[62:63], v[34:35] op_sel:[0,0,1] op_sel_hi:[1,0,0]
	s_waitcnt vmcnt(11)
	v_mov_b32_e32 v34, v67
	v_mov_b32_e32 v37, v35
	v_pk_mul_f32 v[34:35], v[52:53], v[34:35] op_sel_hi:[1,0]
	v_pk_add_f32 v[0:1], v[0:1], v[36:37]
	v_pk_fma_f32 v[36:37], v[52:53], v[66:67], v[34:35] op_sel:[0,0,1] op_sel_hi:[1,1,0] neg_lo:[0,0,1] neg_hi:[0,0,1]
	v_pk_fma_f32 v[34:35], v[52:53], v[66:67], v[34:35] op_sel:[0,0,1] op_sel_hi:[1,0,0]
	s_waitcnt vmcnt(10)
	v_mov_b32_e32 v34, v65
	v_mov_b32_e32 v37, v35
	s_waitcnt lgkmcnt(2)
	v_pk_mul_f32 v[34:35], v[54:55], v[34:35] op_sel_hi:[1,0]
	v_pk_add_f32 v[0:1], v[0:1], v[36:37]
	v_pk_fma_f32 v[36:37], v[54:55], v[64:65], v[34:35] op_sel:[0,0,1] op_sel_hi:[1,1,0] neg_lo:[0,0,1] neg_hi:[0,0,1]
	v_pk_fma_f32 v[34:35], v[54:55], v[64:65], v[34:35] op_sel:[0,0,1] op_sel_hi:[1,0,0]
	s_waitcnt vmcnt(9)
	v_mov_b32_e32 v34, v69
	v_mov_b32_e32 v37, v35
	v_pk_mul_f32 v[34:35], v[56:57], v[34:35] op_sel_hi:[1,0]
	v_pk_add_f32 v[0:1], v[0:1], v[36:37]
	s_waitcnt vmcnt(4)
	v_pk_fma_f32 v[36:37], v[56:57], v[68:69], v[34:35] op_sel:[0,0,1] op_sel_hi:[1,1,0] neg_lo:[0,0,1] neg_hi:[0,0,1]
	v_pk_fma_f32 v[34:35], v[56:57], v[68:69], v[34:35] op_sel:[0,0,1] op_sel_hi:[1,0,0]
	v_mov_b32_e32 v34, v75
	v_mov_b32_e32 v37, v35
	s_waitcnt lgkmcnt(1)
	v_pk_mul_f32 v[34:35], v[58:59], v[34:35] op_sel_hi:[1,0]
	v_pk_add_f32 v[0:1], v[0:1], v[36:37]
	v_pk_fma_f32 v[36:37], v[58:59], v[74:75], v[34:35] op_sel:[0,0,1] op_sel_hi:[1,1,0] neg_lo:[0,0,1] neg_hi:[0,0,1]
	v_pk_fma_f32 v[34:35], v[58:59], v[74:75], v[34:35] op_sel:[0,0,1] op_sel_hi:[1,0,0]
	s_waitcnt vmcnt(3)
	v_mov_b32_e32 v34, v73
	v_mov_b32_e32 v37, v35
	v_pk_mul_f32 v[34:35], v[60:61], v[34:35] op_sel_hi:[1,0]
	v_pk_add_f32 v[0:1], v[0:1], v[36:37]
	v_pk_fma_f32 v[36:37], v[60:61], v[72:73], v[34:35] op_sel:[0,0,1] op_sel_hi:[1,1,0] neg_lo:[0,0,1] neg_hi:[0,0,1]
	v_pk_fma_f32 v[34:35], v[60:61], v[72:73], v[34:35] op_sel:[0,0,1] op_sel_hi:[1,0,0]
	s_waitcnt vmcnt(0)
	v_mov_b32_e32 v34, v71
	v_mov_b32_e32 v37, v35
	s_waitcnt lgkmcnt(0)
	v_pk_mul_f32 v[34:35], v[78:79], v[34:35] op_sel_hi:[1,0]
	v_pk_add_f32 v[0:1], v[0:1], v[36:37]
	v_pk_fma_f32 v[36:37], v[78:79], v[70:71], v[34:35] op_sel:[0,0,1] op_sel_hi:[1,1,0] neg_lo:[0,0,1] neg_hi:[0,0,1]
	v_pk_fma_f32 v[34:35], v[78:79], v[70:71], v[34:35] op_sel:[0,0,1] op_sel_hi:[1,0,0]
	v_mov_b32_e32 v37, v35
	v_pk_add_f32 v[0:1], v[0:1], v[36:37]
	v_pk_add_f32 v[0:1], v[76:77], v[0:1] neg_lo:[0,1] neg_hi:[0,1]
	buffer_store_dword v1, off, s[0:3], 0 offset:4
	buffer_store_dword v0, off, s[0:3], 0
	s_cbranch_vccz .LBB79_141
; %bb.110:
	v_pk_mov_b32 v[0:1], s[10:11], s[10:11] op_sel:[0,1]
	flat_load_dword v0, v[0:1] offset:56
	s_waitcnt vmcnt(0) lgkmcnt(0)
	v_add_u32_e32 v0, -1, v0
	v_cmp_ne_u32_e32 vcc, 14, v0
	s_and_saveexec_b64 s[4:5], vcc
	s_cbranch_execz .LBB79_112
; %bb.111:
	v_mov_b32_e32 v1, 0
	v_lshl_add_u32 v0, v0, 3, v1
	buffer_load_dword v1, v0, s[0:3], 0 offen
	buffer_load_dword v34, v0, s[0:3], 0 offen offset:4
	buffer_load_dword v35, off, s[0:3], 0 offset:116
	buffer_load_dword v36, off, s[0:3], 0 offset:112
	s_waitcnt vmcnt(3)
	buffer_store_dword v1, off, s[0:3], 0 offset:112
	s_waitcnt vmcnt(3)
	buffer_store_dword v34, off, s[0:3], 0 offset:116
	s_waitcnt vmcnt(3)
	buffer_store_dword v35, v0, s[0:3], 0 offen offset:4
	s_waitcnt vmcnt(3)
	buffer_store_dword v36, v0, s[0:3], 0 offen
.LBB79_112:
	s_or_b64 exec, exec, s[4:5]
	v_pk_mov_b32 v[0:1], s[10:11], s[10:11] op_sel:[0,1]
	flat_load_dword v0, v[0:1] offset:52
	s_waitcnt vmcnt(0) lgkmcnt(0)
	v_add_u32_e32 v0, -1, v0
	v_cmp_ne_u32_e32 vcc, 13, v0
	s_and_saveexec_b64 s[4:5], vcc
	s_cbranch_execz .LBB79_114
; %bb.113:
	v_mov_b32_e32 v1, 0
	v_lshl_add_u32 v0, v0, 3, v1
	buffer_load_dword v1, v0, s[0:3], 0 offen
	buffer_load_dword v34, v0, s[0:3], 0 offen offset:4
	buffer_load_dword v35, off, s[0:3], 0 offset:104
	buffer_load_dword v36, off, s[0:3], 0 offset:108
	s_waitcnt vmcnt(3)
	buffer_store_dword v1, off, s[0:3], 0 offset:104
	s_waitcnt vmcnt(3)
	buffer_store_dword v34, off, s[0:3], 0 offset:108
	s_waitcnt vmcnt(3)
	buffer_store_dword v35, v0, s[0:3], 0 offen
	s_waitcnt vmcnt(3)
	buffer_store_dword v36, v0, s[0:3], 0 offen offset:4
.LBB79_114:
	s_or_b64 exec, exec, s[4:5]
	v_pk_mov_b32 v[0:1], s[10:11], s[10:11] op_sel:[0,1]
	flat_load_dword v0, v[0:1] offset:48
	s_waitcnt vmcnt(0) lgkmcnt(0)
	v_add_u32_e32 v0, -1, v0
	v_cmp_ne_u32_e32 vcc, 12, v0
	s_and_saveexec_b64 s[4:5], vcc
	s_cbranch_execz .LBB79_116
; %bb.115:
	v_mov_b32_e32 v1, 0
	v_lshl_add_u32 v0, v0, 3, v1
	buffer_load_dword v1, v0, s[0:3], 0 offen
	buffer_load_dword v34, v0, s[0:3], 0 offen offset:4
	buffer_load_dword v35, off, s[0:3], 0 offset:100
	buffer_load_dword v36, off, s[0:3], 0 offset:96
	s_waitcnt vmcnt(3)
	buffer_store_dword v1, off, s[0:3], 0 offset:96
	s_waitcnt vmcnt(3)
	buffer_store_dword v34, off, s[0:3], 0 offset:100
	s_waitcnt vmcnt(3)
	buffer_store_dword v35, v0, s[0:3], 0 offen offset:4
	s_waitcnt vmcnt(3)
	buffer_store_dword v36, v0, s[0:3], 0 offen
.LBB79_116:
	s_or_b64 exec, exec, s[4:5]
	v_pk_mov_b32 v[0:1], s[10:11], s[10:11] op_sel:[0,1]
	flat_load_dword v0, v[0:1] offset:44
	s_waitcnt vmcnt(0) lgkmcnt(0)
	v_add_u32_e32 v0, -1, v0
	v_cmp_ne_u32_e32 vcc, 11, v0
	s_and_saveexec_b64 s[4:5], vcc
	s_cbranch_execz .LBB79_118
; %bb.117:
	v_mov_b32_e32 v1, 0
	v_lshl_add_u32 v0, v0, 3, v1
	buffer_load_dword v1, v0, s[0:3], 0 offen
	buffer_load_dword v34, v0, s[0:3], 0 offen offset:4
	buffer_load_dword v35, off, s[0:3], 0 offset:88
	buffer_load_dword v36, off, s[0:3], 0 offset:92
	s_waitcnt vmcnt(3)
	buffer_store_dword v1, off, s[0:3], 0 offset:88
	s_waitcnt vmcnt(3)
	buffer_store_dword v34, off, s[0:3], 0 offset:92
	s_waitcnt vmcnt(3)
	buffer_store_dword v35, v0, s[0:3], 0 offen
	s_waitcnt vmcnt(3)
	buffer_store_dword v36, v0, s[0:3], 0 offen offset:4
.LBB79_118:
	s_or_b64 exec, exec, s[4:5]
	;; [unrolled: 48-line block ×7, first 2 shown]
	v_pk_mov_b32 v[0:1], s[10:11], s[10:11] op_sel:[0,1]
	flat_load_dword v34, v[0:1]
	s_nop 0
	buffer_load_dword v0, off, s[0:3], 0
	buffer_load_dword v1, off, s[0:3], 0 offset:4
	s_waitcnt vmcnt(0) lgkmcnt(0)
	v_add_u32_e32 v34, -1, v34
	v_cmp_ne_u32_e32 vcc, 0, v34
	s_and_saveexec_b64 s[4:5], vcc
	s_cbranch_execz .LBB79_140
; %bb.139:
	v_mov_b32_e32 v35, 0
	v_lshl_add_u32 v34, v34, 3, v35
	buffer_load_dword v35, v34, s[0:3], 0 offen offset:4
	buffer_load_dword v36, v34, s[0:3], 0 offen
	s_waitcnt vmcnt(1)
	buffer_store_dword v35, off, s[0:3], 0 offset:4
	s_waitcnt vmcnt(1)
	buffer_store_dword v36, off, s[0:3], 0
	buffer_store_dword v1, v34, s[0:3], 0 offen offset:4
	buffer_store_dword v0, v34, s[0:3], 0 offen
	buffer_load_dword v0, off, s[0:3], 0
	s_nop 0
	buffer_load_dword v1, off, s[0:3], 0 offset:4
.LBB79_140:
	s_or_b64 exec, exec, s[4:5]
.LBB79_141:
	buffer_load_dword v34, off, s[0:3], 0 offset:8
	buffer_load_dword v35, off, s[0:3], 0 offset:12
	;; [unrolled: 1-line block ×30, first 2 shown]
	s_waitcnt vmcnt(30)
	global_store_dwordx2 v[2:3], v[0:1], off
	s_waitcnt vmcnt(29)
	global_store_dwordx2 v[4:5], v[34:35], off
	;; [unrolled: 2-line block ×16, first 2 shown]
	s_endpgm
	.section	.rodata,"a",@progbits
	.p2align	6, 0x0
	.amdhsa_kernel _ZN9rocsolver6v33100L18getri_kernel_smallILi16E19rocblas_complex_numIfEPKPS3_EEvT1_iilPiilS8_bb
		.amdhsa_group_segment_fixed_size 260
		.amdhsa_private_segment_fixed_size 144
		.amdhsa_kernarg_size 60
		.amdhsa_user_sgpr_count 8
		.amdhsa_user_sgpr_private_segment_buffer 1
		.amdhsa_user_sgpr_dispatch_ptr 0
		.amdhsa_user_sgpr_queue_ptr 0
		.amdhsa_user_sgpr_kernarg_segment_ptr 1
		.amdhsa_user_sgpr_dispatch_id 0
		.amdhsa_user_sgpr_flat_scratch_init 1
		.amdhsa_user_sgpr_kernarg_preload_length 0
		.amdhsa_user_sgpr_kernarg_preload_offset 0
		.amdhsa_user_sgpr_private_segment_size 0
		.amdhsa_uses_dynamic_stack 0
		.amdhsa_system_sgpr_private_segment_wavefront_offset 1
		.amdhsa_system_sgpr_workgroup_id_x 1
		.amdhsa_system_sgpr_workgroup_id_y 0
		.amdhsa_system_sgpr_workgroup_id_z 0
		.amdhsa_system_sgpr_workgroup_info 0
		.amdhsa_system_vgpr_workitem_id 0
		.amdhsa_next_free_vgpr 103
		.amdhsa_next_free_sgpr 22
		.amdhsa_accum_offset 104
		.amdhsa_reserve_vcc 1
		.amdhsa_reserve_flat_scratch 1
		.amdhsa_float_round_mode_32 0
		.amdhsa_float_round_mode_16_64 0
		.amdhsa_float_denorm_mode_32 3
		.amdhsa_float_denorm_mode_16_64 3
		.amdhsa_dx10_clamp 1
		.amdhsa_ieee_mode 1
		.amdhsa_fp16_overflow 0
		.amdhsa_tg_split 0
		.amdhsa_exception_fp_ieee_invalid_op 0
		.amdhsa_exception_fp_denorm_src 0
		.amdhsa_exception_fp_ieee_div_zero 0
		.amdhsa_exception_fp_ieee_overflow 0
		.amdhsa_exception_fp_ieee_underflow 0
		.amdhsa_exception_fp_ieee_inexact 0
		.amdhsa_exception_int_div_zero 0
	.end_amdhsa_kernel
	.section	.text._ZN9rocsolver6v33100L18getri_kernel_smallILi16E19rocblas_complex_numIfEPKPS3_EEvT1_iilPiilS8_bb,"axG",@progbits,_ZN9rocsolver6v33100L18getri_kernel_smallILi16E19rocblas_complex_numIfEPKPS3_EEvT1_iilPiilS8_bb,comdat
.Lfunc_end79:
	.size	_ZN9rocsolver6v33100L18getri_kernel_smallILi16E19rocblas_complex_numIfEPKPS3_EEvT1_iilPiilS8_bb, .Lfunc_end79-_ZN9rocsolver6v33100L18getri_kernel_smallILi16E19rocblas_complex_numIfEPKPS3_EEvT1_iilPiilS8_bb
                                        ; -- End function
	.section	.AMDGPU.csdata,"",@progbits
; Kernel info:
; codeLenInByte = 17216
; NumSgprs: 28
; NumVgprs: 103
; NumAgprs: 0
; TotalNumVgprs: 103
; ScratchSize: 144
; MemoryBound: 0
; FloatMode: 240
; IeeeMode: 1
; LDSByteSize: 260 bytes/workgroup (compile time only)
; SGPRBlocks: 3
; VGPRBlocks: 12
; NumSGPRsForWavesPerEU: 28
; NumVGPRsForWavesPerEU: 103
; AccumOffset: 104
; Occupancy: 4
; WaveLimiterHint : 1
; COMPUTE_PGM_RSRC2:SCRATCH_EN: 1
; COMPUTE_PGM_RSRC2:USER_SGPR: 8
; COMPUTE_PGM_RSRC2:TRAP_HANDLER: 0
; COMPUTE_PGM_RSRC2:TGID_X_EN: 1
; COMPUTE_PGM_RSRC2:TGID_Y_EN: 0
; COMPUTE_PGM_RSRC2:TGID_Z_EN: 0
; COMPUTE_PGM_RSRC2:TIDIG_COMP_CNT: 0
; COMPUTE_PGM_RSRC3_GFX90A:ACCUM_OFFSET: 25
; COMPUTE_PGM_RSRC3_GFX90A:TG_SPLIT: 0
	.section	.text._ZN9rocsolver6v33100L18getri_kernel_smallILi17E19rocblas_complex_numIfEPKPS3_EEvT1_iilPiilS8_bb,"axG",@progbits,_ZN9rocsolver6v33100L18getri_kernel_smallILi17E19rocblas_complex_numIfEPKPS3_EEvT1_iilPiilS8_bb,comdat
	.globl	_ZN9rocsolver6v33100L18getri_kernel_smallILi17E19rocblas_complex_numIfEPKPS3_EEvT1_iilPiilS8_bb ; -- Begin function _ZN9rocsolver6v33100L18getri_kernel_smallILi17E19rocblas_complex_numIfEPKPS3_EEvT1_iilPiilS8_bb
	.p2align	8
	.type	_ZN9rocsolver6v33100L18getri_kernel_smallILi17E19rocblas_complex_numIfEPKPS3_EEvT1_iilPiilS8_bb,@function
_ZN9rocsolver6v33100L18getri_kernel_smallILi17E19rocblas_complex_numIfEPKPS3_EEvT1_iilPiilS8_bb: ; @_ZN9rocsolver6v33100L18getri_kernel_smallILi17E19rocblas_complex_numIfEPKPS3_EEvT1_iilPiilS8_bb
; %bb.0:
	s_add_u32 flat_scratch_lo, s6, s9
	s_addc_u32 flat_scratch_hi, s7, 0
	s_add_u32 s0, s0, s9
	s_addc_u32 s1, s1, 0
	v_cmp_gt_u32_e32 vcc, 17, v0
	s_and_saveexec_b64 s[6:7], vcc
	s_cbranch_execz .LBB80_82
; %bb.1:
	s_load_dword s18, s[4:5], 0x38
	s_load_dwordx2 s[6:7], s[4:5], 0x0
	s_load_dwordx4 s[12:15], s[4:5], 0x28
	s_waitcnt lgkmcnt(0)
	s_bitcmp1_b32 s18, 8
	s_cselect_b64 s[16:17], -1, 0
	s_ashr_i32 s9, s8, 31
	s_lshl_b64 s[10:11], s[8:9], 3
	s_add_u32 s6, s6, s10
	s_addc_u32 s7, s7, s11
	s_load_dwordx2 s[6:7], s[6:7], 0x0
	s_bfe_u32 s10, s18, 0x10008
	s_cmp_eq_u32 s10, 0
                                        ; implicit-def: $sgpr10_sgpr11
	s_cbranch_scc1 .LBB80_3
; %bb.2:
	s_load_dword s10, s[4:5], 0x20
	s_load_dwordx2 s[20:21], s[4:5], 0x18
	s_mul_i32 s11, s8, s13
	s_mul_hi_u32 s13, s8, s12
	s_add_i32 s13, s13, s11
	s_mul_i32 s19, s9, s12
	s_add_i32 s13, s13, s19
	s_mul_i32 s12, s8, s12
	s_waitcnt lgkmcnt(0)
	s_ashr_i32 s11, s10, 31
	s_lshl_b64 s[12:13], s[12:13], 2
	s_add_u32 s12, s20, s12
	s_addc_u32 s13, s21, s13
	s_lshl_b64 s[10:11], s[10:11], 2
	s_add_u32 s10, s12, s10
	s_addc_u32 s11, s13, s11
.LBB80_3:
	s_load_dwordx2 s[4:5], s[4:5], 0x8
	v_lshlrev_b32_e32 v40, 3, v0
	s_waitcnt lgkmcnt(0)
	s_ashr_i32 s13, s4, 31
	s_mov_b32 s12, s4
	s_lshl_b64 s[12:13], s[12:13], 3
	s_add_u32 s6, s6, s12
	s_addc_u32 s7, s7, s13
	v_mov_b32_e32 v1, s7
	v_add_co_u32_e32 v2, vcc, s6, v40
	s_ashr_i32 s13, s5, 31
	s_mov_b32 s12, s5
	s_add_i32 s4, s5, s5
	v_addc_co_u32_e32 v3, vcc, 0, v1, vcc
	s_lshl_b64 s[12:13], s[12:13], 3
	v_add_u32_e32 v8, s4, v0
	v_mov_b32_e32 v1, s13
	v_add_co_u32_e32 v4, vcc, s12, v2
	v_ashrrev_i32_e32 v9, 31, v8
	v_addc_co_u32_e32 v5, vcc, v3, v1, vcc
	v_lshlrev_b64 v[6:7], 3, v[8:9]
	v_add_u32_e32 v10, s5, v8
	v_mov_b32_e32 v1, s7
	v_add_co_u32_e32 v6, vcc, s6, v6
	v_ashrrev_i32_e32 v11, 31, v10
	v_addc_co_u32_e32 v7, vcc, v1, v7, vcc
	v_lshlrev_b64 v[8:9], 3, v[10:11]
	v_add_u32_e32 v10, s5, v10
	v_add_co_u32_e32 v8, vcc, s6, v8
	v_ashrrev_i32_e32 v11, 31, v10
	v_addc_co_u32_e32 v9, vcc, v1, v9, vcc
	v_add_u32_e32 v12, s5, v10
	v_lshlrev_b64 v[10:11], 3, v[10:11]
	v_ashrrev_i32_e32 v13, 31, v12
	v_add_co_u32_e32 v10, vcc, s6, v10
	v_add_u32_e32 v14, s5, v12
	v_addc_co_u32_e32 v11, vcc, v1, v11, vcc
	v_lshlrev_b64 v[12:13], 3, v[12:13]
	v_mov_b32_e32 v17, s7
	v_ashrrev_i32_e32 v15, 31, v14
	v_add_co_u32_e32 v12, vcc, s6, v12
	v_add_u32_e32 v16, s5, v14
	v_addc_co_u32_e32 v13, vcc, v17, v13, vcc
	v_lshlrev_b64 v[14:15], 3, v[14:15]
	v_mov_b32_e32 v19, s7
	;; [unrolled: 6-line block ×4, first 2 shown]
	v_add_co_u32_e32 v18, vcc, s6, v18
	v_ashrrev_i32_e32 v23, 31, v22
	v_addc_co_u32_e32 v19, vcc, v21, v19, vcc
	v_lshlrev_b64 v[20:21], 3, v[22:23]
	v_add_u32_e32 v24, s5, v22
	v_add_co_u32_e32 v20, vcc, s6, v20
	v_ashrrev_i32_e32 v25, 31, v24
	v_addc_co_u32_e32 v21, vcc, v1, v21, vcc
	v_lshlrev_b64 v[22:23], 3, v[24:25]
	v_add_u32_e32 v26, s5, v24
	;; [unrolled: 5-line block ×6, first 2 shown]
	v_add_co_u32_e32 v30, vcc, s6, v30
	v_ashrrev_i32_e32 v35, 31, v34
	v_addc_co_u32_e32 v31, vcc, v1, v31, vcc
	v_lshlrev_b64 v[32:33], 3, v[34:35]
	v_add_co_u32_e32 v32, vcc, s6, v32
	global_load_dwordx2 v[36:37], v40, s[6:7]
	global_load_dwordx2 v[38:39], v[4:5], off
	global_load_dwordx2 v[42:43], v[6:7], off
	global_load_dwordx2 v[44:45], v[8:9], off
	global_load_dwordx2 v[46:47], v[10:11], off
	global_load_dwordx2 v[48:49], v[12:13], off
	global_load_dwordx2 v[50:51], v[14:15], off
	global_load_dwordx2 v[52:53], v[16:17], off
	global_load_dwordx2 v[54:55], v[18:19], off
	global_load_dwordx2 v[56:57], v[20:21], off
	global_load_dwordx2 v[58:59], v[22:23], off
	global_load_dwordx2 v[60:61], v[24:25], off
	global_load_dwordx2 v[62:63], v[26:27], off
	v_addc_co_u32_e32 v33, vcc, v1, v33, vcc
	global_load_dwordx2 v[64:65], v[28:29], off
	global_load_dwordx2 v[66:67], v[30:31], off
	;; [unrolled: 1-line block ×3, first 2 shown]
	v_add_u32_e32 v34, s5, v34
	v_ashrrev_i32_e32 v35, 31, v34
	v_lshlrev_b64 v[34:35], 3, v[34:35]
	v_add_co_u32_e32 v34, vcc, s6, v34
	v_addc_co_u32_e32 v35, vcc, v1, v35, vcc
	global_load_dwordx2 v[70:71], v[34:35], off
	s_bitcmp0_b32 s18, 0
	s_mov_b64 s[6:7], -1
	s_waitcnt vmcnt(16)
	buffer_store_dword v37, off, s[0:3], 0 offset:4
	buffer_store_dword v36, off, s[0:3], 0
	s_waitcnt vmcnt(17)
	buffer_store_dword v39, off, s[0:3], 0 offset:12
	buffer_store_dword v38, off, s[0:3], 0 offset:8
	s_waitcnt vmcnt(18)
	buffer_store_dword v43, off, s[0:3], 0 offset:20
	buffer_store_dword v42, off, s[0:3], 0 offset:16
	;; [unrolled: 3-line block ×16, first 2 shown]
	s_cbranch_scc1 .LBB80_80
; %bb.4:
	v_cmp_eq_u32_e64 s[4:5], 0, v0
	s_and_saveexec_b64 s[6:7], s[4:5]
	s_cbranch_execz .LBB80_6
; %bb.5:
	v_mov_b32_e32 v1, 0
	ds_write_b32 v1, v1 offset:136
.LBB80_6:
	s_or_b64 exec, exec, s[6:7]
	v_mov_b32_e32 v1, 0
	v_lshl_add_u32 v41, v0, 3, v1
	s_waitcnt lgkmcnt(0)
	; wave barrier
	s_waitcnt lgkmcnt(0)
	buffer_load_dword v1, v41, s[0:3], 0 offen
	buffer_load_dword v36, v41, s[0:3], 0 offen offset:4
	s_waitcnt vmcnt(1)
	v_cmp_eq_f32_e32 vcc, 0, v1
	s_waitcnt vmcnt(0)
	v_cmp_eq_f32_e64 s[6:7], 0, v36
	s_and_b64 s[6:7], vcc, s[6:7]
	s_and_saveexec_b64 s[12:13], s[6:7]
	s_cbranch_execz .LBB80_10
; %bb.7:
	v_mov_b32_e32 v1, 0
	ds_read_b32 v37, v1 offset:136
	v_add_u32_e32 v36, 1, v0
	s_waitcnt lgkmcnt(0)
	v_readfirstlane_b32 s6, v37
	s_cmp_eq_u32 s6, 0
	s_cselect_b64 s[18:19], -1, 0
	v_cmp_gt_i32_e32 vcc, s6, v36
	s_or_b64 s[18:19], s[18:19], vcc
	s_and_b64 exec, exec, s[18:19]
	s_cbranch_execz .LBB80_10
; %bb.8:
	s_mov_b64 s[18:19], 0
	v_mov_b32_e32 v37, s6
.LBB80_9:                               ; =>This Inner Loop Header: Depth=1
	ds_cmpst_rtn_b32 v37, v1, v37, v36 offset:136
	s_waitcnt lgkmcnt(0)
	v_cmp_ne_u32_e32 vcc, 0, v37
	v_cmp_le_i32_e64 s[6:7], v37, v36
	s_and_b64 s[6:7], vcc, s[6:7]
	s_and_b64 s[6:7], exec, s[6:7]
	s_or_b64 s[18:19], s[6:7], s[18:19]
	s_andn2_b64 exec, exec, s[18:19]
	s_cbranch_execnz .LBB80_9
.LBB80_10:
	s_or_b64 exec, exec, s[12:13]
	v_mov_b32_e32 v36, 0
	s_waitcnt lgkmcnt(0)
	; wave barrier
	ds_read_b32 v1, v36 offset:136
	s_and_saveexec_b64 s[6:7], s[4:5]
	s_cbranch_execz .LBB80_12
; %bb.11:
	s_lshl_b64 s[12:13], s[8:9], 2
	s_add_u32 s12, s14, s12
	s_addc_u32 s13, s15, s13
	s_waitcnt lgkmcnt(0)
	global_store_dword v36, v1, s[12:13]
.LBB80_12:
	s_or_b64 exec, exec, s[6:7]
	s_waitcnt lgkmcnt(0)
	v_cmp_ne_u32_e32 vcc, 0, v1
	s_mov_b64 s[6:7], 0
	s_cbranch_vccnz .LBB80_80
; %bb.13:
	buffer_load_dword v42, v41, s[0:3], 0 offen offset:4
	buffer_load_dword v37, v41, s[0:3], 0 offen
	s_waitcnt vmcnt(1)
	v_cmp_gt_f32_e32 vcc, 0, v42
	v_cndmask_b32_e64 v1, v42, -v42, vcc
	s_waitcnt vmcnt(0)
	v_cmp_gt_f32_e32 vcc, 0, v37
	v_cndmask_b32_e64 v36, v37, -v37, vcc
	v_cmp_ngt_f32_e32 vcc, v36, v1
                                        ; implicit-def: $vgpr1
                                        ; implicit-def: $vgpr36
	s_and_saveexec_b64 s[6:7], vcc
	s_xor_b64 s[6:7], exec, s[6:7]
                                        ; implicit-def: $vgpr38_vgpr39
	s_cbranch_execz .LBB80_15
; %bb.14:
	v_div_scale_f32 v1, s[12:13], v42, v42, v37
	v_rcp_f32_e32 v36, v1
	v_div_scale_f32 v38, vcc, v37, v42, v37
	v_fma_f32 v39, -v1, v36, 1.0
	v_fmac_f32_e32 v36, v39, v36
	v_mul_f32_e32 v39, v38, v36
	v_fma_f32 v43, -v1, v39, v38
	v_fmac_f32_e32 v39, v43, v36
	v_fma_f32 v1, -v1, v39, v38
	v_div_fmas_f32 v1, v1, v36, v39
	v_div_fixup_f32 v36, v1, v42, v37
	v_fmac_f32_e32 v42, v37, v36
	v_div_scale_f32 v1, s[12:13], v42, v42, -1.0
	v_rcp_f32_e32 v37, v1
	v_fma_f32 v38, -v1, v37, 1.0
	v_fmac_f32_e32 v37, v38, v37
	v_div_scale_f32 v38, vcc, -1.0, v42, -1.0
	v_mul_f32_e32 v39, v38, v37
	v_fma_f32 v43, -v1, v39, v38
	v_fmac_f32_e32 v39, v43, v37
	v_fma_f32 v1, -v1, v39, v38
	v_div_fmas_f32 v1, v1, v37, v39
	v_div_fixup_f32 v1, v1, v42, -1.0
	v_mul_f32_e32 v36, v36, v1
	v_xor_b32_e32 v38, 0x80000000, v36
                                        ; implicit-def: $vgpr37
                                        ; implicit-def: $vgpr42
.LBB80_15:
	s_andn2_saveexec_b64 s[6:7], s[6:7]
	s_cbranch_execz .LBB80_17
; %bb.16:
	v_div_scale_f32 v1, s[12:13], v37, v37, v42
	v_rcp_f32_e32 v36, v1
	v_div_scale_f32 v38, vcc, v42, v37, v42
	v_fma_f32 v39, -v1, v36, 1.0
	v_fmac_f32_e32 v36, v39, v36
	v_mul_f32_e32 v39, v38, v36
	v_fma_f32 v43, -v1, v39, v38
	v_fmac_f32_e32 v39, v43, v36
	v_fma_f32 v1, -v1, v39, v38
	v_div_fmas_f32 v1, v1, v36, v39
	v_div_fixup_f32 v1, v1, v37, v42
	v_fmac_f32_e32 v37, v42, v1
	v_div_scale_f32 v36, s[12:13], v37, v37, 1.0
	v_rcp_f32_e32 v38, v36
	v_fma_f32 v39, -v36, v38, 1.0
	v_fmac_f32_e32 v38, v39, v38
	v_div_scale_f32 v39, vcc, 1.0, v37, 1.0
	v_mul_f32_e32 v42, v39, v38
	v_fma_f32 v43, -v36, v42, v39
	v_fmac_f32_e32 v42, v43, v38
	v_fma_f32 v36, -v36, v42, v39
	v_div_fmas_f32 v36, v36, v38, v42
	v_div_fixup_f32 v38, v36, v37, 1.0
	v_xor_b32_e32 v36, 0x80000000, v38
	v_mul_f32_e64 v1, v1, -v38
.LBB80_17:
	s_or_b64 exec, exec, s[6:7]
	buffer_store_dword v1, v41, s[0:3], 0 offen offset:4
	buffer_store_dword v38, v41, s[0:3], 0 offen
	buffer_load_dword v39, off, s[0:3], 0 offset:12
	s_nop 0
	buffer_load_dword v38, off, s[0:3], 0 offset:8
	v_xor_b32_e32 v37, 0x80000000, v1
	v_add_u32_e32 v1, 0x90, v40
	s_waitcnt vmcnt(0)
	ds_write2_b64 v40, v[36:37], v[38:39] offset1:18
	s_waitcnt lgkmcnt(0)
	; wave barrier
	s_waitcnt lgkmcnt(0)
	s_and_saveexec_b64 s[6:7], s[4:5]
	s_cbranch_execz .LBB80_19
; %bb.18:
	buffer_load_dword v42, v41, s[0:3], 0 offen offset:4
	buffer_load_dword v43, v41, s[0:3], 0 offen
	ds_read_b64 v[36:37], v1
	v_mov_b32_e32 v38, 0
	ds_read_b64 v[38:39], v38 offset:8
	s_waitcnt vmcnt(1) lgkmcnt(1)
	v_mul_f32_e32 v44, v37, v42
	v_mul_f32_e32 v42, v36, v42
	s_waitcnt vmcnt(0)
	v_fmac_f32_e32 v42, v37, v43
	v_fma_f32 v36, v36, v43, -v44
	v_add_f32_e32 v37, 0, v42
	v_add_f32_e32 v36, 0, v36
	s_waitcnt lgkmcnt(0)
	v_mul_f32_e32 v42, v37, v39
	v_mul_f32_e32 v39, v36, v39
	v_fma_f32 v36, v36, v38, -v42
	v_fmac_f32_e32 v39, v37, v38
	buffer_store_dword v36, off, s[0:3], 0 offset:8
	buffer_store_dword v39, off, s[0:3], 0 offset:12
.LBB80_19:
	s_or_b64 exec, exec, s[6:7]
	s_waitcnt lgkmcnt(0)
	; wave barrier
	buffer_load_dword v36, off, s[0:3], 0 offset:16
	buffer_load_dword v37, off, s[0:3], 0 offset:20
	v_cmp_gt_u32_e32 vcc, 2, v0
	s_waitcnt vmcnt(0)
	ds_write_b64 v1, v[36:37]
	s_waitcnt lgkmcnt(0)
	; wave barrier
	s_waitcnt lgkmcnt(0)
	s_and_saveexec_b64 s[6:7], vcc
	s_cbranch_execz .LBB80_23
; %bb.20:
	buffer_load_dword v38, v41, s[0:3], 0 offen offset:4
	buffer_load_dword v39, v41, s[0:3], 0 offen
	ds_read_b64 v[36:37], v1
	s_waitcnt vmcnt(1) lgkmcnt(0)
	v_mul_f32_e32 v41, v37, v38
	v_mul_f32_e32 v38, v36, v38
	s_waitcnt vmcnt(0)
	v_fma_f32 v36, v36, v39, -v41
	v_fmac_f32_e32 v38, v37, v39
	v_add_f32_e32 v37, 0, v36
	v_add_f32_e32 v36, 0, v38
	s_and_saveexec_b64 s[12:13], s[4:5]
	s_cbranch_execz .LBB80_22
; %bb.21:
	buffer_load_dword v41, off, s[0:3], 0 offset:12
	buffer_load_dword v42, off, s[0:3], 0 offset:8
	v_mov_b32_e32 v38, 0
	ds_read_b64 v[38:39], v38 offset:152
	s_waitcnt vmcnt(1) lgkmcnt(0)
	v_mul_f32_e32 v43, v38, v41
	v_mul_f32_e32 v41, v39, v41
	s_waitcnt vmcnt(0)
	v_fmac_f32_e32 v43, v39, v42
	v_fma_f32 v38, v38, v42, -v41
	v_add_f32_e32 v36, v36, v43
	v_add_f32_e32 v37, v37, v38
.LBB80_22:
	s_or_b64 exec, exec, s[12:13]
	v_mov_b32_e32 v38, 0
	ds_read_b64 v[38:39], v38 offset:16
	s_waitcnt lgkmcnt(0)
	v_mul_f32_e32 v41, v36, v39
	v_mul_f32_e32 v39, v37, v39
	v_fma_f32 v37, v37, v38, -v41
	v_fmac_f32_e32 v39, v36, v38
	buffer_store_dword v37, off, s[0:3], 0 offset:16
	buffer_store_dword v39, off, s[0:3], 0 offset:20
.LBB80_23:
	s_or_b64 exec, exec, s[6:7]
	s_waitcnt lgkmcnt(0)
	; wave barrier
	buffer_load_dword v36, off, s[0:3], 0 offset:24
	buffer_load_dword v37, off, s[0:3], 0 offset:28
	v_cmp_gt_u32_e32 vcc, 3, v0
	s_waitcnt vmcnt(0)
	ds_write_b64 v1, v[36:37]
	v_add_u32_e32 v36, -1, v0
	s_waitcnt lgkmcnt(0)
	; wave barrier
	s_waitcnt lgkmcnt(0)
	s_and_saveexec_b64 s[4:5], vcc
	s_cbranch_execz .LBB80_27
; %bb.24:
	v_add_u32_e32 v38, -1, v0
	v_add_u32_e32 v39, 0x90, v40
	v_add_u32_e32 v41, 0, v40
	s_mov_b64 s[6:7], 0
	v_mov_b32_e32 v37, 0
	v_mov_b32_e32 v42, 0
.LBB80_25:                              ; =>This Inner Loop Header: Depth=1
	buffer_load_dword v43, v41, s[0:3], 0 offen offset:4
	buffer_load_dword v46, v41, s[0:3], 0 offen
	ds_read_b64 v[44:45], v39
	v_add_u32_e32 v38, 1, v38
	v_cmp_lt_u32_e32 vcc, 1, v38
	v_add_u32_e32 v39, 8, v39
	v_add_u32_e32 v41, 8, v41
	s_or_b64 s[6:7], vcc, s[6:7]
	s_waitcnt vmcnt(1) lgkmcnt(0)
	v_mul_f32_e32 v47, v45, v43
	v_mul_f32_e32 v43, v44, v43
	s_waitcnt vmcnt(0)
	v_fma_f32 v44, v44, v46, -v47
	v_fmac_f32_e32 v43, v45, v46
	v_add_f32_e32 v42, v42, v44
	v_add_f32_e32 v37, v37, v43
	s_andn2_b64 exec, exec, s[6:7]
	s_cbranch_execnz .LBB80_25
; %bb.26:
	s_or_b64 exec, exec, s[6:7]
	v_mov_b32_e32 v38, 0
	ds_read_b64 v[38:39], v38 offset:24
	s_waitcnt lgkmcnt(0)
	v_mul_f32_e32 v41, v37, v39
	v_mul_f32_e32 v39, v42, v39
	v_fma_f32 v41, v42, v38, -v41
	v_fmac_f32_e32 v39, v37, v38
	buffer_store_dword v41, off, s[0:3], 0 offset:24
	buffer_store_dword v39, off, s[0:3], 0 offset:28
.LBB80_27:
	s_or_b64 exec, exec, s[4:5]
	s_waitcnt lgkmcnt(0)
	; wave barrier
	buffer_load_dword v38, off, s[0:3], 0 offset:32
	buffer_load_dword v39, off, s[0:3], 0 offset:36
	v_cmp_gt_u32_e32 vcc, 4, v0
	s_waitcnt vmcnt(0)
	ds_write_b64 v1, v[38:39]
	s_waitcnt lgkmcnt(0)
	; wave barrier
	s_waitcnt lgkmcnt(0)
	s_and_saveexec_b64 s[4:5], vcc
	s_cbranch_execz .LBB80_31
; %bb.28:
	v_add_u32_e32 v38, -1, v0
	v_add_u32_e32 v39, 0x90, v40
	v_add_u32_e32 v41, 0, v40
	s_mov_b64 s[6:7], 0
	v_mov_b32_e32 v37, 0
	v_mov_b32_e32 v42, 0
.LBB80_29:                              ; =>This Inner Loop Header: Depth=1
	buffer_load_dword v43, v41, s[0:3], 0 offen offset:4
	buffer_load_dword v46, v41, s[0:3], 0 offen
	ds_read_b64 v[44:45], v39
	v_add_u32_e32 v38, 1, v38
	v_cmp_lt_u32_e32 vcc, 2, v38
	v_add_u32_e32 v39, 8, v39
	v_add_u32_e32 v41, 8, v41
	s_or_b64 s[6:7], vcc, s[6:7]
	s_waitcnt vmcnt(1) lgkmcnt(0)
	v_mul_f32_e32 v47, v45, v43
	v_mul_f32_e32 v43, v44, v43
	s_waitcnt vmcnt(0)
	v_fma_f32 v44, v44, v46, -v47
	v_fmac_f32_e32 v43, v45, v46
	v_add_f32_e32 v42, v42, v44
	v_add_f32_e32 v37, v37, v43
	s_andn2_b64 exec, exec, s[6:7]
	s_cbranch_execnz .LBB80_29
; %bb.30:
	s_or_b64 exec, exec, s[6:7]
	v_mov_b32_e32 v38, 0
	ds_read_b64 v[38:39], v38 offset:32
	s_waitcnt lgkmcnt(0)
	v_mul_f32_e32 v41, v37, v39
	v_mul_f32_e32 v39, v42, v39
	v_fma_f32 v41, v42, v38, -v41
	v_fmac_f32_e32 v39, v37, v38
	buffer_store_dword v41, off, s[0:3], 0 offset:32
	buffer_store_dword v39, off, s[0:3], 0 offset:36
.LBB80_31:
	s_or_b64 exec, exec, s[4:5]
	s_waitcnt lgkmcnt(0)
	; wave barrier
	buffer_load_dword v38, off, s[0:3], 0 offset:40
	buffer_load_dword v39, off, s[0:3], 0 offset:44
	v_cmp_gt_u32_e32 vcc, 5, v0
	s_waitcnt vmcnt(0)
	ds_write_b64 v1, v[38:39]
	;; [unrolled: 51-line block ×12, first 2 shown]
	s_waitcnt lgkmcnt(0)
	; wave barrier
	s_waitcnt lgkmcnt(0)
	s_and_saveexec_b64 s[4:5], vcc
	s_cbranch_execz .LBB80_75
; %bb.72:
	v_add_u32_e32 v38, -1, v0
	v_add_u32_e32 v39, 0x90, v40
	v_add_u32_e32 v41, 0, v40
	s_mov_b64 s[6:7], 0
	v_mov_b32_e32 v37, 0
	v_mov_b32_e32 v42, 0
.LBB80_73:                              ; =>This Inner Loop Header: Depth=1
	buffer_load_dword v43, v41, s[0:3], 0 offen offset:4
	buffer_load_dword v46, v41, s[0:3], 0 offen
	ds_read_b64 v[44:45], v39
	v_add_u32_e32 v38, 1, v38
	v_cmp_lt_u32_e32 vcc, 13, v38
	v_add_u32_e32 v39, 8, v39
	v_add_u32_e32 v41, 8, v41
	s_or_b64 s[6:7], vcc, s[6:7]
	s_waitcnt vmcnt(1) lgkmcnt(0)
	v_mul_f32_e32 v47, v45, v43
	v_mul_f32_e32 v43, v44, v43
	s_waitcnt vmcnt(0)
	v_fma_f32 v44, v44, v46, -v47
	v_fmac_f32_e32 v43, v45, v46
	v_add_f32_e32 v42, v42, v44
	v_add_f32_e32 v37, v37, v43
	s_andn2_b64 exec, exec, s[6:7]
	s_cbranch_execnz .LBB80_73
; %bb.74:
	s_or_b64 exec, exec, s[6:7]
	v_mov_b32_e32 v38, 0
	ds_read_b64 v[38:39], v38 offset:120
	s_waitcnt lgkmcnt(0)
	v_mul_f32_e32 v41, v37, v39
	v_mul_f32_e32 v39, v42, v39
	v_fma_f32 v41, v42, v38, -v41
	v_fmac_f32_e32 v39, v37, v38
	buffer_store_dword v41, off, s[0:3], 0 offset:120
	buffer_store_dword v39, off, s[0:3], 0 offset:124
.LBB80_75:
	s_or_b64 exec, exec, s[4:5]
	s_waitcnt lgkmcnt(0)
	; wave barrier
	buffer_load_dword v38, off, s[0:3], 0 offset:128
	buffer_load_dword v39, off, s[0:3], 0 offset:132
	v_cmp_ne_u32_e32 vcc, 16, v0
	s_waitcnt vmcnt(0)
	ds_write_b64 v1, v[38:39]
	s_waitcnt lgkmcnt(0)
	; wave barrier
	s_waitcnt lgkmcnt(0)
	s_and_saveexec_b64 s[4:5], vcc
	s_cbranch_execz .LBB80_79
; %bb.76:
	v_add_u32_e32 v37, 0x90, v40
	v_add_u32_e32 v38, 0, v40
	s_mov_b64 s[6:7], 0
	v_mov_b32_e32 v1, 0
	v_mov_b32_e32 v39, 0
.LBB80_77:                              ; =>This Inner Loop Header: Depth=1
	buffer_load_dword v42, v38, s[0:3], 0 offen offset:4
	buffer_load_dword v43, v38, s[0:3], 0 offen
	ds_read_b64 v[40:41], v37
	v_add_u32_e32 v36, 1, v36
	v_cmp_lt_u32_e32 vcc, 14, v36
	v_add_u32_e32 v37, 8, v37
	v_add_u32_e32 v38, 8, v38
	s_or_b64 s[6:7], vcc, s[6:7]
	s_waitcnt vmcnt(1) lgkmcnt(0)
	v_mul_f32_e32 v44, v41, v42
	v_mul_f32_e32 v42, v40, v42
	s_waitcnt vmcnt(0)
	v_fma_f32 v40, v40, v43, -v44
	v_fmac_f32_e32 v42, v41, v43
	v_add_f32_e32 v39, v39, v40
	v_add_f32_e32 v1, v1, v42
	s_andn2_b64 exec, exec, s[6:7]
	s_cbranch_execnz .LBB80_77
; %bb.78:
	s_or_b64 exec, exec, s[6:7]
	v_mov_b32_e32 v36, 0
	ds_read_b64 v[36:37], v36 offset:128
	s_waitcnt lgkmcnt(0)
	v_mul_f32_e32 v38, v1, v37
	v_mul_f32_e32 v37, v39, v37
	v_fma_f32 v38, v39, v36, -v38
	v_fmac_f32_e32 v37, v1, v36
	buffer_store_dword v38, off, s[0:3], 0 offset:128
	buffer_store_dword v37, off, s[0:3], 0 offset:132
.LBB80_79:
	s_or_b64 exec, exec, s[4:5]
	s_mov_b64 s[6:7], -1
	s_waitcnt lgkmcnt(0)
	; wave barrier
.LBB80_80:
	s_and_b64 vcc, exec, s[6:7]
	s_cbranch_vccz .LBB80_82
; %bb.81:
	s_lshl_b64 s[4:5], s[8:9], 2
	s_add_u32 s4, s14, s4
	s_addc_u32 s5, s15, s5
	v_mov_b32_e32 v1, 0
	global_load_dword v1, v1, s[4:5]
	s_waitcnt vmcnt(0)
	v_cmp_ne_u32_e32 vcc, 0, v1
	s_cbranch_vccz .LBB80_83
.LBB80_82:
	s_endpgm
.LBB80_83:
	v_mov_b32_e32 v1, 0x90
	v_lshl_add_u32 v1, v0, 3, v1
	v_cmp_eq_u32_e32 vcc, 16, v0
	s_and_saveexec_b64 s[4:5], vcc
	s_cbranch_execz .LBB80_85
; %bb.84:
	buffer_load_dword v36, off, s[0:3], 0 offset:120
	buffer_load_dword v37, off, s[0:3], 0 offset:124
	v_mov_b32_e32 v38, 0
	buffer_store_dword v38, off, s[0:3], 0 offset:120
	buffer_store_dword v38, off, s[0:3], 0 offset:124
	s_waitcnt vmcnt(2)
	ds_write_b64 v1, v[36:37]
.LBB80_85:
	s_or_b64 exec, exec, s[4:5]
	s_waitcnt lgkmcnt(0)
	; wave barrier
	s_waitcnt lgkmcnt(0)
	buffer_load_dword v39, off, s[0:3], 0 offset:132
	buffer_load_dword v38, off, s[0:3], 0 offset:128
	;; [unrolled: 1-line block ×4, first 2 shown]
	v_mov_b32_e32 v36, 0
	ds_read_b64 v[42:43], v36 offset:272
	v_cmp_lt_u32_e32 vcc, 14, v0
	s_waitcnt vmcnt(3)
	v_mov_b32_e32 v44, v39
	s_waitcnt lgkmcnt(0)
	v_pk_mul_f32 v[44:45], v[42:43], v[44:45] op_sel_hi:[1,0]
	s_waitcnt vmcnt(2)
	v_pk_fma_f32 v[46:47], v[42:43], v[38:39], v[44:45] op_sel:[0,0,1] op_sel_hi:[1,1,0] neg_lo:[0,0,1] neg_hi:[0,0,1]
	v_pk_fma_f32 v[38:39], v[42:43], v[38:39], v[44:45] op_sel:[0,0,1] op_sel_hi:[1,0,0]
	v_mov_b32_e32 v47, v39
	v_pk_add_f32 v[38:39], v[46:47], 0 op_sel_hi:[1,0]
	s_waitcnt vmcnt(0)
	v_pk_add_f32 v[38:39], v[40:41], v[38:39] neg_lo:[0,1] neg_hi:[0,1]
	buffer_store_dword v38, off, s[0:3], 0 offset:120
	buffer_store_dword v39, off, s[0:3], 0 offset:124
	s_and_saveexec_b64 s[4:5], vcc
	s_cbranch_execz .LBB80_87
; %bb.86:
	buffer_load_dword v38, off, s[0:3], 0 offset:112
	buffer_load_dword v39, off, s[0:3], 0 offset:116
	s_waitcnt vmcnt(0)
	ds_write_b64 v1, v[38:39]
	buffer_store_dword v36, off, s[0:3], 0 offset:112
	buffer_store_dword v36, off, s[0:3], 0 offset:116
.LBB80_87:
	s_or_b64 exec, exec, s[4:5]
	s_waitcnt lgkmcnt(0)
	; wave barrier
	s_waitcnt lgkmcnt(0)
	buffer_load_dword v41, off, s[0:3], 0 offset:124
	buffer_load_dword v43, off, s[0:3], 0 offset:132
	;; [unrolled: 1-line block ×6, first 2 shown]
	ds_read2_b64 v[36:39], v36 offset0:33 offset1:34
	v_cmp_lt_u32_e32 vcc, 13, v0
	s_waitcnt vmcnt(5)
	v_mov_b32_e32 v46, v41
	s_waitcnt vmcnt(4)
	v_mov_b32_e32 v48, v43
	s_waitcnt lgkmcnt(0)
	v_pk_mul_f32 v[46:47], v[36:37], v[46:47] op_sel_hi:[1,0]
	v_pk_mul_f32 v[48:49], v[38:39], v[48:49] op_sel_hi:[1,0]
	s_waitcnt vmcnt(3)
	v_pk_fma_f32 v[50:51], v[36:37], v[40:41], v[46:47] op_sel:[0,0,1] op_sel_hi:[1,1,0] neg_lo:[0,0,1] neg_hi:[0,0,1]
	v_pk_fma_f32 v[36:37], v[36:37], v[40:41], v[46:47] op_sel:[0,0,1] op_sel_hi:[1,0,0]
	s_waitcnt vmcnt(2)
	v_pk_fma_f32 v[40:41], v[38:39], v[42:43], v[48:49] op_sel:[0,0,1] op_sel_hi:[1,1,0] neg_lo:[0,0,1] neg_hi:[0,0,1]
	v_pk_fma_f32 v[38:39], v[38:39], v[42:43], v[48:49] op_sel:[0,0,1] op_sel_hi:[1,0,0]
	v_mov_b32_e32 v51, v37
	v_mov_b32_e32 v41, v39
	v_pk_add_f32 v[36:37], v[50:51], 0 op_sel_hi:[1,0]
	v_pk_add_f32 v[36:37], v[36:37], v[40:41]
	s_waitcnt vmcnt(0)
	v_pk_add_f32 v[36:37], v[44:45], v[36:37] neg_lo:[0,1] neg_hi:[0,1]
	buffer_store_dword v36, off, s[0:3], 0 offset:112
	buffer_store_dword v37, off, s[0:3], 0 offset:116
	s_and_saveexec_b64 s[4:5], vcc
	s_cbranch_execz .LBB80_89
; %bb.88:
	buffer_load_dword v36, off, s[0:3], 0 offset:104
	buffer_load_dword v37, off, s[0:3], 0 offset:108
	v_mov_b32_e32 v38, 0
	buffer_store_dword v38, off, s[0:3], 0 offset:104
	buffer_store_dword v38, off, s[0:3], 0 offset:108
	s_waitcnt vmcnt(2)
	ds_write_b64 v1, v[36:37]
.LBB80_89:
	s_or_b64 exec, exec, s[4:5]
	s_waitcnt lgkmcnt(0)
	; wave barrier
	s_waitcnt lgkmcnt(0)
	buffer_load_dword v43, off, s[0:3], 0 offset:116
	buffer_load_dword v45, off, s[0:3], 0 offset:124
	;; [unrolled: 1-line block ×8, first 2 shown]
	v_mov_b32_e32 v36, 0
	ds_read_b128 v[38:41], v36 offset:256
	ds_read_b64 v[50:51], v36 offset:272
	v_cmp_lt_u32_e32 vcc, 12, v0
	s_waitcnt vmcnt(7)
	v_mov_b32_e32 v52, v43
	s_waitcnt vmcnt(6)
	v_mov_b32_e32 v54, v45
	s_waitcnt lgkmcnt(1)
	v_pk_mul_f32 v[52:53], v[38:39], v[52:53] op_sel_hi:[1,0]
	s_waitcnt vmcnt(5)
	v_mov_b32_e32 v56, v47
	v_pk_mul_f32 v[54:55], v[40:41], v[54:55] op_sel_hi:[1,0]
	s_waitcnt vmcnt(4)
	v_pk_fma_f32 v[58:59], v[38:39], v[42:43], v[52:53] op_sel:[0,0,1] op_sel_hi:[1,1,0] neg_lo:[0,0,1] neg_hi:[0,0,1]
	v_pk_fma_f32 v[38:39], v[38:39], v[42:43], v[52:53] op_sel:[0,0,1] op_sel_hi:[1,0,0]
	s_waitcnt lgkmcnt(0)
	v_pk_mul_f32 v[56:57], v[50:51], v[56:57] op_sel_hi:[1,0]
	s_waitcnt vmcnt(3)
	v_pk_fma_f32 v[42:43], v[40:41], v[44:45], v[54:55] op_sel:[0,0,1] op_sel_hi:[1,1,0] neg_lo:[0,0,1] neg_hi:[0,0,1]
	v_pk_fma_f32 v[40:41], v[40:41], v[44:45], v[54:55] op_sel:[0,0,1] op_sel_hi:[1,0,0]
	v_mov_b32_e32 v59, v39
	s_waitcnt vmcnt(2)
	v_pk_fma_f32 v[44:45], v[50:51], v[46:47], v[56:57] op_sel:[0,0,1] op_sel_hi:[1,1,0] neg_lo:[0,0,1] neg_hi:[0,0,1]
	v_pk_fma_f32 v[46:47], v[50:51], v[46:47], v[56:57] op_sel:[0,0,1] op_sel_hi:[1,0,0]
	v_mov_b32_e32 v43, v41
	v_pk_add_f32 v[38:39], v[58:59], 0 op_sel_hi:[1,0]
	v_mov_b32_e32 v45, v47
	v_pk_add_f32 v[38:39], v[38:39], v[42:43]
	v_pk_add_f32 v[38:39], v[38:39], v[44:45]
	s_waitcnt vmcnt(0)
	v_pk_add_f32 v[38:39], v[48:49], v[38:39] neg_lo:[0,1] neg_hi:[0,1]
	buffer_store_dword v38, off, s[0:3], 0 offset:104
	buffer_store_dword v39, off, s[0:3], 0 offset:108
	s_and_saveexec_b64 s[4:5], vcc
	s_cbranch_execz .LBB80_91
; %bb.90:
	buffer_load_dword v38, off, s[0:3], 0 offset:96
	buffer_load_dword v39, off, s[0:3], 0 offset:100
	s_waitcnt vmcnt(0)
	ds_write_b64 v1, v[38:39]
	buffer_store_dword v36, off, s[0:3], 0 offset:96
	buffer_store_dword v36, off, s[0:3], 0 offset:100
.LBB80_91:
	s_or_b64 exec, exec, s[4:5]
	s_waitcnt lgkmcnt(0)
	; wave barrier
	s_waitcnt lgkmcnt(0)
	buffer_load_dword v47, off, s[0:3], 0 offset:108
	buffer_load_dword v49, off, s[0:3], 0 offset:116
	;; [unrolled: 1-line block ×10, first 2 shown]
	ds_read2_b64 v[38:41], v36 offset0:31 offset1:32
	ds_read2_b64 v[42:45], v36 offset0:33 offset1:34
	v_cmp_lt_u32_e32 vcc, 11, v0
	s_waitcnt vmcnt(9)
	v_mov_b32_e32 v36, v47
	s_waitcnt vmcnt(8)
	v_mov_b32_e32 v56, v49
	s_waitcnt lgkmcnt(1)
	v_pk_mul_f32 v[36:37], v[38:39], v[36:37] op_sel_hi:[1,0]
	s_waitcnt vmcnt(7)
	v_mov_b32_e32 v58, v51
	v_pk_mul_f32 v[56:57], v[40:41], v[56:57] op_sel_hi:[1,0]
	s_waitcnt vmcnt(5)
	v_pk_fma_f32 v[62:63], v[38:39], v[46:47], v[36:37] op_sel:[0,0,1] op_sel_hi:[1,1,0] neg_lo:[0,0,1] neg_hi:[0,0,1]
	v_pk_fma_f32 v[36:37], v[38:39], v[46:47], v[36:37] op_sel:[0,0,1] op_sel_hi:[1,0,0]
	v_mov_b32_e32 v60, v53
	s_waitcnt lgkmcnt(0)
	v_pk_mul_f32 v[58:59], v[42:43], v[58:59] op_sel_hi:[1,0]
	s_waitcnt vmcnt(4)
	v_pk_fma_f32 v[38:39], v[40:41], v[48:49], v[56:57] op_sel:[0,0,1] op_sel_hi:[1,1,0] neg_lo:[0,0,1] neg_hi:[0,0,1]
	v_pk_fma_f32 v[40:41], v[40:41], v[48:49], v[56:57] op_sel:[0,0,1] op_sel_hi:[1,0,0]
	v_mov_b32_e32 v63, v37
	v_pk_mul_f32 v[60:61], v[44:45], v[60:61] op_sel_hi:[1,0]
	s_waitcnt vmcnt(3)
	v_pk_fma_f32 v[46:47], v[42:43], v[50:51], v[58:59] op_sel:[0,0,1] op_sel_hi:[1,1,0] neg_lo:[0,0,1] neg_hi:[0,0,1]
	v_pk_fma_f32 v[42:43], v[42:43], v[50:51], v[58:59] op_sel:[0,0,1] op_sel_hi:[1,0,0]
	v_mov_b32_e32 v39, v41
	v_pk_add_f32 v[36:37], v[62:63], 0 op_sel_hi:[1,0]
	s_waitcnt vmcnt(2)
	v_pk_fma_f32 v[48:49], v[44:45], v[52:53], v[60:61] op_sel:[0,0,1] op_sel_hi:[1,1,0] neg_lo:[0,0,1] neg_hi:[0,0,1]
	v_pk_fma_f32 v[44:45], v[44:45], v[52:53], v[60:61] op_sel:[0,0,1] op_sel_hi:[1,0,0]
	v_mov_b32_e32 v47, v43
	v_pk_add_f32 v[36:37], v[36:37], v[38:39]
	v_mov_b32_e32 v49, v45
	v_pk_add_f32 v[36:37], v[36:37], v[46:47]
	v_pk_add_f32 v[36:37], v[36:37], v[48:49]
	s_waitcnt vmcnt(0)
	v_pk_add_f32 v[36:37], v[54:55], v[36:37] neg_lo:[0,1] neg_hi:[0,1]
	buffer_store_dword v36, off, s[0:3], 0 offset:96
	buffer_store_dword v37, off, s[0:3], 0 offset:100
	s_and_saveexec_b64 s[4:5], vcc
	s_cbranch_execz .LBB80_93
; %bb.92:
	buffer_load_dword v36, off, s[0:3], 0 offset:88
	buffer_load_dword v37, off, s[0:3], 0 offset:92
	v_mov_b32_e32 v38, 0
	buffer_store_dword v38, off, s[0:3], 0 offset:88
	buffer_store_dword v38, off, s[0:3], 0 offset:92
	s_waitcnt vmcnt(2)
	ds_write_b64 v1, v[36:37]
.LBB80_93:
	s_or_b64 exec, exec, s[4:5]
	s_waitcnt lgkmcnt(0)
	; wave barrier
	s_waitcnt lgkmcnt(0)
	buffer_load_dword v47, off, s[0:3], 0 offset:100
	buffer_load_dword v49, off, s[0:3], 0 offset:108
	buffer_load_dword v51, off, s[0:3], 0 offset:116
	buffer_load_dword v53, off, s[0:3], 0 offset:124
	buffer_load_dword v55, off, s[0:3], 0 offset:132
	buffer_load_dword v46, off, s[0:3], 0 offset:96
	buffer_load_dword v48, off, s[0:3], 0 offset:104
	buffer_load_dword v50, off, s[0:3], 0 offset:112
	buffer_load_dword v52, off, s[0:3], 0 offset:120
	buffer_load_dword v54, off, s[0:3], 0 offset:128
	buffer_load_dword v56, off, s[0:3], 0 offset:88
	buffer_load_dword v57, off, s[0:3], 0 offset:92
	v_mov_b32_e32 v36, 0
	ds_read_b128 v[38:41], v36 offset:240
	ds_read_b128 v[42:45], v36 offset:256
	ds_read_b64 v[58:59], v36 offset:272
	v_cmp_lt_u32_e32 vcc, 10, v0
	s_waitcnt vmcnt(11)
	v_mov_b32_e32 v60, v47
	s_waitcnt vmcnt(10)
	v_mov_b32_e32 v62, v49
	s_waitcnt lgkmcnt(2)
	v_pk_mul_f32 v[60:61], v[38:39], v[60:61] op_sel_hi:[1,0]
	s_waitcnt vmcnt(9)
	v_mov_b32_e32 v64, v51
	v_pk_mul_f32 v[62:63], v[40:41], v[62:63] op_sel_hi:[1,0]
	s_waitcnt vmcnt(6)
	v_pk_fma_f32 v[70:71], v[38:39], v[46:47], v[60:61] op_sel:[0,0,1] op_sel_hi:[1,1,0] neg_lo:[0,0,1] neg_hi:[0,0,1]
	v_pk_fma_f32 v[38:39], v[38:39], v[46:47], v[60:61] op_sel:[0,0,1] op_sel_hi:[1,0,0]
	v_mov_b32_e32 v66, v53
	s_waitcnt lgkmcnt(1)
	v_pk_mul_f32 v[64:65], v[42:43], v[64:65] op_sel_hi:[1,0]
	s_waitcnt vmcnt(5)
	v_pk_fma_f32 v[46:47], v[40:41], v[48:49], v[62:63] op_sel:[0,0,1] op_sel_hi:[1,1,0] neg_lo:[0,0,1] neg_hi:[0,0,1]
	v_pk_fma_f32 v[40:41], v[40:41], v[48:49], v[62:63] op_sel:[0,0,1] op_sel_hi:[1,0,0]
	v_mov_b32_e32 v71, v39
	v_mov_b32_e32 v68, v55
	v_pk_mul_f32 v[66:67], v[44:45], v[66:67] op_sel_hi:[1,0]
	s_waitcnt vmcnt(4)
	v_pk_fma_f32 v[48:49], v[42:43], v[50:51], v[64:65] op_sel:[0,0,1] op_sel_hi:[1,1,0] neg_lo:[0,0,1] neg_hi:[0,0,1]
	v_pk_fma_f32 v[42:43], v[42:43], v[50:51], v[64:65] op_sel:[0,0,1] op_sel_hi:[1,0,0]
	v_mov_b32_e32 v47, v41
	v_pk_add_f32 v[38:39], v[70:71], 0 op_sel_hi:[1,0]
	s_waitcnt lgkmcnt(0)
	v_pk_mul_f32 v[68:69], v[58:59], v[68:69] op_sel_hi:[1,0]
	s_waitcnt vmcnt(3)
	v_pk_fma_f32 v[50:51], v[44:45], v[52:53], v[66:67] op_sel:[0,0,1] op_sel_hi:[1,1,0] neg_lo:[0,0,1] neg_hi:[0,0,1]
	v_pk_fma_f32 v[44:45], v[44:45], v[52:53], v[66:67] op_sel:[0,0,1] op_sel_hi:[1,0,0]
	v_mov_b32_e32 v49, v43
	v_pk_add_f32 v[38:39], v[38:39], v[46:47]
	s_waitcnt vmcnt(2)
	v_pk_fma_f32 v[52:53], v[58:59], v[54:55], v[68:69] op_sel:[0,0,1] op_sel_hi:[1,1,0] neg_lo:[0,0,1] neg_hi:[0,0,1]
	v_pk_fma_f32 v[54:55], v[58:59], v[54:55], v[68:69] op_sel:[0,0,1] op_sel_hi:[1,0,0]
	v_mov_b32_e32 v51, v45
	v_pk_add_f32 v[38:39], v[38:39], v[48:49]
	v_mov_b32_e32 v53, v55
	v_pk_add_f32 v[38:39], v[38:39], v[50:51]
	v_pk_add_f32 v[38:39], v[38:39], v[52:53]
	s_waitcnt vmcnt(0)
	v_pk_add_f32 v[38:39], v[56:57], v[38:39] neg_lo:[0,1] neg_hi:[0,1]
	buffer_store_dword v38, off, s[0:3], 0 offset:88
	buffer_store_dword v39, off, s[0:3], 0 offset:92
	s_and_saveexec_b64 s[4:5], vcc
	s_cbranch_execz .LBB80_95
; %bb.94:
	buffer_load_dword v38, off, s[0:3], 0 offset:80
	buffer_load_dword v39, off, s[0:3], 0 offset:84
	s_waitcnt vmcnt(0)
	ds_write_b64 v1, v[38:39]
	buffer_store_dword v36, off, s[0:3], 0 offset:80
	buffer_store_dword v36, off, s[0:3], 0 offset:84
.LBB80_95:
	s_or_b64 exec, exec, s[4:5]
	s_waitcnt lgkmcnt(0)
	; wave barrier
	s_waitcnt lgkmcnt(0)
	buffer_load_dword v51, off, s[0:3], 0 offset:92
	buffer_load_dword v53, off, s[0:3], 0 offset:100
	;; [unrolled: 1-line block ×14, first 2 shown]
	ds_read2_b64 v[38:41], v36 offset0:29 offset1:30
	ds_read2_b64 v[42:45], v36 offset0:31 offset1:32
	;; [unrolled: 1-line block ×3, first 2 shown]
	v_cmp_lt_u32_e32 vcc, 9, v0
	s_waitcnt vmcnt(13)
	v_mov_b32_e32 v36, v51
	s_waitcnt vmcnt(12)
	v_mov_b32_e32 v64, v53
	s_waitcnt lgkmcnt(2)
	v_pk_mul_f32 v[36:37], v[38:39], v[36:37] op_sel_hi:[1,0]
	s_waitcnt vmcnt(11)
	v_mov_b32_e32 v66, v55
	v_pk_mul_f32 v[64:65], v[40:41], v[64:65] op_sel_hi:[1,0]
	s_waitcnt vmcnt(10)
	v_mov_b32_e32 v68, v57
	s_waitcnt vmcnt(7)
	v_pk_fma_f32 v[74:75], v[38:39], v[50:51], v[36:37] op_sel:[0,0,1] op_sel_hi:[1,1,0] neg_lo:[0,0,1] neg_hi:[0,0,1]
	v_pk_fma_f32 v[36:37], v[38:39], v[50:51], v[36:37] op_sel:[0,0,1] op_sel_hi:[1,0,0]
	s_waitcnt lgkmcnt(1)
	v_pk_mul_f32 v[66:67], v[42:43], v[66:67] op_sel_hi:[1,0]
	s_waitcnt vmcnt(6)
	v_pk_fma_f32 v[38:39], v[40:41], v[52:53], v[64:65] op_sel:[0,0,1] op_sel_hi:[1,1,0] neg_lo:[0,0,1] neg_hi:[0,0,1]
	v_pk_fma_f32 v[40:41], v[40:41], v[52:53], v[64:65] op_sel:[0,0,1] op_sel_hi:[1,0,0]
	v_mov_b32_e32 v75, v37
	v_mov_b32_e32 v70, v59
	v_pk_mul_f32 v[68:69], v[44:45], v[68:69] op_sel_hi:[1,0]
	s_waitcnt vmcnt(5)
	v_pk_fma_f32 v[50:51], v[42:43], v[54:55], v[66:67] op_sel:[0,0,1] op_sel_hi:[1,1,0] neg_lo:[0,0,1] neg_hi:[0,0,1]
	v_pk_fma_f32 v[42:43], v[42:43], v[54:55], v[66:67] op_sel:[0,0,1] op_sel_hi:[1,0,0]
	v_mov_b32_e32 v39, v41
	v_pk_add_f32 v[36:37], v[74:75], 0 op_sel_hi:[1,0]
	v_mov_b32_e32 v72, v61
	s_waitcnt lgkmcnt(0)
	v_pk_mul_f32 v[70:71], v[46:47], v[70:71] op_sel_hi:[1,0]
	s_waitcnt vmcnt(4)
	v_pk_fma_f32 v[52:53], v[44:45], v[56:57], v[68:69] op_sel:[0,0,1] op_sel_hi:[1,1,0] neg_lo:[0,0,1] neg_hi:[0,0,1]
	v_pk_fma_f32 v[44:45], v[44:45], v[56:57], v[68:69] op_sel:[0,0,1] op_sel_hi:[1,0,0]
	v_mov_b32_e32 v51, v43
	v_pk_add_f32 v[36:37], v[36:37], v[38:39]
	v_pk_mul_f32 v[72:73], v[48:49], v[72:73] op_sel_hi:[1,0]
	s_waitcnt vmcnt(3)
	v_pk_fma_f32 v[54:55], v[46:47], v[58:59], v[70:71] op_sel:[0,0,1] op_sel_hi:[1,1,0] neg_lo:[0,0,1] neg_hi:[0,0,1]
	v_pk_fma_f32 v[46:47], v[46:47], v[58:59], v[70:71] op_sel:[0,0,1] op_sel_hi:[1,0,0]
	v_mov_b32_e32 v53, v45
	v_pk_add_f32 v[36:37], v[36:37], v[50:51]
	s_waitcnt vmcnt(2)
	v_pk_fma_f32 v[56:57], v[48:49], v[60:61], v[72:73] op_sel:[0,0,1] op_sel_hi:[1,1,0] neg_lo:[0,0,1] neg_hi:[0,0,1]
	v_pk_fma_f32 v[48:49], v[48:49], v[60:61], v[72:73] op_sel:[0,0,1] op_sel_hi:[1,0,0]
	v_mov_b32_e32 v55, v47
	v_pk_add_f32 v[36:37], v[36:37], v[52:53]
	v_mov_b32_e32 v57, v49
	v_pk_add_f32 v[36:37], v[36:37], v[54:55]
	v_pk_add_f32 v[36:37], v[36:37], v[56:57]
	s_waitcnt vmcnt(0)
	v_pk_add_f32 v[36:37], v[62:63], v[36:37] neg_lo:[0,1] neg_hi:[0,1]
	buffer_store_dword v36, off, s[0:3], 0 offset:80
	buffer_store_dword v37, off, s[0:3], 0 offset:84
	s_and_saveexec_b64 s[4:5], vcc
	s_cbranch_execz .LBB80_97
; %bb.96:
	buffer_load_dword v36, off, s[0:3], 0 offset:72
	buffer_load_dword v37, off, s[0:3], 0 offset:76
	v_mov_b32_e32 v38, 0
	buffer_store_dword v38, off, s[0:3], 0 offset:72
	buffer_store_dword v38, off, s[0:3], 0 offset:76
	s_waitcnt vmcnt(2)
	ds_write_b64 v1, v[36:37]
.LBB80_97:
	s_or_b64 exec, exec, s[4:5]
	s_waitcnt lgkmcnt(0)
	; wave barrier
	s_waitcnt lgkmcnt(0)
	buffer_load_dword v51, off, s[0:3], 0 offset:84
	buffer_load_dword v53, off, s[0:3], 0 offset:92
	;; [unrolled: 1-line block ×16, first 2 shown]
	v_mov_b32_e32 v36, 0
	ds_read_b128 v[38:41], v36 offset:224
	ds_read_b128 v[42:45], v36 offset:240
	;; [unrolled: 1-line block ×3, first 2 shown]
	ds_read_b64 v[66:67], v36 offset:272
	v_cmp_lt_u32_e32 vcc, 8, v0
	s_waitcnt vmcnt(15)
	v_mov_b32_e32 v68, v51
	s_waitcnt vmcnt(14)
	v_mov_b32_e32 v70, v53
	s_waitcnt lgkmcnt(3)
	v_pk_mul_f32 v[68:69], v[38:39], v[68:69] op_sel_hi:[1,0]
	s_waitcnt vmcnt(13)
	v_mov_b32_e32 v72, v55
	v_pk_mul_f32 v[70:71], v[40:41], v[70:71] op_sel_hi:[1,0]
	s_waitcnt vmcnt(12)
	v_mov_b32_e32 v74, v57
	s_waitcnt lgkmcnt(2)
	v_pk_mul_f32 v[72:73], v[42:43], v[72:73] op_sel_hi:[1,0]
	s_waitcnt vmcnt(8)
	v_pk_fma_f32 v[82:83], v[38:39], v[50:51], v[68:69] op_sel:[0,0,1] op_sel_hi:[1,1,0] neg_lo:[0,0,1] neg_hi:[0,0,1]
	v_pk_fma_f32 v[38:39], v[38:39], v[50:51], v[68:69] op_sel:[0,0,1] op_sel_hi:[1,0,0]
	s_waitcnt vmcnt(7)
	v_pk_fma_f32 v[50:51], v[40:41], v[52:53], v[70:71] op_sel:[0,0,1] op_sel_hi:[1,1,0] neg_lo:[0,0,1] neg_hi:[0,0,1]
	v_pk_fma_f32 v[40:41], v[40:41], v[52:53], v[70:71] op_sel:[0,0,1] op_sel_hi:[1,0,0]
	v_mov_b32_e32 v83, v39
	v_mov_b32_e32 v76, v59
	v_pk_mul_f32 v[74:75], v[44:45], v[74:75] op_sel_hi:[1,0]
	s_waitcnt vmcnt(6)
	v_pk_fma_f32 v[52:53], v[42:43], v[54:55], v[72:73] op_sel:[0,0,1] op_sel_hi:[1,1,0] neg_lo:[0,0,1] neg_hi:[0,0,1]
	v_pk_fma_f32 v[42:43], v[42:43], v[54:55], v[72:73] op_sel:[0,0,1] op_sel_hi:[1,0,0]
	v_mov_b32_e32 v51, v41
	v_pk_add_f32 v[38:39], v[82:83], 0 op_sel_hi:[1,0]
	v_mov_b32_e32 v78, v61
	s_waitcnt lgkmcnt(1)
	v_pk_mul_f32 v[76:77], v[46:47], v[76:77] op_sel_hi:[1,0]
	s_waitcnt vmcnt(5)
	v_pk_fma_f32 v[54:55], v[44:45], v[56:57], v[74:75] op_sel:[0,0,1] op_sel_hi:[1,1,0] neg_lo:[0,0,1] neg_hi:[0,0,1]
	v_pk_fma_f32 v[44:45], v[44:45], v[56:57], v[74:75] op_sel:[0,0,1] op_sel_hi:[1,0,0]
	v_mov_b32_e32 v53, v43
	v_pk_add_f32 v[38:39], v[38:39], v[50:51]
	v_mov_b32_e32 v80, v63
	v_pk_mul_f32 v[78:79], v[48:49], v[78:79] op_sel_hi:[1,0]
	s_waitcnt vmcnt(4)
	v_pk_fma_f32 v[56:57], v[46:47], v[58:59], v[76:77] op_sel:[0,0,1] op_sel_hi:[1,1,0] neg_lo:[0,0,1] neg_hi:[0,0,1]
	v_pk_fma_f32 v[46:47], v[46:47], v[58:59], v[76:77] op_sel:[0,0,1] op_sel_hi:[1,0,0]
	v_mov_b32_e32 v55, v45
	v_pk_add_f32 v[38:39], v[38:39], v[52:53]
	s_waitcnt lgkmcnt(0)
	v_pk_mul_f32 v[80:81], v[66:67], v[80:81] op_sel_hi:[1,0]
	s_waitcnt vmcnt(3)
	v_pk_fma_f32 v[58:59], v[48:49], v[60:61], v[78:79] op_sel:[0,0,1] op_sel_hi:[1,1,0] neg_lo:[0,0,1] neg_hi:[0,0,1]
	v_pk_fma_f32 v[48:49], v[48:49], v[60:61], v[78:79] op_sel:[0,0,1] op_sel_hi:[1,0,0]
	v_mov_b32_e32 v57, v47
	v_pk_add_f32 v[38:39], v[38:39], v[54:55]
	s_waitcnt vmcnt(2)
	v_pk_fma_f32 v[60:61], v[66:67], v[62:63], v[80:81] op_sel:[0,0,1] op_sel_hi:[1,1,0] neg_lo:[0,0,1] neg_hi:[0,0,1]
	v_pk_fma_f32 v[62:63], v[66:67], v[62:63], v[80:81] op_sel:[0,0,1] op_sel_hi:[1,0,0]
	v_mov_b32_e32 v59, v49
	v_pk_add_f32 v[38:39], v[38:39], v[56:57]
	v_mov_b32_e32 v61, v63
	v_pk_add_f32 v[38:39], v[38:39], v[58:59]
	v_pk_add_f32 v[38:39], v[38:39], v[60:61]
	s_waitcnt vmcnt(0)
	v_pk_add_f32 v[38:39], v[64:65], v[38:39] neg_lo:[0,1] neg_hi:[0,1]
	buffer_store_dword v38, off, s[0:3], 0 offset:72
	buffer_store_dword v39, off, s[0:3], 0 offset:76
	s_and_saveexec_b64 s[4:5], vcc
	s_cbranch_execz .LBB80_99
; %bb.98:
	buffer_load_dword v38, off, s[0:3], 0 offset:64
	buffer_load_dword v39, off, s[0:3], 0 offset:68
	s_waitcnt vmcnt(0)
	ds_write_b64 v1, v[38:39]
	buffer_store_dword v36, off, s[0:3], 0 offset:64
	buffer_store_dword v36, off, s[0:3], 0 offset:68
.LBB80_99:
	s_or_b64 exec, exec, s[4:5]
	s_waitcnt lgkmcnt(0)
	; wave barrier
	s_waitcnt lgkmcnt(0)
	buffer_load_dword v55, off, s[0:3], 0 offset:76
	buffer_load_dword v57, off, s[0:3], 0 offset:84
	;; [unrolled: 1-line block ×18, first 2 shown]
	ds_read2_b64 v[38:41], v36 offset0:27 offset1:28
	ds_read2_b64 v[42:45], v36 offset0:29 offset1:30
	;; [unrolled: 1-line block ×4, first 2 shown]
	v_cmp_lt_u32_e32 vcc, 7, v0
	s_waitcnt vmcnt(17)
	v_mov_b32_e32 v36, v55
	s_waitcnt vmcnt(16)
	v_mov_b32_e32 v72, v57
	s_waitcnt lgkmcnt(3)
	v_pk_mul_f32 v[36:37], v[38:39], v[36:37] op_sel_hi:[1,0]
	s_waitcnt vmcnt(15)
	v_mov_b32_e32 v74, v59
	v_pk_mul_f32 v[72:73], v[40:41], v[72:73] op_sel_hi:[1,0]
	s_waitcnt vmcnt(14)
	v_mov_b32_e32 v76, v61
	s_waitcnt lgkmcnt(2)
	v_pk_mul_f32 v[74:75], v[42:43], v[74:75] op_sel_hi:[1,0]
	s_waitcnt vmcnt(13)
	v_mov_b32_e32 v78, v63
	s_waitcnt vmcnt(9)
	v_pk_fma_f32 v[86:87], v[38:39], v[54:55], v[36:37] op_sel:[0,0,1] op_sel_hi:[1,1,0] neg_lo:[0,0,1] neg_hi:[0,0,1]
	v_pk_fma_f32 v[36:37], v[38:39], v[54:55], v[36:37] op_sel:[0,0,1] op_sel_hi:[1,0,0]
	s_waitcnt vmcnt(8)
	v_pk_fma_f32 v[38:39], v[40:41], v[56:57], v[72:73] op_sel:[0,0,1] op_sel_hi:[1,1,0] neg_lo:[0,0,1] neg_hi:[0,0,1]
	v_pk_fma_f32 v[40:41], v[40:41], v[56:57], v[72:73] op_sel:[0,0,1] op_sel_hi:[1,0,0]
	v_mov_b32_e32 v87, v37
	v_pk_mul_f32 v[76:77], v[44:45], v[76:77] op_sel_hi:[1,0]
	s_waitcnt vmcnt(7)
	v_pk_fma_f32 v[54:55], v[42:43], v[58:59], v[74:75] op_sel:[0,0,1] op_sel_hi:[1,1,0] neg_lo:[0,0,1] neg_hi:[0,0,1]
	v_pk_fma_f32 v[42:43], v[42:43], v[58:59], v[74:75] op_sel:[0,0,1] op_sel_hi:[1,0,0]
	v_mov_b32_e32 v39, v41
	v_pk_add_f32 v[36:37], v[86:87], 0 op_sel_hi:[1,0]
	v_mov_b32_e32 v80, v65
	s_waitcnt lgkmcnt(1)
	v_pk_mul_f32 v[78:79], v[46:47], v[78:79] op_sel_hi:[1,0]
	s_waitcnt vmcnt(6)
	v_pk_fma_f32 v[56:57], v[44:45], v[60:61], v[76:77] op_sel:[0,0,1] op_sel_hi:[1,1,0] neg_lo:[0,0,1] neg_hi:[0,0,1]
	v_pk_fma_f32 v[44:45], v[44:45], v[60:61], v[76:77] op_sel:[0,0,1] op_sel_hi:[1,0,0]
	v_mov_b32_e32 v55, v43
	v_pk_add_f32 v[36:37], v[36:37], v[38:39]
	v_mov_b32_e32 v82, v67
	v_pk_mul_f32 v[80:81], v[48:49], v[80:81] op_sel_hi:[1,0]
	s_waitcnt vmcnt(5)
	v_pk_fma_f32 v[58:59], v[46:47], v[62:63], v[78:79] op_sel:[0,0,1] op_sel_hi:[1,1,0] neg_lo:[0,0,1] neg_hi:[0,0,1]
	v_pk_fma_f32 v[46:47], v[46:47], v[62:63], v[78:79] op_sel:[0,0,1] op_sel_hi:[1,0,0]
	v_mov_b32_e32 v57, v45
	v_pk_add_f32 v[36:37], v[36:37], v[54:55]
	v_mov_b32_e32 v84, v69
	s_waitcnt lgkmcnt(0)
	v_pk_mul_f32 v[82:83], v[50:51], v[82:83] op_sel_hi:[1,0]
	s_waitcnt vmcnt(4)
	v_pk_fma_f32 v[60:61], v[48:49], v[64:65], v[80:81] op_sel:[0,0,1] op_sel_hi:[1,1,0] neg_lo:[0,0,1] neg_hi:[0,0,1]
	v_pk_fma_f32 v[48:49], v[48:49], v[64:65], v[80:81] op_sel:[0,0,1] op_sel_hi:[1,0,0]
	v_mov_b32_e32 v59, v47
	v_pk_add_f32 v[36:37], v[36:37], v[56:57]
	v_pk_mul_f32 v[84:85], v[52:53], v[84:85] op_sel_hi:[1,0]
	s_waitcnt vmcnt(3)
	v_pk_fma_f32 v[62:63], v[50:51], v[66:67], v[82:83] op_sel:[0,0,1] op_sel_hi:[1,1,0] neg_lo:[0,0,1] neg_hi:[0,0,1]
	v_pk_fma_f32 v[50:51], v[50:51], v[66:67], v[82:83] op_sel:[0,0,1] op_sel_hi:[1,0,0]
	v_mov_b32_e32 v61, v49
	v_pk_add_f32 v[36:37], v[36:37], v[58:59]
	s_waitcnt vmcnt(2)
	v_pk_fma_f32 v[64:65], v[52:53], v[68:69], v[84:85] op_sel:[0,0,1] op_sel_hi:[1,1,0] neg_lo:[0,0,1] neg_hi:[0,0,1]
	v_pk_fma_f32 v[52:53], v[52:53], v[68:69], v[84:85] op_sel:[0,0,1] op_sel_hi:[1,0,0]
	v_mov_b32_e32 v63, v51
	v_pk_add_f32 v[36:37], v[36:37], v[60:61]
	v_mov_b32_e32 v65, v53
	v_pk_add_f32 v[36:37], v[36:37], v[62:63]
	v_pk_add_f32 v[36:37], v[36:37], v[64:65]
	s_waitcnt vmcnt(0)
	v_pk_add_f32 v[36:37], v[70:71], v[36:37] neg_lo:[0,1] neg_hi:[0,1]
	buffer_store_dword v36, off, s[0:3], 0 offset:64
	buffer_store_dword v37, off, s[0:3], 0 offset:68
	s_and_saveexec_b64 s[4:5], vcc
	s_cbranch_execz .LBB80_101
; %bb.100:
	buffer_load_dword v36, off, s[0:3], 0 offset:56
	buffer_load_dword v37, off, s[0:3], 0 offset:60
	v_mov_b32_e32 v38, 0
	buffer_store_dword v38, off, s[0:3], 0 offset:56
	buffer_store_dword v38, off, s[0:3], 0 offset:60
	s_waitcnt vmcnt(2)
	ds_write_b64 v1, v[36:37]
.LBB80_101:
	s_or_b64 exec, exec, s[4:5]
	s_waitcnt lgkmcnt(0)
	; wave barrier
	s_waitcnt lgkmcnt(0)
	buffer_load_dword v37, off, s[0:3], 0 offset:68
	buffer_load_dword v55, off, s[0:3], 0 offset:76
	;; [unrolled: 1-line block ×20, first 2 shown]
	v_mov_b32_e32 v36, 0
	ds_read_b128 v[38:41], v36 offset:208
	ds_read_b128 v[42:45], v36 offset:224
	ds_read_b128 v[46:49], v36 offset:240
	ds_read_b128 v[50:53], v36 offset:256
	ds_read_b64 v[72:73], v36 offset:272
	v_cmp_lt_u32_e32 vcc, 6, v0
	s_waitcnt vmcnt(19) lgkmcnt(4)
	v_mul_f32_e32 v75, v38, v37
	v_mul_f32_e32 v37, v39, v37
	s_waitcnt vmcnt(18)
	v_mov_b32_e32 v76, v55
	s_waitcnt vmcnt(17)
	v_mov_b32_e32 v78, v57
	;; [unrolled: 2-line block ×8, first 2 shown]
	s_waitcnt vmcnt(10)
	v_fmac_f32_e32 v75, v39, v74
	v_fma_f32 v74, v38, v74, -v37
	v_pk_mul_f32 v[38:39], v[40:41], v[76:77] op_sel_hi:[1,0]
	s_waitcnt lgkmcnt(3)
	v_pk_mul_f32 v[76:77], v[42:43], v[78:79] op_sel_hi:[1,0]
	v_pk_mul_f32 v[78:79], v[44:45], v[80:81] op_sel_hi:[1,0]
	s_waitcnt lgkmcnt(2)
	v_pk_mul_f32 v[80:81], v[46:47], v[82:83] op_sel_hi:[1,0]
	;; [unrolled: 3-line block ×4, first 2 shown]
	s_waitcnt vmcnt(9)
	v_pk_fma_f32 v[90:91], v[40:41], v[54:55], v[38:39] op_sel:[0,0,1] op_sel_hi:[1,1,0] neg_lo:[0,0,1] neg_hi:[0,0,1]
	v_pk_fma_f32 v[38:39], v[40:41], v[54:55], v[38:39] op_sel:[0,0,1] op_sel_hi:[1,0,0]
	v_pk_add_f32 v[74:75], v[74:75], 0 op_sel_hi:[1,0]
	s_waitcnt vmcnt(8)
	v_pk_fma_f32 v[40:41], v[42:43], v[56:57], v[76:77] op_sel:[0,0,1] op_sel_hi:[1,1,0] neg_lo:[0,0,1] neg_hi:[0,0,1]
	v_pk_fma_f32 v[42:43], v[42:43], v[56:57], v[76:77] op_sel:[0,0,1] op_sel_hi:[1,0,0]
	v_mov_b32_e32 v91, v39
	s_waitcnt vmcnt(7)
	v_pk_fma_f32 v[54:55], v[44:45], v[58:59], v[78:79] op_sel:[0,0,1] op_sel_hi:[1,1,0] neg_lo:[0,0,1] neg_hi:[0,0,1]
	v_pk_fma_f32 v[44:45], v[44:45], v[58:59], v[78:79] op_sel:[0,0,1] op_sel_hi:[1,0,0]
	v_mov_b32_e32 v41, v43
	v_pk_add_f32 v[38:39], v[74:75], v[90:91]
	s_waitcnt vmcnt(6)
	v_pk_fma_f32 v[56:57], v[46:47], v[60:61], v[80:81] op_sel:[0,0,1] op_sel_hi:[1,1,0] neg_lo:[0,0,1] neg_hi:[0,0,1]
	v_pk_fma_f32 v[46:47], v[46:47], v[60:61], v[80:81] op_sel:[0,0,1] op_sel_hi:[1,0,0]
	v_mov_b32_e32 v55, v45
	v_pk_add_f32 v[38:39], v[38:39], v[40:41]
	;; [unrolled: 5-line block ×5, first 2 shown]
	v_pk_fma_f32 v[64:65], v[72:73], v[68:69], v[88:89] op_sel:[0,0,1] op_sel_hi:[1,1,0] neg_lo:[0,0,1] neg_hi:[0,0,1]
	v_pk_fma_f32 v[66:67], v[72:73], v[68:69], v[88:89] op_sel:[0,0,1] op_sel_hi:[1,0,0]
	v_mov_b32_e32 v63, v53
	v_pk_add_f32 v[38:39], v[38:39], v[60:61]
	v_mov_b32_e32 v65, v67
	v_pk_add_f32 v[38:39], v[38:39], v[62:63]
	v_pk_add_f32 v[38:39], v[38:39], v[64:65]
	s_waitcnt vmcnt(0)
	v_pk_add_f32 v[38:39], v[70:71], v[38:39] neg_lo:[0,1] neg_hi:[0,1]
	buffer_store_dword v38, off, s[0:3], 0 offset:56
	buffer_store_dword v39, off, s[0:3], 0 offset:60
	s_and_saveexec_b64 s[4:5], vcc
	s_cbranch_execz .LBB80_103
; %bb.102:
	buffer_load_dword v38, off, s[0:3], 0 offset:48
	buffer_load_dword v39, off, s[0:3], 0 offset:52
	s_waitcnt vmcnt(0)
	ds_write_b64 v1, v[38:39]
	buffer_store_dword v36, off, s[0:3], 0 offset:48
	buffer_store_dword v36, off, s[0:3], 0 offset:52
.LBB80_103:
	s_or_b64 exec, exec, s[4:5]
	s_waitcnt lgkmcnt(0)
	; wave barrier
	s_waitcnt lgkmcnt(0)
	buffer_load_dword v76, off, s[0:3], 0 offset:60
	buffer_load_dword v78, off, s[0:3], 0 offset:68
	;; [unrolled: 1-line block ×22, first 2 shown]
	ds_read2_b64 v[38:41], v36 offset0:25 offset1:26
	ds_read2_b64 v[42:45], v36 offset0:27 offset1:28
	;; [unrolled: 1-line block ×5, first 2 shown]
	v_cmp_lt_u32_e32 vcc, 5, v0
	s_waitcnt vmcnt(21) lgkmcnt(4)
	v_mul_f32_e32 v37, v38, v76
	s_waitcnt vmcnt(20)
	v_mul_f32_e32 v77, v40, v78
	v_mul_f32_e32 v36, v39, v76
	;; [unrolled: 1-line block ×3, first 2 shown]
	s_waitcnt vmcnt(19)
	v_mov_b32_e32 v78, v59
	s_waitcnt vmcnt(18)
	v_mov_b32_e32 v80, v61
	;; [unrolled: 2-line block ×5, first 2 shown]
	v_mov_b32_e32 v84, v65
	s_waitcnt vmcnt(11)
	v_fmac_f32_e32 v37, v39, v79
	v_fma_f32 v36, v38, v79, -v36
	s_waitcnt lgkmcnt(3)
	v_pk_mul_f32 v[38:39], v[42:43], v[78:79] op_sel_hi:[1,0]
	s_waitcnt vmcnt(10)
	v_fmac_f32_e32 v77, v41, v81
	v_fma_f32 v76, v40, v81, -v76
	v_pk_mul_f32 v[40:41], v[44:45], v[80:81] op_sel_hi:[1,0]
	s_waitcnt lgkmcnt(2)
	v_pk_mul_f32 v[78:79], v[46:47], v[82:83] op_sel_hi:[1,0]
	s_waitcnt lgkmcnt(1)
	;; [unrolled: 2-line block ×3, first 2 shown]
	v_pk_mul_f32 v[86:87], v[54:55], v[90:91] op_sel_hi:[1,0]
	v_pk_add_f32 v[36:37], v[36:37], 0 op_sel_hi:[1,0]
	s_waitcnt vmcnt(9)
	v_pk_fma_f32 v[90:91], v[42:43], v[58:59], v[38:39] op_sel:[0,0,1] op_sel_hi:[1,1,0] neg_lo:[0,0,1] neg_hi:[0,0,1]
	v_pk_fma_f32 v[38:39], v[42:43], v[58:59], v[38:39] op_sel:[0,0,1] op_sel_hi:[1,0,0]
	s_waitcnt vmcnt(8)
	v_pk_fma_f32 v[42:43], v[44:45], v[60:61], v[40:41] op_sel:[0,0,1] op_sel_hi:[1,1,0] neg_lo:[0,0,1] neg_hi:[0,0,1]
	v_pk_fma_f32 v[40:41], v[44:45], v[60:61], v[40:41] op_sel:[0,0,1] op_sel_hi:[1,0,0]
	v_pk_add_f32 v[36:37], v[36:37], v[76:77]
	v_mov_b32_e32 v91, v39
	v_pk_mul_f32 v[80:81], v[48:49], v[84:85] op_sel_hi:[1,0]
	s_waitcnt vmcnt(7)
	v_pk_fma_f32 v[44:45], v[46:47], v[62:63], v[78:79] op_sel:[0,0,1] op_sel_hi:[1,1,0] neg_lo:[0,0,1] neg_hi:[0,0,1]
	v_pk_fma_f32 v[46:47], v[46:47], v[62:63], v[78:79] op_sel:[0,0,1] op_sel_hi:[1,0,0]
	v_mov_b32_e32 v43, v41
	v_pk_add_f32 v[36:37], v[36:37], v[90:91]
	v_mov_b32_e32 v88, v69
	s_waitcnt vmcnt(6)
	v_pk_fma_f32 v[58:59], v[48:49], v[64:65], v[80:81] op_sel:[0,0,1] op_sel_hi:[1,1,0] neg_lo:[0,0,1] neg_hi:[0,0,1]
	v_pk_fma_f32 v[48:49], v[48:49], v[64:65], v[80:81] op_sel:[0,0,1] op_sel_hi:[1,0,0]
	v_mov_b32_e32 v45, v47
	v_pk_add_f32 v[36:37], v[36:37], v[42:43]
	v_pk_mul_f32 v[84:85], v[52:53], v[88:89] op_sel_hi:[1,0]
	s_waitcnt vmcnt(5)
	v_pk_fma_f32 v[60:61], v[50:51], v[66:67], v[82:83] op_sel:[0,0,1] op_sel_hi:[1,1,0] neg_lo:[0,0,1] neg_hi:[0,0,1]
	v_pk_fma_f32 v[50:51], v[50:51], v[66:67], v[82:83] op_sel:[0,0,1] op_sel_hi:[1,0,0]
	v_mov_b32_e32 v59, v49
	v_pk_add_f32 v[36:37], v[36:37], v[44:45]
	v_mov_b32_e32 v92, v73
	s_waitcnt vmcnt(2)
	v_pk_fma_f32 v[62:63], v[52:53], v[68:69], v[84:85] op_sel:[0,0,1] op_sel_hi:[1,1,0] neg_lo:[0,0,1] neg_hi:[0,0,1]
	v_pk_fma_f32 v[52:53], v[52:53], v[68:69], v[84:85] op_sel:[0,0,1] op_sel_hi:[1,0,0]
	v_mov_b32_e32 v61, v51
	v_pk_add_f32 v[36:37], v[36:37], v[58:59]
	v_pk_mul_f32 v[88:89], v[56:57], v[92:93] op_sel_hi:[1,0]
	v_pk_fma_f32 v[64:65], v[54:55], v[70:71], v[86:87] op_sel:[0,0,1] op_sel_hi:[1,1,0] neg_lo:[0,0,1] neg_hi:[0,0,1]
	v_pk_fma_f32 v[54:55], v[54:55], v[70:71], v[86:87] op_sel:[0,0,1] op_sel_hi:[1,0,0]
	v_mov_b32_e32 v63, v53
	v_pk_add_f32 v[36:37], v[36:37], v[60:61]
	v_pk_fma_f32 v[66:67], v[56:57], v[72:73], v[88:89] op_sel:[0,0,1] op_sel_hi:[1,1,0] neg_lo:[0,0,1] neg_hi:[0,0,1]
	v_pk_fma_f32 v[56:57], v[56:57], v[72:73], v[88:89] op_sel:[0,0,1] op_sel_hi:[1,0,0]
	v_mov_b32_e32 v65, v55
	v_pk_add_f32 v[36:37], v[36:37], v[62:63]
	v_mov_b32_e32 v67, v57
	v_pk_add_f32 v[36:37], v[36:37], v[64:65]
	v_pk_add_f32 v[36:37], v[36:37], v[66:67]
	s_waitcnt vmcnt(0)
	v_pk_add_f32 v[36:37], v[74:75], v[36:37] neg_lo:[0,1] neg_hi:[0,1]
	buffer_store_dword v36, off, s[0:3], 0 offset:48
	buffer_store_dword v37, off, s[0:3], 0 offset:52
	s_and_saveexec_b64 s[4:5], vcc
	s_cbranch_execz .LBB80_105
; %bb.104:
	buffer_load_dword v36, off, s[0:3], 0 offset:40
	buffer_load_dword v37, off, s[0:3], 0 offset:44
	v_mov_b32_e32 v38, 0
	buffer_store_dword v38, off, s[0:3], 0 offset:40
	buffer_store_dword v38, off, s[0:3], 0 offset:44
	s_waitcnt vmcnt(2)
	ds_write_b64 v1, v[36:37]
.LBB80_105:
	s_or_b64 exec, exec, s[4:5]
	s_waitcnt lgkmcnt(0)
	; wave barrier
	s_waitcnt lgkmcnt(0)
	buffer_load_dword v37, off, s[0:3], 0 offset:52
	buffer_load_dword v78, off, s[0:3], 0 offset:60
	;; [unrolled: 1-line block ×24, first 2 shown]
	v_mov_b32_e32 v36, 0
	ds_read_b128 v[38:41], v36 offset:192
	ds_read_b128 v[42:45], v36 offset:208
	;; [unrolled: 1-line block ×5, first 2 shown]
	ds_read_b64 v[76:77], v36 offset:272
	v_cmp_lt_u32_e32 vcc, 4, v0
	s_waitcnt vmcnt(23) lgkmcnt(5)
	v_mul_f32_e32 v91, v38, v37
	v_mul_f32_e32 v37, v39, v37
	s_waitcnt vmcnt(22)
	v_mul_f32_e32 v79, v40, v78
	s_waitcnt vmcnt(21) lgkmcnt(4)
	v_mul_f32_e32 v81, v42, v80
	v_mul_f32_e32 v78, v41, v78
	;; [unrolled: 1-line block ×3, first 2 shown]
	s_waitcnt vmcnt(20)
	v_mov_b32_e32 v82, v59
	s_waitcnt vmcnt(19)
	v_mov_b32_e32 v84, v61
	;; [unrolled: 2-line block ×5, first 2 shown]
	s_waitcnt vmcnt(12)
	v_fmac_f32_e32 v91, v39, v83
	v_fma_f32 v37, v38, v83, -v37
	v_mov_b32_e32 v92, v69
	s_waitcnt vmcnt(11)
	v_fmac_f32_e32 v79, v41, v85
	s_waitcnt vmcnt(10)
	v_fmac_f32_e32 v81, v43, v87
	v_fma_f32 v78, v40, v85, -v78
	v_fma_f32 v80, v42, v87, -v80
	v_pk_mul_f32 v[38:39], v[44:45], v[82:83] op_sel_hi:[1,0]
	s_waitcnt lgkmcnt(3)
	v_pk_mul_f32 v[40:41], v[46:47], v[84:85] op_sel_hi:[1,0]
	v_pk_mul_f32 v[42:43], v[48:49], v[86:87] op_sel_hi:[1,0]
	s_waitcnt lgkmcnt(2)
	v_pk_mul_f32 v[82:83], v[50:51], v[88:89] op_sel_hi:[1,0]
	v_pk_mul_f32 v[84:85], v[52:53], v[90:91] op_sel_hi:[1,0]
	v_add_f32_e32 v91, 0, v91
	v_add_f32_e32 v90, 0, v37
	s_waitcnt lgkmcnt(1)
	v_pk_mul_f32 v[86:87], v[54:55], v[92:93] op_sel_hi:[1,0]
	s_waitcnt vmcnt(9)
	v_pk_fma_f32 v[92:93], v[44:45], v[58:59], v[38:39] op_sel:[0,0,1] op_sel_hi:[1,1,0] neg_lo:[0,0,1] neg_hi:[0,0,1]
	v_pk_fma_f32 v[38:39], v[44:45], v[58:59], v[38:39] op_sel:[0,0,1] op_sel_hi:[1,0,0]
	s_waitcnt vmcnt(8)
	v_pk_fma_f32 v[44:45], v[46:47], v[60:61], v[40:41] op_sel:[0,0,1] op_sel_hi:[1,1,0] neg_lo:[0,0,1] neg_hi:[0,0,1]
	v_pk_fma_f32 v[40:41], v[46:47], v[60:61], v[40:41] op_sel:[0,0,1] op_sel_hi:[1,0,0]
	;; [unrolled: 3-line block ×4, first 2 shown]
	v_pk_add_f32 v[64:65], v[90:91], v[78:79]
	v_mov_b32_e32 v93, v39
	v_pk_add_f32 v[38:39], v[64:65], v[80:81]
	v_mov_b32_e32 v45, v41
	;; [unrolled: 2-line block ×4, first 2 shown]
	s_waitcnt vmcnt(2)
	v_pk_fma_f32 v[58:59], v[52:53], v[66:67], v[84:85] op_sel:[0,0,1] op_sel_hi:[1,1,0] neg_lo:[0,0,1] neg_hi:[0,0,1]
	v_pk_fma_f32 v[52:53], v[52:53], v[66:67], v[84:85] op_sel:[0,0,1] op_sel_hi:[1,0,0]
	v_mov_b32_e32 v49, v51
	v_pk_add_f32 v[38:39], v[38:39], v[46:47]
	v_mov_b32_e32 v96, v73
	v_pk_mul_f32 v[88:89], v[56:57], v[94:95] op_sel_hi:[1,0]
	v_pk_fma_f32 v[60:61], v[54:55], v[68:69], v[86:87] op_sel:[0,0,1] op_sel_hi:[1,1,0] neg_lo:[0,0,1] neg_hi:[0,0,1]
	v_pk_fma_f32 v[54:55], v[54:55], v[68:69], v[86:87] op_sel:[0,0,1] op_sel_hi:[1,0,0]
	v_mov_b32_e32 v59, v53
	v_pk_add_f32 v[38:39], v[38:39], v[48:49]
	v_pk_fma_f32 v[62:63], v[56:57], v[70:71], v[88:89] op_sel:[0,0,1] op_sel_hi:[1,1,0] neg_lo:[0,0,1] neg_hi:[0,0,1]
	v_pk_fma_f32 v[56:57], v[56:57], v[70:71], v[88:89] op_sel:[0,0,1] op_sel_hi:[1,0,0]
	v_mov_b32_e32 v61, v55
	v_pk_add_f32 v[38:39], v[38:39], v[58:59]
	s_waitcnt lgkmcnt(0)
	v_pk_mul_f32 v[40:41], v[76:77], v[96:97] op_sel_hi:[1,0]
	v_mov_b32_e32 v63, v57
	v_pk_add_f32 v[38:39], v[38:39], v[60:61]
	v_pk_fma_f32 v[42:43], v[76:77], v[72:73], v[40:41] op_sel:[0,0,1] op_sel_hi:[1,1,0] neg_lo:[0,0,1] neg_hi:[0,0,1]
	v_pk_fma_f32 v[40:41], v[76:77], v[72:73], v[40:41] op_sel:[0,0,1] op_sel_hi:[1,0,0]
	v_pk_add_f32 v[38:39], v[38:39], v[62:63]
	v_mov_b32_e32 v43, v41
	v_pk_add_f32 v[38:39], v[38:39], v[42:43]
	s_waitcnt vmcnt(0)
	v_pk_add_f32 v[38:39], v[74:75], v[38:39] neg_lo:[0,1] neg_hi:[0,1]
	buffer_store_dword v39, off, s[0:3], 0 offset:44
	buffer_store_dword v38, off, s[0:3], 0 offset:40
	s_and_saveexec_b64 s[4:5], vcc
	s_cbranch_execz .LBB80_107
; %bb.106:
	buffer_load_dword v38, off, s[0:3], 0 offset:32
	buffer_load_dword v39, off, s[0:3], 0 offset:36
	s_waitcnt vmcnt(0)
	ds_write_b64 v1, v[38:39]
	buffer_store_dword v36, off, s[0:3], 0 offset:32
	buffer_store_dword v36, off, s[0:3], 0 offset:36
.LBB80_107:
	s_or_b64 exec, exec, s[4:5]
	s_waitcnt lgkmcnt(0)
	; wave barrier
	s_waitcnt lgkmcnt(0)
	buffer_load_dword v80, off, s[0:3], 0 offset:44
	buffer_load_dword v82, off, s[0:3], 0 offset:52
	;; [unrolled: 1-line block ×26, first 2 shown]
	ds_read2_b64 v[38:41], v36 offset0:23 offset1:24
	ds_read2_b64 v[42:45], v36 offset0:25 offset1:26
	ds_read2_b64 v[46:49], v36 offset0:27 offset1:28
	ds_read2_b64 v[50:53], v36 offset0:29 offset1:30
	ds_read2_b64 v[54:57], v36 offset0:31 offset1:32
	ds_read2_b64 v[58:61], v36 offset0:33 offset1:34
	v_cmp_lt_u32_e32 vcc, 3, v0
	s_waitcnt vmcnt(25) lgkmcnt(5)
	v_mul_f32_e32 v93, v38, v80
	v_mul_f32_e32 v36, v39, v80
	s_waitcnt vmcnt(24)
	v_mul_f32_e32 v94, v40, v82
	s_waitcnt vmcnt(23) lgkmcnt(4)
	v_mul_f32_e32 v37, v42, v83
	s_waitcnt vmcnt(22)
	v_mul_f32_e32 v81, v44, v84
	v_mul_f32_e32 v80, v41, v82
	;; [unrolled: 1-line block ×4, first 2 shown]
	s_waitcnt vmcnt(21)
	v_mov_b32_e32 v82, v63
	s_waitcnt vmcnt(20)
	v_mov_b32_e32 v84, v65
	;; [unrolled: 2-line block ×3, first 2 shown]
	s_waitcnt vmcnt(15)
	v_fmac_f32_e32 v93, v39, v85
	v_fma_f32 v96, v38, v85, -v36
	v_mov_b32_e32 v86, v67
	s_waitcnt vmcnt(14)
	v_fmac_f32_e32 v94, v41, v87
	s_waitcnt vmcnt(13)
	v_fmac_f32_e32 v37, v43, v89
	;; [unrolled: 2-line block ×3, first 2 shown]
	v_fma_f32 v97, v40, v87, -v80
	v_fma_f32 v36, v42, v89, -v83
	;; [unrolled: 1-line block ×3, first 2 shown]
	s_waitcnt lgkmcnt(3)
	v_pk_mul_f32 v[38:39], v[46:47], v[82:83] op_sel_hi:[1,0]
	v_pk_mul_f32 v[40:41], v[48:49], v[84:85] op_sel_hi:[1,0]
	s_waitcnt lgkmcnt(2)
	v_pk_mul_f32 v[44:45], v[52:53], v[88:89] op_sel_hi:[1,0]
	v_add_f32_e32 v88, 0, v93
	v_add_f32_e32 v89, 0, v96
	v_pk_mul_f32 v[42:43], v[50:51], v[86:87] op_sel_hi:[1,0]
	s_waitcnt vmcnt(11)
	v_pk_fma_f32 v[86:87], v[46:47], v[62:63], v[38:39] op_sel:[0,0,1] op_sel_hi:[1,1,0] neg_lo:[0,0,1] neg_hi:[0,0,1]
	v_pk_fma_f32 v[38:39], v[46:47], v[62:63], v[38:39] op_sel:[0,0,1] op_sel_hi:[1,0,0]
	s_waitcnt vmcnt(10)
	v_pk_fma_f32 v[46:47], v[48:49], v[64:65], v[40:41] op_sel:[0,0,1] op_sel_hi:[1,1,0] neg_lo:[0,0,1] neg_hi:[0,0,1]
	v_pk_fma_f32 v[40:41], v[48:49], v[64:65], v[40:41] op_sel:[0,0,1] op_sel_hi:[1,0,0]
	v_add_f32_e32 v65, v88, v94
	v_add_f32_e32 v64, v89, v97
	v_pk_add_f32 v[36:37], v[64:65], v[36:37]
	v_mov_b32_e32 v87, v39
	v_pk_add_f32 v[36:37], v[36:37], v[80:81]
	v_mov_b32_e32 v90, v71
	s_waitcnt vmcnt(9)
	v_pk_fma_f32 v[48:49], v[50:51], v[66:67], v[42:43] op_sel:[0,0,1] op_sel_hi:[1,1,0] neg_lo:[0,0,1] neg_hi:[0,0,1]
	v_pk_fma_f32 v[42:43], v[50:51], v[66:67], v[42:43] op_sel:[0,0,1] op_sel_hi:[1,0,0]
	v_mov_b32_e32 v47, v41
	v_pk_add_f32 v[36:37], v[36:37], v[86:87]
	v_mov_b32_e32 v92, v73
	s_waitcnt lgkmcnt(1)
	v_pk_mul_f32 v[82:83], v[54:55], v[90:91] op_sel_hi:[1,0]
	s_waitcnt vmcnt(5)
	v_pk_fma_f32 v[50:51], v[52:53], v[68:69], v[44:45] op_sel:[0,0,1] op_sel_hi:[1,1,0] neg_lo:[0,0,1] neg_hi:[0,0,1]
	v_pk_fma_f32 v[44:45], v[52:53], v[68:69], v[44:45] op_sel:[0,0,1] op_sel_hi:[1,0,0]
	v_mov_b32_e32 v49, v43
	v_pk_add_f32 v[36:37], v[36:37], v[46:47]
	s_waitcnt vmcnt(4)
	v_mov_b32_e32 v38, v75
	v_pk_mul_f32 v[84:85], v[56:57], v[92:93] op_sel_hi:[1,0]
	v_pk_fma_f32 v[52:53], v[54:55], v[70:71], v[82:83] op_sel:[0,0,1] op_sel_hi:[1,1,0] neg_lo:[0,0,1] neg_hi:[0,0,1]
	v_pk_fma_f32 v[54:55], v[54:55], v[70:71], v[82:83] op_sel:[0,0,1] op_sel_hi:[1,0,0]
	v_mov_b32_e32 v51, v45
	v_pk_add_f32 v[36:37], v[36:37], v[48:49]
	s_waitcnt lgkmcnt(0)
	v_pk_mul_f32 v[38:39], v[58:59], v[38:39] op_sel_hi:[1,0]
	v_pk_fma_f32 v[62:63], v[56:57], v[72:73], v[84:85] op_sel:[0,0,1] op_sel_hi:[1,1,0] neg_lo:[0,0,1] neg_hi:[0,0,1]
	v_pk_fma_f32 v[56:57], v[56:57], v[72:73], v[84:85] op_sel:[0,0,1] op_sel_hi:[1,0,0]
	v_mov_b32_e32 v53, v55
	v_pk_add_f32 v[36:37], v[36:37], v[50:51]
	v_pk_fma_f32 v[40:41], v[58:59], v[74:75], v[38:39] op_sel:[0,0,1] op_sel_hi:[1,1,0] neg_lo:[0,0,1] neg_hi:[0,0,1]
	v_pk_fma_f32 v[38:39], v[58:59], v[74:75], v[38:39] op_sel:[0,0,1] op_sel_hi:[1,0,0]
	v_mov_b32_e32 v63, v57
	v_pk_add_f32 v[36:37], v[36:37], v[52:53]
	s_waitcnt vmcnt(3)
	v_mov_b32_e32 v38, v77
	v_pk_add_f32 v[36:37], v[36:37], v[62:63]
	v_mov_b32_e32 v41, v39
	v_pk_mul_f32 v[38:39], v[60:61], v[38:39] op_sel_hi:[1,0]
	v_pk_add_f32 v[36:37], v[36:37], v[40:41]
	s_waitcnt vmcnt(2)
	v_pk_fma_f32 v[40:41], v[60:61], v[76:77], v[38:39] op_sel:[0,0,1] op_sel_hi:[1,1,0] neg_lo:[0,0,1] neg_hi:[0,0,1]
	v_pk_fma_f32 v[38:39], v[60:61], v[76:77], v[38:39] op_sel:[0,0,1] op_sel_hi:[1,0,0]
	v_mov_b32_e32 v41, v39
	v_pk_add_f32 v[36:37], v[36:37], v[40:41]
	s_waitcnt vmcnt(0)
	v_pk_add_f32 v[36:37], v[78:79], v[36:37] neg_lo:[0,1] neg_hi:[0,1]
	buffer_store_dword v37, off, s[0:3], 0 offset:36
	buffer_store_dword v36, off, s[0:3], 0 offset:32
	s_and_saveexec_b64 s[4:5], vcc
	s_cbranch_execz .LBB80_109
; %bb.108:
	buffer_load_dword v36, off, s[0:3], 0 offset:24
	buffer_load_dword v37, off, s[0:3], 0 offset:28
	v_mov_b32_e32 v38, 0
	buffer_store_dword v38, off, s[0:3], 0 offset:24
	buffer_store_dword v38, off, s[0:3], 0 offset:28
	s_waitcnt vmcnt(2)
	ds_write_b64 v1, v[36:37]
.LBB80_109:
	s_or_b64 exec, exec, s[4:5]
	s_waitcnt lgkmcnt(0)
	; wave barrier
	s_waitcnt lgkmcnt(0)
	buffer_load_dword v37, off, s[0:3], 0 offset:36
	buffer_load_dword v82, off, s[0:3], 0 offset:44
	;; [unrolled: 1-line block ×28, first 2 shown]
	v_mov_b32_e32 v36, 0
	ds_read_b128 v[38:41], v36 offset:176
	ds_read_b128 v[42:45], v36 offset:192
	;; [unrolled: 1-line block ×6, first 2 shown]
	ds_read_b64 v[80:81], v36 offset:272
	v_cmp_lt_u32_e32 vcc, 2, v0
	s_waitcnt vmcnt(27) lgkmcnt(6)
	v_mul_f32_e32 v97, v38, v37
	v_mul_f32_e32 v37, v39, v37
	s_waitcnt vmcnt(26)
	v_mul_f32_e32 v98, v40, v82
	s_waitcnt vmcnt(24) lgkmcnt(5)
	v_mul_f32_e32 v83, v44, v86
	s_waitcnt vmcnt(23) lgkmcnt(4)
	v_mul_f32_e32 v85, v46, v87
	v_mul_f32_e32 v100, v45, v86
	;; [unrolled: 1-line block ×3, first 2 shown]
	s_waitcnt vmcnt(22)
	v_mov_b32_e32 v86, v63
	v_mul_f32_e32 v99, v42, v84
	v_mul_f32_e32 v82, v41, v82
	;; [unrolled: 1-line block ×3, first 2 shown]
	s_waitcnt vmcnt(17)
	v_fmac_f32_e32 v97, v39, v89
	v_fma_f32 v37, v38, v89, -v37
	v_pk_mul_f32 v[38:39], v[48:49], v[86:87] op_sel_hi:[1,0]
	s_waitcnt vmcnt(16)
	v_fmac_f32_e32 v98, v41, v91
	s_waitcnt vmcnt(13)
	v_fmac_f32_e32 v85, v47, v96
	v_fma_f32 v89, v40, v91, -v82
	v_fma_f32 v91, v42, v93, -v84
	;; [unrolled: 1-line block ×3, first 2 shown]
	v_add_f32_e32 v86, 0, v97
	v_add_f32_e32 v37, 0, v37
	s_waitcnt vmcnt(12)
	v_pk_fma_f32 v[46:47], v[48:49], v[62:63], v[38:39] op_sel:[0,0,1] op_sel_hi:[1,1,0] neg_lo:[0,0,1] neg_hi:[0,0,1]
	v_pk_fma_f32 v[38:39], v[48:49], v[62:63], v[38:39] op_sel:[0,0,1] op_sel_hi:[1,0,0]
	v_fmac_f32_e32 v99, v43, v93
	v_add_f32_e32 v38, v86, v98
	v_add_f32_e32 v37, v37, v89
	v_mov_b32_e32 v88, v65
	v_fmac_f32_e32 v83, v45, v95
	v_fma_f32 v82, v44, v95, -v100
	v_mov_b32_e32 v47, v39
	v_add_f32_e32 v39, v38, v99
	v_add_f32_e32 v38, v37, v91
	v_mov_b32_e32 v90, v67
	s_waitcnt lgkmcnt(3)
	v_pk_mul_f32 v[40:41], v[50:51], v[88:89] op_sel_hi:[1,0]
	v_pk_add_f32 v[38:39], v[38:39], v[82:83]
	v_mov_b32_e32 v92, v69
	v_mov_b32_e32 v94, v71
	v_pk_mul_f32 v[42:43], v[52:53], v[90:91] op_sel_hi:[1,0]
	s_waitcnt vmcnt(11)
	v_pk_fma_f32 v[48:49], v[50:51], v[64:65], v[40:41] op_sel:[0,0,1] op_sel_hi:[1,1,0] neg_lo:[0,0,1] neg_hi:[0,0,1]
	v_pk_fma_f32 v[40:41], v[50:51], v[64:65], v[40:41] op_sel:[0,0,1] op_sel_hi:[1,0,0]
	v_pk_add_f32 v[38:39], v[38:39], v[84:85]
	s_waitcnt lgkmcnt(2)
	v_pk_mul_f32 v[44:45], v[54:55], v[92:93] op_sel_hi:[1,0]
	s_waitcnt vmcnt(10)
	v_pk_fma_f32 v[50:51], v[52:53], v[66:67], v[42:43] op_sel:[0,0,1] op_sel_hi:[1,1,0] neg_lo:[0,0,1] neg_hi:[0,0,1]
	v_pk_fma_f32 v[42:43], v[52:53], v[66:67], v[42:43] op_sel:[0,0,1] op_sel_hi:[1,0,0]
	v_mov_b32_e32 v49, v41
	v_pk_add_f32 v[38:39], v[38:39], v[46:47]
	v_pk_mul_f32 v[40:41], v[56:57], v[94:95] op_sel_hi:[1,0]
	s_waitcnt vmcnt(9)
	v_pk_fma_f32 v[52:53], v[54:55], v[68:69], v[44:45] op_sel:[0,0,1] op_sel_hi:[1,1,0] neg_lo:[0,0,1] neg_hi:[0,0,1]
	v_pk_fma_f32 v[44:45], v[54:55], v[68:69], v[44:45] op_sel:[0,0,1] op_sel_hi:[1,0,0]
	v_mov_b32_e32 v51, v43
	v_pk_add_f32 v[38:39], v[38:39], v[48:49]
	s_waitcnt vmcnt(8)
	v_pk_fma_f32 v[42:43], v[56:57], v[70:71], v[40:41] op_sel:[0,0,1] op_sel_hi:[1,1,0] neg_lo:[0,0,1] neg_hi:[0,0,1]
	v_pk_fma_f32 v[40:41], v[56:57], v[70:71], v[40:41] op_sel:[0,0,1] op_sel_hi:[1,0,0]
	v_mov_b32_e32 v53, v45
	v_pk_add_f32 v[38:39], v[38:39], v[50:51]
	s_waitcnt vmcnt(7)
	v_mov_b32_e32 v40, v73
	v_pk_add_f32 v[38:39], v[38:39], v[52:53]
	v_mov_b32_e32 v43, v41
	s_waitcnt lgkmcnt(1)
	v_pk_mul_f32 v[40:41], v[58:59], v[40:41] op_sel_hi:[1,0]
	v_pk_add_f32 v[38:39], v[38:39], v[42:43]
	s_waitcnt vmcnt(6)
	v_pk_fma_f32 v[42:43], v[58:59], v[72:73], v[40:41] op_sel:[0,0,1] op_sel_hi:[1,1,0] neg_lo:[0,0,1] neg_hi:[0,0,1]
	v_pk_fma_f32 v[40:41], v[58:59], v[72:73], v[40:41] op_sel:[0,0,1] op_sel_hi:[1,0,0]
	s_waitcnt vmcnt(5)
	v_mov_b32_e32 v40, v75
	v_mov_b32_e32 v43, v41
	v_pk_mul_f32 v[40:41], v[60:61], v[40:41] op_sel_hi:[1,0]
	v_pk_add_f32 v[38:39], v[38:39], v[42:43]
	s_waitcnt vmcnt(4)
	v_pk_fma_f32 v[42:43], v[60:61], v[74:75], v[40:41] op_sel:[0,0,1] op_sel_hi:[1,1,0] neg_lo:[0,0,1] neg_hi:[0,0,1]
	v_pk_fma_f32 v[40:41], v[60:61], v[74:75], v[40:41] op_sel:[0,0,1] op_sel_hi:[1,0,0]
	s_waitcnt vmcnt(2)
	v_mov_b32_e32 v40, v77
	v_mov_b32_e32 v43, v41
	s_waitcnt lgkmcnt(0)
	v_pk_mul_f32 v[40:41], v[80:81], v[40:41] op_sel_hi:[1,0]
	v_pk_add_f32 v[38:39], v[38:39], v[42:43]
	v_pk_fma_f32 v[42:43], v[80:81], v[76:77], v[40:41] op_sel:[0,0,1] op_sel_hi:[1,1,0] neg_lo:[0,0,1] neg_hi:[0,0,1]
	v_pk_fma_f32 v[40:41], v[80:81], v[76:77], v[40:41] op_sel:[0,0,1] op_sel_hi:[1,0,0]
	v_mov_b32_e32 v43, v41
	v_pk_add_f32 v[38:39], v[38:39], v[42:43]
	s_waitcnt vmcnt(0)
	v_pk_add_f32 v[38:39], v[78:79], v[38:39] neg_lo:[0,1] neg_hi:[0,1]
	buffer_store_dword v39, off, s[0:3], 0 offset:28
	buffer_store_dword v38, off, s[0:3], 0 offset:24
	s_and_saveexec_b64 s[4:5], vcc
	s_cbranch_execz .LBB80_111
; %bb.110:
	buffer_load_dword v38, off, s[0:3], 0 offset:16
	buffer_load_dword v39, off, s[0:3], 0 offset:20
	s_waitcnt vmcnt(0)
	ds_write_b64 v1, v[38:39]
	buffer_store_dword v36, off, s[0:3], 0 offset:16
	buffer_store_dword v36, off, s[0:3], 0 offset:20
.LBB80_111:
	s_or_b64 exec, exec, s[4:5]
	s_waitcnt lgkmcnt(0)
	; wave barrier
	s_waitcnt lgkmcnt(0)
	buffer_load_dword v84, off, s[0:3], 0 offset:28
	buffer_load_dword v86, off, s[0:3], 0 offset:36
	;; [unrolled: 1-line block ×30, first 2 shown]
	ds_read2_b64 v[38:41], v36 offset0:21 offset1:22
	ds_read2_b64 v[42:45], v36 offset0:23 offset1:24
	;; [unrolled: 1-line block ×7, first 2 shown]
	v_cmp_lt_u32_e32 vcc, 1, v0
	s_waitcnt vmcnt(29) lgkmcnt(6)
	v_mul_f32_e32 v97, v38, v84
	s_waitcnt vmcnt(28)
	v_mul_f32_e32 v98, v40, v86
	s_waitcnt vmcnt(27) lgkmcnt(5)
	v_mul_f32_e32 v99, v42, v87
	v_mul_f32_e32 v87, v43, v87
	s_waitcnt vmcnt(26)
	v_mul_f32_e32 v100, v44, v88
	s_waitcnt vmcnt(25) lgkmcnt(4)
	v_mul_f32_e32 v37, v46, v89
	v_mul_f32_e32 v36, v39, v84
	;; [unrolled: 1-line block ×5, first 2 shown]
	s_waitcnt vmcnt(23)
	v_mov_b32_e32 v86, v67
	s_waitcnt vmcnt(22)
	v_mov_b32_e32 v88, v69
	s_waitcnt vmcnt(18)
	v_fma_f32 v87, v42, v93, -v87
	v_fmac_f32_e32 v97, v39, v91
	v_fmac_f32_e32 v98, v41, v92
	s_waitcnt vmcnt(17)
	v_fmac_f32_e32 v100, v45, v94
	v_fma_f32 v45, v38, v91, -v36
	v_fma_f32 v91, v40, v92, -v84
	s_waitcnt lgkmcnt(3)
	v_pk_mul_f32 v[38:39], v[50:51], v[86:87] op_sel_hi:[1,0]
	v_pk_mul_f32 v[40:41], v[52:53], v[88:89] op_sel_hi:[1,0]
	s_waitcnt vmcnt(16)
	v_fmac_f32_e32 v37, v47, v95
	v_fma_f32 v92, v44, v94, -v101
	v_fma_f32 v36, v46, v95, -v89
	v_add_f32_e32 v86, 0, v97
	v_add_f32_e32 v88, 0, v45
	s_waitcnt vmcnt(14)
	v_pk_fma_f32 v[44:45], v[50:51], v[66:67], v[38:39] op_sel:[0,0,1] op_sel_hi:[1,1,0] neg_lo:[0,0,1] neg_hi:[0,0,1]
	v_pk_fma_f32 v[38:39], v[50:51], v[66:67], v[38:39] op_sel:[0,0,1] op_sel_hi:[1,0,0]
	s_waitcnt vmcnt(10)
	v_pk_fma_f32 v[46:47], v[52:53], v[68:69], v[40:41] op_sel:[0,0,1] op_sel_hi:[1,1,0] neg_lo:[0,0,1] neg_hi:[0,0,1]
	v_pk_fma_f32 v[40:41], v[52:53], v[68:69], v[40:41] op_sel:[0,0,1] op_sel_hi:[1,0,0]
	v_fmac_f32_e32 v99, v43, v93
	v_add_f32_e32 v38, v86, v98
	v_add_f32_e32 v40, v88, v91
	v_add_f32_e32 v38, v38, v99
	v_add_f32_e32 v40, v40, v87
	v_mul_f32_e32 v85, v48, v90
	v_mul_f32_e32 v102, v49, v90
	v_mov_b32_e32 v45, v39
	v_add_f32_e32 v39, v38, v100
	v_add_f32_e32 v38, v40, v92
	v_mov_b32_e32 v90, v71
	v_fmac_f32_e32 v85, v49, v96
	v_fma_f32 v84, v48, v96, -v102
	v_pk_add_f32 v[36:37], v[38:39], v[36:37]
	s_waitcnt vmcnt(9)
	v_mov_b32_e32 v38, v75
	s_waitcnt lgkmcnt(2)
	v_pk_mul_f32 v[42:43], v[54:55], v[90:91] op_sel_hi:[1,0]
	v_pk_add_f32 v[36:37], v[36:37], v[84:85]
	v_pk_mul_f32 v[38:39], v[56:57], v[38:39] op_sel_hi:[1,0]
	v_pk_fma_f32 v[48:49], v[54:55], v[70:71], v[42:43] op_sel:[0,0,1] op_sel_hi:[1,1,0] neg_lo:[0,0,1] neg_hi:[0,0,1]
	v_pk_fma_f32 v[42:43], v[54:55], v[70:71], v[42:43] op_sel:[0,0,1] op_sel_hi:[1,0,0]
	v_mov_b32_e32 v47, v41
	v_pk_add_f32 v[36:37], v[36:37], v[44:45]
	v_pk_fma_f32 v[40:41], v[56:57], v[74:75], v[38:39] op_sel:[0,0,1] op_sel_hi:[1,1,0] neg_lo:[0,0,1] neg_hi:[0,0,1]
	v_pk_fma_f32 v[38:39], v[56:57], v[74:75], v[38:39] op_sel:[0,0,1] op_sel_hi:[1,0,0]
	v_mov_b32_e32 v49, v43
	v_pk_add_f32 v[36:37], v[36:37], v[46:47]
	s_waitcnt vmcnt(8)
	v_mov_b32_e32 v38, v73
	v_pk_add_f32 v[36:37], v[36:37], v[48:49]
	v_mov_b32_e32 v41, v39
	s_waitcnt lgkmcnt(1)
	v_pk_mul_f32 v[38:39], v[58:59], v[38:39] op_sel_hi:[1,0]
	v_pk_add_f32 v[36:37], v[36:37], v[40:41]
	v_pk_fma_f32 v[40:41], v[58:59], v[72:73], v[38:39] op_sel:[0,0,1] op_sel_hi:[1,1,0] neg_lo:[0,0,1] neg_hi:[0,0,1]
	v_pk_fma_f32 v[38:39], v[58:59], v[72:73], v[38:39] op_sel:[0,0,1] op_sel_hi:[1,0,0]
	s_waitcnt vmcnt(7)
	v_mov_b32_e32 v38, v77
	v_mov_b32_e32 v41, v39
	v_pk_mul_f32 v[38:39], v[60:61], v[38:39] op_sel_hi:[1,0]
	v_pk_add_f32 v[36:37], v[36:37], v[40:41]
	s_waitcnt vmcnt(4)
	v_pk_fma_f32 v[40:41], v[60:61], v[76:77], v[38:39] op_sel:[0,0,1] op_sel_hi:[1,1,0] neg_lo:[0,0,1] neg_hi:[0,0,1]
	v_pk_fma_f32 v[38:39], v[60:61], v[76:77], v[38:39] op_sel:[0,0,1] op_sel_hi:[1,0,0]
	s_waitcnt vmcnt(3)
	v_mov_b32_e32 v38, v81
	v_mov_b32_e32 v41, v39
	s_waitcnt lgkmcnt(0)
	v_pk_mul_f32 v[38:39], v[62:63], v[38:39] op_sel_hi:[1,0]
	v_pk_add_f32 v[36:37], v[36:37], v[40:41]
	v_pk_fma_f32 v[40:41], v[62:63], v[80:81], v[38:39] op_sel:[0,0,1] op_sel_hi:[1,1,0] neg_lo:[0,0,1] neg_hi:[0,0,1]
	v_pk_fma_f32 v[38:39], v[62:63], v[80:81], v[38:39] op_sel:[0,0,1] op_sel_hi:[1,0,0]
	s_waitcnt vmcnt(0)
	v_mov_b32_e32 v38, v79
	v_mov_b32_e32 v41, v39
	v_pk_mul_f32 v[38:39], v[64:65], v[38:39] op_sel_hi:[1,0]
	v_pk_add_f32 v[36:37], v[36:37], v[40:41]
	v_pk_fma_f32 v[40:41], v[64:65], v[78:79], v[38:39] op_sel:[0,0,1] op_sel_hi:[1,1,0] neg_lo:[0,0,1] neg_hi:[0,0,1]
	v_pk_fma_f32 v[38:39], v[64:65], v[78:79], v[38:39] op_sel:[0,0,1] op_sel_hi:[1,0,0]
	v_mov_b32_e32 v41, v39
	v_pk_add_f32 v[36:37], v[36:37], v[40:41]
	v_pk_add_f32 v[36:37], v[82:83], v[36:37] neg_lo:[0,1] neg_hi:[0,1]
	buffer_store_dword v37, off, s[0:3], 0 offset:20
	buffer_store_dword v36, off, s[0:3], 0 offset:16
	s_and_saveexec_b64 s[4:5], vcc
	s_cbranch_execz .LBB80_113
; %bb.112:
	buffer_load_dword v36, off, s[0:3], 0 offset:8
	buffer_load_dword v37, off, s[0:3], 0 offset:12
	v_mov_b32_e32 v38, 0
	buffer_store_dword v38, off, s[0:3], 0 offset:8
	buffer_store_dword v38, off, s[0:3], 0 offset:12
	s_waitcnt vmcnt(2)
	ds_write_b64 v1, v[36:37]
.LBB80_113:
	s_or_b64 exec, exec, s[4:5]
	s_waitcnt lgkmcnt(0)
	; wave barrier
	s_waitcnt lgkmcnt(0)
	buffer_load_dword v37, off, s[0:3], 0 offset:20
	buffer_load_dword v86, off, s[0:3], 0 offset:28
	;; [unrolled: 1-line block ×32, first 2 shown]
	v_mov_b32_e32 v36, 0
	ds_read_b128 v[38:41], v36 offset:160
	ds_read_b128 v[42:45], v36 offset:176
	ds_read_b128 v[46:49], v36 offset:192
	ds_read_b128 v[50:53], v36 offset:208
	ds_read_b128 v[54:57], v36 offset:224
	ds_read_b128 v[58:61], v36 offset:240
	ds_read_b128 v[62:65], v36 offset:256
	ds_read_b64 v[84:85], v36 offset:272
	v_cmp_ne_u32_e32 vcc, 0, v0
	s_waitcnt vmcnt(31) lgkmcnt(7)
	v_mul_f32_e32 v101, v38, v37
	v_mul_f32_e32 v37, v39, v37
	s_waitcnt vmcnt(30)
	v_mul_f32_e32 v102, v40, v86
	s_waitcnt vmcnt(28) lgkmcnt(6)
	v_mul_f32_e32 v104, v44, v90
	s_waitcnt vmcnt(27) lgkmcnt(5)
	v_mul_f32_e32 v105, v46, v91
	v_mul_f32_e32 v106, v45, v90
	;; [unrolled: 1-line block ×3, first 2 shown]
	s_waitcnt vmcnt(24)
	v_mov_b32_e32 v90, v67
	v_mul_f32_e32 v103, v42, v88
	v_mul_f32_e32 v86, v41, v86
	s_waitcnt vmcnt(22)
	v_fmac_f32_e32 v101, v39, v94
	v_fma_f32 v37, v38, v94, -v37
	s_waitcnt lgkmcnt(4)
	v_pk_mul_f32 v[38:39], v[52:53], v[90:91] op_sel_hi:[1,0]
	v_mul_f32_e32 v88, v43, v88
	s_waitcnt vmcnt(21)
	v_fmac_f32_e32 v102, v41, v95
	s_waitcnt vmcnt(20)
	v_fmac_f32_e32 v103, v43, v96
	;; [unrolled: 2-line block ×3, first 2 shown]
	v_fma_f32 v43, v40, v95, -v86
	s_waitcnt vmcnt(18)
	v_fma_f32 v45, v46, v98, -v91
	v_add_f32_e32 v46, 0, v101
	v_add_f32_e32 v37, 0, v37
	s_waitcnt vmcnt(12)
	v_pk_fma_f32 v[40:41], v[52:53], v[66:67], v[38:39] op_sel:[0,0,1] op_sel_hi:[1,1,0] neg_lo:[0,0,1] neg_hi:[0,0,1]
	v_pk_fma_f32 v[38:39], v[52:53], v[66:67], v[38:39] op_sel:[0,0,1] op_sel_hi:[1,0,0]
	v_fma_f32 v42, v42, v96, -v88
	v_add_f32_e32 v38, v46, v102
	v_add_f32_e32 v37, v37, v43
	v_fma_f32 v44, v44, v97, -v106
	v_add_f32_e32 v38, v38, v103
	v_add_f32_e32 v37, v37, v42
	v_mul_f32_e32 v87, v48, v92
	v_mul_f32_e32 v107, v49, v92
	v_fmac_f32_e32 v105, v47, v98
	v_add_f32_e32 v38, v38, v104
	v_add_f32_e32 v37, v37, v44
	v_mul_f32_e32 v89, v50, v93
	v_mul_f32_e32 v93, v51, v93
	v_fmac_f32_e32 v87, v49, v99
	v_fma_f32 v86, v48, v99, -v107
	v_mov_b32_e32 v41, v39
	v_add_f32_e32 v39, v38, v105
	v_add_f32_e32 v38, v37, v45
	v_fmac_f32_e32 v89, v51, v100
	v_fma_f32 v88, v50, v100, -v93
	v_pk_add_f32 v[38:39], v[38:39], v[86:87]
	v_mov_b32_e32 v92, v69
	v_pk_add_f32 v[38:39], v[38:39], v[88:89]
	v_pk_add_f32 v[38:39], v[38:39], v[40:41]
	s_waitcnt lgkmcnt(3)
	v_pk_mul_f32 v[40:41], v[54:55], v[92:93] op_sel_hi:[1,0]
	v_pk_fma_f32 v[42:43], v[54:55], v[68:69], v[40:41] op_sel:[0,0,1] op_sel_hi:[1,1,0] neg_lo:[0,0,1] neg_hi:[0,0,1]
	v_pk_fma_f32 v[40:41], v[54:55], v[68:69], v[40:41] op_sel:[0,0,1] op_sel_hi:[1,0,0]
	s_waitcnt vmcnt(11)
	v_mov_b32_e32 v40, v73
	v_mov_b32_e32 v43, v41
	v_pk_mul_f32 v[40:41], v[56:57], v[40:41] op_sel_hi:[1,0]
	v_pk_add_f32 v[38:39], v[38:39], v[42:43]
	v_pk_fma_f32 v[42:43], v[56:57], v[72:73], v[40:41] op_sel:[0,0,1] op_sel_hi:[1,1,0] neg_lo:[0,0,1] neg_hi:[0,0,1]
	v_pk_fma_f32 v[40:41], v[56:57], v[72:73], v[40:41] op_sel:[0,0,1] op_sel_hi:[1,0,0]
	s_waitcnt vmcnt(10)
	v_mov_b32_e32 v40, v71
	v_mov_b32_e32 v43, v41
	s_waitcnt lgkmcnt(2)
	v_pk_mul_f32 v[40:41], v[58:59], v[40:41] op_sel_hi:[1,0]
	v_pk_add_f32 v[38:39], v[38:39], v[42:43]
	v_pk_fma_f32 v[42:43], v[58:59], v[70:71], v[40:41] op_sel:[0,0,1] op_sel_hi:[1,1,0] neg_lo:[0,0,1] neg_hi:[0,0,1]
	v_pk_fma_f32 v[40:41], v[58:59], v[70:71], v[40:41] op_sel:[0,0,1] op_sel_hi:[1,0,0]
	s_waitcnt vmcnt(9)
	v_mov_b32_e32 v40, v75
	v_mov_b32_e32 v43, v41
	v_pk_mul_f32 v[40:41], v[60:61], v[40:41] op_sel_hi:[1,0]
	v_pk_add_f32 v[38:39], v[38:39], v[42:43]
	s_waitcnt vmcnt(4)
	v_pk_fma_f32 v[42:43], v[60:61], v[74:75], v[40:41] op_sel:[0,0,1] op_sel_hi:[1,1,0] neg_lo:[0,0,1] neg_hi:[0,0,1]
	v_pk_fma_f32 v[40:41], v[60:61], v[74:75], v[40:41] op_sel:[0,0,1] op_sel_hi:[1,0,0]
	v_mov_b32_e32 v40, v81
	v_mov_b32_e32 v43, v41
	s_waitcnt lgkmcnt(1)
	v_pk_mul_f32 v[40:41], v[62:63], v[40:41] op_sel_hi:[1,0]
	v_pk_add_f32 v[38:39], v[38:39], v[42:43]
	v_pk_fma_f32 v[42:43], v[62:63], v[80:81], v[40:41] op_sel:[0,0,1] op_sel_hi:[1,1,0] neg_lo:[0,0,1] neg_hi:[0,0,1]
	v_pk_fma_f32 v[40:41], v[62:63], v[80:81], v[40:41] op_sel:[0,0,1] op_sel_hi:[1,0,0]
	s_waitcnt vmcnt(3)
	v_mov_b32_e32 v40, v79
	v_mov_b32_e32 v43, v41
	v_pk_mul_f32 v[40:41], v[64:65], v[40:41] op_sel_hi:[1,0]
	v_pk_add_f32 v[38:39], v[38:39], v[42:43]
	v_pk_fma_f32 v[42:43], v[64:65], v[78:79], v[40:41] op_sel:[0,0,1] op_sel_hi:[1,1,0] neg_lo:[0,0,1] neg_hi:[0,0,1]
	v_pk_fma_f32 v[40:41], v[64:65], v[78:79], v[40:41] op_sel:[0,0,1] op_sel_hi:[1,0,0]
	s_waitcnt vmcnt(0)
	v_mov_b32_e32 v40, v77
	v_mov_b32_e32 v43, v41
	s_waitcnt lgkmcnt(0)
	v_pk_mul_f32 v[40:41], v[84:85], v[40:41] op_sel_hi:[1,0]
	v_pk_add_f32 v[38:39], v[38:39], v[42:43]
	v_pk_fma_f32 v[42:43], v[84:85], v[76:77], v[40:41] op_sel:[0,0,1] op_sel_hi:[1,1,0] neg_lo:[0,0,1] neg_hi:[0,0,1]
	v_pk_fma_f32 v[40:41], v[84:85], v[76:77], v[40:41] op_sel:[0,0,1] op_sel_hi:[1,0,0]
	v_mov_b32_e32 v43, v41
	v_pk_add_f32 v[38:39], v[38:39], v[42:43]
	v_pk_add_f32 v[38:39], v[82:83], v[38:39] neg_lo:[0,1] neg_hi:[0,1]
	buffer_store_dword v39, off, s[0:3], 0 offset:12
	buffer_store_dword v38, off, s[0:3], 0 offset:8
	s_and_saveexec_b64 s[4:5], vcc
	s_cbranch_execz .LBB80_115
; %bb.114:
	buffer_load_dword v38, off, s[0:3], 0
	buffer_load_dword v39, off, s[0:3], 0 offset:4
	s_waitcnt vmcnt(0)
	ds_write_b64 v1, v[38:39]
	buffer_store_dword v36, off, s[0:3], 0
	buffer_store_dword v36, off, s[0:3], 0 offset:4
.LBB80_115:
	s_or_b64 exec, exec, s[4:5]
	s_waitcnt lgkmcnt(0)
	; wave barrier
	s_waitcnt lgkmcnt(0)
	buffer_load_dword v86, off, s[0:3], 0 offset:12
	buffer_load_dword v88, off, s[0:3], 0 offset:20
	;; [unrolled: 1-line block ×29, first 2 shown]
	buffer_load_dword v82, off, s[0:3], 0
	buffer_load_dword v83, off, s[0:3], 0 offset:4
	buffer_load_dword v77, off, s[0:3], 0 offset:124
	ds_read2_b64 v[38:41], v36 offset0:19 offset1:20
	ds_read2_b64 v[42:45], v36 offset0:21 offset1:22
	ds_read2_b64 v[46:49], v36 offset0:23 offset1:24
	ds_read2_b64 v[50:53], v36 offset0:25 offset1:26
	buffer_load_dword v85, off, s[0:3], 0 offset:132
	buffer_load_dword v84, off, s[0:3], 0 offset:128
	ds_read2_b64 v[54:57], v36 offset0:27 offset1:28
	ds_read2_b64 v[58:61], v36 offset0:29 offset1:30
	;; [unrolled: 1-line block ×4, first 2 shown]
	s_and_b64 vcc, exec, s[16:17]
	s_waitcnt vmcnt(33) lgkmcnt(7)
	v_mul_f32_e32 v103, v38, v86
	v_mul_f32_e32 v36, v39, v86
	s_waitcnt vmcnt(32)
	v_mul_f32_e32 v104, v40, v88
	s_waitcnt vmcnt(31) lgkmcnt(6)
	v_mul_f32_e32 v105, v42, v89
	v_mul_f32_e32 v86, v41, v88
	;; [unrolled: 1-line block ×3, first 2 shown]
	s_waitcnt vmcnt(30)
	v_mul_f32_e32 v89, v45, v90
	v_mul_f32_e32 v106, v44, v90
	s_waitcnt vmcnt(25)
	v_fmac_f32_e32 v103, v39, v95
	v_fma_f32 v38, v38, v95, -v36
	s_waitcnt vmcnt(24)
	v_fmac_f32_e32 v104, v41, v96
	v_fma_f32 v39, v40, v96, -v86
	s_waitcnt vmcnt(22)
	v_fma_f32 v41, v44, v98, -v89
	v_add_f32_e32 v44, 0, v103
	v_add_f32_e32 v38, 0, v38
	v_fmac_f32_e32 v105, v43, v97
	v_fma_f32 v40, v42, v97, -v88
	v_add_f32_e32 v44, v44, v104
	v_add_f32_e32 v38, v38, v39
	s_waitcnt lgkmcnt(5)
	v_mul_f32_e32 v107, v46, v91
	v_mul_f32_e32 v90, v47, v91
	v_fmac_f32_e32 v106, v45, v98
	v_add_f32_e32 v39, v44, v105
	v_add_f32_e32 v38, v38, v40
	v_mul_f32_e32 v108, v48, v92
	v_mul_f32_e32 v91, v49, v92
	s_waitcnt vmcnt(21)
	v_fmac_f32_e32 v107, v47, v99
	v_fma_f32 v42, v46, v99, -v90
	v_add_f32_e32 v39, v39, v106
	v_add_f32_e32 v38, v38, v41
	s_waitcnt lgkmcnt(4)
	v_mul_f32_e32 v37, v50, v93
	v_mul_f32_e32 v92, v51, v93
	s_waitcnt vmcnt(20)
	v_fmac_f32_e32 v108, v49, v100
	v_fma_f32 v43, v48, v100, -v91
	v_add_f32_e32 v39, v39, v107
	v_add_f32_e32 v38, v38, v42
	s_waitcnt vmcnt(19)
	v_fmac_f32_e32 v37, v51, v101
	v_fma_f32 v36, v50, v101, -v92
	v_add_f32_e32 v39, v39, v108
	v_add_f32_e32 v38, v38, v43
	v_pk_add_f32 v[36:37], v[38:39], v[36:37]
	s_waitcnt vmcnt(17)
	v_mov_b32_e32 v38, v1
	v_mul_f32_e32 v87, v52, v94
	v_mul_f32_e32 v93, v53, v94
	s_waitcnt lgkmcnt(3)
	v_pk_mul_f32 v[38:39], v[54:55], v[38:39] op_sel_hi:[1,0]
	v_fmac_f32_e32 v87, v53, v102
	v_fma_f32 v86, v52, v102, -v93
	s_waitcnt vmcnt(14)
	v_pk_fma_f32 v[40:41], v[54:55], v[0:1], v[38:39] op_sel:[0,0,1] op_sel_hi:[1,1,0] neg_lo:[0,0,1] neg_hi:[0,0,1]
	v_pk_fma_f32 v[0:1], v[54:55], v[0:1], v[38:39] op_sel:[0,0,1] op_sel_hi:[1,0,0]
	v_pk_add_f32 v[36:37], v[36:37], v[86:87]
	v_mov_b32_e32 v41, v1
	v_pk_add_f32 v[0:1], v[36:37], v[40:41]
	s_waitcnt vmcnt(13)
	v_mov_b32_e32 v36, v73
	v_pk_mul_f32 v[36:37], v[56:57], v[36:37] op_sel_hi:[1,0]
	v_pk_fma_f32 v[38:39], v[56:57], v[72:73], v[36:37] op_sel:[0,0,1] op_sel_hi:[1,1,0] neg_lo:[0,0,1] neg_hi:[0,0,1]
	v_pk_fma_f32 v[36:37], v[56:57], v[72:73], v[36:37] op_sel:[0,0,1] op_sel_hi:[1,0,0]
	s_waitcnt vmcnt(12)
	v_mov_b32_e32 v36, v71
	v_mov_b32_e32 v39, v37
	s_waitcnt lgkmcnt(2)
	v_pk_mul_f32 v[36:37], v[58:59], v[36:37] op_sel_hi:[1,0]
	v_pk_add_f32 v[0:1], v[0:1], v[38:39]
	v_pk_fma_f32 v[38:39], v[58:59], v[70:71], v[36:37] op_sel:[0,0,1] op_sel_hi:[1,1,0] neg_lo:[0,0,1] neg_hi:[0,0,1]
	v_pk_fma_f32 v[36:37], v[58:59], v[70:71], v[36:37] op_sel:[0,0,1] op_sel_hi:[1,0,0]
	s_waitcnt vmcnt(11)
	v_mov_b32_e32 v36, v75
	v_mov_b32_e32 v39, v37
	v_pk_mul_f32 v[36:37], v[60:61], v[36:37] op_sel_hi:[1,0]
	v_pk_add_f32 v[0:1], v[0:1], v[38:39]
	s_waitcnt vmcnt(5)
	v_pk_fma_f32 v[38:39], v[60:61], v[74:75], v[36:37] op_sel:[0,0,1] op_sel_hi:[1,1,0] neg_lo:[0,0,1] neg_hi:[0,0,1]
	v_pk_fma_f32 v[36:37], v[60:61], v[74:75], v[36:37] op_sel:[0,0,1] op_sel_hi:[1,0,0]
	v_mov_b32_e32 v36, v81
	v_mov_b32_e32 v39, v37
	s_waitcnt lgkmcnt(1)
	v_pk_mul_f32 v[36:37], v[62:63], v[36:37] op_sel_hi:[1,0]
	v_pk_add_f32 v[0:1], v[0:1], v[38:39]
	v_pk_fma_f32 v[38:39], v[62:63], v[80:81], v[36:37] op_sel:[0,0,1] op_sel_hi:[1,1,0] neg_lo:[0,0,1] neg_hi:[0,0,1]
	v_pk_fma_f32 v[36:37], v[62:63], v[80:81], v[36:37] op_sel:[0,0,1] op_sel_hi:[1,0,0]
	v_mov_b32_e32 v36, v79
	v_mov_b32_e32 v39, v37
	v_pk_mul_f32 v[36:37], v[64:65], v[36:37] op_sel_hi:[1,0]
	v_pk_add_f32 v[0:1], v[0:1], v[38:39]
	v_pk_fma_f32 v[38:39], v[64:65], v[78:79], v[36:37] op_sel:[0,0,1] op_sel_hi:[1,1,0] neg_lo:[0,0,1] neg_hi:[0,0,1]
	v_pk_fma_f32 v[36:37], v[64:65], v[78:79], v[36:37] op_sel:[0,0,1] op_sel_hi:[1,0,0]
	s_waitcnt vmcnt(2)
	v_mov_b32_e32 v36, v77
	v_mov_b32_e32 v39, v37
	s_waitcnt lgkmcnt(0)
	v_pk_mul_f32 v[36:37], v[66:67], v[36:37] op_sel_hi:[1,0]
	v_pk_add_f32 v[0:1], v[0:1], v[38:39]
	v_pk_fma_f32 v[38:39], v[66:67], v[76:77], v[36:37] op_sel:[0,0,1] op_sel_hi:[1,1,0] neg_lo:[0,0,1] neg_hi:[0,0,1]
	v_pk_fma_f32 v[36:37], v[66:67], v[76:77], v[36:37] op_sel:[0,0,1] op_sel_hi:[1,0,0]
	s_waitcnt vmcnt(1)
	v_mov_b32_e32 v36, v85
	v_mov_b32_e32 v39, v37
	v_pk_mul_f32 v[36:37], v[68:69], v[36:37] op_sel_hi:[1,0]
	v_pk_add_f32 v[0:1], v[0:1], v[38:39]
	s_waitcnt vmcnt(0)
	v_pk_fma_f32 v[38:39], v[68:69], v[84:85], v[36:37] op_sel:[0,0,1] op_sel_hi:[1,1,0] neg_lo:[0,0,1] neg_hi:[0,0,1]
	v_pk_fma_f32 v[36:37], v[68:69], v[84:85], v[36:37] op_sel:[0,0,1] op_sel_hi:[1,0,0]
	v_mov_b32_e32 v39, v37
	v_pk_add_f32 v[0:1], v[0:1], v[38:39]
	v_pk_add_f32 v[0:1], v[82:83], v[0:1] neg_lo:[0,1] neg_hi:[0,1]
	buffer_store_dword v1, off, s[0:3], 0 offset:4
	buffer_store_dword v0, off, s[0:3], 0
	s_cbranch_vccz .LBB80_149
; %bb.116:
	v_pk_mov_b32 v[0:1], s[10:11], s[10:11] op_sel:[0,1]
	flat_load_dword v0, v[0:1] offset:60
	s_waitcnt vmcnt(0) lgkmcnt(0)
	v_add_u32_e32 v0, -1, v0
	v_cmp_ne_u32_e32 vcc, 15, v0
	s_and_saveexec_b64 s[4:5], vcc
	s_cbranch_execz .LBB80_118
; %bb.117:
	v_mov_b32_e32 v1, 0
	v_lshl_add_u32 v0, v0, 3, v1
	buffer_load_dword v1, v0, s[0:3], 0 offen
	buffer_load_dword v36, v0, s[0:3], 0 offen offset:4
	buffer_load_dword v37, off, s[0:3], 0 offset:120
	buffer_load_dword v38, off, s[0:3], 0 offset:124
	s_waitcnt vmcnt(3)
	buffer_store_dword v1, off, s[0:3], 0 offset:120
	s_waitcnt vmcnt(3)
	buffer_store_dword v36, off, s[0:3], 0 offset:124
	s_waitcnt vmcnt(3)
	buffer_store_dword v37, v0, s[0:3], 0 offen
	s_waitcnt vmcnt(3)
	buffer_store_dword v38, v0, s[0:3], 0 offen offset:4
.LBB80_118:
	s_or_b64 exec, exec, s[4:5]
	v_pk_mov_b32 v[0:1], s[10:11], s[10:11] op_sel:[0,1]
	flat_load_dword v0, v[0:1] offset:56
	s_waitcnt vmcnt(0) lgkmcnt(0)
	v_add_u32_e32 v0, -1, v0
	v_cmp_ne_u32_e32 vcc, 14, v0
	s_and_saveexec_b64 s[4:5], vcc
	s_cbranch_execz .LBB80_120
; %bb.119:
	v_mov_b32_e32 v1, 0
	v_lshl_add_u32 v0, v0, 3, v1
	buffer_load_dword v1, v0, s[0:3], 0 offen
	buffer_load_dword v36, v0, s[0:3], 0 offen offset:4
	buffer_load_dword v37, off, s[0:3], 0 offset:116
	buffer_load_dword v38, off, s[0:3], 0 offset:112
	s_waitcnt vmcnt(3)
	buffer_store_dword v1, off, s[0:3], 0 offset:112
	s_waitcnt vmcnt(3)
	buffer_store_dword v36, off, s[0:3], 0 offset:116
	s_waitcnt vmcnt(3)
	buffer_store_dword v37, v0, s[0:3], 0 offen offset:4
	s_waitcnt vmcnt(3)
	buffer_store_dword v38, v0, s[0:3], 0 offen
.LBB80_120:
	s_or_b64 exec, exec, s[4:5]
	v_pk_mov_b32 v[0:1], s[10:11], s[10:11] op_sel:[0,1]
	flat_load_dword v0, v[0:1] offset:52
	s_waitcnt vmcnt(0) lgkmcnt(0)
	v_add_u32_e32 v0, -1, v0
	v_cmp_ne_u32_e32 vcc, 13, v0
	s_and_saveexec_b64 s[4:5], vcc
	s_cbranch_execz .LBB80_122
; %bb.121:
	v_mov_b32_e32 v1, 0
	v_lshl_add_u32 v0, v0, 3, v1
	buffer_load_dword v1, v0, s[0:3], 0 offen
	buffer_load_dword v36, v0, s[0:3], 0 offen offset:4
	buffer_load_dword v37, off, s[0:3], 0 offset:104
	buffer_load_dword v38, off, s[0:3], 0 offset:108
	s_waitcnt vmcnt(3)
	buffer_store_dword v1, off, s[0:3], 0 offset:104
	s_waitcnt vmcnt(3)
	buffer_store_dword v36, off, s[0:3], 0 offset:108
	s_waitcnt vmcnt(3)
	buffer_store_dword v37, v0, s[0:3], 0 offen
	s_waitcnt vmcnt(3)
	buffer_store_dword v38, v0, s[0:3], 0 offen offset:4
.LBB80_122:
	s_or_b64 exec, exec, s[4:5]
	v_pk_mov_b32 v[0:1], s[10:11], s[10:11] op_sel:[0,1]
	flat_load_dword v0, v[0:1] offset:48
	s_waitcnt vmcnt(0) lgkmcnt(0)
	v_add_u32_e32 v0, -1, v0
	v_cmp_ne_u32_e32 vcc, 12, v0
	s_and_saveexec_b64 s[4:5], vcc
	s_cbranch_execz .LBB80_124
; %bb.123:
	v_mov_b32_e32 v1, 0
	v_lshl_add_u32 v0, v0, 3, v1
	buffer_load_dword v1, v0, s[0:3], 0 offen
	buffer_load_dword v36, v0, s[0:3], 0 offen offset:4
	buffer_load_dword v37, off, s[0:3], 0 offset:100
	buffer_load_dword v38, off, s[0:3], 0 offset:96
	s_waitcnt vmcnt(3)
	buffer_store_dword v1, off, s[0:3], 0 offset:96
	s_waitcnt vmcnt(3)
	buffer_store_dword v36, off, s[0:3], 0 offset:100
	s_waitcnt vmcnt(3)
	buffer_store_dword v37, v0, s[0:3], 0 offen offset:4
	s_waitcnt vmcnt(3)
	buffer_store_dword v38, v0, s[0:3], 0 offen
.LBB80_124:
	s_or_b64 exec, exec, s[4:5]
	;; [unrolled: 48-line block ×7, first 2 shown]
	v_pk_mov_b32 v[0:1], s[10:11], s[10:11] op_sel:[0,1]
	flat_load_dword v0, v[0:1] offset:4
	s_waitcnt vmcnt(0) lgkmcnt(0)
	v_add_u32_e32 v0, -1, v0
	v_cmp_ne_u32_e32 vcc, 1, v0
	s_and_saveexec_b64 s[4:5], vcc
	s_cbranch_execz .LBB80_146
; %bb.145:
	v_mov_b32_e32 v1, 0
	v_lshl_add_u32 v0, v0, 3, v1
	buffer_load_dword v1, v0, s[0:3], 0 offen
	buffer_load_dword v36, v0, s[0:3], 0 offen offset:4
	buffer_load_dword v37, off, s[0:3], 0 offset:8
	buffer_load_dword v38, off, s[0:3], 0 offset:12
	s_waitcnt vmcnt(3)
	buffer_store_dword v1, off, s[0:3], 0 offset:8
	s_waitcnt vmcnt(3)
	buffer_store_dword v36, off, s[0:3], 0 offset:12
	s_waitcnt vmcnt(3)
	buffer_store_dword v37, v0, s[0:3], 0 offen
	s_waitcnt vmcnt(3)
	buffer_store_dword v38, v0, s[0:3], 0 offen offset:4
.LBB80_146:
	s_or_b64 exec, exec, s[4:5]
	v_pk_mov_b32 v[0:1], s[10:11], s[10:11] op_sel:[0,1]
	flat_load_dword v36, v[0:1]
	s_nop 0
	buffer_load_dword v0, off, s[0:3], 0
	buffer_load_dword v1, off, s[0:3], 0 offset:4
	s_waitcnt vmcnt(0) lgkmcnt(0)
	v_add_u32_e32 v36, -1, v36
	v_cmp_ne_u32_e32 vcc, 0, v36
	s_and_saveexec_b64 s[4:5], vcc
	s_cbranch_execz .LBB80_148
; %bb.147:
	v_mov_b32_e32 v37, 0
	v_lshl_add_u32 v36, v36, 3, v37
	buffer_load_dword v37, v36, s[0:3], 0 offen offset:4
	buffer_load_dword v38, v36, s[0:3], 0 offen
	s_waitcnt vmcnt(1)
	buffer_store_dword v37, off, s[0:3], 0 offset:4
	s_waitcnt vmcnt(1)
	buffer_store_dword v38, off, s[0:3], 0
	buffer_store_dword v1, v36, s[0:3], 0 offen offset:4
	buffer_store_dword v0, v36, s[0:3], 0 offen
	buffer_load_dword v0, off, s[0:3], 0
	s_nop 0
	buffer_load_dword v1, off, s[0:3], 0 offset:4
.LBB80_148:
	s_or_b64 exec, exec, s[4:5]
.LBB80_149:
	buffer_load_dword v36, off, s[0:3], 0 offset:8
	buffer_load_dword v37, off, s[0:3], 0 offset:12
	;; [unrolled: 1-line block ×32, first 2 shown]
	s_waitcnt vmcnt(32)
	global_store_dwordx2 v[2:3], v[0:1], off
	s_waitcnt vmcnt(31)
	global_store_dwordx2 v[4:5], v[36:37], off
	;; [unrolled: 2-line block ×17, first 2 shown]
	s_endpgm
	.section	.rodata,"a",@progbits
	.p2align	6, 0x0
	.amdhsa_kernel _ZN9rocsolver6v33100L18getri_kernel_smallILi17E19rocblas_complex_numIfEPKPS3_EEvT1_iilPiilS8_bb
		.amdhsa_group_segment_fixed_size 280
		.amdhsa_private_segment_fixed_size 144
		.amdhsa_kernarg_size 60
		.amdhsa_user_sgpr_count 8
		.amdhsa_user_sgpr_private_segment_buffer 1
		.amdhsa_user_sgpr_dispatch_ptr 0
		.amdhsa_user_sgpr_queue_ptr 0
		.amdhsa_user_sgpr_kernarg_segment_ptr 1
		.amdhsa_user_sgpr_dispatch_id 0
		.amdhsa_user_sgpr_flat_scratch_init 1
		.amdhsa_user_sgpr_kernarg_preload_length 0
		.amdhsa_user_sgpr_kernarg_preload_offset 0
		.amdhsa_user_sgpr_private_segment_size 0
		.amdhsa_uses_dynamic_stack 0
		.amdhsa_system_sgpr_private_segment_wavefront_offset 1
		.amdhsa_system_sgpr_workgroup_id_x 1
		.amdhsa_system_sgpr_workgroup_id_y 0
		.amdhsa_system_sgpr_workgroup_id_z 0
		.amdhsa_system_sgpr_workgroup_info 0
		.amdhsa_system_vgpr_workitem_id 0
		.amdhsa_next_free_vgpr 109
		.amdhsa_next_free_sgpr 22
		.amdhsa_accum_offset 112
		.amdhsa_reserve_vcc 1
		.amdhsa_reserve_flat_scratch 1
		.amdhsa_float_round_mode_32 0
		.amdhsa_float_round_mode_16_64 0
		.amdhsa_float_denorm_mode_32 3
		.amdhsa_float_denorm_mode_16_64 3
		.amdhsa_dx10_clamp 1
		.amdhsa_ieee_mode 1
		.amdhsa_fp16_overflow 0
		.amdhsa_tg_split 0
		.amdhsa_exception_fp_ieee_invalid_op 0
		.amdhsa_exception_fp_denorm_src 0
		.amdhsa_exception_fp_ieee_div_zero 0
		.amdhsa_exception_fp_ieee_overflow 0
		.amdhsa_exception_fp_ieee_underflow 0
		.amdhsa_exception_fp_ieee_inexact 0
		.amdhsa_exception_int_div_zero 0
	.end_amdhsa_kernel
	.section	.text._ZN9rocsolver6v33100L18getri_kernel_smallILi17E19rocblas_complex_numIfEPKPS3_EEvT1_iilPiilS8_bb,"axG",@progbits,_ZN9rocsolver6v33100L18getri_kernel_smallILi17E19rocblas_complex_numIfEPKPS3_EEvT1_iilPiilS8_bb,comdat
.Lfunc_end80:
	.size	_ZN9rocsolver6v33100L18getri_kernel_smallILi17E19rocblas_complex_numIfEPKPS3_EEvT1_iilPiilS8_bb, .Lfunc_end80-_ZN9rocsolver6v33100L18getri_kernel_smallILi17E19rocblas_complex_numIfEPKPS3_EEvT1_iilPiilS8_bb
                                        ; -- End function
	.section	.AMDGPU.csdata,"",@progbits
; Kernel info:
; codeLenInByte = 18716
; NumSgprs: 28
; NumVgprs: 109
; NumAgprs: 0
; TotalNumVgprs: 109
; ScratchSize: 144
; MemoryBound: 0
; FloatMode: 240
; IeeeMode: 1
; LDSByteSize: 280 bytes/workgroup (compile time only)
; SGPRBlocks: 3
; VGPRBlocks: 13
; NumSGPRsForWavesPerEU: 28
; NumVGPRsForWavesPerEU: 109
; AccumOffset: 112
; Occupancy: 4
; WaveLimiterHint : 1
; COMPUTE_PGM_RSRC2:SCRATCH_EN: 1
; COMPUTE_PGM_RSRC2:USER_SGPR: 8
; COMPUTE_PGM_RSRC2:TRAP_HANDLER: 0
; COMPUTE_PGM_RSRC2:TGID_X_EN: 1
; COMPUTE_PGM_RSRC2:TGID_Y_EN: 0
; COMPUTE_PGM_RSRC2:TGID_Z_EN: 0
; COMPUTE_PGM_RSRC2:TIDIG_COMP_CNT: 0
; COMPUTE_PGM_RSRC3_GFX90A:ACCUM_OFFSET: 27
; COMPUTE_PGM_RSRC3_GFX90A:TG_SPLIT: 0
	.section	.text._ZN9rocsolver6v33100L18getri_kernel_smallILi18E19rocblas_complex_numIfEPKPS3_EEvT1_iilPiilS8_bb,"axG",@progbits,_ZN9rocsolver6v33100L18getri_kernel_smallILi18E19rocblas_complex_numIfEPKPS3_EEvT1_iilPiilS8_bb,comdat
	.globl	_ZN9rocsolver6v33100L18getri_kernel_smallILi18E19rocblas_complex_numIfEPKPS3_EEvT1_iilPiilS8_bb ; -- Begin function _ZN9rocsolver6v33100L18getri_kernel_smallILi18E19rocblas_complex_numIfEPKPS3_EEvT1_iilPiilS8_bb
	.p2align	8
	.type	_ZN9rocsolver6v33100L18getri_kernel_smallILi18E19rocblas_complex_numIfEPKPS3_EEvT1_iilPiilS8_bb,@function
_ZN9rocsolver6v33100L18getri_kernel_smallILi18E19rocblas_complex_numIfEPKPS3_EEvT1_iilPiilS8_bb: ; @_ZN9rocsolver6v33100L18getri_kernel_smallILi18E19rocblas_complex_numIfEPKPS3_EEvT1_iilPiilS8_bb
; %bb.0:
	s_add_u32 flat_scratch_lo, s6, s9
	s_addc_u32 flat_scratch_hi, s7, 0
	s_add_u32 s0, s0, s9
	s_addc_u32 s1, s1, 0
	v_cmp_gt_u32_e32 vcc, 18, v0
	s_and_saveexec_b64 s[6:7], vcc
	s_cbranch_execz .LBB81_86
; %bb.1:
	s_load_dword s20, s[4:5], 0x38
	s_load_dwordx2 s[6:7], s[4:5], 0x0
	s_load_dwordx4 s[12:15], s[4:5], 0x28
	s_waitcnt lgkmcnt(0)
	s_bitcmp1_b32 s20, 8
	s_cselect_b64 s[16:17], -1, 0
	s_ashr_i32 s9, s8, 31
	s_lshl_b64 s[10:11], s[8:9], 3
	s_add_u32 s6, s6, s10
	s_addc_u32 s7, s7, s11
	s_load_dwordx2 s[18:19], s[6:7], 0x0
	s_bfe_u32 s6, s20, 0x10008
	s_cmp_eq_u32 s6, 0
                                        ; implicit-def: $sgpr10_sgpr11
	s_cbranch_scc1 .LBB81_3
; %bb.2:
	s_load_dword s6, s[4:5], 0x20
	s_load_dwordx2 s[10:11], s[4:5], 0x18
	s_mul_i32 s7, s8, s13
	s_mul_hi_u32 s13, s8, s12
	s_add_i32 s13, s13, s7
	s_mul_i32 s21, s9, s12
	s_add_i32 s13, s13, s21
	s_mul_i32 s12, s8, s12
	s_waitcnt lgkmcnt(0)
	s_ashr_i32 s7, s6, 31
	s_lshl_b64 s[12:13], s[12:13], 2
	s_add_u32 s10, s10, s12
	s_addc_u32 s11, s11, s13
	s_lshl_b64 s[6:7], s[6:7], 2
	s_add_u32 s10, s10, s6
	s_addc_u32 s11, s11, s7
.LBB81_3:
	s_load_dwordx2 s[6:7], s[4:5], 0x8
	v_lshlrev_b32_e32 v48, 3, v0
	s_waitcnt lgkmcnt(0)
	s_ashr_i32 s5, s6, 31
	s_mov_b32 s4, s6
	s_lshl_b64 s[4:5], s[4:5], 3
	s_add_u32 s4, s18, s4
	s_addc_u32 s5, s19, s5
	v_mov_b32_e32 v1, s5
	v_add_co_u32_e32 v2, vcc, s4, v48
	s_ashr_i32 s13, s7, 31
	s_mov_b32 s12, s7
	s_add_i32 s6, s7, s7
	v_addc_co_u32_e32 v3, vcc, 0, v1, vcc
	s_lshl_b64 s[12:13], s[12:13], 3
	v_add_u32_e32 v8, s6, v0
	v_mov_b32_e32 v1, s13
	v_add_co_u32_e32 v4, vcc, s12, v2
	v_ashrrev_i32_e32 v9, 31, v8
	v_addc_co_u32_e32 v5, vcc, v3, v1, vcc
	v_lshlrev_b64 v[6:7], 3, v[8:9]
	v_add_u32_e32 v10, s7, v8
	v_mov_b32_e32 v1, s5
	v_add_co_u32_e32 v6, vcc, s4, v6
	v_ashrrev_i32_e32 v11, 31, v10
	v_addc_co_u32_e32 v7, vcc, v1, v7, vcc
	v_lshlrev_b64 v[8:9], 3, v[10:11]
	v_add_u32_e32 v12, s7, v10
	v_add_co_u32_e32 v8, vcc, s4, v8
	v_ashrrev_i32_e32 v13, 31, v12
	v_addc_co_u32_e32 v9, vcc, v1, v9, vcc
	v_lshlrev_b64 v[10:11], 3, v[12:13]
	v_add_u32_e32 v14, s7, v12
	;; [unrolled: 5-line block ×3, first 2 shown]
	v_add_co_u32_e32 v12, vcc, s4, v12
	v_ashrrev_i32_e32 v15, 31, v14
	v_addc_co_u32_e32 v13, vcc, v1, v13, vcc
	v_add_u32_e32 v16, s7, v14
	v_lshlrev_b64 v[14:15], 3, v[14:15]
	v_add_co_u32_e32 v14, vcc, s4, v14
	v_ashrrev_i32_e32 v17, 31, v16
	v_add_u32_e32 v18, s7, v16
	v_addc_co_u32_e32 v15, vcc, v1, v15, vcc
	v_lshlrev_b64 v[16:17], 3, v[16:17]
	v_add_co_u32_e32 v16, vcc, s4, v16
	v_ashrrev_i32_e32 v19, 31, v18
	v_add_u32_e32 v20, s7, v18
	v_addc_co_u32_e32 v17, vcc, v1, v17, vcc
	;; [unrolled: 5-line block ×10, first 2 shown]
	v_lshlrev_b64 v[34:35], 3, v[34:35]
	v_add_co_u32_e32 v34, vcc, s4, v34
	global_load_dwordx2 v[38:39], v48, s[4:5]
	global_load_dwordx2 v[46:47], v[4:5], off
	global_load_dwordx2 v[42:43], v[6:7], off
	;; [unrolled: 1-line block ×12, first 2 shown]
	v_addc_co_u32_e32 v35, vcc, v1, v35, vcc
	global_load_dwordx2 v[66:67], v[28:29], off
	global_load_dwordx2 v[68:69], v[30:31], off
	;; [unrolled: 1-line block ×4, first 2 shown]
	v_ashrrev_i32_e32 v37, 31, v36
	v_lshlrev_b64 v[36:37], 3, v[36:37]
	v_mov_b32_e32 v49, s5
	v_add_co_u32_e32 v36, vcc, s4, v36
	v_addc_co_u32_e32 v37, vcc, v49, v37, vcc
	global_load_dwordx2 v[74:75], v[36:37], off
	s_bitcmp0_b32 s20, 0
	s_mov_b64 s[6:7], -1
	s_waitcnt vmcnt(17)
	buffer_store_dword v39, off, s[0:3], 0 offset:4
	buffer_store_dword v38, off, s[0:3], 0
	s_waitcnt vmcnt(18)
	buffer_store_dword v47, off, s[0:3], 0 offset:12
	buffer_store_dword v46, off, s[0:3], 0 offset:8
	s_waitcnt vmcnt(19)
	buffer_store_dword v43, off, s[0:3], 0 offset:20
	buffer_store_dword v42, off, s[0:3], 0 offset:16
	;; [unrolled: 3-line block ×17, first 2 shown]
	s_cbranch_scc1 .LBB81_84
; %bb.4:
	v_cmp_eq_u32_e64 s[4:5], 0, v0
	s_and_saveexec_b64 s[6:7], s[4:5]
	s_cbranch_execz .LBB81_6
; %bb.5:
	v_mov_b32_e32 v1, 0
	ds_write_b32 v1, v1 offset:288
.LBB81_6:
	s_or_b64 exec, exec, s[6:7]
	v_mov_b32_e32 v1, 0
	v_lshl_add_u32 v42, v0, 3, v1
	s_waitcnt lgkmcnt(0)
	; wave barrier
	s_waitcnt lgkmcnt(0)
	buffer_load_dword v1, v42, s[0:3], 0 offen
	buffer_load_dword v38, v42, s[0:3], 0 offen offset:4
	s_waitcnt vmcnt(1)
	v_cmp_eq_f32_e32 vcc, 0, v1
	s_waitcnt vmcnt(0)
	v_cmp_eq_f32_e64 s[6:7], 0, v38
	s_and_b64 s[6:7], vcc, s[6:7]
	s_and_saveexec_b64 s[12:13], s[6:7]
	s_cbranch_execz .LBB81_10
; %bb.7:
	v_mov_b32_e32 v1, 0
	ds_read_b32 v39, v1 offset:288
	v_add_u32_e32 v38, 1, v0
	s_waitcnt lgkmcnt(0)
	v_readfirstlane_b32 s6, v39
	s_cmp_eq_u32 s6, 0
	s_cselect_b64 s[18:19], -1, 0
	v_cmp_gt_i32_e32 vcc, s6, v38
	s_or_b64 s[18:19], s[18:19], vcc
	s_and_b64 exec, exec, s[18:19]
	s_cbranch_execz .LBB81_10
; %bb.8:
	s_mov_b64 s[18:19], 0
	v_mov_b32_e32 v39, s6
.LBB81_9:                               ; =>This Inner Loop Header: Depth=1
	ds_cmpst_rtn_b32 v39, v1, v39, v38 offset:288
	s_waitcnt lgkmcnt(0)
	v_cmp_ne_u32_e32 vcc, 0, v39
	v_cmp_le_i32_e64 s[6:7], v39, v38
	s_and_b64 s[6:7], vcc, s[6:7]
	s_and_b64 s[6:7], exec, s[6:7]
	s_or_b64 s[18:19], s[6:7], s[18:19]
	s_andn2_b64 exec, exec, s[18:19]
	s_cbranch_execnz .LBB81_9
.LBB81_10:
	s_or_b64 exec, exec, s[12:13]
	v_mov_b32_e32 v38, 0
	s_waitcnt lgkmcnt(0)
	; wave barrier
	ds_read_b32 v1, v38 offset:288
	s_and_saveexec_b64 s[6:7], s[4:5]
	s_cbranch_execz .LBB81_12
; %bb.11:
	s_lshl_b64 s[12:13], s[8:9], 2
	s_add_u32 s12, s14, s12
	s_addc_u32 s13, s15, s13
	s_waitcnt lgkmcnt(0)
	global_store_dword v38, v1, s[12:13]
.LBB81_12:
	s_or_b64 exec, exec, s[6:7]
	s_waitcnt lgkmcnt(0)
	v_cmp_ne_u32_e32 vcc, 0, v1
	s_mov_b64 s[6:7], 0
	s_cbranch_vccnz .LBB81_84
; %bb.13:
	buffer_load_dword v43, v42, s[0:3], 0 offen offset:4
	buffer_load_dword v39, v42, s[0:3], 0 offen
	s_waitcnt vmcnt(1)
	v_cmp_gt_f32_e32 vcc, 0, v43
	v_cndmask_b32_e64 v1, v43, -v43, vcc
	s_waitcnt vmcnt(0)
	v_cmp_gt_f32_e32 vcc, 0, v39
	v_cndmask_b32_e64 v38, v39, -v39, vcc
	v_cmp_ngt_f32_e32 vcc, v38, v1
                                        ; implicit-def: $vgpr1
                                        ; implicit-def: $vgpr38
	s_and_saveexec_b64 s[6:7], vcc
	s_xor_b64 s[6:7], exec, s[6:7]
                                        ; implicit-def: $vgpr40_vgpr41
	s_cbranch_execz .LBB81_15
; %bb.14:
	v_div_scale_f32 v1, s[12:13], v43, v43, v39
	v_rcp_f32_e32 v38, v1
	v_div_scale_f32 v40, vcc, v39, v43, v39
	v_fma_f32 v41, -v1, v38, 1.0
	v_fmac_f32_e32 v38, v41, v38
	v_mul_f32_e32 v41, v40, v38
	v_fma_f32 v44, -v1, v41, v40
	v_fmac_f32_e32 v41, v44, v38
	v_fma_f32 v1, -v1, v41, v40
	v_div_fmas_f32 v1, v1, v38, v41
	v_div_fixup_f32 v38, v1, v43, v39
	v_fmac_f32_e32 v43, v39, v38
	v_div_scale_f32 v1, s[12:13], v43, v43, -1.0
	v_rcp_f32_e32 v39, v1
	v_fma_f32 v40, -v1, v39, 1.0
	v_fmac_f32_e32 v39, v40, v39
	v_div_scale_f32 v40, vcc, -1.0, v43, -1.0
	v_mul_f32_e32 v41, v40, v39
	v_fma_f32 v44, -v1, v41, v40
	v_fmac_f32_e32 v41, v44, v39
	v_fma_f32 v1, -v1, v41, v40
	v_div_fmas_f32 v1, v1, v39, v41
	v_div_fixup_f32 v1, v1, v43, -1.0
	v_mul_f32_e32 v38, v38, v1
	v_xor_b32_e32 v40, 0x80000000, v38
                                        ; implicit-def: $vgpr39
                                        ; implicit-def: $vgpr43
.LBB81_15:
	s_andn2_saveexec_b64 s[6:7], s[6:7]
	s_cbranch_execz .LBB81_17
; %bb.16:
	v_div_scale_f32 v1, s[12:13], v39, v39, v43
	v_rcp_f32_e32 v38, v1
	v_div_scale_f32 v40, vcc, v43, v39, v43
	v_fma_f32 v41, -v1, v38, 1.0
	v_fmac_f32_e32 v38, v41, v38
	v_mul_f32_e32 v41, v40, v38
	v_fma_f32 v44, -v1, v41, v40
	v_fmac_f32_e32 v41, v44, v38
	v_fma_f32 v1, -v1, v41, v40
	v_div_fmas_f32 v1, v1, v38, v41
	v_div_fixup_f32 v1, v1, v39, v43
	v_fmac_f32_e32 v39, v43, v1
	v_div_scale_f32 v38, s[12:13], v39, v39, 1.0
	v_rcp_f32_e32 v40, v38
	v_fma_f32 v41, -v38, v40, 1.0
	v_fmac_f32_e32 v40, v41, v40
	v_div_scale_f32 v41, vcc, 1.0, v39, 1.0
	v_mul_f32_e32 v43, v41, v40
	v_fma_f32 v44, -v38, v43, v41
	v_fmac_f32_e32 v43, v44, v40
	v_fma_f32 v38, -v38, v43, v41
	v_div_fmas_f32 v38, v38, v40, v43
	v_div_fixup_f32 v40, v38, v39, 1.0
	v_xor_b32_e32 v38, 0x80000000, v40
	v_mul_f32_e64 v1, v1, -v40
.LBB81_17:
	s_or_b64 exec, exec, s[6:7]
	buffer_store_dword v1, v42, s[0:3], 0 offen offset:4
	buffer_store_dword v40, v42, s[0:3], 0 offen
	buffer_load_dword v41, off, s[0:3], 0 offset:12
	s_nop 0
	buffer_load_dword v40, off, s[0:3], 0 offset:8
	v_xor_b32_e32 v39, 0x80000000, v1
	v_add_u32_e32 v1, 0x90, v48
	s_waitcnt vmcnt(0)
	ds_write2_b64 v48, v[38:39], v[40:41] offset1:18
	s_waitcnt lgkmcnt(0)
	; wave barrier
	s_waitcnt lgkmcnt(0)
	s_and_saveexec_b64 s[6:7], s[4:5]
	s_cbranch_execz .LBB81_19
; %bb.18:
	buffer_load_dword v43, v42, s[0:3], 0 offen offset:4
	buffer_load_dword v44, v42, s[0:3], 0 offen
	ds_read_b64 v[38:39], v1
	v_mov_b32_e32 v40, 0
	ds_read_b64 v[40:41], v40 offset:8
	s_waitcnt vmcnt(1) lgkmcnt(1)
	v_mul_f32_e32 v45, v39, v43
	v_mul_f32_e32 v43, v38, v43
	s_waitcnt vmcnt(0)
	v_fmac_f32_e32 v43, v39, v44
	v_fma_f32 v38, v38, v44, -v45
	v_add_f32_e32 v39, 0, v43
	v_add_f32_e32 v38, 0, v38
	s_waitcnt lgkmcnt(0)
	v_mul_f32_e32 v43, v39, v41
	v_mul_f32_e32 v41, v38, v41
	v_fma_f32 v38, v38, v40, -v43
	v_fmac_f32_e32 v41, v39, v40
	buffer_store_dword v38, off, s[0:3], 0 offset:8
	buffer_store_dword v41, off, s[0:3], 0 offset:12
.LBB81_19:
	s_or_b64 exec, exec, s[6:7]
	s_waitcnt lgkmcnt(0)
	; wave barrier
	buffer_load_dword v38, off, s[0:3], 0 offset:16
	buffer_load_dword v39, off, s[0:3], 0 offset:20
	v_cmp_gt_u32_e32 vcc, 2, v0
	s_waitcnt vmcnt(0)
	ds_write_b64 v1, v[38:39]
	s_waitcnt lgkmcnt(0)
	; wave barrier
	s_waitcnt lgkmcnt(0)
	s_and_saveexec_b64 s[6:7], vcc
	s_cbranch_execz .LBB81_23
; %bb.20:
	buffer_load_dword v40, v42, s[0:3], 0 offen offset:4
	buffer_load_dword v41, v42, s[0:3], 0 offen
	ds_read_b64 v[38:39], v1
	s_waitcnt vmcnt(1) lgkmcnt(0)
	v_mul_f32_e32 v42, v39, v40
	v_mul_f32_e32 v40, v38, v40
	s_waitcnt vmcnt(0)
	v_fma_f32 v38, v38, v41, -v42
	v_fmac_f32_e32 v40, v39, v41
	v_add_f32_e32 v39, 0, v38
	v_add_f32_e32 v38, 0, v40
	s_and_saveexec_b64 s[12:13], s[4:5]
	s_cbranch_execz .LBB81_22
; %bb.21:
	buffer_load_dword v42, off, s[0:3], 0 offset:12
	buffer_load_dword v43, off, s[0:3], 0 offset:8
	v_mov_b32_e32 v40, 0
	ds_read_b64 v[40:41], v40 offset:152
	s_waitcnt vmcnt(1) lgkmcnt(0)
	v_mul_f32_e32 v44, v40, v42
	v_mul_f32_e32 v42, v41, v42
	s_waitcnt vmcnt(0)
	v_fmac_f32_e32 v44, v41, v43
	v_fma_f32 v40, v40, v43, -v42
	v_add_f32_e32 v38, v38, v44
	v_add_f32_e32 v39, v39, v40
.LBB81_22:
	s_or_b64 exec, exec, s[12:13]
	v_mov_b32_e32 v40, 0
	ds_read_b64 v[40:41], v40 offset:16
	s_waitcnt lgkmcnt(0)
	v_mul_f32_e32 v42, v38, v41
	v_mul_f32_e32 v41, v39, v41
	v_fma_f32 v39, v39, v40, -v42
	v_fmac_f32_e32 v41, v38, v40
	buffer_store_dword v39, off, s[0:3], 0 offset:16
	buffer_store_dword v41, off, s[0:3], 0 offset:20
.LBB81_23:
	s_or_b64 exec, exec, s[6:7]
	s_waitcnt lgkmcnt(0)
	; wave barrier
	buffer_load_dword v38, off, s[0:3], 0 offset:24
	buffer_load_dword v39, off, s[0:3], 0 offset:28
	v_cmp_gt_u32_e32 vcc, 3, v0
	s_waitcnt vmcnt(0)
	ds_write_b64 v1, v[38:39]
	v_add_u32_e32 v38, -1, v0
	s_waitcnt lgkmcnt(0)
	; wave barrier
	s_waitcnt lgkmcnt(0)
	s_and_saveexec_b64 s[4:5], vcc
	s_cbranch_execz .LBB81_27
; %bb.24:
	v_add_u32_e32 v40, -1, v0
	v_add_u32_e32 v41, 0x90, v48
	v_add_u32_e32 v42, 0, v48
	s_mov_b64 s[6:7], 0
	v_mov_b32_e32 v39, 0
	v_mov_b32_e32 v43, 0
.LBB81_25:                              ; =>This Inner Loop Header: Depth=1
	buffer_load_dword v46, v42, s[0:3], 0 offen offset:4
	buffer_load_dword v47, v42, s[0:3], 0 offen
	ds_read_b64 v[44:45], v41
	v_add_u32_e32 v40, 1, v40
	v_cmp_lt_u32_e32 vcc, 1, v40
	v_add_u32_e32 v41, 8, v41
	v_add_u32_e32 v42, 8, v42
	s_or_b64 s[6:7], vcc, s[6:7]
	s_waitcnt vmcnt(1) lgkmcnt(0)
	v_mul_f32_e32 v49, v45, v46
	v_mul_f32_e32 v46, v44, v46
	s_waitcnt vmcnt(0)
	v_fma_f32 v44, v44, v47, -v49
	v_fmac_f32_e32 v46, v45, v47
	v_add_f32_e32 v43, v43, v44
	v_add_f32_e32 v39, v39, v46
	s_andn2_b64 exec, exec, s[6:7]
	s_cbranch_execnz .LBB81_25
; %bb.26:
	s_or_b64 exec, exec, s[6:7]
	v_mov_b32_e32 v40, 0
	ds_read_b64 v[40:41], v40 offset:24
	s_waitcnt lgkmcnt(0)
	v_mul_f32_e32 v42, v39, v41
	v_mul_f32_e32 v41, v43, v41
	v_fma_f32 v42, v43, v40, -v42
	v_fmac_f32_e32 v41, v39, v40
	buffer_store_dword v42, off, s[0:3], 0 offset:24
	buffer_store_dword v41, off, s[0:3], 0 offset:28
.LBB81_27:
	s_or_b64 exec, exec, s[4:5]
	s_waitcnt lgkmcnt(0)
	; wave barrier
	buffer_load_dword v40, off, s[0:3], 0 offset:32
	buffer_load_dword v41, off, s[0:3], 0 offset:36
	v_cmp_gt_u32_e32 vcc, 4, v0
	s_waitcnt vmcnt(0)
	ds_write_b64 v1, v[40:41]
	s_waitcnt lgkmcnt(0)
	; wave barrier
	s_waitcnt lgkmcnt(0)
	s_and_saveexec_b64 s[4:5], vcc
	s_cbranch_execz .LBB81_31
; %bb.28:
	v_add_u32_e32 v40, -1, v0
	v_add_u32_e32 v41, 0x90, v48
	v_add_u32_e32 v42, 0, v48
	s_mov_b64 s[6:7], 0
	v_mov_b32_e32 v39, 0
	v_mov_b32_e32 v43, 0
.LBB81_29:                              ; =>This Inner Loop Header: Depth=1
	buffer_load_dword v46, v42, s[0:3], 0 offen offset:4
	buffer_load_dword v47, v42, s[0:3], 0 offen
	ds_read_b64 v[44:45], v41
	v_add_u32_e32 v40, 1, v40
	v_cmp_lt_u32_e32 vcc, 2, v40
	v_add_u32_e32 v41, 8, v41
	v_add_u32_e32 v42, 8, v42
	s_or_b64 s[6:7], vcc, s[6:7]
	s_waitcnt vmcnt(1) lgkmcnt(0)
	v_mul_f32_e32 v49, v45, v46
	v_mul_f32_e32 v46, v44, v46
	s_waitcnt vmcnt(0)
	v_fma_f32 v44, v44, v47, -v49
	v_fmac_f32_e32 v46, v45, v47
	v_add_f32_e32 v43, v43, v44
	v_add_f32_e32 v39, v39, v46
	s_andn2_b64 exec, exec, s[6:7]
	s_cbranch_execnz .LBB81_29
; %bb.30:
	s_or_b64 exec, exec, s[6:7]
	v_mov_b32_e32 v40, 0
	ds_read_b64 v[40:41], v40 offset:32
	s_waitcnt lgkmcnt(0)
	v_mul_f32_e32 v42, v39, v41
	v_mul_f32_e32 v41, v43, v41
	v_fma_f32 v42, v43, v40, -v42
	v_fmac_f32_e32 v41, v39, v40
	buffer_store_dword v42, off, s[0:3], 0 offset:32
	buffer_store_dword v41, off, s[0:3], 0 offset:36
.LBB81_31:
	s_or_b64 exec, exec, s[4:5]
	s_waitcnt lgkmcnt(0)
	; wave barrier
	buffer_load_dword v40, off, s[0:3], 0 offset:40
	buffer_load_dword v41, off, s[0:3], 0 offset:44
	v_cmp_gt_u32_e32 vcc, 5, v0
	s_waitcnt vmcnt(0)
	ds_write_b64 v1, v[40:41]
	;; [unrolled: 51-line block ×13, first 2 shown]
	s_waitcnt lgkmcnt(0)
	; wave barrier
	s_waitcnt lgkmcnt(0)
	s_and_saveexec_b64 s[4:5], vcc
	s_cbranch_execz .LBB81_79
; %bb.76:
	v_add_u32_e32 v40, -1, v0
	v_add_u32_e32 v41, 0x90, v48
	v_add_u32_e32 v42, 0, v48
	s_mov_b64 s[6:7], 0
	v_mov_b32_e32 v39, 0
	v_mov_b32_e32 v43, 0
.LBB81_77:                              ; =>This Inner Loop Header: Depth=1
	buffer_load_dword v46, v42, s[0:3], 0 offen offset:4
	buffer_load_dword v47, v42, s[0:3], 0 offen
	ds_read_b64 v[44:45], v41
	v_add_u32_e32 v40, 1, v40
	v_cmp_lt_u32_e32 vcc, 14, v40
	v_add_u32_e32 v41, 8, v41
	v_add_u32_e32 v42, 8, v42
	s_or_b64 s[6:7], vcc, s[6:7]
	s_waitcnt vmcnt(1) lgkmcnt(0)
	v_mul_f32_e32 v49, v45, v46
	v_mul_f32_e32 v46, v44, v46
	s_waitcnt vmcnt(0)
	v_fma_f32 v44, v44, v47, -v49
	v_fmac_f32_e32 v46, v45, v47
	v_add_f32_e32 v43, v43, v44
	v_add_f32_e32 v39, v39, v46
	s_andn2_b64 exec, exec, s[6:7]
	s_cbranch_execnz .LBB81_77
; %bb.78:
	s_or_b64 exec, exec, s[6:7]
	v_mov_b32_e32 v40, 0
	ds_read_b64 v[40:41], v40 offset:128
	s_waitcnt lgkmcnt(0)
	v_mul_f32_e32 v42, v39, v41
	v_mul_f32_e32 v41, v43, v41
	v_fma_f32 v42, v43, v40, -v42
	v_fmac_f32_e32 v41, v39, v40
	buffer_store_dword v42, off, s[0:3], 0 offset:128
	buffer_store_dword v41, off, s[0:3], 0 offset:132
.LBB81_79:
	s_or_b64 exec, exec, s[4:5]
	s_waitcnt lgkmcnt(0)
	; wave barrier
	buffer_load_dword v40, off, s[0:3], 0 offset:136
	buffer_load_dword v41, off, s[0:3], 0 offset:140
	v_cmp_ne_u32_e32 vcc, 17, v0
	s_waitcnt vmcnt(0)
	ds_write_b64 v1, v[40:41]
	s_waitcnt lgkmcnt(0)
	; wave barrier
	s_waitcnt lgkmcnt(0)
	s_and_saveexec_b64 s[4:5], vcc
	s_cbranch_execz .LBB81_83
; %bb.80:
	v_add_u32_e32 v39, 0x90, v48
	v_add_u32_e32 v40, 0, v48
	s_mov_b64 s[6:7], 0
	v_mov_b32_e32 v1, 0
	v_mov_b32_e32 v41, 0
.LBB81_81:                              ; =>This Inner Loop Header: Depth=1
	buffer_load_dword v44, v40, s[0:3], 0 offen offset:4
	buffer_load_dword v45, v40, s[0:3], 0 offen
	ds_read_b64 v[42:43], v39
	v_add_u32_e32 v38, 1, v38
	v_cmp_lt_u32_e32 vcc, 15, v38
	v_add_u32_e32 v39, 8, v39
	v_add_u32_e32 v40, 8, v40
	s_or_b64 s[6:7], vcc, s[6:7]
	s_waitcnt vmcnt(1) lgkmcnt(0)
	v_mul_f32_e32 v46, v43, v44
	v_mul_f32_e32 v44, v42, v44
	s_waitcnt vmcnt(0)
	v_fma_f32 v42, v42, v45, -v46
	v_fmac_f32_e32 v44, v43, v45
	v_add_f32_e32 v41, v41, v42
	v_add_f32_e32 v1, v1, v44
	s_andn2_b64 exec, exec, s[6:7]
	s_cbranch_execnz .LBB81_81
; %bb.82:
	s_or_b64 exec, exec, s[6:7]
	v_mov_b32_e32 v38, 0
	ds_read_b64 v[38:39], v38 offset:136
	s_waitcnt lgkmcnt(0)
	v_mul_f32_e32 v40, v1, v39
	v_mul_f32_e32 v39, v41, v39
	v_fma_f32 v40, v41, v38, -v40
	v_fmac_f32_e32 v39, v1, v38
	buffer_store_dword v40, off, s[0:3], 0 offset:136
	buffer_store_dword v39, off, s[0:3], 0 offset:140
.LBB81_83:
	s_or_b64 exec, exec, s[4:5]
	s_mov_b64 s[6:7], -1
	s_waitcnt lgkmcnt(0)
	; wave barrier
.LBB81_84:
	s_and_b64 vcc, exec, s[6:7]
	s_cbranch_vccz .LBB81_86
; %bb.85:
	s_lshl_b64 s[4:5], s[8:9], 2
	s_add_u32 s4, s14, s4
	s_addc_u32 s5, s15, s5
	v_mov_b32_e32 v1, 0
	global_load_dword v1, v1, s[4:5]
	s_waitcnt vmcnt(0)
	v_cmp_ne_u32_e32 vcc, 0, v1
	s_cbranch_vccz .LBB81_87
.LBB81_86:
	s_endpgm
.LBB81_87:
	v_mov_b32_e32 v1, 0x90
	v_lshl_add_u32 v1, v0, 3, v1
	v_cmp_eq_u32_e32 vcc, 17, v0
	s_and_saveexec_b64 s[4:5], vcc
	s_cbranch_execz .LBB81_89
; %bb.88:
	buffer_load_dword v38, off, s[0:3], 0 offset:128
	buffer_load_dword v39, off, s[0:3], 0 offset:132
	v_mov_b32_e32 v40, 0
	buffer_store_dword v40, off, s[0:3], 0 offset:128
	buffer_store_dword v40, off, s[0:3], 0 offset:132
	s_waitcnt vmcnt(2)
	ds_write_b64 v1, v[38:39]
.LBB81_89:
	s_or_b64 exec, exec, s[4:5]
	s_waitcnt lgkmcnt(0)
	; wave barrier
	s_waitcnt lgkmcnt(0)
	buffer_load_dword v41, off, s[0:3], 0 offset:140
	buffer_load_dword v40, off, s[0:3], 0 offset:136
	;; [unrolled: 1-line block ×4, first 2 shown]
	v_mov_b32_e32 v38, 0
	ds_read_b64 v[44:45], v38 offset:280
	v_cmp_lt_u32_e32 vcc, 15, v0
	s_waitcnt vmcnt(3)
	v_mov_b32_e32 v46, v41
	s_waitcnt lgkmcnt(0)
	v_pk_mul_f32 v[46:47], v[44:45], v[46:47] op_sel_hi:[1,0]
	s_waitcnt vmcnt(2)
	v_pk_fma_f32 v[48:49], v[44:45], v[40:41], v[46:47] op_sel:[0,0,1] op_sel_hi:[1,1,0] neg_lo:[0,0,1] neg_hi:[0,0,1]
	v_pk_fma_f32 v[40:41], v[44:45], v[40:41], v[46:47] op_sel:[0,0,1] op_sel_hi:[1,0,0]
	v_mov_b32_e32 v49, v41
	v_pk_add_f32 v[40:41], v[48:49], 0 op_sel_hi:[1,0]
	s_waitcnt vmcnt(0)
	v_pk_add_f32 v[40:41], v[42:43], v[40:41] neg_lo:[0,1] neg_hi:[0,1]
	buffer_store_dword v40, off, s[0:3], 0 offset:128
	buffer_store_dword v41, off, s[0:3], 0 offset:132
	s_and_saveexec_b64 s[4:5], vcc
	s_cbranch_execz .LBB81_91
; %bb.90:
	buffer_load_dword v40, off, s[0:3], 0 offset:120
	buffer_load_dword v41, off, s[0:3], 0 offset:124
	s_waitcnt vmcnt(0)
	ds_write_b64 v1, v[40:41]
	buffer_store_dword v38, off, s[0:3], 0 offset:120
	buffer_store_dword v38, off, s[0:3], 0 offset:124
.LBB81_91:
	s_or_b64 exec, exec, s[4:5]
	s_waitcnt lgkmcnt(0)
	; wave barrier
	s_waitcnt lgkmcnt(0)
	buffer_load_dword v43, off, s[0:3], 0 offset:132
	buffer_load_dword v45, off, s[0:3], 0 offset:140
	;; [unrolled: 1-line block ×6, first 2 shown]
	ds_read_b128 v[38:41], v38 offset:272
	v_cmp_lt_u32_e32 vcc, 14, v0
	s_waitcnt vmcnt(5)
	v_mov_b32_e32 v48, v43
	s_waitcnt vmcnt(4)
	v_mov_b32_e32 v50, v45
	s_waitcnt lgkmcnt(0)
	v_pk_mul_f32 v[48:49], v[38:39], v[48:49] op_sel_hi:[1,0]
	v_pk_mul_f32 v[50:51], v[40:41], v[50:51] op_sel_hi:[1,0]
	s_waitcnt vmcnt(3)
	v_pk_fma_f32 v[52:53], v[38:39], v[42:43], v[48:49] op_sel:[0,0,1] op_sel_hi:[1,1,0] neg_lo:[0,0,1] neg_hi:[0,0,1]
	v_pk_fma_f32 v[38:39], v[38:39], v[42:43], v[48:49] op_sel:[0,0,1] op_sel_hi:[1,0,0]
	s_waitcnt vmcnt(2)
	v_pk_fma_f32 v[42:43], v[40:41], v[44:45], v[50:51] op_sel:[0,0,1] op_sel_hi:[1,1,0] neg_lo:[0,0,1] neg_hi:[0,0,1]
	v_pk_fma_f32 v[40:41], v[40:41], v[44:45], v[50:51] op_sel:[0,0,1] op_sel_hi:[1,0,0]
	v_mov_b32_e32 v53, v39
	v_mov_b32_e32 v43, v41
	v_pk_add_f32 v[38:39], v[52:53], 0 op_sel_hi:[1,0]
	v_pk_add_f32 v[38:39], v[38:39], v[42:43]
	s_waitcnt vmcnt(0)
	v_pk_add_f32 v[38:39], v[46:47], v[38:39] neg_lo:[0,1] neg_hi:[0,1]
	buffer_store_dword v38, off, s[0:3], 0 offset:120
	buffer_store_dword v39, off, s[0:3], 0 offset:124
	s_and_saveexec_b64 s[4:5], vcc
	s_cbranch_execz .LBB81_93
; %bb.92:
	buffer_load_dword v38, off, s[0:3], 0 offset:112
	buffer_load_dword v39, off, s[0:3], 0 offset:116
	v_mov_b32_e32 v40, 0
	buffer_store_dword v40, off, s[0:3], 0 offset:112
	buffer_store_dword v40, off, s[0:3], 0 offset:116
	s_waitcnt vmcnt(2)
	ds_write_b64 v1, v[38:39]
.LBB81_93:
	s_or_b64 exec, exec, s[4:5]
	s_waitcnt lgkmcnt(0)
	; wave barrier
	s_waitcnt lgkmcnt(0)
	buffer_load_dword v45, off, s[0:3], 0 offset:124
	buffer_load_dword v47, off, s[0:3], 0 offset:132
	;; [unrolled: 1-line block ×8, first 2 shown]
	v_mov_b32_e32 v38, 0
	ds_read2_b64 v[40:43], v38 offset0:33 offset1:34
	ds_read_b64 v[52:53], v38 offset:280
	v_cmp_lt_u32_e32 vcc, 13, v0
	s_waitcnt vmcnt(7)
	v_mov_b32_e32 v54, v45
	s_waitcnt vmcnt(6)
	v_mov_b32_e32 v56, v47
	s_waitcnt lgkmcnt(1)
	v_pk_mul_f32 v[54:55], v[40:41], v[54:55] op_sel_hi:[1,0]
	s_waitcnt vmcnt(5)
	v_mov_b32_e32 v58, v49
	v_pk_mul_f32 v[56:57], v[42:43], v[56:57] op_sel_hi:[1,0]
	s_waitcnt vmcnt(4)
	v_pk_fma_f32 v[60:61], v[40:41], v[44:45], v[54:55] op_sel:[0,0,1] op_sel_hi:[1,1,0] neg_lo:[0,0,1] neg_hi:[0,0,1]
	v_pk_fma_f32 v[40:41], v[40:41], v[44:45], v[54:55] op_sel:[0,0,1] op_sel_hi:[1,0,0]
	s_waitcnt lgkmcnt(0)
	v_pk_mul_f32 v[58:59], v[52:53], v[58:59] op_sel_hi:[1,0]
	s_waitcnt vmcnt(3)
	v_pk_fma_f32 v[44:45], v[42:43], v[46:47], v[56:57] op_sel:[0,0,1] op_sel_hi:[1,1,0] neg_lo:[0,0,1] neg_hi:[0,0,1]
	v_pk_fma_f32 v[42:43], v[42:43], v[46:47], v[56:57] op_sel:[0,0,1] op_sel_hi:[1,0,0]
	v_mov_b32_e32 v61, v41
	s_waitcnt vmcnt(2)
	v_pk_fma_f32 v[46:47], v[52:53], v[48:49], v[58:59] op_sel:[0,0,1] op_sel_hi:[1,1,0] neg_lo:[0,0,1] neg_hi:[0,0,1]
	v_pk_fma_f32 v[48:49], v[52:53], v[48:49], v[58:59] op_sel:[0,0,1] op_sel_hi:[1,0,0]
	v_mov_b32_e32 v45, v43
	v_pk_add_f32 v[40:41], v[60:61], 0 op_sel_hi:[1,0]
	v_mov_b32_e32 v47, v49
	v_pk_add_f32 v[40:41], v[40:41], v[44:45]
	v_pk_add_f32 v[40:41], v[40:41], v[46:47]
	s_waitcnt vmcnt(0)
	v_pk_add_f32 v[40:41], v[50:51], v[40:41] neg_lo:[0,1] neg_hi:[0,1]
	buffer_store_dword v40, off, s[0:3], 0 offset:112
	buffer_store_dword v41, off, s[0:3], 0 offset:116
	s_and_saveexec_b64 s[4:5], vcc
	s_cbranch_execz .LBB81_95
; %bb.94:
	buffer_load_dword v40, off, s[0:3], 0 offset:104
	buffer_load_dword v41, off, s[0:3], 0 offset:108
	s_waitcnt vmcnt(0)
	ds_write_b64 v1, v[40:41]
	buffer_store_dword v38, off, s[0:3], 0 offset:104
	buffer_store_dword v38, off, s[0:3], 0 offset:108
.LBB81_95:
	s_or_b64 exec, exec, s[4:5]
	s_waitcnt lgkmcnt(0)
	; wave barrier
	s_waitcnt lgkmcnt(0)
	buffer_load_dword v49, off, s[0:3], 0 offset:116
	buffer_load_dword v51, off, s[0:3], 0 offset:124
	;; [unrolled: 1-line block ×10, first 2 shown]
	ds_read_b128 v[40:43], v38 offset:256
	ds_read_b128 v[44:47], v38 offset:272
	v_cmp_lt_u32_e32 vcc, 12, v0
	s_waitcnt vmcnt(9)
	v_mov_b32_e32 v38, v49
	s_waitcnt vmcnt(8)
	v_mov_b32_e32 v58, v51
	s_waitcnt lgkmcnt(1)
	v_pk_mul_f32 v[38:39], v[40:41], v[38:39] op_sel_hi:[1,0]
	s_waitcnt vmcnt(7)
	v_mov_b32_e32 v60, v53
	v_pk_mul_f32 v[58:59], v[42:43], v[58:59] op_sel_hi:[1,0]
	s_waitcnt vmcnt(5)
	v_pk_fma_f32 v[64:65], v[40:41], v[48:49], v[38:39] op_sel:[0,0,1] op_sel_hi:[1,1,0] neg_lo:[0,0,1] neg_hi:[0,0,1]
	v_pk_fma_f32 v[38:39], v[40:41], v[48:49], v[38:39] op_sel:[0,0,1] op_sel_hi:[1,0,0]
	v_mov_b32_e32 v62, v55
	s_waitcnt lgkmcnt(0)
	v_pk_mul_f32 v[60:61], v[44:45], v[60:61] op_sel_hi:[1,0]
	s_waitcnt vmcnt(4)
	v_pk_fma_f32 v[40:41], v[42:43], v[50:51], v[58:59] op_sel:[0,0,1] op_sel_hi:[1,1,0] neg_lo:[0,0,1] neg_hi:[0,0,1]
	v_pk_fma_f32 v[42:43], v[42:43], v[50:51], v[58:59] op_sel:[0,0,1] op_sel_hi:[1,0,0]
	v_mov_b32_e32 v65, v39
	v_pk_mul_f32 v[62:63], v[46:47], v[62:63] op_sel_hi:[1,0]
	s_waitcnt vmcnt(3)
	v_pk_fma_f32 v[48:49], v[44:45], v[52:53], v[60:61] op_sel:[0,0,1] op_sel_hi:[1,1,0] neg_lo:[0,0,1] neg_hi:[0,0,1]
	v_pk_fma_f32 v[44:45], v[44:45], v[52:53], v[60:61] op_sel:[0,0,1] op_sel_hi:[1,0,0]
	v_mov_b32_e32 v41, v43
	v_pk_add_f32 v[38:39], v[64:65], 0 op_sel_hi:[1,0]
	s_waitcnt vmcnt(2)
	v_pk_fma_f32 v[50:51], v[46:47], v[54:55], v[62:63] op_sel:[0,0,1] op_sel_hi:[1,1,0] neg_lo:[0,0,1] neg_hi:[0,0,1]
	v_pk_fma_f32 v[46:47], v[46:47], v[54:55], v[62:63] op_sel:[0,0,1] op_sel_hi:[1,0,0]
	v_mov_b32_e32 v49, v45
	v_pk_add_f32 v[38:39], v[38:39], v[40:41]
	v_mov_b32_e32 v51, v47
	v_pk_add_f32 v[38:39], v[38:39], v[48:49]
	v_pk_add_f32 v[38:39], v[38:39], v[50:51]
	s_waitcnt vmcnt(0)
	v_pk_add_f32 v[38:39], v[56:57], v[38:39] neg_lo:[0,1] neg_hi:[0,1]
	buffer_store_dword v38, off, s[0:3], 0 offset:104
	buffer_store_dword v39, off, s[0:3], 0 offset:108
	s_and_saveexec_b64 s[4:5], vcc
	s_cbranch_execz .LBB81_97
; %bb.96:
	buffer_load_dword v38, off, s[0:3], 0 offset:96
	buffer_load_dword v39, off, s[0:3], 0 offset:100
	v_mov_b32_e32 v40, 0
	buffer_store_dword v40, off, s[0:3], 0 offset:96
	buffer_store_dword v40, off, s[0:3], 0 offset:100
	s_waitcnt vmcnt(2)
	ds_write_b64 v1, v[38:39]
.LBB81_97:
	s_or_b64 exec, exec, s[4:5]
	s_waitcnt lgkmcnt(0)
	; wave barrier
	s_waitcnt lgkmcnt(0)
	buffer_load_dword v49, off, s[0:3], 0 offset:108
	buffer_load_dword v51, off, s[0:3], 0 offset:116
	;; [unrolled: 1-line block ×12, first 2 shown]
	v_mov_b32_e32 v38, 0
	ds_read2_b64 v[40:43], v38 offset0:31 offset1:32
	ds_read2_b64 v[44:47], v38 offset0:33 offset1:34
	ds_read_b64 v[60:61], v38 offset:280
	v_cmp_lt_u32_e32 vcc, 11, v0
	s_waitcnt vmcnt(11)
	v_mov_b32_e32 v62, v49
	s_waitcnt vmcnt(10)
	v_mov_b32_e32 v64, v51
	s_waitcnt lgkmcnt(2)
	v_pk_mul_f32 v[62:63], v[40:41], v[62:63] op_sel_hi:[1,0]
	s_waitcnt vmcnt(9)
	v_mov_b32_e32 v66, v53
	v_pk_mul_f32 v[64:65], v[42:43], v[64:65] op_sel_hi:[1,0]
	s_waitcnt vmcnt(6)
	v_pk_fma_f32 v[72:73], v[40:41], v[48:49], v[62:63] op_sel:[0,0,1] op_sel_hi:[1,1,0] neg_lo:[0,0,1] neg_hi:[0,0,1]
	v_pk_fma_f32 v[40:41], v[40:41], v[48:49], v[62:63] op_sel:[0,0,1] op_sel_hi:[1,0,0]
	v_mov_b32_e32 v68, v55
	s_waitcnt lgkmcnt(1)
	v_pk_mul_f32 v[66:67], v[44:45], v[66:67] op_sel_hi:[1,0]
	s_waitcnt vmcnt(5)
	v_pk_fma_f32 v[48:49], v[42:43], v[50:51], v[64:65] op_sel:[0,0,1] op_sel_hi:[1,1,0] neg_lo:[0,0,1] neg_hi:[0,0,1]
	v_pk_fma_f32 v[42:43], v[42:43], v[50:51], v[64:65] op_sel:[0,0,1] op_sel_hi:[1,0,0]
	v_mov_b32_e32 v73, v41
	v_mov_b32_e32 v70, v57
	v_pk_mul_f32 v[68:69], v[46:47], v[68:69] op_sel_hi:[1,0]
	s_waitcnt vmcnt(4)
	v_pk_fma_f32 v[50:51], v[44:45], v[52:53], v[66:67] op_sel:[0,0,1] op_sel_hi:[1,1,0] neg_lo:[0,0,1] neg_hi:[0,0,1]
	v_pk_fma_f32 v[44:45], v[44:45], v[52:53], v[66:67] op_sel:[0,0,1] op_sel_hi:[1,0,0]
	v_mov_b32_e32 v49, v43
	v_pk_add_f32 v[40:41], v[72:73], 0 op_sel_hi:[1,0]
	s_waitcnt lgkmcnt(0)
	v_pk_mul_f32 v[70:71], v[60:61], v[70:71] op_sel_hi:[1,0]
	s_waitcnt vmcnt(3)
	v_pk_fma_f32 v[52:53], v[46:47], v[54:55], v[68:69] op_sel:[0,0,1] op_sel_hi:[1,1,0] neg_lo:[0,0,1] neg_hi:[0,0,1]
	v_pk_fma_f32 v[46:47], v[46:47], v[54:55], v[68:69] op_sel:[0,0,1] op_sel_hi:[1,0,0]
	v_mov_b32_e32 v51, v45
	v_pk_add_f32 v[40:41], v[40:41], v[48:49]
	s_waitcnt vmcnt(2)
	v_pk_fma_f32 v[54:55], v[60:61], v[56:57], v[70:71] op_sel:[0,0,1] op_sel_hi:[1,1,0] neg_lo:[0,0,1] neg_hi:[0,0,1]
	v_pk_fma_f32 v[56:57], v[60:61], v[56:57], v[70:71] op_sel:[0,0,1] op_sel_hi:[1,0,0]
	v_mov_b32_e32 v53, v47
	v_pk_add_f32 v[40:41], v[40:41], v[50:51]
	v_mov_b32_e32 v55, v57
	v_pk_add_f32 v[40:41], v[40:41], v[52:53]
	v_pk_add_f32 v[40:41], v[40:41], v[54:55]
	s_waitcnt vmcnt(0)
	v_pk_add_f32 v[40:41], v[58:59], v[40:41] neg_lo:[0,1] neg_hi:[0,1]
	buffer_store_dword v40, off, s[0:3], 0 offset:96
	buffer_store_dword v41, off, s[0:3], 0 offset:100
	s_and_saveexec_b64 s[4:5], vcc
	s_cbranch_execz .LBB81_99
; %bb.98:
	buffer_load_dword v40, off, s[0:3], 0 offset:88
	buffer_load_dword v41, off, s[0:3], 0 offset:92
	s_waitcnt vmcnt(0)
	ds_write_b64 v1, v[40:41]
	buffer_store_dword v38, off, s[0:3], 0 offset:88
	buffer_store_dword v38, off, s[0:3], 0 offset:92
.LBB81_99:
	s_or_b64 exec, exec, s[4:5]
	s_waitcnt lgkmcnt(0)
	; wave barrier
	s_waitcnt lgkmcnt(0)
	buffer_load_dword v53, off, s[0:3], 0 offset:100
	buffer_load_dword v55, off, s[0:3], 0 offset:108
	;; [unrolled: 1-line block ×14, first 2 shown]
	ds_read_b128 v[40:43], v38 offset:240
	ds_read_b128 v[44:47], v38 offset:256
	ds_read_b128 v[48:51], v38 offset:272
	v_cmp_lt_u32_e32 vcc, 10, v0
	s_waitcnt vmcnt(13)
	v_mov_b32_e32 v38, v53
	s_waitcnt vmcnt(12)
	v_mov_b32_e32 v66, v55
	s_waitcnt lgkmcnt(2)
	v_pk_mul_f32 v[38:39], v[40:41], v[38:39] op_sel_hi:[1,0]
	s_waitcnt vmcnt(11)
	v_mov_b32_e32 v68, v57
	v_pk_mul_f32 v[66:67], v[42:43], v[66:67] op_sel_hi:[1,0]
	s_waitcnt vmcnt(10)
	v_mov_b32_e32 v70, v59
	s_waitcnt vmcnt(7)
	v_pk_fma_f32 v[76:77], v[40:41], v[52:53], v[38:39] op_sel:[0,0,1] op_sel_hi:[1,1,0] neg_lo:[0,0,1] neg_hi:[0,0,1]
	v_pk_fma_f32 v[38:39], v[40:41], v[52:53], v[38:39] op_sel:[0,0,1] op_sel_hi:[1,0,0]
	s_waitcnt lgkmcnt(1)
	v_pk_mul_f32 v[68:69], v[44:45], v[68:69] op_sel_hi:[1,0]
	s_waitcnt vmcnt(6)
	v_pk_fma_f32 v[40:41], v[42:43], v[54:55], v[66:67] op_sel:[0,0,1] op_sel_hi:[1,1,0] neg_lo:[0,0,1] neg_hi:[0,0,1]
	v_pk_fma_f32 v[42:43], v[42:43], v[54:55], v[66:67] op_sel:[0,0,1] op_sel_hi:[1,0,0]
	v_mov_b32_e32 v77, v39
	v_mov_b32_e32 v72, v61
	v_pk_mul_f32 v[70:71], v[46:47], v[70:71] op_sel_hi:[1,0]
	s_waitcnt vmcnt(5)
	v_pk_fma_f32 v[52:53], v[44:45], v[56:57], v[68:69] op_sel:[0,0,1] op_sel_hi:[1,1,0] neg_lo:[0,0,1] neg_hi:[0,0,1]
	v_pk_fma_f32 v[44:45], v[44:45], v[56:57], v[68:69] op_sel:[0,0,1] op_sel_hi:[1,0,0]
	v_mov_b32_e32 v41, v43
	v_pk_add_f32 v[38:39], v[76:77], 0 op_sel_hi:[1,0]
	v_mov_b32_e32 v74, v63
	s_waitcnt lgkmcnt(0)
	v_pk_mul_f32 v[72:73], v[48:49], v[72:73] op_sel_hi:[1,0]
	s_waitcnt vmcnt(4)
	v_pk_fma_f32 v[54:55], v[46:47], v[58:59], v[70:71] op_sel:[0,0,1] op_sel_hi:[1,1,0] neg_lo:[0,0,1] neg_hi:[0,0,1]
	v_pk_fma_f32 v[46:47], v[46:47], v[58:59], v[70:71] op_sel:[0,0,1] op_sel_hi:[1,0,0]
	v_mov_b32_e32 v53, v45
	v_pk_add_f32 v[38:39], v[38:39], v[40:41]
	v_pk_mul_f32 v[74:75], v[50:51], v[74:75] op_sel_hi:[1,0]
	s_waitcnt vmcnt(3)
	v_pk_fma_f32 v[56:57], v[48:49], v[60:61], v[72:73] op_sel:[0,0,1] op_sel_hi:[1,1,0] neg_lo:[0,0,1] neg_hi:[0,0,1]
	v_pk_fma_f32 v[48:49], v[48:49], v[60:61], v[72:73] op_sel:[0,0,1] op_sel_hi:[1,0,0]
	v_mov_b32_e32 v55, v47
	v_pk_add_f32 v[38:39], v[38:39], v[52:53]
	s_waitcnt vmcnt(2)
	v_pk_fma_f32 v[58:59], v[50:51], v[62:63], v[74:75] op_sel:[0,0,1] op_sel_hi:[1,1,0] neg_lo:[0,0,1] neg_hi:[0,0,1]
	v_pk_fma_f32 v[50:51], v[50:51], v[62:63], v[74:75] op_sel:[0,0,1] op_sel_hi:[1,0,0]
	v_mov_b32_e32 v57, v49
	v_pk_add_f32 v[38:39], v[38:39], v[54:55]
	v_mov_b32_e32 v59, v51
	v_pk_add_f32 v[38:39], v[38:39], v[56:57]
	v_pk_add_f32 v[38:39], v[38:39], v[58:59]
	s_waitcnt vmcnt(0)
	v_pk_add_f32 v[38:39], v[64:65], v[38:39] neg_lo:[0,1] neg_hi:[0,1]
	buffer_store_dword v38, off, s[0:3], 0 offset:88
	buffer_store_dword v39, off, s[0:3], 0 offset:92
	s_and_saveexec_b64 s[4:5], vcc
	s_cbranch_execz .LBB81_101
; %bb.100:
	buffer_load_dword v38, off, s[0:3], 0 offset:80
	buffer_load_dword v39, off, s[0:3], 0 offset:84
	v_mov_b32_e32 v40, 0
	buffer_store_dword v40, off, s[0:3], 0 offset:80
	buffer_store_dword v40, off, s[0:3], 0 offset:84
	s_waitcnt vmcnt(2)
	ds_write_b64 v1, v[38:39]
.LBB81_101:
	s_or_b64 exec, exec, s[4:5]
	s_waitcnt lgkmcnt(0)
	; wave barrier
	s_waitcnt lgkmcnt(0)
	buffer_load_dword v53, off, s[0:3], 0 offset:92
	buffer_load_dword v55, off, s[0:3], 0 offset:100
	;; [unrolled: 1-line block ×16, first 2 shown]
	v_mov_b32_e32 v38, 0
	ds_read2_b64 v[40:43], v38 offset0:29 offset1:30
	ds_read2_b64 v[44:47], v38 offset0:31 offset1:32
	;; [unrolled: 1-line block ×3, first 2 shown]
	ds_read_b64 v[68:69], v38 offset:280
	v_cmp_lt_u32_e32 vcc, 9, v0
	s_waitcnt vmcnt(15)
	v_mov_b32_e32 v70, v53
	s_waitcnt vmcnt(14)
	v_mov_b32_e32 v72, v55
	s_waitcnt lgkmcnt(3)
	v_pk_mul_f32 v[70:71], v[40:41], v[70:71] op_sel_hi:[1,0]
	s_waitcnt vmcnt(13)
	v_mov_b32_e32 v74, v57
	v_pk_mul_f32 v[72:73], v[42:43], v[72:73] op_sel_hi:[1,0]
	s_waitcnt vmcnt(12)
	v_mov_b32_e32 v76, v59
	s_waitcnt lgkmcnt(2)
	v_pk_mul_f32 v[74:75], v[44:45], v[74:75] op_sel_hi:[1,0]
	s_waitcnt vmcnt(8)
	v_pk_fma_f32 v[84:85], v[40:41], v[52:53], v[70:71] op_sel:[0,0,1] op_sel_hi:[1,1,0] neg_lo:[0,0,1] neg_hi:[0,0,1]
	v_pk_fma_f32 v[40:41], v[40:41], v[52:53], v[70:71] op_sel:[0,0,1] op_sel_hi:[1,0,0]
	s_waitcnt vmcnt(7)
	v_pk_fma_f32 v[52:53], v[42:43], v[54:55], v[72:73] op_sel:[0,0,1] op_sel_hi:[1,1,0] neg_lo:[0,0,1] neg_hi:[0,0,1]
	v_pk_fma_f32 v[42:43], v[42:43], v[54:55], v[72:73] op_sel:[0,0,1] op_sel_hi:[1,0,0]
	v_mov_b32_e32 v85, v41
	v_mov_b32_e32 v78, v61
	v_pk_mul_f32 v[76:77], v[46:47], v[76:77] op_sel_hi:[1,0]
	s_waitcnt vmcnt(6)
	v_pk_fma_f32 v[54:55], v[44:45], v[56:57], v[74:75] op_sel:[0,0,1] op_sel_hi:[1,1,0] neg_lo:[0,0,1] neg_hi:[0,0,1]
	v_pk_fma_f32 v[44:45], v[44:45], v[56:57], v[74:75] op_sel:[0,0,1] op_sel_hi:[1,0,0]
	v_mov_b32_e32 v53, v43
	v_pk_add_f32 v[40:41], v[84:85], 0 op_sel_hi:[1,0]
	v_mov_b32_e32 v80, v63
	s_waitcnt lgkmcnt(1)
	v_pk_mul_f32 v[78:79], v[48:49], v[78:79] op_sel_hi:[1,0]
	s_waitcnt vmcnt(5)
	v_pk_fma_f32 v[56:57], v[46:47], v[58:59], v[76:77] op_sel:[0,0,1] op_sel_hi:[1,1,0] neg_lo:[0,0,1] neg_hi:[0,0,1]
	v_pk_fma_f32 v[46:47], v[46:47], v[58:59], v[76:77] op_sel:[0,0,1] op_sel_hi:[1,0,0]
	v_mov_b32_e32 v55, v45
	v_pk_add_f32 v[40:41], v[40:41], v[52:53]
	v_mov_b32_e32 v82, v65
	v_pk_mul_f32 v[80:81], v[50:51], v[80:81] op_sel_hi:[1,0]
	s_waitcnt vmcnt(4)
	v_pk_fma_f32 v[58:59], v[48:49], v[60:61], v[78:79] op_sel:[0,0,1] op_sel_hi:[1,1,0] neg_lo:[0,0,1] neg_hi:[0,0,1]
	v_pk_fma_f32 v[48:49], v[48:49], v[60:61], v[78:79] op_sel:[0,0,1] op_sel_hi:[1,0,0]
	v_mov_b32_e32 v57, v47
	v_pk_add_f32 v[40:41], v[40:41], v[54:55]
	s_waitcnt lgkmcnt(0)
	v_pk_mul_f32 v[82:83], v[68:69], v[82:83] op_sel_hi:[1,0]
	s_waitcnt vmcnt(3)
	v_pk_fma_f32 v[60:61], v[50:51], v[62:63], v[80:81] op_sel:[0,0,1] op_sel_hi:[1,1,0] neg_lo:[0,0,1] neg_hi:[0,0,1]
	v_pk_fma_f32 v[50:51], v[50:51], v[62:63], v[80:81] op_sel:[0,0,1] op_sel_hi:[1,0,0]
	v_mov_b32_e32 v59, v49
	v_pk_add_f32 v[40:41], v[40:41], v[56:57]
	s_waitcnt vmcnt(2)
	v_pk_fma_f32 v[62:63], v[68:69], v[64:65], v[82:83] op_sel:[0,0,1] op_sel_hi:[1,1,0] neg_lo:[0,0,1] neg_hi:[0,0,1]
	v_pk_fma_f32 v[64:65], v[68:69], v[64:65], v[82:83] op_sel:[0,0,1] op_sel_hi:[1,0,0]
	v_mov_b32_e32 v61, v51
	v_pk_add_f32 v[40:41], v[40:41], v[58:59]
	v_mov_b32_e32 v63, v65
	v_pk_add_f32 v[40:41], v[40:41], v[60:61]
	v_pk_add_f32 v[40:41], v[40:41], v[62:63]
	s_waitcnt vmcnt(0)
	v_pk_add_f32 v[40:41], v[66:67], v[40:41] neg_lo:[0,1] neg_hi:[0,1]
	buffer_store_dword v40, off, s[0:3], 0 offset:80
	buffer_store_dword v41, off, s[0:3], 0 offset:84
	s_and_saveexec_b64 s[4:5], vcc
	s_cbranch_execz .LBB81_103
; %bb.102:
	buffer_load_dword v40, off, s[0:3], 0 offset:72
	buffer_load_dword v41, off, s[0:3], 0 offset:76
	s_waitcnt vmcnt(0)
	ds_write_b64 v1, v[40:41]
	buffer_store_dword v38, off, s[0:3], 0 offset:72
	buffer_store_dword v38, off, s[0:3], 0 offset:76
.LBB81_103:
	s_or_b64 exec, exec, s[4:5]
	s_waitcnt lgkmcnt(0)
	; wave barrier
	s_waitcnt lgkmcnt(0)
	buffer_load_dword v57, off, s[0:3], 0 offset:84
	buffer_load_dword v59, off, s[0:3], 0 offset:92
	;; [unrolled: 1-line block ×18, first 2 shown]
	ds_read_b128 v[40:43], v38 offset:224
	ds_read_b128 v[44:47], v38 offset:240
	;; [unrolled: 1-line block ×4, first 2 shown]
	v_cmp_lt_u32_e32 vcc, 8, v0
	s_waitcnt vmcnt(17)
	v_mov_b32_e32 v38, v57
	s_waitcnt vmcnt(16)
	v_mov_b32_e32 v74, v59
	s_waitcnt lgkmcnt(3)
	v_pk_mul_f32 v[38:39], v[40:41], v[38:39] op_sel_hi:[1,0]
	s_waitcnt vmcnt(15)
	v_mov_b32_e32 v76, v61
	v_pk_mul_f32 v[74:75], v[42:43], v[74:75] op_sel_hi:[1,0]
	s_waitcnt vmcnt(14)
	v_mov_b32_e32 v78, v63
	s_waitcnt lgkmcnt(2)
	v_pk_mul_f32 v[76:77], v[44:45], v[76:77] op_sel_hi:[1,0]
	s_waitcnt vmcnt(13)
	v_mov_b32_e32 v80, v65
	s_waitcnt vmcnt(9)
	v_pk_fma_f32 v[88:89], v[40:41], v[56:57], v[38:39] op_sel:[0,0,1] op_sel_hi:[1,1,0] neg_lo:[0,0,1] neg_hi:[0,0,1]
	v_pk_fma_f32 v[38:39], v[40:41], v[56:57], v[38:39] op_sel:[0,0,1] op_sel_hi:[1,0,0]
	s_waitcnt vmcnt(8)
	v_pk_fma_f32 v[40:41], v[42:43], v[58:59], v[74:75] op_sel:[0,0,1] op_sel_hi:[1,1,0] neg_lo:[0,0,1] neg_hi:[0,0,1]
	v_pk_fma_f32 v[42:43], v[42:43], v[58:59], v[74:75] op_sel:[0,0,1] op_sel_hi:[1,0,0]
	v_mov_b32_e32 v89, v39
	v_pk_mul_f32 v[78:79], v[46:47], v[78:79] op_sel_hi:[1,0]
	s_waitcnt vmcnt(7)
	v_pk_fma_f32 v[56:57], v[44:45], v[60:61], v[76:77] op_sel:[0,0,1] op_sel_hi:[1,1,0] neg_lo:[0,0,1] neg_hi:[0,0,1]
	v_pk_fma_f32 v[44:45], v[44:45], v[60:61], v[76:77] op_sel:[0,0,1] op_sel_hi:[1,0,0]
	v_mov_b32_e32 v41, v43
	v_pk_add_f32 v[38:39], v[88:89], 0 op_sel_hi:[1,0]
	v_mov_b32_e32 v82, v67
	s_waitcnt lgkmcnt(1)
	v_pk_mul_f32 v[80:81], v[48:49], v[80:81] op_sel_hi:[1,0]
	s_waitcnt vmcnt(6)
	v_pk_fma_f32 v[58:59], v[46:47], v[62:63], v[78:79] op_sel:[0,0,1] op_sel_hi:[1,1,0] neg_lo:[0,0,1] neg_hi:[0,0,1]
	v_pk_fma_f32 v[46:47], v[46:47], v[62:63], v[78:79] op_sel:[0,0,1] op_sel_hi:[1,0,0]
	v_mov_b32_e32 v57, v45
	v_pk_add_f32 v[38:39], v[38:39], v[40:41]
	v_mov_b32_e32 v84, v69
	v_pk_mul_f32 v[82:83], v[50:51], v[82:83] op_sel_hi:[1,0]
	s_waitcnt vmcnt(5)
	v_pk_fma_f32 v[60:61], v[48:49], v[64:65], v[80:81] op_sel:[0,0,1] op_sel_hi:[1,1,0] neg_lo:[0,0,1] neg_hi:[0,0,1]
	v_pk_fma_f32 v[48:49], v[48:49], v[64:65], v[80:81] op_sel:[0,0,1] op_sel_hi:[1,0,0]
	v_mov_b32_e32 v59, v47
	v_pk_add_f32 v[38:39], v[38:39], v[56:57]
	v_mov_b32_e32 v86, v71
	s_waitcnt lgkmcnt(0)
	v_pk_mul_f32 v[84:85], v[52:53], v[84:85] op_sel_hi:[1,0]
	s_waitcnt vmcnt(4)
	v_pk_fma_f32 v[62:63], v[50:51], v[66:67], v[82:83] op_sel:[0,0,1] op_sel_hi:[1,1,0] neg_lo:[0,0,1] neg_hi:[0,0,1]
	v_pk_fma_f32 v[50:51], v[50:51], v[66:67], v[82:83] op_sel:[0,0,1] op_sel_hi:[1,0,0]
	v_mov_b32_e32 v61, v49
	v_pk_add_f32 v[38:39], v[38:39], v[58:59]
	v_pk_mul_f32 v[86:87], v[54:55], v[86:87] op_sel_hi:[1,0]
	s_waitcnt vmcnt(3)
	v_pk_fma_f32 v[64:65], v[52:53], v[68:69], v[84:85] op_sel:[0,0,1] op_sel_hi:[1,1,0] neg_lo:[0,0,1] neg_hi:[0,0,1]
	v_pk_fma_f32 v[52:53], v[52:53], v[68:69], v[84:85] op_sel:[0,0,1] op_sel_hi:[1,0,0]
	v_mov_b32_e32 v63, v51
	v_pk_add_f32 v[38:39], v[38:39], v[60:61]
	s_waitcnt vmcnt(2)
	v_pk_fma_f32 v[66:67], v[54:55], v[70:71], v[86:87] op_sel:[0,0,1] op_sel_hi:[1,1,0] neg_lo:[0,0,1] neg_hi:[0,0,1]
	v_pk_fma_f32 v[54:55], v[54:55], v[70:71], v[86:87] op_sel:[0,0,1] op_sel_hi:[1,0,0]
	v_mov_b32_e32 v65, v53
	v_pk_add_f32 v[38:39], v[38:39], v[62:63]
	v_mov_b32_e32 v67, v55
	v_pk_add_f32 v[38:39], v[38:39], v[64:65]
	v_pk_add_f32 v[38:39], v[38:39], v[66:67]
	s_waitcnt vmcnt(0)
	v_pk_add_f32 v[38:39], v[72:73], v[38:39] neg_lo:[0,1] neg_hi:[0,1]
	buffer_store_dword v38, off, s[0:3], 0 offset:72
	buffer_store_dword v39, off, s[0:3], 0 offset:76
	s_and_saveexec_b64 s[4:5], vcc
	s_cbranch_execz .LBB81_105
; %bb.104:
	buffer_load_dword v38, off, s[0:3], 0 offset:64
	buffer_load_dword v39, off, s[0:3], 0 offset:68
	v_mov_b32_e32 v40, 0
	buffer_store_dword v40, off, s[0:3], 0 offset:64
	buffer_store_dword v40, off, s[0:3], 0 offset:68
	s_waitcnt vmcnt(2)
	ds_write_b64 v1, v[38:39]
.LBB81_105:
	s_or_b64 exec, exec, s[4:5]
	s_waitcnt lgkmcnt(0)
	; wave barrier
	s_waitcnt lgkmcnt(0)
	buffer_load_dword v39, off, s[0:3], 0 offset:76
	buffer_load_dword v57, off, s[0:3], 0 offset:84
	;; [unrolled: 1-line block ×20, first 2 shown]
	v_mov_b32_e32 v38, 0
	ds_read2_b64 v[40:43], v38 offset0:27 offset1:28
	ds_read2_b64 v[44:47], v38 offset0:29 offset1:30
	;; [unrolled: 1-line block ×4, first 2 shown]
	ds_read_b64 v[74:75], v38 offset:280
	v_cmp_lt_u32_e32 vcc, 7, v0
	s_waitcnt vmcnt(19) lgkmcnt(4)
	v_mul_f32_e32 v77, v40, v39
	v_mul_f32_e32 v39, v41, v39
	s_waitcnt vmcnt(18)
	v_mov_b32_e32 v78, v57
	s_waitcnt vmcnt(17)
	v_mov_b32_e32 v80, v59
	;; [unrolled: 2-line block ×8, first 2 shown]
	s_waitcnt vmcnt(10)
	v_fmac_f32_e32 v77, v41, v76
	v_fma_f32 v76, v40, v76, -v39
	v_pk_mul_f32 v[40:41], v[42:43], v[78:79] op_sel_hi:[1,0]
	s_waitcnt lgkmcnt(3)
	v_pk_mul_f32 v[78:79], v[44:45], v[80:81] op_sel_hi:[1,0]
	v_pk_mul_f32 v[80:81], v[46:47], v[82:83] op_sel_hi:[1,0]
	s_waitcnt lgkmcnt(2)
	v_pk_mul_f32 v[82:83], v[48:49], v[84:85] op_sel_hi:[1,0]
	;; [unrolled: 3-line block ×4, first 2 shown]
	s_waitcnt vmcnt(9)
	v_pk_fma_f32 v[92:93], v[42:43], v[56:57], v[40:41] op_sel:[0,0,1] op_sel_hi:[1,1,0] neg_lo:[0,0,1] neg_hi:[0,0,1]
	v_pk_fma_f32 v[40:41], v[42:43], v[56:57], v[40:41] op_sel:[0,0,1] op_sel_hi:[1,0,0]
	v_pk_add_f32 v[76:77], v[76:77], 0 op_sel_hi:[1,0]
	s_waitcnt vmcnt(8)
	v_pk_fma_f32 v[42:43], v[44:45], v[58:59], v[78:79] op_sel:[0,0,1] op_sel_hi:[1,1,0] neg_lo:[0,0,1] neg_hi:[0,0,1]
	v_pk_fma_f32 v[44:45], v[44:45], v[58:59], v[78:79] op_sel:[0,0,1] op_sel_hi:[1,0,0]
	v_mov_b32_e32 v93, v41
	s_waitcnt vmcnt(7)
	v_pk_fma_f32 v[56:57], v[46:47], v[60:61], v[80:81] op_sel:[0,0,1] op_sel_hi:[1,1,0] neg_lo:[0,0,1] neg_hi:[0,0,1]
	v_pk_fma_f32 v[46:47], v[46:47], v[60:61], v[80:81] op_sel:[0,0,1] op_sel_hi:[1,0,0]
	v_mov_b32_e32 v43, v45
	v_pk_add_f32 v[40:41], v[76:77], v[92:93]
	s_waitcnt vmcnt(6)
	v_pk_fma_f32 v[58:59], v[48:49], v[62:63], v[82:83] op_sel:[0,0,1] op_sel_hi:[1,1,0] neg_lo:[0,0,1] neg_hi:[0,0,1]
	v_pk_fma_f32 v[48:49], v[48:49], v[62:63], v[82:83] op_sel:[0,0,1] op_sel_hi:[1,0,0]
	v_mov_b32_e32 v57, v47
	v_pk_add_f32 v[40:41], v[40:41], v[42:43]
	;; [unrolled: 5-line block ×5, first 2 shown]
	v_pk_fma_f32 v[66:67], v[74:75], v[70:71], v[90:91] op_sel:[0,0,1] op_sel_hi:[1,1,0] neg_lo:[0,0,1] neg_hi:[0,0,1]
	v_pk_fma_f32 v[68:69], v[74:75], v[70:71], v[90:91] op_sel:[0,0,1] op_sel_hi:[1,0,0]
	v_mov_b32_e32 v65, v55
	v_pk_add_f32 v[40:41], v[40:41], v[62:63]
	v_mov_b32_e32 v67, v69
	v_pk_add_f32 v[40:41], v[40:41], v[64:65]
	v_pk_add_f32 v[40:41], v[40:41], v[66:67]
	s_waitcnt vmcnt(0)
	v_pk_add_f32 v[40:41], v[72:73], v[40:41] neg_lo:[0,1] neg_hi:[0,1]
	buffer_store_dword v40, off, s[0:3], 0 offset:64
	buffer_store_dword v41, off, s[0:3], 0 offset:68
	s_and_saveexec_b64 s[4:5], vcc
	s_cbranch_execz .LBB81_107
; %bb.106:
	buffer_load_dword v40, off, s[0:3], 0 offset:56
	buffer_load_dword v41, off, s[0:3], 0 offset:60
	s_waitcnt vmcnt(0)
	ds_write_b64 v1, v[40:41]
	buffer_store_dword v38, off, s[0:3], 0 offset:56
	buffer_store_dword v38, off, s[0:3], 0 offset:60
.LBB81_107:
	s_or_b64 exec, exec, s[4:5]
	s_waitcnt lgkmcnt(0)
	; wave barrier
	s_waitcnt lgkmcnt(0)
	buffer_load_dword v78, off, s[0:3], 0 offset:68
	buffer_load_dword v80, off, s[0:3], 0 offset:76
	;; [unrolled: 1-line block ×22, first 2 shown]
	ds_read_b128 v[40:43], v38 offset:208
	ds_read_b128 v[44:47], v38 offset:224
	ds_read_b128 v[48:51], v38 offset:240
	ds_read_b128 v[52:55], v38 offset:256
	ds_read_b128 v[56:59], v38 offset:272
	v_cmp_lt_u32_e32 vcc, 6, v0
	s_waitcnt vmcnt(21) lgkmcnt(4)
	v_mul_f32_e32 v39, v40, v78
	s_waitcnt vmcnt(20)
	v_mul_f32_e32 v79, v42, v80
	v_mul_f32_e32 v38, v41, v78
	;; [unrolled: 1-line block ×3, first 2 shown]
	s_waitcnt vmcnt(19)
	v_mov_b32_e32 v80, v61
	s_waitcnt vmcnt(18)
	v_mov_b32_e32 v82, v63
	;; [unrolled: 2-line block ×5, first 2 shown]
	v_mov_b32_e32 v86, v67
	s_waitcnt vmcnt(11)
	v_fmac_f32_e32 v39, v41, v81
	v_fma_f32 v38, v40, v81, -v38
	s_waitcnt lgkmcnt(3)
	v_pk_mul_f32 v[40:41], v[44:45], v[80:81] op_sel_hi:[1,0]
	s_waitcnt vmcnt(10)
	v_fmac_f32_e32 v79, v43, v83
	v_fma_f32 v78, v42, v83, -v78
	v_pk_mul_f32 v[42:43], v[46:47], v[82:83] op_sel_hi:[1,0]
	s_waitcnt lgkmcnt(2)
	v_pk_mul_f32 v[80:81], v[48:49], v[84:85] op_sel_hi:[1,0]
	s_waitcnt lgkmcnt(1)
	;; [unrolled: 2-line block ×3, first 2 shown]
	v_pk_mul_f32 v[88:89], v[56:57], v[92:93] op_sel_hi:[1,0]
	v_pk_add_f32 v[38:39], v[38:39], 0 op_sel_hi:[1,0]
	s_waitcnt vmcnt(9)
	v_pk_fma_f32 v[92:93], v[44:45], v[60:61], v[40:41] op_sel:[0,0,1] op_sel_hi:[1,1,0] neg_lo:[0,0,1] neg_hi:[0,0,1]
	v_pk_fma_f32 v[40:41], v[44:45], v[60:61], v[40:41] op_sel:[0,0,1] op_sel_hi:[1,0,0]
	s_waitcnt vmcnt(8)
	v_pk_fma_f32 v[44:45], v[46:47], v[62:63], v[42:43] op_sel:[0,0,1] op_sel_hi:[1,1,0] neg_lo:[0,0,1] neg_hi:[0,0,1]
	v_pk_fma_f32 v[42:43], v[46:47], v[62:63], v[42:43] op_sel:[0,0,1] op_sel_hi:[1,0,0]
	v_pk_add_f32 v[38:39], v[38:39], v[78:79]
	v_mov_b32_e32 v93, v41
	v_pk_mul_f32 v[82:83], v[50:51], v[86:87] op_sel_hi:[1,0]
	s_waitcnt vmcnt(7)
	v_pk_fma_f32 v[46:47], v[48:49], v[64:65], v[80:81] op_sel:[0,0,1] op_sel_hi:[1,1,0] neg_lo:[0,0,1] neg_hi:[0,0,1]
	v_pk_fma_f32 v[48:49], v[48:49], v[64:65], v[80:81] op_sel:[0,0,1] op_sel_hi:[1,0,0]
	v_mov_b32_e32 v45, v43
	v_pk_add_f32 v[38:39], v[38:39], v[92:93]
	v_mov_b32_e32 v90, v71
	s_waitcnt vmcnt(6)
	v_pk_fma_f32 v[60:61], v[50:51], v[66:67], v[82:83] op_sel:[0,0,1] op_sel_hi:[1,1,0] neg_lo:[0,0,1] neg_hi:[0,0,1]
	v_pk_fma_f32 v[50:51], v[50:51], v[66:67], v[82:83] op_sel:[0,0,1] op_sel_hi:[1,0,0]
	v_mov_b32_e32 v47, v49
	v_pk_add_f32 v[38:39], v[38:39], v[44:45]
	v_pk_mul_f32 v[86:87], v[54:55], v[90:91] op_sel_hi:[1,0]
	s_waitcnt vmcnt(5)
	v_pk_fma_f32 v[62:63], v[52:53], v[68:69], v[84:85] op_sel:[0,0,1] op_sel_hi:[1,1,0] neg_lo:[0,0,1] neg_hi:[0,0,1]
	v_pk_fma_f32 v[52:53], v[52:53], v[68:69], v[84:85] op_sel:[0,0,1] op_sel_hi:[1,0,0]
	v_mov_b32_e32 v61, v51
	v_pk_add_f32 v[38:39], v[38:39], v[46:47]
	v_mov_b32_e32 v94, v75
	s_waitcnt vmcnt(2)
	v_pk_fma_f32 v[64:65], v[54:55], v[70:71], v[86:87] op_sel:[0,0,1] op_sel_hi:[1,1,0] neg_lo:[0,0,1] neg_hi:[0,0,1]
	v_pk_fma_f32 v[54:55], v[54:55], v[70:71], v[86:87] op_sel:[0,0,1] op_sel_hi:[1,0,0]
	v_mov_b32_e32 v63, v53
	v_pk_add_f32 v[38:39], v[38:39], v[60:61]
	v_pk_mul_f32 v[90:91], v[58:59], v[94:95] op_sel_hi:[1,0]
	v_pk_fma_f32 v[66:67], v[56:57], v[72:73], v[88:89] op_sel:[0,0,1] op_sel_hi:[1,1,0] neg_lo:[0,0,1] neg_hi:[0,0,1]
	v_pk_fma_f32 v[56:57], v[56:57], v[72:73], v[88:89] op_sel:[0,0,1] op_sel_hi:[1,0,0]
	v_mov_b32_e32 v65, v55
	v_pk_add_f32 v[38:39], v[38:39], v[62:63]
	v_pk_fma_f32 v[68:69], v[58:59], v[74:75], v[90:91] op_sel:[0,0,1] op_sel_hi:[1,1,0] neg_lo:[0,0,1] neg_hi:[0,0,1]
	v_pk_fma_f32 v[58:59], v[58:59], v[74:75], v[90:91] op_sel:[0,0,1] op_sel_hi:[1,0,0]
	v_mov_b32_e32 v67, v57
	v_pk_add_f32 v[38:39], v[38:39], v[64:65]
	v_mov_b32_e32 v69, v59
	v_pk_add_f32 v[38:39], v[38:39], v[66:67]
	v_pk_add_f32 v[38:39], v[38:39], v[68:69]
	s_waitcnt vmcnt(0)
	v_pk_add_f32 v[38:39], v[76:77], v[38:39] neg_lo:[0,1] neg_hi:[0,1]
	buffer_store_dword v38, off, s[0:3], 0 offset:56
	buffer_store_dword v39, off, s[0:3], 0 offset:60
	s_and_saveexec_b64 s[4:5], vcc
	s_cbranch_execz .LBB81_109
; %bb.108:
	buffer_load_dword v38, off, s[0:3], 0 offset:48
	buffer_load_dword v39, off, s[0:3], 0 offset:52
	v_mov_b32_e32 v40, 0
	buffer_store_dword v40, off, s[0:3], 0 offset:48
	buffer_store_dword v40, off, s[0:3], 0 offset:52
	s_waitcnt vmcnt(2)
	ds_write_b64 v1, v[38:39]
.LBB81_109:
	s_or_b64 exec, exec, s[4:5]
	s_waitcnt lgkmcnt(0)
	; wave barrier
	s_waitcnt lgkmcnt(0)
	buffer_load_dword v39, off, s[0:3], 0 offset:60
	buffer_load_dword v80, off, s[0:3], 0 offset:68
	;; [unrolled: 1-line block ×24, first 2 shown]
	v_mov_b32_e32 v38, 0
	ds_read2_b64 v[40:43], v38 offset0:25 offset1:26
	ds_read2_b64 v[44:47], v38 offset0:27 offset1:28
	ds_read2_b64 v[48:51], v38 offset0:29 offset1:30
	ds_read2_b64 v[52:55], v38 offset0:31 offset1:32
	ds_read2_b64 v[56:59], v38 offset0:33 offset1:34
	ds_read_b64 v[78:79], v38 offset:280
	v_cmp_lt_u32_e32 vcc, 5, v0
	s_waitcnt vmcnt(23) lgkmcnt(5)
	v_mul_f32_e32 v93, v40, v39
	v_mul_f32_e32 v39, v41, v39
	s_waitcnt vmcnt(22)
	v_mul_f32_e32 v81, v42, v80
	s_waitcnt vmcnt(21) lgkmcnt(4)
	v_mul_f32_e32 v83, v44, v82
	v_mul_f32_e32 v80, v43, v80
	;; [unrolled: 1-line block ×3, first 2 shown]
	s_waitcnt vmcnt(20)
	v_mov_b32_e32 v84, v61
	s_waitcnt vmcnt(19)
	v_mov_b32_e32 v86, v63
	;; [unrolled: 2-line block ×5, first 2 shown]
	s_waitcnt vmcnt(12)
	v_fmac_f32_e32 v93, v41, v85
	v_fma_f32 v39, v40, v85, -v39
	v_mov_b32_e32 v94, v71
	s_waitcnt vmcnt(11)
	v_fmac_f32_e32 v81, v43, v87
	s_waitcnt vmcnt(10)
	v_fmac_f32_e32 v83, v45, v89
	v_fma_f32 v80, v42, v87, -v80
	v_fma_f32 v82, v44, v89, -v82
	v_pk_mul_f32 v[40:41], v[46:47], v[84:85] op_sel_hi:[1,0]
	s_waitcnt lgkmcnt(3)
	v_pk_mul_f32 v[42:43], v[48:49], v[86:87] op_sel_hi:[1,0]
	v_pk_mul_f32 v[44:45], v[50:51], v[88:89] op_sel_hi:[1,0]
	s_waitcnt lgkmcnt(2)
	v_pk_mul_f32 v[84:85], v[52:53], v[90:91] op_sel_hi:[1,0]
	v_pk_mul_f32 v[86:87], v[54:55], v[92:93] op_sel_hi:[1,0]
	v_add_f32_e32 v93, 0, v93
	v_add_f32_e32 v92, 0, v39
	s_waitcnt lgkmcnt(1)
	v_pk_mul_f32 v[88:89], v[56:57], v[94:95] op_sel_hi:[1,0]
	s_waitcnt vmcnt(9)
	v_pk_fma_f32 v[94:95], v[46:47], v[60:61], v[40:41] op_sel:[0,0,1] op_sel_hi:[1,1,0] neg_lo:[0,0,1] neg_hi:[0,0,1]
	v_pk_fma_f32 v[40:41], v[46:47], v[60:61], v[40:41] op_sel:[0,0,1] op_sel_hi:[1,0,0]
	s_waitcnt vmcnt(8)
	v_pk_fma_f32 v[46:47], v[48:49], v[62:63], v[42:43] op_sel:[0,0,1] op_sel_hi:[1,1,0] neg_lo:[0,0,1] neg_hi:[0,0,1]
	v_pk_fma_f32 v[42:43], v[48:49], v[62:63], v[42:43] op_sel:[0,0,1] op_sel_hi:[1,0,0]
	s_waitcnt vmcnt(7)
	v_pk_fma_f32 v[48:49], v[50:51], v[64:65], v[44:45] op_sel:[0,0,1] op_sel_hi:[1,1,0] neg_lo:[0,0,1] neg_hi:[0,0,1]
	v_pk_fma_f32 v[44:45], v[50:51], v[64:65], v[44:45] op_sel:[0,0,1] op_sel_hi:[1,0,0]
	s_waitcnt vmcnt(6)
	v_pk_fma_f32 v[50:51], v[52:53], v[66:67], v[84:85] op_sel:[0,0,1] op_sel_hi:[1,1,0] neg_lo:[0,0,1] neg_hi:[0,0,1]
	v_pk_fma_f32 v[52:53], v[52:53], v[66:67], v[84:85] op_sel:[0,0,1] op_sel_hi:[1,0,0]
	v_pk_add_f32 v[66:67], v[92:93], v[80:81]
	v_mov_b32_e32 v95, v41
	v_pk_add_f32 v[40:41], v[66:67], v[82:83]
	v_mov_b32_e32 v47, v43
	;; [unrolled: 2-line block ×4, first 2 shown]
	s_waitcnt vmcnt(2)
	v_pk_fma_f32 v[60:61], v[54:55], v[68:69], v[86:87] op_sel:[0,0,1] op_sel_hi:[1,1,0] neg_lo:[0,0,1] neg_hi:[0,0,1]
	v_pk_fma_f32 v[54:55], v[54:55], v[68:69], v[86:87] op_sel:[0,0,1] op_sel_hi:[1,0,0]
	v_mov_b32_e32 v51, v53
	v_pk_add_f32 v[40:41], v[40:41], v[48:49]
	v_mov_b32_e32 v98, v75
	v_pk_mul_f32 v[90:91], v[58:59], v[96:97] op_sel_hi:[1,0]
	v_pk_fma_f32 v[62:63], v[56:57], v[70:71], v[88:89] op_sel:[0,0,1] op_sel_hi:[1,1,0] neg_lo:[0,0,1] neg_hi:[0,0,1]
	v_pk_fma_f32 v[56:57], v[56:57], v[70:71], v[88:89] op_sel:[0,0,1] op_sel_hi:[1,0,0]
	v_mov_b32_e32 v61, v55
	v_pk_add_f32 v[40:41], v[40:41], v[50:51]
	v_pk_fma_f32 v[64:65], v[58:59], v[72:73], v[90:91] op_sel:[0,0,1] op_sel_hi:[1,1,0] neg_lo:[0,0,1] neg_hi:[0,0,1]
	v_pk_fma_f32 v[58:59], v[58:59], v[72:73], v[90:91] op_sel:[0,0,1] op_sel_hi:[1,0,0]
	v_mov_b32_e32 v63, v57
	v_pk_add_f32 v[40:41], v[40:41], v[60:61]
	s_waitcnt lgkmcnt(0)
	v_pk_mul_f32 v[42:43], v[78:79], v[98:99] op_sel_hi:[1,0]
	v_mov_b32_e32 v65, v59
	v_pk_add_f32 v[40:41], v[40:41], v[62:63]
	v_pk_fma_f32 v[44:45], v[78:79], v[74:75], v[42:43] op_sel:[0,0,1] op_sel_hi:[1,1,0] neg_lo:[0,0,1] neg_hi:[0,0,1]
	v_pk_fma_f32 v[42:43], v[78:79], v[74:75], v[42:43] op_sel:[0,0,1] op_sel_hi:[1,0,0]
	v_pk_add_f32 v[40:41], v[40:41], v[64:65]
	v_mov_b32_e32 v45, v43
	v_pk_add_f32 v[40:41], v[40:41], v[44:45]
	s_waitcnt vmcnt(0)
	v_pk_add_f32 v[40:41], v[76:77], v[40:41] neg_lo:[0,1] neg_hi:[0,1]
	buffer_store_dword v41, off, s[0:3], 0 offset:52
	buffer_store_dword v40, off, s[0:3], 0 offset:48
	s_and_saveexec_b64 s[4:5], vcc
	s_cbranch_execz .LBB81_111
; %bb.110:
	buffer_load_dword v40, off, s[0:3], 0 offset:40
	buffer_load_dword v41, off, s[0:3], 0 offset:44
	s_waitcnt vmcnt(0)
	ds_write_b64 v1, v[40:41]
	buffer_store_dword v38, off, s[0:3], 0 offset:40
	buffer_store_dword v38, off, s[0:3], 0 offset:44
.LBB81_111:
	s_or_b64 exec, exec, s[4:5]
	s_waitcnt lgkmcnt(0)
	; wave barrier
	s_waitcnt lgkmcnt(0)
	buffer_load_dword v82, off, s[0:3], 0 offset:52
	buffer_load_dword v84, off, s[0:3], 0 offset:60
	;; [unrolled: 1-line block ×26, first 2 shown]
	ds_read_b128 v[40:43], v38 offset:192
	ds_read_b128 v[44:47], v38 offset:208
	;; [unrolled: 1-line block ×6, first 2 shown]
	v_cmp_lt_u32_e32 vcc, 4, v0
	s_waitcnt vmcnt(25) lgkmcnt(5)
	v_mul_f32_e32 v95, v40, v82
	v_mul_f32_e32 v38, v41, v82
	s_waitcnt vmcnt(24)
	v_mul_f32_e32 v96, v42, v84
	s_waitcnt vmcnt(23) lgkmcnt(4)
	v_mul_f32_e32 v39, v44, v85
	s_waitcnt vmcnt(22)
	v_mul_f32_e32 v83, v46, v86
	v_mul_f32_e32 v82, v43, v84
	;; [unrolled: 1-line block ×4, first 2 shown]
	s_waitcnt vmcnt(21)
	v_mov_b32_e32 v84, v65
	s_waitcnt vmcnt(20)
	v_mov_b32_e32 v86, v67
	;; [unrolled: 2-line block ×3, first 2 shown]
	s_waitcnt vmcnt(15)
	v_fmac_f32_e32 v95, v41, v87
	v_fma_f32 v98, v40, v87, -v38
	v_mov_b32_e32 v88, v69
	s_waitcnt vmcnt(14)
	v_fmac_f32_e32 v96, v43, v89
	s_waitcnt vmcnt(13)
	v_fmac_f32_e32 v39, v45, v91
	;; [unrolled: 2-line block ×3, first 2 shown]
	v_fma_f32 v99, v42, v89, -v82
	v_fma_f32 v38, v44, v91, -v85
	v_fma_f32 v82, v46, v93, -v97
	s_waitcnt lgkmcnt(3)
	v_pk_mul_f32 v[40:41], v[48:49], v[84:85] op_sel_hi:[1,0]
	v_pk_mul_f32 v[42:43], v[50:51], v[86:87] op_sel_hi:[1,0]
	s_waitcnt lgkmcnt(2)
	v_pk_mul_f32 v[46:47], v[54:55], v[90:91] op_sel_hi:[1,0]
	v_add_f32_e32 v90, 0, v95
	v_add_f32_e32 v91, 0, v98
	v_pk_mul_f32 v[44:45], v[52:53], v[88:89] op_sel_hi:[1,0]
	s_waitcnt vmcnt(11)
	v_pk_fma_f32 v[88:89], v[48:49], v[64:65], v[40:41] op_sel:[0,0,1] op_sel_hi:[1,1,0] neg_lo:[0,0,1] neg_hi:[0,0,1]
	v_pk_fma_f32 v[40:41], v[48:49], v[64:65], v[40:41] op_sel:[0,0,1] op_sel_hi:[1,0,0]
	s_waitcnt vmcnt(10)
	v_pk_fma_f32 v[48:49], v[50:51], v[66:67], v[42:43] op_sel:[0,0,1] op_sel_hi:[1,1,0] neg_lo:[0,0,1] neg_hi:[0,0,1]
	v_pk_fma_f32 v[42:43], v[50:51], v[66:67], v[42:43] op_sel:[0,0,1] op_sel_hi:[1,0,0]
	v_add_f32_e32 v67, v90, v96
	v_add_f32_e32 v66, v91, v99
	v_pk_add_f32 v[38:39], v[66:67], v[38:39]
	v_mov_b32_e32 v89, v41
	v_pk_add_f32 v[38:39], v[38:39], v[82:83]
	v_mov_b32_e32 v92, v73
	s_waitcnt vmcnt(9)
	v_pk_fma_f32 v[50:51], v[52:53], v[68:69], v[44:45] op_sel:[0,0,1] op_sel_hi:[1,1,0] neg_lo:[0,0,1] neg_hi:[0,0,1]
	v_pk_fma_f32 v[44:45], v[52:53], v[68:69], v[44:45] op_sel:[0,0,1] op_sel_hi:[1,0,0]
	v_mov_b32_e32 v49, v43
	v_pk_add_f32 v[38:39], v[38:39], v[88:89]
	v_mov_b32_e32 v94, v75
	s_waitcnt lgkmcnt(1)
	v_pk_mul_f32 v[84:85], v[56:57], v[92:93] op_sel_hi:[1,0]
	s_waitcnt vmcnt(8)
	v_pk_fma_f32 v[52:53], v[54:55], v[70:71], v[46:47] op_sel:[0,0,1] op_sel_hi:[1,1,0] neg_lo:[0,0,1] neg_hi:[0,0,1]
	v_pk_fma_f32 v[46:47], v[54:55], v[70:71], v[46:47] op_sel:[0,0,1] op_sel_hi:[1,0,0]
	v_mov_b32_e32 v51, v45
	v_pk_add_f32 v[38:39], v[38:39], v[48:49]
	s_waitcnt vmcnt(5)
	v_mov_b32_e32 v40, v77
	v_pk_mul_f32 v[86:87], v[58:59], v[94:95] op_sel_hi:[1,0]
	v_pk_fma_f32 v[54:55], v[56:57], v[72:73], v[84:85] op_sel:[0,0,1] op_sel_hi:[1,1,0] neg_lo:[0,0,1] neg_hi:[0,0,1]
	v_pk_fma_f32 v[56:57], v[56:57], v[72:73], v[84:85] op_sel:[0,0,1] op_sel_hi:[1,0,0]
	v_mov_b32_e32 v53, v47
	v_pk_add_f32 v[38:39], v[38:39], v[50:51]
	s_waitcnt lgkmcnt(0)
	v_pk_mul_f32 v[40:41], v[60:61], v[40:41] op_sel_hi:[1,0]
	v_pk_fma_f32 v[64:65], v[58:59], v[74:75], v[86:87] op_sel:[0,0,1] op_sel_hi:[1,1,0] neg_lo:[0,0,1] neg_hi:[0,0,1]
	v_pk_fma_f32 v[58:59], v[58:59], v[74:75], v[86:87] op_sel:[0,0,1] op_sel_hi:[1,0,0]
	v_mov_b32_e32 v55, v57
	v_pk_add_f32 v[38:39], v[38:39], v[52:53]
	s_waitcnt vmcnt(4)
	v_pk_fma_f32 v[42:43], v[60:61], v[76:77], v[40:41] op_sel:[0,0,1] op_sel_hi:[1,1,0] neg_lo:[0,0,1] neg_hi:[0,0,1]
	v_pk_fma_f32 v[40:41], v[60:61], v[76:77], v[40:41] op_sel:[0,0,1] op_sel_hi:[1,0,0]
	v_mov_b32_e32 v65, v59
	v_pk_add_f32 v[38:39], v[38:39], v[54:55]
	s_waitcnt vmcnt(3)
	v_mov_b32_e32 v40, v79
	v_pk_add_f32 v[38:39], v[38:39], v[64:65]
	v_mov_b32_e32 v43, v41
	v_pk_mul_f32 v[40:41], v[62:63], v[40:41] op_sel_hi:[1,0]
	v_pk_add_f32 v[38:39], v[38:39], v[42:43]
	s_waitcnt vmcnt(2)
	v_pk_fma_f32 v[42:43], v[62:63], v[78:79], v[40:41] op_sel:[0,0,1] op_sel_hi:[1,1,0] neg_lo:[0,0,1] neg_hi:[0,0,1]
	v_pk_fma_f32 v[40:41], v[62:63], v[78:79], v[40:41] op_sel:[0,0,1] op_sel_hi:[1,0,0]
	v_mov_b32_e32 v43, v41
	v_pk_add_f32 v[38:39], v[38:39], v[42:43]
	s_waitcnt vmcnt(0)
	v_pk_add_f32 v[38:39], v[80:81], v[38:39] neg_lo:[0,1] neg_hi:[0,1]
	buffer_store_dword v39, off, s[0:3], 0 offset:44
	buffer_store_dword v38, off, s[0:3], 0 offset:40
	s_and_saveexec_b64 s[4:5], vcc
	s_cbranch_execz .LBB81_113
; %bb.112:
	buffer_load_dword v38, off, s[0:3], 0 offset:32
	buffer_load_dword v39, off, s[0:3], 0 offset:36
	v_mov_b32_e32 v40, 0
	buffer_store_dword v40, off, s[0:3], 0 offset:32
	buffer_store_dword v40, off, s[0:3], 0 offset:36
	s_waitcnt vmcnt(2)
	ds_write_b64 v1, v[38:39]
.LBB81_113:
	s_or_b64 exec, exec, s[4:5]
	s_waitcnt lgkmcnt(0)
	; wave barrier
	s_waitcnt lgkmcnt(0)
	buffer_load_dword v39, off, s[0:3], 0 offset:44
	buffer_load_dword v84, off, s[0:3], 0 offset:52
	buffer_load_dword v86, off, s[0:3], 0 offset:60
	buffer_load_dword v88, off, s[0:3], 0 offset:68
	buffer_load_dword v89, off, s[0:3], 0 offset:76
	buffer_load_dword v65, off, s[0:3], 0 offset:84
	buffer_load_dword v67, off, s[0:3], 0 offset:92
	buffer_load_dword v69, off, s[0:3], 0 offset:100
	buffer_load_dword v71, off, s[0:3], 0 offset:108
	buffer_load_dword v73, off, s[0:3], 0 offset:116
	buffer_load_dword v91, off, s[0:3], 0 offset:40
	buffer_load_dword v93, off, s[0:3], 0 offset:48
	buffer_load_dword v95, off, s[0:3], 0 offset:56
	buffer_load_dword v97, off, s[0:3], 0 offset:64
	buffer_load_dword v98, off, s[0:3], 0 offset:72
	buffer_load_dword v64, off, s[0:3], 0 offset:80
	buffer_load_dword v66, off, s[0:3], 0 offset:88
	buffer_load_dword v74, off, s[0:3], 0 offset:120
	buffer_load_dword v72, off, s[0:3], 0 offset:112
	buffer_load_dword v70, off, s[0:3], 0 offset:104
	buffer_load_dword v68, off, s[0:3], 0 offset:96
	buffer_load_dword v75, off, s[0:3], 0 offset:124
	buffer_load_dword v77, off, s[0:3], 0 offset:132
	buffer_load_dword v78, off, s[0:3], 0 offset:136
	buffer_load_dword v76, off, s[0:3], 0 offset:128
	buffer_load_dword v79, off, s[0:3], 0 offset:140
	buffer_load_dword v80, off, s[0:3], 0 offset:32
	buffer_load_dword v81, off, s[0:3], 0 offset:36
	v_mov_b32_e32 v38, 0
	ds_read2_b64 v[40:43], v38 offset0:23 offset1:24
	ds_read2_b64 v[44:47], v38 offset0:25 offset1:26
	ds_read2_b64 v[48:51], v38 offset0:27 offset1:28
	ds_read2_b64 v[52:55], v38 offset0:29 offset1:30
	ds_read2_b64 v[56:59], v38 offset0:31 offset1:32
	ds_read2_b64 v[60:63], v38 offset0:33 offset1:34
	ds_read_b64 v[82:83], v38 offset:280
	v_cmp_lt_u32_e32 vcc, 3, v0
	s_waitcnt vmcnt(27) lgkmcnt(6)
	v_mul_f32_e32 v99, v40, v39
	v_mul_f32_e32 v39, v41, v39
	s_waitcnt vmcnt(26)
	v_mul_f32_e32 v100, v42, v84
	s_waitcnt vmcnt(24) lgkmcnt(5)
	v_mul_f32_e32 v85, v46, v88
	s_waitcnt vmcnt(23) lgkmcnt(4)
	v_mul_f32_e32 v87, v48, v89
	v_mul_f32_e32 v102, v47, v88
	;; [unrolled: 1-line block ×3, first 2 shown]
	s_waitcnt vmcnt(22)
	v_mov_b32_e32 v88, v65
	v_mul_f32_e32 v101, v44, v86
	v_mul_f32_e32 v84, v43, v84
	;; [unrolled: 1-line block ×3, first 2 shown]
	s_waitcnt vmcnt(17)
	v_fmac_f32_e32 v99, v41, v91
	v_fma_f32 v39, v40, v91, -v39
	v_pk_mul_f32 v[40:41], v[50:51], v[88:89] op_sel_hi:[1,0]
	s_waitcnt vmcnt(16)
	v_fmac_f32_e32 v100, v43, v93
	s_waitcnt vmcnt(13)
	v_fmac_f32_e32 v87, v49, v98
	v_fma_f32 v91, v42, v93, -v84
	v_fma_f32 v93, v44, v95, -v86
	v_fma_f32 v86, v48, v98, -v89
	v_add_f32_e32 v88, 0, v99
	v_add_f32_e32 v39, 0, v39
	s_waitcnt vmcnt(12)
	v_pk_fma_f32 v[48:49], v[50:51], v[64:65], v[40:41] op_sel:[0,0,1] op_sel_hi:[1,1,0] neg_lo:[0,0,1] neg_hi:[0,0,1]
	v_pk_fma_f32 v[40:41], v[50:51], v[64:65], v[40:41] op_sel:[0,0,1] op_sel_hi:[1,0,0]
	v_fmac_f32_e32 v101, v45, v95
	v_add_f32_e32 v40, v88, v100
	v_add_f32_e32 v39, v39, v91
	v_mov_b32_e32 v90, v67
	v_fmac_f32_e32 v85, v47, v97
	v_fma_f32 v84, v46, v97, -v102
	v_mov_b32_e32 v49, v41
	v_add_f32_e32 v41, v40, v101
	v_add_f32_e32 v40, v39, v93
	v_mov_b32_e32 v92, v69
	s_waitcnt lgkmcnt(3)
	v_pk_mul_f32 v[42:43], v[52:53], v[90:91] op_sel_hi:[1,0]
	v_pk_add_f32 v[40:41], v[40:41], v[84:85]
	v_mov_b32_e32 v94, v71
	v_mov_b32_e32 v96, v73
	v_pk_mul_f32 v[44:45], v[54:55], v[92:93] op_sel_hi:[1,0]
	s_waitcnt vmcnt(11)
	v_pk_fma_f32 v[50:51], v[52:53], v[66:67], v[42:43] op_sel:[0,0,1] op_sel_hi:[1,1,0] neg_lo:[0,0,1] neg_hi:[0,0,1]
	v_pk_fma_f32 v[42:43], v[52:53], v[66:67], v[42:43] op_sel:[0,0,1] op_sel_hi:[1,0,0]
	v_pk_add_f32 v[40:41], v[40:41], v[86:87]
	s_waitcnt lgkmcnt(2)
	v_pk_mul_f32 v[46:47], v[56:57], v[94:95] op_sel_hi:[1,0]
	s_waitcnt vmcnt(7)
	v_pk_fma_f32 v[52:53], v[54:55], v[68:69], v[44:45] op_sel:[0,0,1] op_sel_hi:[1,1,0] neg_lo:[0,0,1] neg_hi:[0,0,1]
	v_pk_fma_f32 v[44:45], v[54:55], v[68:69], v[44:45] op_sel:[0,0,1] op_sel_hi:[1,0,0]
	v_mov_b32_e32 v51, v43
	v_pk_add_f32 v[40:41], v[40:41], v[48:49]
	v_pk_mul_f32 v[42:43], v[58:59], v[96:97] op_sel_hi:[1,0]
	v_pk_fma_f32 v[54:55], v[56:57], v[70:71], v[46:47] op_sel:[0,0,1] op_sel_hi:[1,1,0] neg_lo:[0,0,1] neg_hi:[0,0,1]
	v_pk_fma_f32 v[46:47], v[56:57], v[70:71], v[46:47] op_sel:[0,0,1] op_sel_hi:[1,0,0]
	v_mov_b32_e32 v53, v45
	v_pk_add_f32 v[40:41], v[40:41], v[50:51]
	v_pk_fma_f32 v[44:45], v[58:59], v[72:73], v[42:43] op_sel:[0,0,1] op_sel_hi:[1,1,0] neg_lo:[0,0,1] neg_hi:[0,0,1]
	v_pk_fma_f32 v[42:43], v[58:59], v[72:73], v[42:43] op_sel:[0,0,1] op_sel_hi:[1,0,0]
	v_mov_b32_e32 v55, v47
	v_pk_add_f32 v[40:41], v[40:41], v[52:53]
	s_waitcnt vmcnt(6)
	v_mov_b32_e32 v42, v75
	v_pk_add_f32 v[40:41], v[40:41], v[54:55]
	v_mov_b32_e32 v45, v43
	s_waitcnt lgkmcnt(1)
	v_pk_mul_f32 v[42:43], v[60:61], v[42:43] op_sel_hi:[1,0]
	v_pk_add_f32 v[40:41], v[40:41], v[44:45]
	v_pk_fma_f32 v[44:45], v[60:61], v[74:75], v[42:43] op_sel:[0,0,1] op_sel_hi:[1,1,0] neg_lo:[0,0,1] neg_hi:[0,0,1]
	v_pk_fma_f32 v[42:43], v[60:61], v[74:75], v[42:43] op_sel:[0,0,1] op_sel_hi:[1,0,0]
	s_waitcnt vmcnt(5)
	v_mov_b32_e32 v42, v77
	v_mov_b32_e32 v45, v43
	v_pk_mul_f32 v[42:43], v[62:63], v[42:43] op_sel_hi:[1,0]
	v_pk_add_f32 v[40:41], v[40:41], v[44:45]
	s_waitcnt vmcnt(3)
	v_pk_fma_f32 v[44:45], v[62:63], v[76:77], v[42:43] op_sel:[0,0,1] op_sel_hi:[1,1,0] neg_lo:[0,0,1] neg_hi:[0,0,1]
	v_pk_fma_f32 v[42:43], v[62:63], v[76:77], v[42:43] op_sel:[0,0,1] op_sel_hi:[1,0,0]
	s_waitcnt vmcnt(2)
	v_mov_b32_e32 v42, v79
	v_mov_b32_e32 v45, v43
	s_waitcnt lgkmcnt(0)
	v_pk_mul_f32 v[42:43], v[82:83], v[42:43] op_sel_hi:[1,0]
	v_pk_add_f32 v[40:41], v[40:41], v[44:45]
	v_pk_fma_f32 v[44:45], v[82:83], v[78:79], v[42:43] op_sel:[0,0,1] op_sel_hi:[1,1,0] neg_lo:[0,0,1] neg_hi:[0,0,1]
	v_pk_fma_f32 v[42:43], v[82:83], v[78:79], v[42:43] op_sel:[0,0,1] op_sel_hi:[1,0,0]
	v_mov_b32_e32 v45, v43
	v_pk_add_f32 v[40:41], v[40:41], v[44:45]
	s_waitcnt vmcnt(0)
	v_pk_add_f32 v[40:41], v[80:81], v[40:41] neg_lo:[0,1] neg_hi:[0,1]
	buffer_store_dword v41, off, s[0:3], 0 offset:36
	buffer_store_dword v40, off, s[0:3], 0 offset:32
	s_and_saveexec_b64 s[4:5], vcc
	s_cbranch_execz .LBB81_115
; %bb.114:
	buffer_load_dword v40, off, s[0:3], 0 offset:24
	buffer_load_dword v41, off, s[0:3], 0 offset:28
	s_waitcnt vmcnt(0)
	ds_write_b64 v1, v[40:41]
	buffer_store_dword v38, off, s[0:3], 0 offset:24
	buffer_store_dword v38, off, s[0:3], 0 offset:28
.LBB81_115:
	s_or_b64 exec, exec, s[4:5]
	s_waitcnt lgkmcnt(0)
	; wave barrier
	s_waitcnt lgkmcnt(0)
	buffer_load_dword v86, off, s[0:3], 0 offset:36
	buffer_load_dword v88, off, s[0:3], 0 offset:44
	;; [unrolled: 1-line block ×30, first 2 shown]
	ds_read_b128 v[40:43], v38 offset:176
	ds_read_b128 v[44:47], v38 offset:192
	;; [unrolled: 1-line block ×7, first 2 shown]
	v_cmp_lt_u32_e32 vcc, 2, v0
	s_waitcnt vmcnt(29) lgkmcnt(6)
	v_mul_f32_e32 v99, v40, v86
	s_waitcnt vmcnt(28)
	v_mul_f32_e32 v100, v42, v88
	s_waitcnt vmcnt(27) lgkmcnt(5)
	v_mul_f32_e32 v101, v44, v89
	v_mul_f32_e32 v89, v45, v89
	s_waitcnt vmcnt(26)
	v_mul_f32_e32 v102, v46, v90
	s_waitcnt vmcnt(25) lgkmcnt(4)
	v_mul_f32_e32 v39, v48, v91
	v_mul_f32_e32 v38, v41, v86
	;; [unrolled: 1-line block ×5, first 2 shown]
	s_waitcnt vmcnt(23)
	v_mov_b32_e32 v88, v69
	s_waitcnt vmcnt(22)
	v_mov_b32_e32 v90, v71
	s_waitcnt vmcnt(18)
	v_fma_f32 v89, v44, v95, -v89
	v_fmac_f32_e32 v99, v41, v93
	v_fmac_f32_e32 v100, v43, v94
	s_waitcnt vmcnt(17)
	v_fmac_f32_e32 v102, v47, v96
	v_fma_f32 v47, v40, v93, -v38
	v_fma_f32 v93, v42, v94, -v86
	s_waitcnt lgkmcnt(3)
	v_pk_mul_f32 v[40:41], v[52:53], v[88:89] op_sel_hi:[1,0]
	v_pk_mul_f32 v[42:43], v[54:55], v[90:91] op_sel_hi:[1,0]
	s_waitcnt vmcnt(16)
	v_fmac_f32_e32 v39, v49, v97
	v_fma_f32 v94, v46, v96, -v103
	v_fma_f32 v38, v48, v97, -v91
	v_add_f32_e32 v88, 0, v99
	v_add_f32_e32 v90, 0, v47
	s_waitcnt vmcnt(14)
	v_pk_fma_f32 v[46:47], v[52:53], v[68:69], v[40:41] op_sel:[0,0,1] op_sel_hi:[1,1,0] neg_lo:[0,0,1] neg_hi:[0,0,1]
	v_pk_fma_f32 v[40:41], v[52:53], v[68:69], v[40:41] op_sel:[0,0,1] op_sel_hi:[1,0,0]
	s_waitcnt vmcnt(10)
	v_pk_fma_f32 v[48:49], v[54:55], v[70:71], v[42:43] op_sel:[0,0,1] op_sel_hi:[1,1,0] neg_lo:[0,0,1] neg_hi:[0,0,1]
	v_pk_fma_f32 v[42:43], v[54:55], v[70:71], v[42:43] op_sel:[0,0,1] op_sel_hi:[1,0,0]
	v_fmac_f32_e32 v101, v45, v95
	v_add_f32_e32 v40, v88, v100
	v_add_f32_e32 v42, v90, v93
	v_add_f32_e32 v40, v40, v101
	v_add_f32_e32 v42, v42, v89
	v_mul_f32_e32 v87, v50, v92
	v_mul_f32_e32 v104, v51, v92
	v_mov_b32_e32 v47, v41
	v_add_f32_e32 v41, v40, v102
	v_add_f32_e32 v40, v42, v94
	v_mov_b32_e32 v92, v73
	v_fmac_f32_e32 v87, v51, v98
	v_fma_f32 v86, v50, v98, -v104
	v_pk_add_f32 v[38:39], v[40:41], v[38:39]
	s_waitcnt vmcnt(9)
	v_mov_b32_e32 v40, v77
	s_waitcnt lgkmcnt(2)
	v_pk_mul_f32 v[44:45], v[56:57], v[92:93] op_sel_hi:[1,0]
	v_pk_add_f32 v[38:39], v[38:39], v[86:87]
	v_pk_mul_f32 v[40:41], v[58:59], v[40:41] op_sel_hi:[1,0]
	v_pk_fma_f32 v[50:51], v[56:57], v[72:73], v[44:45] op_sel:[0,0,1] op_sel_hi:[1,1,0] neg_lo:[0,0,1] neg_hi:[0,0,1]
	v_pk_fma_f32 v[44:45], v[56:57], v[72:73], v[44:45] op_sel:[0,0,1] op_sel_hi:[1,0,0]
	v_mov_b32_e32 v49, v43
	v_pk_add_f32 v[38:39], v[38:39], v[46:47]
	v_pk_fma_f32 v[42:43], v[58:59], v[76:77], v[40:41] op_sel:[0,0,1] op_sel_hi:[1,1,0] neg_lo:[0,0,1] neg_hi:[0,0,1]
	v_pk_fma_f32 v[40:41], v[58:59], v[76:77], v[40:41] op_sel:[0,0,1] op_sel_hi:[1,0,0]
	v_mov_b32_e32 v51, v45
	v_pk_add_f32 v[38:39], v[38:39], v[48:49]
	s_waitcnt vmcnt(8)
	v_mov_b32_e32 v40, v75
	v_pk_add_f32 v[38:39], v[38:39], v[50:51]
	v_mov_b32_e32 v43, v41
	s_waitcnt lgkmcnt(1)
	v_pk_mul_f32 v[40:41], v[60:61], v[40:41] op_sel_hi:[1,0]
	v_pk_add_f32 v[38:39], v[38:39], v[42:43]
	v_pk_fma_f32 v[42:43], v[60:61], v[74:75], v[40:41] op_sel:[0,0,1] op_sel_hi:[1,1,0] neg_lo:[0,0,1] neg_hi:[0,0,1]
	v_pk_fma_f32 v[40:41], v[60:61], v[74:75], v[40:41] op_sel:[0,0,1] op_sel_hi:[1,0,0]
	s_waitcnt vmcnt(7)
	v_mov_b32_e32 v40, v79
	v_mov_b32_e32 v43, v41
	v_pk_mul_f32 v[40:41], v[62:63], v[40:41] op_sel_hi:[1,0]
	v_pk_add_f32 v[38:39], v[38:39], v[42:43]
	s_waitcnt vmcnt(4)
	v_pk_fma_f32 v[42:43], v[62:63], v[78:79], v[40:41] op_sel:[0,0,1] op_sel_hi:[1,1,0] neg_lo:[0,0,1] neg_hi:[0,0,1]
	v_pk_fma_f32 v[40:41], v[62:63], v[78:79], v[40:41] op_sel:[0,0,1] op_sel_hi:[1,0,0]
	s_waitcnt vmcnt(3)
	v_mov_b32_e32 v40, v83
	v_mov_b32_e32 v43, v41
	s_waitcnt lgkmcnt(0)
	v_pk_mul_f32 v[40:41], v[64:65], v[40:41] op_sel_hi:[1,0]
	v_pk_add_f32 v[38:39], v[38:39], v[42:43]
	v_pk_fma_f32 v[42:43], v[64:65], v[82:83], v[40:41] op_sel:[0,0,1] op_sel_hi:[1,1,0] neg_lo:[0,0,1] neg_hi:[0,0,1]
	v_pk_fma_f32 v[40:41], v[64:65], v[82:83], v[40:41] op_sel:[0,0,1] op_sel_hi:[1,0,0]
	s_waitcnt vmcnt(0)
	v_mov_b32_e32 v40, v81
	v_mov_b32_e32 v43, v41
	v_pk_mul_f32 v[40:41], v[66:67], v[40:41] op_sel_hi:[1,0]
	v_pk_add_f32 v[38:39], v[38:39], v[42:43]
	v_pk_fma_f32 v[42:43], v[66:67], v[80:81], v[40:41] op_sel:[0,0,1] op_sel_hi:[1,1,0] neg_lo:[0,0,1] neg_hi:[0,0,1]
	v_pk_fma_f32 v[40:41], v[66:67], v[80:81], v[40:41] op_sel:[0,0,1] op_sel_hi:[1,0,0]
	v_mov_b32_e32 v43, v41
	v_pk_add_f32 v[38:39], v[38:39], v[42:43]
	v_pk_add_f32 v[38:39], v[84:85], v[38:39] neg_lo:[0,1] neg_hi:[0,1]
	buffer_store_dword v39, off, s[0:3], 0 offset:28
	buffer_store_dword v38, off, s[0:3], 0 offset:24
	s_and_saveexec_b64 s[4:5], vcc
	s_cbranch_execz .LBB81_117
; %bb.116:
	buffer_load_dword v38, off, s[0:3], 0 offset:16
	buffer_load_dword v39, off, s[0:3], 0 offset:20
	v_mov_b32_e32 v40, 0
	buffer_store_dword v40, off, s[0:3], 0 offset:16
	buffer_store_dword v40, off, s[0:3], 0 offset:20
	s_waitcnt vmcnt(2)
	ds_write_b64 v1, v[38:39]
.LBB81_117:
	s_or_b64 exec, exec, s[4:5]
	s_waitcnt lgkmcnt(0)
	; wave barrier
	s_waitcnt lgkmcnt(0)
	buffer_load_dword v39, off, s[0:3], 0 offset:28
	buffer_load_dword v88, off, s[0:3], 0 offset:36
	buffer_load_dword v90, off, s[0:3], 0 offset:44
	buffer_load_dword v92, off, s[0:3], 0 offset:52
	buffer_load_dword v93, off, s[0:3], 0 offset:60
	buffer_load_dword v94, off, s[0:3], 0 offset:68
	buffer_load_dword v95, off, s[0:3], 0 offset:76
	buffer_load_dword v69, off, s[0:3], 0 offset:84
	buffer_load_dword v71, off, s[0:3], 0 offset:92
	buffer_load_dword v96, off, s[0:3], 0 offset:24
	buffer_load_dword v97, off, s[0:3], 0 offset:32
	buffer_load_dword v98, off, s[0:3], 0 offset:40
	buffer_load_dword v99, off, s[0:3], 0 offset:48
	buffer_load_dword v100, off, s[0:3], 0 offset:56
	buffer_load_dword v101, off, s[0:3], 0 offset:64
	buffer_load_dword v102, off, s[0:3], 0 offset:72
	buffer_load_dword v72, off, s[0:3], 0 offset:104
	buffer_load_dword v74, off, s[0:3], 0 offset:96
	buffer_load_dword v70, off, s[0:3], 0 offset:88
	buffer_load_dword v68, off, s[0:3], 0 offset:80
	buffer_load_dword v75, off, s[0:3], 0 offset:100
	buffer_load_dword v73, off, s[0:3], 0 offset:108
	buffer_load_dword v77, off, s[0:3], 0 offset:116
	buffer_load_dword v78, off, s[0:3], 0 offset:136
	buffer_load_dword v80, off, s[0:3], 0 offset:128
	buffer_load_dword v83, off, s[0:3], 0 offset:124
	buffer_load_dword v82, off, s[0:3], 0 offset:120
	buffer_load_dword v76, off, s[0:3], 0 offset:112
	buffer_load_dword v81, off, s[0:3], 0 offset:132
	buffer_load_dword v84, off, s[0:3], 0 offset:16
	buffer_load_dword v85, off, s[0:3], 0 offset:20
	buffer_load_dword v79, off, s[0:3], 0 offset:140
	v_mov_b32_e32 v38, 0
	ds_read2_b64 v[40:43], v38 offset0:21 offset1:22
	ds_read2_b64 v[44:47], v38 offset0:23 offset1:24
	;; [unrolled: 1-line block ×7, first 2 shown]
	ds_read_b64 v[86:87], v38 offset:280
	v_cmp_lt_u32_e32 vcc, 1, v0
	s_waitcnt vmcnt(31) lgkmcnt(7)
	v_mul_f32_e32 v103, v40, v39
	v_mul_f32_e32 v39, v41, v39
	s_waitcnt vmcnt(30)
	v_mul_f32_e32 v104, v42, v88
	s_waitcnt vmcnt(28) lgkmcnt(6)
	v_mul_f32_e32 v106, v46, v92
	s_waitcnt vmcnt(27) lgkmcnt(5)
	v_mul_f32_e32 v107, v48, v93
	v_mul_f32_e32 v108, v47, v92
	;; [unrolled: 1-line block ×3, first 2 shown]
	s_waitcnt vmcnt(24)
	v_mov_b32_e32 v92, v69
	v_mul_f32_e32 v105, v44, v90
	v_mul_f32_e32 v88, v43, v88
	s_waitcnt vmcnt(22)
	v_fmac_f32_e32 v103, v41, v96
	v_fma_f32 v39, v40, v96, -v39
	s_waitcnt lgkmcnt(4)
	v_pk_mul_f32 v[40:41], v[54:55], v[92:93] op_sel_hi:[1,0]
	v_mul_f32_e32 v90, v45, v90
	s_waitcnt vmcnt(21)
	v_fmac_f32_e32 v104, v43, v97
	s_waitcnt vmcnt(20)
	v_fmac_f32_e32 v105, v45, v98
	;; [unrolled: 2-line block ×3, first 2 shown]
	v_fma_f32 v45, v42, v97, -v88
	s_waitcnt vmcnt(18)
	v_fma_f32 v47, v48, v100, -v93
	v_add_f32_e32 v48, 0, v103
	v_add_f32_e32 v39, 0, v39
	s_waitcnt vmcnt(12)
	v_pk_fma_f32 v[42:43], v[54:55], v[68:69], v[40:41] op_sel:[0,0,1] op_sel_hi:[1,1,0] neg_lo:[0,0,1] neg_hi:[0,0,1]
	v_pk_fma_f32 v[40:41], v[54:55], v[68:69], v[40:41] op_sel:[0,0,1] op_sel_hi:[1,0,0]
	v_fma_f32 v44, v44, v98, -v90
	v_add_f32_e32 v40, v48, v104
	v_add_f32_e32 v39, v39, v45
	v_fma_f32 v46, v46, v99, -v108
	v_add_f32_e32 v40, v40, v105
	v_add_f32_e32 v39, v39, v44
	v_mul_f32_e32 v89, v50, v94
	v_mul_f32_e32 v109, v51, v94
	v_fmac_f32_e32 v107, v49, v100
	v_add_f32_e32 v40, v40, v106
	v_add_f32_e32 v39, v39, v46
	v_mul_f32_e32 v91, v52, v95
	v_mul_f32_e32 v95, v53, v95
	v_fmac_f32_e32 v89, v51, v101
	v_fma_f32 v88, v50, v101, -v109
	v_mov_b32_e32 v43, v41
	v_add_f32_e32 v41, v40, v107
	v_add_f32_e32 v40, v39, v47
	v_fmac_f32_e32 v91, v53, v102
	v_fma_f32 v90, v52, v102, -v95
	v_pk_add_f32 v[40:41], v[40:41], v[88:89]
	v_mov_b32_e32 v94, v71
	v_pk_add_f32 v[40:41], v[40:41], v[90:91]
	v_pk_add_f32 v[40:41], v[40:41], v[42:43]
	s_waitcnt lgkmcnt(3)
	v_pk_mul_f32 v[42:43], v[56:57], v[94:95] op_sel_hi:[1,0]
	v_pk_fma_f32 v[44:45], v[56:57], v[70:71], v[42:43] op_sel:[0,0,1] op_sel_hi:[1,1,0] neg_lo:[0,0,1] neg_hi:[0,0,1]
	v_pk_fma_f32 v[42:43], v[56:57], v[70:71], v[42:43] op_sel:[0,0,1] op_sel_hi:[1,0,0]
	s_waitcnt vmcnt(11)
	v_mov_b32_e32 v42, v75
	v_mov_b32_e32 v45, v43
	v_pk_mul_f32 v[42:43], v[58:59], v[42:43] op_sel_hi:[1,0]
	v_pk_add_f32 v[40:41], v[40:41], v[44:45]
	v_pk_fma_f32 v[44:45], v[58:59], v[74:75], v[42:43] op_sel:[0,0,1] op_sel_hi:[1,1,0] neg_lo:[0,0,1] neg_hi:[0,0,1]
	v_pk_fma_f32 v[42:43], v[58:59], v[74:75], v[42:43] op_sel:[0,0,1] op_sel_hi:[1,0,0]
	s_waitcnt vmcnt(10)
	v_mov_b32_e32 v42, v73
	v_mov_b32_e32 v45, v43
	s_waitcnt lgkmcnt(2)
	v_pk_mul_f32 v[42:43], v[60:61], v[42:43] op_sel_hi:[1,0]
	v_pk_add_f32 v[40:41], v[40:41], v[44:45]
	v_pk_fma_f32 v[44:45], v[60:61], v[72:73], v[42:43] op_sel:[0,0,1] op_sel_hi:[1,1,0] neg_lo:[0,0,1] neg_hi:[0,0,1]
	v_pk_fma_f32 v[42:43], v[60:61], v[72:73], v[42:43] op_sel:[0,0,1] op_sel_hi:[1,0,0]
	s_waitcnt vmcnt(9)
	v_mov_b32_e32 v42, v77
	v_mov_b32_e32 v45, v43
	v_pk_mul_f32 v[42:43], v[62:63], v[42:43] op_sel_hi:[1,0]
	v_pk_add_f32 v[40:41], v[40:41], v[44:45]
	s_waitcnt vmcnt(4)
	v_pk_fma_f32 v[44:45], v[62:63], v[76:77], v[42:43] op_sel:[0,0,1] op_sel_hi:[1,1,0] neg_lo:[0,0,1] neg_hi:[0,0,1]
	v_pk_fma_f32 v[42:43], v[62:63], v[76:77], v[42:43] op_sel:[0,0,1] op_sel_hi:[1,0,0]
	v_mov_b32_e32 v42, v83
	v_mov_b32_e32 v45, v43
	s_waitcnt lgkmcnt(1)
	v_pk_mul_f32 v[42:43], v[64:65], v[42:43] op_sel_hi:[1,0]
	v_pk_add_f32 v[40:41], v[40:41], v[44:45]
	v_pk_fma_f32 v[44:45], v[64:65], v[82:83], v[42:43] op_sel:[0,0,1] op_sel_hi:[1,1,0] neg_lo:[0,0,1] neg_hi:[0,0,1]
	v_pk_fma_f32 v[42:43], v[64:65], v[82:83], v[42:43] op_sel:[0,0,1] op_sel_hi:[1,0,0]
	s_waitcnt vmcnt(3)
	v_mov_b32_e32 v42, v81
	v_mov_b32_e32 v45, v43
	v_pk_mul_f32 v[42:43], v[66:67], v[42:43] op_sel_hi:[1,0]
	v_pk_add_f32 v[40:41], v[40:41], v[44:45]
	v_pk_fma_f32 v[44:45], v[66:67], v[80:81], v[42:43] op_sel:[0,0,1] op_sel_hi:[1,1,0] neg_lo:[0,0,1] neg_hi:[0,0,1]
	v_pk_fma_f32 v[42:43], v[66:67], v[80:81], v[42:43] op_sel:[0,0,1] op_sel_hi:[1,0,0]
	s_waitcnt vmcnt(0)
	v_mov_b32_e32 v42, v79
	v_mov_b32_e32 v45, v43
	s_waitcnt lgkmcnt(0)
	v_pk_mul_f32 v[42:43], v[86:87], v[42:43] op_sel_hi:[1,0]
	v_pk_add_f32 v[40:41], v[40:41], v[44:45]
	v_pk_fma_f32 v[44:45], v[86:87], v[78:79], v[42:43] op_sel:[0,0,1] op_sel_hi:[1,1,0] neg_lo:[0,0,1] neg_hi:[0,0,1]
	v_pk_fma_f32 v[42:43], v[86:87], v[78:79], v[42:43] op_sel:[0,0,1] op_sel_hi:[1,0,0]
	v_mov_b32_e32 v45, v43
	v_pk_add_f32 v[40:41], v[40:41], v[44:45]
	v_pk_add_f32 v[40:41], v[84:85], v[40:41] neg_lo:[0,1] neg_hi:[0,1]
	buffer_store_dword v41, off, s[0:3], 0 offset:20
	buffer_store_dword v40, off, s[0:3], 0 offset:16
	s_and_saveexec_b64 s[4:5], vcc
	s_cbranch_execz .LBB81_119
; %bb.118:
	buffer_load_dword v40, off, s[0:3], 0 offset:8
	buffer_load_dword v41, off, s[0:3], 0 offset:12
	s_waitcnt vmcnt(0)
	ds_write_b64 v1, v[40:41]
	buffer_store_dword v38, off, s[0:3], 0 offset:8
	buffer_store_dword v38, off, s[0:3], 0 offset:12
.LBB81_119:
	s_or_b64 exec, exec, s[4:5]
	s_waitcnt lgkmcnt(0)
	; wave barrier
	s_waitcnt lgkmcnt(0)
	buffer_load_dword v90, off, s[0:3], 0 offset:20
	buffer_load_dword v92, off, s[0:3], 0 offset:28
	;; [unrolled: 1-line block ×32, first 2 shown]
	ds_read_b128 v[40:43], v38 offset:160
	ds_read_b128 v[44:47], v38 offset:176
	;; [unrolled: 1-line block ×4, first 2 shown]
	buffer_load_dword v89, off, s[0:3], 0 offset:140
	buffer_load_dword v88, off, s[0:3], 0 offset:136
	ds_read_b128 v[56:59], v38 offset:224
	ds_read_b128 v[60:63], v38 offset:240
	;; [unrolled: 1-line block ×4, first 2 shown]
	v_cmp_ne_u32_e32 vcc, 0, v0
	s_waitcnt vmcnt(33) lgkmcnt(7)
	v_mul_f32_e32 v107, v40, v90
	v_mul_f32_e32 v38, v41, v90
	s_waitcnt vmcnt(32)
	v_mul_f32_e32 v108, v42, v92
	s_waitcnt vmcnt(31) lgkmcnt(6)
	v_mul_f32_e32 v109, v44, v93
	v_mul_f32_e32 v90, v43, v92
	;; [unrolled: 1-line block ×3, first 2 shown]
	s_waitcnt vmcnt(30)
	v_mul_f32_e32 v93, v47, v94
	v_mul_f32_e32 v110, v46, v94
	s_waitcnt vmcnt(25)
	v_fmac_f32_e32 v107, v41, v99
	v_fma_f32 v40, v40, v99, -v38
	s_waitcnt vmcnt(24)
	v_fmac_f32_e32 v108, v43, v100
	v_fma_f32 v41, v42, v100, -v90
	s_waitcnt vmcnt(22)
	v_fma_f32 v43, v46, v102, -v93
	v_add_f32_e32 v46, 0, v107
	v_add_f32_e32 v40, 0, v40
	v_fmac_f32_e32 v109, v45, v101
	v_fma_f32 v42, v44, v101, -v92
	v_add_f32_e32 v46, v46, v108
	v_add_f32_e32 v40, v40, v41
	s_waitcnt lgkmcnt(5)
	v_mul_f32_e32 v111, v48, v95
	v_mul_f32_e32 v94, v49, v95
	v_fmac_f32_e32 v110, v47, v102
	v_add_f32_e32 v41, v46, v109
	v_add_f32_e32 v40, v40, v42
	v_mul_f32_e32 v112, v50, v96
	v_mul_f32_e32 v95, v51, v96
	s_waitcnt vmcnt(21)
	v_fmac_f32_e32 v111, v49, v103
	v_fma_f32 v44, v48, v103, -v94
	v_add_f32_e32 v41, v41, v110
	v_add_f32_e32 v40, v40, v43
	s_waitcnt lgkmcnt(4)
	v_mul_f32_e32 v39, v52, v97
	v_mul_f32_e32 v96, v53, v97
	s_waitcnt vmcnt(20)
	v_fmac_f32_e32 v112, v51, v104
	v_fma_f32 v45, v50, v104, -v95
	v_add_f32_e32 v41, v41, v111
	v_add_f32_e32 v40, v40, v44
	s_waitcnt vmcnt(19)
	v_fmac_f32_e32 v39, v53, v105
	v_fma_f32 v38, v52, v105, -v96
	v_add_f32_e32 v41, v41, v112
	v_add_f32_e32 v40, v40, v45
	v_pk_add_f32 v[38:39], v[40:41], v[38:39]
	s_waitcnt vmcnt(17)
	v_mov_b32_e32 v40, v73
	s_waitcnt lgkmcnt(3)
	v_pk_mul_f32 v[40:41], v[56:57], v[40:41] op_sel_hi:[1,0]
	v_mul_f32_e32 v91, v54, v98
	v_mul_f32_e32 v97, v55, v98
	s_waitcnt vmcnt(14)
	v_pk_fma_f32 v[42:43], v[56:57], v[72:73], v[40:41] op_sel:[0,0,1] op_sel_hi:[1,1,0] neg_lo:[0,0,1] neg_hi:[0,0,1]
	v_pk_fma_f32 v[40:41], v[56:57], v[72:73], v[40:41] op_sel:[0,0,1] op_sel_hi:[1,0,0]
	v_fmac_f32_e32 v91, v55, v106
	v_fma_f32 v90, v54, v106, -v97
	s_waitcnt vmcnt(13)
	v_mov_b32_e32 v40, v77
	v_pk_add_f32 v[38:39], v[38:39], v[90:91]
	v_mov_b32_e32 v43, v41
	v_pk_mul_f32 v[40:41], v[58:59], v[40:41] op_sel_hi:[1,0]
	v_pk_add_f32 v[38:39], v[38:39], v[42:43]
	v_pk_fma_f32 v[42:43], v[58:59], v[76:77], v[40:41] op_sel:[0,0,1] op_sel_hi:[1,1,0] neg_lo:[0,0,1] neg_hi:[0,0,1]
	v_pk_fma_f32 v[40:41], v[58:59], v[76:77], v[40:41] op_sel:[0,0,1] op_sel_hi:[1,0,0]
	s_waitcnt vmcnt(12)
	v_mov_b32_e32 v40, v75
	v_mov_b32_e32 v43, v41
	s_waitcnt lgkmcnt(2)
	v_pk_mul_f32 v[40:41], v[60:61], v[40:41] op_sel_hi:[1,0]
	v_pk_add_f32 v[38:39], v[38:39], v[42:43]
	v_pk_fma_f32 v[42:43], v[60:61], v[74:75], v[40:41] op_sel:[0,0,1] op_sel_hi:[1,1,0] neg_lo:[0,0,1] neg_hi:[0,0,1]
	v_pk_fma_f32 v[40:41], v[60:61], v[74:75], v[40:41] op_sel:[0,0,1] op_sel_hi:[1,0,0]
	s_waitcnt vmcnt(11)
	v_mov_b32_e32 v40, v79
	v_mov_b32_e32 v43, v41
	v_pk_mul_f32 v[40:41], v[62:63], v[40:41] op_sel_hi:[1,0]
	v_pk_add_f32 v[38:39], v[38:39], v[42:43]
	s_waitcnt vmcnt(5)
	v_pk_fma_f32 v[42:43], v[62:63], v[78:79], v[40:41] op_sel:[0,0,1] op_sel_hi:[1,1,0] neg_lo:[0,0,1] neg_hi:[0,0,1]
	v_pk_fma_f32 v[40:41], v[62:63], v[78:79], v[40:41] op_sel:[0,0,1] op_sel_hi:[1,0,0]
	v_mov_b32_e32 v40, v85
	v_mov_b32_e32 v43, v41
	s_waitcnt lgkmcnt(1)
	v_pk_mul_f32 v[40:41], v[64:65], v[40:41] op_sel_hi:[1,0]
	v_pk_add_f32 v[38:39], v[38:39], v[42:43]
	v_pk_fma_f32 v[42:43], v[64:65], v[84:85], v[40:41] op_sel:[0,0,1] op_sel_hi:[1,1,0] neg_lo:[0,0,1] neg_hi:[0,0,1]
	v_pk_fma_f32 v[40:41], v[64:65], v[84:85], v[40:41] op_sel:[0,0,1] op_sel_hi:[1,0,0]
	v_mov_b32_e32 v40, v83
	v_mov_b32_e32 v43, v41
	v_pk_mul_f32 v[40:41], v[66:67], v[40:41] op_sel_hi:[1,0]
	v_pk_add_f32 v[38:39], v[38:39], v[42:43]
	v_pk_fma_f32 v[42:43], v[66:67], v[82:83], v[40:41] op_sel:[0,0,1] op_sel_hi:[1,1,0] neg_lo:[0,0,1] neg_hi:[0,0,1]
	v_pk_fma_f32 v[40:41], v[66:67], v[82:83], v[40:41] op_sel:[0,0,1] op_sel_hi:[1,0,0]
	s_waitcnt vmcnt(2)
	v_mov_b32_e32 v40, v81
	v_mov_b32_e32 v43, v41
	s_waitcnt lgkmcnt(0)
	v_pk_mul_f32 v[40:41], v[68:69], v[40:41] op_sel_hi:[1,0]
	v_pk_add_f32 v[38:39], v[38:39], v[42:43]
	v_pk_fma_f32 v[42:43], v[68:69], v[80:81], v[40:41] op_sel:[0,0,1] op_sel_hi:[1,1,0] neg_lo:[0,0,1] neg_hi:[0,0,1]
	v_pk_fma_f32 v[40:41], v[68:69], v[80:81], v[40:41] op_sel:[0,0,1] op_sel_hi:[1,0,0]
	s_waitcnt vmcnt(1)
	v_mov_b32_e32 v40, v89
	v_mov_b32_e32 v43, v41
	v_pk_mul_f32 v[40:41], v[70:71], v[40:41] op_sel_hi:[1,0]
	v_pk_add_f32 v[38:39], v[38:39], v[42:43]
	s_waitcnt vmcnt(0)
	v_pk_fma_f32 v[42:43], v[70:71], v[88:89], v[40:41] op_sel:[0,0,1] op_sel_hi:[1,1,0] neg_lo:[0,0,1] neg_hi:[0,0,1]
	v_pk_fma_f32 v[40:41], v[70:71], v[88:89], v[40:41] op_sel:[0,0,1] op_sel_hi:[1,0,0]
	v_mov_b32_e32 v43, v41
	v_pk_add_f32 v[38:39], v[38:39], v[42:43]
	v_pk_add_f32 v[38:39], v[86:87], v[38:39] neg_lo:[0,1] neg_hi:[0,1]
	buffer_store_dword v39, off, s[0:3], 0 offset:12
	buffer_store_dword v38, off, s[0:3], 0 offset:8
	s_and_saveexec_b64 s[4:5], vcc
	s_cbranch_execz .LBB81_121
; %bb.120:
	buffer_load_dword v38, off, s[0:3], 0
	buffer_load_dword v39, off, s[0:3], 0 offset:4
	v_mov_b32_e32 v0, 0
	buffer_store_dword v0, off, s[0:3], 0
	buffer_store_dword v0, off, s[0:3], 0 offset:4
	s_waitcnt vmcnt(2)
	ds_write_b64 v1, v[38:39]
.LBB81_121:
	s_or_b64 exec, exec, s[4:5]
	s_waitcnt lgkmcnt(0)
	; wave barrier
	s_waitcnt lgkmcnt(0)
	buffer_load_dword v78, off, s[0:3], 0 offset:12
	buffer_load_dword v80, off, s[0:3], 0 offset:20
	;; [unrolled: 1-line block ×21, first 2 shown]
	buffer_load_dword v64, off, s[0:3], 0
	buffer_load_dword v65, off, s[0:3], 0 offset:4
	buffer_load_dword v63, off, s[0:3], 0 offset:92
	;; [unrolled: 1-line block ×14, first 2 shown]
	v_mov_b32_e32 v98, 0
	ds_read2_b64 v[38:41], v98 offset0:19 offset1:20
	ds_read2_b64 v[42:45], v98 offset0:21 offset1:22
	ds_read2_b64 v[46:49], v98 offset0:23 offset1:24
	ds_read2_b64 v[50:53], v98 offset0:25 offset1:26
	ds_read2_b64 v[54:57], v98 offset0:27 offset1:28
	ds_read2_b64 v[58:61], v98 offset0:29 offset1:30
	s_and_b64 vcc, exec, s[16:17]
	s_waitcnt vmcnt(35) lgkmcnt(5)
	v_mul_f32_e32 v99, v38, v78
	s_waitcnt vmcnt(34)
	v_mul_f32_e32 v100, v40, v80
	v_mul_f32_e32 v78, v39, v78
	s_waitcnt vmcnt(32) lgkmcnt(4)
	v_mul_f32_e32 v102, v44, v83
	v_mul_f32_e32 v83, v45, v83
	;; [unrolled: 1-line block ×5, first 2 shown]
	s_waitcnt vmcnt(31) lgkmcnt(3)
	v_mul_f32_e32 v103, v46, v84
	s_waitcnt vmcnt(26)
	v_fmac_f32_e32 v99, v39, v89
	s_waitcnt vmcnt(25)
	v_fmac_f32_e32 v100, v41, v90
	v_fma_f32 v38, v38, v89, -v78
	s_waitcnt vmcnt(23)
	v_fma_f32 v41, v44, v92, -v83
	v_add_f32_e32 v44, 0, v99
	v_fmac_f32_e32 v101, v43, v91
	v_fma_f32 v39, v40, v90, -v80
	v_add_f32_e32 v38, 0, v38
	v_add_f32_e32 v44, v44, v100
	v_fmac_f32_e32 v102, v45, v92
	v_fma_f32 v40, v42, v91, -v82
	v_add_f32_e32 v38, v38, v39
	v_add_f32_e32 v39, v44, v101
	v_mul_f32_e32 v104, v48, v85
	v_mul_f32_e32 v84, v47, v84
	s_waitcnt vmcnt(22)
	v_fmac_f32_e32 v103, v47, v93
	v_add_f32_e32 v38, v38, v40
	v_add_f32_e32 v39, v39, v102
	s_waitcnt lgkmcnt(2)
	v_mul_f32_e32 v105, v50, v86
	v_mul_f32_e32 v85, v49, v85
	s_waitcnt vmcnt(21)
	v_fmac_f32_e32 v104, v49, v94
	v_fma_f32 v42, v46, v93, -v84
	v_add_f32_e32 v38, v38, v41
	v_add_f32_e32 v39, v39, v103
	v_mul_f32_e32 v86, v51, v86
	s_waitcnt vmcnt(20)
	v_fmac_f32_e32 v105, v51, v95
	v_fma_f32 v43, v48, v94, -v85
	v_add_f32_e32 v38, v38, v42
	v_add_f32_e32 v39, v39, v104
	;; [unrolled: 1-line block ×4, first 2 shown]
	v_fma_f32 v39, v50, v95, -v86
	v_mul_f32_e32 v79, v52, v87
	v_add_f32_e32 v46, v38, v39
	v_mul_f32_e32 v38, v53, v87
	s_waitcnt vmcnt(17)
	v_mov_b32_e32 v50, v1
	s_waitcnt lgkmcnt(1)
	v_mul_f32_e32 v81, v54, v88
	v_fmac_f32_e32 v79, v53, v96
	v_fma_f32 v78, v52, v96, -v38
	v_mul_f32_e32 v38, v55, v88
	v_pk_mul_f32 v[50:51], v[56:57], v[50:51] op_sel_hi:[1,0]
	v_fmac_f32_e32 v81, v55, v97
	v_fma_f32 v80, v54, v97, -v38
	v_pk_add_f32 v[46:47], v[46:47], v[78:79]
	s_waitcnt vmcnt(15)
	v_pk_fma_f32 v[52:53], v[56:57], v[0:1], v[50:51] op_sel:[0,0,1] op_sel_hi:[1,1,0] neg_lo:[0,0,1] neg_hi:[0,0,1]
	v_pk_fma_f32 v[0:1], v[56:57], v[0:1], v[50:51] op_sel:[0,0,1] op_sel_hi:[1,0,0]
	v_pk_add_f32 v[46:47], v[46:47], v[80:81]
	v_mov_b32_e32 v53, v1
	v_pk_add_f32 v[0:1], v[46:47], v[52:53]
	s_waitcnt vmcnt(12)
	v_mov_b32_e32 v46, v63
	s_waitcnt lgkmcnt(0)
	v_pk_mul_f32 v[46:47], v[58:59], v[46:47] op_sel_hi:[1,0]
	v_pk_fma_f32 v[50:51], v[58:59], v[62:63], v[46:47] op_sel:[0,0,1] op_sel_hi:[1,1,0] neg_lo:[0,0,1] neg_hi:[0,0,1]
	v_pk_fma_f32 v[46:47], v[58:59], v[62:63], v[46:47] op_sel:[0,0,1] op_sel_hi:[1,0,0]
	s_waitcnt vmcnt(11)
	v_mov_b32_e32 v46, v67
	ds_read2_b64 v[38:41], v98 offset0:31 offset1:32
	ds_read2_b64 v[42:45], v98 offset0:33 offset1:34
	ds_read_b64 v[48:49], v98 offset:280
	v_mov_b32_e32 v51, v47
	v_pk_mul_f32 v[46:47], v[60:61], v[46:47] op_sel_hi:[1,0]
	v_pk_add_f32 v[0:1], v[0:1], v[50:51]
	s_waitcnt vmcnt(4)
	v_pk_fma_f32 v[50:51], v[60:61], v[66:67], v[46:47] op_sel:[0,0,1] op_sel_hi:[1,1,0] neg_lo:[0,0,1] neg_hi:[0,0,1]
	v_pk_fma_f32 v[46:47], v[60:61], v[66:67], v[46:47] op_sel:[0,0,1] op_sel_hi:[1,0,0]
	v_mov_b32_e32 v46, v73
	v_mov_b32_e32 v51, v47
	s_waitcnt lgkmcnt(2)
	v_pk_mul_f32 v[46:47], v[38:39], v[46:47] op_sel_hi:[1,0]
	v_pk_add_f32 v[0:1], v[0:1], v[50:51]
	v_pk_fma_f32 v[50:51], v[38:39], v[72:73], v[46:47] op_sel:[0,0,1] op_sel_hi:[1,1,0] neg_lo:[0,0,1] neg_hi:[0,0,1]
	v_pk_fma_f32 v[38:39], v[38:39], v[72:73], v[46:47] op_sel:[0,0,1] op_sel_hi:[1,0,0]
	v_mov_b32_e32 v38, v71
	v_mov_b32_e32 v51, v39
	v_pk_mul_f32 v[38:39], v[40:41], v[38:39] op_sel_hi:[1,0]
	v_pk_fma_f32 v[46:47], v[40:41], v[70:71], v[38:39] op_sel:[0,0,1] op_sel_hi:[1,1,0] neg_lo:[0,0,1] neg_hi:[0,0,1]
	v_pk_fma_f32 v[38:39], v[40:41], v[70:71], v[38:39] op_sel:[0,0,1] op_sel_hi:[1,0,0]
	v_mov_b32_e32 v38, v69
	v_mov_b32_e32 v47, v39
	s_waitcnt lgkmcnt(1)
	v_pk_mul_f32 v[38:39], v[42:43], v[38:39] op_sel_hi:[1,0]
	v_pk_fma_f32 v[40:41], v[42:43], v[68:69], v[38:39] op_sel:[0,0,1] op_sel_hi:[1,1,0] neg_lo:[0,0,1] neg_hi:[0,0,1]
	v_pk_fma_f32 v[38:39], v[42:43], v[68:69], v[38:39] op_sel:[0,0,1] op_sel_hi:[1,0,0]
	v_pk_add_f32 v[0:1], v[0:1], v[50:51]
	s_waitcnt vmcnt(1)
	v_mov_b32_e32 v38, v77
	v_pk_add_f32 v[0:1], v[0:1], v[46:47]
	v_mov_b32_e32 v41, v39
	v_pk_mul_f32 v[38:39], v[44:45], v[38:39] op_sel_hi:[1,0]
	v_pk_add_f32 v[0:1], v[0:1], v[40:41]
	s_waitcnt vmcnt(0)
	v_pk_fma_f32 v[40:41], v[44:45], v[76:77], v[38:39] op_sel:[0,0,1] op_sel_hi:[1,1,0] neg_lo:[0,0,1] neg_hi:[0,0,1]
	v_pk_fma_f32 v[38:39], v[44:45], v[76:77], v[38:39] op_sel:[0,0,1] op_sel_hi:[1,0,0]
	v_mov_b32_e32 v38, v75
	v_mov_b32_e32 v41, v39
	s_waitcnt lgkmcnt(0)
	v_pk_mul_f32 v[38:39], v[48:49], v[38:39] op_sel_hi:[1,0]
	v_pk_add_f32 v[0:1], v[0:1], v[40:41]
	v_pk_fma_f32 v[40:41], v[48:49], v[74:75], v[38:39] op_sel:[0,0,1] op_sel_hi:[1,1,0] neg_lo:[0,0,1] neg_hi:[0,0,1]
	v_pk_fma_f32 v[38:39], v[48:49], v[74:75], v[38:39] op_sel:[0,0,1] op_sel_hi:[1,0,0]
	v_mov_b32_e32 v41, v39
	v_pk_add_f32 v[0:1], v[0:1], v[40:41]
	v_pk_add_f32 v[0:1], v[64:65], v[0:1] neg_lo:[0,1] neg_hi:[0,1]
	buffer_store_dword v1, off, s[0:3], 0 offset:4
	buffer_store_dword v0, off, s[0:3], 0
	s_cbranch_vccz .LBB81_157
; %bb.122:
	v_pk_mov_b32 v[0:1], s[10:11], s[10:11] op_sel:[0,1]
	flat_load_dword v0, v[0:1] offset:64
	s_waitcnt vmcnt(0) lgkmcnt(0)
	v_add_u32_e32 v0, -1, v0
	v_cmp_ne_u32_e32 vcc, 16, v0
	s_and_saveexec_b64 s[4:5], vcc
	s_cbranch_execz .LBB81_124
; %bb.123:
	v_mov_b32_e32 v1, 0
	v_lshl_add_u32 v0, v0, 3, v1
	buffer_load_dword v1, v0, s[0:3], 0 offen
	buffer_load_dword v38, v0, s[0:3], 0 offen offset:4
	buffer_load_dword v39, off, s[0:3], 0 offset:132
	buffer_load_dword v40, off, s[0:3], 0 offset:128
	s_waitcnt vmcnt(3)
	buffer_store_dword v1, off, s[0:3], 0 offset:128
	s_waitcnt vmcnt(3)
	buffer_store_dword v38, off, s[0:3], 0 offset:132
	s_waitcnt vmcnt(3)
	buffer_store_dword v39, v0, s[0:3], 0 offen offset:4
	s_waitcnt vmcnt(3)
	buffer_store_dword v40, v0, s[0:3], 0 offen
.LBB81_124:
	s_or_b64 exec, exec, s[4:5]
	v_pk_mov_b32 v[0:1], s[10:11], s[10:11] op_sel:[0,1]
	flat_load_dword v0, v[0:1] offset:60
	s_waitcnt vmcnt(0) lgkmcnt(0)
	v_add_u32_e32 v0, -1, v0
	v_cmp_ne_u32_e32 vcc, 15, v0
	s_and_saveexec_b64 s[4:5], vcc
	s_cbranch_execz .LBB81_126
; %bb.125:
	v_mov_b32_e32 v1, 0
	v_lshl_add_u32 v0, v0, 3, v1
	buffer_load_dword v1, v0, s[0:3], 0 offen
	buffer_load_dword v38, v0, s[0:3], 0 offen offset:4
	buffer_load_dword v39, off, s[0:3], 0 offset:120
	buffer_load_dword v40, off, s[0:3], 0 offset:124
	s_waitcnt vmcnt(3)
	buffer_store_dword v1, off, s[0:3], 0 offset:120
	s_waitcnt vmcnt(3)
	buffer_store_dword v38, off, s[0:3], 0 offset:124
	s_waitcnt vmcnt(3)
	buffer_store_dword v39, v0, s[0:3], 0 offen
	s_waitcnt vmcnt(3)
	buffer_store_dword v40, v0, s[0:3], 0 offen offset:4
.LBB81_126:
	s_or_b64 exec, exec, s[4:5]
	v_pk_mov_b32 v[0:1], s[10:11], s[10:11] op_sel:[0,1]
	flat_load_dword v0, v[0:1] offset:56
	s_waitcnt vmcnt(0) lgkmcnt(0)
	v_add_u32_e32 v0, -1, v0
	v_cmp_ne_u32_e32 vcc, 14, v0
	s_and_saveexec_b64 s[4:5], vcc
	s_cbranch_execz .LBB81_128
; %bb.127:
	v_mov_b32_e32 v1, 0
	v_lshl_add_u32 v0, v0, 3, v1
	buffer_load_dword v1, v0, s[0:3], 0 offen
	buffer_load_dword v38, v0, s[0:3], 0 offen offset:4
	buffer_load_dword v39, off, s[0:3], 0 offset:116
	buffer_load_dword v40, off, s[0:3], 0 offset:112
	s_waitcnt vmcnt(3)
	buffer_store_dword v1, off, s[0:3], 0 offset:112
	s_waitcnt vmcnt(3)
	buffer_store_dword v38, off, s[0:3], 0 offset:116
	s_waitcnt vmcnt(3)
	buffer_store_dword v39, v0, s[0:3], 0 offen offset:4
	s_waitcnt vmcnt(3)
	buffer_store_dword v40, v0, s[0:3], 0 offen
.LBB81_128:
	s_or_b64 exec, exec, s[4:5]
	v_pk_mov_b32 v[0:1], s[10:11], s[10:11] op_sel:[0,1]
	flat_load_dword v0, v[0:1] offset:52
	s_waitcnt vmcnt(0) lgkmcnt(0)
	v_add_u32_e32 v0, -1, v0
	v_cmp_ne_u32_e32 vcc, 13, v0
	s_and_saveexec_b64 s[4:5], vcc
	s_cbranch_execz .LBB81_130
; %bb.129:
	v_mov_b32_e32 v1, 0
	v_lshl_add_u32 v0, v0, 3, v1
	buffer_load_dword v1, v0, s[0:3], 0 offen
	buffer_load_dword v38, v0, s[0:3], 0 offen offset:4
	buffer_load_dword v39, off, s[0:3], 0 offset:104
	buffer_load_dword v40, off, s[0:3], 0 offset:108
	s_waitcnt vmcnt(3)
	buffer_store_dword v1, off, s[0:3], 0 offset:104
	s_waitcnt vmcnt(3)
	buffer_store_dword v38, off, s[0:3], 0 offset:108
	s_waitcnt vmcnt(3)
	buffer_store_dword v39, v0, s[0:3], 0 offen
	s_waitcnt vmcnt(3)
	buffer_store_dword v40, v0, s[0:3], 0 offen offset:4
.LBB81_130:
	s_or_b64 exec, exec, s[4:5]
	;; [unrolled: 48-line block ×8, first 2 shown]
	v_pk_mov_b32 v[0:1], s[10:11], s[10:11] op_sel:[0,1]
	flat_load_dword v38, v[0:1]
	s_nop 0
	buffer_load_dword v0, off, s[0:3], 0
	buffer_load_dword v1, off, s[0:3], 0 offset:4
	s_waitcnt vmcnt(0) lgkmcnt(0)
	v_add_u32_e32 v38, -1, v38
	v_cmp_ne_u32_e32 vcc, 0, v38
	s_and_saveexec_b64 s[4:5], vcc
	s_cbranch_execz .LBB81_156
; %bb.155:
	v_mov_b32_e32 v39, 0
	v_lshl_add_u32 v38, v38, 3, v39
	buffer_load_dword v39, v38, s[0:3], 0 offen offset:4
	buffer_load_dword v40, v38, s[0:3], 0 offen
	s_waitcnt vmcnt(1)
	buffer_store_dword v39, off, s[0:3], 0 offset:4
	s_waitcnt vmcnt(1)
	buffer_store_dword v40, off, s[0:3], 0
	buffer_store_dword v1, v38, s[0:3], 0 offen offset:4
	buffer_store_dword v0, v38, s[0:3], 0 offen
	buffer_load_dword v0, off, s[0:3], 0
	s_nop 0
	buffer_load_dword v1, off, s[0:3], 0 offset:4
.LBB81_156:
	s_or_b64 exec, exec, s[4:5]
.LBB81_157:
	buffer_load_dword v38, off, s[0:3], 0 offset:8
	buffer_load_dword v39, off, s[0:3], 0 offset:12
	;; [unrolled: 1-line block ×34, first 2 shown]
	s_waitcnt vmcnt(34)
	global_store_dwordx2 v[2:3], v[0:1], off
	s_waitcnt vmcnt(33)
	global_store_dwordx2 v[4:5], v[38:39], off
	;; [unrolled: 2-line block ×18, first 2 shown]
	s_endpgm
	.section	.rodata,"a",@progbits
	.p2align	6, 0x0
	.amdhsa_kernel _ZN9rocsolver6v33100L18getri_kernel_smallILi18E19rocblas_complex_numIfEPKPS3_EEvT1_iilPiilS8_bb
		.amdhsa_group_segment_fixed_size 292
		.amdhsa_private_segment_fixed_size 160
		.amdhsa_kernarg_size 60
		.amdhsa_user_sgpr_count 8
		.amdhsa_user_sgpr_private_segment_buffer 1
		.amdhsa_user_sgpr_dispatch_ptr 0
		.amdhsa_user_sgpr_queue_ptr 0
		.amdhsa_user_sgpr_kernarg_segment_ptr 1
		.amdhsa_user_sgpr_dispatch_id 0
		.amdhsa_user_sgpr_flat_scratch_init 1
		.amdhsa_user_sgpr_kernarg_preload_length 0
		.amdhsa_user_sgpr_kernarg_preload_offset 0
		.amdhsa_user_sgpr_private_segment_size 0
		.amdhsa_uses_dynamic_stack 0
		.amdhsa_system_sgpr_private_segment_wavefront_offset 1
		.amdhsa_system_sgpr_workgroup_id_x 1
		.amdhsa_system_sgpr_workgroup_id_y 0
		.amdhsa_system_sgpr_workgroup_id_z 0
		.amdhsa_system_sgpr_workgroup_info 0
		.amdhsa_system_vgpr_workitem_id 0
		.amdhsa_next_free_vgpr 113
		.amdhsa_next_free_sgpr 22
		.amdhsa_accum_offset 116
		.amdhsa_reserve_vcc 1
		.amdhsa_reserve_flat_scratch 1
		.amdhsa_float_round_mode_32 0
		.amdhsa_float_round_mode_16_64 0
		.amdhsa_float_denorm_mode_32 3
		.amdhsa_float_denorm_mode_16_64 3
		.amdhsa_dx10_clamp 1
		.amdhsa_ieee_mode 1
		.amdhsa_fp16_overflow 0
		.amdhsa_tg_split 0
		.amdhsa_exception_fp_ieee_invalid_op 0
		.amdhsa_exception_fp_denorm_src 0
		.amdhsa_exception_fp_ieee_div_zero 0
		.amdhsa_exception_fp_ieee_overflow 0
		.amdhsa_exception_fp_ieee_underflow 0
		.amdhsa_exception_fp_ieee_inexact 0
		.amdhsa_exception_int_div_zero 0
	.end_amdhsa_kernel
	.section	.text._ZN9rocsolver6v33100L18getri_kernel_smallILi18E19rocblas_complex_numIfEPKPS3_EEvT1_iilPiilS8_bb,"axG",@progbits,_ZN9rocsolver6v33100L18getri_kernel_smallILi18E19rocblas_complex_numIfEPKPS3_EEvT1_iilPiilS8_bb,comdat
.Lfunc_end81:
	.size	_ZN9rocsolver6v33100L18getri_kernel_smallILi18E19rocblas_complex_numIfEPKPS3_EEvT1_iilPiilS8_bb, .Lfunc_end81-_ZN9rocsolver6v33100L18getri_kernel_smallILi18E19rocblas_complex_numIfEPKPS3_EEvT1_iilPiilS8_bb
                                        ; -- End function
	.section	.AMDGPU.csdata,"",@progbits
; Kernel info:
; codeLenInByte = 20260
; NumSgprs: 28
; NumVgprs: 113
; NumAgprs: 0
; TotalNumVgprs: 113
; ScratchSize: 160
; MemoryBound: 0
; FloatMode: 240
; IeeeMode: 1
; LDSByteSize: 292 bytes/workgroup (compile time only)
; SGPRBlocks: 3
; VGPRBlocks: 14
; NumSGPRsForWavesPerEU: 28
; NumVGPRsForWavesPerEU: 113
; AccumOffset: 116
; Occupancy: 4
; WaveLimiterHint : 1
; COMPUTE_PGM_RSRC2:SCRATCH_EN: 1
; COMPUTE_PGM_RSRC2:USER_SGPR: 8
; COMPUTE_PGM_RSRC2:TRAP_HANDLER: 0
; COMPUTE_PGM_RSRC2:TGID_X_EN: 1
; COMPUTE_PGM_RSRC2:TGID_Y_EN: 0
; COMPUTE_PGM_RSRC2:TGID_Z_EN: 0
; COMPUTE_PGM_RSRC2:TIDIG_COMP_CNT: 0
; COMPUTE_PGM_RSRC3_GFX90A:ACCUM_OFFSET: 28
; COMPUTE_PGM_RSRC3_GFX90A:TG_SPLIT: 0
	.section	.text._ZN9rocsolver6v33100L18getri_kernel_smallILi19E19rocblas_complex_numIfEPKPS3_EEvT1_iilPiilS8_bb,"axG",@progbits,_ZN9rocsolver6v33100L18getri_kernel_smallILi19E19rocblas_complex_numIfEPKPS3_EEvT1_iilPiilS8_bb,comdat
	.globl	_ZN9rocsolver6v33100L18getri_kernel_smallILi19E19rocblas_complex_numIfEPKPS3_EEvT1_iilPiilS8_bb ; -- Begin function _ZN9rocsolver6v33100L18getri_kernel_smallILi19E19rocblas_complex_numIfEPKPS3_EEvT1_iilPiilS8_bb
	.p2align	8
	.type	_ZN9rocsolver6v33100L18getri_kernel_smallILi19E19rocblas_complex_numIfEPKPS3_EEvT1_iilPiilS8_bb,@function
_ZN9rocsolver6v33100L18getri_kernel_smallILi19E19rocblas_complex_numIfEPKPS3_EEvT1_iilPiilS8_bb: ; @_ZN9rocsolver6v33100L18getri_kernel_smallILi19E19rocblas_complex_numIfEPKPS3_EEvT1_iilPiilS8_bb
; %bb.0:
	s_add_u32 flat_scratch_lo, s6, s9
	s_addc_u32 flat_scratch_hi, s7, 0
	s_add_u32 s0, s0, s9
	s_addc_u32 s1, s1, 0
	v_cmp_gt_u32_e32 vcc, 19, v0
	s_and_saveexec_b64 s[6:7], vcc
	s_cbranch_execz .LBB82_90
; %bb.1:
	s_load_dword s20, s[4:5], 0x38
	s_load_dwordx2 s[6:7], s[4:5], 0x0
	s_load_dwordx4 s[12:15], s[4:5], 0x28
	s_waitcnt lgkmcnt(0)
	s_bitcmp1_b32 s20, 8
	s_cselect_b64 s[16:17], -1, 0
	s_ashr_i32 s9, s8, 31
	s_lshl_b64 s[10:11], s[8:9], 3
	s_add_u32 s6, s6, s10
	s_addc_u32 s7, s7, s11
	s_load_dwordx2 s[18:19], s[6:7], 0x0
	s_bfe_u32 s6, s20, 0x10008
	s_cmp_eq_u32 s6, 0
                                        ; implicit-def: $sgpr10_sgpr11
	s_cbranch_scc1 .LBB82_3
; %bb.2:
	s_load_dword s6, s[4:5], 0x20
	s_load_dwordx2 s[10:11], s[4:5], 0x18
	s_mul_i32 s7, s8, s13
	s_mul_hi_u32 s13, s8, s12
	s_add_i32 s13, s13, s7
	s_mul_i32 s21, s9, s12
	s_add_i32 s13, s13, s21
	s_mul_i32 s12, s8, s12
	s_waitcnt lgkmcnt(0)
	s_ashr_i32 s7, s6, 31
	s_lshl_b64 s[12:13], s[12:13], 2
	s_add_u32 s10, s10, s12
	s_addc_u32 s11, s11, s13
	s_lshl_b64 s[6:7], s[6:7], 2
	s_add_u32 s10, s10, s6
	s_addc_u32 s11, s11, s7
.LBB82_3:
	s_load_dwordx2 s[6:7], s[4:5], 0x8
	v_lshlrev_b32_e32 v50, 3, v0
	s_waitcnt lgkmcnt(0)
	s_ashr_i32 s5, s6, 31
	s_mov_b32 s4, s6
	s_lshl_b64 s[4:5], s[4:5], 3
	s_add_u32 s4, s18, s4
	s_addc_u32 s5, s19, s5
	v_mov_b32_e32 v1, s5
	v_add_co_u32_e32 v2, vcc, s4, v50
	s_ashr_i32 s13, s7, 31
	s_mov_b32 s12, s7
	s_add_i32 s6, s7, s7
	v_addc_co_u32_e32 v3, vcc, 0, v1, vcc
	s_lshl_b64 s[12:13], s[12:13], 3
	v_add_u32_e32 v8, s6, v0
	v_mov_b32_e32 v1, s13
	v_add_co_u32_e32 v4, vcc, s12, v2
	v_ashrrev_i32_e32 v9, 31, v8
	v_addc_co_u32_e32 v5, vcc, v3, v1, vcc
	v_lshlrev_b64 v[6:7], 3, v[8:9]
	v_add_u32_e32 v10, s7, v8
	v_mov_b32_e32 v1, s5
	v_add_co_u32_e32 v6, vcc, s4, v6
	v_ashrrev_i32_e32 v11, 31, v10
	v_addc_co_u32_e32 v7, vcc, v1, v7, vcc
	v_lshlrev_b64 v[8:9], 3, v[10:11]
	v_add_u32_e32 v12, s7, v10
	v_add_co_u32_e32 v8, vcc, s4, v8
	v_ashrrev_i32_e32 v13, 31, v12
	v_addc_co_u32_e32 v9, vcc, v1, v9, vcc
	v_lshlrev_b64 v[10:11], 3, v[12:13]
	v_add_u32_e32 v14, s7, v12
	;; [unrolled: 5-line block ×5, first 2 shown]
	v_add_co_u32_e32 v16, vcc, s4, v16
	v_ashrrev_i32_e32 v19, 31, v18
	v_addc_co_u32_e32 v17, vcc, v1, v17, vcc
	v_add_u32_e32 v20, s7, v18
	v_lshlrev_b64 v[18:19], 3, v[18:19]
	v_mov_b32_e32 v21, s5
	v_add_co_u32_e32 v18, vcc, s4, v18
	v_addc_co_u32_e32 v19, vcc, v21, v19, vcc
	v_ashrrev_i32_e32 v21, 31, v20
	v_add_u32_e32 v22, s7, v20
	v_lshlrev_b64 v[20:21], 3, v[20:21]
	v_mov_b32_e32 v23, s5
	v_add_co_u32_e32 v20, vcc, s4, v20
	v_addc_co_u32_e32 v21, vcc, v23, v21, vcc
	v_ashrrev_i32_e32 v23, 31, v22
	;; [unrolled: 6-line block ×9, first 2 shown]
	v_add_u32_e32 v38, s7, v36
	v_lshlrev_b64 v[36:37], 3, v[36:37]
	v_mov_b32_e32 v51, s5
	v_add_co_u32_e32 v36, vcc, s4, v36
	global_load_dwordx2 v[40:41], v50, s[4:5]
	global_load_dwordx2 v[48:49], v[4:5], off
	global_load_dwordx2 v[44:45], v[6:7], off
	;; [unrolled: 1-line block ×13, first 2 shown]
	v_addc_co_u32_e32 v37, vcc, v51, v37, vcc
	global_load_dwordx2 v[70:71], v[30:31], off
	global_load_dwordx2 v[72:73], v[32:33], off
	;; [unrolled: 1-line block ×4, first 2 shown]
	v_ashrrev_i32_e32 v39, 31, v38
	v_lshlrev_b64 v[38:39], 3, v[38:39]
	v_add_co_u32_e32 v38, vcc, s4, v38
	v_addc_co_u32_e32 v39, vcc, v1, v39, vcc
	global_load_dwordx2 v[78:79], v[38:39], off
	s_bitcmp0_b32 s20, 0
	s_mov_b64 s[6:7], -1
	s_waitcnt vmcnt(18)
	buffer_store_dword v41, off, s[0:3], 0 offset:4
	buffer_store_dword v40, off, s[0:3], 0
	s_waitcnt vmcnt(19)
	buffer_store_dword v49, off, s[0:3], 0 offset:12
	buffer_store_dword v48, off, s[0:3], 0 offset:8
	s_waitcnt vmcnt(20)
	buffer_store_dword v45, off, s[0:3], 0 offset:20
	buffer_store_dword v44, off, s[0:3], 0 offset:16
	;; [unrolled: 3-line block ×18, first 2 shown]
	s_cbranch_scc1 .LBB82_88
; %bb.4:
	v_cmp_eq_u32_e64 s[4:5], 0, v0
	s_and_saveexec_b64 s[6:7], s[4:5]
	s_cbranch_execz .LBB82_6
; %bb.5:
	v_mov_b32_e32 v1, 0
	ds_write_b32 v1, v1 offset:152
.LBB82_6:
	s_or_b64 exec, exec, s[6:7]
	v_mov_b32_e32 v1, 0
	v_lshl_add_u32 v44, v0, 3, v1
	s_waitcnt lgkmcnt(0)
	; wave barrier
	s_waitcnt lgkmcnt(0)
	buffer_load_dword v1, v44, s[0:3], 0 offen
	buffer_load_dword v40, v44, s[0:3], 0 offen offset:4
	s_waitcnt vmcnt(1)
	v_cmp_eq_f32_e32 vcc, 0, v1
	s_waitcnt vmcnt(0)
	v_cmp_eq_f32_e64 s[6:7], 0, v40
	s_and_b64 s[6:7], vcc, s[6:7]
	s_and_saveexec_b64 s[12:13], s[6:7]
	s_cbranch_execz .LBB82_10
; %bb.7:
	v_mov_b32_e32 v1, 0
	ds_read_b32 v41, v1 offset:152
	v_add_u32_e32 v40, 1, v0
	s_waitcnt lgkmcnt(0)
	v_readfirstlane_b32 s6, v41
	s_cmp_eq_u32 s6, 0
	s_cselect_b64 s[18:19], -1, 0
	v_cmp_gt_i32_e32 vcc, s6, v40
	s_or_b64 s[18:19], s[18:19], vcc
	s_and_b64 exec, exec, s[18:19]
	s_cbranch_execz .LBB82_10
; %bb.8:
	s_mov_b64 s[18:19], 0
	v_mov_b32_e32 v41, s6
.LBB82_9:                               ; =>This Inner Loop Header: Depth=1
	ds_cmpst_rtn_b32 v41, v1, v41, v40 offset:152
	s_waitcnt lgkmcnt(0)
	v_cmp_ne_u32_e32 vcc, 0, v41
	v_cmp_le_i32_e64 s[6:7], v41, v40
	s_and_b64 s[6:7], vcc, s[6:7]
	s_and_b64 s[6:7], exec, s[6:7]
	s_or_b64 s[18:19], s[6:7], s[18:19]
	s_andn2_b64 exec, exec, s[18:19]
	s_cbranch_execnz .LBB82_9
.LBB82_10:
	s_or_b64 exec, exec, s[12:13]
	v_mov_b32_e32 v40, 0
	s_waitcnt lgkmcnt(0)
	; wave barrier
	ds_read_b32 v1, v40 offset:152
	s_and_saveexec_b64 s[6:7], s[4:5]
	s_cbranch_execz .LBB82_12
; %bb.11:
	s_lshl_b64 s[12:13], s[8:9], 2
	s_add_u32 s12, s14, s12
	s_addc_u32 s13, s15, s13
	s_waitcnt lgkmcnt(0)
	global_store_dword v40, v1, s[12:13]
.LBB82_12:
	s_or_b64 exec, exec, s[6:7]
	s_waitcnt lgkmcnt(0)
	v_cmp_ne_u32_e32 vcc, 0, v1
	s_mov_b64 s[6:7], 0
	s_cbranch_vccnz .LBB82_88
; %bb.13:
	buffer_load_dword v45, v44, s[0:3], 0 offen offset:4
	buffer_load_dword v41, v44, s[0:3], 0 offen
	s_waitcnt vmcnt(1)
	v_cmp_gt_f32_e32 vcc, 0, v45
	v_cndmask_b32_e64 v1, v45, -v45, vcc
	s_waitcnt vmcnt(0)
	v_cmp_gt_f32_e32 vcc, 0, v41
	v_cndmask_b32_e64 v40, v41, -v41, vcc
	v_cmp_ngt_f32_e32 vcc, v40, v1
                                        ; implicit-def: $vgpr1
                                        ; implicit-def: $vgpr40
	s_and_saveexec_b64 s[6:7], vcc
	s_xor_b64 s[6:7], exec, s[6:7]
                                        ; implicit-def: $vgpr42_vgpr43
	s_cbranch_execz .LBB82_15
; %bb.14:
	v_div_scale_f32 v1, s[12:13], v45, v45, v41
	v_rcp_f32_e32 v40, v1
	v_div_scale_f32 v42, vcc, v41, v45, v41
	v_fma_f32 v43, -v1, v40, 1.0
	v_fmac_f32_e32 v40, v43, v40
	v_mul_f32_e32 v43, v42, v40
	v_fma_f32 v46, -v1, v43, v42
	v_fmac_f32_e32 v43, v46, v40
	v_fma_f32 v1, -v1, v43, v42
	v_div_fmas_f32 v1, v1, v40, v43
	v_div_fixup_f32 v40, v1, v45, v41
	v_fmac_f32_e32 v45, v41, v40
	v_div_scale_f32 v1, s[12:13], v45, v45, -1.0
	v_rcp_f32_e32 v41, v1
	v_fma_f32 v42, -v1, v41, 1.0
	v_fmac_f32_e32 v41, v42, v41
	v_div_scale_f32 v42, vcc, -1.0, v45, -1.0
	v_mul_f32_e32 v43, v42, v41
	v_fma_f32 v46, -v1, v43, v42
	v_fmac_f32_e32 v43, v46, v41
	v_fma_f32 v1, -v1, v43, v42
	v_div_fmas_f32 v1, v1, v41, v43
	v_div_fixup_f32 v1, v1, v45, -1.0
	v_mul_f32_e32 v40, v40, v1
	v_xor_b32_e32 v42, 0x80000000, v40
                                        ; implicit-def: $vgpr41
                                        ; implicit-def: $vgpr45
.LBB82_15:
	s_andn2_saveexec_b64 s[6:7], s[6:7]
	s_cbranch_execz .LBB82_17
; %bb.16:
	v_div_scale_f32 v1, s[12:13], v41, v41, v45
	v_rcp_f32_e32 v40, v1
	v_div_scale_f32 v42, vcc, v45, v41, v45
	v_fma_f32 v43, -v1, v40, 1.0
	v_fmac_f32_e32 v40, v43, v40
	v_mul_f32_e32 v43, v42, v40
	v_fma_f32 v46, -v1, v43, v42
	v_fmac_f32_e32 v43, v46, v40
	v_fma_f32 v1, -v1, v43, v42
	v_div_fmas_f32 v1, v1, v40, v43
	v_div_fixup_f32 v1, v1, v41, v45
	v_fmac_f32_e32 v41, v45, v1
	v_div_scale_f32 v40, s[12:13], v41, v41, 1.0
	v_rcp_f32_e32 v42, v40
	v_fma_f32 v43, -v40, v42, 1.0
	v_fmac_f32_e32 v42, v43, v42
	v_div_scale_f32 v43, vcc, 1.0, v41, 1.0
	v_mul_f32_e32 v45, v43, v42
	v_fma_f32 v46, -v40, v45, v43
	v_fmac_f32_e32 v45, v46, v42
	v_fma_f32 v40, -v40, v45, v43
	v_div_fmas_f32 v40, v40, v42, v45
	v_div_fixup_f32 v42, v40, v41, 1.0
	v_xor_b32_e32 v40, 0x80000000, v42
	v_mul_f32_e64 v1, v1, -v42
.LBB82_17:
	s_or_b64 exec, exec, s[6:7]
	buffer_store_dword v1, v44, s[0:3], 0 offen offset:4
	buffer_store_dword v42, v44, s[0:3], 0 offen
	buffer_load_dword v43, off, s[0:3], 0 offset:12
	s_nop 0
	buffer_load_dword v42, off, s[0:3], 0 offset:8
	v_xor_b32_e32 v41, 0x80000000, v1
	v_add_u32_e32 v1, 0xa0, v50
	s_waitcnt vmcnt(0)
	ds_write2_b64 v50, v[40:41], v[42:43] offset1:20
	s_waitcnt lgkmcnt(0)
	; wave barrier
	s_waitcnt lgkmcnt(0)
	s_and_saveexec_b64 s[6:7], s[4:5]
	s_cbranch_execz .LBB82_19
; %bb.18:
	buffer_load_dword v45, v44, s[0:3], 0 offen offset:4
	buffer_load_dword v46, v44, s[0:3], 0 offen
	ds_read_b64 v[40:41], v1
	v_mov_b32_e32 v42, 0
	ds_read_b64 v[42:43], v42 offset:8
	s_waitcnt vmcnt(1) lgkmcnt(1)
	v_mul_f32_e32 v47, v41, v45
	v_mul_f32_e32 v45, v40, v45
	s_waitcnt vmcnt(0)
	v_fmac_f32_e32 v45, v41, v46
	v_fma_f32 v40, v40, v46, -v47
	v_add_f32_e32 v41, 0, v45
	v_add_f32_e32 v40, 0, v40
	s_waitcnt lgkmcnt(0)
	v_mul_f32_e32 v45, v41, v43
	v_mul_f32_e32 v43, v40, v43
	v_fma_f32 v40, v40, v42, -v45
	v_fmac_f32_e32 v43, v41, v42
	buffer_store_dword v40, off, s[0:3], 0 offset:8
	buffer_store_dword v43, off, s[0:3], 0 offset:12
.LBB82_19:
	s_or_b64 exec, exec, s[6:7]
	s_waitcnt lgkmcnt(0)
	; wave barrier
	buffer_load_dword v40, off, s[0:3], 0 offset:16
	buffer_load_dword v41, off, s[0:3], 0 offset:20
	v_cmp_gt_u32_e32 vcc, 2, v0
	s_waitcnt vmcnt(0)
	ds_write_b64 v1, v[40:41]
	s_waitcnt lgkmcnt(0)
	; wave barrier
	s_waitcnt lgkmcnt(0)
	s_and_saveexec_b64 s[6:7], vcc
	s_cbranch_execz .LBB82_23
; %bb.20:
	buffer_load_dword v42, v44, s[0:3], 0 offen offset:4
	buffer_load_dword v43, v44, s[0:3], 0 offen
	ds_read_b64 v[40:41], v1
	s_waitcnt vmcnt(1) lgkmcnt(0)
	v_mul_f32_e32 v44, v41, v42
	v_mul_f32_e32 v42, v40, v42
	s_waitcnt vmcnt(0)
	v_fma_f32 v40, v40, v43, -v44
	v_fmac_f32_e32 v42, v41, v43
	v_add_f32_e32 v41, 0, v40
	v_add_f32_e32 v40, 0, v42
	s_and_saveexec_b64 s[12:13], s[4:5]
	s_cbranch_execz .LBB82_22
; %bb.21:
	buffer_load_dword v44, off, s[0:3], 0 offset:12
	buffer_load_dword v45, off, s[0:3], 0 offset:8
	v_mov_b32_e32 v42, 0
	ds_read_b64 v[42:43], v42 offset:168
	s_waitcnt vmcnt(1) lgkmcnt(0)
	v_mul_f32_e32 v46, v42, v44
	v_mul_f32_e32 v44, v43, v44
	s_waitcnt vmcnt(0)
	v_fmac_f32_e32 v46, v43, v45
	v_fma_f32 v42, v42, v45, -v44
	v_add_f32_e32 v40, v40, v46
	v_add_f32_e32 v41, v41, v42
.LBB82_22:
	s_or_b64 exec, exec, s[12:13]
	v_mov_b32_e32 v42, 0
	ds_read_b64 v[42:43], v42 offset:16
	s_waitcnt lgkmcnt(0)
	v_mul_f32_e32 v44, v40, v43
	v_mul_f32_e32 v43, v41, v43
	v_fma_f32 v41, v41, v42, -v44
	v_fmac_f32_e32 v43, v40, v42
	buffer_store_dword v41, off, s[0:3], 0 offset:16
	buffer_store_dword v43, off, s[0:3], 0 offset:20
.LBB82_23:
	s_or_b64 exec, exec, s[6:7]
	s_waitcnt lgkmcnt(0)
	; wave barrier
	buffer_load_dword v40, off, s[0:3], 0 offset:24
	buffer_load_dword v41, off, s[0:3], 0 offset:28
	v_cmp_gt_u32_e32 vcc, 3, v0
	s_waitcnt vmcnt(0)
	ds_write_b64 v1, v[40:41]
	v_add_u32_e32 v40, -1, v0
	s_waitcnt lgkmcnt(0)
	; wave barrier
	s_waitcnt lgkmcnt(0)
	s_and_saveexec_b64 s[4:5], vcc
	s_cbranch_execz .LBB82_27
; %bb.24:
	v_add_u32_e32 v42, -1, v0
	v_add_u32_e32 v43, 0xa0, v50
	v_add_u32_e32 v44, 0, v50
	s_mov_b64 s[6:7], 0
	v_mov_b32_e32 v41, 0
	v_mov_b32_e32 v45, 0
.LBB82_25:                              ; =>This Inner Loop Header: Depth=1
	buffer_load_dword v48, v44, s[0:3], 0 offen offset:4
	buffer_load_dword v49, v44, s[0:3], 0 offen
	ds_read_b64 v[46:47], v43
	v_add_u32_e32 v42, 1, v42
	v_cmp_lt_u32_e32 vcc, 1, v42
	v_add_u32_e32 v43, 8, v43
	v_add_u32_e32 v44, 8, v44
	s_or_b64 s[6:7], vcc, s[6:7]
	s_waitcnt vmcnt(1) lgkmcnt(0)
	v_mul_f32_e32 v51, v47, v48
	v_mul_f32_e32 v48, v46, v48
	s_waitcnt vmcnt(0)
	v_fma_f32 v46, v46, v49, -v51
	v_fmac_f32_e32 v48, v47, v49
	v_add_f32_e32 v45, v45, v46
	v_add_f32_e32 v41, v41, v48
	s_andn2_b64 exec, exec, s[6:7]
	s_cbranch_execnz .LBB82_25
; %bb.26:
	s_or_b64 exec, exec, s[6:7]
	v_mov_b32_e32 v42, 0
	ds_read_b64 v[42:43], v42 offset:24
	s_waitcnt lgkmcnt(0)
	v_mul_f32_e32 v44, v41, v43
	v_mul_f32_e32 v43, v45, v43
	v_fma_f32 v44, v45, v42, -v44
	v_fmac_f32_e32 v43, v41, v42
	buffer_store_dword v44, off, s[0:3], 0 offset:24
	buffer_store_dword v43, off, s[0:3], 0 offset:28
.LBB82_27:
	s_or_b64 exec, exec, s[4:5]
	s_waitcnt lgkmcnt(0)
	; wave barrier
	buffer_load_dword v42, off, s[0:3], 0 offset:32
	buffer_load_dword v43, off, s[0:3], 0 offset:36
	v_cmp_gt_u32_e32 vcc, 4, v0
	s_waitcnt vmcnt(0)
	ds_write_b64 v1, v[42:43]
	s_waitcnt lgkmcnt(0)
	; wave barrier
	s_waitcnt lgkmcnt(0)
	s_and_saveexec_b64 s[4:5], vcc
	s_cbranch_execz .LBB82_31
; %bb.28:
	v_add_u32_e32 v42, -1, v0
	v_add_u32_e32 v43, 0xa0, v50
	v_add_u32_e32 v44, 0, v50
	s_mov_b64 s[6:7], 0
	v_mov_b32_e32 v41, 0
	v_mov_b32_e32 v45, 0
.LBB82_29:                              ; =>This Inner Loop Header: Depth=1
	buffer_load_dword v48, v44, s[0:3], 0 offen offset:4
	buffer_load_dword v49, v44, s[0:3], 0 offen
	ds_read_b64 v[46:47], v43
	v_add_u32_e32 v42, 1, v42
	v_cmp_lt_u32_e32 vcc, 2, v42
	v_add_u32_e32 v43, 8, v43
	v_add_u32_e32 v44, 8, v44
	s_or_b64 s[6:7], vcc, s[6:7]
	s_waitcnt vmcnt(1) lgkmcnt(0)
	v_mul_f32_e32 v51, v47, v48
	v_mul_f32_e32 v48, v46, v48
	s_waitcnt vmcnt(0)
	v_fma_f32 v46, v46, v49, -v51
	v_fmac_f32_e32 v48, v47, v49
	v_add_f32_e32 v45, v45, v46
	v_add_f32_e32 v41, v41, v48
	s_andn2_b64 exec, exec, s[6:7]
	s_cbranch_execnz .LBB82_29
; %bb.30:
	s_or_b64 exec, exec, s[6:7]
	v_mov_b32_e32 v42, 0
	ds_read_b64 v[42:43], v42 offset:32
	s_waitcnt lgkmcnt(0)
	v_mul_f32_e32 v44, v41, v43
	v_mul_f32_e32 v43, v45, v43
	v_fma_f32 v44, v45, v42, -v44
	v_fmac_f32_e32 v43, v41, v42
	buffer_store_dword v44, off, s[0:3], 0 offset:32
	buffer_store_dword v43, off, s[0:3], 0 offset:36
.LBB82_31:
	s_or_b64 exec, exec, s[4:5]
	s_waitcnt lgkmcnt(0)
	; wave barrier
	buffer_load_dword v42, off, s[0:3], 0 offset:40
	buffer_load_dword v43, off, s[0:3], 0 offset:44
	v_cmp_gt_u32_e32 vcc, 5, v0
	s_waitcnt vmcnt(0)
	ds_write_b64 v1, v[42:43]
	;; [unrolled: 51-line block ×14, first 2 shown]
	s_waitcnt lgkmcnt(0)
	; wave barrier
	s_waitcnt lgkmcnt(0)
	s_and_saveexec_b64 s[4:5], vcc
	s_cbranch_execz .LBB82_83
; %bb.80:
	v_add_u32_e32 v42, -1, v0
	v_add_u32_e32 v43, 0xa0, v50
	v_add_u32_e32 v44, 0, v50
	s_mov_b64 s[6:7], 0
	v_mov_b32_e32 v41, 0
	v_mov_b32_e32 v45, 0
.LBB82_81:                              ; =>This Inner Loop Header: Depth=1
	buffer_load_dword v48, v44, s[0:3], 0 offen offset:4
	buffer_load_dword v49, v44, s[0:3], 0 offen
	ds_read_b64 v[46:47], v43
	v_add_u32_e32 v42, 1, v42
	v_cmp_lt_u32_e32 vcc, 15, v42
	v_add_u32_e32 v43, 8, v43
	v_add_u32_e32 v44, 8, v44
	s_or_b64 s[6:7], vcc, s[6:7]
	s_waitcnt vmcnt(1) lgkmcnt(0)
	v_mul_f32_e32 v51, v47, v48
	v_mul_f32_e32 v48, v46, v48
	s_waitcnt vmcnt(0)
	v_fma_f32 v46, v46, v49, -v51
	v_fmac_f32_e32 v48, v47, v49
	v_add_f32_e32 v45, v45, v46
	v_add_f32_e32 v41, v41, v48
	s_andn2_b64 exec, exec, s[6:7]
	s_cbranch_execnz .LBB82_81
; %bb.82:
	s_or_b64 exec, exec, s[6:7]
	v_mov_b32_e32 v42, 0
	ds_read_b64 v[42:43], v42 offset:136
	s_waitcnt lgkmcnt(0)
	v_mul_f32_e32 v44, v41, v43
	v_mul_f32_e32 v43, v45, v43
	v_fma_f32 v44, v45, v42, -v44
	v_fmac_f32_e32 v43, v41, v42
	buffer_store_dword v44, off, s[0:3], 0 offset:136
	buffer_store_dword v43, off, s[0:3], 0 offset:140
.LBB82_83:
	s_or_b64 exec, exec, s[4:5]
	s_waitcnt lgkmcnt(0)
	; wave barrier
	buffer_load_dword v42, off, s[0:3], 0 offset:144
	buffer_load_dword v43, off, s[0:3], 0 offset:148
	v_cmp_ne_u32_e32 vcc, 18, v0
	s_waitcnt vmcnt(0)
	ds_write_b64 v1, v[42:43]
	s_waitcnt lgkmcnt(0)
	; wave barrier
	s_waitcnt lgkmcnt(0)
	s_and_saveexec_b64 s[4:5], vcc
	s_cbranch_execz .LBB82_87
; %bb.84:
	v_add_u32_e32 v41, 0xa0, v50
	v_add_u32_e32 v42, 0, v50
	s_mov_b64 s[6:7], 0
	v_mov_b32_e32 v1, 0
	v_mov_b32_e32 v43, 0
.LBB82_85:                              ; =>This Inner Loop Header: Depth=1
	buffer_load_dword v46, v42, s[0:3], 0 offen offset:4
	buffer_load_dword v47, v42, s[0:3], 0 offen
	ds_read_b64 v[44:45], v41
	v_add_u32_e32 v40, 1, v40
	v_cmp_lt_u32_e32 vcc, 16, v40
	v_add_u32_e32 v41, 8, v41
	v_add_u32_e32 v42, 8, v42
	s_or_b64 s[6:7], vcc, s[6:7]
	s_waitcnt vmcnt(1) lgkmcnt(0)
	v_mul_f32_e32 v48, v45, v46
	v_mul_f32_e32 v46, v44, v46
	s_waitcnt vmcnt(0)
	v_fma_f32 v44, v44, v47, -v48
	v_fmac_f32_e32 v46, v45, v47
	v_add_f32_e32 v43, v43, v44
	v_add_f32_e32 v1, v1, v46
	s_andn2_b64 exec, exec, s[6:7]
	s_cbranch_execnz .LBB82_85
; %bb.86:
	s_or_b64 exec, exec, s[6:7]
	v_mov_b32_e32 v40, 0
	ds_read_b64 v[40:41], v40 offset:144
	s_waitcnt lgkmcnt(0)
	v_mul_f32_e32 v42, v1, v41
	v_mul_f32_e32 v41, v43, v41
	v_fma_f32 v42, v43, v40, -v42
	v_fmac_f32_e32 v41, v1, v40
	buffer_store_dword v42, off, s[0:3], 0 offset:144
	buffer_store_dword v41, off, s[0:3], 0 offset:148
.LBB82_87:
	s_or_b64 exec, exec, s[4:5]
	s_mov_b64 s[6:7], -1
	s_waitcnt lgkmcnt(0)
	; wave barrier
.LBB82_88:
	s_and_b64 vcc, exec, s[6:7]
	s_cbranch_vccz .LBB82_90
; %bb.89:
	s_lshl_b64 s[4:5], s[8:9], 2
	s_add_u32 s4, s14, s4
	s_addc_u32 s5, s15, s5
	v_mov_b32_e32 v1, 0
	global_load_dword v1, v1, s[4:5]
	s_waitcnt vmcnt(0)
	v_cmp_ne_u32_e32 vcc, 0, v1
	s_cbranch_vccz .LBB82_91
.LBB82_90:
	s_endpgm
.LBB82_91:
	v_mov_b32_e32 v1, 0xa0
	v_lshl_add_u32 v1, v0, 3, v1
	v_cmp_eq_u32_e32 vcc, 18, v0
	s_and_saveexec_b64 s[4:5], vcc
	s_cbranch_execz .LBB82_93
; %bb.92:
	buffer_load_dword v40, off, s[0:3], 0 offset:136
	buffer_load_dword v41, off, s[0:3], 0 offset:140
	v_mov_b32_e32 v42, 0
	buffer_store_dword v42, off, s[0:3], 0 offset:136
	buffer_store_dword v42, off, s[0:3], 0 offset:140
	s_waitcnt vmcnt(2)
	ds_write_b64 v1, v[40:41]
.LBB82_93:
	s_or_b64 exec, exec, s[4:5]
	s_waitcnt lgkmcnt(0)
	; wave barrier
	s_waitcnt lgkmcnt(0)
	buffer_load_dword v43, off, s[0:3], 0 offset:148
	buffer_load_dword v42, off, s[0:3], 0 offset:144
	buffer_load_dword v44, off, s[0:3], 0 offset:136
	buffer_load_dword v45, off, s[0:3], 0 offset:140
	v_mov_b32_e32 v40, 0
	ds_read_b64 v[46:47], v40 offset:304
	v_cmp_lt_u32_e32 vcc, 16, v0
	s_waitcnt vmcnt(3)
	v_mov_b32_e32 v48, v43
	s_waitcnt lgkmcnt(0)
	v_pk_mul_f32 v[48:49], v[46:47], v[48:49] op_sel_hi:[1,0]
	s_waitcnt vmcnt(2)
	v_pk_fma_f32 v[50:51], v[46:47], v[42:43], v[48:49] op_sel:[0,0,1] op_sel_hi:[1,1,0] neg_lo:[0,0,1] neg_hi:[0,0,1]
	v_pk_fma_f32 v[42:43], v[46:47], v[42:43], v[48:49] op_sel:[0,0,1] op_sel_hi:[1,0,0]
	v_mov_b32_e32 v51, v43
	v_pk_add_f32 v[42:43], v[50:51], 0 op_sel_hi:[1,0]
	s_waitcnt vmcnt(0)
	v_pk_add_f32 v[42:43], v[44:45], v[42:43] neg_lo:[0,1] neg_hi:[0,1]
	buffer_store_dword v42, off, s[0:3], 0 offset:136
	buffer_store_dword v43, off, s[0:3], 0 offset:140
	s_and_saveexec_b64 s[4:5], vcc
	s_cbranch_execz .LBB82_95
; %bb.94:
	buffer_load_dword v42, off, s[0:3], 0 offset:128
	buffer_load_dword v43, off, s[0:3], 0 offset:132
	s_waitcnt vmcnt(0)
	ds_write_b64 v1, v[42:43]
	buffer_store_dword v40, off, s[0:3], 0 offset:128
	buffer_store_dword v40, off, s[0:3], 0 offset:132
.LBB82_95:
	s_or_b64 exec, exec, s[4:5]
	s_waitcnt lgkmcnt(0)
	; wave barrier
	s_waitcnt lgkmcnt(0)
	buffer_load_dword v45, off, s[0:3], 0 offset:140
	buffer_load_dword v47, off, s[0:3], 0 offset:148
	;; [unrolled: 1-line block ×6, first 2 shown]
	ds_read2_b64 v[40:43], v40 offset0:37 offset1:38
	v_cmp_lt_u32_e32 vcc, 15, v0
	s_waitcnt vmcnt(5)
	v_mov_b32_e32 v50, v45
	s_waitcnt vmcnt(4)
	v_mov_b32_e32 v52, v47
	s_waitcnt lgkmcnt(0)
	v_pk_mul_f32 v[50:51], v[40:41], v[50:51] op_sel_hi:[1,0]
	v_pk_mul_f32 v[52:53], v[42:43], v[52:53] op_sel_hi:[1,0]
	s_waitcnt vmcnt(3)
	v_pk_fma_f32 v[54:55], v[40:41], v[44:45], v[50:51] op_sel:[0,0,1] op_sel_hi:[1,1,0] neg_lo:[0,0,1] neg_hi:[0,0,1]
	v_pk_fma_f32 v[40:41], v[40:41], v[44:45], v[50:51] op_sel:[0,0,1] op_sel_hi:[1,0,0]
	s_waitcnt vmcnt(2)
	v_pk_fma_f32 v[44:45], v[42:43], v[46:47], v[52:53] op_sel:[0,0,1] op_sel_hi:[1,1,0] neg_lo:[0,0,1] neg_hi:[0,0,1]
	v_pk_fma_f32 v[42:43], v[42:43], v[46:47], v[52:53] op_sel:[0,0,1] op_sel_hi:[1,0,0]
	v_mov_b32_e32 v55, v41
	v_mov_b32_e32 v45, v43
	v_pk_add_f32 v[40:41], v[54:55], 0 op_sel_hi:[1,0]
	v_pk_add_f32 v[40:41], v[40:41], v[44:45]
	s_waitcnt vmcnt(0)
	v_pk_add_f32 v[40:41], v[48:49], v[40:41] neg_lo:[0,1] neg_hi:[0,1]
	buffer_store_dword v40, off, s[0:3], 0 offset:128
	buffer_store_dword v41, off, s[0:3], 0 offset:132
	s_and_saveexec_b64 s[4:5], vcc
	s_cbranch_execz .LBB82_97
; %bb.96:
	buffer_load_dword v40, off, s[0:3], 0 offset:120
	buffer_load_dword v41, off, s[0:3], 0 offset:124
	v_mov_b32_e32 v42, 0
	buffer_store_dword v42, off, s[0:3], 0 offset:120
	buffer_store_dword v42, off, s[0:3], 0 offset:124
	s_waitcnt vmcnt(2)
	ds_write_b64 v1, v[40:41]
.LBB82_97:
	s_or_b64 exec, exec, s[4:5]
	s_waitcnt lgkmcnt(0)
	; wave barrier
	s_waitcnt lgkmcnt(0)
	buffer_load_dword v47, off, s[0:3], 0 offset:132
	buffer_load_dword v49, off, s[0:3], 0 offset:140
	;; [unrolled: 1-line block ×8, first 2 shown]
	v_mov_b32_e32 v40, 0
	ds_read_b128 v[42:45], v40 offset:288
	ds_read_b64 v[54:55], v40 offset:304
	v_cmp_lt_u32_e32 vcc, 14, v0
	s_waitcnt vmcnt(7)
	v_mov_b32_e32 v56, v47
	s_waitcnt vmcnt(6)
	v_mov_b32_e32 v58, v49
	s_waitcnt lgkmcnt(1)
	v_pk_mul_f32 v[56:57], v[42:43], v[56:57] op_sel_hi:[1,0]
	s_waitcnt vmcnt(5)
	v_mov_b32_e32 v60, v51
	v_pk_mul_f32 v[58:59], v[44:45], v[58:59] op_sel_hi:[1,0]
	s_waitcnt vmcnt(4)
	v_pk_fma_f32 v[62:63], v[42:43], v[46:47], v[56:57] op_sel:[0,0,1] op_sel_hi:[1,1,0] neg_lo:[0,0,1] neg_hi:[0,0,1]
	v_pk_fma_f32 v[42:43], v[42:43], v[46:47], v[56:57] op_sel:[0,0,1] op_sel_hi:[1,0,0]
	s_waitcnt lgkmcnt(0)
	v_pk_mul_f32 v[60:61], v[54:55], v[60:61] op_sel_hi:[1,0]
	s_waitcnt vmcnt(3)
	v_pk_fma_f32 v[46:47], v[44:45], v[48:49], v[58:59] op_sel:[0,0,1] op_sel_hi:[1,1,0] neg_lo:[0,0,1] neg_hi:[0,0,1]
	v_pk_fma_f32 v[44:45], v[44:45], v[48:49], v[58:59] op_sel:[0,0,1] op_sel_hi:[1,0,0]
	v_mov_b32_e32 v63, v43
	s_waitcnt vmcnt(2)
	v_pk_fma_f32 v[48:49], v[54:55], v[50:51], v[60:61] op_sel:[0,0,1] op_sel_hi:[1,1,0] neg_lo:[0,0,1] neg_hi:[0,0,1]
	v_pk_fma_f32 v[50:51], v[54:55], v[50:51], v[60:61] op_sel:[0,0,1] op_sel_hi:[1,0,0]
	v_mov_b32_e32 v47, v45
	v_pk_add_f32 v[42:43], v[62:63], 0 op_sel_hi:[1,0]
	v_mov_b32_e32 v49, v51
	v_pk_add_f32 v[42:43], v[42:43], v[46:47]
	v_pk_add_f32 v[42:43], v[42:43], v[48:49]
	s_waitcnt vmcnt(0)
	v_pk_add_f32 v[42:43], v[52:53], v[42:43] neg_lo:[0,1] neg_hi:[0,1]
	buffer_store_dword v42, off, s[0:3], 0 offset:120
	buffer_store_dword v43, off, s[0:3], 0 offset:124
	s_and_saveexec_b64 s[4:5], vcc
	s_cbranch_execz .LBB82_99
; %bb.98:
	buffer_load_dword v42, off, s[0:3], 0 offset:112
	buffer_load_dword v43, off, s[0:3], 0 offset:116
	s_waitcnt vmcnt(0)
	ds_write_b64 v1, v[42:43]
	buffer_store_dword v40, off, s[0:3], 0 offset:112
	buffer_store_dword v40, off, s[0:3], 0 offset:116
.LBB82_99:
	s_or_b64 exec, exec, s[4:5]
	s_waitcnt lgkmcnt(0)
	; wave barrier
	s_waitcnt lgkmcnt(0)
	buffer_load_dword v51, off, s[0:3], 0 offset:124
	buffer_load_dword v53, off, s[0:3], 0 offset:132
	;; [unrolled: 1-line block ×10, first 2 shown]
	ds_read2_b64 v[42:45], v40 offset0:35 offset1:36
	ds_read2_b64 v[46:49], v40 offset0:37 offset1:38
	v_cmp_lt_u32_e32 vcc, 13, v0
	s_waitcnt vmcnt(9)
	v_mov_b32_e32 v40, v51
	s_waitcnt vmcnt(8)
	v_mov_b32_e32 v60, v53
	s_waitcnt lgkmcnt(1)
	v_pk_mul_f32 v[40:41], v[42:43], v[40:41] op_sel_hi:[1,0]
	s_waitcnt vmcnt(7)
	v_mov_b32_e32 v62, v55
	v_pk_mul_f32 v[60:61], v[44:45], v[60:61] op_sel_hi:[1,0]
	s_waitcnt vmcnt(5)
	v_pk_fma_f32 v[66:67], v[42:43], v[50:51], v[40:41] op_sel:[0,0,1] op_sel_hi:[1,1,0] neg_lo:[0,0,1] neg_hi:[0,0,1]
	v_pk_fma_f32 v[40:41], v[42:43], v[50:51], v[40:41] op_sel:[0,0,1] op_sel_hi:[1,0,0]
	v_mov_b32_e32 v64, v57
	s_waitcnt lgkmcnt(0)
	v_pk_mul_f32 v[62:63], v[46:47], v[62:63] op_sel_hi:[1,0]
	s_waitcnt vmcnt(4)
	v_pk_fma_f32 v[42:43], v[44:45], v[52:53], v[60:61] op_sel:[0,0,1] op_sel_hi:[1,1,0] neg_lo:[0,0,1] neg_hi:[0,0,1]
	v_pk_fma_f32 v[44:45], v[44:45], v[52:53], v[60:61] op_sel:[0,0,1] op_sel_hi:[1,0,0]
	v_mov_b32_e32 v67, v41
	v_pk_mul_f32 v[64:65], v[48:49], v[64:65] op_sel_hi:[1,0]
	s_waitcnt vmcnt(3)
	v_pk_fma_f32 v[50:51], v[46:47], v[54:55], v[62:63] op_sel:[0,0,1] op_sel_hi:[1,1,0] neg_lo:[0,0,1] neg_hi:[0,0,1]
	v_pk_fma_f32 v[46:47], v[46:47], v[54:55], v[62:63] op_sel:[0,0,1] op_sel_hi:[1,0,0]
	v_mov_b32_e32 v43, v45
	v_pk_add_f32 v[40:41], v[66:67], 0 op_sel_hi:[1,0]
	s_waitcnt vmcnt(2)
	v_pk_fma_f32 v[52:53], v[48:49], v[56:57], v[64:65] op_sel:[0,0,1] op_sel_hi:[1,1,0] neg_lo:[0,0,1] neg_hi:[0,0,1]
	v_pk_fma_f32 v[48:49], v[48:49], v[56:57], v[64:65] op_sel:[0,0,1] op_sel_hi:[1,0,0]
	v_mov_b32_e32 v51, v47
	v_pk_add_f32 v[40:41], v[40:41], v[42:43]
	v_mov_b32_e32 v53, v49
	v_pk_add_f32 v[40:41], v[40:41], v[50:51]
	v_pk_add_f32 v[40:41], v[40:41], v[52:53]
	s_waitcnt vmcnt(0)
	v_pk_add_f32 v[40:41], v[58:59], v[40:41] neg_lo:[0,1] neg_hi:[0,1]
	buffer_store_dword v40, off, s[0:3], 0 offset:112
	buffer_store_dword v41, off, s[0:3], 0 offset:116
	s_and_saveexec_b64 s[4:5], vcc
	s_cbranch_execz .LBB82_101
; %bb.100:
	buffer_load_dword v40, off, s[0:3], 0 offset:104
	buffer_load_dword v41, off, s[0:3], 0 offset:108
	v_mov_b32_e32 v42, 0
	buffer_store_dword v42, off, s[0:3], 0 offset:104
	buffer_store_dword v42, off, s[0:3], 0 offset:108
	s_waitcnt vmcnt(2)
	ds_write_b64 v1, v[40:41]
.LBB82_101:
	s_or_b64 exec, exec, s[4:5]
	s_waitcnt lgkmcnt(0)
	; wave barrier
	s_waitcnt lgkmcnt(0)
	buffer_load_dword v51, off, s[0:3], 0 offset:116
	buffer_load_dword v53, off, s[0:3], 0 offset:124
	;; [unrolled: 1-line block ×12, first 2 shown]
	v_mov_b32_e32 v40, 0
	ds_read_b128 v[42:45], v40 offset:272
	ds_read_b128 v[46:49], v40 offset:288
	ds_read_b64 v[62:63], v40 offset:304
	v_cmp_lt_u32_e32 vcc, 12, v0
	s_waitcnt vmcnt(11)
	v_mov_b32_e32 v64, v51
	s_waitcnt vmcnt(10)
	v_mov_b32_e32 v66, v53
	s_waitcnt lgkmcnt(2)
	v_pk_mul_f32 v[64:65], v[42:43], v[64:65] op_sel_hi:[1,0]
	s_waitcnt vmcnt(9)
	v_mov_b32_e32 v68, v55
	v_pk_mul_f32 v[66:67], v[44:45], v[66:67] op_sel_hi:[1,0]
	s_waitcnt vmcnt(6)
	v_pk_fma_f32 v[74:75], v[42:43], v[50:51], v[64:65] op_sel:[0,0,1] op_sel_hi:[1,1,0] neg_lo:[0,0,1] neg_hi:[0,0,1]
	v_pk_fma_f32 v[42:43], v[42:43], v[50:51], v[64:65] op_sel:[0,0,1] op_sel_hi:[1,0,0]
	v_mov_b32_e32 v70, v57
	s_waitcnt lgkmcnt(1)
	v_pk_mul_f32 v[68:69], v[46:47], v[68:69] op_sel_hi:[1,0]
	s_waitcnt vmcnt(5)
	v_pk_fma_f32 v[50:51], v[44:45], v[52:53], v[66:67] op_sel:[0,0,1] op_sel_hi:[1,1,0] neg_lo:[0,0,1] neg_hi:[0,0,1]
	v_pk_fma_f32 v[44:45], v[44:45], v[52:53], v[66:67] op_sel:[0,0,1] op_sel_hi:[1,0,0]
	v_mov_b32_e32 v75, v43
	v_mov_b32_e32 v72, v59
	v_pk_mul_f32 v[70:71], v[48:49], v[70:71] op_sel_hi:[1,0]
	s_waitcnt vmcnt(4)
	v_pk_fma_f32 v[52:53], v[46:47], v[54:55], v[68:69] op_sel:[0,0,1] op_sel_hi:[1,1,0] neg_lo:[0,0,1] neg_hi:[0,0,1]
	v_pk_fma_f32 v[46:47], v[46:47], v[54:55], v[68:69] op_sel:[0,0,1] op_sel_hi:[1,0,0]
	v_mov_b32_e32 v51, v45
	v_pk_add_f32 v[42:43], v[74:75], 0 op_sel_hi:[1,0]
	s_waitcnt lgkmcnt(0)
	v_pk_mul_f32 v[72:73], v[62:63], v[72:73] op_sel_hi:[1,0]
	s_waitcnt vmcnt(3)
	v_pk_fma_f32 v[54:55], v[48:49], v[56:57], v[70:71] op_sel:[0,0,1] op_sel_hi:[1,1,0] neg_lo:[0,0,1] neg_hi:[0,0,1]
	v_pk_fma_f32 v[48:49], v[48:49], v[56:57], v[70:71] op_sel:[0,0,1] op_sel_hi:[1,0,0]
	v_mov_b32_e32 v53, v47
	v_pk_add_f32 v[42:43], v[42:43], v[50:51]
	s_waitcnt vmcnt(2)
	v_pk_fma_f32 v[56:57], v[62:63], v[58:59], v[72:73] op_sel:[0,0,1] op_sel_hi:[1,1,0] neg_lo:[0,0,1] neg_hi:[0,0,1]
	v_pk_fma_f32 v[58:59], v[62:63], v[58:59], v[72:73] op_sel:[0,0,1] op_sel_hi:[1,0,0]
	v_mov_b32_e32 v55, v49
	v_pk_add_f32 v[42:43], v[42:43], v[52:53]
	v_mov_b32_e32 v57, v59
	v_pk_add_f32 v[42:43], v[42:43], v[54:55]
	v_pk_add_f32 v[42:43], v[42:43], v[56:57]
	s_waitcnt vmcnt(0)
	v_pk_add_f32 v[42:43], v[60:61], v[42:43] neg_lo:[0,1] neg_hi:[0,1]
	buffer_store_dword v42, off, s[0:3], 0 offset:104
	buffer_store_dword v43, off, s[0:3], 0 offset:108
	s_and_saveexec_b64 s[4:5], vcc
	s_cbranch_execz .LBB82_103
; %bb.102:
	buffer_load_dword v42, off, s[0:3], 0 offset:96
	buffer_load_dword v43, off, s[0:3], 0 offset:100
	s_waitcnt vmcnt(0)
	ds_write_b64 v1, v[42:43]
	buffer_store_dword v40, off, s[0:3], 0 offset:96
	buffer_store_dword v40, off, s[0:3], 0 offset:100
.LBB82_103:
	s_or_b64 exec, exec, s[4:5]
	s_waitcnt lgkmcnt(0)
	; wave barrier
	s_waitcnt lgkmcnt(0)
	buffer_load_dword v55, off, s[0:3], 0 offset:108
	buffer_load_dword v57, off, s[0:3], 0 offset:116
	buffer_load_dword v59, off, s[0:3], 0 offset:124
	buffer_load_dword v61, off, s[0:3], 0 offset:132
	buffer_load_dword v63, off, s[0:3], 0 offset:140
	buffer_load_dword v65, off, s[0:3], 0 offset:148
	buffer_load_dword v54, off, s[0:3], 0 offset:104
	buffer_load_dword v56, off, s[0:3], 0 offset:112
	buffer_load_dword v58, off, s[0:3], 0 offset:120
	buffer_load_dword v60, off, s[0:3], 0 offset:128
	buffer_load_dword v62, off, s[0:3], 0 offset:136
	buffer_load_dword v64, off, s[0:3], 0 offset:144
	buffer_load_dword v66, off, s[0:3], 0 offset:96
	buffer_load_dword v67, off, s[0:3], 0 offset:100
	ds_read2_b64 v[42:45], v40 offset0:33 offset1:34
	ds_read2_b64 v[46:49], v40 offset0:35 offset1:36
	ds_read2_b64 v[50:53], v40 offset0:37 offset1:38
	v_cmp_lt_u32_e32 vcc, 11, v0
	s_waitcnt vmcnt(13)
	v_mov_b32_e32 v40, v55
	s_waitcnt vmcnt(12)
	v_mov_b32_e32 v68, v57
	s_waitcnt lgkmcnt(2)
	v_pk_mul_f32 v[40:41], v[42:43], v[40:41] op_sel_hi:[1,0]
	s_waitcnt vmcnt(11)
	v_mov_b32_e32 v70, v59
	v_pk_mul_f32 v[68:69], v[44:45], v[68:69] op_sel_hi:[1,0]
	s_waitcnt vmcnt(10)
	v_mov_b32_e32 v72, v61
	s_waitcnt vmcnt(7)
	v_pk_fma_f32 v[78:79], v[42:43], v[54:55], v[40:41] op_sel:[0,0,1] op_sel_hi:[1,1,0] neg_lo:[0,0,1] neg_hi:[0,0,1]
	v_pk_fma_f32 v[40:41], v[42:43], v[54:55], v[40:41] op_sel:[0,0,1] op_sel_hi:[1,0,0]
	s_waitcnt lgkmcnt(1)
	v_pk_mul_f32 v[70:71], v[46:47], v[70:71] op_sel_hi:[1,0]
	s_waitcnt vmcnt(6)
	v_pk_fma_f32 v[42:43], v[44:45], v[56:57], v[68:69] op_sel:[0,0,1] op_sel_hi:[1,1,0] neg_lo:[0,0,1] neg_hi:[0,0,1]
	v_pk_fma_f32 v[44:45], v[44:45], v[56:57], v[68:69] op_sel:[0,0,1] op_sel_hi:[1,0,0]
	v_mov_b32_e32 v79, v41
	v_mov_b32_e32 v74, v63
	v_pk_mul_f32 v[72:73], v[48:49], v[72:73] op_sel_hi:[1,0]
	s_waitcnt vmcnt(5)
	v_pk_fma_f32 v[54:55], v[46:47], v[58:59], v[70:71] op_sel:[0,0,1] op_sel_hi:[1,1,0] neg_lo:[0,0,1] neg_hi:[0,0,1]
	v_pk_fma_f32 v[46:47], v[46:47], v[58:59], v[70:71] op_sel:[0,0,1] op_sel_hi:[1,0,0]
	v_mov_b32_e32 v43, v45
	v_pk_add_f32 v[40:41], v[78:79], 0 op_sel_hi:[1,0]
	v_mov_b32_e32 v76, v65
	s_waitcnt lgkmcnt(0)
	v_pk_mul_f32 v[74:75], v[50:51], v[74:75] op_sel_hi:[1,0]
	s_waitcnt vmcnt(4)
	v_pk_fma_f32 v[56:57], v[48:49], v[60:61], v[72:73] op_sel:[0,0,1] op_sel_hi:[1,1,0] neg_lo:[0,0,1] neg_hi:[0,0,1]
	v_pk_fma_f32 v[48:49], v[48:49], v[60:61], v[72:73] op_sel:[0,0,1] op_sel_hi:[1,0,0]
	v_mov_b32_e32 v55, v47
	v_pk_add_f32 v[40:41], v[40:41], v[42:43]
	v_pk_mul_f32 v[76:77], v[52:53], v[76:77] op_sel_hi:[1,0]
	s_waitcnt vmcnt(3)
	v_pk_fma_f32 v[58:59], v[50:51], v[62:63], v[74:75] op_sel:[0,0,1] op_sel_hi:[1,1,0] neg_lo:[0,0,1] neg_hi:[0,0,1]
	v_pk_fma_f32 v[50:51], v[50:51], v[62:63], v[74:75] op_sel:[0,0,1] op_sel_hi:[1,0,0]
	v_mov_b32_e32 v57, v49
	v_pk_add_f32 v[40:41], v[40:41], v[54:55]
	s_waitcnt vmcnt(2)
	v_pk_fma_f32 v[60:61], v[52:53], v[64:65], v[76:77] op_sel:[0,0,1] op_sel_hi:[1,1,0] neg_lo:[0,0,1] neg_hi:[0,0,1]
	v_pk_fma_f32 v[52:53], v[52:53], v[64:65], v[76:77] op_sel:[0,0,1] op_sel_hi:[1,0,0]
	v_mov_b32_e32 v59, v51
	v_pk_add_f32 v[40:41], v[40:41], v[56:57]
	v_mov_b32_e32 v61, v53
	v_pk_add_f32 v[40:41], v[40:41], v[58:59]
	v_pk_add_f32 v[40:41], v[40:41], v[60:61]
	s_waitcnt vmcnt(0)
	v_pk_add_f32 v[40:41], v[66:67], v[40:41] neg_lo:[0,1] neg_hi:[0,1]
	buffer_store_dword v40, off, s[0:3], 0 offset:96
	buffer_store_dword v41, off, s[0:3], 0 offset:100
	s_and_saveexec_b64 s[4:5], vcc
	s_cbranch_execz .LBB82_105
; %bb.104:
	buffer_load_dword v40, off, s[0:3], 0 offset:88
	buffer_load_dword v41, off, s[0:3], 0 offset:92
	v_mov_b32_e32 v42, 0
	buffer_store_dword v42, off, s[0:3], 0 offset:88
	buffer_store_dword v42, off, s[0:3], 0 offset:92
	s_waitcnt vmcnt(2)
	ds_write_b64 v1, v[40:41]
.LBB82_105:
	s_or_b64 exec, exec, s[4:5]
	s_waitcnt lgkmcnt(0)
	; wave barrier
	s_waitcnt lgkmcnt(0)
	buffer_load_dword v55, off, s[0:3], 0 offset:100
	buffer_load_dword v57, off, s[0:3], 0 offset:108
	;; [unrolled: 1-line block ×16, first 2 shown]
	v_mov_b32_e32 v40, 0
	ds_read_b128 v[42:45], v40 offset:256
	ds_read_b128 v[46:49], v40 offset:272
	;; [unrolled: 1-line block ×3, first 2 shown]
	ds_read_b64 v[70:71], v40 offset:304
	v_cmp_lt_u32_e32 vcc, 10, v0
	s_waitcnt vmcnt(15)
	v_mov_b32_e32 v72, v55
	s_waitcnt vmcnt(14)
	v_mov_b32_e32 v74, v57
	s_waitcnt lgkmcnt(3)
	v_pk_mul_f32 v[72:73], v[42:43], v[72:73] op_sel_hi:[1,0]
	s_waitcnt vmcnt(13)
	v_mov_b32_e32 v76, v59
	v_pk_mul_f32 v[74:75], v[44:45], v[74:75] op_sel_hi:[1,0]
	s_waitcnt vmcnt(12)
	v_mov_b32_e32 v78, v61
	s_waitcnt lgkmcnt(2)
	v_pk_mul_f32 v[76:77], v[46:47], v[76:77] op_sel_hi:[1,0]
	s_waitcnt vmcnt(8)
	v_pk_fma_f32 v[86:87], v[42:43], v[54:55], v[72:73] op_sel:[0,0,1] op_sel_hi:[1,1,0] neg_lo:[0,0,1] neg_hi:[0,0,1]
	v_pk_fma_f32 v[42:43], v[42:43], v[54:55], v[72:73] op_sel:[0,0,1] op_sel_hi:[1,0,0]
	s_waitcnt vmcnt(7)
	v_pk_fma_f32 v[54:55], v[44:45], v[56:57], v[74:75] op_sel:[0,0,1] op_sel_hi:[1,1,0] neg_lo:[0,0,1] neg_hi:[0,0,1]
	v_pk_fma_f32 v[44:45], v[44:45], v[56:57], v[74:75] op_sel:[0,0,1] op_sel_hi:[1,0,0]
	v_mov_b32_e32 v87, v43
	v_mov_b32_e32 v80, v63
	v_pk_mul_f32 v[78:79], v[48:49], v[78:79] op_sel_hi:[1,0]
	s_waitcnt vmcnt(6)
	v_pk_fma_f32 v[56:57], v[46:47], v[58:59], v[76:77] op_sel:[0,0,1] op_sel_hi:[1,1,0] neg_lo:[0,0,1] neg_hi:[0,0,1]
	v_pk_fma_f32 v[46:47], v[46:47], v[58:59], v[76:77] op_sel:[0,0,1] op_sel_hi:[1,0,0]
	v_mov_b32_e32 v55, v45
	v_pk_add_f32 v[42:43], v[86:87], 0 op_sel_hi:[1,0]
	v_mov_b32_e32 v82, v65
	s_waitcnt lgkmcnt(1)
	v_pk_mul_f32 v[80:81], v[50:51], v[80:81] op_sel_hi:[1,0]
	s_waitcnt vmcnt(5)
	v_pk_fma_f32 v[58:59], v[48:49], v[60:61], v[78:79] op_sel:[0,0,1] op_sel_hi:[1,1,0] neg_lo:[0,0,1] neg_hi:[0,0,1]
	v_pk_fma_f32 v[48:49], v[48:49], v[60:61], v[78:79] op_sel:[0,0,1] op_sel_hi:[1,0,0]
	v_mov_b32_e32 v57, v47
	v_pk_add_f32 v[42:43], v[42:43], v[54:55]
	v_mov_b32_e32 v84, v67
	v_pk_mul_f32 v[82:83], v[52:53], v[82:83] op_sel_hi:[1,0]
	s_waitcnt vmcnt(4)
	v_pk_fma_f32 v[60:61], v[50:51], v[62:63], v[80:81] op_sel:[0,0,1] op_sel_hi:[1,1,0] neg_lo:[0,0,1] neg_hi:[0,0,1]
	v_pk_fma_f32 v[50:51], v[50:51], v[62:63], v[80:81] op_sel:[0,0,1] op_sel_hi:[1,0,0]
	v_mov_b32_e32 v59, v49
	v_pk_add_f32 v[42:43], v[42:43], v[56:57]
	s_waitcnt lgkmcnt(0)
	v_pk_mul_f32 v[84:85], v[70:71], v[84:85] op_sel_hi:[1,0]
	s_waitcnt vmcnt(3)
	v_pk_fma_f32 v[62:63], v[52:53], v[64:65], v[82:83] op_sel:[0,0,1] op_sel_hi:[1,1,0] neg_lo:[0,0,1] neg_hi:[0,0,1]
	v_pk_fma_f32 v[52:53], v[52:53], v[64:65], v[82:83] op_sel:[0,0,1] op_sel_hi:[1,0,0]
	v_mov_b32_e32 v61, v51
	v_pk_add_f32 v[42:43], v[42:43], v[58:59]
	s_waitcnt vmcnt(2)
	v_pk_fma_f32 v[64:65], v[70:71], v[66:67], v[84:85] op_sel:[0,0,1] op_sel_hi:[1,1,0] neg_lo:[0,0,1] neg_hi:[0,0,1]
	v_pk_fma_f32 v[66:67], v[70:71], v[66:67], v[84:85] op_sel:[0,0,1] op_sel_hi:[1,0,0]
	v_mov_b32_e32 v63, v53
	v_pk_add_f32 v[42:43], v[42:43], v[60:61]
	v_mov_b32_e32 v65, v67
	v_pk_add_f32 v[42:43], v[42:43], v[62:63]
	v_pk_add_f32 v[42:43], v[42:43], v[64:65]
	s_waitcnt vmcnt(0)
	v_pk_add_f32 v[42:43], v[68:69], v[42:43] neg_lo:[0,1] neg_hi:[0,1]
	buffer_store_dword v42, off, s[0:3], 0 offset:88
	buffer_store_dword v43, off, s[0:3], 0 offset:92
	s_and_saveexec_b64 s[4:5], vcc
	s_cbranch_execz .LBB82_107
; %bb.106:
	buffer_load_dword v42, off, s[0:3], 0 offset:80
	buffer_load_dword v43, off, s[0:3], 0 offset:84
	s_waitcnt vmcnt(0)
	ds_write_b64 v1, v[42:43]
	buffer_store_dword v40, off, s[0:3], 0 offset:80
	buffer_store_dword v40, off, s[0:3], 0 offset:84
.LBB82_107:
	s_or_b64 exec, exec, s[4:5]
	s_waitcnt lgkmcnt(0)
	; wave barrier
	s_waitcnt lgkmcnt(0)
	buffer_load_dword v59, off, s[0:3], 0 offset:92
	buffer_load_dword v61, off, s[0:3], 0 offset:100
	;; [unrolled: 1-line block ×18, first 2 shown]
	ds_read2_b64 v[42:45], v40 offset0:31 offset1:32
	ds_read2_b64 v[46:49], v40 offset0:33 offset1:34
	;; [unrolled: 1-line block ×4, first 2 shown]
	v_cmp_lt_u32_e32 vcc, 9, v0
	s_waitcnt vmcnt(17)
	v_mov_b32_e32 v40, v59
	s_waitcnt vmcnt(16)
	v_mov_b32_e32 v76, v61
	s_waitcnt lgkmcnt(3)
	v_pk_mul_f32 v[40:41], v[42:43], v[40:41] op_sel_hi:[1,0]
	s_waitcnt vmcnt(15)
	v_mov_b32_e32 v78, v63
	v_pk_mul_f32 v[76:77], v[44:45], v[76:77] op_sel_hi:[1,0]
	s_waitcnt vmcnt(14)
	v_mov_b32_e32 v80, v65
	s_waitcnt lgkmcnt(2)
	v_pk_mul_f32 v[78:79], v[46:47], v[78:79] op_sel_hi:[1,0]
	s_waitcnt vmcnt(13)
	v_mov_b32_e32 v82, v67
	s_waitcnt vmcnt(9)
	v_pk_fma_f32 v[90:91], v[42:43], v[58:59], v[40:41] op_sel:[0,0,1] op_sel_hi:[1,1,0] neg_lo:[0,0,1] neg_hi:[0,0,1]
	v_pk_fma_f32 v[40:41], v[42:43], v[58:59], v[40:41] op_sel:[0,0,1] op_sel_hi:[1,0,0]
	s_waitcnt vmcnt(8)
	v_pk_fma_f32 v[42:43], v[44:45], v[60:61], v[76:77] op_sel:[0,0,1] op_sel_hi:[1,1,0] neg_lo:[0,0,1] neg_hi:[0,0,1]
	v_pk_fma_f32 v[44:45], v[44:45], v[60:61], v[76:77] op_sel:[0,0,1] op_sel_hi:[1,0,0]
	v_mov_b32_e32 v91, v41
	v_pk_mul_f32 v[80:81], v[48:49], v[80:81] op_sel_hi:[1,0]
	s_waitcnt vmcnt(7)
	v_pk_fma_f32 v[58:59], v[46:47], v[62:63], v[78:79] op_sel:[0,0,1] op_sel_hi:[1,1,0] neg_lo:[0,0,1] neg_hi:[0,0,1]
	v_pk_fma_f32 v[46:47], v[46:47], v[62:63], v[78:79] op_sel:[0,0,1] op_sel_hi:[1,0,0]
	v_mov_b32_e32 v43, v45
	v_pk_add_f32 v[40:41], v[90:91], 0 op_sel_hi:[1,0]
	v_mov_b32_e32 v84, v69
	s_waitcnt lgkmcnt(1)
	v_pk_mul_f32 v[82:83], v[50:51], v[82:83] op_sel_hi:[1,0]
	s_waitcnt vmcnt(6)
	v_pk_fma_f32 v[60:61], v[48:49], v[64:65], v[80:81] op_sel:[0,0,1] op_sel_hi:[1,1,0] neg_lo:[0,0,1] neg_hi:[0,0,1]
	v_pk_fma_f32 v[48:49], v[48:49], v[64:65], v[80:81] op_sel:[0,0,1] op_sel_hi:[1,0,0]
	v_mov_b32_e32 v59, v47
	v_pk_add_f32 v[40:41], v[40:41], v[42:43]
	v_mov_b32_e32 v86, v71
	v_pk_mul_f32 v[84:85], v[52:53], v[84:85] op_sel_hi:[1,0]
	s_waitcnt vmcnt(5)
	v_pk_fma_f32 v[62:63], v[50:51], v[66:67], v[82:83] op_sel:[0,0,1] op_sel_hi:[1,1,0] neg_lo:[0,0,1] neg_hi:[0,0,1]
	v_pk_fma_f32 v[50:51], v[50:51], v[66:67], v[82:83] op_sel:[0,0,1] op_sel_hi:[1,0,0]
	v_mov_b32_e32 v61, v49
	v_pk_add_f32 v[40:41], v[40:41], v[58:59]
	v_mov_b32_e32 v88, v73
	s_waitcnt lgkmcnt(0)
	v_pk_mul_f32 v[86:87], v[54:55], v[86:87] op_sel_hi:[1,0]
	s_waitcnt vmcnt(4)
	v_pk_fma_f32 v[64:65], v[52:53], v[68:69], v[84:85] op_sel:[0,0,1] op_sel_hi:[1,1,0] neg_lo:[0,0,1] neg_hi:[0,0,1]
	v_pk_fma_f32 v[52:53], v[52:53], v[68:69], v[84:85] op_sel:[0,0,1] op_sel_hi:[1,0,0]
	v_mov_b32_e32 v63, v51
	v_pk_add_f32 v[40:41], v[40:41], v[60:61]
	v_pk_mul_f32 v[88:89], v[56:57], v[88:89] op_sel_hi:[1,0]
	s_waitcnt vmcnt(3)
	v_pk_fma_f32 v[66:67], v[54:55], v[70:71], v[86:87] op_sel:[0,0,1] op_sel_hi:[1,1,0] neg_lo:[0,0,1] neg_hi:[0,0,1]
	v_pk_fma_f32 v[54:55], v[54:55], v[70:71], v[86:87] op_sel:[0,0,1] op_sel_hi:[1,0,0]
	v_mov_b32_e32 v65, v53
	v_pk_add_f32 v[40:41], v[40:41], v[62:63]
	s_waitcnt vmcnt(2)
	v_pk_fma_f32 v[68:69], v[56:57], v[72:73], v[88:89] op_sel:[0,0,1] op_sel_hi:[1,1,0] neg_lo:[0,0,1] neg_hi:[0,0,1]
	v_pk_fma_f32 v[56:57], v[56:57], v[72:73], v[88:89] op_sel:[0,0,1] op_sel_hi:[1,0,0]
	v_mov_b32_e32 v67, v55
	v_pk_add_f32 v[40:41], v[40:41], v[64:65]
	v_mov_b32_e32 v69, v57
	v_pk_add_f32 v[40:41], v[40:41], v[66:67]
	v_pk_add_f32 v[40:41], v[40:41], v[68:69]
	s_waitcnt vmcnt(0)
	v_pk_add_f32 v[40:41], v[74:75], v[40:41] neg_lo:[0,1] neg_hi:[0,1]
	buffer_store_dword v40, off, s[0:3], 0 offset:80
	buffer_store_dword v41, off, s[0:3], 0 offset:84
	s_and_saveexec_b64 s[4:5], vcc
	s_cbranch_execz .LBB82_109
; %bb.108:
	buffer_load_dword v40, off, s[0:3], 0 offset:72
	buffer_load_dword v41, off, s[0:3], 0 offset:76
	v_mov_b32_e32 v42, 0
	buffer_store_dword v42, off, s[0:3], 0 offset:72
	buffer_store_dword v42, off, s[0:3], 0 offset:76
	s_waitcnt vmcnt(2)
	ds_write_b64 v1, v[40:41]
.LBB82_109:
	s_or_b64 exec, exec, s[4:5]
	s_waitcnt lgkmcnt(0)
	; wave barrier
	s_waitcnt lgkmcnt(0)
	buffer_load_dword v41, off, s[0:3], 0 offset:84
	buffer_load_dword v59, off, s[0:3], 0 offset:92
	;; [unrolled: 1-line block ×20, first 2 shown]
	v_mov_b32_e32 v40, 0
	ds_read_b128 v[42:45], v40 offset:240
	ds_read_b128 v[46:49], v40 offset:256
	;; [unrolled: 1-line block ×4, first 2 shown]
	ds_read_b64 v[76:77], v40 offset:304
	v_cmp_lt_u32_e32 vcc, 8, v0
	s_waitcnt vmcnt(19) lgkmcnt(4)
	v_mul_f32_e32 v79, v42, v41
	v_mul_f32_e32 v41, v43, v41
	s_waitcnt vmcnt(18)
	v_mov_b32_e32 v80, v59
	s_waitcnt vmcnt(17)
	v_mov_b32_e32 v82, v61
	;; [unrolled: 2-line block ×8, first 2 shown]
	s_waitcnt vmcnt(10)
	v_fmac_f32_e32 v79, v43, v78
	v_fma_f32 v78, v42, v78, -v41
	v_pk_mul_f32 v[42:43], v[44:45], v[80:81] op_sel_hi:[1,0]
	s_waitcnt lgkmcnt(3)
	v_pk_mul_f32 v[80:81], v[46:47], v[82:83] op_sel_hi:[1,0]
	v_pk_mul_f32 v[82:83], v[48:49], v[84:85] op_sel_hi:[1,0]
	s_waitcnt lgkmcnt(2)
	v_pk_mul_f32 v[84:85], v[50:51], v[86:87] op_sel_hi:[1,0]
	;; [unrolled: 3-line block ×4, first 2 shown]
	s_waitcnt vmcnt(9)
	v_pk_fma_f32 v[94:95], v[44:45], v[58:59], v[42:43] op_sel:[0,0,1] op_sel_hi:[1,1,0] neg_lo:[0,0,1] neg_hi:[0,0,1]
	v_pk_fma_f32 v[42:43], v[44:45], v[58:59], v[42:43] op_sel:[0,0,1] op_sel_hi:[1,0,0]
	v_pk_add_f32 v[78:79], v[78:79], 0 op_sel_hi:[1,0]
	s_waitcnt vmcnt(8)
	v_pk_fma_f32 v[44:45], v[46:47], v[60:61], v[80:81] op_sel:[0,0,1] op_sel_hi:[1,1,0] neg_lo:[0,0,1] neg_hi:[0,0,1]
	v_pk_fma_f32 v[46:47], v[46:47], v[60:61], v[80:81] op_sel:[0,0,1] op_sel_hi:[1,0,0]
	v_mov_b32_e32 v95, v43
	s_waitcnt vmcnt(7)
	v_pk_fma_f32 v[58:59], v[48:49], v[62:63], v[82:83] op_sel:[0,0,1] op_sel_hi:[1,1,0] neg_lo:[0,0,1] neg_hi:[0,0,1]
	v_pk_fma_f32 v[48:49], v[48:49], v[62:63], v[82:83] op_sel:[0,0,1] op_sel_hi:[1,0,0]
	v_mov_b32_e32 v45, v47
	v_pk_add_f32 v[42:43], v[78:79], v[94:95]
	s_waitcnt vmcnt(6)
	v_pk_fma_f32 v[60:61], v[50:51], v[64:65], v[84:85] op_sel:[0,0,1] op_sel_hi:[1,1,0] neg_lo:[0,0,1] neg_hi:[0,0,1]
	v_pk_fma_f32 v[50:51], v[50:51], v[64:65], v[84:85] op_sel:[0,0,1] op_sel_hi:[1,0,0]
	v_mov_b32_e32 v59, v49
	v_pk_add_f32 v[42:43], v[42:43], v[44:45]
	;; [unrolled: 5-line block ×5, first 2 shown]
	v_pk_fma_f32 v[68:69], v[76:77], v[72:73], v[92:93] op_sel:[0,0,1] op_sel_hi:[1,1,0] neg_lo:[0,0,1] neg_hi:[0,0,1]
	v_pk_fma_f32 v[70:71], v[76:77], v[72:73], v[92:93] op_sel:[0,0,1] op_sel_hi:[1,0,0]
	v_mov_b32_e32 v67, v57
	v_pk_add_f32 v[42:43], v[42:43], v[64:65]
	v_mov_b32_e32 v69, v71
	v_pk_add_f32 v[42:43], v[42:43], v[66:67]
	v_pk_add_f32 v[42:43], v[42:43], v[68:69]
	s_waitcnt vmcnt(0)
	v_pk_add_f32 v[42:43], v[74:75], v[42:43] neg_lo:[0,1] neg_hi:[0,1]
	buffer_store_dword v42, off, s[0:3], 0 offset:72
	buffer_store_dword v43, off, s[0:3], 0 offset:76
	s_and_saveexec_b64 s[4:5], vcc
	s_cbranch_execz .LBB82_111
; %bb.110:
	buffer_load_dword v42, off, s[0:3], 0 offset:64
	buffer_load_dword v43, off, s[0:3], 0 offset:68
	s_waitcnt vmcnt(0)
	ds_write_b64 v1, v[42:43]
	buffer_store_dword v40, off, s[0:3], 0 offset:64
	buffer_store_dword v40, off, s[0:3], 0 offset:68
.LBB82_111:
	s_or_b64 exec, exec, s[4:5]
	s_waitcnt lgkmcnt(0)
	; wave barrier
	s_waitcnt lgkmcnt(0)
	buffer_load_dword v80, off, s[0:3], 0 offset:76
	buffer_load_dword v82, off, s[0:3], 0 offset:84
	;; [unrolled: 1-line block ×22, first 2 shown]
	ds_read2_b64 v[42:45], v40 offset0:29 offset1:30
	ds_read2_b64 v[46:49], v40 offset0:31 offset1:32
	ds_read2_b64 v[50:53], v40 offset0:33 offset1:34
	ds_read2_b64 v[54:57], v40 offset0:35 offset1:36
	ds_read2_b64 v[58:61], v40 offset0:37 offset1:38
	v_cmp_lt_u32_e32 vcc, 7, v0
	s_waitcnt vmcnt(21) lgkmcnt(4)
	v_mul_f32_e32 v41, v42, v80
	s_waitcnt vmcnt(20)
	v_mul_f32_e32 v81, v44, v82
	v_mul_f32_e32 v40, v43, v80
	;; [unrolled: 1-line block ×3, first 2 shown]
	s_waitcnt vmcnt(19)
	v_mov_b32_e32 v82, v63
	s_waitcnt vmcnt(18)
	v_mov_b32_e32 v84, v65
	;; [unrolled: 2-line block ×5, first 2 shown]
	v_mov_b32_e32 v88, v69
	s_waitcnt vmcnt(11)
	v_fmac_f32_e32 v41, v43, v83
	v_fma_f32 v40, v42, v83, -v40
	s_waitcnt lgkmcnt(3)
	v_pk_mul_f32 v[42:43], v[46:47], v[82:83] op_sel_hi:[1,0]
	s_waitcnt vmcnt(10)
	v_fmac_f32_e32 v81, v45, v85
	v_fma_f32 v80, v44, v85, -v80
	v_pk_mul_f32 v[44:45], v[48:49], v[84:85] op_sel_hi:[1,0]
	s_waitcnt lgkmcnt(2)
	v_pk_mul_f32 v[82:83], v[50:51], v[86:87] op_sel_hi:[1,0]
	s_waitcnt lgkmcnt(1)
	;; [unrolled: 2-line block ×3, first 2 shown]
	v_pk_mul_f32 v[90:91], v[58:59], v[94:95] op_sel_hi:[1,0]
	v_pk_add_f32 v[40:41], v[40:41], 0 op_sel_hi:[1,0]
	s_waitcnt vmcnt(9)
	v_pk_fma_f32 v[94:95], v[46:47], v[62:63], v[42:43] op_sel:[0,0,1] op_sel_hi:[1,1,0] neg_lo:[0,0,1] neg_hi:[0,0,1]
	v_pk_fma_f32 v[42:43], v[46:47], v[62:63], v[42:43] op_sel:[0,0,1] op_sel_hi:[1,0,0]
	s_waitcnt vmcnt(8)
	v_pk_fma_f32 v[46:47], v[48:49], v[64:65], v[44:45] op_sel:[0,0,1] op_sel_hi:[1,1,0] neg_lo:[0,0,1] neg_hi:[0,0,1]
	v_pk_fma_f32 v[44:45], v[48:49], v[64:65], v[44:45] op_sel:[0,0,1] op_sel_hi:[1,0,0]
	v_pk_add_f32 v[40:41], v[40:41], v[80:81]
	v_mov_b32_e32 v95, v43
	v_pk_mul_f32 v[84:85], v[52:53], v[88:89] op_sel_hi:[1,0]
	s_waitcnt vmcnt(7)
	v_pk_fma_f32 v[48:49], v[50:51], v[66:67], v[82:83] op_sel:[0,0,1] op_sel_hi:[1,1,0] neg_lo:[0,0,1] neg_hi:[0,0,1]
	v_pk_fma_f32 v[50:51], v[50:51], v[66:67], v[82:83] op_sel:[0,0,1] op_sel_hi:[1,0,0]
	v_mov_b32_e32 v47, v45
	v_pk_add_f32 v[40:41], v[40:41], v[94:95]
	v_mov_b32_e32 v92, v73
	s_waitcnt vmcnt(6)
	v_pk_fma_f32 v[62:63], v[52:53], v[68:69], v[84:85] op_sel:[0,0,1] op_sel_hi:[1,1,0] neg_lo:[0,0,1] neg_hi:[0,0,1]
	v_pk_fma_f32 v[52:53], v[52:53], v[68:69], v[84:85] op_sel:[0,0,1] op_sel_hi:[1,0,0]
	v_mov_b32_e32 v49, v51
	v_pk_add_f32 v[40:41], v[40:41], v[46:47]
	v_pk_mul_f32 v[88:89], v[56:57], v[92:93] op_sel_hi:[1,0]
	s_waitcnt vmcnt(5)
	v_pk_fma_f32 v[64:65], v[54:55], v[70:71], v[86:87] op_sel:[0,0,1] op_sel_hi:[1,1,0] neg_lo:[0,0,1] neg_hi:[0,0,1]
	v_pk_fma_f32 v[54:55], v[54:55], v[70:71], v[86:87] op_sel:[0,0,1] op_sel_hi:[1,0,0]
	v_mov_b32_e32 v63, v53
	v_pk_add_f32 v[40:41], v[40:41], v[48:49]
	v_mov_b32_e32 v96, v77
	s_waitcnt vmcnt(2)
	v_pk_fma_f32 v[66:67], v[56:57], v[72:73], v[88:89] op_sel:[0,0,1] op_sel_hi:[1,1,0] neg_lo:[0,0,1] neg_hi:[0,0,1]
	v_pk_fma_f32 v[56:57], v[56:57], v[72:73], v[88:89] op_sel:[0,0,1] op_sel_hi:[1,0,0]
	v_mov_b32_e32 v65, v55
	v_pk_add_f32 v[40:41], v[40:41], v[62:63]
	v_pk_mul_f32 v[92:93], v[60:61], v[96:97] op_sel_hi:[1,0]
	v_pk_fma_f32 v[68:69], v[58:59], v[74:75], v[90:91] op_sel:[0,0,1] op_sel_hi:[1,1,0] neg_lo:[0,0,1] neg_hi:[0,0,1]
	v_pk_fma_f32 v[58:59], v[58:59], v[74:75], v[90:91] op_sel:[0,0,1] op_sel_hi:[1,0,0]
	v_mov_b32_e32 v67, v57
	v_pk_add_f32 v[40:41], v[40:41], v[64:65]
	v_pk_fma_f32 v[70:71], v[60:61], v[76:77], v[92:93] op_sel:[0,0,1] op_sel_hi:[1,1,0] neg_lo:[0,0,1] neg_hi:[0,0,1]
	v_pk_fma_f32 v[60:61], v[60:61], v[76:77], v[92:93] op_sel:[0,0,1] op_sel_hi:[1,0,0]
	v_mov_b32_e32 v69, v59
	v_pk_add_f32 v[40:41], v[40:41], v[66:67]
	v_mov_b32_e32 v71, v61
	v_pk_add_f32 v[40:41], v[40:41], v[68:69]
	v_pk_add_f32 v[40:41], v[40:41], v[70:71]
	s_waitcnt vmcnt(0)
	v_pk_add_f32 v[40:41], v[78:79], v[40:41] neg_lo:[0,1] neg_hi:[0,1]
	buffer_store_dword v40, off, s[0:3], 0 offset:64
	buffer_store_dword v41, off, s[0:3], 0 offset:68
	s_and_saveexec_b64 s[4:5], vcc
	s_cbranch_execz .LBB82_113
; %bb.112:
	buffer_load_dword v40, off, s[0:3], 0 offset:56
	buffer_load_dword v41, off, s[0:3], 0 offset:60
	v_mov_b32_e32 v42, 0
	buffer_store_dword v42, off, s[0:3], 0 offset:56
	buffer_store_dword v42, off, s[0:3], 0 offset:60
	s_waitcnt vmcnt(2)
	ds_write_b64 v1, v[40:41]
.LBB82_113:
	s_or_b64 exec, exec, s[4:5]
	s_waitcnt lgkmcnt(0)
	; wave barrier
	s_waitcnt lgkmcnt(0)
	buffer_load_dword v41, off, s[0:3], 0 offset:68
	buffer_load_dword v82, off, s[0:3], 0 offset:76
	;; [unrolled: 1-line block ×24, first 2 shown]
	v_mov_b32_e32 v40, 0
	ds_read_b128 v[42:45], v40 offset:224
	ds_read_b128 v[46:49], v40 offset:240
	;; [unrolled: 1-line block ×5, first 2 shown]
	ds_read_b64 v[80:81], v40 offset:304
	v_cmp_lt_u32_e32 vcc, 6, v0
	s_waitcnt vmcnt(23) lgkmcnt(5)
	v_mul_f32_e32 v95, v42, v41
	v_mul_f32_e32 v41, v43, v41
	s_waitcnt vmcnt(22)
	v_mul_f32_e32 v83, v44, v82
	s_waitcnt vmcnt(21) lgkmcnt(4)
	v_mul_f32_e32 v85, v46, v84
	v_mul_f32_e32 v82, v45, v82
	;; [unrolled: 1-line block ×3, first 2 shown]
	s_waitcnt vmcnt(20)
	v_mov_b32_e32 v86, v63
	s_waitcnt vmcnt(19)
	v_mov_b32_e32 v88, v65
	;; [unrolled: 2-line block ×5, first 2 shown]
	s_waitcnt vmcnt(12)
	v_fmac_f32_e32 v95, v43, v87
	v_fma_f32 v41, v42, v87, -v41
	v_mov_b32_e32 v96, v73
	s_waitcnt vmcnt(11)
	v_fmac_f32_e32 v83, v45, v89
	s_waitcnt vmcnt(10)
	v_fmac_f32_e32 v85, v47, v91
	v_fma_f32 v82, v44, v89, -v82
	v_fma_f32 v84, v46, v91, -v84
	v_pk_mul_f32 v[42:43], v[48:49], v[86:87] op_sel_hi:[1,0]
	s_waitcnt lgkmcnt(3)
	v_pk_mul_f32 v[44:45], v[50:51], v[88:89] op_sel_hi:[1,0]
	v_pk_mul_f32 v[46:47], v[52:53], v[90:91] op_sel_hi:[1,0]
	s_waitcnt lgkmcnt(2)
	v_pk_mul_f32 v[86:87], v[54:55], v[92:93] op_sel_hi:[1,0]
	v_pk_mul_f32 v[88:89], v[56:57], v[94:95] op_sel_hi:[1,0]
	v_add_f32_e32 v95, 0, v95
	v_add_f32_e32 v94, 0, v41
	s_waitcnt lgkmcnt(1)
	v_pk_mul_f32 v[90:91], v[58:59], v[96:97] op_sel_hi:[1,0]
	s_waitcnt vmcnt(9)
	v_pk_fma_f32 v[96:97], v[48:49], v[62:63], v[42:43] op_sel:[0,0,1] op_sel_hi:[1,1,0] neg_lo:[0,0,1] neg_hi:[0,0,1]
	v_pk_fma_f32 v[42:43], v[48:49], v[62:63], v[42:43] op_sel:[0,0,1] op_sel_hi:[1,0,0]
	s_waitcnt vmcnt(8)
	v_pk_fma_f32 v[48:49], v[50:51], v[64:65], v[44:45] op_sel:[0,0,1] op_sel_hi:[1,1,0] neg_lo:[0,0,1] neg_hi:[0,0,1]
	v_pk_fma_f32 v[44:45], v[50:51], v[64:65], v[44:45] op_sel:[0,0,1] op_sel_hi:[1,0,0]
	;; [unrolled: 3-line block ×4, first 2 shown]
	v_pk_add_f32 v[68:69], v[94:95], v[82:83]
	v_mov_b32_e32 v97, v43
	v_pk_add_f32 v[42:43], v[68:69], v[84:85]
	v_mov_b32_e32 v49, v45
	;; [unrolled: 2-line block ×4, first 2 shown]
	s_waitcnt vmcnt(5)
	v_pk_fma_f32 v[62:63], v[56:57], v[70:71], v[88:89] op_sel:[0,0,1] op_sel_hi:[1,1,0] neg_lo:[0,0,1] neg_hi:[0,0,1]
	v_pk_fma_f32 v[56:57], v[56:57], v[70:71], v[88:89] op_sel:[0,0,1] op_sel_hi:[1,0,0]
	v_mov_b32_e32 v53, v55
	v_pk_add_f32 v[42:43], v[42:43], v[50:51]
	v_mov_b32_e32 v100, v77
	v_pk_mul_f32 v[92:93], v[60:61], v[98:99] op_sel_hi:[1,0]
	s_waitcnt vmcnt(4)
	v_pk_fma_f32 v[64:65], v[58:59], v[72:73], v[90:91] op_sel:[0,0,1] op_sel_hi:[1,1,0] neg_lo:[0,0,1] neg_hi:[0,0,1]
	v_pk_fma_f32 v[58:59], v[58:59], v[72:73], v[90:91] op_sel:[0,0,1] op_sel_hi:[1,0,0]
	v_mov_b32_e32 v63, v57
	v_pk_add_f32 v[42:43], v[42:43], v[52:53]
	s_waitcnt vmcnt(3)
	v_pk_fma_f32 v[66:67], v[60:61], v[74:75], v[92:93] op_sel:[0,0,1] op_sel_hi:[1,1,0] neg_lo:[0,0,1] neg_hi:[0,0,1]
	v_pk_fma_f32 v[60:61], v[60:61], v[74:75], v[92:93] op_sel:[0,0,1] op_sel_hi:[1,0,0]
	v_mov_b32_e32 v65, v59
	v_pk_add_f32 v[42:43], v[42:43], v[62:63]
	s_waitcnt lgkmcnt(0)
	v_pk_mul_f32 v[44:45], v[80:81], v[100:101] op_sel_hi:[1,0]
	v_mov_b32_e32 v67, v61
	v_pk_add_f32 v[42:43], v[42:43], v[64:65]
	s_waitcnt vmcnt(2)
	v_pk_fma_f32 v[46:47], v[80:81], v[76:77], v[44:45] op_sel:[0,0,1] op_sel_hi:[1,1,0] neg_lo:[0,0,1] neg_hi:[0,0,1]
	v_pk_fma_f32 v[44:45], v[80:81], v[76:77], v[44:45] op_sel:[0,0,1] op_sel_hi:[1,0,0]
	v_pk_add_f32 v[42:43], v[42:43], v[66:67]
	v_mov_b32_e32 v47, v45
	v_pk_add_f32 v[42:43], v[42:43], v[46:47]
	s_waitcnt vmcnt(0)
	v_pk_add_f32 v[42:43], v[78:79], v[42:43] neg_lo:[0,1] neg_hi:[0,1]
	buffer_store_dword v43, off, s[0:3], 0 offset:60
	buffer_store_dword v42, off, s[0:3], 0 offset:56
	s_and_saveexec_b64 s[4:5], vcc
	s_cbranch_execz .LBB82_115
; %bb.114:
	buffer_load_dword v42, off, s[0:3], 0 offset:48
	buffer_load_dword v43, off, s[0:3], 0 offset:52
	s_waitcnt vmcnt(0)
	ds_write_b64 v1, v[42:43]
	buffer_store_dword v40, off, s[0:3], 0 offset:48
	buffer_store_dword v40, off, s[0:3], 0 offset:52
.LBB82_115:
	s_or_b64 exec, exec, s[4:5]
	s_waitcnt lgkmcnt(0)
	; wave barrier
	s_waitcnt lgkmcnt(0)
	buffer_load_dword v84, off, s[0:3], 0 offset:60
	buffer_load_dword v86, off, s[0:3], 0 offset:68
	;; [unrolled: 1-line block ×26, first 2 shown]
	ds_read2_b64 v[42:45], v40 offset0:27 offset1:28
	ds_read2_b64 v[46:49], v40 offset0:29 offset1:30
	;; [unrolled: 1-line block ×6, first 2 shown]
	v_cmp_lt_u32_e32 vcc, 5, v0
	s_waitcnt vmcnt(25) lgkmcnt(5)
	v_mul_f32_e32 v97, v42, v84
	v_mul_f32_e32 v40, v43, v84
	s_waitcnt vmcnt(24)
	v_mul_f32_e32 v98, v44, v86
	s_waitcnt vmcnt(23) lgkmcnt(4)
	v_mul_f32_e32 v41, v46, v87
	s_waitcnt vmcnt(22)
	v_mul_f32_e32 v85, v48, v88
	v_mul_f32_e32 v84, v45, v86
	;; [unrolled: 1-line block ×4, first 2 shown]
	s_waitcnt vmcnt(21)
	v_mov_b32_e32 v86, v67
	s_waitcnt vmcnt(20)
	v_mov_b32_e32 v88, v69
	;; [unrolled: 2-line block ×3, first 2 shown]
	s_waitcnt vmcnt(15)
	v_fmac_f32_e32 v97, v43, v89
	v_fma_f32 v100, v42, v89, -v40
	v_mov_b32_e32 v90, v71
	s_waitcnt vmcnt(14)
	v_fmac_f32_e32 v98, v45, v91
	s_waitcnt vmcnt(13)
	v_fmac_f32_e32 v41, v47, v93
	;; [unrolled: 2-line block ×3, first 2 shown]
	v_fma_f32 v101, v44, v91, -v84
	v_fma_f32 v40, v46, v93, -v87
	v_fma_f32 v84, v48, v95, -v99
	s_waitcnt lgkmcnt(3)
	v_pk_mul_f32 v[42:43], v[50:51], v[86:87] op_sel_hi:[1,0]
	v_pk_mul_f32 v[44:45], v[52:53], v[88:89] op_sel_hi:[1,0]
	s_waitcnt lgkmcnt(2)
	v_pk_mul_f32 v[48:49], v[56:57], v[92:93] op_sel_hi:[1,0]
	v_add_f32_e32 v92, 0, v97
	v_add_f32_e32 v93, 0, v100
	v_pk_mul_f32 v[46:47], v[54:55], v[90:91] op_sel_hi:[1,0]
	s_waitcnt vmcnt(11)
	v_pk_fma_f32 v[90:91], v[50:51], v[66:67], v[42:43] op_sel:[0,0,1] op_sel_hi:[1,1,0] neg_lo:[0,0,1] neg_hi:[0,0,1]
	v_pk_fma_f32 v[42:43], v[50:51], v[66:67], v[42:43] op_sel:[0,0,1] op_sel_hi:[1,0,0]
	s_waitcnt vmcnt(10)
	v_pk_fma_f32 v[50:51], v[52:53], v[68:69], v[44:45] op_sel:[0,0,1] op_sel_hi:[1,1,0] neg_lo:[0,0,1] neg_hi:[0,0,1]
	v_pk_fma_f32 v[44:45], v[52:53], v[68:69], v[44:45] op_sel:[0,0,1] op_sel_hi:[1,0,0]
	v_add_f32_e32 v69, v92, v98
	v_add_f32_e32 v68, v93, v101
	v_pk_add_f32 v[40:41], v[68:69], v[40:41]
	v_mov_b32_e32 v91, v43
	v_pk_add_f32 v[40:41], v[40:41], v[84:85]
	v_mov_b32_e32 v94, v75
	s_waitcnt vmcnt(9)
	v_pk_fma_f32 v[52:53], v[54:55], v[70:71], v[46:47] op_sel:[0,0,1] op_sel_hi:[1,1,0] neg_lo:[0,0,1] neg_hi:[0,0,1]
	v_pk_fma_f32 v[46:47], v[54:55], v[70:71], v[46:47] op_sel:[0,0,1] op_sel_hi:[1,0,0]
	v_mov_b32_e32 v51, v45
	v_pk_add_f32 v[40:41], v[40:41], v[90:91]
	v_mov_b32_e32 v96, v77
	s_waitcnt lgkmcnt(1)
	v_pk_mul_f32 v[86:87], v[58:59], v[94:95] op_sel_hi:[1,0]
	s_waitcnt vmcnt(5)
	v_pk_fma_f32 v[54:55], v[56:57], v[72:73], v[48:49] op_sel:[0,0,1] op_sel_hi:[1,1,0] neg_lo:[0,0,1] neg_hi:[0,0,1]
	v_pk_fma_f32 v[48:49], v[56:57], v[72:73], v[48:49] op_sel:[0,0,1] op_sel_hi:[1,0,0]
	v_mov_b32_e32 v53, v47
	v_pk_add_f32 v[40:41], v[40:41], v[50:51]
	s_waitcnt vmcnt(4)
	v_mov_b32_e32 v42, v79
	v_pk_mul_f32 v[88:89], v[60:61], v[96:97] op_sel_hi:[1,0]
	v_pk_fma_f32 v[56:57], v[58:59], v[74:75], v[86:87] op_sel:[0,0,1] op_sel_hi:[1,1,0] neg_lo:[0,0,1] neg_hi:[0,0,1]
	v_pk_fma_f32 v[58:59], v[58:59], v[74:75], v[86:87] op_sel:[0,0,1] op_sel_hi:[1,0,0]
	v_mov_b32_e32 v55, v49
	v_pk_add_f32 v[40:41], v[40:41], v[52:53]
	s_waitcnt lgkmcnt(0)
	v_pk_mul_f32 v[42:43], v[62:63], v[42:43] op_sel_hi:[1,0]
	v_pk_fma_f32 v[66:67], v[60:61], v[76:77], v[88:89] op_sel:[0,0,1] op_sel_hi:[1,1,0] neg_lo:[0,0,1] neg_hi:[0,0,1]
	v_pk_fma_f32 v[60:61], v[60:61], v[76:77], v[88:89] op_sel:[0,0,1] op_sel_hi:[1,0,0]
	v_mov_b32_e32 v57, v59
	v_pk_add_f32 v[40:41], v[40:41], v[54:55]
	v_pk_fma_f32 v[44:45], v[62:63], v[78:79], v[42:43] op_sel:[0,0,1] op_sel_hi:[1,1,0] neg_lo:[0,0,1] neg_hi:[0,0,1]
	v_pk_fma_f32 v[42:43], v[62:63], v[78:79], v[42:43] op_sel:[0,0,1] op_sel_hi:[1,0,0]
	v_mov_b32_e32 v67, v61
	v_pk_add_f32 v[40:41], v[40:41], v[56:57]
	s_waitcnt vmcnt(3)
	v_mov_b32_e32 v42, v81
	v_pk_add_f32 v[40:41], v[40:41], v[66:67]
	v_mov_b32_e32 v45, v43
	v_pk_mul_f32 v[42:43], v[64:65], v[42:43] op_sel_hi:[1,0]
	v_pk_add_f32 v[40:41], v[40:41], v[44:45]
	s_waitcnt vmcnt(2)
	v_pk_fma_f32 v[44:45], v[64:65], v[80:81], v[42:43] op_sel:[0,0,1] op_sel_hi:[1,1,0] neg_lo:[0,0,1] neg_hi:[0,0,1]
	v_pk_fma_f32 v[42:43], v[64:65], v[80:81], v[42:43] op_sel:[0,0,1] op_sel_hi:[1,0,0]
	v_mov_b32_e32 v45, v43
	v_pk_add_f32 v[40:41], v[40:41], v[44:45]
	s_waitcnt vmcnt(0)
	v_pk_add_f32 v[40:41], v[82:83], v[40:41] neg_lo:[0,1] neg_hi:[0,1]
	buffer_store_dword v41, off, s[0:3], 0 offset:52
	buffer_store_dword v40, off, s[0:3], 0 offset:48
	s_and_saveexec_b64 s[4:5], vcc
	s_cbranch_execz .LBB82_117
; %bb.116:
	buffer_load_dword v40, off, s[0:3], 0 offset:40
	buffer_load_dword v41, off, s[0:3], 0 offset:44
	v_mov_b32_e32 v42, 0
	buffer_store_dword v42, off, s[0:3], 0 offset:40
	buffer_store_dword v42, off, s[0:3], 0 offset:44
	s_waitcnt vmcnt(2)
	ds_write_b64 v1, v[40:41]
.LBB82_117:
	s_or_b64 exec, exec, s[4:5]
	s_waitcnt lgkmcnt(0)
	; wave barrier
	s_waitcnt lgkmcnt(0)
	buffer_load_dword v41, off, s[0:3], 0 offset:52
	buffer_load_dword v86, off, s[0:3], 0 offset:60
	;; [unrolled: 1-line block ×28, first 2 shown]
	v_mov_b32_e32 v40, 0
	ds_read_b128 v[42:45], v40 offset:208
	ds_read_b128 v[46:49], v40 offset:224
	ds_read_b128 v[50:53], v40 offset:240
	ds_read_b128 v[54:57], v40 offset:256
	ds_read_b128 v[58:61], v40 offset:272
	ds_read_b128 v[62:65], v40 offset:288
	ds_read_b64 v[84:85], v40 offset:304
	v_cmp_lt_u32_e32 vcc, 4, v0
	s_waitcnt vmcnt(27) lgkmcnt(6)
	v_mul_f32_e32 v101, v42, v41
	v_mul_f32_e32 v41, v43, v41
	s_waitcnt vmcnt(26)
	v_mul_f32_e32 v102, v44, v86
	s_waitcnt vmcnt(24) lgkmcnt(5)
	v_mul_f32_e32 v87, v48, v90
	s_waitcnt vmcnt(23) lgkmcnt(4)
	v_mul_f32_e32 v89, v50, v91
	v_mul_f32_e32 v104, v49, v90
	;; [unrolled: 1-line block ×3, first 2 shown]
	s_waitcnt vmcnt(22)
	v_mov_b32_e32 v90, v67
	v_mul_f32_e32 v103, v46, v88
	v_mul_f32_e32 v86, v45, v86
	;; [unrolled: 1-line block ×3, first 2 shown]
	s_waitcnt vmcnt(17)
	v_fmac_f32_e32 v101, v43, v93
	v_fma_f32 v41, v42, v93, -v41
	v_pk_mul_f32 v[42:43], v[52:53], v[90:91] op_sel_hi:[1,0]
	s_waitcnt vmcnt(16)
	v_fmac_f32_e32 v102, v45, v95
	s_waitcnt vmcnt(13)
	v_fmac_f32_e32 v89, v51, v100
	v_fma_f32 v93, v44, v95, -v86
	v_fma_f32 v95, v46, v97, -v88
	;; [unrolled: 1-line block ×3, first 2 shown]
	v_add_f32_e32 v90, 0, v101
	v_add_f32_e32 v41, 0, v41
	s_waitcnt vmcnt(12)
	v_pk_fma_f32 v[50:51], v[52:53], v[66:67], v[42:43] op_sel:[0,0,1] op_sel_hi:[1,1,0] neg_lo:[0,0,1] neg_hi:[0,0,1]
	v_pk_fma_f32 v[42:43], v[52:53], v[66:67], v[42:43] op_sel:[0,0,1] op_sel_hi:[1,0,0]
	v_fmac_f32_e32 v103, v47, v97
	v_add_f32_e32 v42, v90, v102
	v_add_f32_e32 v41, v41, v93
	v_mov_b32_e32 v92, v69
	v_fmac_f32_e32 v87, v49, v99
	v_fma_f32 v86, v48, v99, -v104
	v_mov_b32_e32 v51, v43
	v_add_f32_e32 v43, v42, v103
	v_add_f32_e32 v42, v41, v95
	v_mov_b32_e32 v94, v71
	s_waitcnt lgkmcnt(3)
	v_pk_mul_f32 v[44:45], v[54:55], v[92:93] op_sel_hi:[1,0]
	v_pk_add_f32 v[42:43], v[42:43], v[86:87]
	v_mov_b32_e32 v96, v73
	v_mov_b32_e32 v98, v75
	v_pk_mul_f32 v[46:47], v[56:57], v[94:95] op_sel_hi:[1,0]
	s_waitcnt vmcnt(11)
	v_pk_fma_f32 v[52:53], v[54:55], v[68:69], v[44:45] op_sel:[0,0,1] op_sel_hi:[1,1,0] neg_lo:[0,0,1] neg_hi:[0,0,1]
	v_pk_fma_f32 v[44:45], v[54:55], v[68:69], v[44:45] op_sel:[0,0,1] op_sel_hi:[1,0,0]
	v_pk_add_f32 v[42:43], v[42:43], v[88:89]
	s_waitcnt lgkmcnt(2)
	v_pk_mul_f32 v[48:49], v[58:59], v[96:97] op_sel_hi:[1,0]
	s_waitcnt vmcnt(7)
	v_pk_fma_f32 v[54:55], v[56:57], v[70:71], v[46:47] op_sel:[0,0,1] op_sel_hi:[1,1,0] neg_lo:[0,0,1] neg_hi:[0,0,1]
	v_pk_fma_f32 v[46:47], v[56:57], v[70:71], v[46:47] op_sel:[0,0,1] op_sel_hi:[1,0,0]
	v_mov_b32_e32 v53, v45
	v_pk_add_f32 v[42:43], v[42:43], v[50:51]
	v_pk_mul_f32 v[44:45], v[60:61], v[98:99] op_sel_hi:[1,0]
	v_pk_fma_f32 v[56:57], v[58:59], v[72:73], v[48:49] op_sel:[0,0,1] op_sel_hi:[1,1,0] neg_lo:[0,0,1] neg_hi:[0,0,1]
	v_pk_fma_f32 v[48:49], v[58:59], v[72:73], v[48:49] op_sel:[0,0,1] op_sel_hi:[1,0,0]
	v_mov_b32_e32 v55, v47
	v_pk_add_f32 v[42:43], v[42:43], v[52:53]
	v_pk_fma_f32 v[46:47], v[60:61], v[74:75], v[44:45] op_sel:[0,0,1] op_sel_hi:[1,1,0] neg_lo:[0,0,1] neg_hi:[0,0,1]
	v_pk_fma_f32 v[44:45], v[60:61], v[74:75], v[44:45] op_sel:[0,0,1] op_sel_hi:[1,0,0]
	v_mov_b32_e32 v57, v49
	v_pk_add_f32 v[42:43], v[42:43], v[54:55]
	s_waitcnt vmcnt(6)
	v_mov_b32_e32 v44, v77
	v_pk_add_f32 v[42:43], v[42:43], v[56:57]
	v_mov_b32_e32 v47, v45
	s_waitcnt lgkmcnt(1)
	v_pk_mul_f32 v[44:45], v[62:63], v[44:45] op_sel_hi:[1,0]
	v_pk_add_f32 v[42:43], v[42:43], v[46:47]
	v_pk_fma_f32 v[46:47], v[62:63], v[76:77], v[44:45] op_sel:[0,0,1] op_sel_hi:[1,1,0] neg_lo:[0,0,1] neg_hi:[0,0,1]
	v_pk_fma_f32 v[44:45], v[62:63], v[76:77], v[44:45] op_sel:[0,0,1] op_sel_hi:[1,0,0]
	s_waitcnt vmcnt(5)
	v_mov_b32_e32 v44, v79
	v_mov_b32_e32 v47, v45
	v_pk_mul_f32 v[44:45], v[64:65], v[44:45] op_sel_hi:[1,0]
	v_pk_add_f32 v[42:43], v[42:43], v[46:47]
	s_waitcnt vmcnt(3)
	v_pk_fma_f32 v[46:47], v[64:65], v[78:79], v[44:45] op_sel:[0,0,1] op_sel_hi:[1,1,0] neg_lo:[0,0,1] neg_hi:[0,0,1]
	v_pk_fma_f32 v[44:45], v[64:65], v[78:79], v[44:45] op_sel:[0,0,1] op_sel_hi:[1,0,0]
	s_waitcnt vmcnt(2)
	v_mov_b32_e32 v44, v81
	v_mov_b32_e32 v47, v45
	s_waitcnt lgkmcnt(0)
	v_pk_mul_f32 v[44:45], v[84:85], v[44:45] op_sel_hi:[1,0]
	v_pk_add_f32 v[42:43], v[42:43], v[46:47]
	v_pk_fma_f32 v[46:47], v[84:85], v[80:81], v[44:45] op_sel:[0,0,1] op_sel_hi:[1,1,0] neg_lo:[0,0,1] neg_hi:[0,0,1]
	v_pk_fma_f32 v[44:45], v[84:85], v[80:81], v[44:45] op_sel:[0,0,1] op_sel_hi:[1,0,0]
	v_mov_b32_e32 v47, v45
	v_pk_add_f32 v[42:43], v[42:43], v[46:47]
	s_waitcnt vmcnt(0)
	v_pk_add_f32 v[42:43], v[82:83], v[42:43] neg_lo:[0,1] neg_hi:[0,1]
	buffer_store_dword v43, off, s[0:3], 0 offset:44
	buffer_store_dword v42, off, s[0:3], 0 offset:40
	s_and_saveexec_b64 s[4:5], vcc
	s_cbranch_execz .LBB82_119
; %bb.118:
	buffer_load_dword v42, off, s[0:3], 0 offset:32
	buffer_load_dword v43, off, s[0:3], 0 offset:36
	s_waitcnt vmcnt(0)
	ds_write_b64 v1, v[42:43]
	buffer_store_dword v40, off, s[0:3], 0 offset:32
	buffer_store_dword v40, off, s[0:3], 0 offset:36
.LBB82_119:
	s_or_b64 exec, exec, s[4:5]
	s_waitcnt lgkmcnt(0)
	; wave barrier
	s_waitcnt lgkmcnt(0)
	buffer_load_dword v88, off, s[0:3], 0 offset:44
	buffer_load_dword v90, off, s[0:3], 0 offset:52
	;; [unrolled: 1-line block ×30, first 2 shown]
	ds_read2_b64 v[42:45], v40 offset0:25 offset1:26
	ds_read2_b64 v[46:49], v40 offset0:27 offset1:28
	;; [unrolled: 1-line block ×7, first 2 shown]
	v_cmp_lt_u32_e32 vcc, 3, v0
	s_waitcnt vmcnt(29) lgkmcnt(6)
	v_mul_f32_e32 v101, v42, v88
	s_waitcnt vmcnt(28)
	v_mul_f32_e32 v102, v44, v90
	s_waitcnt vmcnt(27) lgkmcnt(5)
	v_mul_f32_e32 v103, v46, v91
	v_mul_f32_e32 v91, v47, v91
	s_waitcnt vmcnt(26)
	v_mul_f32_e32 v104, v48, v92
	s_waitcnt vmcnt(25) lgkmcnt(4)
	v_mul_f32_e32 v41, v50, v93
	v_mul_f32_e32 v40, v43, v88
	;; [unrolled: 1-line block ×5, first 2 shown]
	s_waitcnt vmcnt(23)
	v_mov_b32_e32 v90, v71
	s_waitcnt vmcnt(22)
	v_mov_b32_e32 v92, v73
	s_waitcnt vmcnt(18)
	v_fma_f32 v91, v46, v97, -v91
	v_fmac_f32_e32 v101, v43, v95
	v_fmac_f32_e32 v102, v45, v96
	s_waitcnt vmcnt(17)
	v_fmac_f32_e32 v104, v49, v98
	v_fma_f32 v49, v42, v95, -v40
	v_fma_f32 v95, v44, v96, -v88
	s_waitcnt lgkmcnt(3)
	v_pk_mul_f32 v[42:43], v[54:55], v[90:91] op_sel_hi:[1,0]
	v_pk_mul_f32 v[44:45], v[56:57], v[92:93] op_sel_hi:[1,0]
	s_waitcnt vmcnt(16)
	v_fmac_f32_e32 v41, v51, v99
	v_fma_f32 v96, v48, v98, -v105
	v_fma_f32 v40, v50, v99, -v93
	v_add_f32_e32 v90, 0, v101
	v_add_f32_e32 v92, 0, v49
	s_waitcnt vmcnt(14)
	v_pk_fma_f32 v[48:49], v[54:55], v[70:71], v[42:43] op_sel:[0,0,1] op_sel_hi:[1,1,0] neg_lo:[0,0,1] neg_hi:[0,0,1]
	v_pk_fma_f32 v[42:43], v[54:55], v[70:71], v[42:43] op_sel:[0,0,1] op_sel_hi:[1,0,0]
	s_waitcnt vmcnt(10)
	v_pk_fma_f32 v[50:51], v[56:57], v[72:73], v[44:45] op_sel:[0,0,1] op_sel_hi:[1,1,0] neg_lo:[0,0,1] neg_hi:[0,0,1]
	v_pk_fma_f32 v[44:45], v[56:57], v[72:73], v[44:45] op_sel:[0,0,1] op_sel_hi:[1,0,0]
	v_fmac_f32_e32 v103, v47, v97
	v_add_f32_e32 v42, v90, v102
	v_add_f32_e32 v44, v92, v95
	;; [unrolled: 1-line block ×4, first 2 shown]
	v_mul_f32_e32 v89, v52, v94
	v_mul_f32_e32 v106, v53, v94
	v_mov_b32_e32 v49, v43
	v_add_f32_e32 v43, v42, v104
	v_add_f32_e32 v42, v44, v96
	v_mov_b32_e32 v94, v75
	v_fmac_f32_e32 v89, v53, v100
	v_fma_f32 v88, v52, v100, -v106
	v_pk_add_f32 v[40:41], v[42:43], v[40:41]
	s_waitcnt vmcnt(9)
	v_mov_b32_e32 v42, v79
	s_waitcnt lgkmcnt(2)
	v_pk_mul_f32 v[46:47], v[58:59], v[94:95] op_sel_hi:[1,0]
	v_pk_add_f32 v[40:41], v[40:41], v[88:89]
	v_pk_mul_f32 v[42:43], v[60:61], v[42:43] op_sel_hi:[1,0]
	v_pk_fma_f32 v[52:53], v[58:59], v[74:75], v[46:47] op_sel:[0,0,1] op_sel_hi:[1,1,0] neg_lo:[0,0,1] neg_hi:[0,0,1]
	v_pk_fma_f32 v[46:47], v[58:59], v[74:75], v[46:47] op_sel:[0,0,1] op_sel_hi:[1,0,0]
	v_mov_b32_e32 v51, v45
	v_pk_add_f32 v[40:41], v[40:41], v[48:49]
	v_pk_fma_f32 v[44:45], v[60:61], v[78:79], v[42:43] op_sel:[0,0,1] op_sel_hi:[1,1,0] neg_lo:[0,0,1] neg_hi:[0,0,1]
	v_pk_fma_f32 v[42:43], v[60:61], v[78:79], v[42:43] op_sel:[0,0,1] op_sel_hi:[1,0,0]
	v_mov_b32_e32 v53, v47
	v_pk_add_f32 v[40:41], v[40:41], v[50:51]
	s_waitcnt vmcnt(8)
	v_mov_b32_e32 v42, v77
	v_pk_add_f32 v[40:41], v[40:41], v[52:53]
	v_mov_b32_e32 v45, v43
	s_waitcnt lgkmcnt(1)
	v_pk_mul_f32 v[42:43], v[62:63], v[42:43] op_sel_hi:[1,0]
	v_pk_add_f32 v[40:41], v[40:41], v[44:45]
	v_pk_fma_f32 v[44:45], v[62:63], v[76:77], v[42:43] op_sel:[0,0,1] op_sel_hi:[1,1,0] neg_lo:[0,0,1] neg_hi:[0,0,1]
	v_pk_fma_f32 v[42:43], v[62:63], v[76:77], v[42:43] op_sel:[0,0,1] op_sel_hi:[1,0,0]
	s_waitcnt vmcnt(7)
	v_mov_b32_e32 v42, v81
	v_mov_b32_e32 v45, v43
	v_pk_mul_f32 v[42:43], v[64:65], v[42:43] op_sel_hi:[1,0]
	v_pk_add_f32 v[40:41], v[40:41], v[44:45]
	s_waitcnt vmcnt(4)
	v_pk_fma_f32 v[44:45], v[64:65], v[80:81], v[42:43] op_sel:[0,0,1] op_sel_hi:[1,1,0] neg_lo:[0,0,1] neg_hi:[0,0,1]
	v_pk_fma_f32 v[42:43], v[64:65], v[80:81], v[42:43] op_sel:[0,0,1] op_sel_hi:[1,0,0]
	s_waitcnt vmcnt(3)
	v_mov_b32_e32 v42, v85
	v_mov_b32_e32 v45, v43
	s_waitcnt lgkmcnt(0)
	v_pk_mul_f32 v[42:43], v[66:67], v[42:43] op_sel_hi:[1,0]
	v_pk_add_f32 v[40:41], v[40:41], v[44:45]
	v_pk_fma_f32 v[44:45], v[66:67], v[84:85], v[42:43] op_sel:[0,0,1] op_sel_hi:[1,1,0] neg_lo:[0,0,1] neg_hi:[0,0,1]
	v_pk_fma_f32 v[42:43], v[66:67], v[84:85], v[42:43] op_sel:[0,0,1] op_sel_hi:[1,0,0]
	s_waitcnt vmcnt(0)
	v_mov_b32_e32 v42, v83
	v_mov_b32_e32 v45, v43
	v_pk_mul_f32 v[42:43], v[68:69], v[42:43] op_sel_hi:[1,0]
	v_pk_add_f32 v[40:41], v[40:41], v[44:45]
	v_pk_fma_f32 v[44:45], v[68:69], v[82:83], v[42:43] op_sel:[0,0,1] op_sel_hi:[1,1,0] neg_lo:[0,0,1] neg_hi:[0,0,1]
	v_pk_fma_f32 v[42:43], v[68:69], v[82:83], v[42:43] op_sel:[0,0,1] op_sel_hi:[1,0,0]
	v_mov_b32_e32 v45, v43
	v_pk_add_f32 v[40:41], v[40:41], v[44:45]
	v_pk_add_f32 v[40:41], v[86:87], v[40:41] neg_lo:[0,1] neg_hi:[0,1]
	buffer_store_dword v41, off, s[0:3], 0 offset:36
	buffer_store_dword v40, off, s[0:3], 0 offset:32
	s_and_saveexec_b64 s[4:5], vcc
	s_cbranch_execz .LBB82_121
; %bb.120:
	buffer_load_dword v40, off, s[0:3], 0 offset:24
	buffer_load_dword v41, off, s[0:3], 0 offset:28
	v_mov_b32_e32 v42, 0
	buffer_store_dword v42, off, s[0:3], 0 offset:24
	buffer_store_dword v42, off, s[0:3], 0 offset:28
	s_waitcnt vmcnt(2)
	ds_write_b64 v1, v[40:41]
.LBB82_121:
	s_or_b64 exec, exec, s[4:5]
	s_waitcnt lgkmcnt(0)
	; wave barrier
	s_waitcnt lgkmcnt(0)
	buffer_load_dword v41, off, s[0:3], 0 offset:36
	buffer_load_dword v90, off, s[0:3], 0 offset:44
	;; [unrolled: 1-line block ×32, first 2 shown]
	v_mov_b32_e32 v40, 0
	ds_read_b128 v[42:45], v40 offset:192
	ds_read_b128 v[46:49], v40 offset:208
	ds_read_b128 v[50:53], v40 offset:224
	ds_read_b128 v[54:57], v40 offset:240
	ds_read_b128 v[58:61], v40 offset:256
	ds_read_b128 v[62:65], v40 offset:272
	ds_read_b128 v[66:69], v40 offset:288
	ds_read_b64 v[88:89], v40 offset:304
	v_cmp_lt_u32_e32 vcc, 2, v0
	s_waitcnt vmcnt(31) lgkmcnt(7)
	v_mul_f32_e32 v105, v42, v41
	v_mul_f32_e32 v41, v43, v41
	s_waitcnt vmcnt(30)
	v_mul_f32_e32 v106, v44, v90
	s_waitcnt vmcnt(28) lgkmcnt(6)
	v_mul_f32_e32 v108, v48, v94
	s_waitcnt vmcnt(27) lgkmcnt(5)
	v_mul_f32_e32 v109, v50, v95
	v_mul_f32_e32 v110, v49, v94
	;; [unrolled: 1-line block ×3, first 2 shown]
	s_waitcnt vmcnt(24)
	v_mov_b32_e32 v94, v71
	v_mul_f32_e32 v107, v46, v92
	v_mul_f32_e32 v90, v45, v90
	s_waitcnt vmcnt(22)
	v_fmac_f32_e32 v105, v43, v98
	v_fma_f32 v41, v42, v98, -v41
	s_waitcnt lgkmcnt(4)
	v_pk_mul_f32 v[42:43], v[56:57], v[94:95] op_sel_hi:[1,0]
	v_mul_f32_e32 v92, v47, v92
	s_waitcnt vmcnt(21)
	v_fmac_f32_e32 v106, v45, v99
	s_waitcnt vmcnt(20)
	v_fmac_f32_e32 v107, v47, v100
	;; [unrolled: 2-line block ×3, first 2 shown]
	v_fma_f32 v47, v44, v99, -v90
	s_waitcnt vmcnt(18)
	v_fma_f32 v49, v50, v102, -v95
	v_add_f32_e32 v50, 0, v105
	v_add_f32_e32 v41, 0, v41
	s_waitcnt vmcnt(12)
	v_pk_fma_f32 v[44:45], v[56:57], v[70:71], v[42:43] op_sel:[0,0,1] op_sel_hi:[1,1,0] neg_lo:[0,0,1] neg_hi:[0,0,1]
	v_pk_fma_f32 v[42:43], v[56:57], v[70:71], v[42:43] op_sel:[0,0,1] op_sel_hi:[1,0,0]
	v_fma_f32 v46, v46, v100, -v92
	v_add_f32_e32 v42, v50, v106
	v_add_f32_e32 v41, v41, v47
	v_fma_f32 v48, v48, v101, -v110
	v_add_f32_e32 v42, v42, v107
	v_add_f32_e32 v41, v41, v46
	v_mul_f32_e32 v91, v52, v96
	v_mul_f32_e32 v111, v53, v96
	v_fmac_f32_e32 v109, v51, v102
	v_add_f32_e32 v42, v42, v108
	v_add_f32_e32 v41, v41, v48
	v_mul_f32_e32 v93, v54, v97
	v_mul_f32_e32 v97, v55, v97
	v_fmac_f32_e32 v91, v53, v103
	v_fma_f32 v90, v52, v103, -v111
	v_mov_b32_e32 v45, v43
	v_add_f32_e32 v43, v42, v109
	v_add_f32_e32 v42, v41, v49
	v_fmac_f32_e32 v93, v55, v104
	v_fma_f32 v92, v54, v104, -v97
	v_pk_add_f32 v[42:43], v[42:43], v[90:91]
	v_mov_b32_e32 v96, v73
	v_pk_add_f32 v[42:43], v[42:43], v[92:93]
	v_pk_add_f32 v[42:43], v[42:43], v[44:45]
	s_waitcnt lgkmcnt(3)
	v_pk_mul_f32 v[44:45], v[58:59], v[96:97] op_sel_hi:[1,0]
	v_pk_fma_f32 v[46:47], v[58:59], v[72:73], v[44:45] op_sel:[0,0,1] op_sel_hi:[1,1,0] neg_lo:[0,0,1] neg_hi:[0,0,1]
	v_pk_fma_f32 v[44:45], v[58:59], v[72:73], v[44:45] op_sel:[0,0,1] op_sel_hi:[1,0,0]
	s_waitcnt vmcnt(11)
	v_mov_b32_e32 v44, v77
	v_mov_b32_e32 v47, v45
	v_pk_mul_f32 v[44:45], v[60:61], v[44:45] op_sel_hi:[1,0]
	v_pk_add_f32 v[42:43], v[42:43], v[46:47]
	v_pk_fma_f32 v[46:47], v[60:61], v[76:77], v[44:45] op_sel:[0,0,1] op_sel_hi:[1,1,0] neg_lo:[0,0,1] neg_hi:[0,0,1]
	v_pk_fma_f32 v[44:45], v[60:61], v[76:77], v[44:45] op_sel:[0,0,1] op_sel_hi:[1,0,0]
	s_waitcnt vmcnt(10)
	v_mov_b32_e32 v44, v75
	v_mov_b32_e32 v47, v45
	s_waitcnt lgkmcnt(2)
	v_pk_mul_f32 v[44:45], v[62:63], v[44:45] op_sel_hi:[1,0]
	v_pk_add_f32 v[42:43], v[42:43], v[46:47]
	v_pk_fma_f32 v[46:47], v[62:63], v[74:75], v[44:45] op_sel:[0,0,1] op_sel_hi:[1,1,0] neg_lo:[0,0,1] neg_hi:[0,0,1]
	v_pk_fma_f32 v[44:45], v[62:63], v[74:75], v[44:45] op_sel:[0,0,1] op_sel_hi:[1,0,0]
	s_waitcnt vmcnt(9)
	v_mov_b32_e32 v44, v79
	v_mov_b32_e32 v47, v45
	v_pk_mul_f32 v[44:45], v[64:65], v[44:45] op_sel_hi:[1,0]
	v_pk_add_f32 v[42:43], v[42:43], v[46:47]
	s_waitcnt vmcnt(4)
	v_pk_fma_f32 v[46:47], v[64:65], v[78:79], v[44:45] op_sel:[0,0,1] op_sel_hi:[1,1,0] neg_lo:[0,0,1] neg_hi:[0,0,1]
	v_pk_fma_f32 v[44:45], v[64:65], v[78:79], v[44:45] op_sel:[0,0,1] op_sel_hi:[1,0,0]
	v_mov_b32_e32 v44, v85
	v_mov_b32_e32 v47, v45
	s_waitcnt lgkmcnt(1)
	v_pk_mul_f32 v[44:45], v[66:67], v[44:45] op_sel_hi:[1,0]
	v_pk_add_f32 v[42:43], v[42:43], v[46:47]
	v_pk_fma_f32 v[46:47], v[66:67], v[84:85], v[44:45] op_sel:[0,0,1] op_sel_hi:[1,1,0] neg_lo:[0,0,1] neg_hi:[0,0,1]
	v_pk_fma_f32 v[44:45], v[66:67], v[84:85], v[44:45] op_sel:[0,0,1] op_sel_hi:[1,0,0]
	s_waitcnt vmcnt(3)
	v_mov_b32_e32 v44, v83
	v_mov_b32_e32 v47, v45
	v_pk_mul_f32 v[44:45], v[68:69], v[44:45] op_sel_hi:[1,0]
	v_pk_add_f32 v[42:43], v[42:43], v[46:47]
	v_pk_fma_f32 v[46:47], v[68:69], v[82:83], v[44:45] op_sel:[0,0,1] op_sel_hi:[1,1,0] neg_lo:[0,0,1] neg_hi:[0,0,1]
	v_pk_fma_f32 v[44:45], v[68:69], v[82:83], v[44:45] op_sel:[0,0,1] op_sel_hi:[1,0,0]
	s_waitcnt vmcnt(0)
	v_mov_b32_e32 v44, v81
	v_mov_b32_e32 v47, v45
	s_waitcnt lgkmcnt(0)
	v_pk_mul_f32 v[44:45], v[88:89], v[44:45] op_sel_hi:[1,0]
	v_pk_add_f32 v[42:43], v[42:43], v[46:47]
	v_pk_fma_f32 v[46:47], v[88:89], v[80:81], v[44:45] op_sel:[0,0,1] op_sel_hi:[1,1,0] neg_lo:[0,0,1] neg_hi:[0,0,1]
	v_pk_fma_f32 v[44:45], v[88:89], v[80:81], v[44:45] op_sel:[0,0,1] op_sel_hi:[1,0,0]
	v_mov_b32_e32 v47, v45
	v_pk_add_f32 v[42:43], v[42:43], v[46:47]
	v_pk_add_f32 v[42:43], v[86:87], v[42:43] neg_lo:[0,1] neg_hi:[0,1]
	buffer_store_dword v43, off, s[0:3], 0 offset:28
	buffer_store_dword v42, off, s[0:3], 0 offset:24
	s_and_saveexec_b64 s[4:5], vcc
	s_cbranch_execz .LBB82_123
; %bb.122:
	buffer_load_dword v42, off, s[0:3], 0 offset:16
	buffer_load_dword v43, off, s[0:3], 0 offset:20
	s_waitcnt vmcnt(0)
	ds_write_b64 v1, v[42:43]
	buffer_store_dword v40, off, s[0:3], 0 offset:16
	buffer_store_dword v40, off, s[0:3], 0 offset:20
.LBB82_123:
	s_or_b64 exec, exec, s[4:5]
	s_waitcnt lgkmcnt(0)
	; wave barrier
	s_waitcnt lgkmcnt(0)
	buffer_load_dword v92, off, s[0:3], 0 offset:28
	buffer_load_dword v94, off, s[0:3], 0 offset:36
	;; [unrolled: 1-line block ×32, first 2 shown]
	ds_read2_b64 v[42:45], v40 offset0:23 offset1:24
	ds_read2_b64 v[46:49], v40 offset0:25 offset1:26
	;; [unrolled: 1-line block ×4, first 2 shown]
	buffer_load_dword v91, off, s[0:3], 0 offset:148
	buffer_load_dword v90, off, s[0:3], 0 offset:144
	ds_read2_b64 v[58:61], v40 offset0:31 offset1:32
	ds_read2_b64 v[62:65], v40 offset0:33 offset1:34
	;; [unrolled: 1-line block ×4, first 2 shown]
	v_cmp_lt_u32_e32 vcc, 1, v0
	s_waitcnt vmcnt(33) lgkmcnt(7)
	v_mul_f32_e32 v109, v42, v92
	v_mul_f32_e32 v40, v43, v92
	s_waitcnt vmcnt(32)
	v_mul_f32_e32 v110, v44, v94
	s_waitcnt vmcnt(31) lgkmcnt(6)
	v_mul_f32_e32 v111, v46, v95
	v_mul_f32_e32 v92, v45, v94
	;; [unrolled: 1-line block ×3, first 2 shown]
	s_waitcnt vmcnt(30)
	v_mul_f32_e32 v95, v49, v96
	v_mul_f32_e32 v112, v48, v96
	s_waitcnt vmcnt(25)
	v_fmac_f32_e32 v109, v43, v101
	v_fma_f32 v42, v42, v101, -v40
	s_waitcnt vmcnt(24)
	v_fmac_f32_e32 v110, v45, v102
	v_fma_f32 v43, v44, v102, -v92
	s_waitcnt vmcnt(22)
	v_fma_f32 v45, v48, v104, -v95
	v_add_f32_e32 v48, 0, v109
	v_add_f32_e32 v42, 0, v42
	v_fmac_f32_e32 v111, v47, v103
	v_fma_f32 v44, v46, v103, -v94
	v_add_f32_e32 v48, v48, v110
	v_add_f32_e32 v42, v42, v43
	s_waitcnt lgkmcnt(5)
	v_mul_f32_e32 v113, v50, v97
	v_mul_f32_e32 v96, v51, v97
	v_fmac_f32_e32 v112, v49, v104
	v_add_f32_e32 v43, v48, v111
	v_add_f32_e32 v42, v42, v44
	v_mul_f32_e32 v114, v52, v98
	v_mul_f32_e32 v97, v53, v98
	s_waitcnt vmcnt(21)
	v_fmac_f32_e32 v113, v51, v105
	v_fma_f32 v46, v50, v105, -v96
	v_add_f32_e32 v43, v43, v112
	v_add_f32_e32 v42, v42, v45
	s_waitcnt lgkmcnt(4)
	v_mul_f32_e32 v41, v54, v99
	v_mul_f32_e32 v98, v55, v99
	s_waitcnt vmcnt(20)
	v_fmac_f32_e32 v114, v53, v106
	v_fma_f32 v47, v52, v106, -v97
	v_add_f32_e32 v43, v43, v113
	v_add_f32_e32 v42, v42, v46
	s_waitcnt vmcnt(19)
	v_fmac_f32_e32 v41, v55, v107
	v_fma_f32 v40, v54, v107, -v98
	v_add_f32_e32 v43, v43, v114
	v_add_f32_e32 v42, v42, v47
	v_pk_add_f32 v[40:41], v[42:43], v[40:41]
	s_waitcnt vmcnt(17)
	v_mov_b32_e32 v42, v75
	s_waitcnt lgkmcnt(3)
	v_pk_mul_f32 v[42:43], v[58:59], v[42:43] op_sel_hi:[1,0]
	v_mul_f32_e32 v93, v56, v100
	v_mul_f32_e32 v99, v57, v100
	s_waitcnt vmcnt(14)
	v_pk_fma_f32 v[44:45], v[58:59], v[74:75], v[42:43] op_sel:[0,0,1] op_sel_hi:[1,1,0] neg_lo:[0,0,1] neg_hi:[0,0,1]
	v_pk_fma_f32 v[42:43], v[58:59], v[74:75], v[42:43] op_sel:[0,0,1] op_sel_hi:[1,0,0]
	v_fmac_f32_e32 v93, v57, v108
	v_fma_f32 v92, v56, v108, -v99
	s_waitcnt vmcnt(13)
	v_mov_b32_e32 v42, v79
	v_pk_add_f32 v[40:41], v[40:41], v[92:93]
	v_mov_b32_e32 v45, v43
	v_pk_mul_f32 v[42:43], v[60:61], v[42:43] op_sel_hi:[1,0]
	v_pk_add_f32 v[40:41], v[40:41], v[44:45]
	v_pk_fma_f32 v[44:45], v[60:61], v[78:79], v[42:43] op_sel:[0,0,1] op_sel_hi:[1,1,0] neg_lo:[0,0,1] neg_hi:[0,0,1]
	v_pk_fma_f32 v[42:43], v[60:61], v[78:79], v[42:43] op_sel:[0,0,1] op_sel_hi:[1,0,0]
	s_waitcnt vmcnt(12)
	v_mov_b32_e32 v42, v77
	v_mov_b32_e32 v45, v43
	s_waitcnt lgkmcnt(2)
	v_pk_mul_f32 v[42:43], v[62:63], v[42:43] op_sel_hi:[1,0]
	v_pk_add_f32 v[40:41], v[40:41], v[44:45]
	v_pk_fma_f32 v[44:45], v[62:63], v[76:77], v[42:43] op_sel:[0,0,1] op_sel_hi:[1,1,0] neg_lo:[0,0,1] neg_hi:[0,0,1]
	v_pk_fma_f32 v[42:43], v[62:63], v[76:77], v[42:43] op_sel:[0,0,1] op_sel_hi:[1,0,0]
	s_waitcnt vmcnt(11)
	v_mov_b32_e32 v42, v81
	v_mov_b32_e32 v45, v43
	v_pk_mul_f32 v[42:43], v[64:65], v[42:43] op_sel_hi:[1,0]
	v_pk_add_f32 v[40:41], v[40:41], v[44:45]
	s_waitcnt vmcnt(5)
	v_pk_fma_f32 v[44:45], v[64:65], v[80:81], v[42:43] op_sel:[0,0,1] op_sel_hi:[1,1,0] neg_lo:[0,0,1] neg_hi:[0,0,1]
	v_pk_fma_f32 v[42:43], v[64:65], v[80:81], v[42:43] op_sel:[0,0,1] op_sel_hi:[1,0,0]
	v_mov_b32_e32 v42, v87
	v_mov_b32_e32 v45, v43
	s_waitcnt lgkmcnt(1)
	v_pk_mul_f32 v[42:43], v[66:67], v[42:43] op_sel_hi:[1,0]
	v_pk_add_f32 v[40:41], v[40:41], v[44:45]
	v_pk_fma_f32 v[44:45], v[66:67], v[86:87], v[42:43] op_sel:[0,0,1] op_sel_hi:[1,1,0] neg_lo:[0,0,1] neg_hi:[0,0,1]
	v_pk_fma_f32 v[42:43], v[66:67], v[86:87], v[42:43] op_sel:[0,0,1] op_sel_hi:[1,0,0]
	v_mov_b32_e32 v42, v85
	v_mov_b32_e32 v45, v43
	v_pk_mul_f32 v[42:43], v[68:69], v[42:43] op_sel_hi:[1,0]
	v_pk_add_f32 v[40:41], v[40:41], v[44:45]
	v_pk_fma_f32 v[44:45], v[68:69], v[84:85], v[42:43] op_sel:[0,0,1] op_sel_hi:[1,1,0] neg_lo:[0,0,1] neg_hi:[0,0,1]
	v_pk_fma_f32 v[42:43], v[68:69], v[84:85], v[42:43] op_sel:[0,0,1] op_sel_hi:[1,0,0]
	s_waitcnt vmcnt(2)
	v_mov_b32_e32 v42, v83
	v_mov_b32_e32 v45, v43
	s_waitcnt lgkmcnt(0)
	v_pk_mul_f32 v[42:43], v[70:71], v[42:43] op_sel_hi:[1,0]
	v_pk_add_f32 v[40:41], v[40:41], v[44:45]
	v_pk_fma_f32 v[44:45], v[70:71], v[82:83], v[42:43] op_sel:[0,0,1] op_sel_hi:[1,1,0] neg_lo:[0,0,1] neg_hi:[0,0,1]
	v_pk_fma_f32 v[42:43], v[70:71], v[82:83], v[42:43] op_sel:[0,0,1] op_sel_hi:[1,0,0]
	s_waitcnt vmcnt(1)
	v_mov_b32_e32 v42, v91
	v_mov_b32_e32 v45, v43
	v_pk_mul_f32 v[42:43], v[72:73], v[42:43] op_sel_hi:[1,0]
	v_pk_add_f32 v[40:41], v[40:41], v[44:45]
	s_waitcnt vmcnt(0)
	v_pk_fma_f32 v[44:45], v[72:73], v[90:91], v[42:43] op_sel:[0,0,1] op_sel_hi:[1,1,0] neg_lo:[0,0,1] neg_hi:[0,0,1]
	v_pk_fma_f32 v[42:43], v[72:73], v[90:91], v[42:43] op_sel:[0,0,1] op_sel_hi:[1,0,0]
	v_mov_b32_e32 v45, v43
	v_pk_add_f32 v[40:41], v[40:41], v[44:45]
	v_pk_add_f32 v[40:41], v[88:89], v[40:41] neg_lo:[0,1] neg_hi:[0,1]
	buffer_store_dword v41, off, s[0:3], 0 offset:20
	buffer_store_dword v40, off, s[0:3], 0 offset:16
	s_and_saveexec_b64 s[4:5], vcc
	s_cbranch_execz .LBB82_125
; %bb.124:
	buffer_load_dword v40, off, s[0:3], 0 offset:8
	buffer_load_dword v41, off, s[0:3], 0 offset:12
	v_mov_b32_e32 v42, 0
	buffer_store_dword v42, off, s[0:3], 0 offset:8
	buffer_store_dword v42, off, s[0:3], 0 offset:12
	s_waitcnt vmcnt(2)
	ds_write_b64 v1, v[40:41]
.LBB82_125:
	s_or_b64 exec, exec, s[4:5]
	s_waitcnt lgkmcnt(0)
	; wave barrier
	s_waitcnt lgkmcnt(0)
	buffer_load_dword v41, off, s[0:3], 0 offset:20
	buffer_load_dword v84, off, s[0:3], 0 offset:28
	;; [unrolled: 1-line block ×36, first 2 shown]
	v_mov_b32_e32 v40, 0
	ds_read_b128 v[42:45], v40 offset:176
	ds_read_b128 v[46:49], v40 offset:192
	;; [unrolled: 1-line block ×6, first 2 shown]
	v_cmp_ne_u32_e32 vcc, 0, v0
	s_waitcnt vmcnt(35) lgkmcnt(5)
	v_mul_f32_e32 v103, v42, v41
	s_waitcnt vmcnt(34)
	v_mul_f32_e32 v104, v44, v84
	s_waitcnt vmcnt(33) lgkmcnt(4)
	v_mul_f32_e32 v105, v46, v86
	v_mul_f32_e32 v41, v43, v41
	;; [unrolled: 1-line block ×4, first 2 shown]
	s_waitcnt vmcnt(32)
	v_mul_f32_e32 v106, v48, v88
	s_waitcnt vmcnt(31) lgkmcnt(3)
	v_mul_f32_e32 v107, v50, v89
	v_mul_f32_e32 v88, v49, v88
	s_waitcnt vmcnt(26)
	v_fmac_f32_e32 v103, v43, v94
	s_waitcnt vmcnt(25)
	v_fmac_f32_e32 v104, v45, v95
	;; [unrolled: 2-line block ×3, first 2 shown]
	v_fma_f32 v41, v42, v94, -v41
	v_add_f32_e32 v47, 0, v103
	v_fma_f32 v42, v44, v95, -v84
	v_add_f32_e32 v41, 0, v41
	v_add_f32_e32 v47, v47, v104
	s_waitcnt vmcnt(23)
	v_fmac_f32_e32 v106, v49, v97
	v_fma_f32 v43, v46, v96, -v86
	v_add_f32_e32 v41, v41, v42
	v_add_f32_e32 v42, v47, v105
	v_mul_f32_e32 v108, v52, v90
	v_mul_f32_e32 v89, v51, v89
	s_waitcnt vmcnt(22)
	v_fmac_f32_e32 v107, v51, v98
	v_fma_f32 v44, v48, v97, -v88
	v_add_f32_e32 v41, v41, v43
	v_add_f32_e32 v42, v42, v106
	s_waitcnt lgkmcnt(2)
	v_mul_f32_e32 v109, v54, v91
	v_mul_f32_e32 v90, v53, v90
	s_waitcnt vmcnt(21)
	v_fmac_f32_e32 v108, v53, v99
	v_fma_f32 v45, v50, v98, -v89
	v_add_f32_e32 v41, v41, v44
	v_add_f32_e32 v42, v42, v107
	v_mul_f32_e32 v91, v55, v91
	s_waitcnt vmcnt(20)
	v_fmac_f32_e32 v109, v55, v100
	v_fma_f32 v46, v52, v99, -v90
	v_add_f32_e32 v41, v41, v45
	v_add_f32_e32 v42, v42, v108
	;; [unrolled: 1-line block ×4, first 2 shown]
	v_fma_f32 v42, v54, v100, -v91
	s_waitcnt vmcnt(17)
	v_mov_b32_e32 v54, v67
	v_mul_f32_e32 v85, v56, v92
	v_add_f32_e32 v50, v41, v42
	v_mul_f32_e32 v41, v57, v92
	s_waitcnt lgkmcnt(1)
	v_pk_mul_f32 v[54:55], v[60:61], v[54:55] op_sel_hi:[1,0]
	v_mul_f32_e32 v87, v58, v93
	v_fmac_f32_e32 v85, v57, v101
	v_fma_f32 v84, v56, v101, -v41
	v_mul_f32_e32 v41, v59, v93
	s_waitcnt vmcnt(15)
	v_pk_fma_f32 v[56:57], v[60:61], v[66:67], v[54:55] op_sel:[0,0,1] op_sel_hi:[1,1,0] neg_lo:[0,0,1] neg_hi:[0,0,1]
	v_pk_fma_f32 v[54:55], v[60:61], v[66:67], v[54:55] op_sel:[0,0,1] op_sel_hi:[1,0,0]
	v_fmac_f32_e32 v87, v59, v102
	v_fma_f32 v86, v58, v102, -v41
	v_pk_add_f32 v[50:51], v[50:51], v[84:85]
	s_waitcnt vmcnt(12)
	v_mov_b32_e32 v54, v69
	v_pk_add_f32 v[50:51], v[50:51], v[86:87]
	v_mov_b32_e32 v57, v55
	s_waitcnt lgkmcnt(0)
	v_pk_mul_f32 v[54:55], v[62:63], v[54:55] op_sel_hi:[1,0]
	v_pk_add_f32 v[50:51], v[50:51], v[56:57]
	v_pk_fma_f32 v[56:57], v[62:63], v[68:69], v[54:55] op_sel:[0,0,1] op_sel_hi:[1,1,0] neg_lo:[0,0,1] neg_hi:[0,0,1]
	v_pk_fma_f32 v[54:55], v[62:63], v[68:69], v[54:55] op_sel:[0,0,1] op_sel_hi:[1,0,0]
	s_waitcnt vmcnt(11)
	v_mov_b32_e32 v54, v73
	ds_read_b128 v[42:45], v40 offset:272
	ds_read_b128 v[46:49], v40 offset:288
	ds_read_b64 v[52:53], v40 offset:304
	v_mov_b32_e32 v57, v55
	v_pk_mul_f32 v[54:55], v[64:65], v[54:55] op_sel_hi:[1,0]
	v_pk_add_f32 v[50:51], v[50:51], v[56:57]
	s_waitcnt vmcnt(4)
	v_pk_fma_f32 v[56:57], v[64:65], v[72:73], v[54:55] op_sel:[0,0,1] op_sel_hi:[1,1,0] neg_lo:[0,0,1] neg_hi:[0,0,1]
	v_pk_fma_f32 v[54:55], v[64:65], v[72:73], v[54:55] op_sel:[0,0,1] op_sel_hi:[1,0,0]
	v_mov_b32_e32 v54, v79
	v_mov_b32_e32 v57, v55
	s_waitcnt lgkmcnt(2)
	v_pk_mul_f32 v[54:55], v[42:43], v[54:55] op_sel_hi:[1,0]
	v_pk_add_f32 v[50:51], v[50:51], v[56:57]
	v_pk_fma_f32 v[56:57], v[42:43], v[78:79], v[54:55] op_sel:[0,0,1] op_sel_hi:[1,1,0] neg_lo:[0,0,1] neg_hi:[0,0,1]
	v_pk_fma_f32 v[42:43], v[42:43], v[78:79], v[54:55] op_sel:[0,0,1] op_sel_hi:[1,0,0]
	v_mov_b32_e32 v57, v43
	v_pk_add_f32 v[42:43], v[50:51], v[56:57]
	v_mov_b32_e32 v50, v77
	v_pk_mul_f32 v[50:51], v[44:45], v[50:51] op_sel_hi:[1,0]
	v_pk_fma_f32 v[54:55], v[44:45], v[76:77], v[50:51] op_sel:[0,0,1] op_sel_hi:[1,1,0] neg_lo:[0,0,1] neg_hi:[0,0,1]
	v_pk_fma_f32 v[44:45], v[44:45], v[76:77], v[50:51] op_sel:[0,0,1] op_sel_hi:[1,0,0]
	v_mov_b32_e32 v44, v75
	v_mov_b32_e32 v55, v45
	s_waitcnt lgkmcnt(1)
	v_pk_mul_f32 v[44:45], v[46:47], v[44:45] op_sel_hi:[1,0]
	v_pk_fma_f32 v[50:51], v[46:47], v[74:75], v[44:45] op_sel:[0,0,1] op_sel_hi:[1,1,0] neg_lo:[0,0,1] neg_hi:[0,0,1]
	v_pk_fma_f32 v[44:45], v[46:47], v[74:75], v[44:45] op_sel:[0,0,1] op_sel_hi:[1,0,0]
	s_waitcnt vmcnt(1)
	v_mov_b32_e32 v44, v83
	v_mov_b32_e32 v51, v45
	v_pk_mul_f32 v[44:45], v[48:49], v[44:45] op_sel_hi:[1,0]
	s_waitcnt vmcnt(0)
	v_pk_fma_f32 v[46:47], v[48:49], v[82:83], v[44:45] op_sel:[0,0,1] op_sel_hi:[1,1,0] neg_lo:[0,0,1] neg_hi:[0,0,1]
	v_pk_fma_f32 v[44:45], v[48:49], v[82:83], v[44:45] op_sel:[0,0,1] op_sel_hi:[1,0,0]
	v_pk_add_f32 v[42:43], v[42:43], v[54:55]
	v_mov_b32_e32 v44, v81
	v_pk_add_f32 v[42:43], v[42:43], v[50:51]
	v_mov_b32_e32 v47, v45
	s_waitcnt lgkmcnt(0)
	v_pk_mul_f32 v[44:45], v[52:53], v[44:45] op_sel_hi:[1,0]
	v_pk_add_f32 v[42:43], v[42:43], v[46:47]
	v_pk_fma_f32 v[46:47], v[52:53], v[80:81], v[44:45] op_sel:[0,0,1] op_sel_hi:[1,1,0] neg_lo:[0,0,1] neg_hi:[0,0,1]
	v_pk_fma_f32 v[44:45], v[52:53], v[80:81], v[44:45] op_sel:[0,0,1] op_sel_hi:[1,0,0]
	v_mov_b32_e32 v47, v45
	v_pk_add_f32 v[42:43], v[42:43], v[46:47]
	v_pk_add_f32 v[42:43], v[70:71], v[42:43] neg_lo:[0,1] neg_hi:[0,1]
	buffer_store_dword v43, off, s[0:3], 0 offset:12
	buffer_store_dword v42, off, s[0:3], 0 offset:8
	s_and_saveexec_b64 s[4:5], vcc
	s_cbranch_execz .LBB82_127
; %bb.126:
	buffer_load_dword v42, off, s[0:3], 0
	buffer_load_dword v43, off, s[0:3], 0 offset:4
	s_waitcnt vmcnt(0)
	ds_write_b64 v1, v[42:43]
	buffer_store_dword v40, off, s[0:3], 0
	buffer_store_dword v40, off, s[0:3], 0 offset:4
.LBB82_127:
	s_or_b64 exec, exec, s[4:5]
	s_waitcnt lgkmcnt(0)
	; wave barrier
	s_waitcnt lgkmcnt(0)
	buffer_load_dword v41, off, s[0:3], 0 offset:12
	buffer_load_dword v82, off, s[0:3], 0 offset:20
	;; [unrolled: 1-line block ×20, first 2 shown]
	buffer_load_dword v0, off, s[0:3], 0
	buffer_load_dword v1, off, s[0:3], 0 offset:4
	ds_read2_b64 v[42:45], v40 offset0:21 offset1:22
	ds_read2_b64 v[46:49], v40 offset0:23 offset1:24
	buffer_load_dword v67, off, s[0:3], 0 offset:92
	buffer_load_dword v66, off, s[0:3], 0 offset:88
	;; [unrolled: 1-line block ×10, first 2 shown]
	ds_read2_b64 v[50:53], v40 offset0:25 offset1:26
	ds_read2_b64 v[54:57], v40 offset0:27 offset1:28
	;; [unrolled: 1-line block ×4, first 2 shown]
	buffer_load_dword v77, off, s[0:3], 0 offset:148
	buffer_load_dword v76, off, s[0:3], 0 offset:144
	;; [unrolled: 1-line block ×6, first 2 shown]
	s_and_b64 vcc, exec, s[16:17]
	s_waitcnt vmcnt(37) lgkmcnt(5)
	v_mul_f32_e32 v103, v42, v41
	s_waitcnt vmcnt(36)
	v_mul_f32_e32 v104, v44, v82
	s_waitcnt vmcnt(35) lgkmcnt(4)
	v_mul_f32_e32 v105, v46, v84
	v_mul_f32_e32 v41, v43, v41
	;; [unrolled: 1-line block ×4, first 2 shown]
	s_waitcnt vmcnt(34)
	v_mul_f32_e32 v106, v48, v86
	s_waitcnt vmcnt(33) lgkmcnt(3)
	v_mul_f32_e32 v107, v50, v87
	s_waitcnt vmcnt(32)
	v_mul_f32_e32 v108, v52, v88
	s_waitcnt vmcnt(31) lgkmcnt(2)
	v_mul_f32_e32 v109, v54, v89
	s_waitcnt vmcnt(27)
	v_fmac_f32_e32 v103, v43, v93
	s_waitcnt vmcnt(26)
	v_fmac_f32_e32 v104, v45, v94
	v_fma_f32 v41, v42, v93, -v41
	s_waitcnt vmcnt(25)
	v_fma_f32 v43, v46, v95, -v84
	v_add_f32_e32 v46, 0, v103
	v_fmac_f32_e32 v105, v47, v95
	v_fma_f32 v42, v44, v94, -v82
	v_add_f32_e32 v41, 0, v41
	v_add_f32_e32 v46, v46, v104
	s_waitcnt vmcnt(24)
	v_fmac_f32_e32 v106, v49, v96
	v_add_f32_e32 v41, v41, v42
	v_add_f32_e32 v42, v46, v105
	s_waitcnt vmcnt(23)
	v_fmac_f32_e32 v107, v51, v97
	v_add_f32_e32 v42, v42, v106
	v_mul_f32_e32 v86, v49, v86
	s_waitcnt vmcnt(22)
	v_fmac_f32_e32 v108, v53, v98
	v_add_f32_e32 v42, v42, v107
	v_mul_f32_e32 v110, v56, v90
	v_mul_f32_e32 v87, v51, v87
	s_waitcnt vmcnt(21)
	v_fmac_f32_e32 v109, v55, v99
	v_fma_f32 v44, v48, v96, -v86
	v_add_f32_e32 v41, v41, v43
	v_add_f32_e32 v42, v42, v108
	v_mul_f32_e32 v88, v53, v88
	s_waitcnt vmcnt(20)
	v_fmac_f32_e32 v110, v57, v100
	v_fma_f32 v45, v50, v97, -v87
	v_add_f32_e32 v41, v41, v44
	v_add_f32_e32 v42, v42, v109
	;; [unrolled: 1-line block ×4, first 2 shown]
	v_fma_f32 v42, v52, v98, -v88
	v_add_f32_e32 v41, v41, v42
	v_mul_f32_e32 v42, v55, v89
	v_fma_f32 v42, v54, v99, -v42
	v_add_f32_e32 v41, v41, v42
	v_mul_f32_e32 v42, v57, v90
	v_fma_f32 v42, v56, v100, -v42
	s_waitcnt vmcnt(15)
	v_mov_b32_e32 v54, v67
	s_waitcnt lgkmcnt(1)
	v_mul_f32_e32 v83, v58, v91
	v_add_f32_e32 v86, v41, v42
	v_mul_f32_e32 v41, v59, v91
	s_waitcnt lgkmcnt(0)
	v_pk_mul_f32 v[54:55], v[62:63], v[54:55] op_sel_hi:[1,0]
	v_mul_f32_e32 v85, v60, v92
	v_fmac_f32_e32 v83, v59, v101
	v_fma_f32 v82, v58, v101, -v41
	v_mul_f32_e32 v41, v61, v92
	s_waitcnt vmcnt(14)
	v_pk_fma_f32 v[56:57], v[62:63], v[66:67], v[54:55] op_sel:[0,0,1] op_sel_hi:[1,1,0] neg_lo:[0,0,1] neg_hi:[0,0,1]
	v_pk_fma_f32 v[54:55], v[62:63], v[66:67], v[54:55] op_sel:[0,0,1] op_sel_hi:[1,0,0]
	v_fmac_f32_e32 v85, v61, v102
	v_fma_f32 v84, v60, v102, -v41
	ds_read2_b64 v[42:45], v40 offset0:33 offset1:34
	ds_read2_b64 v[46:49], v40 offset0:35 offset1:36
	;; [unrolled: 1-line block ×3, first 2 shown]
	v_pk_add_f32 v[40:41], v[86:87], v[82:83]
	s_waitcnt vmcnt(13)
	v_mov_b32_e32 v54, v69
	v_pk_add_f32 v[40:41], v[40:41], v[84:85]
	v_mov_b32_e32 v57, v55
	v_pk_mul_f32 v[54:55], v[64:65], v[54:55] op_sel_hi:[1,0]
	v_pk_add_f32 v[40:41], v[40:41], v[56:57]
	s_waitcnt vmcnt(6)
	v_pk_fma_f32 v[56:57], v[64:65], v[68:69], v[54:55] op_sel:[0,0,1] op_sel_hi:[1,1,0] neg_lo:[0,0,1] neg_hi:[0,0,1]
	v_pk_fma_f32 v[54:55], v[64:65], v[68:69], v[54:55] op_sel:[0,0,1] op_sel_hi:[1,0,0]
	v_mov_b32_e32 v54, v75
	v_mov_b32_e32 v57, v55
	s_waitcnt lgkmcnt(2)
	v_pk_mul_f32 v[54:55], v[42:43], v[54:55] op_sel_hi:[1,0]
	v_pk_add_f32 v[40:41], v[40:41], v[56:57]
	v_pk_fma_f32 v[56:57], v[42:43], v[74:75], v[54:55] op_sel:[0,0,1] op_sel_hi:[1,1,0] neg_lo:[0,0,1] neg_hi:[0,0,1]
	v_pk_fma_f32 v[42:43], v[42:43], v[74:75], v[54:55] op_sel:[0,0,1] op_sel_hi:[1,0,0]
	v_mov_b32_e32 v42, v73
	v_mov_b32_e32 v57, v43
	v_pk_mul_f32 v[42:43], v[44:45], v[42:43] op_sel_hi:[1,0]
	v_pk_fma_f32 v[54:55], v[44:45], v[72:73], v[42:43] op_sel:[0,0,1] op_sel_hi:[1,1,0] neg_lo:[0,0,1] neg_hi:[0,0,1]
	v_pk_fma_f32 v[42:43], v[44:45], v[72:73], v[42:43] op_sel:[0,0,1] op_sel_hi:[1,0,0]
	v_mov_b32_e32 v42, v71
	v_mov_b32_e32 v55, v43
	s_waitcnt lgkmcnt(1)
	v_pk_mul_f32 v[42:43], v[46:47], v[42:43] op_sel_hi:[1,0]
	v_pk_fma_f32 v[44:45], v[46:47], v[70:71], v[42:43] op_sel:[0,0,1] op_sel_hi:[1,1,0] neg_lo:[0,0,1] neg_hi:[0,0,1]
	v_pk_fma_f32 v[42:43], v[46:47], v[70:71], v[42:43] op_sel:[0,0,1] op_sel_hi:[1,0,0]
	v_pk_add_f32 v[40:41], v[40:41], v[56:57]
	s_waitcnt vmcnt(1)
	v_mov_b32_e32 v42, v81
	v_pk_add_f32 v[40:41], v[40:41], v[54:55]
	v_mov_b32_e32 v45, v43
	v_pk_mul_f32 v[42:43], v[48:49], v[42:43] op_sel_hi:[1,0]
	v_pk_add_f32 v[40:41], v[40:41], v[44:45]
	s_waitcnt vmcnt(0)
	v_pk_fma_f32 v[44:45], v[48:49], v[80:81], v[42:43] op_sel:[0,0,1] op_sel_hi:[1,1,0] neg_lo:[0,0,1] neg_hi:[0,0,1]
	v_pk_fma_f32 v[42:43], v[48:49], v[80:81], v[42:43] op_sel:[0,0,1] op_sel_hi:[1,0,0]
	v_mov_b32_e32 v42, v79
	v_mov_b32_e32 v45, v43
	s_waitcnt lgkmcnt(0)
	v_pk_mul_f32 v[42:43], v[50:51], v[42:43] op_sel_hi:[1,0]
	v_pk_add_f32 v[40:41], v[40:41], v[44:45]
	v_pk_fma_f32 v[44:45], v[50:51], v[78:79], v[42:43] op_sel:[0,0,1] op_sel_hi:[1,1,0] neg_lo:[0,0,1] neg_hi:[0,0,1]
	v_pk_fma_f32 v[42:43], v[50:51], v[78:79], v[42:43] op_sel:[0,0,1] op_sel_hi:[1,0,0]
	v_mov_b32_e32 v42, v77
	v_mov_b32_e32 v45, v43
	v_pk_mul_f32 v[42:43], v[52:53], v[42:43] op_sel_hi:[1,0]
	v_pk_add_f32 v[40:41], v[40:41], v[44:45]
	v_pk_fma_f32 v[44:45], v[52:53], v[76:77], v[42:43] op_sel:[0,0,1] op_sel_hi:[1,1,0] neg_lo:[0,0,1] neg_hi:[0,0,1]
	v_pk_fma_f32 v[42:43], v[52:53], v[76:77], v[42:43] op_sel:[0,0,1] op_sel_hi:[1,0,0]
	v_mov_b32_e32 v45, v43
	v_pk_add_f32 v[40:41], v[40:41], v[44:45]
	v_pk_add_f32 v[0:1], v[0:1], v[40:41] neg_lo:[0,1] neg_hi:[0,1]
	buffer_store_dword v1, off, s[0:3], 0 offset:4
	buffer_store_dword v0, off, s[0:3], 0
	s_cbranch_vccz .LBB82_165
; %bb.128:
	v_pk_mov_b32 v[0:1], s[10:11], s[10:11] op_sel:[0,1]
	flat_load_dword v0, v[0:1] offset:68
	s_waitcnt vmcnt(0) lgkmcnt(0)
	v_add_u32_e32 v0, -1, v0
	v_cmp_ne_u32_e32 vcc, 17, v0
	s_and_saveexec_b64 s[4:5], vcc
	s_cbranch_execz .LBB82_130
; %bb.129:
	v_mov_b32_e32 v1, 0
	v_lshl_add_u32 v0, v0, 3, v1
	buffer_load_dword v1, v0, s[0:3], 0 offen
	buffer_load_dword v40, v0, s[0:3], 0 offen offset:4
	buffer_load_dword v41, off, s[0:3], 0 offset:136
	buffer_load_dword v42, off, s[0:3], 0 offset:140
	s_waitcnt vmcnt(3)
	buffer_store_dword v1, off, s[0:3], 0 offset:136
	s_waitcnt vmcnt(3)
	buffer_store_dword v40, off, s[0:3], 0 offset:140
	s_waitcnt vmcnt(3)
	buffer_store_dword v41, v0, s[0:3], 0 offen
	s_waitcnt vmcnt(3)
	buffer_store_dword v42, v0, s[0:3], 0 offen offset:4
.LBB82_130:
	s_or_b64 exec, exec, s[4:5]
	v_pk_mov_b32 v[0:1], s[10:11], s[10:11] op_sel:[0,1]
	flat_load_dword v0, v[0:1] offset:64
	s_waitcnt vmcnt(0) lgkmcnt(0)
	v_add_u32_e32 v0, -1, v0
	v_cmp_ne_u32_e32 vcc, 16, v0
	s_and_saveexec_b64 s[4:5], vcc
	s_cbranch_execz .LBB82_132
; %bb.131:
	v_mov_b32_e32 v1, 0
	v_lshl_add_u32 v0, v0, 3, v1
	buffer_load_dword v1, v0, s[0:3], 0 offen
	buffer_load_dword v40, v0, s[0:3], 0 offen offset:4
	buffer_load_dword v41, off, s[0:3], 0 offset:132
	buffer_load_dword v42, off, s[0:3], 0 offset:128
	s_waitcnt vmcnt(3)
	buffer_store_dword v1, off, s[0:3], 0 offset:128
	s_waitcnt vmcnt(3)
	buffer_store_dword v40, off, s[0:3], 0 offset:132
	s_waitcnt vmcnt(3)
	buffer_store_dword v41, v0, s[0:3], 0 offen offset:4
	s_waitcnt vmcnt(3)
	buffer_store_dword v42, v0, s[0:3], 0 offen
.LBB82_132:
	s_or_b64 exec, exec, s[4:5]
	v_pk_mov_b32 v[0:1], s[10:11], s[10:11] op_sel:[0,1]
	flat_load_dword v0, v[0:1] offset:60
	s_waitcnt vmcnt(0) lgkmcnt(0)
	v_add_u32_e32 v0, -1, v0
	v_cmp_ne_u32_e32 vcc, 15, v0
	s_and_saveexec_b64 s[4:5], vcc
	s_cbranch_execz .LBB82_134
; %bb.133:
	v_mov_b32_e32 v1, 0
	v_lshl_add_u32 v0, v0, 3, v1
	buffer_load_dword v1, v0, s[0:3], 0 offen
	buffer_load_dword v40, v0, s[0:3], 0 offen offset:4
	buffer_load_dword v41, off, s[0:3], 0 offset:120
	buffer_load_dword v42, off, s[0:3], 0 offset:124
	s_waitcnt vmcnt(3)
	buffer_store_dword v1, off, s[0:3], 0 offset:120
	s_waitcnt vmcnt(3)
	buffer_store_dword v40, off, s[0:3], 0 offset:124
	s_waitcnt vmcnt(3)
	buffer_store_dword v41, v0, s[0:3], 0 offen
	s_waitcnt vmcnt(3)
	buffer_store_dword v42, v0, s[0:3], 0 offen offset:4
.LBB82_134:
	s_or_b64 exec, exec, s[4:5]
	v_pk_mov_b32 v[0:1], s[10:11], s[10:11] op_sel:[0,1]
	flat_load_dword v0, v[0:1] offset:56
	s_waitcnt vmcnt(0) lgkmcnt(0)
	v_add_u32_e32 v0, -1, v0
	v_cmp_ne_u32_e32 vcc, 14, v0
	s_and_saveexec_b64 s[4:5], vcc
	s_cbranch_execz .LBB82_136
; %bb.135:
	v_mov_b32_e32 v1, 0
	v_lshl_add_u32 v0, v0, 3, v1
	buffer_load_dword v1, v0, s[0:3], 0 offen
	buffer_load_dword v40, v0, s[0:3], 0 offen offset:4
	buffer_load_dword v41, off, s[0:3], 0 offset:116
	buffer_load_dword v42, off, s[0:3], 0 offset:112
	s_waitcnt vmcnt(3)
	buffer_store_dword v1, off, s[0:3], 0 offset:112
	s_waitcnt vmcnt(3)
	buffer_store_dword v40, off, s[0:3], 0 offset:116
	s_waitcnt vmcnt(3)
	buffer_store_dword v41, v0, s[0:3], 0 offen offset:4
	s_waitcnt vmcnt(3)
	buffer_store_dword v42, v0, s[0:3], 0 offen
.LBB82_136:
	s_or_b64 exec, exec, s[4:5]
	;; [unrolled: 48-line block ×8, first 2 shown]
	v_pk_mov_b32 v[0:1], s[10:11], s[10:11] op_sel:[0,1]
	flat_load_dword v0, v[0:1] offset:4
	s_waitcnt vmcnt(0) lgkmcnt(0)
	v_add_u32_e32 v0, -1, v0
	v_cmp_ne_u32_e32 vcc, 1, v0
	s_and_saveexec_b64 s[4:5], vcc
	s_cbranch_execz .LBB82_162
; %bb.161:
	v_mov_b32_e32 v1, 0
	v_lshl_add_u32 v0, v0, 3, v1
	buffer_load_dword v1, v0, s[0:3], 0 offen
	buffer_load_dword v40, v0, s[0:3], 0 offen offset:4
	buffer_load_dword v41, off, s[0:3], 0 offset:8
	buffer_load_dword v42, off, s[0:3], 0 offset:12
	s_waitcnt vmcnt(3)
	buffer_store_dword v1, off, s[0:3], 0 offset:8
	s_waitcnt vmcnt(3)
	buffer_store_dword v40, off, s[0:3], 0 offset:12
	s_waitcnt vmcnt(3)
	buffer_store_dword v41, v0, s[0:3], 0 offen
	s_waitcnt vmcnt(3)
	buffer_store_dword v42, v0, s[0:3], 0 offen offset:4
.LBB82_162:
	s_or_b64 exec, exec, s[4:5]
	v_pk_mov_b32 v[0:1], s[10:11], s[10:11] op_sel:[0,1]
	flat_load_dword v40, v[0:1]
	s_nop 0
	buffer_load_dword v0, off, s[0:3], 0
	buffer_load_dword v1, off, s[0:3], 0 offset:4
	s_waitcnt vmcnt(0) lgkmcnt(0)
	v_add_u32_e32 v40, -1, v40
	v_cmp_ne_u32_e32 vcc, 0, v40
	s_and_saveexec_b64 s[4:5], vcc
	s_cbranch_execz .LBB82_164
; %bb.163:
	v_mov_b32_e32 v41, 0
	v_lshl_add_u32 v40, v40, 3, v41
	buffer_load_dword v41, v40, s[0:3], 0 offen offset:4
	buffer_load_dword v42, v40, s[0:3], 0 offen
	s_waitcnt vmcnt(1)
	buffer_store_dword v41, off, s[0:3], 0 offset:4
	s_waitcnt vmcnt(1)
	buffer_store_dword v42, off, s[0:3], 0
	buffer_store_dword v1, v40, s[0:3], 0 offen offset:4
	buffer_store_dword v0, v40, s[0:3], 0 offen
	buffer_load_dword v0, off, s[0:3], 0
	s_nop 0
	buffer_load_dword v1, off, s[0:3], 0 offset:4
.LBB82_164:
	s_or_b64 exec, exec, s[4:5]
.LBB82_165:
	buffer_load_dword v40, off, s[0:3], 0 offset:8
	buffer_load_dword v41, off, s[0:3], 0 offset:12
	;; [unrolled: 1-line block ×36, first 2 shown]
	s_waitcnt vmcnt(36)
	global_store_dwordx2 v[2:3], v[0:1], off
	s_waitcnt vmcnt(35)
	global_store_dwordx2 v[4:5], v[40:41], off
	;; [unrolled: 2-line block ×19, first 2 shown]
	s_endpgm
	.section	.rodata,"a",@progbits
	.p2align	6, 0x0
	.amdhsa_kernel _ZN9rocsolver6v33100L18getri_kernel_smallILi19E19rocblas_complex_numIfEPKPS3_EEvT1_iilPiilS8_bb
		.amdhsa_group_segment_fixed_size 312
		.amdhsa_private_segment_fixed_size 160
		.amdhsa_kernarg_size 60
		.amdhsa_user_sgpr_count 8
		.amdhsa_user_sgpr_private_segment_buffer 1
		.amdhsa_user_sgpr_dispatch_ptr 0
		.amdhsa_user_sgpr_queue_ptr 0
		.amdhsa_user_sgpr_kernarg_segment_ptr 1
		.amdhsa_user_sgpr_dispatch_id 0
		.amdhsa_user_sgpr_flat_scratch_init 1
		.amdhsa_user_sgpr_kernarg_preload_length 0
		.amdhsa_user_sgpr_kernarg_preload_offset 0
		.amdhsa_user_sgpr_private_segment_size 0
		.amdhsa_uses_dynamic_stack 0
		.amdhsa_system_sgpr_private_segment_wavefront_offset 1
		.amdhsa_system_sgpr_workgroup_id_x 1
		.amdhsa_system_sgpr_workgroup_id_y 0
		.amdhsa_system_sgpr_workgroup_id_z 0
		.amdhsa_system_sgpr_workgroup_info 0
		.amdhsa_system_vgpr_workitem_id 0
		.amdhsa_next_free_vgpr 115
		.amdhsa_next_free_sgpr 22
		.amdhsa_accum_offset 116
		.amdhsa_reserve_vcc 1
		.amdhsa_reserve_flat_scratch 1
		.amdhsa_float_round_mode_32 0
		.amdhsa_float_round_mode_16_64 0
		.amdhsa_float_denorm_mode_32 3
		.amdhsa_float_denorm_mode_16_64 3
		.amdhsa_dx10_clamp 1
		.amdhsa_ieee_mode 1
		.amdhsa_fp16_overflow 0
		.amdhsa_tg_split 0
		.amdhsa_exception_fp_ieee_invalid_op 0
		.amdhsa_exception_fp_denorm_src 0
		.amdhsa_exception_fp_ieee_div_zero 0
		.amdhsa_exception_fp_ieee_overflow 0
		.amdhsa_exception_fp_ieee_underflow 0
		.amdhsa_exception_fp_ieee_inexact 0
		.amdhsa_exception_int_div_zero 0
	.end_amdhsa_kernel
	.section	.text._ZN9rocsolver6v33100L18getri_kernel_smallILi19E19rocblas_complex_numIfEPKPS3_EEvT1_iilPiilS8_bb,"axG",@progbits,_ZN9rocsolver6v33100L18getri_kernel_smallILi19E19rocblas_complex_numIfEPKPS3_EEvT1_iilPiilS8_bb,comdat
.Lfunc_end82:
	.size	_ZN9rocsolver6v33100L18getri_kernel_smallILi19E19rocblas_complex_numIfEPKPS3_EEvT1_iilPiilS8_bb, .Lfunc_end82-_ZN9rocsolver6v33100L18getri_kernel_smallILi19E19rocblas_complex_numIfEPKPS3_EEvT1_iilPiilS8_bb
                                        ; -- End function
	.section	.AMDGPU.csdata,"",@progbits
; Kernel info:
; codeLenInByte = 21924
; NumSgprs: 28
; NumVgprs: 115
; NumAgprs: 0
; TotalNumVgprs: 115
; ScratchSize: 160
; MemoryBound: 0
; FloatMode: 240
; IeeeMode: 1
; LDSByteSize: 312 bytes/workgroup (compile time only)
; SGPRBlocks: 3
; VGPRBlocks: 14
; NumSGPRsForWavesPerEU: 28
; NumVGPRsForWavesPerEU: 115
; AccumOffset: 116
; Occupancy: 4
; WaveLimiterHint : 1
; COMPUTE_PGM_RSRC2:SCRATCH_EN: 1
; COMPUTE_PGM_RSRC2:USER_SGPR: 8
; COMPUTE_PGM_RSRC2:TRAP_HANDLER: 0
; COMPUTE_PGM_RSRC2:TGID_X_EN: 1
; COMPUTE_PGM_RSRC2:TGID_Y_EN: 0
; COMPUTE_PGM_RSRC2:TGID_Z_EN: 0
; COMPUTE_PGM_RSRC2:TIDIG_COMP_CNT: 0
; COMPUTE_PGM_RSRC3_GFX90A:ACCUM_OFFSET: 28
; COMPUTE_PGM_RSRC3_GFX90A:TG_SPLIT: 0
	.section	.text._ZN9rocsolver6v33100L18getri_kernel_smallILi20E19rocblas_complex_numIfEPKPS3_EEvT1_iilPiilS8_bb,"axG",@progbits,_ZN9rocsolver6v33100L18getri_kernel_smallILi20E19rocblas_complex_numIfEPKPS3_EEvT1_iilPiilS8_bb,comdat
	.globl	_ZN9rocsolver6v33100L18getri_kernel_smallILi20E19rocblas_complex_numIfEPKPS3_EEvT1_iilPiilS8_bb ; -- Begin function _ZN9rocsolver6v33100L18getri_kernel_smallILi20E19rocblas_complex_numIfEPKPS3_EEvT1_iilPiilS8_bb
	.p2align	8
	.type	_ZN9rocsolver6v33100L18getri_kernel_smallILi20E19rocblas_complex_numIfEPKPS3_EEvT1_iilPiilS8_bb,@function
_ZN9rocsolver6v33100L18getri_kernel_smallILi20E19rocblas_complex_numIfEPKPS3_EEvT1_iilPiilS8_bb: ; @_ZN9rocsolver6v33100L18getri_kernel_smallILi20E19rocblas_complex_numIfEPKPS3_EEvT1_iilPiilS8_bb
; %bb.0:
	s_add_u32 flat_scratch_lo, s6, s9
	s_addc_u32 flat_scratch_hi, s7, 0
	s_add_u32 s0, s0, s9
	s_addc_u32 s1, s1, 0
	v_cmp_gt_u32_e32 vcc, 20, v0
	s_and_saveexec_b64 s[6:7], vcc
	s_cbranch_execz .LBB83_94
; %bb.1:
	s_load_dword s20, s[4:5], 0x38
	s_load_dwordx2 s[6:7], s[4:5], 0x0
	s_load_dwordx4 s[12:15], s[4:5], 0x28
	s_waitcnt lgkmcnt(0)
	s_bitcmp1_b32 s20, 8
	s_cselect_b64 s[16:17], -1, 0
	s_ashr_i32 s9, s8, 31
	s_lshl_b64 s[10:11], s[8:9], 3
	s_add_u32 s6, s6, s10
	s_addc_u32 s7, s7, s11
	s_load_dwordx2 s[18:19], s[6:7], 0x0
	s_bfe_u32 s6, s20, 0x10008
	s_cmp_eq_u32 s6, 0
                                        ; implicit-def: $sgpr10_sgpr11
	s_cbranch_scc1 .LBB83_3
; %bb.2:
	s_load_dword s6, s[4:5], 0x20
	s_load_dwordx2 s[10:11], s[4:5], 0x18
	s_mul_i32 s7, s8, s13
	s_mul_hi_u32 s13, s8, s12
	s_add_i32 s13, s13, s7
	s_mul_i32 s21, s9, s12
	s_add_i32 s13, s13, s21
	s_mul_i32 s12, s8, s12
	s_waitcnt lgkmcnt(0)
	s_ashr_i32 s7, s6, 31
	s_lshl_b64 s[12:13], s[12:13], 2
	s_add_u32 s10, s10, s12
	s_addc_u32 s11, s11, s13
	s_lshl_b64 s[6:7], s[6:7], 2
	s_add_u32 s10, s10, s6
	s_addc_u32 s11, s11, s7
.LBB83_3:
	s_load_dwordx2 s[6:7], s[4:5], 0x8
	v_lshlrev_b32_e32 v52, 3, v0
	s_waitcnt lgkmcnt(0)
	s_ashr_i32 s5, s6, 31
	s_mov_b32 s4, s6
	s_lshl_b64 s[4:5], s[4:5], 3
	s_add_u32 s4, s18, s4
	s_addc_u32 s5, s19, s5
	v_mov_b32_e32 v1, s5
	v_add_co_u32_e32 v2, vcc, s4, v52
	s_ashr_i32 s13, s7, 31
	s_mov_b32 s12, s7
	s_add_i32 s6, s7, s7
	v_addc_co_u32_e32 v3, vcc, 0, v1, vcc
	s_lshl_b64 s[12:13], s[12:13], 3
	v_add_u32_e32 v8, s6, v0
	v_mov_b32_e32 v1, s13
	v_add_co_u32_e32 v4, vcc, s12, v2
	v_ashrrev_i32_e32 v9, 31, v8
	v_addc_co_u32_e32 v5, vcc, v3, v1, vcc
	v_lshlrev_b64 v[6:7], 3, v[8:9]
	v_add_u32_e32 v10, s7, v8
	v_mov_b32_e32 v1, s5
	v_add_co_u32_e32 v6, vcc, s4, v6
	v_ashrrev_i32_e32 v11, 31, v10
	v_addc_co_u32_e32 v7, vcc, v1, v7, vcc
	v_lshlrev_b64 v[8:9], 3, v[10:11]
	v_add_u32_e32 v12, s7, v10
	v_add_co_u32_e32 v8, vcc, s4, v8
	v_ashrrev_i32_e32 v13, 31, v12
	v_addc_co_u32_e32 v9, vcc, v1, v9, vcc
	v_lshlrev_b64 v[10:11], 3, v[12:13]
	v_add_u32_e32 v14, s7, v12
	;; [unrolled: 5-line block ×8, first 2 shown]
	v_add_co_u32_e32 v22, vcc, s4, v22
	v_ashrrev_i32_e32 v25, 31, v24
	v_addc_co_u32_e32 v23, vcc, v1, v23, vcc
	v_add_u32_e32 v26, s7, v24
	v_lshlrev_b64 v[24:25], 3, v[24:25]
	v_mov_b32_e32 v27, s5
	v_add_co_u32_e32 v24, vcc, s4, v24
	v_addc_co_u32_e32 v25, vcc, v27, v25, vcc
	v_ashrrev_i32_e32 v27, 31, v26
	v_add_u32_e32 v28, s7, v26
	v_lshlrev_b64 v[26:27], 3, v[26:27]
	v_mov_b32_e32 v29, s5
	v_add_co_u32_e32 v26, vcc, s4, v26
	v_addc_co_u32_e32 v27, vcc, v29, v27, vcc
	v_ashrrev_i32_e32 v29, 31, v28
	;; [unrolled: 6-line block ×7, first 2 shown]
	v_add_u32_e32 v40, s7, v38
	v_lshlrev_b64 v[38:39], 3, v[38:39]
	v_mov_b32_e32 v53, s5
	v_add_co_u32_e32 v38, vcc, s4, v38
	global_load_dwordx2 v[42:43], v52, s[4:5]
	global_load_dwordx2 v[50:51], v[4:5], off
	global_load_dwordx2 v[46:47], v[6:7], off
	;; [unrolled: 1-line block ×14, first 2 shown]
	v_addc_co_u32_e32 v39, vcc, v53, v39, vcc
	global_load_dwordx2 v[74:75], v[32:33], off
	global_load_dwordx2 v[76:77], v[34:35], off
	;; [unrolled: 1-line block ×4, first 2 shown]
	v_ashrrev_i32_e32 v41, 31, v40
	v_lshlrev_b64 v[40:41], 3, v[40:41]
	v_add_co_u32_e32 v40, vcc, s4, v40
	v_addc_co_u32_e32 v41, vcc, v1, v41, vcc
	global_load_dwordx2 v[82:83], v[40:41], off
	s_bitcmp0_b32 s20, 0
	s_mov_b64 s[6:7], -1
	s_waitcnt vmcnt(19)
	buffer_store_dword v43, off, s[0:3], 0 offset:4
	buffer_store_dword v42, off, s[0:3], 0
	s_waitcnt vmcnt(20)
	buffer_store_dword v51, off, s[0:3], 0 offset:12
	buffer_store_dword v50, off, s[0:3], 0 offset:8
	s_waitcnt vmcnt(21)
	buffer_store_dword v47, off, s[0:3], 0 offset:20
	buffer_store_dword v46, off, s[0:3], 0 offset:16
	;; [unrolled: 3-line block ×19, first 2 shown]
	s_cbranch_scc1 .LBB83_92
; %bb.4:
	v_cmp_eq_u32_e64 s[4:5], 0, v0
	s_and_saveexec_b64 s[6:7], s[4:5]
	s_cbranch_execz .LBB83_6
; %bb.5:
	v_mov_b32_e32 v1, 0
	ds_write_b32 v1, v1 offset:320
.LBB83_6:
	s_or_b64 exec, exec, s[6:7]
	v_mov_b32_e32 v1, 0
	v_lshl_add_u32 v46, v0, 3, v1
	s_waitcnt lgkmcnt(0)
	; wave barrier
	s_waitcnt lgkmcnt(0)
	buffer_load_dword v1, v46, s[0:3], 0 offen
	buffer_load_dword v42, v46, s[0:3], 0 offen offset:4
	s_waitcnt vmcnt(1)
	v_cmp_eq_f32_e32 vcc, 0, v1
	s_waitcnt vmcnt(0)
	v_cmp_eq_f32_e64 s[6:7], 0, v42
	s_and_b64 s[6:7], vcc, s[6:7]
	s_and_saveexec_b64 s[12:13], s[6:7]
	s_cbranch_execz .LBB83_10
; %bb.7:
	v_mov_b32_e32 v1, 0
	ds_read_b32 v43, v1 offset:320
	v_add_u32_e32 v42, 1, v0
	s_waitcnt lgkmcnt(0)
	v_readfirstlane_b32 s6, v43
	s_cmp_eq_u32 s6, 0
	s_cselect_b64 s[18:19], -1, 0
	v_cmp_gt_i32_e32 vcc, s6, v42
	s_or_b64 s[18:19], s[18:19], vcc
	s_and_b64 exec, exec, s[18:19]
	s_cbranch_execz .LBB83_10
; %bb.8:
	s_mov_b64 s[18:19], 0
	v_mov_b32_e32 v43, s6
.LBB83_9:                               ; =>This Inner Loop Header: Depth=1
	ds_cmpst_rtn_b32 v43, v1, v43, v42 offset:320
	s_waitcnt lgkmcnt(0)
	v_cmp_ne_u32_e32 vcc, 0, v43
	v_cmp_le_i32_e64 s[6:7], v43, v42
	s_and_b64 s[6:7], vcc, s[6:7]
	s_and_b64 s[6:7], exec, s[6:7]
	s_or_b64 s[18:19], s[6:7], s[18:19]
	s_andn2_b64 exec, exec, s[18:19]
	s_cbranch_execnz .LBB83_9
.LBB83_10:
	s_or_b64 exec, exec, s[12:13]
	v_mov_b32_e32 v42, 0
	s_waitcnt lgkmcnt(0)
	; wave barrier
	ds_read_b32 v1, v42 offset:320
	s_and_saveexec_b64 s[6:7], s[4:5]
	s_cbranch_execz .LBB83_12
; %bb.11:
	s_lshl_b64 s[12:13], s[8:9], 2
	s_add_u32 s12, s14, s12
	s_addc_u32 s13, s15, s13
	s_waitcnt lgkmcnt(0)
	global_store_dword v42, v1, s[12:13]
.LBB83_12:
	s_or_b64 exec, exec, s[6:7]
	s_waitcnt lgkmcnt(0)
	v_cmp_ne_u32_e32 vcc, 0, v1
	s_mov_b64 s[6:7], 0
	s_cbranch_vccnz .LBB83_92
; %bb.13:
	buffer_load_dword v47, v46, s[0:3], 0 offen offset:4
	buffer_load_dword v43, v46, s[0:3], 0 offen
	s_waitcnt vmcnt(1)
	v_cmp_gt_f32_e32 vcc, 0, v47
	v_cndmask_b32_e64 v1, v47, -v47, vcc
	s_waitcnt vmcnt(0)
	v_cmp_gt_f32_e32 vcc, 0, v43
	v_cndmask_b32_e64 v42, v43, -v43, vcc
	v_cmp_ngt_f32_e32 vcc, v42, v1
                                        ; implicit-def: $vgpr1
                                        ; implicit-def: $vgpr42
	s_and_saveexec_b64 s[6:7], vcc
	s_xor_b64 s[6:7], exec, s[6:7]
                                        ; implicit-def: $vgpr44_vgpr45
	s_cbranch_execz .LBB83_15
; %bb.14:
	v_div_scale_f32 v1, s[12:13], v47, v47, v43
	v_rcp_f32_e32 v42, v1
	v_div_scale_f32 v44, vcc, v43, v47, v43
	v_fma_f32 v45, -v1, v42, 1.0
	v_fmac_f32_e32 v42, v45, v42
	v_mul_f32_e32 v45, v44, v42
	v_fma_f32 v48, -v1, v45, v44
	v_fmac_f32_e32 v45, v48, v42
	v_fma_f32 v1, -v1, v45, v44
	v_div_fmas_f32 v1, v1, v42, v45
	v_div_fixup_f32 v42, v1, v47, v43
	v_fmac_f32_e32 v47, v43, v42
	v_div_scale_f32 v1, s[12:13], v47, v47, -1.0
	v_rcp_f32_e32 v43, v1
	v_fma_f32 v44, -v1, v43, 1.0
	v_fmac_f32_e32 v43, v44, v43
	v_div_scale_f32 v44, vcc, -1.0, v47, -1.0
	v_mul_f32_e32 v45, v44, v43
	v_fma_f32 v48, -v1, v45, v44
	v_fmac_f32_e32 v45, v48, v43
	v_fma_f32 v1, -v1, v45, v44
	v_div_fmas_f32 v1, v1, v43, v45
	v_div_fixup_f32 v1, v1, v47, -1.0
	v_mul_f32_e32 v42, v42, v1
	v_xor_b32_e32 v44, 0x80000000, v42
                                        ; implicit-def: $vgpr43
                                        ; implicit-def: $vgpr47
.LBB83_15:
	s_andn2_saveexec_b64 s[6:7], s[6:7]
	s_cbranch_execz .LBB83_17
; %bb.16:
	v_div_scale_f32 v1, s[12:13], v43, v43, v47
	v_rcp_f32_e32 v42, v1
	v_div_scale_f32 v44, vcc, v47, v43, v47
	v_fma_f32 v45, -v1, v42, 1.0
	v_fmac_f32_e32 v42, v45, v42
	v_mul_f32_e32 v45, v44, v42
	v_fma_f32 v48, -v1, v45, v44
	v_fmac_f32_e32 v45, v48, v42
	v_fma_f32 v1, -v1, v45, v44
	v_div_fmas_f32 v1, v1, v42, v45
	v_div_fixup_f32 v1, v1, v43, v47
	v_fmac_f32_e32 v43, v47, v1
	v_div_scale_f32 v42, s[12:13], v43, v43, 1.0
	v_rcp_f32_e32 v44, v42
	v_fma_f32 v45, -v42, v44, 1.0
	v_fmac_f32_e32 v44, v45, v44
	v_div_scale_f32 v45, vcc, 1.0, v43, 1.0
	v_mul_f32_e32 v47, v45, v44
	v_fma_f32 v48, -v42, v47, v45
	v_fmac_f32_e32 v47, v48, v44
	v_fma_f32 v42, -v42, v47, v45
	v_div_fmas_f32 v42, v42, v44, v47
	v_div_fixup_f32 v44, v42, v43, 1.0
	v_xor_b32_e32 v42, 0x80000000, v44
	v_mul_f32_e64 v1, v1, -v44
.LBB83_17:
	s_or_b64 exec, exec, s[6:7]
	buffer_store_dword v1, v46, s[0:3], 0 offen offset:4
	buffer_store_dword v44, v46, s[0:3], 0 offen
	buffer_load_dword v45, off, s[0:3], 0 offset:12
	s_nop 0
	buffer_load_dword v44, off, s[0:3], 0 offset:8
	v_xor_b32_e32 v43, 0x80000000, v1
	v_add_u32_e32 v1, 0xa0, v52
	s_waitcnt vmcnt(0)
	ds_write2_b64 v52, v[42:43], v[44:45] offset1:20
	s_waitcnt lgkmcnt(0)
	; wave barrier
	s_waitcnt lgkmcnt(0)
	s_and_saveexec_b64 s[6:7], s[4:5]
	s_cbranch_execz .LBB83_19
; %bb.18:
	buffer_load_dword v47, v46, s[0:3], 0 offen offset:4
	buffer_load_dword v48, v46, s[0:3], 0 offen
	ds_read_b64 v[42:43], v1
	v_mov_b32_e32 v44, 0
	ds_read_b64 v[44:45], v44 offset:8
	s_waitcnt vmcnt(1) lgkmcnt(1)
	v_mul_f32_e32 v49, v43, v47
	v_mul_f32_e32 v47, v42, v47
	s_waitcnt vmcnt(0)
	v_fmac_f32_e32 v47, v43, v48
	v_fma_f32 v42, v42, v48, -v49
	v_add_f32_e32 v43, 0, v47
	v_add_f32_e32 v42, 0, v42
	s_waitcnt lgkmcnt(0)
	v_mul_f32_e32 v47, v43, v45
	v_mul_f32_e32 v45, v42, v45
	v_fma_f32 v42, v42, v44, -v47
	v_fmac_f32_e32 v45, v43, v44
	buffer_store_dword v42, off, s[0:3], 0 offset:8
	buffer_store_dword v45, off, s[0:3], 0 offset:12
.LBB83_19:
	s_or_b64 exec, exec, s[6:7]
	s_waitcnt lgkmcnt(0)
	; wave barrier
	buffer_load_dword v42, off, s[0:3], 0 offset:16
	buffer_load_dword v43, off, s[0:3], 0 offset:20
	v_cmp_gt_u32_e32 vcc, 2, v0
	s_waitcnt vmcnt(0)
	ds_write_b64 v1, v[42:43]
	s_waitcnt lgkmcnt(0)
	; wave barrier
	s_waitcnt lgkmcnt(0)
	s_and_saveexec_b64 s[6:7], vcc
	s_cbranch_execz .LBB83_23
; %bb.20:
	buffer_load_dword v44, v46, s[0:3], 0 offen offset:4
	buffer_load_dword v45, v46, s[0:3], 0 offen
	ds_read_b64 v[42:43], v1
	s_waitcnt vmcnt(1) lgkmcnt(0)
	v_mul_f32_e32 v46, v43, v44
	v_mul_f32_e32 v44, v42, v44
	s_waitcnt vmcnt(0)
	v_fma_f32 v42, v42, v45, -v46
	v_fmac_f32_e32 v44, v43, v45
	v_add_f32_e32 v43, 0, v42
	v_add_f32_e32 v42, 0, v44
	s_and_saveexec_b64 s[12:13], s[4:5]
	s_cbranch_execz .LBB83_22
; %bb.21:
	buffer_load_dword v46, off, s[0:3], 0 offset:12
	buffer_load_dword v47, off, s[0:3], 0 offset:8
	v_mov_b32_e32 v44, 0
	ds_read_b64 v[44:45], v44 offset:168
	s_waitcnt vmcnt(1) lgkmcnt(0)
	v_mul_f32_e32 v48, v44, v46
	v_mul_f32_e32 v46, v45, v46
	s_waitcnt vmcnt(0)
	v_fmac_f32_e32 v48, v45, v47
	v_fma_f32 v44, v44, v47, -v46
	v_add_f32_e32 v42, v42, v48
	v_add_f32_e32 v43, v43, v44
.LBB83_22:
	s_or_b64 exec, exec, s[12:13]
	v_mov_b32_e32 v44, 0
	ds_read_b64 v[44:45], v44 offset:16
	s_waitcnt lgkmcnt(0)
	v_mul_f32_e32 v46, v42, v45
	v_mul_f32_e32 v45, v43, v45
	v_fma_f32 v43, v43, v44, -v46
	v_fmac_f32_e32 v45, v42, v44
	buffer_store_dword v43, off, s[0:3], 0 offset:16
	buffer_store_dword v45, off, s[0:3], 0 offset:20
.LBB83_23:
	s_or_b64 exec, exec, s[6:7]
	s_waitcnt lgkmcnt(0)
	; wave barrier
	buffer_load_dword v42, off, s[0:3], 0 offset:24
	buffer_load_dword v43, off, s[0:3], 0 offset:28
	v_cmp_gt_u32_e32 vcc, 3, v0
	s_waitcnt vmcnt(0)
	ds_write_b64 v1, v[42:43]
	v_add_u32_e32 v42, -1, v0
	s_waitcnt lgkmcnt(0)
	; wave barrier
	s_waitcnt lgkmcnt(0)
	s_and_saveexec_b64 s[4:5], vcc
	s_cbranch_execz .LBB83_27
; %bb.24:
	v_add_u32_e32 v44, -1, v0
	v_add_u32_e32 v45, 0xa0, v52
	v_add_u32_e32 v46, 0, v52
	s_mov_b64 s[6:7], 0
	v_mov_b32_e32 v43, 0
	v_mov_b32_e32 v47, 0
.LBB83_25:                              ; =>This Inner Loop Header: Depth=1
	buffer_load_dword v50, v46, s[0:3], 0 offen offset:4
	buffer_load_dword v51, v46, s[0:3], 0 offen
	ds_read_b64 v[48:49], v45
	v_add_u32_e32 v44, 1, v44
	v_cmp_lt_u32_e32 vcc, 1, v44
	v_add_u32_e32 v45, 8, v45
	v_add_u32_e32 v46, 8, v46
	s_or_b64 s[6:7], vcc, s[6:7]
	s_waitcnt vmcnt(1) lgkmcnt(0)
	v_mul_f32_e32 v53, v49, v50
	v_mul_f32_e32 v50, v48, v50
	s_waitcnt vmcnt(0)
	v_fma_f32 v48, v48, v51, -v53
	v_fmac_f32_e32 v50, v49, v51
	v_add_f32_e32 v47, v47, v48
	v_add_f32_e32 v43, v43, v50
	s_andn2_b64 exec, exec, s[6:7]
	s_cbranch_execnz .LBB83_25
; %bb.26:
	s_or_b64 exec, exec, s[6:7]
	v_mov_b32_e32 v44, 0
	ds_read_b64 v[44:45], v44 offset:24
	s_waitcnt lgkmcnt(0)
	v_mul_f32_e32 v46, v43, v45
	v_mul_f32_e32 v45, v47, v45
	v_fma_f32 v46, v47, v44, -v46
	v_fmac_f32_e32 v45, v43, v44
	buffer_store_dword v46, off, s[0:3], 0 offset:24
	buffer_store_dword v45, off, s[0:3], 0 offset:28
.LBB83_27:
	s_or_b64 exec, exec, s[4:5]
	s_waitcnt lgkmcnt(0)
	; wave barrier
	buffer_load_dword v44, off, s[0:3], 0 offset:32
	buffer_load_dword v45, off, s[0:3], 0 offset:36
	v_cmp_gt_u32_e32 vcc, 4, v0
	s_waitcnt vmcnt(0)
	ds_write_b64 v1, v[44:45]
	s_waitcnt lgkmcnt(0)
	; wave barrier
	s_waitcnt lgkmcnt(0)
	s_and_saveexec_b64 s[4:5], vcc
	s_cbranch_execz .LBB83_31
; %bb.28:
	v_add_u32_e32 v44, -1, v0
	v_add_u32_e32 v45, 0xa0, v52
	v_add_u32_e32 v46, 0, v52
	s_mov_b64 s[6:7], 0
	v_mov_b32_e32 v43, 0
	v_mov_b32_e32 v47, 0
.LBB83_29:                              ; =>This Inner Loop Header: Depth=1
	buffer_load_dword v50, v46, s[0:3], 0 offen offset:4
	buffer_load_dword v51, v46, s[0:3], 0 offen
	ds_read_b64 v[48:49], v45
	v_add_u32_e32 v44, 1, v44
	v_cmp_lt_u32_e32 vcc, 2, v44
	v_add_u32_e32 v45, 8, v45
	v_add_u32_e32 v46, 8, v46
	s_or_b64 s[6:7], vcc, s[6:7]
	s_waitcnt vmcnt(1) lgkmcnt(0)
	v_mul_f32_e32 v53, v49, v50
	v_mul_f32_e32 v50, v48, v50
	s_waitcnt vmcnt(0)
	v_fma_f32 v48, v48, v51, -v53
	v_fmac_f32_e32 v50, v49, v51
	v_add_f32_e32 v47, v47, v48
	v_add_f32_e32 v43, v43, v50
	s_andn2_b64 exec, exec, s[6:7]
	s_cbranch_execnz .LBB83_29
; %bb.30:
	s_or_b64 exec, exec, s[6:7]
	v_mov_b32_e32 v44, 0
	ds_read_b64 v[44:45], v44 offset:32
	s_waitcnt lgkmcnt(0)
	v_mul_f32_e32 v46, v43, v45
	v_mul_f32_e32 v45, v47, v45
	v_fma_f32 v46, v47, v44, -v46
	v_fmac_f32_e32 v45, v43, v44
	buffer_store_dword v46, off, s[0:3], 0 offset:32
	buffer_store_dword v45, off, s[0:3], 0 offset:36
.LBB83_31:
	s_or_b64 exec, exec, s[4:5]
	s_waitcnt lgkmcnt(0)
	; wave barrier
	buffer_load_dword v44, off, s[0:3], 0 offset:40
	buffer_load_dword v45, off, s[0:3], 0 offset:44
	v_cmp_gt_u32_e32 vcc, 5, v0
	s_waitcnt vmcnt(0)
	ds_write_b64 v1, v[44:45]
	;; [unrolled: 51-line block ×15, first 2 shown]
	s_waitcnt lgkmcnt(0)
	; wave barrier
	s_waitcnt lgkmcnt(0)
	s_and_saveexec_b64 s[4:5], vcc
	s_cbranch_execz .LBB83_87
; %bb.84:
	v_add_u32_e32 v44, -1, v0
	v_add_u32_e32 v45, 0xa0, v52
	v_add_u32_e32 v46, 0, v52
	s_mov_b64 s[6:7], 0
	v_mov_b32_e32 v43, 0
	v_mov_b32_e32 v47, 0
.LBB83_85:                              ; =>This Inner Loop Header: Depth=1
	buffer_load_dword v50, v46, s[0:3], 0 offen offset:4
	buffer_load_dword v51, v46, s[0:3], 0 offen
	ds_read_b64 v[48:49], v45
	v_add_u32_e32 v44, 1, v44
	v_cmp_lt_u32_e32 vcc, 16, v44
	v_add_u32_e32 v45, 8, v45
	v_add_u32_e32 v46, 8, v46
	s_or_b64 s[6:7], vcc, s[6:7]
	s_waitcnt vmcnt(1) lgkmcnt(0)
	v_mul_f32_e32 v53, v49, v50
	v_mul_f32_e32 v50, v48, v50
	s_waitcnt vmcnt(0)
	v_fma_f32 v48, v48, v51, -v53
	v_fmac_f32_e32 v50, v49, v51
	v_add_f32_e32 v47, v47, v48
	v_add_f32_e32 v43, v43, v50
	s_andn2_b64 exec, exec, s[6:7]
	s_cbranch_execnz .LBB83_85
; %bb.86:
	s_or_b64 exec, exec, s[6:7]
	v_mov_b32_e32 v44, 0
	ds_read_b64 v[44:45], v44 offset:144
	s_waitcnt lgkmcnt(0)
	v_mul_f32_e32 v46, v43, v45
	v_mul_f32_e32 v45, v47, v45
	v_fma_f32 v46, v47, v44, -v46
	v_fmac_f32_e32 v45, v43, v44
	buffer_store_dword v46, off, s[0:3], 0 offset:144
	buffer_store_dword v45, off, s[0:3], 0 offset:148
.LBB83_87:
	s_or_b64 exec, exec, s[4:5]
	s_waitcnt lgkmcnt(0)
	; wave barrier
	buffer_load_dword v44, off, s[0:3], 0 offset:152
	buffer_load_dword v45, off, s[0:3], 0 offset:156
	v_cmp_ne_u32_e32 vcc, 19, v0
	s_waitcnt vmcnt(0)
	ds_write_b64 v1, v[44:45]
	s_waitcnt lgkmcnt(0)
	; wave barrier
	s_waitcnt lgkmcnt(0)
	s_and_saveexec_b64 s[4:5], vcc
	s_cbranch_execz .LBB83_91
; %bb.88:
	v_add_u32_e32 v43, 0xa0, v52
	v_add_u32_e32 v44, 0, v52
	s_mov_b64 s[6:7], 0
	v_mov_b32_e32 v1, 0
	v_mov_b32_e32 v45, 0
.LBB83_89:                              ; =>This Inner Loop Header: Depth=1
	buffer_load_dword v48, v44, s[0:3], 0 offen offset:4
	buffer_load_dword v49, v44, s[0:3], 0 offen
	ds_read_b64 v[46:47], v43
	v_add_u32_e32 v42, 1, v42
	v_cmp_lt_u32_e32 vcc, 17, v42
	v_add_u32_e32 v43, 8, v43
	v_add_u32_e32 v44, 8, v44
	s_or_b64 s[6:7], vcc, s[6:7]
	s_waitcnt vmcnt(1) lgkmcnt(0)
	v_mul_f32_e32 v50, v47, v48
	v_mul_f32_e32 v48, v46, v48
	s_waitcnt vmcnt(0)
	v_fma_f32 v46, v46, v49, -v50
	v_fmac_f32_e32 v48, v47, v49
	v_add_f32_e32 v45, v45, v46
	v_add_f32_e32 v1, v1, v48
	s_andn2_b64 exec, exec, s[6:7]
	s_cbranch_execnz .LBB83_89
; %bb.90:
	s_or_b64 exec, exec, s[6:7]
	v_mov_b32_e32 v42, 0
	ds_read_b64 v[42:43], v42 offset:152
	s_waitcnt lgkmcnt(0)
	v_mul_f32_e32 v44, v1, v43
	v_mul_f32_e32 v43, v45, v43
	v_fma_f32 v44, v45, v42, -v44
	v_fmac_f32_e32 v43, v1, v42
	buffer_store_dword v44, off, s[0:3], 0 offset:152
	buffer_store_dword v43, off, s[0:3], 0 offset:156
.LBB83_91:
	s_or_b64 exec, exec, s[4:5]
	s_mov_b64 s[6:7], -1
	s_waitcnt lgkmcnt(0)
	; wave barrier
.LBB83_92:
	s_and_b64 vcc, exec, s[6:7]
	s_cbranch_vccz .LBB83_94
; %bb.93:
	s_lshl_b64 s[4:5], s[8:9], 2
	s_add_u32 s4, s14, s4
	s_addc_u32 s5, s15, s5
	v_mov_b32_e32 v1, 0
	global_load_dword v1, v1, s[4:5]
	s_waitcnt vmcnt(0)
	v_cmp_ne_u32_e32 vcc, 0, v1
	s_cbranch_vccz .LBB83_95
.LBB83_94:
	s_endpgm
.LBB83_95:
	v_mov_b32_e32 v1, 0xa0
	v_lshl_add_u32 v1, v0, 3, v1
	v_cmp_eq_u32_e32 vcc, 19, v0
	s_and_saveexec_b64 s[4:5], vcc
	s_cbranch_execz .LBB83_97
; %bb.96:
	buffer_load_dword v42, off, s[0:3], 0 offset:144
	buffer_load_dword v43, off, s[0:3], 0 offset:148
	v_mov_b32_e32 v44, 0
	buffer_store_dword v44, off, s[0:3], 0 offset:144
	buffer_store_dword v44, off, s[0:3], 0 offset:148
	s_waitcnt vmcnt(2)
	ds_write_b64 v1, v[42:43]
.LBB83_97:
	s_or_b64 exec, exec, s[4:5]
	s_waitcnt lgkmcnt(0)
	; wave barrier
	s_waitcnt lgkmcnt(0)
	buffer_load_dword v45, off, s[0:3], 0 offset:156
	buffer_load_dword v44, off, s[0:3], 0 offset:152
	buffer_load_dword v46, off, s[0:3], 0 offset:144
	buffer_load_dword v47, off, s[0:3], 0 offset:148
	v_mov_b32_e32 v42, 0
	ds_read_b64 v[48:49], v42 offset:312
	v_cmp_lt_u32_e32 vcc, 17, v0
	s_waitcnt vmcnt(3)
	v_mov_b32_e32 v50, v45
	s_waitcnt lgkmcnt(0)
	v_pk_mul_f32 v[50:51], v[48:49], v[50:51] op_sel_hi:[1,0]
	s_waitcnt vmcnt(2)
	v_pk_fma_f32 v[52:53], v[48:49], v[44:45], v[50:51] op_sel:[0,0,1] op_sel_hi:[1,1,0] neg_lo:[0,0,1] neg_hi:[0,0,1]
	v_pk_fma_f32 v[44:45], v[48:49], v[44:45], v[50:51] op_sel:[0,0,1] op_sel_hi:[1,0,0]
	v_mov_b32_e32 v53, v45
	v_pk_add_f32 v[44:45], v[52:53], 0 op_sel_hi:[1,0]
	s_waitcnt vmcnt(0)
	v_pk_add_f32 v[44:45], v[46:47], v[44:45] neg_lo:[0,1] neg_hi:[0,1]
	buffer_store_dword v44, off, s[0:3], 0 offset:144
	buffer_store_dword v45, off, s[0:3], 0 offset:148
	s_and_saveexec_b64 s[4:5], vcc
	s_cbranch_execz .LBB83_99
; %bb.98:
	buffer_load_dword v44, off, s[0:3], 0 offset:136
	buffer_load_dword v45, off, s[0:3], 0 offset:140
	s_waitcnt vmcnt(0)
	ds_write_b64 v1, v[44:45]
	buffer_store_dword v42, off, s[0:3], 0 offset:136
	buffer_store_dword v42, off, s[0:3], 0 offset:140
.LBB83_99:
	s_or_b64 exec, exec, s[4:5]
	s_waitcnt lgkmcnt(0)
	; wave barrier
	s_waitcnt lgkmcnt(0)
	buffer_load_dword v47, off, s[0:3], 0 offset:148
	buffer_load_dword v49, off, s[0:3], 0 offset:156
	;; [unrolled: 1-line block ×6, first 2 shown]
	ds_read_b128 v[42:45], v42 offset:304
	v_cmp_lt_u32_e32 vcc, 16, v0
	s_waitcnt vmcnt(5)
	v_mov_b32_e32 v52, v47
	s_waitcnt vmcnt(4)
	v_mov_b32_e32 v54, v49
	s_waitcnt lgkmcnt(0)
	v_pk_mul_f32 v[52:53], v[42:43], v[52:53] op_sel_hi:[1,0]
	v_pk_mul_f32 v[54:55], v[44:45], v[54:55] op_sel_hi:[1,0]
	s_waitcnt vmcnt(3)
	v_pk_fma_f32 v[56:57], v[42:43], v[46:47], v[52:53] op_sel:[0,0,1] op_sel_hi:[1,1,0] neg_lo:[0,0,1] neg_hi:[0,0,1]
	v_pk_fma_f32 v[42:43], v[42:43], v[46:47], v[52:53] op_sel:[0,0,1] op_sel_hi:[1,0,0]
	s_waitcnt vmcnt(2)
	v_pk_fma_f32 v[46:47], v[44:45], v[48:49], v[54:55] op_sel:[0,0,1] op_sel_hi:[1,1,0] neg_lo:[0,0,1] neg_hi:[0,0,1]
	v_pk_fma_f32 v[44:45], v[44:45], v[48:49], v[54:55] op_sel:[0,0,1] op_sel_hi:[1,0,0]
	v_mov_b32_e32 v57, v43
	v_mov_b32_e32 v47, v45
	v_pk_add_f32 v[42:43], v[56:57], 0 op_sel_hi:[1,0]
	v_pk_add_f32 v[42:43], v[42:43], v[46:47]
	s_waitcnt vmcnt(0)
	v_pk_add_f32 v[42:43], v[50:51], v[42:43] neg_lo:[0,1] neg_hi:[0,1]
	buffer_store_dword v42, off, s[0:3], 0 offset:136
	buffer_store_dword v43, off, s[0:3], 0 offset:140
	s_and_saveexec_b64 s[4:5], vcc
	s_cbranch_execz .LBB83_101
; %bb.100:
	buffer_load_dword v42, off, s[0:3], 0 offset:128
	buffer_load_dword v43, off, s[0:3], 0 offset:132
	v_mov_b32_e32 v44, 0
	buffer_store_dword v44, off, s[0:3], 0 offset:128
	buffer_store_dword v44, off, s[0:3], 0 offset:132
	s_waitcnt vmcnt(2)
	ds_write_b64 v1, v[42:43]
.LBB83_101:
	s_or_b64 exec, exec, s[4:5]
	s_waitcnt lgkmcnt(0)
	; wave barrier
	s_waitcnt lgkmcnt(0)
	buffer_load_dword v49, off, s[0:3], 0 offset:140
	buffer_load_dword v51, off, s[0:3], 0 offset:148
	;; [unrolled: 1-line block ×8, first 2 shown]
	v_mov_b32_e32 v42, 0
	ds_read2_b64 v[44:47], v42 offset0:37 offset1:38
	ds_read_b64 v[56:57], v42 offset:312
	v_cmp_lt_u32_e32 vcc, 15, v0
	s_waitcnt vmcnt(7)
	v_mov_b32_e32 v58, v49
	s_waitcnt vmcnt(6)
	v_mov_b32_e32 v60, v51
	s_waitcnt lgkmcnt(1)
	v_pk_mul_f32 v[58:59], v[44:45], v[58:59] op_sel_hi:[1,0]
	s_waitcnt vmcnt(5)
	v_mov_b32_e32 v62, v53
	v_pk_mul_f32 v[60:61], v[46:47], v[60:61] op_sel_hi:[1,0]
	s_waitcnt vmcnt(4)
	v_pk_fma_f32 v[64:65], v[44:45], v[48:49], v[58:59] op_sel:[0,0,1] op_sel_hi:[1,1,0] neg_lo:[0,0,1] neg_hi:[0,0,1]
	v_pk_fma_f32 v[44:45], v[44:45], v[48:49], v[58:59] op_sel:[0,0,1] op_sel_hi:[1,0,0]
	s_waitcnt lgkmcnt(0)
	v_pk_mul_f32 v[62:63], v[56:57], v[62:63] op_sel_hi:[1,0]
	s_waitcnt vmcnt(3)
	v_pk_fma_f32 v[48:49], v[46:47], v[50:51], v[60:61] op_sel:[0,0,1] op_sel_hi:[1,1,0] neg_lo:[0,0,1] neg_hi:[0,0,1]
	v_pk_fma_f32 v[46:47], v[46:47], v[50:51], v[60:61] op_sel:[0,0,1] op_sel_hi:[1,0,0]
	v_mov_b32_e32 v65, v45
	s_waitcnt vmcnt(2)
	v_pk_fma_f32 v[50:51], v[56:57], v[52:53], v[62:63] op_sel:[0,0,1] op_sel_hi:[1,1,0] neg_lo:[0,0,1] neg_hi:[0,0,1]
	v_pk_fma_f32 v[52:53], v[56:57], v[52:53], v[62:63] op_sel:[0,0,1] op_sel_hi:[1,0,0]
	v_mov_b32_e32 v49, v47
	v_pk_add_f32 v[44:45], v[64:65], 0 op_sel_hi:[1,0]
	v_mov_b32_e32 v51, v53
	v_pk_add_f32 v[44:45], v[44:45], v[48:49]
	v_pk_add_f32 v[44:45], v[44:45], v[50:51]
	s_waitcnt vmcnt(0)
	v_pk_add_f32 v[44:45], v[54:55], v[44:45] neg_lo:[0,1] neg_hi:[0,1]
	buffer_store_dword v44, off, s[0:3], 0 offset:128
	buffer_store_dword v45, off, s[0:3], 0 offset:132
	s_and_saveexec_b64 s[4:5], vcc
	s_cbranch_execz .LBB83_103
; %bb.102:
	buffer_load_dword v44, off, s[0:3], 0 offset:120
	buffer_load_dword v45, off, s[0:3], 0 offset:124
	s_waitcnt vmcnt(0)
	ds_write_b64 v1, v[44:45]
	buffer_store_dword v42, off, s[0:3], 0 offset:120
	buffer_store_dword v42, off, s[0:3], 0 offset:124
.LBB83_103:
	s_or_b64 exec, exec, s[4:5]
	s_waitcnt lgkmcnt(0)
	; wave barrier
	s_waitcnt lgkmcnt(0)
	buffer_load_dword v53, off, s[0:3], 0 offset:132
	buffer_load_dword v55, off, s[0:3], 0 offset:140
	;; [unrolled: 1-line block ×10, first 2 shown]
	ds_read_b128 v[44:47], v42 offset:288
	ds_read_b128 v[48:51], v42 offset:304
	v_cmp_lt_u32_e32 vcc, 14, v0
	s_waitcnt vmcnt(9)
	v_mov_b32_e32 v42, v53
	s_waitcnt vmcnt(8)
	v_mov_b32_e32 v62, v55
	s_waitcnt lgkmcnt(1)
	v_pk_mul_f32 v[42:43], v[44:45], v[42:43] op_sel_hi:[1,0]
	s_waitcnt vmcnt(7)
	v_mov_b32_e32 v64, v57
	v_pk_mul_f32 v[62:63], v[46:47], v[62:63] op_sel_hi:[1,0]
	s_waitcnt vmcnt(5)
	v_pk_fma_f32 v[68:69], v[44:45], v[52:53], v[42:43] op_sel:[0,0,1] op_sel_hi:[1,1,0] neg_lo:[0,0,1] neg_hi:[0,0,1]
	v_pk_fma_f32 v[42:43], v[44:45], v[52:53], v[42:43] op_sel:[0,0,1] op_sel_hi:[1,0,0]
	v_mov_b32_e32 v66, v59
	s_waitcnt lgkmcnt(0)
	v_pk_mul_f32 v[64:65], v[48:49], v[64:65] op_sel_hi:[1,0]
	s_waitcnt vmcnt(4)
	v_pk_fma_f32 v[44:45], v[46:47], v[54:55], v[62:63] op_sel:[0,0,1] op_sel_hi:[1,1,0] neg_lo:[0,0,1] neg_hi:[0,0,1]
	v_pk_fma_f32 v[46:47], v[46:47], v[54:55], v[62:63] op_sel:[0,0,1] op_sel_hi:[1,0,0]
	v_mov_b32_e32 v69, v43
	v_pk_mul_f32 v[66:67], v[50:51], v[66:67] op_sel_hi:[1,0]
	s_waitcnt vmcnt(3)
	v_pk_fma_f32 v[52:53], v[48:49], v[56:57], v[64:65] op_sel:[0,0,1] op_sel_hi:[1,1,0] neg_lo:[0,0,1] neg_hi:[0,0,1]
	v_pk_fma_f32 v[48:49], v[48:49], v[56:57], v[64:65] op_sel:[0,0,1] op_sel_hi:[1,0,0]
	v_mov_b32_e32 v45, v47
	v_pk_add_f32 v[42:43], v[68:69], 0 op_sel_hi:[1,0]
	s_waitcnt vmcnt(2)
	v_pk_fma_f32 v[54:55], v[50:51], v[58:59], v[66:67] op_sel:[0,0,1] op_sel_hi:[1,1,0] neg_lo:[0,0,1] neg_hi:[0,0,1]
	v_pk_fma_f32 v[50:51], v[50:51], v[58:59], v[66:67] op_sel:[0,0,1] op_sel_hi:[1,0,0]
	v_mov_b32_e32 v53, v49
	v_pk_add_f32 v[42:43], v[42:43], v[44:45]
	v_mov_b32_e32 v55, v51
	v_pk_add_f32 v[42:43], v[42:43], v[52:53]
	v_pk_add_f32 v[42:43], v[42:43], v[54:55]
	s_waitcnt vmcnt(0)
	v_pk_add_f32 v[42:43], v[60:61], v[42:43] neg_lo:[0,1] neg_hi:[0,1]
	buffer_store_dword v42, off, s[0:3], 0 offset:120
	buffer_store_dword v43, off, s[0:3], 0 offset:124
	s_and_saveexec_b64 s[4:5], vcc
	s_cbranch_execz .LBB83_105
; %bb.104:
	buffer_load_dword v42, off, s[0:3], 0 offset:112
	buffer_load_dword v43, off, s[0:3], 0 offset:116
	v_mov_b32_e32 v44, 0
	buffer_store_dword v44, off, s[0:3], 0 offset:112
	buffer_store_dword v44, off, s[0:3], 0 offset:116
	s_waitcnt vmcnt(2)
	ds_write_b64 v1, v[42:43]
.LBB83_105:
	s_or_b64 exec, exec, s[4:5]
	s_waitcnt lgkmcnt(0)
	; wave barrier
	s_waitcnt lgkmcnt(0)
	buffer_load_dword v53, off, s[0:3], 0 offset:124
	buffer_load_dword v55, off, s[0:3], 0 offset:132
	;; [unrolled: 1-line block ×12, first 2 shown]
	v_mov_b32_e32 v42, 0
	ds_read2_b64 v[44:47], v42 offset0:35 offset1:36
	ds_read2_b64 v[48:51], v42 offset0:37 offset1:38
	ds_read_b64 v[64:65], v42 offset:312
	v_cmp_lt_u32_e32 vcc, 13, v0
	s_waitcnt vmcnt(11)
	v_mov_b32_e32 v66, v53
	s_waitcnt vmcnt(10)
	v_mov_b32_e32 v68, v55
	s_waitcnt lgkmcnt(2)
	v_pk_mul_f32 v[66:67], v[44:45], v[66:67] op_sel_hi:[1,0]
	s_waitcnt vmcnt(9)
	v_mov_b32_e32 v70, v57
	v_pk_mul_f32 v[68:69], v[46:47], v[68:69] op_sel_hi:[1,0]
	s_waitcnt vmcnt(6)
	v_pk_fma_f32 v[76:77], v[44:45], v[52:53], v[66:67] op_sel:[0,0,1] op_sel_hi:[1,1,0] neg_lo:[0,0,1] neg_hi:[0,0,1]
	v_pk_fma_f32 v[44:45], v[44:45], v[52:53], v[66:67] op_sel:[0,0,1] op_sel_hi:[1,0,0]
	v_mov_b32_e32 v72, v59
	s_waitcnt lgkmcnt(1)
	v_pk_mul_f32 v[70:71], v[48:49], v[70:71] op_sel_hi:[1,0]
	s_waitcnt vmcnt(5)
	v_pk_fma_f32 v[52:53], v[46:47], v[54:55], v[68:69] op_sel:[0,0,1] op_sel_hi:[1,1,0] neg_lo:[0,0,1] neg_hi:[0,0,1]
	v_pk_fma_f32 v[46:47], v[46:47], v[54:55], v[68:69] op_sel:[0,0,1] op_sel_hi:[1,0,0]
	v_mov_b32_e32 v77, v45
	v_mov_b32_e32 v74, v61
	v_pk_mul_f32 v[72:73], v[50:51], v[72:73] op_sel_hi:[1,0]
	s_waitcnt vmcnt(4)
	v_pk_fma_f32 v[54:55], v[48:49], v[56:57], v[70:71] op_sel:[0,0,1] op_sel_hi:[1,1,0] neg_lo:[0,0,1] neg_hi:[0,0,1]
	v_pk_fma_f32 v[48:49], v[48:49], v[56:57], v[70:71] op_sel:[0,0,1] op_sel_hi:[1,0,0]
	v_mov_b32_e32 v53, v47
	v_pk_add_f32 v[44:45], v[76:77], 0 op_sel_hi:[1,0]
	s_waitcnt lgkmcnt(0)
	v_pk_mul_f32 v[74:75], v[64:65], v[74:75] op_sel_hi:[1,0]
	s_waitcnt vmcnt(3)
	v_pk_fma_f32 v[56:57], v[50:51], v[58:59], v[72:73] op_sel:[0,0,1] op_sel_hi:[1,1,0] neg_lo:[0,0,1] neg_hi:[0,0,1]
	v_pk_fma_f32 v[50:51], v[50:51], v[58:59], v[72:73] op_sel:[0,0,1] op_sel_hi:[1,0,0]
	v_mov_b32_e32 v55, v49
	v_pk_add_f32 v[44:45], v[44:45], v[52:53]
	s_waitcnt vmcnt(2)
	v_pk_fma_f32 v[58:59], v[64:65], v[60:61], v[74:75] op_sel:[0,0,1] op_sel_hi:[1,1,0] neg_lo:[0,0,1] neg_hi:[0,0,1]
	v_pk_fma_f32 v[60:61], v[64:65], v[60:61], v[74:75] op_sel:[0,0,1] op_sel_hi:[1,0,0]
	v_mov_b32_e32 v57, v51
	v_pk_add_f32 v[44:45], v[44:45], v[54:55]
	v_mov_b32_e32 v59, v61
	v_pk_add_f32 v[44:45], v[44:45], v[56:57]
	v_pk_add_f32 v[44:45], v[44:45], v[58:59]
	s_waitcnt vmcnt(0)
	v_pk_add_f32 v[44:45], v[62:63], v[44:45] neg_lo:[0,1] neg_hi:[0,1]
	buffer_store_dword v44, off, s[0:3], 0 offset:112
	buffer_store_dword v45, off, s[0:3], 0 offset:116
	s_and_saveexec_b64 s[4:5], vcc
	s_cbranch_execz .LBB83_107
; %bb.106:
	buffer_load_dword v44, off, s[0:3], 0 offset:104
	buffer_load_dword v45, off, s[0:3], 0 offset:108
	s_waitcnt vmcnt(0)
	ds_write_b64 v1, v[44:45]
	buffer_store_dword v42, off, s[0:3], 0 offset:104
	buffer_store_dword v42, off, s[0:3], 0 offset:108
.LBB83_107:
	s_or_b64 exec, exec, s[4:5]
	s_waitcnt lgkmcnt(0)
	; wave barrier
	s_waitcnt lgkmcnt(0)
	buffer_load_dword v57, off, s[0:3], 0 offset:116
	buffer_load_dword v59, off, s[0:3], 0 offset:124
	;; [unrolled: 1-line block ×14, first 2 shown]
	ds_read_b128 v[44:47], v42 offset:272
	ds_read_b128 v[48:51], v42 offset:288
	;; [unrolled: 1-line block ×3, first 2 shown]
	v_cmp_lt_u32_e32 vcc, 12, v0
	s_waitcnt vmcnt(13)
	v_mov_b32_e32 v42, v57
	s_waitcnt vmcnt(12)
	v_mov_b32_e32 v70, v59
	s_waitcnt lgkmcnt(2)
	v_pk_mul_f32 v[42:43], v[44:45], v[42:43] op_sel_hi:[1,0]
	s_waitcnt vmcnt(11)
	v_mov_b32_e32 v72, v61
	v_pk_mul_f32 v[70:71], v[46:47], v[70:71] op_sel_hi:[1,0]
	s_waitcnt vmcnt(10)
	v_mov_b32_e32 v74, v63
	s_waitcnt vmcnt(7)
	v_pk_fma_f32 v[80:81], v[44:45], v[56:57], v[42:43] op_sel:[0,0,1] op_sel_hi:[1,1,0] neg_lo:[0,0,1] neg_hi:[0,0,1]
	v_pk_fma_f32 v[42:43], v[44:45], v[56:57], v[42:43] op_sel:[0,0,1] op_sel_hi:[1,0,0]
	s_waitcnt lgkmcnt(1)
	v_pk_mul_f32 v[72:73], v[48:49], v[72:73] op_sel_hi:[1,0]
	s_waitcnt vmcnt(6)
	v_pk_fma_f32 v[44:45], v[46:47], v[58:59], v[70:71] op_sel:[0,0,1] op_sel_hi:[1,1,0] neg_lo:[0,0,1] neg_hi:[0,0,1]
	v_pk_fma_f32 v[46:47], v[46:47], v[58:59], v[70:71] op_sel:[0,0,1] op_sel_hi:[1,0,0]
	v_mov_b32_e32 v81, v43
	v_mov_b32_e32 v76, v65
	v_pk_mul_f32 v[74:75], v[50:51], v[74:75] op_sel_hi:[1,0]
	s_waitcnt vmcnt(5)
	v_pk_fma_f32 v[56:57], v[48:49], v[60:61], v[72:73] op_sel:[0,0,1] op_sel_hi:[1,1,0] neg_lo:[0,0,1] neg_hi:[0,0,1]
	v_pk_fma_f32 v[48:49], v[48:49], v[60:61], v[72:73] op_sel:[0,0,1] op_sel_hi:[1,0,0]
	v_mov_b32_e32 v45, v47
	v_pk_add_f32 v[42:43], v[80:81], 0 op_sel_hi:[1,0]
	v_mov_b32_e32 v78, v67
	s_waitcnt lgkmcnt(0)
	v_pk_mul_f32 v[76:77], v[52:53], v[76:77] op_sel_hi:[1,0]
	s_waitcnt vmcnt(4)
	v_pk_fma_f32 v[58:59], v[50:51], v[62:63], v[74:75] op_sel:[0,0,1] op_sel_hi:[1,1,0] neg_lo:[0,0,1] neg_hi:[0,0,1]
	v_pk_fma_f32 v[50:51], v[50:51], v[62:63], v[74:75] op_sel:[0,0,1] op_sel_hi:[1,0,0]
	v_mov_b32_e32 v57, v49
	v_pk_add_f32 v[42:43], v[42:43], v[44:45]
	v_pk_mul_f32 v[78:79], v[54:55], v[78:79] op_sel_hi:[1,0]
	s_waitcnt vmcnt(3)
	v_pk_fma_f32 v[60:61], v[52:53], v[64:65], v[76:77] op_sel:[0,0,1] op_sel_hi:[1,1,0] neg_lo:[0,0,1] neg_hi:[0,0,1]
	v_pk_fma_f32 v[52:53], v[52:53], v[64:65], v[76:77] op_sel:[0,0,1] op_sel_hi:[1,0,0]
	v_mov_b32_e32 v59, v51
	v_pk_add_f32 v[42:43], v[42:43], v[56:57]
	s_waitcnt vmcnt(2)
	v_pk_fma_f32 v[62:63], v[54:55], v[66:67], v[78:79] op_sel:[0,0,1] op_sel_hi:[1,1,0] neg_lo:[0,0,1] neg_hi:[0,0,1]
	v_pk_fma_f32 v[54:55], v[54:55], v[66:67], v[78:79] op_sel:[0,0,1] op_sel_hi:[1,0,0]
	v_mov_b32_e32 v61, v53
	v_pk_add_f32 v[42:43], v[42:43], v[58:59]
	v_mov_b32_e32 v63, v55
	v_pk_add_f32 v[42:43], v[42:43], v[60:61]
	v_pk_add_f32 v[42:43], v[42:43], v[62:63]
	s_waitcnt vmcnt(0)
	v_pk_add_f32 v[42:43], v[68:69], v[42:43] neg_lo:[0,1] neg_hi:[0,1]
	buffer_store_dword v42, off, s[0:3], 0 offset:104
	buffer_store_dword v43, off, s[0:3], 0 offset:108
	s_and_saveexec_b64 s[4:5], vcc
	s_cbranch_execz .LBB83_109
; %bb.108:
	buffer_load_dword v42, off, s[0:3], 0 offset:96
	buffer_load_dword v43, off, s[0:3], 0 offset:100
	v_mov_b32_e32 v44, 0
	buffer_store_dword v44, off, s[0:3], 0 offset:96
	buffer_store_dword v44, off, s[0:3], 0 offset:100
	s_waitcnt vmcnt(2)
	ds_write_b64 v1, v[42:43]
.LBB83_109:
	s_or_b64 exec, exec, s[4:5]
	s_waitcnt lgkmcnt(0)
	; wave barrier
	s_waitcnt lgkmcnt(0)
	buffer_load_dword v57, off, s[0:3], 0 offset:108
	buffer_load_dword v59, off, s[0:3], 0 offset:116
	;; [unrolled: 1-line block ×16, first 2 shown]
	v_mov_b32_e32 v42, 0
	ds_read2_b64 v[44:47], v42 offset0:33 offset1:34
	ds_read2_b64 v[48:51], v42 offset0:35 offset1:36
	ds_read2_b64 v[52:55], v42 offset0:37 offset1:38
	ds_read_b64 v[72:73], v42 offset:312
	v_cmp_lt_u32_e32 vcc, 11, v0
	s_waitcnt vmcnt(15)
	v_mov_b32_e32 v74, v57
	s_waitcnt vmcnt(14)
	v_mov_b32_e32 v76, v59
	s_waitcnt lgkmcnt(3)
	v_pk_mul_f32 v[74:75], v[44:45], v[74:75] op_sel_hi:[1,0]
	s_waitcnt vmcnt(13)
	v_mov_b32_e32 v78, v61
	v_pk_mul_f32 v[76:77], v[46:47], v[76:77] op_sel_hi:[1,0]
	s_waitcnt vmcnt(12)
	v_mov_b32_e32 v80, v63
	s_waitcnt lgkmcnt(2)
	v_pk_mul_f32 v[78:79], v[48:49], v[78:79] op_sel_hi:[1,0]
	s_waitcnt vmcnt(8)
	v_pk_fma_f32 v[88:89], v[44:45], v[56:57], v[74:75] op_sel:[0,0,1] op_sel_hi:[1,1,0] neg_lo:[0,0,1] neg_hi:[0,0,1]
	v_pk_fma_f32 v[44:45], v[44:45], v[56:57], v[74:75] op_sel:[0,0,1] op_sel_hi:[1,0,0]
	s_waitcnt vmcnt(7)
	v_pk_fma_f32 v[56:57], v[46:47], v[58:59], v[76:77] op_sel:[0,0,1] op_sel_hi:[1,1,0] neg_lo:[0,0,1] neg_hi:[0,0,1]
	v_pk_fma_f32 v[46:47], v[46:47], v[58:59], v[76:77] op_sel:[0,0,1] op_sel_hi:[1,0,0]
	v_mov_b32_e32 v89, v45
	v_mov_b32_e32 v82, v65
	v_pk_mul_f32 v[80:81], v[50:51], v[80:81] op_sel_hi:[1,0]
	s_waitcnt vmcnt(6)
	v_pk_fma_f32 v[58:59], v[48:49], v[60:61], v[78:79] op_sel:[0,0,1] op_sel_hi:[1,1,0] neg_lo:[0,0,1] neg_hi:[0,0,1]
	v_pk_fma_f32 v[48:49], v[48:49], v[60:61], v[78:79] op_sel:[0,0,1] op_sel_hi:[1,0,0]
	v_mov_b32_e32 v57, v47
	v_pk_add_f32 v[44:45], v[88:89], 0 op_sel_hi:[1,0]
	v_mov_b32_e32 v84, v67
	s_waitcnt lgkmcnt(1)
	v_pk_mul_f32 v[82:83], v[52:53], v[82:83] op_sel_hi:[1,0]
	s_waitcnt vmcnt(5)
	v_pk_fma_f32 v[60:61], v[50:51], v[62:63], v[80:81] op_sel:[0,0,1] op_sel_hi:[1,1,0] neg_lo:[0,0,1] neg_hi:[0,0,1]
	v_pk_fma_f32 v[50:51], v[50:51], v[62:63], v[80:81] op_sel:[0,0,1] op_sel_hi:[1,0,0]
	v_mov_b32_e32 v59, v49
	v_pk_add_f32 v[44:45], v[44:45], v[56:57]
	v_mov_b32_e32 v86, v69
	v_pk_mul_f32 v[84:85], v[54:55], v[84:85] op_sel_hi:[1,0]
	s_waitcnt vmcnt(4)
	v_pk_fma_f32 v[62:63], v[52:53], v[64:65], v[82:83] op_sel:[0,0,1] op_sel_hi:[1,1,0] neg_lo:[0,0,1] neg_hi:[0,0,1]
	v_pk_fma_f32 v[52:53], v[52:53], v[64:65], v[82:83] op_sel:[0,0,1] op_sel_hi:[1,0,0]
	v_mov_b32_e32 v61, v51
	v_pk_add_f32 v[44:45], v[44:45], v[58:59]
	s_waitcnt lgkmcnt(0)
	v_pk_mul_f32 v[86:87], v[72:73], v[86:87] op_sel_hi:[1,0]
	s_waitcnt vmcnt(3)
	v_pk_fma_f32 v[64:65], v[54:55], v[66:67], v[84:85] op_sel:[0,0,1] op_sel_hi:[1,1,0] neg_lo:[0,0,1] neg_hi:[0,0,1]
	v_pk_fma_f32 v[54:55], v[54:55], v[66:67], v[84:85] op_sel:[0,0,1] op_sel_hi:[1,0,0]
	v_mov_b32_e32 v63, v53
	v_pk_add_f32 v[44:45], v[44:45], v[60:61]
	s_waitcnt vmcnt(2)
	v_pk_fma_f32 v[66:67], v[72:73], v[68:69], v[86:87] op_sel:[0,0,1] op_sel_hi:[1,1,0] neg_lo:[0,0,1] neg_hi:[0,0,1]
	v_pk_fma_f32 v[68:69], v[72:73], v[68:69], v[86:87] op_sel:[0,0,1] op_sel_hi:[1,0,0]
	v_mov_b32_e32 v65, v55
	v_pk_add_f32 v[44:45], v[44:45], v[62:63]
	v_mov_b32_e32 v67, v69
	v_pk_add_f32 v[44:45], v[44:45], v[64:65]
	v_pk_add_f32 v[44:45], v[44:45], v[66:67]
	s_waitcnt vmcnt(0)
	v_pk_add_f32 v[44:45], v[70:71], v[44:45] neg_lo:[0,1] neg_hi:[0,1]
	buffer_store_dword v44, off, s[0:3], 0 offset:96
	buffer_store_dword v45, off, s[0:3], 0 offset:100
	s_and_saveexec_b64 s[4:5], vcc
	s_cbranch_execz .LBB83_111
; %bb.110:
	buffer_load_dword v44, off, s[0:3], 0 offset:88
	buffer_load_dword v45, off, s[0:3], 0 offset:92
	s_waitcnt vmcnt(0)
	ds_write_b64 v1, v[44:45]
	buffer_store_dword v42, off, s[0:3], 0 offset:88
	buffer_store_dword v42, off, s[0:3], 0 offset:92
.LBB83_111:
	s_or_b64 exec, exec, s[4:5]
	s_waitcnt lgkmcnt(0)
	; wave barrier
	s_waitcnt lgkmcnt(0)
	buffer_load_dword v61, off, s[0:3], 0 offset:100
	buffer_load_dword v63, off, s[0:3], 0 offset:108
	;; [unrolled: 1-line block ×18, first 2 shown]
	ds_read_b128 v[44:47], v42 offset:256
	ds_read_b128 v[48:51], v42 offset:272
	;; [unrolled: 1-line block ×4, first 2 shown]
	v_cmp_lt_u32_e32 vcc, 10, v0
	s_waitcnt vmcnt(17)
	v_mov_b32_e32 v42, v61
	s_waitcnt vmcnt(16)
	v_mov_b32_e32 v78, v63
	s_waitcnt lgkmcnt(3)
	v_pk_mul_f32 v[42:43], v[44:45], v[42:43] op_sel_hi:[1,0]
	s_waitcnt vmcnt(15)
	v_mov_b32_e32 v80, v65
	v_pk_mul_f32 v[78:79], v[46:47], v[78:79] op_sel_hi:[1,0]
	s_waitcnt vmcnt(14)
	v_mov_b32_e32 v82, v67
	s_waitcnt lgkmcnt(2)
	v_pk_mul_f32 v[80:81], v[48:49], v[80:81] op_sel_hi:[1,0]
	s_waitcnt vmcnt(13)
	v_mov_b32_e32 v84, v69
	s_waitcnt vmcnt(9)
	v_pk_fma_f32 v[92:93], v[44:45], v[60:61], v[42:43] op_sel:[0,0,1] op_sel_hi:[1,1,0] neg_lo:[0,0,1] neg_hi:[0,0,1]
	v_pk_fma_f32 v[42:43], v[44:45], v[60:61], v[42:43] op_sel:[0,0,1] op_sel_hi:[1,0,0]
	s_waitcnt vmcnt(8)
	v_pk_fma_f32 v[44:45], v[46:47], v[62:63], v[78:79] op_sel:[0,0,1] op_sel_hi:[1,1,0] neg_lo:[0,0,1] neg_hi:[0,0,1]
	v_pk_fma_f32 v[46:47], v[46:47], v[62:63], v[78:79] op_sel:[0,0,1] op_sel_hi:[1,0,0]
	v_mov_b32_e32 v93, v43
	v_pk_mul_f32 v[82:83], v[50:51], v[82:83] op_sel_hi:[1,0]
	s_waitcnt vmcnt(7)
	v_pk_fma_f32 v[60:61], v[48:49], v[64:65], v[80:81] op_sel:[0,0,1] op_sel_hi:[1,1,0] neg_lo:[0,0,1] neg_hi:[0,0,1]
	v_pk_fma_f32 v[48:49], v[48:49], v[64:65], v[80:81] op_sel:[0,0,1] op_sel_hi:[1,0,0]
	v_mov_b32_e32 v45, v47
	v_pk_add_f32 v[42:43], v[92:93], 0 op_sel_hi:[1,0]
	v_mov_b32_e32 v86, v71
	s_waitcnt lgkmcnt(1)
	v_pk_mul_f32 v[84:85], v[52:53], v[84:85] op_sel_hi:[1,0]
	s_waitcnt vmcnt(6)
	v_pk_fma_f32 v[62:63], v[50:51], v[66:67], v[82:83] op_sel:[0,0,1] op_sel_hi:[1,1,0] neg_lo:[0,0,1] neg_hi:[0,0,1]
	v_pk_fma_f32 v[50:51], v[50:51], v[66:67], v[82:83] op_sel:[0,0,1] op_sel_hi:[1,0,0]
	v_mov_b32_e32 v61, v49
	v_pk_add_f32 v[42:43], v[42:43], v[44:45]
	v_mov_b32_e32 v88, v73
	v_pk_mul_f32 v[86:87], v[54:55], v[86:87] op_sel_hi:[1,0]
	s_waitcnt vmcnt(5)
	v_pk_fma_f32 v[64:65], v[52:53], v[68:69], v[84:85] op_sel:[0,0,1] op_sel_hi:[1,1,0] neg_lo:[0,0,1] neg_hi:[0,0,1]
	v_pk_fma_f32 v[52:53], v[52:53], v[68:69], v[84:85] op_sel:[0,0,1] op_sel_hi:[1,0,0]
	v_mov_b32_e32 v63, v51
	v_pk_add_f32 v[42:43], v[42:43], v[60:61]
	v_mov_b32_e32 v90, v75
	s_waitcnt lgkmcnt(0)
	v_pk_mul_f32 v[88:89], v[56:57], v[88:89] op_sel_hi:[1,0]
	s_waitcnt vmcnt(4)
	v_pk_fma_f32 v[66:67], v[54:55], v[70:71], v[86:87] op_sel:[0,0,1] op_sel_hi:[1,1,0] neg_lo:[0,0,1] neg_hi:[0,0,1]
	v_pk_fma_f32 v[54:55], v[54:55], v[70:71], v[86:87] op_sel:[0,0,1] op_sel_hi:[1,0,0]
	v_mov_b32_e32 v65, v53
	v_pk_add_f32 v[42:43], v[42:43], v[62:63]
	v_pk_mul_f32 v[90:91], v[58:59], v[90:91] op_sel_hi:[1,0]
	s_waitcnt vmcnt(3)
	v_pk_fma_f32 v[68:69], v[56:57], v[72:73], v[88:89] op_sel:[0,0,1] op_sel_hi:[1,1,0] neg_lo:[0,0,1] neg_hi:[0,0,1]
	v_pk_fma_f32 v[56:57], v[56:57], v[72:73], v[88:89] op_sel:[0,0,1] op_sel_hi:[1,0,0]
	v_mov_b32_e32 v67, v55
	v_pk_add_f32 v[42:43], v[42:43], v[64:65]
	s_waitcnt vmcnt(2)
	v_pk_fma_f32 v[70:71], v[58:59], v[74:75], v[90:91] op_sel:[0,0,1] op_sel_hi:[1,1,0] neg_lo:[0,0,1] neg_hi:[0,0,1]
	v_pk_fma_f32 v[58:59], v[58:59], v[74:75], v[90:91] op_sel:[0,0,1] op_sel_hi:[1,0,0]
	v_mov_b32_e32 v69, v57
	v_pk_add_f32 v[42:43], v[42:43], v[66:67]
	v_mov_b32_e32 v71, v59
	v_pk_add_f32 v[42:43], v[42:43], v[68:69]
	v_pk_add_f32 v[42:43], v[42:43], v[70:71]
	s_waitcnt vmcnt(0)
	v_pk_add_f32 v[42:43], v[76:77], v[42:43] neg_lo:[0,1] neg_hi:[0,1]
	buffer_store_dword v42, off, s[0:3], 0 offset:88
	buffer_store_dword v43, off, s[0:3], 0 offset:92
	s_and_saveexec_b64 s[4:5], vcc
	s_cbranch_execz .LBB83_113
; %bb.112:
	buffer_load_dword v42, off, s[0:3], 0 offset:80
	buffer_load_dword v43, off, s[0:3], 0 offset:84
	v_mov_b32_e32 v44, 0
	buffer_store_dword v44, off, s[0:3], 0 offset:80
	buffer_store_dword v44, off, s[0:3], 0 offset:84
	s_waitcnt vmcnt(2)
	ds_write_b64 v1, v[42:43]
.LBB83_113:
	s_or_b64 exec, exec, s[4:5]
	s_waitcnt lgkmcnt(0)
	; wave barrier
	s_waitcnt lgkmcnt(0)
	buffer_load_dword v43, off, s[0:3], 0 offset:92
	buffer_load_dword v61, off, s[0:3], 0 offset:100
	;; [unrolled: 1-line block ×20, first 2 shown]
	v_mov_b32_e32 v42, 0
	ds_read2_b64 v[44:47], v42 offset0:31 offset1:32
	ds_read2_b64 v[48:51], v42 offset0:33 offset1:34
	;; [unrolled: 1-line block ×4, first 2 shown]
	ds_read_b64 v[78:79], v42 offset:312
	v_cmp_lt_u32_e32 vcc, 9, v0
	s_waitcnt vmcnt(19) lgkmcnt(4)
	v_mul_f32_e32 v81, v44, v43
	v_mul_f32_e32 v43, v45, v43
	s_waitcnt vmcnt(18)
	v_mov_b32_e32 v82, v61
	s_waitcnt vmcnt(17)
	v_mov_b32_e32 v84, v63
	;; [unrolled: 2-line block ×8, first 2 shown]
	s_waitcnt vmcnt(10)
	v_fmac_f32_e32 v81, v45, v80
	v_fma_f32 v80, v44, v80, -v43
	v_pk_mul_f32 v[44:45], v[46:47], v[82:83] op_sel_hi:[1,0]
	s_waitcnt lgkmcnt(3)
	v_pk_mul_f32 v[82:83], v[48:49], v[84:85] op_sel_hi:[1,0]
	v_pk_mul_f32 v[84:85], v[50:51], v[86:87] op_sel_hi:[1,0]
	s_waitcnt lgkmcnt(2)
	v_pk_mul_f32 v[86:87], v[52:53], v[88:89] op_sel_hi:[1,0]
	;; [unrolled: 3-line block ×4, first 2 shown]
	s_waitcnt vmcnt(9)
	v_pk_fma_f32 v[96:97], v[46:47], v[60:61], v[44:45] op_sel:[0,0,1] op_sel_hi:[1,1,0] neg_lo:[0,0,1] neg_hi:[0,0,1]
	v_pk_fma_f32 v[44:45], v[46:47], v[60:61], v[44:45] op_sel:[0,0,1] op_sel_hi:[1,0,0]
	v_pk_add_f32 v[80:81], v[80:81], 0 op_sel_hi:[1,0]
	s_waitcnt vmcnt(8)
	v_pk_fma_f32 v[46:47], v[48:49], v[62:63], v[82:83] op_sel:[0,0,1] op_sel_hi:[1,1,0] neg_lo:[0,0,1] neg_hi:[0,0,1]
	v_pk_fma_f32 v[48:49], v[48:49], v[62:63], v[82:83] op_sel:[0,0,1] op_sel_hi:[1,0,0]
	v_mov_b32_e32 v97, v45
	s_waitcnt vmcnt(7)
	v_pk_fma_f32 v[60:61], v[50:51], v[64:65], v[84:85] op_sel:[0,0,1] op_sel_hi:[1,1,0] neg_lo:[0,0,1] neg_hi:[0,0,1]
	v_pk_fma_f32 v[50:51], v[50:51], v[64:65], v[84:85] op_sel:[0,0,1] op_sel_hi:[1,0,0]
	v_mov_b32_e32 v47, v49
	v_pk_add_f32 v[44:45], v[80:81], v[96:97]
	s_waitcnt vmcnt(6)
	v_pk_fma_f32 v[62:63], v[52:53], v[66:67], v[86:87] op_sel:[0,0,1] op_sel_hi:[1,1,0] neg_lo:[0,0,1] neg_hi:[0,0,1]
	v_pk_fma_f32 v[52:53], v[52:53], v[66:67], v[86:87] op_sel:[0,0,1] op_sel_hi:[1,0,0]
	v_mov_b32_e32 v61, v51
	v_pk_add_f32 v[44:45], v[44:45], v[46:47]
	;; [unrolled: 5-line block ×6, first 2 shown]
	v_mov_b32_e32 v71, v73
	v_pk_add_f32 v[44:45], v[44:45], v[68:69]
	v_pk_add_f32 v[44:45], v[44:45], v[70:71]
	s_waitcnt vmcnt(0)
	v_pk_add_f32 v[44:45], v[76:77], v[44:45] neg_lo:[0,1] neg_hi:[0,1]
	buffer_store_dword v44, off, s[0:3], 0 offset:80
	buffer_store_dword v45, off, s[0:3], 0 offset:84
	s_and_saveexec_b64 s[4:5], vcc
	s_cbranch_execz .LBB83_115
; %bb.114:
	buffer_load_dword v44, off, s[0:3], 0 offset:72
	buffer_load_dword v45, off, s[0:3], 0 offset:76
	s_waitcnt vmcnt(0)
	ds_write_b64 v1, v[44:45]
	buffer_store_dword v42, off, s[0:3], 0 offset:72
	buffer_store_dword v42, off, s[0:3], 0 offset:76
.LBB83_115:
	s_or_b64 exec, exec, s[4:5]
	s_waitcnt lgkmcnt(0)
	; wave barrier
	s_waitcnt lgkmcnt(0)
	buffer_load_dword v82, off, s[0:3], 0 offset:84
	buffer_load_dword v84, off, s[0:3], 0 offset:92
	;; [unrolled: 1-line block ×22, first 2 shown]
	ds_read_b128 v[44:47], v42 offset:240
	ds_read_b128 v[48:51], v42 offset:256
	;; [unrolled: 1-line block ×5, first 2 shown]
	v_cmp_lt_u32_e32 vcc, 8, v0
	s_waitcnt vmcnt(21) lgkmcnt(4)
	v_mul_f32_e32 v43, v44, v82
	s_waitcnt vmcnt(20)
	v_mul_f32_e32 v83, v46, v84
	v_mul_f32_e32 v42, v45, v82
	;; [unrolled: 1-line block ×3, first 2 shown]
	s_waitcnt vmcnt(19)
	v_mov_b32_e32 v84, v65
	s_waitcnt vmcnt(18)
	v_mov_b32_e32 v86, v67
	;; [unrolled: 2-line block ×5, first 2 shown]
	v_mov_b32_e32 v90, v71
	s_waitcnt vmcnt(11)
	v_fmac_f32_e32 v43, v45, v85
	v_fma_f32 v42, v44, v85, -v42
	s_waitcnt lgkmcnt(3)
	v_pk_mul_f32 v[44:45], v[48:49], v[84:85] op_sel_hi:[1,0]
	s_waitcnt vmcnt(10)
	v_fmac_f32_e32 v83, v47, v87
	v_fma_f32 v82, v46, v87, -v82
	v_pk_mul_f32 v[46:47], v[50:51], v[86:87] op_sel_hi:[1,0]
	s_waitcnt lgkmcnt(2)
	v_pk_mul_f32 v[84:85], v[52:53], v[88:89] op_sel_hi:[1,0]
	s_waitcnt lgkmcnt(1)
	;; [unrolled: 2-line block ×3, first 2 shown]
	v_pk_mul_f32 v[92:93], v[60:61], v[96:97] op_sel_hi:[1,0]
	v_pk_add_f32 v[42:43], v[42:43], 0 op_sel_hi:[1,0]
	s_waitcnt vmcnt(9)
	v_pk_fma_f32 v[96:97], v[48:49], v[64:65], v[44:45] op_sel:[0,0,1] op_sel_hi:[1,1,0] neg_lo:[0,0,1] neg_hi:[0,0,1]
	v_pk_fma_f32 v[44:45], v[48:49], v[64:65], v[44:45] op_sel:[0,0,1] op_sel_hi:[1,0,0]
	s_waitcnt vmcnt(8)
	v_pk_fma_f32 v[48:49], v[50:51], v[66:67], v[46:47] op_sel:[0,0,1] op_sel_hi:[1,1,0] neg_lo:[0,0,1] neg_hi:[0,0,1]
	v_pk_fma_f32 v[46:47], v[50:51], v[66:67], v[46:47] op_sel:[0,0,1] op_sel_hi:[1,0,0]
	v_pk_add_f32 v[42:43], v[42:43], v[82:83]
	v_mov_b32_e32 v97, v45
	v_pk_mul_f32 v[86:87], v[54:55], v[90:91] op_sel_hi:[1,0]
	s_waitcnt vmcnt(7)
	v_pk_fma_f32 v[50:51], v[52:53], v[68:69], v[84:85] op_sel:[0,0,1] op_sel_hi:[1,1,0] neg_lo:[0,0,1] neg_hi:[0,0,1]
	v_pk_fma_f32 v[52:53], v[52:53], v[68:69], v[84:85] op_sel:[0,0,1] op_sel_hi:[1,0,0]
	v_mov_b32_e32 v49, v47
	v_pk_add_f32 v[42:43], v[42:43], v[96:97]
	v_mov_b32_e32 v94, v75
	s_waitcnt vmcnt(6)
	v_pk_fma_f32 v[64:65], v[54:55], v[70:71], v[86:87] op_sel:[0,0,1] op_sel_hi:[1,1,0] neg_lo:[0,0,1] neg_hi:[0,0,1]
	v_pk_fma_f32 v[54:55], v[54:55], v[70:71], v[86:87] op_sel:[0,0,1] op_sel_hi:[1,0,0]
	v_mov_b32_e32 v51, v53
	v_pk_add_f32 v[42:43], v[42:43], v[48:49]
	v_pk_mul_f32 v[90:91], v[58:59], v[94:95] op_sel_hi:[1,0]
	s_waitcnt vmcnt(5)
	v_pk_fma_f32 v[66:67], v[56:57], v[72:73], v[88:89] op_sel:[0,0,1] op_sel_hi:[1,1,0] neg_lo:[0,0,1] neg_hi:[0,0,1]
	v_pk_fma_f32 v[56:57], v[56:57], v[72:73], v[88:89] op_sel:[0,0,1] op_sel_hi:[1,0,0]
	v_mov_b32_e32 v65, v55
	v_pk_add_f32 v[42:43], v[42:43], v[50:51]
	v_mov_b32_e32 v98, v79
	s_waitcnt vmcnt(2)
	v_pk_fma_f32 v[68:69], v[58:59], v[74:75], v[90:91] op_sel:[0,0,1] op_sel_hi:[1,1,0] neg_lo:[0,0,1] neg_hi:[0,0,1]
	v_pk_fma_f32 v[58:59], v[58:59], v[74:75], v[90:91] op_sel:[0,0,1] op_sel_hi:[1,0,0]
	v_mov_b32_e32 v67, v57
	v_pk_add_f32 v[42:43], v[42:43], v[64:65]
	v_pk_mul_f32 v[94:95], v[62:63], v[98:99] op_sel_hi:[1,0]
	v_pk_fma_f32 v[70:71], v[60:61], v[76:77], v[92:93] op_sel:[0,0,1] op_sel_hi:[1,1,0] neg_lo:[0,0,1] neg_hi:[0,0,1]
	v_pk_fma_f32 v[60:61], v[60:61], v[76:77], v[92:93] op_sel:[0,0,1] op_sel_hi:[1,0,0]
	v_mov_b32_e32 v69, v59
	v_pk_add_f32 v[42:43], v[42:43], v[66:67]
	v_pk_fma_f32 v[72:73], v[62:63], v[78:79], v[94:95] op_sel:[0,0,1] op_sel_hi:[1,1,0] neg_lo:[0,0,1] neg_hi:[0,0,1]
	v_pk_fma_f32 v[62:63], v[62:63], v[78:79], v[94:95] op_sel:[0,0,1] op_sel_hi:[1,0,0]
	v_mov_b32_e32 v71, v61
	v_pk_add_f32 v[42:43], v[42:43], v[68:69]
	v_mov_b32_e32 v73, v63
	v_pk_add_f32 v[42:43], v[42:43], v[70:71]
	v_pk_add_f32 v[42:43], v[42:43], v[72:73]
	s_waitcnt vmcnt(0)
	v_pk_add_f32 v[42:43], v[80:81], v[42:43] neg_lo:[0,1] neg_hi:[0,1]
	buffer_store_dword v42, off, s[0:3], 0 offset:72
	buffer_store_dword v43, off, s[0:3], 0 offset:76
	s_and_saveexec_b64 s[4:5], vcc
	s_cbranch_execz .LBB83_117
; %bb.116:
	buffer_load_dword v42, off, s[0:3], 0 offset:64
	buffer_load_dword v43, off, s[0:3], 0 offset:68
	v_mov_b32_e32 v44, 0
	buffer_store_dword v44, off, s[0:3], 0 offset:64
	buffer_store_dword v44, off, s[0:3], 0 offset:68
	s_waitcnt vmcnt(2)
	ds_write_b64 v1, v[42:43]
.LBB83_117:
	s_or_b64 exec, exec, s[4:5]
	s_waitcnt lgkmcnt(0)
	; wave barrier
	s_waitcnt lgkmcnt(0)
	buffer_load_dword v43, off, s[0:3], 0 offset:76
	buffer_load_dword v84, off, s[0:3], 0 offset:84
	;; [unrolled: 1-line block ×24, first 2 shown]
	v_mov_b32_e32 v42, 0
	ds_read2_b64 v[44:47], v42 offset0:29 offset1:30
	ds_read2_b64 v[48:51], v42 offset0:31 offset1:32
	;; [unrolled: 1-line block ×5, first 2 shown]
	ds_read_b64 v[82:83], v42 offset:312
	v_cmp_lt_u32_e32 vcc, 7, v0
	s_waitcnt vmcnt(23) lgkmcnt(5)
	v_mul_f32_e32 v97, v44, v43
	v_mul_f32_e32 v43, v45, v43
	s_waitcnt vmcnt(22)
	v_mul_f32_e32 v85, v46, v84
	s_waitcnt vmcnt(21) lgkmcnt(4)
	v_mul_f32_e32 v87, v48, v86
	v_mul_f32_e32 v84, v47, v84
	;; [unrolled: 1-line block ×3, first 2 shown]
	s_waitcnt vmcnt(20)
	v_mov_b32_e32 v88, v65
	s_waitcnt vmcnt(19)
	v_mov_b32_e32 v90, v67
	s_waitcnt vmcnt(18)
	v_mov_b32_e32 v92, v69
	s_waitcnt vmcnt(17)
	v_mov_b32_e32 v94, v71
	s_waitcnt vmcnt(16)
	v_mov_b32_e32 v96, v73
	s_waitcnt vmcnt(12)
	v_fmac_f32_e32 v97, v45, v89
	v_fma_f32 v43, v44, v89, -v43
	v_mov_b32_e32 v98, v75
	s_waitcnt vmcnt(11)
	v_fmac_f32_e32 v85, v47, v91
	s_waitcnt vmcnt(10)
	v_fmac_f32_e32 v87, v49, v93
	v_fma_f32 v84, v46, v91, -v84
	v_fma_f32 v86, v48, v93, -v86
	v_pk_mul_f32 v[44:45], v[50:51], v[88:89] op_sel_hi:[1,0]
	s_waitcnt lgkmcnt(3)
	v_pk_mul_f32 v[46:47], v[52:53], v[90:91] op_sel_hi:[1,0]
	v_pk_mul_f32 v[48:49], v[54:55], v[92:93] op_sel_hi:[1,0]
	s_waitcnt lgkmcnt(2)
	v_pk_mul_f32 v[88:89], v[56:57], v[94:95] op_sel_hi:[1,0]
	v_pk_mul_f32 v[90:91], v[58:59], v[96:97] op_sel_hi:[1,0]
	v_add_f32_e32 v97, 0, v97
	v_add_f32_e32 v96, 0, v43
	s_waitcnt lgkmcnt(1)
	v_pk_mul_f32 v[92:93], v[60:61], v[98:99] op_sel_hi:[1,0]
	s_waitcnt vmcnt(9)
	v_pk_fma_f32 v[98:99], v[50:51], v[64:65], v[44:45] op_sel:[0,0,1] op_sel_hi:[1,1,0] neg_lo:[0,0,1] neg_hi:[0,0,1]
	v_pk_fma_f32 v[44:45], v[50:51], v[64:65], v[44:45] op_sel:[0,0,1] op_sel_hi:[1,0,0]
	s_waitcnt vmcnt(8)
	v_pk_fma_f32 v[50:51], v[52:53], v[66:67], v[46:47] op_sel:[0,0,1] op_sel_hi:[1,1,0] neg_lo:[0,0,1] neg_hi:[0,0,1]
	v_pk_fma_f32 v[46:47], v[52:53], v[66:67], v[46:47] op_sel:[0,0,1] op_sel_hi:[1,0,0]
	;; [unrolled: 3-line block ×4, first 2 shown]
	v_pk_add_f32 v[70:71], v[96:97], v[84:85]
	v_mov_b32_e32 v99, v45
	v_pk_add_f32 v[44:45], v[70:71], v[86:87]
	v_mov_b32_e32 v51, v47
	;; [unrolled: 2-line block ×4, first 2 shown]
	s_waitcnt vmcnt(2)
	v_pk_fma_f32 v[64:65], v[58:59], v[72:73], v[90:91] op_sel:[0,0,1] op_sel_hi:[1,1,0] neg_lo:[0,0,1] neg_hi:[0,0,1]
	v_pk_fma_f32 v[58:59], v[58:59], v[72:73], v[90:91] op_sel:[0,0,1] op_sel_hi:[1,0,0]
	v_mov_b32_e32 v55, v57
	v_pk_add_f32 v[44:45], v[44:45], v[52:53]
	v_mov_b32_e32 v102, v79
	v_pk_mul_f32 v[94:95], v[62:63], v[100:101] op_sel_hi:[1,0]
	v_pk_fma_f32 v[66:67], v[60:61], v[74:75], v[92:93] op_sel:[0,0,1] op_sel_hi:[1,1,0] neg_lo:[0,0,1] neg_hi:[0,0,1]
	v_pk_fma_f32 v[60:61], v[60:61], v[74:75], v[92:93] op_sel:[0,0,1] op_sel_hi:[1,0,0]
	v_mov_b32_e32 v65, v59
	v_pk_add_f32 v[44:45], v[44:45], v[54:55]
	v_pk_fma_f32 v[68:69], v[62:63], v[76:77], v[94:95] op_sel:[0,0,1] op_sel_hi:[1,1,0] neg_lo:[0,0,1] neg_hi:[0,0,1]
	v_pk_fma_f32 v[62:63], v[62:63], v[76:77], v[94:95] op_sel:[0,0,1] op_sel_hi:[1,0,0]
	v_mov_b32_e32 v67, v61
	v_pk_add_f32 v[44:45], v[44:45], v[64:65]
	s_waitcnt lgkmcnt(0)
	v_pk_mul_f32 v[46:47], v[82:83], v[102:103] op_sel_hi:[1,0]
	v_mov_b32_e32 v69, v63
	v_pk_add_f32 v[44:45], v[44:45], v[66:67]
	v_pk_fma_f32 v[48:49], v[82:83], v[78:79], v[46:47] op_sel:[0,0,1] op_sel_hi:[1,1,0] neg_lo:[0,0,1] neg_hi:[0,0,1]
	v_pk_fma_f32 v[46:47], v[82:83], v[78:79], v[46:47] op_sel:[0,0,1] op_sel_hi:[1,0,0]
	v_pk_add_f32 v[44:45], v[44:45], v[68:69]
	v_mov_b32_e32 v49, v47
	v_pk_add_f32 v[44:45], v[44:45], v[48:49]
	s_waitcnt vmcnt(0)
	v_pk_add_f32 v[44:45], v[80:81], v[44:45] neg_lo:[0,1] neg_hi:[0,1]
	buffer_store_dword v45, off, s[0:3], 0 offset:68
	buffer_store_dword v44, off, s[0:3], 0 offset:64
	s_and_saveexec_b64 s[4:5], vcc
	s_cbranch_execz .LBB83_119
; %bb.118:
	buffer_load_dword v44, off, s[0:3], 0 offset:56
	buffer_load_dword v45, off, s[0:3], 0 offset:60
	s_waitcnt vmcnt(0)
	ds_write_b64 v1, v[44:45]
	buffer_store_dword v42, off, s[0:3], 0 offset:56
	buffer_store_dword v42, off, s[0:3], 0 offset:60
.LBB83_119:
	s_or_b64 exec, exec, s[4:5]
	s_waitcnt lgkmcnt(0)
	; wave barrier
	s_waitcnt lgkmcnt(0)
	buffer_load_dword v86, off, s[0:3], 0 offset:68
	buffer_load_dword v88, off, s[0:3], 0 offset:76
	;; [unrolled: 1-line block ×26, first 2 shown]
	ds_read_b128 v[44:47], v42 offset:224
	ds_read_b128 v[48:51], v42 offset:240
	ds_read_b128 v[52:55], v42 offset:256
	ds_read_b128 v[56:59], v42 offset:272
	ds_read_b128 v[60:63], v42 offset:288
	ds_read_b128 v[64:67], v42 offset:304
	v_cmp_lt_u32_e32 vcc, 6, v0
	s_waitcnt vmcnt(25) lgkmcnt(5)
	v_mul_f32_e32 v99, v44, v86
	v_mul_f32_e32 v42, v45, v86
	s_waitcnt vmcnt(24)
	v_mul_f32_e32 v100, v46, v88
	s_waitcnt vmcnt(23) lgkmcnt(4)
	v_mul_f32_e32 v43, v48, v89
	s_waitcnt vmcnt(22)
	v_mul_f32_e32 v87, v50, v90
	v_mul_f32_e32 v86, v47, v88
	;; [unrolled: 1-line block ×4, first 2 shown]
	s_waitcnt vmcnt(21)
	v_mov_b32_e32 v88, v69
	s_waitcnt vmcnt(20)
	v_mov_b32_e32 v90, v71
	;; [unrolled: 2-line block ×3, first 2 shown]
	s_waitcnt vmcnt(15)
	v_fmac_f32_e32 v99, v45, v91
	v_fma_f32 v102, v44, v91, -v42
	v_mov_b32_e32 v92, v73
	s_waitcnt vmcnt(14)
	v_fmac_f32_e32 v100, v47, v93
	s_waitcnt vmcnt(13)
	v_fmac_f32_e32 v43, v49, v95
	;; [unrolled: 2-line block ×3, first 2 shown]
	v_fma_f32 v103, v46, v93, -v86
	v_fma_f32 v42, v48, v95, -v89
	;; [unrolled: 1-line block ×3, first 2 shown]
	s_waitcnt lgkmcnt(3)
	v_pk_mul_f32 v[44:45], v[52:53], v[88:89] op_sel_hi:[1,0]
	v_pk_mul_f32 v[46:47], v[54:55], v[90:91] op_sel_hi:[1,0]
	s_waitcnt lgkmcnt(2)
	v_pk_mul_f32 v[50:51], v[58:59], v[94:95] op_sel_hi:[1,0]
	v_add_f32_e32 v94, 0, v99
	v_add_f32_e32 v95, 0, v102
	v_pk_mul_f32 v[48:49], v[56:57], v[92:93] op_sel_hi:[1,0]
	s_waitcnt vmcnt(11)
	v_pk_fma_f32 v[92:93], v[52:53], v[68:69], v[44:45] op_sel:[0,0,1] op_sel_hi:[1,1,0] neg_lo:[0,0,1] neg_hi:[0,0,1]
	v_pk_fma_f32 v[44:45], v[52:53], v[68:69], v[44:45] op_sel:[0,0,1] op_sel_hi:[1,0,0]
	s_waitcnt vmcnt(10)
	v_pk_fma_f32 v[52:53], v[54:55], v[70:71], v[46:47] op_sel:[0,0,1] op_sel_hi:[1,1,0] neg_lo:[0,0,1] neg_hi:[0,0,1]
	v_pk_fma_f32 v[46:47], v[54:55], v[70:71], v[46:47] op_sel:[0,0,1] op_sel_hi:[1,0,0]
	v_add_f32_e32 v71, v94, v100
	v_add_f32_e32 v70, v95, v103
	v_pk_add_f32 v[42:43], v[70:71], v[42:43]
	v_mov_b32_e32 v93, v45
	v_pk_add_f32 v[42:43], v[42:43], v[86:87]
	v_mov_b32_e32 v96, v77
	s_waitcnt vmcnt(9)
	v_pk_fma_f32 v[54:55], v[56:57], v[72:73], v[48:49] op_sel:[0,0,1] op_sel_hi:[1,1,0] neg_lo:[0,0,1] neg_hi:[0,0,1]
	v_pk_fma_f32 v[48:49], v[56:57], v[72:73], v[48:49] op_sel:[0,0,1] op_sel_hi:[1,0,0]
	v_mov_b32_e32 v53, v47
	v_pk_add_f32 v[42:43], v[42:43], v[92:93]
	v_mov_b32_e32 v98, v79
	s_waitcnt lgkmcnt(1)
	v_pk_mul_f32 v[88:89], v[60:61], v[96:97] op_sel_hi:[1,0]
	s_waitcnt vmcnt(5)
	v_pk_fma_f32 v[56:57], v[58:59], v[74:75], v[50:51] op_sel:[0,0,1] op_sel_hi:[1,1,0] neg_lo:[0,0,1] neg_hi:[0,0,1]
	v_pk_fma_f32 v[50:51], v[58:59], v[74:75], v[50:51] op_sel:[0,0,1] op_sel_hi:[1,0,0]
	v_mov_b32_e32 v55, v49
	v_pk_add_f32 v[42:43], v[42:43], v[52:53]
	s_waitcnt vmcnt(4)
	v_mov_b32_e32 v44, v81
	v_pk_mul_f32 v[90:91], v[62:63], v[98:99] op_sel_hi:[1,0]
	v_pk_fma_f32 v[58:59], v[60:61], v[76:77], v[88:89] op_sel:[0,0,1] op_sel_hi:[1,1,0] neg_lo:[0,0,1] neg_hi:[0,0,1]
	v_pk_fma_f32 v[60:61], v[60:61], v[76:77], v[88:89] op_sel:[0,0,1] op_sel_hi:[1,0,0]
	v_mov_b32_e32 v57, v51
	v_pk_add_f32 v[42:43], v[42:43], v[54:55]
	s_waitcnt lgkmcnt(0)
	v_pk_mul_f32 v[44:45], v[64:65], v[44:45] op_sel_hi:[1,0]
	v_pk_fma_f32 v[68:69], v[62:63], v[78:79], v[90:91] op_sel:[0,0,1] op_sel_hi:[1,1,0] neg_lo:[0,0,1] neg_hi:[0,0,1]
	v_pk_fma_f32 v[62:63], v[62:63], v[78:79], v[90:91] op_sel:[0,0,1] op_sel_hi:[1,0,0]
	v_mov_b32_e32 v59, v61
	v_pk_add_f32 v[42:43], v[42:43], v[56:57]
	v_pk_fma_f32 v[46:47], v[64:65], v[80:81], v[44:45] op_sel:[0,0,1] op_sel_hi:[1,1,0] neg_lo:[0,0,1] neg_hi:[0,0,1]
	v_pk_fma_f32 v[44:45], v[64:65], v[80:81], v[44:45] op_sel:[0,0,1] op_sel_hi:[1,0,0]
	v_mov_b32_e32 v69, v63
	v_pk_add_f32 v[42:43], v[42:43], v[58:59]
	s_waitcnt vmcnt(3)
	v_mov_b32_e32 v44, v83
	v_pk_add_f32 v[42:43], v[42:43], v[68:69]
	v_mov_b32_e32 v47, v45
	v_pk_mul_f32 v[44:45], v[66:67], v[44:45] op_sel_hi:[1,0]
	v_pk_add_f32 v[42:43], v[42:43], v[46:47]
	s_waitcnt vmcnt(2)
	v_pk_fma_f32 v[46:47], v[66:67], v[82:83], v[44:45] op_sel:[0,0,1] op_sel_hi:[1,1,0] neg_lo:[0,0,1] neg_hi:[0,0,1]
	v_pk_fma_f32 v[44:45], v[66:67], v[82:83], v[44:45] op_sel:[0,0,1] op_sel_hi:[1,0,0]
	v_mov_b32_e32 v47, v45
	v_pk_add_f32 v[42:43], v[42:43], v[46:47]
	s_waitcnt vmcnt(0)
	v_pk_add_f32 v[42:43], v[84:85], v[42:43] neg_lo:[0,1] neg_hi:[0,1]
	buffer_store_dword v43, off, s[0:3], 0 offset:60
	buffer_store_dword v42, off, s[0:3], 0 offset:56
	s_and_saveexec_b64 s[4:5], vcc
	s_cbranch_execz .LBB83_121
; %bb.120:
	buffer_load_dword v42, off, s[0:3], 0 offset:48
	buffer_load_dword v43, off, s[0:3], 0 offset:52
	v_mov_b32_e32 v44, 0
	buffer_store_dword v44, off, s[0:3], 0 offset:48
	buffer_store_dword v44, off, s[0:3], 0 offset:52
	s_waitcnt vmcnt(2)
	ds_write_b64 v1, v[42:43]
.LBB83_121:
	s_or_b64 exec, exec, s[4:5]
	s_waitcnt lgkmcnt(0)
	; wave barrier
	s_waitcnt lgkmcnt(0)
	buffer_load_dword v43, off, s[0:3], 0 offset:60
	buffer_load_dword v88, off, s[0:3], 0 offset:68
	;; [unrolled: 1-line block ×28, first 2 shown]
	v_mov_b32_e32 v42, 0
	ds_read2_b64 v[44:47], v42 offset0:27 offset1:28
	ds_read2_b64 v[48:51], v42 offset0:29 offset1:30
	ds_read2_b64 v[52:55], v42 offset0:31 offset1:32
	ds_read2_b64 v[56:59], v42 offset0:33 offset1:34
	ds_read2_b64 v[60:63], v42 offset0:35 offset1:36
	ds_read2_b64 v[64:67], v42 offset0:37 offset1:38
	ds_read_b64 v[86:87], v42 offset:312
	v_cmp_lt_u32_e32 vcc, 5, v0
	s_waitcnt vmcnt(27) lgkmcnt(6)
	v_mul_f32_e32 v103, v44, v43
	v_mul_f32_e32 v43, v45, v43
	s_waitcnt vmcnt(26)
	v_mul_f32_e32 v104, v46, v88
	s_waitcnt vmcnt(24) lgkmcnt(5)
	v_mul_f32_e32 v89, v50, v92
	s_waitcnt vmcnt(23) lgkmcnt(4)
	v_mul_f32_e32 v91, v52, v93
	v_mul_f32_e32 v106, v51, v92
	;; [unrolled: 1-line block ×3, first 2 shown]
	s_waitcnt vmcnt(22)
	v_mov_b32_e32 v92, v69
	v_mul_f32_e32 v105, v48, v90
	v_mul_f32_e32 v88, v47, v88
	;; [unrolled: 1-line block ×3, first 2 shown]
	s_waitcnt vmcnt(17)
	v_fmac_f32_e32 v103, v45, v95
	v_fma_f32 v43, v44, v95, -v43
	v_pk_mul_f32 v[44:45], v[54:55], v[92:93] op_sel_hi:[1,0]
	s_waitcnt vmcnt(16)
	v_fmac_f32_e32 v104, v47, v97
	s_waitcnt vmcnt(13)
	v_fmac_f32_e32 v91, v53, v102
	v_fma_f32 v95, v46, v97, -v88
	v_fma_f32 v97, v48, v99, -v90
	;; [unrolled: 1-line block ×3, first 2 shown]
	v_add_f32_e32 v92, 0, v103
	v_add_f32_e32 v43, 0, v43
	s_waitcnt vmcnt(12)
	v_pk_fma_f32 v[52:53], v[54:55], v[68:69], v[44:45] op_sel:[0,0,1] op_sel_hi:[1,1,0] neg_lo:[0,0,1] neg_hi:[0,0,1]
	v_pk_fma_f32 v[44:45], v[54:55], v[68:69], v[44:45] op_sel:[0,0,1] op_sel_hi:[1,0,0]
	v_fmac_f32_e32 v105, v49, v99
	v_add_f32_e32 v44, v92, v104
	v_add_f32_e32 v43, v43, v95
	v_mov_b32_e32 v94, v71
	v_fmac_f32_e32 v89, v51, v101
	v_fma_f32 v88, v50, v101, -v106
	v_mov_b32_e32 v53, v45
	v_add_f32_e32 v45, v44, v105
	v_add_f32_e32 v44, v43, v97
	v_mov_b32_e32 v96, v73
	s_waitcnt lgkmcnt(3)
	v_pk_mul_f32 v[46:47], v[56:57], v[94:95] op_sel_hi:[1,0]
	v_pk_add_f32 v[44:45], v[44:45], v[88:89]
	v_mov_b32_e32 v98, v75
	v_mov_b32_e32 v100, v77
	v_pk_mul_f32 v[48:49], v[58:59], v[96:97] op_sel_hi:[1,0]
	s_waitcnt vmcnt(11)
	v_pk_fma_f32 v[54:55], v[56:57], v[70:71], v[46:47] op_sel:[0,0,1] op_sel_hi:[1,1,0] neg_lo:[0,0,1] neg_hi:[0,0,1]
	v_pk_fma_f32 v[46:47], v[56:57], v[70:71], v[46:47] op_sel:[0,0,1] op_sel_hi:[1,0,0]
	v_pk_add_f32 v[44:45], v[44:45], v[90:91]
	s_waitcnt lgkmcnt(2)
	v_pk_mul_f32 v[50:51], v[60:61], v[98:99] op_sel_hi:[1,0]
	s_waitcnt vmcnt(7)
	v_pk_fma_f32 v[56:57], v[58:59], v[72:73], v[48:49] op_sel:[0,0,1] op_sel_hi:[1,1,0] neg_lo:[0,0,1] neg_hi:[0,0,1]
	v_pk_fma_f32 v[48:49], v[58:59], v[72:73], v[48:49] op_sel:[0,0,1] op_sel_hi:[1,0,0]
	v_mov_b32_e32 v55, v47
	v_pk_add_f32 v[44:45], v[44:45], v[52:53]
	v_pk_mul_f32 v[46:47], v[62:63], v[100:101] op_sel_hi:[1,0]
	v_pk_fma_f32 v[58:59], v[60:61], v[74:75], v[50:51] op_sel:[0,0,1] op_sel_hi:[1,1,0] neg_lo:[0,0,1] neg_hi:[0,0,1]
	v_pk_fma_f32 v[50:51], v[60:61], v[74:75], v[50:51] op_sel:[0,0,1] op_sel_hi:[1,0,0]
	v_mov_b32_e32 v57, v49
	v_pk_add_f32 v[44:45], v[44:45], v[54:55]
	v_pk_fma_f32 v[48:49], v[62:63], v[76:77], v[46:47] op_sel:[0,0,1] op_sel_hi:[1,1,0] neg_lo:[0,0,1] neg_hi:[0,0,1]
	v_pk_fma_f32 v[46:47], v[62:63], v[76:77], v[46:47] op_sel:[0,0,1] op_sel_hi:[1,0,0]
	v_mov_b32_e32 v59, v51
	v_pk_add_f32 v[44:45], v[44:45], v[56:57]
	s_waitcnt vmcnt(6)
	v_mov_b32_e32 v46, v79
	v_pk_add_f32 v[44:45], v[44:45], v[58:59]
	v_mov_b32_e32 v49, v47
	s_waitcnt lgkmcnt(1)
	v_pk_mul_f32 v[46:47], v[64:65], v[46:47] op_sel_hi:[1,0]
	v_pk_add_f32 v[44:45], v[44:45], v[48:49]
	v_pk_fma_f32 v[48:49], v[64:65], v[78:79], v[46:47] op_sel:[0,0,1] op_sel_hi:[1,1,0] neg_lo:[0,0,1] neg_hi:[0,0,1]
	v_pk_fma_f32 v[46:47], v[64:65], v[78:79], v[46:47] op_sel:[0,0,1] op_sel_hi:[1,0,0]
	s_waitcnt vmcnt(5)
	v_mov_b32_e32 v46, v81
	v_mov_b32_e32 v49, v47
	v_pk_mul_f32 v[46:47], v[66:67], v[46:47] op_sel_hi:[1,0]
	v_pk_add_f32 v[44:45], v[44:45], v[48:49]
	s_waitcnt vmcnt(3)
	v_pk_fma_f32 v[48:49], v[66:67], v[80:81], v[46:47] op_sel:[0,0,1] op_sel_hi:[1,1,0] neg_lo:[0,0,1] neg_hi:[0,0,1]
	v_pk_fma_f32 v[46:47], v[66:67], v[80:81], v[46:47] op_sel:[0,0,1] op_sel_hi:[1,0,0]
	s_waitcnt vmcnt(2)
	v_mov_b32_e32 v46, v83
	v_mov_b32_e32 v49, v47
	s_waitcnt lgkmcnt(0)
	v_pk_mul_f32 v[46:47], v[86:87], v[46:47] op_sel_hi:[1,0]
	v_pk_add_f32 v[44:45], v[44:45], v[48:49]
	v_pk_fma_f32 v[48:49], v[86:87], v[82:83], v[46:47] op_sel:[0,0,1] op_sel_hi:[1,1,0] neg_lo:[0,0,1] neg_hi:[0,0,1]
	v_pk_fma_f32 v[46:47], v[86:87], v[82:83], v[46:47] op_sel:[0,0,1] op_sel_hi:[1,0,0]
	v_mov_b32_e32 v49, v47
	v_pk_add_f32 v[44:45], v[44:45], v[48:49]
	s_waitcnt vmcnt(0)
	v_pk_add_f32 v[44:45], v[84:85], v[44:45] neg_lo:[0,1] neg_hi:[0,1]
	buffer_store_dword v45, off, s[0:3], 0 offset:52
	buffer_store_dword v44, off, s[0:3], 0 offset:48
	s_and_saveexec_b64 s[4:5], vcc
	s_cbranch_execz .LBB83_123
; %bb.122:
	buffer_load_dword v44, off, s[0:3], 0 offset:40
	buffer_load_dword v45, off, s[0:3], 0 offset:44
	s_waitcnt vmcnt(0)
	ds_write_b64 v1, v[44:45]
	buffer_store_dword v42, off, s[0:3], 0 offset:40
	buffer_store_dword v42, off, s[0:3], 0 offset:44
.LBB83_123:
	s_or_b64 exec, exec, s[4:5]
	s_waitcnt lgkmcnt(0)
	; wave barrier
	s_waitcnt lgkmcnt(0)
	buffer_load_dword v90, off, s[0:3], 0 offset:52
	buffer_load_dword v92, off, s[0:3], 0 offset:60
	;; [unrolled: 1-line block ×30, first 2 shown]
	ds_read_b128 v[44:47], v42 offset:208
	ds_read_b128 v[48:51], v42 offset:224
	;; [unrolled: 1-line block ×7, first 2 shown]
	v_cmp_lt_u32_e32 vcc, 4, v0
	s_waitcnt vmcnt(29) lgkmcnt(6)
	v_mul_f32_e32 v103, v44, v90
	s_waitcnt vmcnt(28)
	v_mul_f32_e32 v104, v46, v92
	s_waitcnt vmcnt(27) lgkmcnt(5)
	v_mul_f32_e32 v105, v48, v93
	v_mul_f32_e32 v93, v49, v93
	s_waitcnt vmcnt(26)
	v_mul_f32_e32 v106, v50, v94
	s_waitcnt vmcnt(25) lgkmcnt(4)
	v_mul_f32_e32 v43, v52, v95
	v_mul_f32_e32 v42, v45, v90
	;; [unrolled: 1-line block ×5, first 2 shown]
	s_waitcnt vmcnt(23)
	v_mov_b32_e32 v92, v73
	s_waitcnt vmcnt(22)
	v_mov_b32_e32 v94, v75
	s_waitcnt vmcnt(18)
	v_fma_f32 v93, v48, v99, -v93
	v_fmac_f32_e32 v103, v45, v97
	v_fmac_f32_e32 v104, v47, v98
	s_waitcnt vmcnt(17)
	v_fmac_f32_e32 v106, v51, v100
	v_fma_f32 v51, v44, v97, -v42
	v_fma_f32 v97, v46, v98, -v90
	s_waitcnt lgkmcnt(3)
	v_pk_mul_f32 v[44:45], v[56:57], v[92:93] op_sel_hi:[1,0]
	v_pk_mul_f32 v[46:47], v[58:59], v[94:95] op_sel_hi:[1,0]
	s_waitcnt vmcnt(16)
	v_fmac_f32_e32 v43, v53, v101
	v_fma_f32 v98, v50, v100, -v107
	v_fma_f32 v42, v52, v101, -v95
	v_add_f32_e32 v92, 0, v103
	v_add_f32_e32 v94, 0, v51
	s_waitcnt vmcnt(14)
	v_pk_fma_f32 v[50:51], v[56:57], v[72:73], v[44:45] op_sel:[0,0,1] op_sel_hi:[1,1,0] neg_lo:[0,0,1] neg_hi:[0,0,1]
	v_pk_fma_f32 v[44:45], v[56:57], v[72:73], v[44:45] op_sel:[0,0,1] op_sel_hi:[1,0,0]
	s_waitcnt vmcnt(10)
	v_pk_fma_f32 v[52:53], v[58:59], v[74:75], v[46:47] op_sel:[0,0,1] op_sel_hi:[1,1,0] neg_lo:[0,0,1] neg_hi:[0,0,1]
	v_pk_fma_f32 v[46:47], v[58:59], v[74:75], v[46:47] op_sel:[0,0,1] op_sel_hi:[1,0,0]
	v_fmac_f32_e32 v105, v49, v99
	v_add_f32_e32 v44, v92, v104
	v_add_f32_e32 v46, v94, v97
	;; [unrolled: 1-line block ×4, first 2 shown]
	v_mul_f32_e32 v91, v54, v96
	v_mul_f32_e32 v108, v55, v96
	v_mov_b32_e32 v51, v45
	v_add_f32_e32 v45, v44, v106
	v_add_f32_e32 v44, v46, v98
	v_mov_b32_e32 v96, v77
	v_fmac_f32_e32 v91, v55, v102
	v_fma_f32 v90, v54, v102, -v108
	v_pk_add_f32 v[42:43], v[44:45], v[42:43]
	s_waitcnt vmcnt(9)
	v_mov_b32_e32 v44, v81
	s_waitcnt lgkmcnt(2)
	v_pk_mul_f32 v[48:49], v[60:61], v[96:97] op_sel_hi:[1,0]
	v_pk_add_f32 v[42:43], v[42:43], v[90:91]
	v_pk_mul_f32 v[44:45], v[62:63], v[44:45] op_sel_hi:[1,0]
	v_pk_fma_f32 v[54:55], v[60:61], v[76:77], v[48:49] op_sel:[0,0,1] op_sel_hi:[1,1,0] neg_lo:[0,0,1] neg_hi:[0,0,1]
	v_pk_fma_f32 v[48:49], v[60:61], v[76:77], v[48:49] op_sel:[0,0,1] op_sel_hi:[1,0,0]
	v_mov_b32_e32 v53, v47
	v_pk_add_f32 v[42:43], v[42:43], v[50:51]
	v_pk_fma_f32 v[46:47], v[62:63], v[80:81], v[44:45] op_sel:[0,0,1] op_sel_hi:[1,1,0] neg_lo:[0,0,1] neg_hi:[0,0,1]
	v_pk_fma_f32 v[44:45], v[62:63], v[80:81], v[44:45] op_sel:[0,0,1] op_sel_hi:[1,0,0]
	v_mov_b32_e32 v55, v49
	v_pk_add_f32 v[42:43], v[42:43], v[52:53]
	s_waitcnt vmcnt(8)
	v_mov_b32_e32 v44, v79
	v_pk_add_f32 v[42:43], v[42:43], v[54:55]
	v_mov_b32_e32 v47, v45
	s_waitcnt lgkmcnt(1)
	v_pk_mul_f32 v[44:45], v[64:65], v[44:45] op_sel_hi:[1,0]
	v_pk_add_f32 v[42:43], v[42:43], v[46:47]
	v_pk_fma_f32 v[46:47], v[64:65], v[78:79], v[44:45] op_sel:[0,0,1] op_sel_hi:[1,1,0] neg_lo:[0,0,1] neg_hi:[0,0,1]
	v_pk_fma_f32 v[44:45], v[64:65], v[78:79], v[44:45] op_sel:[0,0,1] op_sel_hi:[1,0,0]
	s_waitcnt vmcnt(7)
	v_mov_b32_e32 v44, v83
	v_mov_b32_e32 v47, v45
	v_pk_mul_f32 v[44:45], v[66:67], v[44:45] op_sel_hi:[1,0]
	v_pk_add_f32 v[42:43], v[42:43], v[46:47]
	s_waitcnt vmcnt(4)
	v_pk_fma_f32 v[46:47], v[66:67], v[82:83], v[44:45] op_sel:[0,0,1] op_sel_hi:[1,1,0] neg_lo:[0,0,1] neg_hi:[0,0,1]
	v_pk_fma_f32 v[44:45], v[66:67], v[82:83], v[44:45] op_sel:[0,0,1] op_sel_hi:[1,0,0]
	s_waitcnt vmcnt(3)
	v_mov_b32_e32 v44, v87
	v_mov_b32_e32 v47, v45
	s_waitcnt lgkmcnt(0)
	v_pk_mul_f32 v[44:45], v[68:69], v[44:45] op_sel_hi:[1,0]
	v_pk_add_f32 v[42:43], v[42:43], v[46:47]
	v_pk_fma_f32 v[46:47], v[68:69], v[86:87], v[44:45] op_sel:[0,0,1] op_sel_hi:[1,1,0] neg_lo:[0,0,1] neg_hi:[0,0,1]
	v_pk_fma_f32 v[44:45], v[68:69], v[86:87], v[44:45] op_sel:[0,0,1] op_sel_hi:[1,0,0]
	s_waitcnt vmcnt(0)
	v_mov_b32_e32 v44, v85
	v_mov_b32_e32 v47, v45
	v_pk_mul_f32 v[44:45], v[70:71], v[44:45] op_sel_hi:[1,0]
	v_pk_add_f32 v[42:43], v[42:43], v[46:47]
	v_pk_fma_f32 v[46:47], v[70:71], v[84:85], v[44:45] op_sel:[0,0,1] op_sel_hi:[1,1,0] neg_lo:[0,0,1] neg_hi:[0,0,1]
	v_pk_fma_f32 v[44:45], v[70:71], v[84:85], v[44:45] op_sel:[0,0,1] op_sel_hi:[1,0,0]
	v_mov_b32_e32 v47, v45
	v_pk_add_f32 v[42:43], v[42:43], v[46:47]
	v_pk_add_f32 v[42:43], v[88:89], v[42:43] neg_lo:[0,1] neg_hi:[0,1]
	buffer_store_dword v43, off, s[0:3], 0 offset:44
	buffer_store_dword v42, off, s[0:3], 0 offset:40
	s_and_saveexec_b64 s[4:5], vcc
	s_cbranch_execz .LBB83_125
; %bb.124:
	buffer_load_dword v42, off, s[0:3], 0 offset:32
	buffer_load_dword v43, off, s[0:3], 0 offset:36
	v_mov_b32_e32 v44, 0
	buffer_store_dword v44, off, s[0:3], 0 offset:32
	buffer_store_dword v44, off, s[0:3], 0 offset:36
	s_waitcnt vmcnt(2)
	ds_write_b64 v1, v[42:43]
.LBB83_125:
	s_or_b64 exec, exec, s[4:5]
	s_waitcnt lgkmcnt(0)
	; wave barrier
	s_waitcnt lgkmcnt(0)
	buffer_load_dword v43, off, s[0:3], 0 offset:44
	buffer_load_dword v92, off, s[0:3], 0 offset:52
	;; [unrolled: 1-line block ×32, first 2 shown]
	v_mov_b32_e32 v42, 0
	ds_read2_b64 v[44:47], v42 offset0:25 offset1:26
	ds_read2_b64 v[48:51], v42 offset0:27 offset1:28
	;; [unrolled: 1-line block ×7, first 2 shown]
	ds_read_b64 v[90:91], v42 offset:312
	v_cmp_lt_u32_e32 vcc, 3, v0
	s_waitcnt vmcnt(31) lgkmcnt(7)
	v_mul_f32_e32 v107, v44, v43
	v_mul_f32_e32 v43, v45, v43
	s_waitcnt vmcnt(30)
	v_mul_f32_e32 v108, v46, v92
	s_waitcnt vmcnt(28) lgkmcnt(6)
	v_mul_f32_e32 v110, v50, v96
	s_waitcnt vmcnt(27) lgkmcnt(5)
	v_mul_f32_e32 v111, v52, v97
	v_mul_f32_e32 v112, v51, v96
	;; [unrolled: 1-line block ×3, first 2 shown]
	s_waitcnt vmcnt(24)
	v_mov_b32_e32 v96, v73
	v_mul_f32_e32 v109, v48, v94
	v_mul_f32_e32 v92, v47, v92
	s_waitcnt vmcnt(22)
	v_fmac_f32_e32 v107, v45, v100
	v_fma_f32 v43, v44, v100, -v43
	s_waitcnt lgkmcnt(4)
	v_pk_mul_f32 v[44:45], v[58:59], v[96:97] op_sel_hi:[1,0]
	v_mul_f32_e32 v94, v49, v94
	s_waitcnt vmcnt(21)
	v_fmac_f32_e32 v108, v47, v101
	s_waitcnt vmcnt(20)
	v_fmac_f32_e32 v109, v49, v102
	;; [unrolled: 2-line block ×3, first 2 shown]
	v_fma_f32 v49, v46, v101, -v92
	s_waitcnt vmcnt(18)
	v_fma_f32 v51, v52, v104, -v97
	v_add_f32_e32 v52, 0, v107
	v_add_f32_e32 v43, 0, v43
	s_waitcnt vmcnt(12)
	v_pk_fma_f32 v[46:47], v[58:59], v[72:73], v[44:45] op_sel:[0,0,1] op_sel_hi:[1,1,0] neg_lo:[0,0,1] neg_hi:[0,0,1]
	v_pk_fma_f32 v[44:45], v[58:59], v[72:73], v[44:45] op_sel:[0,0,1] op_sel_hi:[1,0,0]
	v_fma_f32 v48, v48, v102, -v94
	v_add_f32_e32 v44, v52, v108
	v_add_f32_e32 v43, v43, v49
	v_fma_f32 v50, v50, v103, -v112
	v_add_f32_e32 v44, v44, v109
	v_add_f32_e32 v43, v43, v48
	v_mul_f32_e32 v93, v54, v98
	v_mul_f32_e32 v113, v55, v98
	v_fmac_f32_e32 v111, v53, v104
	v_add_f32_e32 v44, v44, v110
	v_add_f32_e32 v43, v43, v50
	v_mul_f32_e32 v95, v56, v99
	v_mul_f32_e32 v99, v57, v99
	v_fmac_f32_e32 v93, v55, v105
	v_fma_f32 v92, v54, v105, -v113
	v_mov_b32_e32 v47, v45
	v_add_f32_e32 v45, v44, v111
	v_add_f32_e32 v44, v43, v51
	v_fmac_f32_e32 v95, v57, v106
	v_fma_f32 v94, v56, v106, -v99
	v_pk_add_f32 v[44:45], v[44:45], v[92:93]
	v_mov_b32_e32 v98, v75
	v_pk_add_f32 v[44:45], v[44:45], v[94:95]
	v_pk_add_f32 v[44:45], v[44:45], v[46:47]
	s_waitcnt lgkmcnt(3)
	v_pk_mul_f32 v[46:47], v[60:61], v[98:99] op_sel_hi:[1,0]
	v_pk_fma_f32 v[48:49], v[60:61], v[74:75], v[46:47] op_sel:[0,0,1] op_sel_hi:[1,1,0] neg_lo:[0,0,1] neg_hi:[0,0,1]
	v_pk_fma_f32 v[46:47], v[60:61], v[74:75], v[46:47] op_sel:[0,0,1] op_sel_hi:[1,0,0]
	s_waitcnt vmcnt(11)
	v_mov_b32_e32 v46, v79
	v_mov_b32_e32 v49, v47
	v_pk_mul_f32 v[46:47], v[62:63], v[46:47] op_sel_hi:[1,0]
	v_pk_add_f32 v[44:45], v[44:45], v[48:49]
	v_pk_fma_f32 v[48:49], v[62:63], v[78:79], v[46:47] op_sel:[0,0,1] op_sel_hi:[1,1,0] neg_lo:[0,0,1] neg_hi:[0,0,1]
	v_pk_fma_f32 v[46:47], v[62:63], v[78:79], v[46:47] op_sel:[0,0,1] op_sel_hi:[1,0,0]
	s_waitcnt vmcnt(10)
	v_mov_b32_e32 v46, v77
	v_mov_b32_e32 v49, v47
	s_waitcnt lgkmcnt(2)
	v_pk_mul_f32 v[46:47], v[64:65], v[46:47] op_sel_hi:[1,0]
	v_pk_add_f32 v[44:45], v[44:45], v[48:49]
	v_pk_fma_f32 v[48:49], v[64:65], v[76:77], v[46:47] op_sel:[0,0,1] op_sel_hi:[1,1,0] neg_lo:[0,0,1] neg_hi:[0,0,1]
	v_pk_fma_f32 v[46:47], v[64:65], v[76:77], v[46:47] op_sel:[0,0,1] op_sel_hi:[1,0,0]
	s_waitcnt vmcnt(9)
	v_mov_b32_e32 v46, v81
	v_mov_b32_e32 v49, v47
	v_pk_mul_f32 v[46:47], v[66:67], v[46:47] op_sel_hi:[1,0]
	v_pk_add_f32 v[44:45], v[44:45], v[48:49]
	s_waitcnt vmcnt(4)
	v_pk_fma_f32 v[48:49], v[66:67], v[80:81], v[46:47] op_sel:[0,0,1] op_sel_hi:[1,1,0] neg_lo:[0,0,1] neg_hi:[0,0,1]
	v_pk_fma_f32 v[46:47], v[66:67], v[80:81], v[46:47] op_sel:[0,0,1] op_sel_hi:[1,0,0]
	v_mov_b32_e32 v46, v87
	v_mov_b32_e32 v49, v47
	s_waitcnt lgkmcnt(1)
	v_pk_mul_f32 v[46:47], v[68:69], v[46:47] op_sel_hi:[1,0]
	v_pk_add_f32 v[44:45], v[44:45], v[48:49]
	v_pk_fma_f32 v[48:49], v[68:69], v[86:87], v[46:47] op_sel:[0,0,1] op_sel_hi:[1,1,0] neg_lo:[0,0,1] neg_hi:[0,0,1]
	v_pk_fma_f32 v[46:47], v[68:69], v[86:87], v[46:47] op_sel:[0,0,1] op_sel_hi:[1,0,0]
	s_waitcnt vmcnt(3)
	v_mov_b32_e32 v46, v85
	v_mov_b32_e32 v49, v47
	v_pk_mul_f32 v[46:47], v[70:71], v[46:47] op_sel_hi:[1,0]
	v_pk_add_f32 v[44:45], v[44:45], v[48:49]
	v_pk_fma_f32 v[48:49], v[70:71], v[84:85], v[46:47] op_sel:[0,0,1] op_sel_hi:[1,1,0] neg_lo:[0,0,1] neg_hi:[0,0,1]
	v_pk_fma_f32 v[46:47], v[70:71], v[84:85], v[46:47] op_sel:[0,0,1] op_sel_hi:[1,0,0]
	s_waitcnt vmcnt(0)
	v_mov_b32_e32 v46, v83
	v_mov_b32_e32 v49, v47
	s_waitcnt lgkmcnt(0)
	v_pk_mul_f32 v[46:47], v[90:91], v[46:47] op_sel_hi:[1,0]
	v_pk_add_f32 v[44:45], v[44:45], v[48:49]
	v_pk_fma_f32 v[48:49], v[90:91], v[82:83], v[46:47] op_sel:[0,0,1] op_sel_hi:[1,1,0] neg_lo:[0,0,1] neg_hi:[0,0,1]
	v_pk_fma_f32 v[46:47], v[90:91], v[82:83], v[46:47] op_sel:[0,0,1] op_sel_hi:[1,0,0]
	v_mov_b32_e32 v49, v47
	v_pk_add_f32 v[44:45], v[44:45], v[48:49]
	v_pk_add_f32 v[44:45], v[88:89], v[44:45] neg_lo:[0,1] neg_hi:[0,1]
	buffer_store_dword v45, off, s[0:3], 0 offset:36
	buffer_store_dword v44, off, s[0:3], 0 offset:32
	s_and_saveexec_b64 s[4:5], vcc
	s_cbranch_execz .LBB83_127
; %bb.126:
	buffer_load_dword v44, off, s[0:3], 0 offset:24
	buffer_load_dword v45, off, s[0:3], 0 offset:28
	s_waitcnt vmcnt(0)
	ds_write_b64 v1, v[44:45]
	buffer_store_dword v42, off, s[0:3], 0 offset:24
	buffer_store_dword v42, off, s[0:3], 0 offset:28
.LBB83_127:
	s_or_b64 exec, exec, s[4:5]
	s_waitcnt lgkmcnt(0)
	; wave barrier
	s_waitcnt lgkmcnt(0)
	buffer_load_dword v94, off, s[0:3], 0 offset:36
	buffer_load_dword v96, off, s[0:3], 0 offset:44
	;; [unrolled: 1-line block ×32, first 2 shown]
	ds_read_b128 v[44:47], v42 offset:192
	ds_read_b128 v[48:51], v42 offset:208
	;; [unrolled: 1-line block ×4, first 2 shown]
	buffer_load_dword v93, off, s[0:3], 0 offset:156
	buffer_load_dword v92, off, s[0:3], 0 offset:152
	ds_read_b128 v[60:63], v42 offset:256
	ds_read_b128 v[64:67], v42 offset:272
	;; [unrolled: 1-line block ×4, first 2 shown]
	v_cmp_lt_u32_e32 vcc, 2, v0
	s_waitcnt vmcnt(33) lgkmcnt(7)
	v_mul_f32_e32 v111, v44, v94
	v_mul_f32_e32 v42, v45, v94
	s_waitcnt vmcnt(32)
	v_mul_f32_e32 v112, v46, v96
	s_waitcnt vmcnt(31) lgkmcnt(6)
	v_mul_f32_e32 v113, v48, v97
	v_mul_f32_e32 v94, v47, v96
	;; [unrolled: 1-line block ×3, first 2 shown]
	s_waitcnt vmcnt(30)
	v_mul_f32_e32 v97, v51, v98
	v_mul_f32_e32 v114, v50, v98
	s_waitcnt vmcnt(25)
	v_fmac_f32_e32 v111, v45, v103
	v_fma_f32 v44, v44, v103, -v42
	s_waitcnt vmcnt(24)
	v_fmac_f32_e32 v112, v47, v104
	v_fma_f32 v45, v46, v104, -v94
	s_waitcnt vmcnt(22)
	v_fma_f32 v47, v50, v106, -v97
	v_add_f32_e32 v50, 0, v111
	v_add_f32_e32 v44, 0, v44
	v_fmac_f32_e32 v113, v49, v105
	v_fma_f32 v46, v48, v105, -v96
	v_add_f32_e32 v50, v50, v112
	v_add_f32_e32 v44, v44, v45
	s_waitcnt lgkmcnt(5)
	v_mul_f32_e32 v115, v52, v99
	v_mul_f32_e32 v98, v53, v99
	v_fmac_f32_e32 v114, v51, v106
	v_add_f32_e32 v45, v50, v113
	v_add_f32_e32 v44, v44, v46
	v_mul_f32_e32 v116, v54, v100
	v_mul_f32_e32 v99, v55, v100
	s_waitcnt vmcnt(21)
	v_fmac_f32_e32 v115, v53, v107
	v_fma_f32 v48, v52, v107, -v98
	v_add_f32_e32 v45, v45, v114
	v_add_f32_e32 v44, v44, v47
	s_waitcnt lgkmcnt(4)
	v_mul_f32_e32 v43, v56, v101
	v_mul_f32_e32 v100, v57, v101
	s_waitcnt vmcnt(20)
	v_fmac_f32_e32 v116, v55, v108
	v_fma_f32 v49, v54, v108, -v99
	v_add_f32_e32 v45, v45, v115
	v_add_f32_e32 v44, v44, v48
	s_waitcnt vmcnt(19)
	v_fmac_f32_e32 v43, v57, v109
	v_fma_f32 v42, v56, v109, -v100
	v_add_f32_e32 v45, v45, v116
	v_add_f32_e32 v44, v44, v49
	v_pk_add_f32 v[42:43], v[44:45], v[42:43]
	s_waitcnt vmcnt(17)
	v_mov_b32_e32 v44, v77
	s_waitcnt lgkmcnt(3)
	v_pk_mul_f32 v[44:45], v[60:61], v[44:45] op_sel_hi:[1,0]
	v_mul_f32_e32 v95, v58, v102
	v_mul_f32_e32 v101, v59, v102
	s_waitcnt vmcnt(14)
	v_pk_fma_f32 v[46:47], v[60:61], v[76:77], v[44:45] op_sel:[0,0,1] op_sel_hi:[1,1,0] neg_lo:[0,0,1] neg_hi:[0,0,1]
	v_pk_fma_f32 v[44:45], v[60:61], v[76:77], v[44:45] op_sel:[0,0,1] op_sel_hi:[1,0,0]
	v_fmac_f32_e32 v95, v59, v110
	v_fma_f32 v94, v58, v110, -v101
	s_waitcnt vmcnt(13)
	v_mov_b32_e32 v44, v81
	v_pk_add_f32 v[42:43], v[42:43], v[94:95]
	v_mov_b32_e32 v47, v45
	v_pk_mul_f32 v[44:45], v[62:63], v[44:45] op_sel_hi:[1,0]
	v_pk_add_f32 v[42:43], v[42:43], v[46:47]
	v_pk_fma_f32 v[46:47], v[62:63], v[80:81], v[44:45] op_sel:[0,0,1] op_sel_hi:[1,1,0] neg_lo:[0,0,1] neg_hi:[0,0,1]
	v_pk_fma_f32 v[44:45], v[62:63], v[80:81], v[44:45] op_sel:[0,0,1] op_sel_hi:[1,0,0]
	s_waitcnt vmcnt(12)
	v_mov_b32_e32 v44, v79
	v_mov_b32_e32 v47, v45
	s_waitcnt lgkmcnt(2)
	v_pk_mul_f32 v[44:45], v[64:65], v[44:45] op_sel_hi:[1,0]
	v_pk_add_f32 v[42:43], v[42:43], v[46:47]
	v_pk_fma_f32 v[46:47], v[64:65], v[78:79], v[44:45] op_sel:[0,0,1] op_sel_hi:[1,1,0] neg_lo:[0,0,1] neg_hi:[0,0,1]
	v_pk_fma_f32 v[44:45], v[64:65], v[78:79], v[44:45] op_sel:[0,0,1] op_sel_hi:[1,0,0]
	s_waitcnt vmcnt(11)
	v_mov_b32_e32 v44, v83
	v_mov_b32_e32 v47, v45
	v_pk_mul_f32 v[44:45], v[66:67], v[44:45] op_sel_hi:[1,0]
	v_pk_add_f32 v[42:43], v[42:43], v[46:47]
	s_waitcnt vmcnt(5)
	v_pk_fma_f32 v[46:47], v[66:67], v[82:83], v[44:45] op_sel:[0,0,1] op_sel_hi:[1,1,0] neg_lo:[0,0,1] neg_hi:[0,0,1]
	v_pk_fma_f32 v[44:45], v[66:67], v[82:83], v[44:45] op_sel:[0,0,1] op_sel_hi:[1,0,0]
	v_mov_b32_e32 v44, v89
	v_mov_b32_e32 v47, v45
	s_waitcnt lgkmcnt(1)
	v_pk_mul_f32 v[44:45], v[68:69], v[44:45] op_sel_hi:[1,0]
	v_pk_add_f32 v[42:43], v[42:43], v[46:47]
	v_pk_fma_f32 v[46:47], v[68:69], v[88:89], v[44:45] op_sel:[0,0,1] op_sel_hi:[1,1,0] neg_lo:[0,0,1] neg_hi:[0,0,1]
	v_pk_fma_f32 v[44:45], v[68:69], v[88:89], v[44:45] op_sel:[0,0,1] op_sel_hi:[1,0,0]
	v_mov_b32_e32 v44, v87
	v_mov_b32_e32 v47, v45
	v_pk_mul_f32 v[44:45], v[70:71], v[44:45] op_sel_hi:[1,0]
	v_pk_add_f32 v[42:43], v[42:43], v[46:47]
	v_pk_fma_f32 v[46:47], v[70:71], v[86:87], v[44:45] op_sel:[0,0,1] op_sel_hi:[1,1,0] neg_lo:[0,0,1] neg_hi:[0,0,1]
	v_pk_fma_f32 v[44:45], v[70:71], v[86:87], v[44:45] op_sel:[0,0,1] op_sel_hi:[1,0,0]
	s_waitcnt vmcnt(2)
	v_mov_b32_e32 v44, v85
	v_mov_b32_e32 v47, v45
	s_waitcnt lgkmcnt(0)
	v_pk_mul_f32 v[44:45], v[72:73], v[44:45] op_sel_hi:[1,0]
	v_pk_add_f32 v[42:43], v[42:43], v[46:47]
	v_pk_fma_f32 v[46:47], v[72:73], v[84:85], v[44:45] op_sel:[0,0,1] op_sel_hi:[1,1,0] neg_lo:[0,0,1] neg_hi:[0,0,1]
	v_pk_fma_f32 v[44:45], v[72:73], v[84:85], v[44:45] op_sel:[0,0,1] op_sel_hi:[1,0,0]
	s_waitcnt vmcnt(1)
	v_mov_b32_e32 v44, v93
	v_mov_b32_e32 v47, v45
	v_pk_mul_f32 v[44:45], v[74:75], v[44:45] op_sel_hi:[1,0]
	v_pk_add_f32 v[42:43], v[42:43], v[46:47]
	s_waitcnt vmcnt(0)
	v_pk_fma_f32 v[46:47], v[74:75], v[92:93], v[44:45] op_sel:[0,0,1] op_sel_hi:[1,1,0] neg_lo:[0,0,1] neg_hi:[0,0,1]
	v_pk_fma_f32 v[44:45], v[74:75], v[92:93], v[44:45] op_sel:[0,0,1] op_sel_hi:[1,0,0]
	v_mov_b32_e32 v47, v45
	v_pk_add_f32 v[42:43], v[42:43], v[46:47]
	v_pk_add_f32 v[42:43], v[90:91], v[42:43] neg_lo:[0,1] neg_hi:[0,1]
	buffer_store_dword v43, off, s[0:3], 0 offset:28
	buffer_store_dword v42, off, s[0:3], 0 offset:24
	s_and_saveexec_b64 s[4:5], vcc
	s_cbranch_execz .LBB83_129
; %bb.128:
	buffer_load_dword v42, off, s[0:3], 0 offset:16
	buffer_load_dword v43, off, s[0:3], 0 offset:20
	v_mov_b32_e32 v44, 0
	buffer_store_dword v44, off, s[0:3], 0 offset:16
	buffer_store_dword v44, off, s[0:3], 0 offset:20
	s_waitcnt vmcnt(2)
	ds_write_b64 v1, v[42:43]
.LBB83_129:
	s_or_b64 exec, exec, s[4:5]
	s_waitcnt lgkmcnt(0)
	; wave barrier
	s_waitcnt lgkmcnt(0)
	buffer_load_dword v43, off, s[0:3], 0 offset:28
	buffer_load_dword v86, off, s[0:3], 0 offset:36
	;; [unrolled: 1-line block ×36, first 2 shown]
	v_mov_b32_e32 v42, 0
	ds_read2_b64 v[44:47], v42 offset0:23 offset1:24
	ds_read2_b64 v[48:51], v42 offset0:25 offset1:26
	ds_read2_b64 v[52:55], v42 offset0:27 offset1:28
	ds_read2_b64 v[56:59], v42 offset0:29 offset1:30
	ds_read2_b64 v[60:63], v42 offset0:31 offset1:32
	ds_read2_b64 v[64:67], v42 offset0:33 offset1:34
	v_cmp_lt_u32_e32 vcc, 1, v0
	s_waitcnt vmcnt(35) lgkmcnt(5)
	v_mul_f32_e32 v105, v44, v43
	s_waitcnt vmcnt(34)
	v_mul_f32_e32 v106, v46, v86
	s_waitcnt vmcnt(33) lgkmcnt(4)
	v_mul_f32_e32 v107, v48, v88
	v_mul_f32_e32 v43, v45, v43
	;; [unrolled: 1-line block ×4, first 2 shown]
	s_waitcnt vmcnt(32)
	v_mul_f32_e32 v108, v50, v90
	s_waitcnt vmcnt(31) lgkmcnt(3)
	v_mul_f32_e32 v109, v52, v91
	v_mul_f32_e32 v90, v51, v90
	s_waitcnt vmcnt(26)
	v_fmac_f32_e32 v105, v45, v96
	s_waitcnt vmcnt(25)
	v_fmac_f32_e32 v106, v47, v97
	;; [unrolled: 2-line block ×3, first 2 shown]
	v_fma_f32 v43, v44, v96, -v43
	v_add_f32_e32 v49, 0, v105
	v_fma_f32 v44, v46, v97, -v86
	v_add_f32_e32 v43, 0, v43
	v_add_f32_e32 v49, v49, v106
	s_waitcnt vmcnt(23)
	v_fmac_f32_e32 v108, v51, v99
	v_fma_f32 v45, v48, v98, -v88
	v_add_f32_e32 v43, v43, v44
	v_add_f32_e32 v44, v49, v107
	v_mul_f32_e32 v110, v54, v92
	v_mul_f32_e32 v91, v53, v91
	s_waitcnt vmcnt(22)
	v_fmac_f32_e32 v109, v53, v100
	v_fma_f32 v46, v50, v99, -v90
	v_add_f32_e32 v43, v43, v45
	v_add_f32_e32 v44, v44, v108
	s_waitcnt lgkmcnt(2)
	v_mul_f32_e32 v111, v56, v93
	v_mul_f32_e32 v92, v55, v92
	s_waitcnt vmcnt(21)
	v_fmac_f32_e32 v110, v55, v101
	v_fma_f32 v47, v52, v100, -v91
	v_add_f32_e32 v43, v43, v46
	v_add_f32_e32 v44, v44, v109
	v_mul_f32_e32 v93, v57, v93
	s_waitcnt vmcnt(20)
	v_fmac_f32_e32 v111, v57, v102
	v_fma_f32 v48, v54, v101, -v92
	v_add_f32_e32 v43, v43, v47
	v_add_f32_e32 v44, v44, v110
	;; [unrolled: 1-line block ×4, first 2 shown]
	v_fma_f32 v44, v56, v102, -v93
	s_waitcnt vmcnt(17)
	v_mov_b32_e32 v56, v69
	v_mul_f32_e32 v87, v58, v94
	v_add_f32_e32 v52, v43, v44
	v_mul_f32_e32 v43, v59, v94
	s_waitcnt lgkmcnt(1)
	v_pk_mul_f32 v[56:57], v[62:63], v[56:57] op_sel_hi:[1,0]
	v_mul_f32_e32 v89, v60, v95
	v_fmac_f32_e32 v87, v59, v103
	v_fma_f32 v86, v58, v103, -v43
	v_mul_f32_e32 v43, v61, v95
	s_waitcnt vmcnt(15)
	v_pk_fma_f32 v[58:59], v[62:63], v[68:69], v[56:57] op_sel:[0,0,1] op_sel_hi:[1,1,0] neg_lo:[0,0,1] neg_hi:[0,0,1]
	v_pk_fma_f32 v[56:57], v[62:63], v[68:69], v[56:57] op_sel:[0,0,1] op_sel_hi:[1,0,0]
	v_fmac_f32_e32 v89, v61, v104
	v_fma_f32 v88, v60, v104, -v43
	v_pk_add_f32 v[52:53], v[52:53], v[86:87]
	s_waitcnt vmcnt(12)
	v_mov_b32_e32 v56, v71
	v_pk_add_f32 v[52:53], v[52:53], v[88:89]
	v_mov_b32_e32 v59, v57
	s_waitcnt lgkmcnt(0)
	v_pk_mul_f32 v[56:57], v[64:65], v[56:57] op_sel_hi:[1,0]
	v_pk_add_f32 v[52:53], v[52:53], v[58:59]
	v_pk_fma_f32 v[58:59], v[64:65], v[70:71], v[56:57] op_sel:[0,0,1] op_sel_hi:[1,1,0] neg_lo:[0,0,1] neg_hi:[0,0,1]
	v_pk_fma_f32 v[56:57], v[64:65], v[70:71], v[56:57] op_sel:[0,0,1] op_sel_hi:[1,0,0]
	s_waitcnt vmcnt(11)
	v_mov_b32_e32 v56, v75
	ds_read2_b64 v[44:47], v42 offset0:35 offset1:36
	ds_read2_b64 v[48:51], v42 offset0:37 offset1:38
	ds_read_b64 v[54:55], v42 offset:312
	v_mov_b32_e32 v59, v57
	v_pk_mul_f32 v[56:57], v[66:67], v[56:57] op_sel_hi:[1,0]
	v_pk_add_f32 v[52:53], v[52:53], v[58:59]
	s_waitcnt vmcnt(4)
	v_pk_fma_f32 v[58:59], v[66:67], v[74:75], v[56:57] op_sel:[0,0,1] op_sel_hi:[1,1,0] neg_lo:[0,0,1] neg_hi:[0,0,1]
	v_pk_fma_f32 v[56:57], v[66:67], v[74:75], v[56:57] op_sel:[0,0,1] op_sel_hi:[1,0,0]
	v_mov_b32_e32 v56, v81
	v_mov_b32_e32 v59, v57
	s_waitcnt lgkmcnt(2)
	v_pk_mul_f32 v[56:57], v[44:45], v[56:57] op_sel_hi:[1,0]
	v_pk_add_f32 v[52:53], v[52:53], v[58:59]
	v_pk_fma_f32 v[58:59], v[44:45], v[80:81], v[56:57] op_sel:[0,0,1] op_sel_hi:[1,1,0] neg_lo:[0,0,1] neg_hi:[0,0,1]
	v_pk_fma_f32 v[44:45], v[44:45], v[80:81], v[56:57] op_sel:[0,0,1] op_sel_hi:[1,0,0]
	v_mov_b32_e32 v59, v45
	v_pk_add_f32 v[44:45], v[52:53], v[58:59]
	v_mov_b32_e32 v52, v79
	v_pk_mul_f32 v[52:53], v[46:47], v[52:53] op_sel_hi:[1,0]
	v_pk_fma_f32 v[56:57], v[46:47], v[78:79], v[52:53] op_sel:[0,0,1] op_sel_hi:[1,1,0] neg_lo:[0,0,1] neg_hi:[0,0,1]
	v_pk_fma_f32 v[46:47], v[46:47], v[78:79], v[52:53] op_sel:[0,0,1] op_sel_hi:[1,0,0]
	v_mov_b32_e32 v46, v77
	v_mov_b32_e32 v57, v47
	s_waitcnt lgkmcnt(1)
	v_pk_mul_f32 v[46:47], v[48:49], v[46:47] op_sel_hi:[1,0]
	v_pk_fma_f32 v[52:53], v[48:49], v[76:77], v[46:47] op_sel:[0,0,1] op_sel_hi:[1,1,0] neg_lo:[0,0,1] neg_hi:[0,0,1]
	v_pk_fma_f32 v[46:47], v[48:49], v[76:77], v[46:47] op_sel:[0,0,1] op_sel_hi:[1,0,0]
	s_waitcnt vmcnt(1)
	v_mov_b32_e32 v46, v85
	v_mov_b32_e32 v53, v47
	v_pk_mul_f32 v[46:47], v[50:51], v[46:47] op_sel_hi:[1,0]
	s_waitcnt vmcnt(0)
	v_pk_fma_f32 v[48:49], v[50:51], v[84:85], v[46:47] op_sel:[0,0,1] op_sel_hi:[1,1,0] neg_lo:[0,0,1] neg_hi:[0,0,1]
	v_pk_fma_f32 v[46:47], v[50:51], v[84:85], v[46:47] op_sel:[0,0,1] op_sel_hi:[1,0,0]
	v_pk_add_f32 v[44:45], v[44:45], v[56:57]
	v_mov_b32_e32 v46, v83
	v_pk_add_f32 v[44:45], v[44:45], v[52:53]
	v_mov_b32_e32 v49, v47
	s_waitcnt lgkmcnt(0)
	v_pk_mul_f32 v[46:47], v[54:55], v[46:47] op_sel_hi:[1,0]
	v_pk_add_f32 v[44:45], v[44:45], v[48:49]
	v_pk_fma_f32 v[48:49], v[54:55], v[82:83], v[46:47] op_sel:[0,0,1] op_sel_hi:[1,1,0] neg_lo:[0,0,1] neg_hi:[0,0,1]
	v_pk_fma_f32 v[46:47], v[54:55], v[82:83], v[46:47] op_sel:[0,0,1] op_sel_hi:[1,0,0]
	v_mov_b32_e32 v49, v47
	v_pk_add_f32 v[44:45], v[44:45], v[48:49]
	v_pk_add_f32 v[44:45], v[72:73], v[44:45] neg_lo:[0,1] neg_hi:[0,1]
	buffer_store_dword v45, off, s[0:3], 0 offset:20
	buffer_store_dword v44, off, s[0:3], 0 offset:16
	s_and_saveexec_b64 s[4:5], vcc
	s_cbranch_execz .LBB83_131
; %bb.130:
	buffer_load_dword v44, off, s[0:3], 0 offset:8
	buffer_load_dword v45, off, s[0:3], 0 offset:12
	s_waitcnt vmcnt(0)
	ds_write_b64 v1, v[44:45]
	buffer_store_dword v42, off, s[0:3], 0 offset:8
	buffer_store_dword v42, off, s[0:3], 0 offset:12
.LBB83_131:
	s_or_b64 exec, exec, s[4:5]
	s_waitcnt lgkmcnt(0)
	; wave barrier
	s_waitcnt lgkmcnt(0)
	buffer_load_dword v43, off, s[0:3], 0 offset:20
	buffer_load_dword v86, off, s[0:3], 0 offset:28
	;; [unrolled: 1-line block ×22, first 2 shown]
	ds_read_b128 v[44:47], v42 offset:176
	ds_read_b128 v[48:51], v42 offset:192
	buffer_load_dword v71, off, s[0:3], 0 offset:100
	buffer_load_dword v70, off, s[0:3], 0 offset:96
	;; [unrolled: 1-line block ×10, first 2 shown]
	ds_read_b128 v[52:55], v42 offset:208
	ds_read_b128 v[56:59], v42 offset:224
	;; [unrolled: 1-line block ×4, first 2 shown]
	buffer_load_dword v81, off, s[0:3], 0 offset:156
	buffer_load_dword v80, off, s[0:3], 0 offset:152
	;; [unrolled: 1-line block ×6, first 2 shown]
	v_cmp_ne_u32_e32 vcc, 0, v0
	s_waitcnt vmcnt(37) lgkmcnt(5)
	v_mul_f32_e32 v107, v44, v43
	s_waitcnt vmcnt(36)
	v_mul_f32_e32 v108, v46, v86
	s_waitcnt vmcnt(35) lgkmcnt(4)
	v_mul_f32_e32 v109, v48, v88
	v_mul_f32_e32 v43, v45, v43
	;; [unrolled: 1-line block ×4, first 2 shown]
	s_waitcnt vmcnt(34)
	v_mul_f32_e32 v110, v50, v90
	s_waitcnt vmcnt(33) lgkmcnt(3)
	v_mul_f32_e32 v111, v52, v91
	s_waitcnt vmcnt(32)
	v_mul_f32_e32 v112, v54, v92
	s_waitcnt vmcnt(31) lgkmcnt(2)
	v_mul_f32_e32 v113, v56, v93
	s_waitcnt vmcnt(27)
	v_fmac_f32_e32 v107, v45, v97
	s_waitcnt vmcnt(26)
	v_fmac_f32_e32 v108, v47, v98
	v_fma_f32 v43, v44, v97, -v43
	s_waitcnt vmcnt(25)
	v_fma_f32 v45, v48, v99, -v88
	v_add_f32_e32 v48, 0, v107
	v_fmac_f32_e32 v109, v49, v99
	v_fma_f32 v44, v46, v98, -v86
	v_add_f32_e32 v43, 0, v43
	v_add_f32_e32 v48, v48, v108
	s_waitcnt vmcnt(24)
	v_fmac_f32_e32 v110, v51, v100
	v_add_f32_e32 v43, v43, v44
	v_add_f32_e32 v44, v48, v109
	s_waitcnt vmcnt(23)
	v_fmac_f32_e32 v111, v53, v101
	v_add_f32_e32 v44, v44, v110
	v_mul_f32_e32 v90, v51, v90
	s_waitcnt vmcnt(22)
	v_fmac_f32_e32 v112, v55, v102
	v_add_f32_e32 v44, v44, v111
	v_mul_f32_e32 v114, v58, v94
	v_mul_f32_e32 v91, v53, v91
	s_waitcnt vmcnt(21)
	v_fmac_f32_e32 v113, v57, v103
	v_fma_f32 v46, v50, v100, -v90
	v_add_f32_e32 v43, v43, v45
	v_add_f32_e32 v44, v44, v112
	v_mul_f32_e32 v92, v55, v92
	s_waitcnt vmcnt(20)
	v_fmac_f32_e32 v114, v59, v104
	v_fma_f32 v47, v52, v101, -v91
	v_add_f32_e32 v43, v43, v46
	v_add_f32_e32 v44, v44, v113
	;; [unrolled: 1-line block ×4, first 2 shown]
	v_fma_f32 v44, v54, v102, -v92
	v_add_f32_e32 v43, v43, v44
	v_mul_f32_e32 v44, v57, v93
	v_fma_f32 v44, v56, v103, -v44
	v_add_f32_e32 v43, v43, v44
	v_mul_f32_e32 v44, v59, v94
	v_fma_f32 v44, v58, v104, -v44
	s_waitcnt vmcnt(15)
	v_mov_b32_e32 v56, v71
	s_waitcnt lgkmcnt(1)
	v_mul_f32_e32 v87, v60, v95
	v_add_f32_e32 v90, v43, v44
	v_mul_f32_e32 v43, v61, v95
	s_waitcnt lgkmcnt(0)
	v_pk_mul_f32 v[56:57], v[64:65], v[56:57] op_sel_hi:[1,0]
	v_mul_f32_e32 v89, v62, v96
	v_fmac_f32_e32 v87, v61, v105
	v_fma_f32 v86, v60, v105, -v43
	v_mul_f32_e32 v43, v63, v96
	s_waitcnt vmcnt(14)
	v_pk_fma_f32 v[58:59], v[64:65], v[70:71], v[56:57] op_sel:[0,0,1] op_sel_hi:[1,1,0] neg_lo:[0,0,1] neg_hi:[0,0,1]
	v_pk_fma_f32 v[56:57], v[64:65], v[70:71], v[56:57] op_sel:[0,0,1] op_sel_hi:[1,0,0]
	v_fmac_f32_e32 v89, v63, v106
	v_fma_f32 v88, v62, v106, -v43
	ds_read_b128 v[44:47], v42 offset:272
	ds_read_b128 v[48:51], v42 offset:288
	;; [unrolled: 1-line block ×3, first 2 shown]
	v_pk_add_f32 v[42:43], v[90:91], v[86:87]
	s_waitcnt vmcnt(13)
	v_mov_b32_e32 v56, v73
	v_pk_add_f32 v[42:43], v[42:43], v[88:89]
	v_mov_b32_e32 v59, v57
	v_pk_mul_f32 v[56:57], v[66:67], v[56:57] op_sel_hi:[1,0]
	v_pk_add_f32 v[42:43], v[42:43], v[58:59]
	s_waitcnt vmcnt(6)
	v_pk_fma_f32 v[58:59], v[66:67], v[72:73], v[56:57] op_sel:[0,0,1] op_sel_hi:[1,1,0] neg_lo:[0,0,1] neg_hi:[0,0,1]
	v_pk_fma_f32 v[56:57], v[66:67], v[72:73], v[56:57] op_sel:[0,0,1] op_sel_hi:[1,0,0]
	v_mov_b32_e32 v56, v79
	v_mov_b32_e32 v59, v57
	s_waitcnt lgkmcnt(2)
	v_pk_mul_f32 v[56:57], v[44:45], v[56:57] op_sel_hi:[1,0]
	v_pk_add_f32 v[42:43], v[42:43], v[58:59]
	v_pk_fma_f32 v[58:59], v[44:45], v[78:79], v[56:57] op_sel:[0,0,1] op_sel_hi:[1,1,0] neg_lo:[0,0,1] neg_hi:[0,0,1]
	v_pk_fma_f32 v[44:45], v[44:45], v[78:79], v[56:57] op_sel:[0,0,1] op_sel_hi:[1,0,0]
	v_mov_b32_e32 v44, v77
	v_mov_b32_e32 v59, v45
	v_pk_mul_f32 v[44:45], v[46:47], v[44:45] op_sel_hi:[1,0]
	v_pk_fma_f32 v[56:57], v[46:47], v[76:77], v[44:45] op_sel:[0,0,1] op_sel_hi:[1,1,0] neg_lo:[0,0,1] neg_hi:[0,0,1]
	v_pk_fma_f32 v[44:45], v[46:47], v[76:77], v[44:45] op_sel:[0,0,1] op_sel_hi:[1,0,0]
	v_mov_b32_e32 v44, v75
	v_mov_b32_e32 v57, v45
	s_waitcnt lgkmcnt(1)
	v_pk_mul_f32 v[44:45], v[48:49], v[44:45] op_sel_hi:[1,0]
	v_pk_fma_f32 v[46:47], v[48:49], v[74:75], v[44:45] op_sel:[0,0,1] op_sel_hi:[1,1,0] neg_lo:[0,0,1] neg_hi:[0,0,1]
	v_pk_fma_f32 v[44:45], v[48:49], v[74:75], v[44:45] op_sel:[0,0,1] op_sel_hi:[1,0,0]
	v_pk_add_f32 v[42:43], v[42:43], v[58:59]
	s_waitcnt vmcnt(1)
	v_mov_b32_e32 v44, v85
	v_pk_add_f32 v[42:43], v[42:43], v[56:57]
	v_mov_b32_e32 v47, v45
	v_pk_mul_f32 v[44:45], v[50:51], v[44:45] op_sel_hi:[1,0]
	v_pk_add_f32 v[42:43], v[42:43], v[46:47]
	s_waitcnt vmcnt(0)
	v_pk_fma_f32 v[46:47], v[50:51], v[84:85], v[44:45] op_sel:[0,0,1] op_sel_hi:[1,1,0] neg_lo:[0,0,1] neg_hi:[0,0,1]
	v_pk_fma_f32 v[44:45], v[50:51], v[84:85], v[44:45] op_sel:[0,0,1] op_sel_hi:[1,0,0]
	v_mov_b32_e32 v44, v83
	v_mov_b32_e32 v47, v45
	s_waitcnt lgkmcnt(0)
	v_pk_mul_f32 v[44:45], v[52:53], v[44:45] op_sel_hi:[1,0]
	v_pk_add_f32 v[42:43], v[42:43], v[46:47]
	v_pk_fma_f32 v[46:47], v[52:53], v[82:83], v[44:45] op_sel:[0,0,1] op_sel_hi:[1,1,0] neg_lo:[0,0,1] neg_hi:[0,0,1]
	v_pk_fma_f32 v[44:45], v[52:53], v[82:83], v[44:45] op_sel:[0,0,1] op_sel_hi:[1,0,0]
	v_mov_b32_e32 v44, v81
	v_mov_b32_e32 v47, v45
	v_pk_mul_f32 v[44:45], v[54:55], v[44:45] op_sel_hi:[1,0]
	v_pk_add_f32 v[42:43], v[42:43], v[46:47]
	v_pk_fma_f32 v[46:47], v[54:55], v[80:81], v[44:45] op_sel:[0,0,1] op_sel_hi:[1,1,0] neg_lo:[0,0,1] neg_hi:[0,0,1]
	v_pk_fma_f32 v[44:45], v[54:55], v[80:81], v[44:45] op_sel:[0,0,1] op_sel_hi:[1,0,0]
	v_mov_b32_e32 v47, v45
	v_pk_add_f32 v[42:43], v[42:43], v[46:47]
	v_pk_add_f32 v[42:43], v[68:69], v[42:43] neg_lo:[0,1] neg_hi:[0,1]
	buffer_store_dword v43, off, s[0:3], 0 offset:12
	buffer_store_dword v42, off, s[0:3], 0 offset:8
	s_and_saveexec_b64 s[4:5], vcc
	s_cbranch_execz .LBB83_133
; %bb.132:
	buffer_load_dword v42, off, s[0:3], 0
	buffer_load_dword v43, off, s[0:3], 0 offset:4
	v_mov_b32_e32 v0, 0
	buffer_store_dword v0, off, s[0:3], 0
	buffer_store_dword v0, off, s[0:3], 0 offset:4
	s_waitcnt vmcnt(2)
	ds_write_b64 v1, v[42:43]
.LBB83_133:
	s_or_b64 exec, exec, s[4:5]
	s_waitcnt lgkmcnt(0)
	; wave barrier
	s_waitcnt lgkmcnt(0)
	buffer_load_dword v82, off, s[0:3], 0 offset:12
	buffer_load_dword v84, off, s[0:3], 0 offset:20
	buffer_load_dword v86, off, s[0:3], 0 offset:28
	buffer_load_dword v87, off, s[0:3], 0 offset:36
	buffer_load_dword v88, off, s[0:3], 0 offset:44
	buffer_load_dword v89, off, s[0:3], 0 offset:52
	buffer_load_dword v90, off, s[0:3], 0 offset:60
	buffer_load_dword v91, off, s[0:3], 0 offset:68
	buffer_load_dword v92, off, s[0:3], 0 offset:76
	buffer_load_dword v93, off, s[0:3], 0 offset:84
	buffer_load_dword v94, off, s[0:3], 0 offset:92
	buffer_load_dword v95, off, s[0:3], 0 offset:8
	buffer_load_dword v96, off, s[0:3], 0 offset:16
	buffer_load_dword v97, off, s[0:3], 0 offset:24
	buffer_load_dword v98, off, s[0:3], 0 offset:32
	buffer_load_dword v99, off, s[0:3], 0 offset:40
	buffer_load_dword v100, off, s[0:3], 0 offset:48
	buffer_load_dword v101, off, s[0:3], 0 offset:56
	buffer_load_dword v102, off, s[0:3], 0 offset:64
	buffer_load_dword v103, off, s[0:3], 0 offset:72
	buffer_load_dword v104, off, s[0:3], 0 offset:80
	buffer_load_dword v105, off, s[0:3], 0 offset:88
	buffer_load_dword v0, off, s[0:3], 0
	buffer_load_dword v1, off, s[0:3], 0 offset:4
	buffer_load_dword v67, off, s[0:3], 0 offset:124
	;; [unrolled: 1-line block ×17, first 2 shown]
	v_mov_b32_e32 v106, 0
	ds_read2_b64 v[42:45], v106 offset0:21 offset1:22
	ds_read2_b64 v[46:49], v106 offset0:23 offset1:24
	ds_read2_b64 v[50:53], v106 offset0:25 offset1:26
	ds_read2_b64 v[54:57], v106 offset0:27 offset1:28
	ds_read2_b64 v[58:61], v106 offset0:29 offset1:30
	ds_read2_b64 v[62:65], v106 offset0:31 offset1:32
	s_and_b64 vcc, exec, s[16:17]
	s_waitcnt vmcnt(39) lgkmcnt(5)
	v_mul_f32_e32 v107, v42, v82
	s_waitcnt vmcnt(38)
	v_mul_f32_e32 v108, v44, v84
	s_waitcnt vmcnt(37) lgkmcnt(4)
	v_mul_f32_e32 v109, v46, v86
	v_mul_f32_e32 v82, v43, v82
	;; [unrolled: 1-line block ×4, first 2 shown]
	s_waitcnt vmcnt(36)
	v_mul_f32_e32 v110, v48, v87
	s_waitcnt vmcnt(35) lgkmcnt(3)
	v_mul_f32_e32 v111, v50, v88
	s_waitcnt vmcnt(34)
	v_mul_f32_e32 v112, v52, v89
	s_waitcnt vmcnt(33) lgkmcnt(2)
	v_mul_f32_e32 v113, v54, v90
	s_waitcnt vmcnt(32)
	v_mul_f32_e32 v114, v56, v91
	s_waitcnt vmcnt(28)
	v_fmac_f32_e32 v107, v43, v95
	s_waitcnt vmcnt(27)
	v_fmac_f32_e32 v108, v45, v96
	v_fma_f32 v42, v42, v95, -v82
	v_fma_f32 v43, v44, v96, -v84
	s_waitcnt vmcnt(26)
	v_fma_f32 v44, v46, v97, -v86
	v_add_f32_e32 v46, 0, v107
	v_fmac_f32_e32 v109, v47, v97
	v_add_f32_e32 v42, 0, v42
	v_add_f32_e32 v46, v46, v108
	s_waitcnt vmcnt(25)
	v_fmac_f32_e32 v110, v49, v98
	v_add_f32_e32 v42, v42, v43
	v_add_f32_e32 v43, v46, v109
	s_waitcnt vmcnt(24)
	v_fmac_f32_e32 v111, v51, v99
	v_add_f32_e32 v43, v43, v110
	s_waitcnt vmcnt(23)
	v_fmac_f32_e32 v112, v53, v100
	;; [unrolled: 3-line block ×3, first 2 shown]
	v_add_f32_e32 v43, v43, v112
	s_waitcnt lgkmcnt(1)
	v_mul_f32_e32 v115, v58, v92
	s_waitcnt vmcnt(21)
	v_fmac_f32_e32 v114, v57, v102
	v_add_f32_e32 v43, v43, v113
	v_mul_f32_e32 v87, v49, v87
	s_waitcnt vmcnt(20)
	v_fmac_f32_e32 v115, v59, v103
	v_add_f32_e32 v43, v43, v114
	v_fma_f32 v45, v48, v98, -v87
	v_add_f32_e32 v42, v42, v44
	v_add_f32_e32 v87, v43, v115
	v_mul_f32_e32 v43, v51, v88
	v_add_f32_e32 v42, v42, v45
	v_fma_f32 v43, v50, v99, -v43
	v_add_f32_e32 v42, v42, v43
	v_mul_f32_e32 v43, v53, v89
	v_fma_f32 v43, v52, v100, -v43
	v_add_f32_e32 v42, v42, v43
	v_mul_f32_e32 v43, v55, v90
	;; [unrolled: 3-line block ×5, first 2 shown]
	s_waitcnt vmcnt(9)
	v_mov_b32_e32 v58, v73
	v_mul_f32_e32 v83, v60, v93
	v_fma_f32 v82, v60, v104, -v42
	s_waitcnt lgkmcnt(0)
	v_mul_f32_e32 v42, v63, v94
	v_pk_mul_f32 v[58:59], v[64:65], v[58:59] op_sel_hi:[1,0]
	v_mul_f32_e32 v85, v62, v94
	v_fmac_f32_e32 v83, v61, v104
	v_fma_f32 v84, v62, v105, -v42
	ds_read2_b64 v[42:45], v106 offset0:33 offset1:34
	ds_read2_b64 v[46:49], v106 offset0:35 offset1:36
	;; [unrolled: 1-line block ×3, first 2 shown]
	ds_read_b64 v[54:55], v106 offset:312
	s_waitcnt vmcnt(8)
	v_pk_fma_f32 v[60:61], v[64:65], v[72:73], v[58:59] op_sel:[0,0,1] op_sel_hi:[1,1,0] neg_lo:[0,0,1] neg_hi:[0,0,1]
	v_pk_fma_f32 v[58:59], v[64:65], v[72:73], v[58:59] op_sel:[0,0,1] op_sel_hi:[1,0,0]
	v_fmac_f32_e32 v85, v63, v105
	v_pk_add_f32 v[56:57], v[86:87], v[82:83]
	v_mov_b32_e32 v58, v71
	v_pk_add_f32 v[56:57], v[56:57], v[84:85]
	v_mov_b32_e32 v61, v59
	s_waitcnt lgkmcnt(3)
	v_pk_mul_f32 v[58:59], v[42:43], v[58:59] op_sel_hi:[1,0]
	v_pk_add_f32 v[56:57], v[56:57], v[60:61]
	v_pk_fma_f32 v[60:61], v[42:43], v[70:71], v[58:59] op_sel:[0,0,1] op_sel_hi:[1,1,0] neg_lo:[0,0,1] neg_hi:[0,0,1]
	v_pk_fma_f32 v[42:43], v[42:43], v[70:71], v[58:59] op_sel:[0,0,1] op_sel_hi:[1,0,0]
	v_mov_b32_e32 v61, v43
	v_pk_add_f32 v[42:43], v[56:57], v[60:61]
	v_mov_b32_e32 v56, v69
	v_pk_mul_f32 v[56:57], v[44:45], v[56:57] op_sel_hi:[1,0]
	v_pk_fma_f32 v[58:59], v[44:45], v[68:69], v[56:57] op_sel:[0,0,1] op_sel_hi:[1,1,0] neg_lo:[0,0,1] neg_hi:[0,0,1]
	v_pk_fma_f32 v[44:45], v[44:45], v[68:69], v[56:57] op_sel:[0,0,1] op_sel_hi:[1,0,0]
	v_mov_b32_e32 v44, v67
	v_mov_b32_e32 v59, v45
	s_waitcnt lgkmcnt(2)
	v_pk_mul_f32 v[44:45], v[46:47], v[44:45] op_sel_hi:[1,0]
	v_pk_fma_f32 v[56:57], v[46:47], v[66:67], v[44:45] op_sel:[0,0,1] op_sel_hi:[1,1,0] neg_lo:[0,0,1] neg_hi:[0,0,1]
	v_pk_fma_f32 v[44:45], v[46:47], v[66:67], v[44:45] op_sel:[0,0,1] op_sel_hi:[1,0,0]
	s_waitcnt vmcnt(1)
	v_mov_b32_e32 v44, v81
	v_mov_b32_e32 v57, v45
	v_pk_mul_f32 v[44:45], v[48:49], v[44:45] op_sel_hi:[1,0]
	s_waitcnt vmcnt(0)
	v_pk_fma_f32 v[46:47], v[48:49], v[80:81], v[44:45] op_sel:[0,0,1] op_sel_hi:[1,1,0] neg_lo:[0,0,1] neg_hi:[0,0,1]
	v_pk_fma_f32 v[44:45], v[48:49], v[80:81], v[44:45] op_sel:[0,0,1] op_sel_hi:[1,0,0]
	v_pk_add_f32 v[42:43], v[42:43], v[58:59]
	v_mov_b32_e32 v44, v79
	v_pk_add_f32 v[42:43], v[42:43], v[56:57]
	v_mov_b32_e32 v47, v45
	s_waitcnt lgkmcnt(1)
	v_pk_mul_f32 v[44:45], v[50:51], v[44:45] op_sel_hi:[1,0]
	v_pk_add_f32 v[42:43], v[42:43], v[46:47]
	v_pk_fma_f32 v[46:47], v[50:51], v[78:79], v[44:45] op_sel:[0,0,1] op_sel_hi:[1,1,0] neg_lo:[0,0,1] neg_hi:[0,0,1]
	v_pk_fma_f32 v[44:45], v[50:51], v[78:79], v[44:45] op_sel:[0,0,1] op_sel_hi:[1,0,0]
	v_mov_b32_e32 v44, v77
	v_mov_b32_e32 v47, v45
	v_pk_mul_f32 v[44:45], v[52:53], v[44:45] op_sel_hi:[1,0]
	v_pk_add_f32 v[42:43], v[42:43], v[46:47]
	v_pk_fma_f32 v[46:47], v[52:53], v[76:77], v[44:45] op_sel:[0,0,1] op_sel_hi:[1,1,0] neg_lo:[0,0,1] neg_hi:[0,0,1]
	v_pk_fma_f32 v[44:45], v[52:53], v[76:77], v[44:45] op_sel:[0,0,1] op_sel_hi:[1,0,0]
	v_mov_b32_e32 v44, v75
	v_mov_b32_e32 v47, v45
	s_waitcnt lgkmcnt(0)
	v_pk_mul_f32 v[44:45], v[54:55], v[44:45] op_sel_hi:[1,0]
	v_pk_add_f32 v[42:43], v[42:43], v[46:47]
	v_pk_fma_f32 v[46:47], v[54:55], v[74:75], v[44:45] op_sel:[0,0,1] op_sel_hi:[1,1,0] neg_lo:[0,0,1] neg_hi:[0,0,1]
	v_pk_fma_f32 v[44:45], v[54:55], v[74:75], v[44:45] op_sel:[0,0,1] op_sel_hi:[1,0,0]
	v_mov_b32_e32 v47, v45
	v_pk_add_f32 v[42:43], v[42:43], v[46:47]
	v_pk_add_f32 v[0:1], v[0:1], v[42:43] neg_lo:[0,1] neg_hi:[0,1]
	buffer_store_dword v1, off, s[0:3], 0 offset:4
	buffer_store_dword v0, off, s[0:3], 0
	s_cbranch_vccz .LBB83_173
; %bb.134:
	v_pk_mov_b32 v[0:1], s[10:11], s[10:11] op_sel:[0,1]
	flat_load_dword v0, v[0:1] offset:72
	s_waitcnt vmcnt(0) lgkmcnt(0)
	v_add_u32_e32 v0, -1, v0
	v_cmp_ne_u32_e32 vcc, 18, v0
	s_and_saveexec_b64 s[4:5], vcc
	s_cbranch_execz .LBB83_136
; %bb.135:
	v_mov_b32_e32 v1, 0
	v_lshl_add_u32 v0, v0, 3, v1
	buffer_load_dword v1, v0, s[0:3], 0 offen
	buffer_load_dword v42, v0, s[0:3], 0 offen offset:4
	buffer_load_dword v43, off, s[0:3], 0 offset:148
	buffer_load_dword v44, off, s[0:3], 0 offset:144
	s_waitcnt vmcnt(3)
	buffer_store_dword v1, off, s[0:3], 0 offset:144
	s_waitcnt vmcnt(3)
	buffer_store_dword v42, off, s[0:3], 0 offset:148
	s_waitcnt vmcnt(3)
	buffer_store_dword v43, v0, s[0:3], 0 offen offset:4
	s_waitcnt vmcnt(3)
	buffer_store_dword v44, v0, s[0:3], 0 offen
.LBB83_136:
	s_or_b64 exec, exec, s[4:5]
	v_pk_mov_b32 v[0:1], s[10:11], s[10:11] op_sel:[0,1]
	flat_load_dword v0, v[0:1] offset:68
	s_waitcnt vmcnt(0) lgkmcnt(0)
	v_add_u32_e32 v0, -1, v0
	v_cmp_ne_u32_e32 vcc, 17, v0
	s_and_saveexec_b64 s[4:5], vcc
	s_cbranch_execz .LBB83_138
; %bb.137:
	v_mov_b32_e32 v1, 0
	v_lshl_add_u32 v0, v0, 3, v1
	buffer_load_dword v1, v0, s[0:3], 0 offen
	buffer_load_dword v42, v0, s[0:3], 0 offen offset:4
	buffer_load_dword v43, off, s[0:3], 0 offset:136
	buffer_load_dword v44, off, s[0:3], 0 offset:140
	s_waitcnt vmcnt(3)
	buffer_store_dword v1, off, s[0:3], 0 offset:136
	s_waitcnt vmcnt(3)
	buffer_store_dword v42, off, s[0:3], 0 offset:140
	s_waitcnt vmcnt(3)
	buffer_store_dword v43, v0, s[0:3], 0 offen
	s_waitcnt vmcnt(3)
	buffer_store_dword v44, v0, s[0:3], 0 offen offset:4
.LBB83_138:
	s_or_b64 exec, exec, s[4:5]
	v_pk_mov_b32 v[0:1], s[10:11], s[10:11] op_sel:[0,1]
	flat_load_dword v0, v[0:1] offset:64
	s_waitcnt vmcnt(0) lgkmcnt(0)
	v_add_u32_e32 v0, -1, v0
	v_cmp_ne_u32_e32 vcc, 16, v0
	s_and_saveexec_b64 s[4:5], vcc
	s_cbranch_execz .LBB83_140
; %bb.139:
	v_mov_b32_e32 v1, 0
	v_lshl_add_u32 v0, v0, 3, v1
	buffer_load_dword v1, v0, s[0:3], 0 offen
	buffer_load_dword v42, v0, s[0:3], 0 offen offset:4
	buffer_load_dword v43, off, s[0:3], 0 offset:132
	buffer_load_dword v44, off, s[0:3], 0 offset:128
	s_waitcnt vmcnt(3)
	buffer_store_dword v1, off, s[0:3], 0 offset:128
	s_waitcnt vmcnt(3)
	buffer_store_dword v42, off, s[0:3], 0 offset:132
	s_waitcnt vmcnt(3)
	buffer_store_dword v43, v0, s[0:3], 0 offen offset:4
	s_waitcnt vmcnt(3)
	buffer_store_dword v44, v0, s[0:3], 0 offen
.LBB83_140:
	s_or_b64 exec, exec, s[4:5]
	v_pk_mov_b32 v[0:1], s[10:11], s[10:11] op_sel:[0,1]
	flat_load_dword v0, v[0:1] offset:60
	s_waitcnt vmcnt(0) lgkmcnt(0)
	v_add_u32_e32 v0, -1, v0
	v_cmp_ne_u32_e32 vcc, 15, v0
	s_and_saveexec_b64 s[4:5], vcc
	s_cbranch_execz .LBB83_142
; %bb.141:
	v_mov_b32_e32 v1, 0
	v_lshl_add_u32 v0, v0, 3, v1
	buffer_load_dword v1, v0, s[0:3], 0 offen
	buffer_load_dword v42, v0, s[0:3], 0 offen offset:4
	buffer_load_dword v43, off, s[0:3], 0 offset:120
	buffer_load_dword v44, off, s[0:3], 0 offset:124
	s_waitcnt vmcnt(3)
	buffer_store_dword v1, off, s[0:3], 0 offset:120
	s_waitcnt vmcnt(3)
	buffer_store_dword v42, off, s[0:3], 0 offset:124
	s_waitcnt vmcnt(3)
	buffer_store_dword v43, v0, s[0:3], 0 offen
	s_waitcnt vmcnt(3)
	buffer_store_dword v44, v0, s[0:3], 0 offen offset:4
.LBB83_142:
	s_or_b64 exec, exec, s[4:5]
	;; [unrolled: 48-line block ×9, first 2 shown]
	v_pk_mov_b32 v[0:1], s[10:11], s[10:11] op_sel:[0,1]
	flat_load_dword v42, v[0:1]
	s_nop 0
	buffer_load_dword v0, off, s[0:3], 0
	buffer_load_dword v1, off, s[0:3], 0 offset:4
	s_waitcnt vmcnt(0) lgkmcnt(0)
	v_add_u32_e32 v42, -1, v42
	v_cmp_ne_u32_e32 vcc, 0, v42
	s_and_saveexec_b64 s[4:5], vcc
	s_cbranch_execz .LBB83_172
; %bb.171:
	v_mov_b32_e32 v43, 0
	v_lshl_add_u32 v42, v42, 3, v43
	buffer_load_dword v43, v42, s[0:3], 0 offen offset:4
	buffer_load_dword v44, v42, s[0:3], 0 offen
	s_waitcnt vmcnt(1)
	buffer_store_dword v43, off, s[0:3], 0 offset:4
	s_waitcnt vmcnt(1)
	buffer_store_dword v44, off, s[0:3], 0
	buffer_store_dword v1, v42, s[0:3], 0 offen offset:4
	buffer_store_dword v0, v42, s[0:3], 0 offen
	buffer_load_dword v0, off, s[0:3], 0
	s_nop 0
	buffer_load_dword v1, off, s[0:3], 0 offset:4
.LBB83_172:
	s_or_b64 exec, exec, s[4:5]
.LBB83_173:
	buffer_load_dword v42, off, s[0:3], 0 offset:8
	buffer_load_dword v43, off, s[0:3], 0 offset:12
	;; [unrolled: 1-line block ×38, first 2 shown]
	s_waitcnt vmcnt(38)
	global_store_dwordx2 v[2:3], v[0:1], off
	s_waitcnt vmcnt(37)
	global_store_dwordx2 v[4:5], v[42:43], off
	;; [unrolled: 2-line block ×20, first 2 shown]
	s_endpgm
	.section	.rodata,"a",@progbits
	.p2align	6, 0x0
	.amdhsa_kernel _ZN9rocsolver6v33100L18getri_kernel_smallILi20E19rocblas_complex_numIfEPKPS3_EEvT1_iilPiilS8_bb
		.amdhsa_group_segment_fixed_size 324
		.amdhsa_private_segment_fixed_size 176
		.amdhsa_kernarg_size 60
		.amdhsa_user_sgpr_count 8
		.amdhsa_user_sgpr_private_segment_buffer 1
		.amdhsa_user_sgpr_dispatch_ptr 0
		.amdhsa_user_sgpr_queue_ptr 0
		.amdhsa_user_sgpr_kernarg_segment_ptr 1
		.amdhsa_user_sgpr_dispatch_id 0
		.amdhsa_user_sgpr_flat_scratch_init 1
		.amdhsa_user_sgpr_kernarg_preload_length 0
		.amdhsa_user_sgpr_kernarg_preload_offset 0
		.amdhsa_user_sgpr_private_segment_size 0
		.amdhsa_uses_dynamic_stack 0
		.amdhsa_system_sgpr_private_segment_wavefront_offset 1
		.amdhsa_system_sgpr_workgroup_id_x 1
		.amdhsa_system_sgpr_workgroup_id_y 0
		.amdhsa_system_sgpr_workgroup_id_z 0
		.amdhsa_system_sgpr_workgroup_info 0
		.amdhsa_system_vgpr_workitem_id 0
		.amdhsa_next_free_vgpr 117
		.amdhsa_next_free_sgpr 22
		.amdhsa_accum_offset 120
		.amdhsa_reserve_vcc 1
		.amdhsa_reserve_flat_scratch 1
		.amdhsa_float_round_mode_32 0
		.amdhsa_float_round_mode_16_64 0
		.amdhsa_float_denorm_mode_32 3
		.amdhsa_float_denorm_mode_16_64 3
		.amdhsa_dx10_clamp 1
		.amdhsa_ieee_mode 1
		.amdhsa_fp16_overflow 0
		.amdhsa_tg_split 0
		.amdhsa_exception_fp_ieee_invalid_op 0
		.amdhsa_exception_fp_denorm_src 0
		.amdhsa_exception_fp_ieee_div_zero 0
		.amdhsa_exception_fp_ieee_overflow 0
		.amdhsa_exception_fp_ieee_underflow 0
		.amdhsa_exception_fp_ieee_inexact 0
		.amdhsa_exception_int_div_zero 0
	.end_amdhsa_kernel
	.section	.text._ZN9rocsolver6v33100L18getri_kernel_smallILi20E19rocblas_complex_numIfEPKPS3_EEvT1_iilPiilS8_bb,"axG",@progbits,_ZN9rocsolver6v33100L18getri_kernel_smallILi20E19rocblas_complex_numIfEPKPS3_EEvT1_iilPiilS8_bb,comdat
.Lfunc_end83:
	.size	_ZN9rocsolver6v33100L18getri_kernel_smallILi20E19rocblas_complex_numIfEPKPS3_EEvT1_iilPiilS8_bb, .Lfunc_end83-_ZN9rocsolver6v33100L18getri_kernel_smallILi20E19rocblas_complex_numIfEPKPS3_EEvT1_iilPiilS8_bb
                                        ; -- End function
	.section	.AMDGPU.csdata,"",@progbits
; Kernel info:
; codeLenInByte = 23584
; NumSgprs: 28
; NumVgprs: 117
; NumAgprs: 0
; TotalNumVgprs: 117
; ScratchSize: 176
; MemoryBound: 0
; FloatMode: 240
; IeeeMode: 1
; LDSByteSize: 324 bytes/workgroup (compile time only)
; SGPRBlocks: 3
; VGPRBlocks: 14
; NumSGPRsForWavesPerEU: 28
; NumVGPRsForWavesPerEU: 117
; AccumOffset: 120
; Occupancy: 4
; WaveLimiterHint : 1
; COMPUTE_PGM_RSRC2:SCRATCH_EN: 1
; COMPUTE_PGM_RSRC2:USER_SGPR: 8
; COMPUTE_PGM_RSRC2:TRAP_HANDLER: 0
; COMPUTE_PGM_RSRC2:TGID_X_EN: 1
; COMPUTE_PGM_RSRC2:TGID_Y_EN: 0
; COMPUTE_PGM_RSRC2:TGID_Z_EN: 0
; COMPUTE_PGM_RSRC2:TIDIG_COMP_CNT: 0
; COMPUTE_PGM_RSRC3_GFX90A:ACCUM_OFFSET: 29
; COMPUTE_PGM_RSRC3_GFX90A:TG_SPLIT: 0
	.section	.text._ZN9rocsolver6v33100L18getri_kernel_smallILi21E19rocblas_complex_numIfEPKPS3_EEvT1_iilPiilS8_bb,"axG",@progbits,_ZN9rocsolver6v33100L18getri_kernel_smallILi21E19rocblas_complex_numIfEPKPS3_EEvT1_iilPiilS8_bb,comdat
	.globl	_ZN9rocsolver6v33100L18getri_kernel_smallILi21E19rocblas_complex_numIfEPKPS3_EEvT1_iilPiilS8_bb ; -- Begin function _ZN9rocsolver6v33100L18getri_kernel_smallILi21E19rocblas_complex_numIfEPKPS3_EEvT1_iilPiilS8_bb
	.p2align	8
	.type	_ZN9rocsolver6v33100L18getri_kernel_smallILi21E19rocblas_complex_numIfEPKPS3_EEvT1_iilPiilS8_bb,@function
_ZN9rocsolver6v33100L18getri_kernel_smallILi21E19rocblas_complex_numIfEPKPS3_EEvT1_iilPiilS8_bb: ; @_ZN9rocsolver6v33100L18getri_kernel_smallILi21E19rocblas_complex_numIfEPKPS3_EEvT1_iilPiilS8_bb
; %bb.0:
	s_add_u32 flat_scratch_lo, s6, s9
	s_addc_u32 flat_scratch_hi, s7, 0
	s_add_u32 s0, s0, s9
	s_addc_u32 s1, s1, 0
	v_cmp_gt_u32_e32 vcc, 21, v0
	s_and_saveexec_b64 s[6:7], vcc
	s_cbranch_execz .LBB84_98
; %bb.1:
	s_load_dword s18, s[4:5], 0x38
	s_load_dwordx2 s[6:7], s[4:5], 0x0
	s_load_dwordx4 s[12:15], s[4:5], 0x28
	s_waitcnt lgkmcnt(0)
	s_bitcmp1_b32 s18, 8
	s_cselect_b64 s[16:17], -1, 0
	s_ashr_i32 s9, s8, 31
	s_lshl_b64 s[10:11], s[8:9], 3
	s_add_u32 s6, s6, s10
	s_addc_u32 s7, s7, s11
	s_load_dwordx2 s[6:7], s[6:7], 0x0
	s_bfe_u32 s10, s18, 0x10008
	s_cmp_eq_u32 s10, 0
                                        ; implicit-def: $sgpr10_sgpr11
	s_cbranch_scc1 .LBB84_3
; %bb.2:
	s_load_dword s10, s[4:5], 0x20
	s_load_dwordx2 s[20:21], s[4:5], 0x18
	s_mul_i32 s11, s8, s13
	s_mul_hi_u32 s13, s8, s12
	s_add_i32 s13, s13, s11
	s_mul_i32 s19, s9, s12
	s_add_i32 s13, s13, s19
	s_mul_i32 s12, s8, s12
	s_waitcnt lgkmcnt(0)
	s_ashr_i32 s11, s10, 31
	s_lshl_b64 s[12:13], s[12:13], 2
	s_add_u32 s12, s20, s12
	s_addc_u32 s13, s21, s13
	s_lshl_b64 s[10:11], s[10:11], 2
	s_add_u32 s10, s12, s10
	s_addc_u32 s11, s13, s11
.LBB84_3:
	s_load_dwordx2 s[4:5], s[4:5], 0x8
	v_lshlrev_b32_e32 v54, 3, v0
	s_waitcnt lgkmcnt(0)
	s_ashr_i32 s13, s4, 31
	s_mov_b32 s12, s4
	s_lshl_b64 s[12:13], s[12:13], 3
	s_add_u32 s6, s6, s12
	s_addc_u32 s7, s7, s13
	v_mov_b32_e32 v1, s7
	v_add_co_u32_e32 v2, vcc, s6, v54
	s_ashr_i32 s13, s5, 31
	s_mov_b32 s12, s5
	s_add_i32 s4, s5, s5
	v_addc_co_u32_e32 v3, vcc, 0, v1, vcc
	s_lshl_b64 s[12:13], s[12:13], 3
	v_add_u32_e32 v8, s4, v0
	v_mov_b32_e32 v1, s13
	v_add_co_u32_e32 v4, vcc, s12, v2
	v_ashrrev_i32_e32 v9, 31, v8
	v_addc_co_u32_e32 v5, vcc, v3, v1, vcc
	v_lshlrev_b64 v[6:7], 3, v[8:9]
	v_add_u32_e32 v10, s5, v8
	v_mov_b32_e32 v1, s7
	v_add_co_u32_e32 v6, vcc, s6, v6
	v_ashrrev_i32_e32 v11, 31, v10
	v_addc_co_u32_e32 v7, vcc, v1, v7, vcc
	v_lshlrev_b64 v[8:9], 3, v[10:11]
	v_add_u32_e32 v12, s5, v10
	v_add_co_u32_e32 v8, vcc, s6, v8
	v_ashrrev_i32_e32 v13, 31, v12
	v_addc_co_u32_e32 v9, vcc, v1, v9, vcc
	v_lshlrev_b64 v[10:11], 3, v[12:13]
	v_add_u32_e32 v14, s5, v12
	;; [unrolled: 5-line block ×16, first 2 shown]
	v_add_co_u32_e32 v38, vcc, s6, v38
	v_ashrrev_i32_e32 v43, 31, v42
	v_addc_co_u32_e32 v39, vcc, v1, v39, vcc
	v_lshlrev_b64 v[40:41], 3, v[42:43]
	v_add_co_u32_e32 v40, vcc, s6, v40
	global_load_dwordx2 v[44:45], v54, s[6:7]
	global_load_dwordx2 v[52:53], v[4:5], off
	global_load_dwordx2 v[48:49], v[6:7], off
	global_load_dwordx2 v[46:47], v[8:9], off
	global_load_dwordx2 v[50:51], v[10:11], off
	global_load_dwordx2 v[56:57], v[12:13], off
	global_load_dwordx2 v[58:59], v[14:15], off
	global_load_dwordx2 v[60:61], v[16:17], off
	global_load_dwordx2 v[62:63], v[18:19], off
	global_load_dwordx2 v[64:65], v[20:21], off
	global_load_dwordx2 v[66:67], v[22:23], off
	global_load_dwordx2 v[68:69], v[24:25], off
	global_load_dwordx2 v[70:71], v[26:27], off
	global_load_dwordx2 v[72:73], v[28:29], off
	global_load_dwordx2 v[74:75], v[30:31], off
	global_load_dwordx2 v[76:77], v[32:33], off
	global_load_dwordx2 v[78:79], v[34:35], off
	v_addc_co_u32_e32 v41, vcc, v1, v41, vcc
	global_load_dwordx2 v[80:81], v[36:37], off
	global_load_dwordx2 v[82:83], v[38:39], off
	;; [unrolled: 1-line block ×3, first 2 shown]
	v_add_u32_e32 v42, s5, v42
	v_ashrrev_i32_e32 v43, 31, v42
	v_lshlrev_b64 v[42:43], 3, v[42:43]
	v_add_co_u32_e32 v42, vcc, s6, v42
	v_addc_co_u32_e32 v43, vcc, v1, v43, vcc
	global_load_dwordx2 v[86:87], v[42:43], off
	s_bitcmp0_b32 s18, 0
	s_mov_b64 s[6:7], -1
	s_waitcnt vmcnt(20)
	buffer_store_dword v45, off, s[0:3], 0 offset:4
	buffer_store_dword v44, off, s[0:3], 0
	s_waitcnt vmcnt(21)
	buffer_store_dword v53, off, s[0:3], 0 offset:12
	buffer_store_dword v52, off, s[0:3], 0 offset:8
	s_waitcnt vmcnt(22)
	buffer_store_dword v49, off, s[0:3], 0 offset:20
	buffer_store_dword v48, off, s[0:3], 0 offset:16
	;; [unrolled: 3-line block ×20, first 2 shown]
	s_cbranch_scc1 .LBB84_96
; %bb.4:
	v_cmp_eq_u32_e64 s[4:5], 0, v0
	s_and_saveexec_b64 s[6:7], s[4:5]
	s_cbranch_execz .LBB84_6
; %bb.5:
	v_mov_b32_e32 v1, 0
	ds_write_b32 v1, v1 offset:168
.LBB84_6:
	s_or_b64 exec, exec, s[6:7]
	v_mov_b32_e32 v1, 0
	v_lshl_add_u32 v48, v0, 3, v1
	s_waitcnt lgkmcnt(0)
	; wave barrier
	s_waitcnt lgkmcnt(0)
	buffer_load_dword v1, v48, s[0:3], 0 offen
	buffer_load_dword v44, v48, s[0:3], 0 offen offset:4
	s_waitcnt vmcnt(1)
	v_cmp_eq_f32_e32 vcc, 0, v1
	s_waitcnt vmcnt(0)
	v_cmp_eq_f32_e64 s[6:7], 0, v44
	s_and_b64 s[6:7], vcc, s[6:7]
	s_and_saveexec_b64 s[12:13], s[6:7]
	s_cbranch_execz .LBB84_10
; %bb.7:
	v_mov_b32_e32 v1, 0
	ds_read_b32 v45, v1 offset:168
	v_add_u32_e32 v44, 1, v0
	s_waitcnt lgkmcnt(0)
	v_readfirstlane_b32 s6, v45
	s_cmp_eq_u32 s6, 0
	s_cselect_b64 s[18:19], -1, 0
	v_cmp_gt_i32_e32 vcc, s6, v44
	s_or_b64 s[18:19], s[18:19], vcc
	s_and_b64 exec, exec, s[18:19]
	s_cbranch_execz .LBB84_10
; %bb.8:
	s_mov_b64 s[18:19], 0
	v_mov_b32_e32 v45, s6
.LBB84_9:                               ; =>This Inner Loop Header: Depth=1
	ds_cmpst_rtn_b32 v45, v1, v45, v44 offset:168
	s_waitcnt lgkmcnt(0)
	v_cmp_ne_u32_e32 vcc, 0, v45
	v_cmp_le_i32_e64 s[6:7], v45, v44
	s_and_b64 s[6:7], vcc, s[6:7]
	s_and_b64 s[6:7], exec, s[6:7]
	s_or_b64 s[18:19], s[6:7], s[18:19]
	s_andn2_b64 exec, exec, s[18:19]
	s_cbranch_execnz .LBB84_9
.LBB84_10:
	s_or_b64 exec, exec, s[12:13]
	v_mov_b32_e32 v44, 0
	s_waitcnt lgkmcnt(0)
	; wave barrier
	ds_read_b32 v1, v44 offset:168
	s_and_saveexec_b64 s[6:7], s[4:5]
	s_cbranch_execz .LBB84_12
; %bb.11:
	s_lshl_b64 s[12:13], s[8:9], 2
	s_add_u32 s12, s14, s12
	s_addc_u32 s13, s15, s13
	s_waitcnt lgkmcnt(0)
	global_store_dword v44, v1, s[12:13]
.LBB84_12:
	s_or_b64 exec, exec, s[6:7]
	s_waitcnt lgkmcnt(0)
	v_cmp_ne_u32_e32 vcc, 0, v1
	s_mov_b64 s[6:7], 0
	s_cbranch_vccnz .LBB84_96
; %bb.13:
	buffer_load_dword v49, v48, s[0:3], 0 offen offset:4
	buffer_load_dword v45, v48, s[0:3], 0 offen
	s_waitcnt vmcnt(1)
	v_cmp_gt_f32_e32 vcc, 0, v49
	v_cndmask_b32_e64 v1, v49, -v49, vcc
	s_waitcnt vmcnt(0)
	v_cmp_gt_f32_e32 vcc, 0, v45
	v_cndmask_b32_e64 v44, v45, -v45, vcc
	v_cmp_ngt_f32_e32 vcc, v44, v1
                                        ; implicit-def: $vgpr1
                                        ; implicit-def: $vgpr44
	s_and_saveexec_b64 s[6:7], vcc
	s_xor_b64 s[6:7], exec, s[6:7]
                                        ; implicit-def: $vgpr46_vgpr47
	s_cbranch_execz .LBB84_15
; %bb.14:
	v_div_scale_f32 v1, s[12:13], v49, v49, v45
	v_rcp_f32_e32 v44, v1
	v_div_scale_f32 v46, vcc, v45, v49, v45
	v_fma_f32 v47, -v1, v44, 1.0
	v_fmac_f32_e32 v44, v47, v44
	v_mul_f32_e32 v47, v46, v44
	v_fma_f32 v50, -v1, v47, v46
	v_fmac_f32_e32 v47, v50, v44
	v_fma_f32 v1, -v1, v47, v46
	v_div_fmas_f32 v1, v1, v44, v47
	v_div_fixup_f32 v44, v1, v49, v45
	v_fmac_f32_e32 v49, v45, v44
	v_div_scale_f32 v1, s[12:13], v49, v49, -1.0
	v_rcp_f32_e32 v45, v1
	v_fma_f32 v46, -v1, v45, 1.0
	v_fmac_f32_e32 v45, v46, v45
	v_div_scale_f32 v46, vcc, -1.0, v49, -1.0
	v_mul_f32_e32 v47, v46, v45
	v_fma_f32 v50, -v1, v47, v46
	v_fmac_f32_e32 v47, v50, v45
	v_fma_f32 v1, -v1, v47, v46
	v_div_fmas_f32 v1, v1, v45, v47
	v_div_fixup_f32 v1, v1, v49, -1.0
	v_mul_f32_e32 v44, v44, v1
	v_xor_b32_e32 v46, 0x80000000, v44
                                        ; implicit-def: $vgpr45
                                        ; implicit-def: $vgpr49
.LBB84_15:
	s_andn2_saveexec_b64 s[6:7], s[6:7]
	s_cbranch_execz .LBB84_17
; %bb.16:
	v_div_scale_f32 v1, s[12:13], v45, v45, v49
	v_rcp_f32_e32 v44, v1
	v_div_scale_f32 v46, vcc, v49, v45, v49
	v_fma_f32 v47, -v1, v44, 1.0
	v_fmac_f32_e32 v44, v47, v44
	v_mul_f32_e32 v47, v46, v44
	v_fma_f32 v50, -v1, v47, v46
	v_fmac_f32_e32 v47, v50, v44
	v_fma_f32 v1, -v1, v47, v46
	v_div_fmas_f32 v1, v1, v44, v47
	v_div_fixup_f32 v1, v1, v45, v49
	v_fmac_f32_e32 v45, v49, v1
	v_div_scale_f32 v44, s[12:13], v45, v45, 1.0
	v_rcp_f32_e32 v46, v44
	v_fma_f32 v47, -v44, v46, 1.0
	v_fmac_f32_e32 v46, v47, v46
	v_div_scale_f32 v47, vcc, 1.0, v45, 1.0
	v_mul_f32_e32 v49, v47, v46
	v_fma_f32 v50, -v44, v49, v47
	v_fmac_f32_e32 v49, v50, v46
	v_fma_f32 v44, -v44, v49, v47
	v_div_fmas_f32 v44, v44, v46, v49
	v_div_fixup_f32 v46, v44, v45, 1.0
	v_xor_b32_e32 v44, 0x80000000, v46
	v_mul_f32_e64 v1, v1, -v46
.LBB84_17:
	s_or_b64 exec, exec, s[6:7]
	buffer_store_dword v1, v48, s[0:3], 0 offen offset:4
	buffer_store_dword v46, v48, s[0:3], 0 offen
	buffer_load_dword v47, off, s[0:3], 0 offset:12
	s_nop 0
	buffer_load_dword v46, off, s[0:3], 0 offset:8
	v_xor_b32_e32 v45, 0x80000000, v1
	v_add_u32_e32 v1, 0xb0, v54
	s_waitcnt vmcnt(0)
	ds_write2_b64 v54, v[44:45], v[46:47] offset1:22
	s_waitcnt lgkmcnt(0)
	; wave barrier
	s_waitcnt lgkmcnt(0)
	s_and_saveexec_b64 s[6:7], s[4:5]
	s_cbranch_execz .LBB84_19
; %bb.18:
	buffer_load_dword v49, v48, s[0:3], 0 offen offset:4
	buffer_load_dword v50, v48, s[0:3], 0 offen
	ds_read_b64 v[44:45], v1
	v_mov_b32_e32 v46, 0
	ds_read_b64 v[46:47], v46 offset:8
	s_waitcnt vmcnt(1) lgkmcnt(1)
	v_mul_f32_e32 v51, v45, v49
	v_mul_f32_e32 v49, v44, v49
	s_waitcnt vmcnt(0)
	v_fmac_f32_e32 v49, v45, v50
	v_fma_f32 v44, v44, v50, -v51
	v_add_f32_e32 v45, 0, v49
	v_add_f32_e32 v44, 0, v44
	s_waitcnt lgkmcnt(0)
	v_mul_f32_e32 v49, v45, v47
	v_mul_f32_e32 v47, v44, v47
	v_fma_f32 v44, v44, v46, -v49
	v_fmac_f32_e32 v47, v45, v46
	buffer_store_dword v44, off, s[0:3], 0 offset:8
	buffer_store_dword v47, off, s[0:3], 0 offset:12
.LBB84_19:
	s_or_b64 exec, exec, s[6:7]
	s_waitcnt lgkmcnt(0)
	; wave barrier
	buffer_load_dword v44, off, s[0:3], 0 offset:16
	buffer_load_dword v45, off, s[0:3], 0 offset:20
	v_cmp_gt_u32_e32 vcc, 2, v0
	s_waitcnt vmcnt(0)
	ds_write_b64 v1, v[44:45]
	s_waitcnt lgkmcnt(0)
	; wave barrier
	s_waitcnt lgkmcnt(0)
	s_and_saveexec_b64 s[6:7], vcc
	s_cbranch_execz .LBB84_23
; %bb.20:
	buffer_load_dword v46, v48, s[0:3], 0 offen offset:4
	buffer_load_dword v47, v48, s[0:3], 0 offen
	ds_read_b64 v[44:45], v1
	s_waitcnt vmcnt(1) lgkmcnt(0)
	v_mul_f32_e32 v48, v45, v46
	v_mul_f32_e32 v46, v44, v46
	s_waitcnt vmcnt(0)
	v_fma_f32 v44, v44, v47, -v48
	v_fmac_f32_e32 v46, v45, v47
	v_add_f32_e32 v45, 0, v44
	v_add_f32_e32 v44, 0, v46
	s_and_saveexec_b64 s[12:13], s[4:5]
	s_cbranch_execz .LBB84_22
; %bb.21:
	buffer_load_dword v48, off, s[0:3], 0 offset:12
	buffer_load_dword v49, off, s[0:3], 0 offset:8
	v_mov_b32_e32 v46, 0
	ds_read_b64 v[46:47], v46 offset:184
	s_waitcnt vmcnt(1) lgkmcnt(0)
	v_mul_f32_e32 v50, v46, v48
	v_mul_f32_e32 v48, v47, v48
	s_waitcnt vmcnt(0)
	v_fmac_f32_e32 v50, v47, v49
	v_fma_f32 v46, v46, v49, -v48
	v_add_f32_e32 v44, v44, v50
	v_add_f32_e32 v45, v45, v46
.LBB84_22:
	s_or_b64 exec, exec, s[12:13]
	v_mov_b32_e32 v46, 0
	ds_read_b64 v[46:47], v46 offset:16
	s_waitcnt lgkmcnt(0)
	v_mul_f32_e32 v48, v44, v47
	v_mul_f32_e32 v47, v45, v47
	v_fma_f32 v45, v45, v46, -v48
	v_fmac_f32_e32 v47, v44, v46
	buffer_store_dword v45, off, s[0:3], 0 offset:16
	buffer_store_dword v47, off, s[0:3], 0 offset:20
.LBB84_23:
	s_or_b64 exec, exec, s[6:7]
	s_waitcnt lgkmcnt(0)
	; wave barrier
	buffer_load_dword v44, off, s[0:3], 0 offset:24
	buffer_load_dword v45, off, s[0:3], 0 offset:28
	v_cmp_gt_u32_e32 vcc, 3, v0
	s_waitcnt vmcnt(0)
	ds_write_b64 v1, v[44:45]
	v_add_u32_e32 v44, -1, v0
	s_waitcnt lgkmcnt(0)
	; wave barrier
	s_waitcnt lgkmcnt(0)
	s_and_saveexec_b64 s[4:5], vcc
	s_cbranch_execz .LBB84_27
; %bb.24:
	v_add_u32_e32 v46, -1, v0
	v_add_u32_e32 v47, 0xb0, v54
	v_add_u32_e32 v48, 0, v54
	s_mov_b64 s[6:7], 0
	v_mov_b32_e32 v45, 0
	v_mov_b32_e32 v49, 0
.LBB84_25:                              ; =>This Inner Loop Header: Depth=1
	buffer_load_dword v52, v48, s[0:3], 0 offen offset:4
	buffer_load_dword v53, v48, s[0:3], 0 offen
	ds_read_b64 v[50:51], v47
	v_add_u32_e32 v46, 1, v46
	v_cmp_lt_u32_e32 vcc, 1, v46
	v_add_u32_e32 v47, 8, v47
	v_add_u32_e32 v48, 8, v48
	s_or_b64 s[6:7], vcc, s[6:7]
	s_waitcnt vmcnt(1) lgkmcnt(0)
	v_mul_f32_e32 v55, v51, v52
	v_mul_f32_e32 v52, v50, v52
	s_waitcnt vmcnt(0)
	v_fma_f32 v50, v50, v53, -v55
	v_fmac_f32_e32 v52, v51, v53
	v_add_f32_e32 v49, v49, v50
	v_add_f32_e32 v45, v45, v52
	s_andn2_b64 exec, exec, s[6:7]
	s_cbranch_execnz .LBB84_25
; %bb.26:
	s_or_b64 exec, exec, s[6:7]
	v_mov_b32_e32 v46, 0
	ds_read_b64 v[46:47], v46 offset:24
	s_waitcnt lgkmcnt(0)
	v_mul_f32_e32 v48, v45, v47
	v_mul_f32_e32 v47, v49, v47
	v_fma_f32 v48, v49, v46, -v48
	v_fmac_f32_e32 v47, v45, v46
	buffer_store_dword v48, off, s[0:3], 0 offset:24
	buffer_store_dword v47, off, s[0:3], 0 offset:28
.LBB84_27:
	s_or_b64 exec, exec, s[4:5]
	s_waitcnt lgkmcnt(0)
	; wave barrier
	buffer_load_dword v46, off, s[0:3], 0 offset:32
	buffer_load_dword v47, off, s[0:3], 0 offset:36
	v_cmp_gt_u32_e32 vcc, 4, v0
	s_waitcnt vmcnt(0)
	ds_write_b64 v1, v[46:47]
	s_waitcnt lgkmcnt(0)
	; wave barrier
	s_waitcnt lgkmcnt(0)
	s_and_saveexec_b64 s[4:5], vcc
	s_cbranch_execz .LBB84_31
; %bb.28:
	v_add_u32_e32 v46, -1, v0
	v_add_u32_e32 v47, 0xb0, v54
	v_add_u32_e32 v48, 0, v54
	s_mov_b64 s[6:7], 0
	v_mov_b32_e32 v45, 0
	v_mov_b32_e32 v49, 0
.LBB84_29:                              ; =>This Inner Loop Header: Depth=1
	buffer_load_dword v52, v48, s[0:3], 0 offen offset:4
	buffer_load_dword v53, v48, s[0:3], 0 offen
	ds_read_b64 v[50:51], v47
	v_add_u32_e32 v46, 1, v46
	v_cmp_lt_u32_e32 vcc, 2, v46
	v_add_u32_e32 v47, 8, v47
	v_add_u32_e32 v48, 8, v48
	s_or_b64 s[6:7], vcc, s[6:7]
	s_waitcnt vmcnt(1) lgkmcnt(0)
	v_mul_f32_e32 v55, v51, v52
	v_mul_f32_e32 v52, v50, v52
	s_waitcnt vmcnt(0)
	v_fma_f32 v50, v50, v53, -v55
	v_fmac_f32_e32 v52, v51, v53
	v_add_f32_e32 v49, v49, v50
	v_add_f32_e32 v45, v45, v52
	s_andn2_b64 exec, exec, s[6:7]
	s_cbranch_execnz .LBB84_29
; %bb.30:
	s_or_b64 exec, exec, s[6:7]
	v_mov_b32_e32 v46, 0
	ds_read_b64 v[46:47], v46 offset:32
	s_waitcnt lgkmcnt(0)
	v_mul_f32_e32 v48, v45, v47
	v_mul_f32_e32 v47, v49, v47
	v_fma_f32 v48, v49, v46, -v48
	v_fmac_f32_e32 v47, v45, v46
	buffer_store_dword v48, off, s[0:3], 0 offset:32
	buffer_store_dword v47, off, s[0:3], 0 offset:36
.LBB84_31:
	s_or_b64 exec, exec, s[4:5]
	s_waitcnt lgkmcnt(0)
	; wave barrier
	buffer_load_dword v46, off, s[0:3], 0 offset:40
	buffer_load_dword v47, off, s[0:3], 0 offset:44
	v_cmp_gt_u32_e32 vcc, 5, v0
	s_waitcnt vmcnt(0)
	ds_write_b64 v1, v[46:47]
	;; [unrolled: 51-line block ×16, first 2 shown]
	s_waitcnt lgkmcnt(0)
	; wave barrier
	s_waitcnt lgkmcnt(0)
	s_and_saveexec_b64 s[4:5], vcc
	s_cbranch_execz .LBB84_91
; %bb.88:
	v_add_u32_e32 v46, -1, v0
	v_add_u32_e32 v47, 0xb0, v54
	v_add_u32_e32 v48, 0, v54
	s_mov_b64 s[6:7], 0
	v_mov_b32_e32 v45, 0
	v_mov_b32_e32 v49, 0
.LBB84_89:                              ; =>This Inner Loop Header: Depth=1
	buffer_load_dword v52, v48, s[0:3], 0 offen offset:4
	buffer_load_dword v53, v48, s[0:3], 0 offen
	ds_read_b64 v[50:51], v47
	v_add_u32_e32 v46, 1, v46
	v_cmp_lt_u32_e32 vcc, 17, v46
	v_add_u32_e32 v47, 8, v47
	v_add_u32_e32 v48, 8, v48
	s_or_b64 s[6:7], vcc, s[6:7]
	s_waitcnt vmcnt(1) lgkmcnt(0)
	v_mul_f32_e32 v55, v51, v52
	v_mul_f32_e32 v52, v50, v52
	s_waitcnt vmcnt(0)
	v_fma_f32 v50, v50, v53, -v55
	v_fmac_f32_e32 v52, v51, v53
	v_add_f32_e32 v49, v49, v50
	v_add_f32_e32 v45, v45, v52
	s_andn2_b64 exec, exec, s[6:7]
	s_cbranch_execnz .LBB84_89
; %bb.90:
	s_or_b64 exec, exec, s[6:7]
	v_mov_b32_e32 v46, 0
	ds_read_b64 v[46:47], v46 offset:152
	s_waitcnt lgkmcnt(0)
	v_mul_f32_e32 v48, v45, v47
	v_mul_f32_e32 v47, v49, v47
	v_fma_f32 v48, v49, v46, -v48
	v_fmac_f32_e32 v47, v45, v46
	buffer_store_dword v48, off, s[0:3], 0 offset:152
	buffer_store_dword v47, off, s[0:3], 0 offset:156
.LBB84_91:
	s_or_b64 exec, exec, s[4:5]
	s_waitcnt lgkmcnt(0)
	; wave barrier
	buffer_load_dword v46, off, s[0:3], 0 offset:160
	buffer_load_dword v47, off, s[0:3], 0 offset:164
	v_cmp_ne_u32_e32 vcc, 20, v0
	s_waitcnt vmcnt(0)
	ds_write_b64 v1, v[46:47]
	s_waitcnt lgkmcnt(0)
	; wave barrier
	s_waitcnt lgkmcnt(0)
	s_and_saveexec_b64 s[4:5], vcc
	s_cbranch_execz .LBB84_95
; %bb.92:
	v_add_u32_e32 v45, 0xb0, v54
	v_add_u32_e32 v46, 0, v54
	s_mov_b64 s[6:7], 0
	v_mov_b32_e32 v1, 0
	v_mov_b32_e32 v47, 0
.LBB84_93:                              ; =>This Inner Loop Header: Depth=1
	buffer_load_dword v50, v46, s[0:3], 0 offen offset:4
	buffer_load_dword v51, v46, s[0:3], 0 offen
	ds_read_b64 v[48:49], v45
	v_add_u32_e32 v44, 1, v44
	v_cmp_lt_u32_e32 vcc, 18, v44
	v_add_u32_e32 v45, 8, v45
	v_add_u32_e32 v46, 8, v46
	s_or_b64 s[6:7], vcc, s[6:7]
	s_waitcnt vmcnt(1) lgkmcnt(0)
	v_mul_f32_e32 v52, v49, v50
	v_mul_f32_e32 v50, v48, v50
	s_waitcnt vmcnt(0)
	v_fma_f32 v48, v48, v51, -v52
	v_fmac_f32_e32 v50, v49, v51
	v_add_f32_e32 v47, v47, v48
	v_add_f32_e32 v1, v1, v50
	s_andn2_b64 exec, exec, s[6:7]
	s_cbranch_execnz .LBB84_93
; %bb.94:
	s_or_b64 exec, exec, s[6:7]
	v_mov_b32_e32 v44, 0
	ds_read_b64 v[44:45], v44 offset:160
	s_waitcnt lgkmcnt(0)
	v_mul_f32_e32 v46, v1, v45
	v_mul_f32_e32 v45, v47, v45
	v_fma_f32 v46, v47, v44, -v46
	v_fmac_f32_e32 v45, v1, v44
	buffer_store_dword v46, off, s[0:3], 0 offset:160
	buffer_store_dword v45, off, s[0:3], 0 offset:164
.LBB84_95:
	s_or_b64 exec, exec, s[4:5]
	s_mov_b64 s[6:7], -1
	s_waitcnt lgkmcnt(0)
	; wave barrier
.LBB84_96:
	s_and_b64 vcc, exec, s[6:7]
	s_cbranch_vccz .LBB84_98
; %bb.97:
	s_lshl_b64 s[4:5], s[8:9], 2
	s_add_u32 s4, s14, s4
	s_addc_u32 s5, s15, s5
	v_mov_b32_e32 v1, 0
	global_load_dword v1, v1, s[4:5]
	s_waitcnt vmcnt(0)
	v_cmp_ne_u32_e32 vcc, 0, v1
	s_cbranch_vccz .LBB84_99
.LBB84_98:
	s_endpgm
.LBB84_99:
	v_mov_b32_e32 v1, 0xb0
	v_lshl_add_u32 v1, v0, 3, v1
	v_cmp_eq_u32_e32 vcc, 20, v0
	s_and_saveexec_b64 s[4:5], vcc
	s_cbranch_execz .LBB84_101
; %bb.100:
	buffer_load_dword v44, off, s[0:3], 0 offset:152
	buffer_load_dword v45, off, s[0:3], 0 offset:156
	v_mov_b32_e32 v46, 0
	buffer_store_dword v46, off, s[0:3], 0 offset:152
	buffer_store_dword v46, off, s[0:3], 0 offset:156
	s_waitcnt vmcnt(2)
	ds_write_b64 v1, v[44:45]
.LBB84_101:
	s_or_b64 exec, exec, s[4:5]
	s_waitcnt lgkmcnt(0)
	; wave barrier
	s_waitcnt lgkmcnt(0)
	buffer_load_dword v47, off, s[0:3], 0 offset:164
	buffer_load_dword v46, off, s[0:3], 0 offset:160
	;; [unrolled: 1-line block ×4, first 2 shown]
	v_mov_b32_e32 v44, 0
	ds_read_b64 v[50:51], v44 offset:336
	v_cmp_lt_u32_e32 vcc, 18, v0
	s_waitcnt vmcnt(3)
	v_mov_b32_e32 v52, v47
	s_waitcnt lgkmcnt(0)
	v_pk_mul_f32 v[52:53], v[50:51], v[52:53] op_sel_hi:[1,0]
	s_waitcnt vmcnt(2)
	v_pk_fma_f32 v[54:55], v[50:51], v[46:47], v[52:53] op_sel:[0,0,1] op_sel_hi:[1,1,0] neg_lo:[0,0,1] neg_hi:[0,0,1]
	v_pk_fma_f32 v[46:47], v[50:51], v[46:47], v[52:53] op_sel:[0,0,1] op_sel_hi:[1,0,0]
	v_mov_b32_e32 v55, v47
	v_pk_add_f32 v[46:47], v[54:55], 0 op_sel_hi:[1,0]
	s_waitcnt vmcnt(0)
	v_pk_add_f32 v[46:47], v[48:49], v[46:47] neg_lo:[0,1] neg_hi:[0,1]
	buffer_store_dword v46, off, s[0:3], 0 offset:152
	buffer_store_dword v47, off, s[0:3], 0 offset:156
	s_and_saveexec_b64 s[4:5], vcc
	s_cbranch_execz .LBB84_103
; %bb.102:
	buffer_load_dword v46, off, s[0:3], 0 offset:144
	buffer_load_dword v47, off, s[0:3], 0 offset:148
	s_waitcnt vmcnt(0)
	ds_write_b64 v1, v[46:47]
	buffer_store_dword v44, off, s[0:3], 0 offset:144
	buffer_store_dword v44, off, s[0:3], 0 offset:148
.LBB84_103:
	s_or_b64 exec, exec, s[4:5]
	s_waitcnt lgkmcnt(0)
	; wave barrier
	s_waitcnt lgkmcnt(0)
	buffer_load_dword v49, off, s[0:3], 0 offset:156
	buffer_load_dword v51, off, s[0:3], 0 offset:164
	;; [unrolled: 1-line block ×6, first 2 shown]
	ds_read2_b64 v[44:47], v44 offset0:41 offset1:42
	v_cmp_lt_u32_e32 vcc, 17, v0
	s_waitcnt vmcnt(5)
	v_mov_b32_e32 v54, v49
	s_waitcnt vmcnt(4)
	v_mov_b32_e32 v56, v51
	s_waitcnt lgkmcnt(0)
	v_pk_mul_f32 v[54:55], v[44:45], v[54:55] op_sel_hi:[1,0]
	v_pk_mul_f32 v[56:57], v[46:47], v[56:57] op_sel_hi:[1,0]
	s_waitcnt vmcnt(3)
	v_pk_fma_f32 v[58:59], v[44:45], v[48:49], v[54:55] op_sel:[0,0,1] op_sel_hi:[1,1,0] neg_lo:[0,0,1] neg_hi:[0,0,1]
	v_pk_fma_f32 v[44:45], v[44:45], v[48:49], v[54:55] op_sel:[0,0,1] op_sel_hi:[1,0,0]
	s_waitcnt vmcnt(2)
	v_pk_fma_f32 v[48:49], v[46:47], v[50:51], v[56:57] op_sel:[0,0,1] op_sel_hi:[1,1,0] neg_lo:[0,0,1] neg_hi:[0,0,1]
	v_pk_fma_f32 v[46:47], v[46:47], v[50:51], v[56:57] op_sel:[0,0,1] op_sel_hi:[1,0,0]
	v_mov_b32_e32 v59, v45
	v_mov_b32_e32 v49, v47
	v_pk_add_f32 v[44:45], v[58:59], 0 op_sel_hi:[1,0]
	v_pk_add_f32 v[44:45], v[44:45], v[48:49]
	s_waitcnt vmcnt(0)
	v_pk_add_f32 v[44:45], v[52:53], v[44:45] neg_lo:[0,1] neg_hi:[0,1]
	buffer_store_dword v44, off, s[0:3], 0 offset:144
	buffer_store_dword v45, off, s[0:3], 0 offset:148
	s_and_saveexec_b64 s[4:5], vcc
	s_cbranch_execz .LBB84_105
; %bb.104:
	buffer_load_dword v44, off, s[0:3], 0 offset:136
	buffer_load_dword v45, off, s[0:3], 0 offset:140
	v_mov_b32_e32 v46, 0
	buffer_store_dword v46, off, s[0:3], 0 offset:136
	buffer_store_dword v46, off, s[0:3], 0 offset:140
	s_waitcnt vmcnt(2)
	ds_write_b64 v1, v[44:45]
.LBB84_105:
	s_or_b64 exec, exec, s[4:5]
	s_waitcnt lgkmcnt(0)
	; wave barrier
	s_waitcnt lgkmcnt(0)
	buffer_load_dword v51, off, s[0:3], 0 offset:148
	buffer_load_dword v53, off, s[0:3], 0 offset:156
	;; [unrolled: 1-line block ×8, first 2 shown]
	v_mov_b32_e32 v44, 0
	ds_read_b128 v[46:49], v44 offset:320
	ds_read_b64 v[58:59], v44 offset:336
	v_cmp_lt_u32_e32 vcc, 16, v0
	s_waitcnt vmcnt(7)
	v_mov_b32_e32 v60, v51
	s_waitcnt vmcnt(6)
	v_mov_b32_e32 v62, v53
	s_waitcnt lgkmcnt(1)
	v_pk_mul_f32 v[60:61], v[46:47], v[60:61] op_sel_hi:[1,0]
	s_waitcnt vmcnt(5)
	v_mov_b32_e32 v64, v55
	v_pk_mul_f32 v[62:63], v[48:49], v[62:63] op_sel_hi:[1,0]
	s_waitcnt vmcnt(4)
	v_pk_fma_f32 v[66:67], v[46:47], v[50:51], v[60:61] op_sel:[0,0,1] op_sel_hi:[1,1,0] neg_lo:[0,0,1] neg_hi:[0,0,1]
	v_pk_fma_f32 v[46:47], v[46:47], v[50:51], v[60:61] op_sel:[0,0,1] op_sel_hi:[1,0,0]
	s_waitcnt lgkmcnt(0)
	v_pk_mul_f32 v[64:65], v[58:59], v[64:65] op_sel_hi:[1,0]
	s_waitcnt vmcnt(3)
	v_pk_fma_f32 v[50:51], v[48:49], v[52:53], v[62:63] op_sel:[0,0,1] op_sel_hi:[1,1,0] neg_lo:[0,0,1] neg_hi:[0,0,1]
	v_pk_fma_f32 v[48:49], v[48:49], v[52:53], v[62:63] op_sel:[0,0,1] op_sel_hi:[1,0,0]
	v_mov_b32_e32 v67, v47
	s_waitcnt vmcnt(2)
	v_pk_fma_f32 v[52:53], v[58:59], v[54:55], v[64:65] op_sel:[0,0,1] op_sel_hi:[1,1,0] neg_lo:[0,0,1] neg_hi:[0,0,1]
	v_pk_fma_f32 v[54:55], v[58:59], v[54:55], v[64:65] op_sel:[0,0,1] op_sel_hi:[1,0,0]
	v_mov_b32_e32 v51, v49
	v_pk_add_f32 v[46:47], v[66:67], 0 op_sel_hi:[1,0]
	v_mov_b32_e32 v53, v55
	v_pk_add_f32 v[46:47], v[46:47], v[50:51]
	v_pk_add_f32 v[46:47], v[46:47], v[52:53]
	s_waitcnt vmcnt(0)
	v_pk_add_f32 v[46:47], v[56:57], v[46:47] neg_lo:[0,1] neg_hi:[0,1]
	buffer_store_dword v46, off, s[0:3], 0 offset:136
	buffer_store_dword v47, off, s[0:3], 0 offset:140
	s_and_saveexec_b64 s[4:5], vcc
	s_cbranch_execz .LBB84_107
; %bb.106:
	buffer_load_dword v46, off, s[0:3], 0 offset:128
	buffer_load_dword v47, off, s[0:3], 0 offset:132
	s_waitcnt vmcnt(0)
	ds_write_b64 v1, v[46:47]
	buffer_store_dword v44, off, s[0:3], 0 offset:128
	buffer_store_dword v44, off, s[0:3], 0 offset:132
.LBB84_107:
	s_or_b64 exec, exec, s[4:5]
	s_waitcnt lgkmcnt(0)
	; wave barrier
	s_waitcnt lgkmcnt(0)
	buffer_load_dword v55, off, s[0:3], 0 offset:140
	buffer_load_dword v57, off, s[0:3], 0 offset:148
	;; [unrolled: 1-line block ×10, first 2 shown]
	ds_read2_b64 v[46:49], v44 offset0:39 offset1:40
	ds_read2_b64 v[50:53], v44 offset0:41 offset1:42
	v_cmp_lt_u32_e32 vcc, 15, v0
	s_waitcnt vmcnt(9)
	v_mov_b32_e32 v44, v55
	s_waitcnt vmcnt(8)
	v_mov_b32_e32 v64, v57
	s_waitcnt lgkmcnt(1)
	v_pk_mul_f32 v[44:45], v[46:47], v[44:45] op_sel_hi:[1,0]
	s_waitcnt vmcnt(7)
	v_mov_b32_e32 v66, v59
	v_pk_mul_f32 v[64:65], v[48:49], v[64:65] op_sel_hi:[1,0]
	s_waitcnt vmcnt(5)
	v_pk_fma_f32 v[70:71], v[46:47], v[54:55], v[44:45] op_sel:[0,0,1] op_sel_hi:[1,1,0] neg_lo:[0,0,1] neg_hi:[0,0,1]
	v_pk_fma_f32 v[44:45], v[46:47], v[54:55], v[44:45] op_sel:[0,0,1] op_sel_hi:[1,0,0]
	v_mov_b32_e32 v68, v61
	s_waitcnt lgkmcnt(0)
	v_pk_mul_f32 v[66:67], v[50:51], v[66:67] op_sel_hi:[1,0]
	s_waitcnt vmcnt(4)
	v_pk_fma_f32 v[46:47], v[48:49], v[56:57], v[64:65] op_sel:[0,0,1] op_sel_hi:[1,1,0] neg_lo:[0,0,1] neg_hi:[0,0,1]
	v_pk_fma_f32 v[48:49], v[48:49], v[56:57], v[64:65] op_sel:[0,0,1] op_sel_hi:[1,0,0]
	v_mov_b32_e32 v71, v45
	v_pk_mul_f32 v[68:69], v[52:53], v[68:69] op_sel_hi:[1,0]
	s_waitcnt vmcnt(3)
	v_pk_fma_f32 v[54:55], v[50:51], v[58:59], v[66:67] op_sel:[0,0,1] op_sel_hi:[1,1,0] neg_lo:[0,0,1] neg_hi:[0,0,1]
	v_pk_fma_f32 v[50:51], v[50:51], v[58:59], v[66:67] op_sel:[0,0,1] op_sel_hi:[1,0,0]
	v_mov_b32_e32 v47, v49
	v_pk_add_f32 v[44:45], v[70:71], 0 op_sel_hi:[1,0]
	s_waitcnt vmcnt(2)
	v_pk_fma_f32 v[56:57], v[52:53], v[60:61], v[68:69] op_sel:[0,0,1] op_sel_hi:[1,1,0] neg_lo:[0,0,1] neg_hi:[0,0,1]
	v_pk_fma_f32 v[52:53], v[52:53], v[60:61], v[68:69] op_sel:[0,0,1] op_sel_hi:[1,0,0]
	v_mov_b32_e32 v55, v51
	v_pk_add_f32 v[44:45], v[44:45], v[46:47]
	v_mov_b32_e32 v57, v53
	v_pk_add_f32 v[44:45], v[44:45], v[54:55]
	v_pk_add_f32 v[44:45], v[44:45], v[56:57]
	s_waitcnt vmcnt(0)
	v_pk_add_f32 v[44:45], v[62:63], v[44:45] neg_lo:[0,1] neg_hi:[0,1]
	buffer_store_dword v44, off, s[0:3], 0 offset:128
	buffer_store_dword v45, off, s[0:3], 0 offset:132
	s_and_saveexec_b64 s[4:5], vcc
	s_cbranch_execz .LBB84_109
; %bb.108:
	buffer_load_dword v44, off, s[0:3], 0 offset:120
	buffer_load_dword v45, off, s[0:3], 0 offset:124
	v_mov_b32_e32 v46, 0
	buffer_store_dword v46, off, s[0:3], 0 offset:120
	buffer_store_dword v46, off, s[0:3], 0 offset:124
	s_waitcnt vmcnt(2)
	ds_write_b64 v1, v[44:45]
.LBB84_109:
	s_or_b64 exec, exec, s[4:5]
	s_waitcnt lgkmcnt(0)
	; wave barrier
	s_waitcnt lgkmcnt(0)
	buffer_load_dword v55, off, s[0:3], 0 offset:132
	buffer_load_dword v57, off, s[0:3], 0 offset:140
	;; [unrolled: 1-line block ×12, first 2 shown]
	v_mov_b32_e32 v44, 0
	ds_read_b128 v[46:49], v44 offset:304
	ds_read_b128 v[50:53], v44 offset:320
	ds_read_b64 v[66:67], v44 offset:336
	v_cmp_lt_u32_e32 vcc, 14, v0
	s_waitcnt vmcnt(11)
	v_mov_b32_e32 v68, v55
	s_waitcnt vmcnt(10)
	v_mov_b32_e32 v70, v57
	s_waitcnt lgkmcnt(2)
	v_pk_mul_f32 v[68:69], v[46:47], v[68:69] op_sel_hi:[1,0]
	s_waitcnt vmcnt(9)
	v_mov_b32_e32 v72, v59
	v_pk_mul_f32 v[70:71], v[48:49], v[70:71] op_sel_hi:[1,0]
	s_waitcnt vmcnt(6)
	v_pk_fma_f32 v[78:79], v[46:47], v[54:55], v[68:69] op_sel:[0,0,1] op_sel_hi:[1,1,0] neg_lo:[0,0,1] neg_hi:[0,0,1]
	v_pk_fma_f32 v[46:47], v[46:47], v[54:55], v[68:69] op_sel:[0,0,1] op_sel_hi:[1,0,0]
	v_mov_b32_e32 v74, v61
	s_waitcnt lgkmcnt(1)
	v_pk_mul_f32 v[72:73], v[50:51], v[72:73] op_sel_hi:[1,0]
	s_waitcnt vmcnt(5)
	v_pk_fma_f32 v[54:55], v[48:49], v[56:57], v[70:71] op_sel:[0,0,1] op_sel_hi:[1,1,0] neg_lo:[0,0,1] neg_hi:[0,0,1]
	v_pk_fma_f32 v[48:49], v[48:49], v[56:57], v[70:71] op_sel:[0,0,1] op_sel_hi:[1,0,0]
	v_mov_b32_e32 v79, v47
	v_mov_b32_e32 v76, v63
	v_pk_mul_f32 v[74:75], v[52:53], v[74:75] op_sel_hi:[1,0]
	s_waitcnt vmcnt(4)
	v_pk_fma_f32 v[56:57], v[50:51], v[58:59], v[72:73] op_sel:[0,0,1] op_sel_hi:[1,1,0] neg_lo:[0,0,1] neg_hi:[0,0,1]
	v_pk_fma_f32 v[50:51], v[50:51], v[58:59], v[72:73] op_sel:[0,0,1] op_sel_hi:[1,0,0]
	v_mov_b32_e32 v55, v49
	v_pk_add_f32 v[46:47], v[78:79], 0 op_sel_hi:[1,0]
	s_waitcnt lgkmcnt(0)
	v_pk_mul_f32 v[76:77], v[66:67], v[76:77] op_sel_hi:[1,0]
	s_waitcnt vmcnt(3)
	v_pk_fma_f32 v[58:59], v[52:53], v[60:61], v[74:75] op_sel:[0,0,1] op_sel_hi:[1,1,0] neg_lo:[0,0,1] neg_hi:[0,0,1]
	v_pk_fma_f32 v[52:53], v[52:53], v[60:61], v[74:75] op_sel:[0,0,1] op_sel_hi:[1,0,0]
	v_mov_b32_e32 v57, v51
	v_pk_add_f32 v[46:47], v[46:47], v[54:55]
	s_waitcnt vmcnt(2)
	v_pk_fma_f32 v[60:61], v[66:67], v[62:63], v[76:77] op_sel:[0,0,1] op_sel_hi:[1,1,0] neg_lo:[0,0,1] neg_hi:[0,0,1]
	v_pk_fma_f32 v[62:63], v[66:67], v[62:63], v[76:77] op_sel:[0,0,1] op_sel_hi:[1,0,0]
	v_mov_b32_e32 v59, v53
	v_pk_add_f32 v[46:47], v[46:47], v[56:57]
	v_mov_b32_e32 v61, v63
	v_pk_add_f32 v[46:47], v[46:47], v[58:59]
	v_pk_add_f32 v[46:47], v[46:47], v[60:61]
	s_waitcnt vmcnt(0)
	v_pk_add_f32 v[46:47], v[64:65], v[46:47] neg_lo:[0,1] neg_hi:[0,1]
	buffer_store_dword v46, off, s[0:3], 0 offset:120
	buffer_store_dword v47, off, s[0:3], 0 offset:124
	s_and_saveexec_b64 s[4:5], vcc
	s_cbranch_execz .LBB84_111
; %bb.110:
	buffer_load_dword v46, off, s[0:3], 0 offset:112
	buffer_load_dword v47, off, s[0:3], 0 offset:116
	s_waitcnt vmcnt(0)
	ds_write_b64 v1, v[46:47]
	buffer_store_dword v44, off, s[0:3], 0 offset:112
	buffer_store_dword v44, off, s[0:3], 0 offset:116
.LBB84_111:
	s_or_b64 exec, exec, s[4:5]
	s_waitcnt lgkmcnt(0)
	; wave barrier
	s_waitcnt lgkmcnt(0)
	buffer_load_dword v59, off, s[0:3], 0 offset:124
	buffer_load_dword v61, off, s[0:3], 0 offset:132
	;; [unrolled: 1-line block ×14, first 2 shown]
	ds_read2_b64 v[46:49], v44 offset0:37 offset1:38
	ds_read2_b64 v[50:53], v44 offset0:39 offset1:40
	;; [unrolled: 1-line block ×3, first 2 shown]
	v_cmp_lt_u32_e32 vcc, 13, v0
	s_waitcnt vmcnt(13)
	v_mov_b32_e32 v44, v59
	s_waitcnt vmcnt(12)
	v_mov_b32_e32 v72, v61
	s_waitcnt lgkmcnt(2)
	v_pk_mul_f32 v[44:45], v[46:47], v[44:45] op_sel_hi:[1,0]
	s_waitcnt vmcnt(11)
	v_mov_b32_e32 v74, v63
	v_pk_mul_f32 v[72:73], v[48:49], v[72:73] op_sel_hi:[1,0]
	s_waitcnt vmcnt(10)
	v_mov_b32_e32 v76, v65
	s_waitcnt vmcnt(7)
	v_pk_fma_f32 v[82:83], v[46:47], v[58:59], v[44:45] op_sel:[0,0,1] op_sel_hi:[1,1,0] neg_lo:[0,0,1] neg_hi:[0,0,1]
	v_pk_fma_f32 v[44:45], v[46:47], v[58:59], v[44:45] op_sel:[0,0,1] op_sel_hi:[1,0,0]
	s_waitcnt lgkmcnt(1)
	v_pk_mul_f32 v[74:75], v[50:51], v[74:75] op_sel_hi:[1,0]
	s_waitcnt vmcnt(6)
	v_pk_fma_f32 v[46:47], v[48:49], v[60:61], v[72:73] op_sel:[0,0,1] op_sel_hi:[1,1,0] neg_lo:[0,0,1] neg_hi:[0,0,1]
	v_pk_fma_f32 v[48:49], v[48:49], v[60:61], v[72:73] op_sel:[0,0,1] op_sel_hi:[1,0,0]
	v_mov_b32_e32 v83, v45
	v_mov_b32_e32 v78, v67
	v_pk_mul_f32 v[76:77], v[52:53], v[76:77] op_sel_hi:[1,0]
	s_waitcnt vmcnt(5)
	v_pk_fma_f32 v[58:59], v[50:51], v[62:63], v[74:75] op_sel:[0,0,1] op_sel_hi:[1,1,0] neg_lo:[0,0,1] neg_hi:[0,0,1]
	v_pk_fma_f32 v[50:51], v[50:51], v[62:63], v[74:75] op_sel:[0,0,1] op_sel_hi:[1,0,0]
	v_mov_b32_e32 v47, v49
	v_pk_add_f32 v[44:45], v[82:83], 0 op_sel_hi:[1,0]
	v_mov_b32_e32 v80, v69
	s_waitcnt lgkmcnt(0)
	v_pk_mul_f32 v[78:79], v[54:55], v[78:79] op_sel_hi:[1,0]
	s_waitcnt vmcnt(4)
	v_pk_fma_f32 v[60:61], v[52:53], v[64:65], v[76:77] op_sel:[0,0,1] op_sel_hi:[1,1,0] neg_lo:[0,0,1] neg_hi:[0,0,1]
	v_pk_fma_f32 v[52:53], v[52:53], v[64:65], v[76:77] op_sel:[0,0,1] op_sel_hi:[1,0,0]
	v_mov_b32_e32 v59, v51
	v_pk_add_f32 v[44:45], v[44:45], v[46:47]
	v_pk_mul_f32 v[80:81], v[56:57], v[80:81] op_sel_hi:[1,0]
	s_waitcnt vmcnt(3)
	v_pk_fma_f32 v[62:63], v[54:55], v[66:67], v[78:79] op_sel:[0,0,1] op_sel_hi:[1,1,0] neg_lo:[0,0,1] neg_hi:[0,0,1]
	v_pk_fma_f32 v[54:55], v[54:55], v[66:67], v[78:79] op_sel:[0,0,1] op_sel_hi:[1,0,0]
	v_mov_b32_e32 v61, v53
	v_pk_add_f32 v[44:45], v[44:45], v[58:59]
	s_waitcnt vmcnt(2)
	v_pk_fma_f32 v[64:65], v[56:57], v[68:69], v[80:81] op_sel:[0,0,1] op_sel_hi:[1,1,0] neg_lo:[0,0,1] neg_hi:[0,0,1]
	v_pk_fma_f32 v[56:57], v[56:57], v[68:69], v[80:81] op_sel:[0,0,1] op_sel_hi:[1,0,0]
	v_mov_b32_e32 v63, v55
	v_pk_add_f32 v[44:45], v[44:45], v[60:61]
	v_mov_b32_e32 v65, v57
	v_pk_add_f32 v[44:45], v[44:45], v[62:63]
	v_pk_add_f32 v[44:45], v[44:45], v[64:65]
	s_waitcnt vmcnt(0)
	v_pk_add_f32 v[44:45], v[70:71], v[44:45] neg_lo:[0,1] neg_hi:[0,1]
	buffer_store_dword v44, off, s[0:3], 0 offset:112
	buffer_store_dword v45, off, s[0:3], 0 offset:116
	s_and_saveexec_b64 s[4:5], vcc
	s_cbranch_execz .LBB84_113
; %bb.112:
	buffer_load_dword v44, off, s[0:3], 0 offset:104
	buffer_load_dword v45, off, s[0:3], 0 offset:108
	v_mov_b32_e32 v46, 0
	buffer_store_dword v46, off, s[0:3], 0 offset:104
	buffer_store_dword v46, off, s[0:3], 0 offset:108
	s_waitcnt vmcnt(2)
	ds_write_b64 v1, v[44:45]
.LBB84_113:
	s_or_b64 exec, exec, s[4:5]
	s_waitcnt lgkmcnt(0)
	; wave barrier
	s_waitcnt lgkmcnt(0)
	buffer_load_dword v59, off, s[0:3], 0 offset:116
	buffer_load_dword v61, off, s[0:3], 0 offset:124
	;; [unrolled: 1-line block ×16, first 2 shown]
	v_mov_b32_e32 v44, 0
	ds_read_b128 v[46:49], v44 offset:288
	ds_read_b128 v[50:53], v44 offset:304
	;; [unrolled: 1-line block ×3, first 2 shown]
	ds_read_b64 v[74:75], v44 offset:336
	v_cmp_lt_u32_e32 vcc, 12, v0
	s_waitcnt vmcnt(15)
	v_mov_b32_e32 v76, v59
	s_waitcnt vmcnt(14)
	v_mov_b32_e32 v78, v61
	s_waitcnt lgkmcnt(3)
	v_pk_mul_f32 v[76:77], v[46:47], v[76:77] op_sel_hi:[1,0]
	s_waitcnt vmcnt(13)
	v_mov_b32_e32 v80, v63
	v_pk_mul_f32 v[78:79], v[48:49], v[78:79] op_sel_hi:[1,0]
	s_waitcnt vmcnt(12)
	v_mov_b32_e32 v82, v65
	s_waitcnt lgkmcnt(2)
	v_pk_mul_f32 v[80:81], v[50:51], v[80:81] op_sel_hi:[1,0]
	s_waitcnt vmcnt(8)
	v_pk_fma_f32 v[90:91], v[46:47], v[58:59], v[76:77] op_sel:[0,0,1] op_sel_hi:[1,1,0] neg_lo:[0,0,1] neg_hi:[0,0,1]
	v_pk_fma_f32 v[46:47], v[46:47], v[58:59], v[76:77] op_sel:[0,0,1] op_sel_hi:[1,0,0]
	s_waitcnt vmcnt(7)
	v_pk_fma_f32 v[58:59], v[48:49], v[60:61], v[78:79] op_sel:[0,0,1] op_sel_hi:[1,1,0] neg_lo:[0,0,1] neg_hi:[0,0,1]
	v_pk_fma_f32 v[48:49], v[48:49], v[60:61], v[78:79] op_sel:[0,0,1] op_sel_hi:[1,0,0]
	v_mov_b32_e32 v91, v47
	v_mov_b32_e32 v84, v67
	v_pk_mul_f32 v[82:83], v[52:53], v[82:83] op_sel_hi:[1,0]
	s_waitcnt vmcnt(6)
	v_pk_fma_f32 v[60:61], v[50:51], v[62:63], v[80:81] op_sel:[0,0,1] op_sel_hi:[1,1,0] neg_lo:[0,0,1] neg_hi:[0,0,1]
	v_pk_fma_f32 v[50:51], v[50:51], v[62:63], v[80:81] op_sel:[0,0,1] op_sel_hi:[1,0,0]
	v_mov_b32_e32 v59, v49
	v_pk_add_f32 v[46:47], v[90:91], 0 op_sel_hi:[1,0]
	v_mov_b32_e32 v86, v69
	s_waitcnt lgkmcnt(1)
	v_pk_mul_f32 v[84:85], v[54:55], v[84:85] op_sel_hi:[1,0]
	s_waitcnt vmcnt(5)
	v_pk_fma_f32 v[62:63], v[52:53], v[64:65], v[82:83] op_sel:[0,0,1] op_sel_hi:[1,1,0] neg_lo:[0,0,1] neg_hi:[0,0,1]
	v_pk_fma_f32 v[52:53], v[52:53], v[64:65], v[82:83] op_sel:[0,0,1] op_sel_hi:[1,0,0]
	v_mov_b32_e32 v61, v51
	v_pk_add_f32 v[46:47], v[46:47], v[58:59]
	v_mov_b32_e32 v88, v71
	v_pk_mul_f32 v[86:87], v[56:57], v[86:87] op_sel_hi:[1,0]
	s_waitcnt vmcnt(4)
	v_pk_fma_f32 v[64:65], v[54:55], v[66:67], v[84:85] op_sel:[0,0,1] op_sel_hi:[1,1,0] neg_lo:[0,0,1] neg_hi:[0,0,1]
	v_pk_fma_f32 v[54:55], v[54:55], v[66:67], v[84:85] op_sel:[0,0,1] op_sel_hi:[1,0,0]
	v_mov_b32_e32 v63, v53
	v_pk_add_f32 v[46:47], v[46:47], v[60:61]
	s_waitcnt lgkmcnt(0)
	v_pk_mul_f32 v[88:89], v[74:75], v[88:89] op_sel_hi:[1,0]
	s_waitcnt vmcnt(3)
	v_pk_fma_f32 v[66:67], v[56:57], v[68:69], v[86:87] op_sel:[0,0,1] op_sel_hi:[1,1,0] neg_lo:[0,0,1] neg_hi:[0,0,1]
	v_pk_fma_f32 v[56:57], v[56:57], v[68:69], v[86:87] op_sel:[0,0,1] op_sel_hi:[1,0,0]
	v_mov_b32_e32 v65, v55
	v_pk_add_f32 v[46:47], v[46:47], v[62:63]
	s_waitcnt vmcnt(2)
	v_pk_fma_f32 v[68:69], v[74:75], v[70:71], v[88:89] op_sel:[0,0,1] op_sel_hi:[1,1,0] neg_lo:[0,0,1] neg_hi:[0,0,1]
	v_pk_fma_f32 v[70:71], v[74:75], v[70:71], v[88:89] op_sel:[0,0,1] op_sel_hi:[1,0,0]
	v_mov_b32_e32 v67, v57
	v_pk_add_f32 v[46:47], v[46:47], v[64:65]
	v_mov_b32_e32 v69, v71
	v_pk_add_f32 v[46:47], v[46:47], v[66:67]
	v_pk_add_f32 v[46:47], v[46:47], v[68:69]
	s_waitcnt vmcnt(0)
	v_pk_add_f32 v[46:47], v[72:73], v[46:47] neg_lo:[0,1] neg_hi:[0,1]
	buffer_store_dword v46, off, s[0:3], 0 offset:104
	buffer_store_dword v47, off, s[0:3], 0 offset:108
	s_and_saveexec_b64 s[4:5], vcc
	s_cbranch_execz .LBB84_115
; %bb.114:
	buffer_load_dword v46, off, s[0:3], 0 offset:96
	buffer_load_dword v47, off, s[0:3], 0 offset:100
	s_waitcnt vmcnt(0)
	ds_write_b64 v1, v[46:47]
	buffer_store_dword v44, off, s[0:3], 0 offset:96
	buffer_store_dword v44, off, s[0:3], 0 offset:100
.LBB84_115:
	s_or_b64 exec, exec, s[4:5]
	s_waitcnt lgkmcnt(0)
	; wave barrier
	s_waitcnt lgkmcnt(0)
	buffer_load_dword v63, off, s[0:3], 0 offset:108
	buffer_load_dword v65, off, s[0:3], 0 offset:116
	;; [unrolled: 1-line block ×18, first 2 shown]
	ds_read2_b64 v[46:49], v44 offset0:35 offset1:36
	ds_read2_b64 v[50:53], v44 offset0:37 offset1:38
	;; [unrolled: 1-line block ×4, first 2 shown]
	v_cmp_lt_u32_e32 vcc, 11, v0
	s_waitcnt vmcnt(17)
	v_mov_b32_e32 v44, v63
	s_waitcnt vmcnt(16)
	v_mov_b32_e32 v80, v65
	s_waitcnt lgkmcnt(3)
	v_pk_mul_f32 v[44:45], v[46:47], v[44:45] op_sel_hi:[1,0]
	s_waitcnt vmcnt(15)
	v_mov_b32_e32 v82, v67
	v_pk_mul_f32 v[80:81], v[48:49], v[80:81] op_sel_hi:[1,0]
	s_waitcnt vmcnt(14)
	v_mov_b32_e32 v84, v69
	s_waitcnt lgkmcnt(2)
	v_pk_mul_f32 v[82:83], v[50:51], v[82:83] op_sel_hi:[1,0]
	s_waitcnt vmcnt(13)
	v_mov_b32_e32 v86, v71
	s_waitcnt vmcnt(9)
	v_pk_fma_f32 v[94:95], v[46:47], v[62:63], v[44:45] op_sel:[0,0,1] op_sel_hi:[1,1,0] neg_lo:[0,0,1] neg_hi:[0,0,1]
	v_pk_fma_f32 v[44:45], v[46:47], v[62:63], v[44:45] op_sel:[0,0,1] op_sel_hi:[1,0,0]
	s_waitcnt vmcnt(8)
	v_pk_fma_f32 v[46:47], v[48:49], v[64:65], v[80:81] op_sel:[0,0,1] op_sel_hi:[1,1,0] neg_lo:[0,0,1] neg_hi:[0,0,1]
	v_pk_fma_f32 v[48:49], v[48:49], v[64:65], v[80:81] op_sel:[0,0,1] op_sel_hi:[1,0,0]
	v_mov_b32_e32 v95, v45
	v_pk_mul_f32 v[84:85], v[52:53], v[84:85] op_sel_hi:[1,0]
	s_waitcnt vmcnt(7)
	v_pk_fma_f32 v[62:63], v[50:51], v[66:67], v[82:83] op_sel:[0,0,1] op_sel_hi:[1,1,0] neg_lo:[0,0,1] neg_hi:[0,0,1]
	v_pk_fma_f32 v[50:51], v[50:51], v[66:67], v[82:83] op_sel:[0,0,1] op_sel_hi:[1,0,0]
	v_mov_b32_e32 v47, v49
	v_pk_add_f32 v[44:45], v[94:95], 0 op_sel_hi:[1,0]
	v_mov_b32_e32 v88, v73
	s_waitcnt lgkmcnt(1)
	v_pk_mul_f32 v[86:87], v[54:55], v[86:87] op_sel_hi:[1,0]
	s_waitcnt vmcnt(6)
	v_pk_fma_f32 v[64:65], v[52:53], v[68:69], v[84:85] op_sel:[0,0,1] op_sel_hi:[1,1,0] neg_lo:[0,0,1] neg_hi:[0,0,1]
	v_pk_fma_f32 v[52:53], v[52:53], v[68:69], v[84:85] op_sel:[0,0,1] op_sel_hi:[1,0,0]
	v_mov_b32_e32 v63, v51
	v_pk_add_f32 v[44:45], v[44:45], v[46:47]
	v_mov_b32_e32 v90, v75
	v_pk_mul_f32 v[88:89], v[56:57], v[88:89] op_sel_hi:[1,0]
	s_waitcnt vmcnt(5)
	v_pk_fma_f32 v[66:67], v[54:55], v[70:71], v[86:87] op_sel:[0,0,1] op_sel_hi:[1,1,0] neg_lo:[0,0,1] neg_hi:[0,0,1]
	v_pk_fma_f32 v[54:55], v[54:55], v[70:71], v[86:87] op_sel:[0,0,1] op_sel_hi:[1,0,0]
	v_mov_b32_e32 v65, v53
	v_pk_add_f32 v[44:45], v[44:45], v[62:63]
	v_mov_b32_e32 v92, v77
	s_waitcnt lgkmcnt(0)
	v_pk_mul_f32 v[90:91], v[58:59], v[90:91] op_sel_hi:[1,0]
	s_waitcnt vmcnt(4)
	v_pk_fma_f32 v[68:69], v[56:57], v[72:73], v[88:89] op_sel:[0,0,1] op_sel_hi:[1,1,0] neg_lo:[0,0,1] neg_hi:[0,0,1]
	v_pk_fma_f32 v[56:57], v[56:57], v[72:73], v[88:89] op_sel:[0,0,1] op_sel_hi:[1,0,0]
	v_mov_b32_e32 v67, v55
	v_pk_add_f32 v[44:45], v[44:45], v[64:65]
	v_pk_mul_f32 v[92:93], v[60:61], v[92:93] op_sel_hi:[1,0]
	s_waitcnt vmcnt(3)
	v_pk_fma_f32 v[70:71], v[58:59], v[74:75], v[90:91] op_sel:[0,0,1] op_sel_hi:[1,1,0] neg_lo:[0,0,1] neg_hi:[0,0,1]
	v_pk_fma_f32 v[58:59], v[58:59], v[74:75], v[90:91] op_sel:[0,0,1] op_sel_hi:[1,0,0]
	v_mov_b32_e32 v69, v57
	v_pk_add_f32 v[44:45], v[44:45], v[66:67]
	s_waitcnt vmcnt(2)
	v_pk_fma_f32 v[72:73], v[60:61], v[76:77], v[92:93] op_sel:[0,0,1] op_sel_hi:[1,1,0] neg_lo:[0,0,1] neg_hi:[0,0,1]
	v_pk_fma_f32 v[60:61], v[60:61], v[76:77], v[92:93] op_sel:[0,0,1] op_sel_hi:[1,0,0]
	v_mov_b32_e32 v71, v59
	v_pk_add_f32 v[44:45], v[44:45], v[68:69]
	v_mov_b32_e32 v73, v61
	v_pk_add_f32 v[44:45], v[44:45], v[70:71]
	v_pk_add_f32 v[44:45], v[44:45], v[72:73]
	s_waitcnt vmcnt(0)
	v_pk_add_f32 v[44:45], v[78:79], v[44:45] neg_lo:[0,1] neg_hi:[0,1]
	buffer_store_dword v44, off, s[0:3], 0 offset:96
	buffer_store_dword v45, off, s[0:3], 0 offset:100
	s_and_saveexec_b64 s[4:5], vcc
	s_cbranch_execz .LBB84_117
; %bb.116:
	buffer_load_dword v44, off, s[0:3], 0 offset:88
	buffer_load_dword v45, off, s[0:3], 0 offset:92
	v_mov_b32_e32 v46, 0
	buffer_store_dword v46, off, s[0:3], 0 offset:88
	buffer_store_dword v46, off, s[0:3], 0 offset:92
	s_waitcnt vmcnt(2)
	ds_write_b64 v1, v[44:45]
.LBB84_117:
	s_or_b64 exec, exec, s[4:5]
	s_waitcnt lgkmcnt(0)
	; wave barrier
	s_waitcnt lgkmcnt(0)
	buffer_load_dword v45, off, s[0:3], 0 offset:100
	buffer_load_dword v63, off, s[0:3], 0 offset:108
	;; [unrolled: 1-line block ×20, first 2 shown]
	v_mov_b32_e32 v44, 0
	ds_read_b128 v[46:49], v44 offset:272
	ds_read_b128 v[50:53], v44 offset:288
	;; [unrolled: 1-line block ×4, first 2 shown]
	ds_read_b64 v[80:81], v44 offset:336
	v_cmp_lt_u32_e32 vcc, 10, v0
	s_waitcnt vmcnt(19) lgkmcnt(4)
	v_mul_f32_e32 v83, v46, v45
	v_mul_f32_e32 v45, v47, v45
	s_waitcnt vmcnt(18)
	v_mov_b32_e32 v84, v63
	s_waitcnt vmcnt(17)
	v_mov_b32_e32 v86, v65
	;; [unrolled: 2-line block ×8, first 2 shown]
	s_waitcnt vmcnt(10)
	v_fmac_f32_e32 v83, v47, v82
	v_fma_f32 v82, v46, v82, -v45
	v_pk_mul_f32 v[46:47], v[48:49], v[84:85] op_sel_hi:[1,0]
	s_waitcnt lgkmcnt(3)
	v_pk_mul_f32 v[84:85], v[50:51], v[86:87] op_sel_hi:[1,0]
	v_pk_mul_f32 v[86:87], v[52:53], v[88:89] op_sel_hi:[1,0]
	s_waitcnt lgkmcnt(2)
	v_pk_mul_f32 v[88:89], v[54:55], v[90:91] op_sel_hi:[1,0]
	;; [unrolled: 3-line block ×4, first 2 shown]
	s_waitcnt vmcnt(9)
	v_pk_fma_f32 v[98:99], v[48:49], v[62:63], v[46:47] op_sel:[0,0,1] op_sel_hi:[1,1,0] neg_lo:[0,0,1] neg_hi:[0,0,1]
	v_pk_fma_f32 v[46:47], v[48:49], v[62:63], v[46:47] op_sel:[0,0,1] op_sel_hi:[1,0,0]
	v_pk_add_f32 v[82:83], v[82:83], 0 op_sel_hi:[1,0]
	s_waitcnt vmcnt(8)
	v_pk_fma_f32 v[48:49], v[50:51], v[64:65], v[84:85] op_sel:[0,0,1] op_sel_hi:[1,1,0] neg_lo:[0,0,1] neg_hi:[0,0,1]
	v_pk_fma_f32 v[50:51], v[50:51], v[64:65], v[84:85] op_sel:[0,0,1] op_sel_hi:[1,0,0]
	v_mov_b32_e32 v99, v47
	s_waitcnt vmcnt(7)
	v_pk_fma_f32 v[62:63], v[52:53], v[66:67], v[86:87] op_sel:[0,0,1] op_sel_hi:[1,1,0] neg_lo:[0,0,1] neg_hi:[0,0,1]
	v_pk_fma_f32 v[52:53], v[52:53], v[66:67], v[86:87] op_sel:[0,0,1] op_sel_hi:[1,0,0]
	v_mov_b32_e32 v49, v51
	v_pk_add_f32 v[46:47], v[82:83], v[98:99]
	s_waitcnt vmcnt(6)
	v_pk_fma_f32 v[64:65], v[54:55], v[68:69], v[88:89] op_sel:[0,0,1] op_sel_hi:[1,1,0] neg_lo:[0,0,1] neg_hi:[0,0,1]
	v_pk_fma_f32 v[54:55], v[54:55], v[68:69], v[88:89] op_sel:[0,0,1] op_sel_hi:[1,0,0]
	v_mov_b32_e32 v63, v53
	v_pk_add_f32 v[46:47], v[46:47], v[48:49]
	;; [unrolled: 5-line block ×6, first 2 shown]
	v_mov_b32_e32 v73, v75
	v_pk_add_f32 v[46:47], v[46:47], v[70:71]
	v_pk_add_f32 v[46:47], v[46:47], v[72:73]
	s_waitcnt vmcnt(0)
	v_pk_add_f32 v[46:47], v[78:79], v[46:47] neg_lo:[0,1] neg_hi:[0,1]
	buffer_store_dword v46, off, s[0:3], 0 offset:88
	buffer_store_dword v47, off, s[0:3], 0 offset:92
	s_and_saveexec_b64 s[4:5], vcc
	s_cbranch_execz .LBB84_119
; %bb.118:
	buffer_load_dword v46, off, s[0:3], 0 offset:80
	buffer_load_dword v47, off, s[0:3], 0 offset:84
	s_waitcnt vmcnt(0)
	ds_write_b64 v1, v[46:47]
	buffer_store_dword v44, off, s[0:3], 0 offset:80
	buffer_store_dword v44, off, s[0:3], 0 offset:84
.LBB84_119:
	s_or_b64 exec, exec, s[4:5]
	s_waitcnt lgkmcnt(0)
	; wave barrier
	s_waitcnt lgkmcnt(0)
	buffer_load_dword v84, off, s[0:3], 0 offset:92
	buffer_load_dword v86, off, s[0:3], 0 offset:100
	buffer_load_dword v67, off, s[0:3], 0 offset:108
	buffer_load_dword v69, off, s[0:3], 0 offset:116
	buffer_load_dword v71, off, s[0:3], 0 offset:124
	buffer_load_dword v73, off, s[0:3], 0 offset:132
	buffer_load_dword v75, off, s[0:3], 0 offset:140
	buffer_load_dword v77, off, s[0:3], 0 offset:148
	buffer_load_dword v79, off, s[0:3], 0 offset:156
	buffer_load_dword v81, off, s[0:3], 0 offset:164
	buffer_load_dword v87, off, s[0:3], 0 offset:88
	buffer_load_dword v89, off, s[0:3], 0 offset:96
	buffer_load_dword v66, off, s[0:3], 0 offset:104
	buffer_load_dword v68, off, s[0:3], 0 offset:112
	buffer_load_dword v70, off, s[0:3], 0 offset:120
	buffer_load_dword v72, off, s[0:3], 0 offset:128
	buffer_load_dword v74, off, s[0:3], 0 offset:136
	buffer_load_dword v80, off, s[0:3], 0 offset:160
	buffer_load_dword v78, off, s[0:3], 0 offset:152
	buffer_load_dword v76, off, s[0:3], 0 offset:144
	buffer_load_dword v82, off, s[0:3], 0 offset:80
	buffer_load_dword v83, off, s[0:3], 0 offset:84
	ds_read2_b64 v[46:49], v44 offset0:33 offset1:34
	ds_read2_b64 v[50:53], v44 offset0:35 offset1:36
	ds_read2_b64 v[54:57], v44 offset0:37 offset1:38
	ds_read2_b64 v[58:61], v44 offset0:39 offset1:40
	ds_read2_b64 v[62:65], v44 offset0:41 offset1:42
	v_cmp_lt_u32_e32 vcc, 9, v0
	s_waitcnt vmcnt(21) lgkmcnt(4)
	v_mul_f32_e32 v45, v46, v84
	s_waitcnt vmcnt(20)
	v_mul_f32_e32 v85, v48, v86
	v_mul_f32_e32 v44, v47, v84
	;; [unrolled: 1-line block ×3, first 2 shown]
	s_waitcnt vmcnt(19)
	v_mov_b32_e32 v86, v67
	s_waitcnt vmcnt(18)
	v_mov_b32_e32 v88, v69
	;; [unrolled: 2-line block ×5, first 2 shown]
	v_mov_b32_e32 v92, v73
	s_waitcnt vmcnt(11)
	v_fmac_f32_e32 v45, v47, v87
	v_fma_f32 v44, v46, v87, -v44
	s_waitcnt lgkmcnt(3)
	v_pk_mul_f32 v[46:47], v[50:51], v[86:87] op_sel_hi:[1,0]
	s_waitcnt vmcnt(10)
	v_fmac_f32_e32 v85, v49, v89
	v_fma_f32 v84, v48, v89, -v84
	v_pk_mul_f32 v[48:49], v[52:53], v[88:89] op_sel_hi:[1,0]
	s_waitcnt lgkmcnt(2)
	v_pk_mul_f32 v[86:87], v[54:55], v[90:91] op_sel_hi:[1,0]
	s_waitcnt lgkmcnt(1)
	;; [unrolled: 2-line block ×3, first 2 shown]
	v_pk_mul_f32 v[94:95], v[62:63], v[98:99] op_sel_hi:[1,0]
	v_pk_add_f32 v[44:45], v[44:45], 0 op_sel_hi:[1,0]
	s_waitcnt vmcnt(9)
	v_pk_fma_f32 v[98:99], v[50:51], v[66:67], v[46:47] op_sel:[0,0,1] op_sel_hi:[1,1,0] neg_lo:[0,0,1] neg_hi:[0,0,1]
	v_pk_fma_f32 v[46:47], v[50:51], v[66:67], v[46:47] op_sel:[0,0,1] op_sel_hi:[1,0,0]
	s_waitcnt vmcnt(8)
	v_pk_fma_f32 v[50:51], v[52:53], v[68:69], v[48:49] op_sel:[0,0,1] op_sel_hi:[1,1,0] neg_lo:[0,0,1] neg_hi:[0,0,1]
	v_pk_fma_f32 v[48:49], v[52:53], v[68:69], v[48:49] op_sel:[0,0,1] op_sel_hi:[1,0,0]
	v_pk_add_f32 v[44:45], v[44:45], v[84:85]
	v_mov_b32_e32 v99, v47
	v_pk_mul_f32 v[88:89], v[56:57], v[92:93] op_sel_hi:[1,0]
	s_waitcnt vmcnt(7)
	v_pk_fma_f32 v[52:53], v[54:55], v[70:71], v[86:87] op_sel:[0,0,1] op_sel_hi:[1,1,0] neg_lo:[0,0,1] neg_hi:[0,0,1]
	v_pk_fma_f32 v[54:55], v[54:55], v[70:71], v[86:87] op_sel:[0,0,1] op_sel_hi:[1,0,0]
	v_mov_b32_e32 v51, v49
	v_pk_add_f32 v[44:45], v[44:45], v[98:99]
	v_mov_b32_e32 v96, v77
	s_waitcnt vmcnt(6)
	v_pk_fma_f32 v[66:67], v[56:57], v[72:73], v[88:89] op_sel:[0,0,1] op_sel_hi:[1,1,0] neg_lo:[0,0,1] neg_hi:[0,0,1]
	v_pk_fma_f32 v[56:57], v[56:57], v[72:73], v[88:89] op_sel:[0,0,1] op_sel_hi:[1,0,0]
	v_mov_b32_e32 v53, v55
	v_pk_add_f32 v[44:45], v[44:45], v[50:51]
	v_pk_mul_f32 v[92:93], v[60:61], v[96:97] op_sel_hi:[1,0]
	s_waitcnt vmcnt(5)
	v_pk_fma_f32 v[68:69], v[58:59], v[74:75], v[90:91] op_sel:[0,0,1] op_sel_hi:[1,1,0] neg_lo:[0,0,1] neg_hi:[0,0,1]
	v_pk_fma_f32 v[58:59], v[58:59], v[74:75], v[90:91] op_sel:[0,0,1] op_sel_hi:[1,0,0]
	v_mov_b32_e32 v67, v57
	v_pk_add_f32 v[44:45], v[44:45], v[52:53]
	v_mov_b32_e32 v100, v81
	s_waitcnt vmcnt(2)
	v_pk_fma_f32 v[70:71], v[60:61], v[76:77], v[92:93] op_sel:[0,0,1] op_sel_hi:[1,1,0] neg_lo:[0,0,1] neg_hi:[0,0,1]
	v_pk_fma_f32 v[60:61], v[60:61], v[76:77], v[92:93] op_sel:[0,0,1] op_sel_hi:[1,0,0]
	v_mov_b32_e32 v69, v59
	v_pk_add_f32 v[44:45], v[44:45], v[66:67]
	v_pk_mul_f32 v[96:97], v[64:65], v[100:101] op_sel_hi:[1,0]
	v_pk_fma_f32 v[72:73], v[62:63], v[78:79], v[94:95] op_sel:[0,0,1] op_sel_hi:[1,1,0] neg_lo:[0,0,1] neg_hi:[0,0,1]
	v_pk_fma_f32 v[62:63], v[62:63], v[78:79], v[94:95] op_sel:[0,0,1] op_sel_hi:[1,0,0]
	v_mov_b32_e32 v71, v61
	v_pk_add_f32 v[44:45], v[44:45], v[68:69]
	v_pk_fma_f32 v[74:75], v[64:65], v[80:81], v[96:97] op_sel:[0,0,1] op_sel_hi:[1,1,0] neg_lo:[0,0,1] neg_hi:[0,0,1]
	v_pk_fma_f32 v[64:65], v[64:65], v[80:81], v[96:97] op_sel:[0,0,1] op_sel_hi:[1,0,0]
	v_mov_b32_e32 v73, v63
	v_pk_add_f32 v[44:45], v[44:45], v[70:71]
	v_mov_b32_e32 v75, v65
	v_pk_add_f32 v[44:45], v[44:45], v[72:73]
	v_pk_add_f32 v[44:45], v[44:45], v[74:75]
	s_waitcnt vmcnt(0)
	v_pk_add_f32 v[44:45], v[82:83], v[44:45] neg_lo:[0,1] neg_hi:[0,1]
	buffer_store_dword v44, off, s[0:3], 0 offset:80
	buffer_store_dword v45, off, s[0:3], 0 offset:84
	s_and_saveexec_b64 s[4:5], vcc
	s_cbranch_execz .LBB84_121
; %bb.120:
	buffer_load_dword v44, off, s[0:3], 0 offset:72
	buffer_load_dword v45, off, s[0:3], 0 offset:76
	v_mov_b32_e32 v46, 0
	buffer_store_dword v46, off, s[0:3], 0 offset:72
	buffer_store_dword v46, off, s[0:3], 0 offset:76
	s_waitcnt vmcnt(2)
	ds_write_b64 v1, v[44:45]
.LBB84_121:
	s_or_b64 exec, exec, s[4:5]
	s_waitcnt lgkmcnt(0)
	; wave barrier
	s_waitcnt lgkmcnt(0)
	buffer_load_dword v45, off, s[0:3], 0 offset:84
	buffer_load_dword v86, off, s[0:3], 0 offset:92
	buffer_load_dword v88, off, s[0:3], 0 offset:100
	buffer_load_dword v67, off, s[0:3], 0 offset:108
	buffer_load_dword v69, off, s[0:3], 0 offset:116
	buffer_load_dword v71, off, s[0:3], 0 offset:124
	buffer_load_dword v73, off, s[0:3], 0 offset:132
	buffer_load_dword v75, off, s[0:3], 0 offset:140
	buffer_load_dword v77, off, s[0:3], 0 offset:148
	buffer_load_dword v79, off, s[0:3], 0 offset:156
	buffer_load_dword v81, off, s[0:3], 0 offset:164
	buffer_load_dword v91, off, s[0:3], 0 offset:80
	buffer_load_dword v93, off, s[0:3], 0 offset:88
	buffer_load_dword v95, off, s[0:3], 0 offset:96
	buffer_load_dword v66, off, s[0:3], 0 offset:104
	buffer_load_dword v68, off, s[0:3], 0 offset:112
	buffer_load_dword v70, off, s[0:3], 0 offset:120
	buffer_load_dword v72, off, s[0:3], 0 offset:128
	buffer_load_dword v80, off, s[0:3], 0 offset:160
	buffer_load_dword v78, off, s[0:3], 0 offset:152
	buffer_load_dword v76, off, s[0:3], 0 offset:144
	buffer_load_dword v74, off, s[0:3], 0 offset:136
	buffer_load_dword v82, off, s[0:3], 0 offset:72
	buffer_load_dword v83, off, s[0:3], 0 offset:76
	v_mov_b32_e32 v44, 0
	ds_read_b128 v[46:49], v44 offset:256
	ds_read_b128 v[50:53], v44 offset:272
	;; [unrolled: 1-line block ×5, first 2 shown]
	ds_read_b64 v[84:85], v44 offset:336
	v_cmp_lt_u32_e32 vcc, 8, v0
	s_waitcnt vmcnt(23) lgkmcnt(5)
	v_mul_f32_e32 v99, v46, v45
	v_mul_f32_e32 v45, v47, v45
	s_waitcnt vmcnt(22)
	v_mul_f32_e32 v87, v48, v86
	s_waitcnt vmcnt(21) lgkmcnt(4)
	v_mul_f32_e32 v89, v50, v88
	v_mul_f32_e32 v86, v49, v86
	;; [unrolled: 1-line block ×3, first 2 shown]
	s_waitcnt vmcnt(20)
	v_mov_b32_e32 v90, v67
	s_waitcnt vmcnt(19)
	v_mov_b32_e32 v92, v69
	;; [unrolled: 2-line block ×5, first 2 shown]
	s_waitcnt vmcnt(12)
	v_fmac_f32_e32 v99, v47, v91
	v_fma_f32 v45, v46, v91, -v45
	v_mov_b32_e32 v100, v77
	s_waitcnt vmcnt(11)
	v_fmac_f32_e32 v87, v49, v93
	s_waitcnt vmcnt(10)
	v_fmac_f32_e32 v89, v51, v95
	v_fma_f32 v86, v48, v93, -v86
	v_fma_f32 v88, v50, v95, -v88
	v_pk_mul_f32 v[46:47], v[52:53], v[90:91] op_sel_hi:[1,0]
	s_waitcnt lgkmcnt(3)
	v_pk_mul_f32 v[48:49], v[54:55], v[92:93] op_sel_hi:[1,0]
	v_pk_mul_f32 v[50:51], v[56:57], v[94:95] op_sel_hi:[1,0]
	s_waitcnt lgkmcnt(2)
	v_pk_mul_f32 v[90:91], v[58:59], v[96:97] op_sel_hi:[1,0]
	v_pk_mul_f32 v[92:93], v[60:61], v[98:99] op_sel_hi:[1,0]
	v_add_f32_e32 v99, 0, v99
	v_add_f32_e32 v98, 0, v45
	s_waitcnt lgkmcnt(1)
	v_pk_mul_f32 v[94:95], v[62:63], v[100:101] op_sel_hi:[1,0]
	s_waitcnt vmcnt(9)
	v_pk_fma_f32 v[100:101], v[52:53], v[66:67], v[46:47] op_sel:[0,0,1] op_sel_hi:[1,1,0] neg_lo:[0,0,1] neg_hi:[0,0,1]
	v_pk_fma_f32 v[46:47], v[52:53], v[66:67], v[46:47] op_sel:[0,0,1] op_sel_hi:[1,0,0]
	s_waitcnt vmcnt(8)
	v_pk_fma_f32 v[52:53], v[54:55], v[68:69], v[48:49] op_sel:[0,0,1] op_sel_hi:[1,1,0] neg_lo:[0,0,1] neg_hi:[0,0,1]
	v_pk_fma_f32 v[48:49], v[54:55], v[68:69], v[48:49] op_sel:[0,0,1] op_sel_hi:[1,0,0]
	;; [unrolled: 3-line block ×4, first 2 shown]
	v_pk_add_f32 v[72:73], v[98:99], v[86:87]
	v_mov_b32_e32 v101, v47
	v_pk_add_f32 v[46:47], v[72:73], v[88:89]
	v_mov_b32_e32 v53, v49
	;; [unrolled: 2-line block ×4, first 2 shown]
	s_waitcnt vmcnt(2)
	v_pk_fma_f32 v[66:67], v[60:61], v[74:75], v[92:93] op_sel:[0,0,1] op_sel_hi:[1,1,0] neg_lo:[0,0,1] neg_hi:[0,0,1]
	v_pk_fma_f32 v[60:61], v[60:61], v[74:75], v[92:93] op_sel:[0,0,1] op_sel_hi:[1,0,0]
	v_mov_b32_e32 v57, v59
	v_pk_add_f32 v[46:47], v[46:47], v[54:55]
	v_mov_b32_e32 v104, v81
	v_pk_mul_f32 v[96:97], v[64:65], v[102:103] op_sel_hi:[1,0]
	v_pk_fma_f32 v[68:69], v[62:63], v[76:77], v[94:95] op_sel:[0,0,1] op_sel_hi:[1,1,0] neg_lo:[0,0,1] neg_hi:[0,0,1]
	v_pk_fma_f32 v[62:63], v[62:63], v[76:77], v[94:95] op_sel:[0,0,1] op_sel_hi:[1,0,0]
	v_mov_b32_e32 v67, v61
	v_pk_add_f32 v[46:47], v[46:47], v[56:57]
	v_pk_fma_f32 v[70:71], v[64:65], v[78:79], v[96:97] op_sel:[0,0,1] op_sel_hi:[1,1,0] neg_lo:[0,0,1] neg_hi:[0,0,1]
	v_pk_fma_f32 v[64:65], v[64:65], v[78:79], v[96:97] op_sel:[0,0,1] op_sel_hi:[1,0,0]
	v_mov_b32_e32 v69, v63
	v_pk_add_f32 v[46:47], v[46:47], v[66:67]
	s_waitcnt lgkmcnt(0)
	v_pk_mul_f32 v[48:49], v[84:85], v[104:105] op_sel_hi:[1,0]
	v_mov_b32_e32 v71, v65
	v_pk_add_f32 v[46:47], v[46:47], v[68:69]
	v_pk_fma_f32 v[50:51], v[84:85], v[80:81], v[48:49] op_sel:[0,0,1] op_sel_hi:[1,1,0] neg_lo:[0,0,1] neg_hi:[0,0,1]
	v_pk_fma_f32 v[48:49], v[84:85], v[80:81], v[48:49] op_sel:[0,0,1] op_sel_hi:[1,0,0]
	v_pk_add_f32 v[46:47], v[46:47], v[70:71]
	v_mov_b32_e32 v51, v49
	v_pk_add_f32 v[46:47], v[46:47], v[50:51]
	s_waitcnt vmcnt(0)
	v_pk_add_f32 v[46:47], v[82:83], v[46:47] neg_lo:[0,1] neg_hi:[0,1]
	buffer_store_dword v47, off, s[0:3], 0 offset:76
	buffer_store_dword v46, off, s[0:3], 0 offset:72
	s_and_saveexec_b64 s[4:5], vcc
	s_cbranch_execz .LBB84_123
; %bb.122:
	buffer_load_dword v46, off, s[0:3], 0 offset:64
	buffer_load_dword v47, off, s[0:3], 0 offset:68
	s_waitcnt vmcnt(0)
	ds_write_b64 v1, v[46:47]
	buffer_store_dword v44, off, s[0:3], 0 offset:64
	buffer_store_dword v44, off, s[0:3], 0 offset:68
.LBB84_123:
	s_or_b64 exec, exec, s[4:5]
	s_waitcnt lgkmcnt(0)
	; wave barrier
	s_waitcnt lgkmcnt(0)
	buffer_load_dword v88, off, s[0:3], 0 offset:76
	buffer_load_dword v90, off, s[0:3], 0 offset:84
	;; [unrolled: 1-line block ×26, first 2 shown]
	ds_read2_b64 v[46:49], v44 offset0:31 offset1:32
	ds_read2_b64 v[50:53], v44 offset0:33 offset1:34
	;; [unrolled: 1-line block ×6, first 2 shown]
	v_cmp_lt_u32_e32 vcc, 7, v0
	s_waitcnt vmcnt(25) lgkmcnt(5)
	v_mul_f32_e32 v101, v46, v88
	v_mul_f32_e32 v44, v47, v88
	s_waitcnt vmcnt(24)
	v_mul_f32_e32 v102, v48, v90
	s_waitcnt vmcnt(23) lgkmcnt(4)
	v_mul_f32_e32 v45, v50, v91
	s_waitcnt vmcnt(22)
	v_mul_f32_e32 v89, v52, v92
	v_mul_f32_e32 v88, v49, v90
	;; [unrolled: 1-line block ×4, first 2 shown]
	s_waitcnt vmcnt(21)
	v_mov_b32_e32 v90, v71
	s_waitcnt vmcnt(20)
	v_mov_b32_e32 v92, v73
	;; [unrolled: 2-line block ×3, first 2 shown]
	s_waitcnt vmcnt(15)
	v_fmac_f32_e32 v101, v47, v93
	v_fma_f32 v104, v46, v93, -v44
	v_mov_b32_e32 v94, v75
	s_waitcnt vmcnt(14)
	v_fmac_f32_e32 v102, v49, v95
	s_waitcnt vmcnt(13)
	v_fmac_f32_e32 v45, v51, v97
	;; [unrolled: 2-line block ×3, first 2 shown]
	v_fma_f32 v105, v48, v95, -v88
	v_fma_f32 v44, v50, v97, -v91
	;; [unrolled: 1-line block ×3, first 2 shown]
	s_waitcnt lgkmcnt(3)
	v_pk_mul_f32 v[46:47], v[54:55], v[90:91] op_sel_hi:[1,0]
	v_pk_mul_f32 v[48:49], v[56:57], v[92:93] op_sel_hi:[1,0]
	s_waitcnt lgkmcnt(2)
	v_pk_mul_f32 v[52:53], v[60:61], v[96:97] op_sel_hi:[1,0]
	v_add_f32_e32 v96, 0, v101
	v_add_f32_e32 v97, 0, v104
	v_pk_mul_f32 v[50:51], v[58:59], v[94:95] op_sel_hi:[1,0]
	s_waitcnt vmcnt(11)
	v_pk_fma_f32 v[94:95], v[54:55], v[70:71], v[46:47] op_sel:[0,0,1] op_sel_hi:[1,1,0] neg_lo:[0,0,1] neg_hi:[0,0,1]
	v_pk_fma_f32 v[46:47], v[54:55], v[70:71], v[46:47] op_sel:[0,0,1] op_sel_hi:[1,0,0]
	s_waitcnt vmcnt(10)
	v_pk_fma_f32 v[54:55], v[56:57], v[72:73], v[48:49] op_sel:[0,0,1] op_sel_hi:[1,1,0] neg_lo:[0,0,1] neg_hi:[0,0,1]
	v_pk_fma_f32 v[48:49], v[56:57], v[72:73], v[48:49] op_sel:[0,0,1] op_sel_hi:[1,0,0]
	v_add_f32_e32 v73, v96, v102
	v_add_f32_e32 v72, v97, v105
	v_pk_add_f32 v[44:45], v[72:73], v[44:45]
	v_mov_b32_e32 v95, v47
	v_pk_add_f32 v[44:45], v[44:45], v[88:89]
	v_mov_b32_e32 v98, v79
	s_waitcnt vmcnt(9)
	v_pk_fma_f32 v[56:57], v[58:59], v[74:75], v[50:51] op_sel:[0,0,1] op_sel_hi:[1,1,0] neg_lo:[0,0,1] neg_hi:[0,0,1]
	v_pk_fma_f32 v[50:51], v[58:59], v[74:75], v[50:51] op_sel:[0,0,1] op_sel_hi:[1,0,0]
	v_mov_b32_e32 v55, v49
	v_pk_add_f32 v[44:45], v[44:45], v[94:95]
	v_mov_b32_e32 v100, v81
	s_waitcnt lgkmcnt(1)
	v_pk_mul_f32 v[90:91], v[62:63], v[98:99] op_sel_hi:[1,0]
	s_waitcnt vmcnt(5)
	v_pk_fma_f32 v[58:59], v[60:61], v[76:77], v[52:53] op_sel:[0,0,1] op_sel_hi:[1,1,0] neg_lo:[0,0,1] neg_hi:[0,0,1]
	v_pk_fma_f32 v[52:53], v[60:61], v[76:77], v[52:53] op_sel:[0,0,1] op_sel_hi:[1,0,0]
	v_mov_b32_e32 v57, v51
	v_pk_add_f32 v[44:45], v[44:45], v[54:55]
	s_waitcnt vmcnt(4)
	v_mov_b32_e32 v46, v83
	v_pk_mul_f32 v[92:93], v[64:65], v[100:101] op_sel_hi:[1,0]
	v_pk_fma_f32 v[60:61], v[62:63], v[78:79], v[90:91] op_sel:[0,0,1] op_sel_hi:[1,1,0] neg_lo:[0,0,1] neg_hi:[0,0,1]
	v_pk_fma_f32 v[62:63], v[62:63], v[78:79], v[90:91] op_sel:[0,0,1] op_sel_hi:[1,0,0]
	v_mov_b32_e32 v59, v53
	v_pk_add_f32 v[44:45], v[44:45], v[56:57]
	s_waitcnt lgkmcnt(0)
	v_pk_mul_f32 v[46:47], v[66:67], v[46:47] op_sel_hi:[1,0]
	v_pk_fma_f32 v[70:71], v[64:65], v[80:81], v[92:93] op_sel:[0,0,1] op_sel_hi:[1,1,0] neg_lo:[0,0,1] neg_hi:[0,0,1]
	v_pk_fma_f32 v[64:65], v[64:65], v[80:81], v[92:93] op_sel:[0,0,1] op_sel_hi:[1,0,0]
	v_mov_b32_e32 v61, v63
	v_pk_add_f32 v[44:45], v[44:45], v[58:59]
	v_pk_fma_f32 v[48:49], v[66:67], v[82:83], v[46:47] op_sel:[0,0,1] op_sel_hi:[1,1,0] neg_lo:[0,0,1] neg_hi:[0,0,1]
	v_pk_fma_f32 v[46:47], v[66:67], v[82:83], v[46:47] op_sel:[0,0,1] op_sel_hi:[1,0,0]
	v_mov_b32_e32 v71, v65
	v_pk_add_f32 v[44:45], v[44:45], v[60:61]
	s_waitcnt vmcnt(3)
	v_mov_b32_e32 v46, v85
	v_pk_add_f32 v[44:45], v[44:45], v[70:71]
	v_mov_b32_e32 v49, v47
	v_pk_mul_f32 v[46:47], v[68:69], v[46:47] op_sel_hi:[1,0]
	v_pk_add_f32 v[44:45], v[44:45], v[48:49]
	s_waitcnt vmcnt(2)
	v_pk_fma_f32 v[48:49], v[68:69], v[84:85], v[46:47] op_sel:[0,0,1] op_sel_hi:[1,1,0] neg_lo:[0,0,1] neg_hi:[0,0,1]
	v_pk_fma_f32 v[46:47], v[68:69], v[84:85], v[46:47] op_sel:[0,0,1] op_sel_hi:[1,0,0]
	v_mov_b32_e32 v49, v47
	v_pk_add_f32 v[44:45], v[44:45], v[48:49]
	s_waitcnt vmcnt(0)
	v_pk_add_f32 v[44:45], v[86:87], v[44:45] neg_lo:[0,1] neg_hi:[0,1]
	buffer_store_dword v45, off, s[0:3], 0 offset:68
	buffer_store_dword v44, off, s[0:3], 0 offset:64
	s_and_saveexec_b64 s[4:5], vcc
	s_cbranch_execz .LBB84_125
; %bb.124:
	buffer_load_dword v44, off, s[0:3], 0 offset:56
	buffer_load_dword v45, off, s[0:3], 0 offset:60
	v_mov_b32_e32 v46, 0
	buffer_store_dword v46, off, s[0:3], 0 offset:56
	buffer_store_dword v46, off, s[0:3], 0 offset:60
	s_waitcnt vmcnt(2)
	ds_write_b64 v1, v[44:45]
.LBB84_125:
	s_or_b64 exec, exec, s[4:5]
	s_waitcnt lgkmcnt(0)
	; wave barrier
	s_waitcnt lgkmcnt(0)
	buffer_load_dword v45, off, s[0:3], 0 offset:68
	buffer_load_dword v90, off, s[0:3], 0 offset:76
	;; [unrolled: 1-line block ×28, first 2 shown]
	v_mov_b32_e32 v44, 0
	ds_read_b128 v[46:49], v44 offset:240
	ds_read_b128 v[50:53], v44 offset:256
	;; [unrolled: 1-line block ×6, first 2 shown]
	ds_read_b64 v[88:89], v44 offset:336
	v_cmp_lt_u32_e32 vcc, 6, v0
	s_waitcnt vmcnt(27) lgkmcnt(6)
	v_mul_f32_e32 v105, v46, v45
	v_mul_f32_e32 v45, v47, v45
	s_waitcnt vmcnt(26)
	v_mul_f32_e32 v106, v48, v90
	s_waitcnt vmcnt(24) lgkmcnt(5)
	v_mul_f32_e32 v91, v52, v94
	s_waitcnt vmcnt(23) lgkmcnt(4)
	v_mul_f32_e32 v93, v54, v95
	v_mul_f32_e32 v108, v53, v94
	;; [unrolled: 1-line block ×3, first 2 shown]
	s_waitcnt vmcnt(22)
	v_mov_b32_e32 v94, v71
	v_mul_f32_e32 v107, v50, v92
	v_mul_f32_e32 v90, v49, v90
	;; [unrolled: 1-line block ×3, first 2 shown]
	s_waitcnt vmcnt(17)
	v_fmac_f32_e32 v105, v47, v97
	v_fma_f32 v45, v46, v97, -v45
	v_pk_mul_f32 v[46:47], v[56:57], v[94:95] op_sel_hi:[1,0]
	s_waitcnt vmcnt(16)
	v_fmac_f32_e32 v106, v49, v99
	s_waitcnt vmcnt(13)
	v_fmac_f32_e32 v93, v55, v104
	v_fma_f32 v97, v48, v99, -v90
	v_fma_f32 v99, v50, v101, -v92
	;; [unrolled: 1-line block ×3, first 2 shown]
	v_add_f32_e32 v94, 0, v105
	v_add_f32_e32 v45, 0, v45
	s_waitcnt vmcnt(12)
	v_pk_fma_f32 v[54:55], v[56:57], v[70:71], v[46:47] op_sel:[0,0,1] op_sel_hi:[1,1,0] neg_lo:[0,0,1] neg_hi:[0,0,1]
	v_pk_fma_f32 v[46:47], v[56:57], v[70:71], v[46:47] op_sel:[0,0,1] op_sel_hi:[1,0,0]
	v_fmac_f32_e32 v107, v51, v101
	v_add_f32_e32 v46, v94, v106
	v_add_f32_e32 v45, v45, v97
	v_mov_b32_e32 v96, v73
	v_fmac_f32_e32 v91, v53, v103
	v_fma_f32 v90, v52, v103, -v108
	v_mov_b32_e32 v55, v47
	v_add_f32_e32 v47, v46, v107
	v_add_f32_e32 v46, v45, v99
	v_mov_b32_e32 v98, v75
	s_waitcnt lgkmcnt(3)
	v_pk_mul_f32 v[48:49], v[58:59], v[96:97] op_sel_hi:[1,0]
	v_pk_add_f32 v[46:47], v[46:47], v[90:91]
	v_mov_b32_e32 v100, v77
	v_mov_b32_e32 v102, v79
	v_pk_mul_f32 v[50:51], v[60:61], v[98:99] op_sel_hi:[1,0]
	s_waitcnt vmcnt(11)
	v_pk_fma_f32 v[56:57], v[58:59], v[72:73], v[48:49] op_sel:[0,0,1] op_sel_hi:[1,1,0] neg_lo:[0,0,1] neg_hi:[0,0,1]
	v_pk_fma_f32 v[48:49], v[58:59], v[72:73], v[48:49] op_sel:[0,0,1] op_sel_hi:[1,0,0]
	v_pk_add_f32 v[46:47], v[46:47], v[92:93]
	s_waitcnt lgkmcnt(2)
	v_pk_mul_f32 v[52:53], v[62:63], v[100:101] op_sel_hi:[1,0]
	s_waitcnt vmcnt(7)
	v_pk_fma_f32 v[58:59], v[60:61], v[74:75], v[50:51] op_sel:[0,0,1] op_sel_hi:[1,1,0] neg_lo:[0,0,1] neg_hi:[0,0,1]
	v_pk_fma_f32 v[50:51], v[60:61], v[74:75], v[50:51] op_sel:[0,0,1] op_sel_hi:[1,0,0]
	v_mov_b32_e32 v57, v49
	v_pk_add_f32 v[46:47], v[46:47], v[54:55]
	v_pk_mul_f32 v[48:49], v[64:65], v[102:103] op_sel_hi:[1,0]
	v_pk_fma_f32 v[60:61], v[62:63], v[76:77], v[52:53] op_sel:[0,0,1] op_sel_hi:[1,1,0] neg_lo:[0,0,1] neg_hi:[0,0,1]
	v_pk_fma_f32 v[52:53], v[62:63], v[76:77], v[52:53] op_sel:[0,0,1] op_sel_hi:[1,0,0]
	v_mov_b32_e32 v59, v51
	v_pk_add_f32 v[46:47], v[46:47], v[56:57]
	v_pk_fma_f32 v[50:51], v[64:65], v[78:79], v[48:49] op_sel:[0,0,1] op_sel_hi:[1,1,0] neg_lo:[0,0,1] neg_hi:[0,0,1]
	v_pk_fma_f32 v[48:49], v[64:65], v[78:79], v[48:49] op_sel:[0,0,1] op_sel_hi:[1,0,0]
	v_mov_b32_e32 v61, v53
	v_pk_add_f32 v[46:47], v[46:47], v[58:59]
	s_waitcnt vmcnt(6)
	v_mov_b32_e32 v48, v81
	v_pk_add_f32 v[46:47], v[46:47], v[60:61]
	v_mov_b32_e32 v51, v49
	s_waitcnt lgkmcnt(1)
	v_pk_mul_f32 v[48:49], v[66:67], v[48:49] op_sel_hi:[1,0]
	v_pk_add_f32 v[46:47], v[46:47], v[50:51]
	v_pk_fma_f32 v[50:51], v[66:67], v[80:81], v[48:49] op_sel:[0,0,1] op_sel_hi:[1,1,0] neg_lo:[0,0,1] neg_hi:[0,0,1]
	v_pk_fma_f32 v[48:49], v[66:67], v[80:81], v[48:49] op_sel:[0,0,1] op_sel_hi:[1,0,0]
	s_waitcnt vmcnt(5)
	v_mov_b32_e32 v48, v83
	v_mov_b32_e32 v51, v49
	v_pk_mul_f32 v[48:49], v[68:69], v[48:49] op_sel_hi:[1,0]
	v_pk_add_f32 v[46:47], v[46:47], v[50:51]
	s_waitcnt vmcnt(3)
	v_pk_fma_f32 v[50:51], v[68:69], v[82:83], v[48:49] op_sel:[0,0,1] op_sel_hi:[1,1,0] neg_lo:[0,0,1] neg_hi:[0,0,1]
	v_pk_fma_f32 v[48:49], v[68:69], v[82:83], v[48:49] op_sel:[0,0,1] op_sel_hi:[1,0,0]
	s_waitcnt vmcnt(2)
	v_mov_b32_e32 v48, v85
	v_mov_b32_e32 v51, v49
	s_waitcnt lgkmcnt(0)
	v_pk_mul_f32 v[48:49], v[88:89], v[48:49] op_sel_hi:[1,0]
	v_pk_add_f32 v[46:47], v[46:47], v[50:51]
	v_pk_fma_f32 v[50:51], v[88:89], v[84:85], v[48:49] op_sel:[0,0,1] op_sel_hi:[1,1,0] neg_lo:[0,0,1] neg_hi:[0,0,1]
	v_pk_fma_f32 v[48:49], v[88:89], v[84:85], v[48:49] op_sel:[0,0,1] op_sel_hi:[1,0,0]
	v_mov_b32_e32 v51, v49
	v_pk_add_f32 v[46:47], v[46:47], v[50:51]
	s_waitcnt vmcnt(0)
	v_pk_add_f32 v[46:47], v[86:87], v[46:47] neg_lo:[0,1] neg_hi:[0,1]
	buffer_store_dword v47, off, s[0:3], 0 offset:60
	buffer_store_dword v46, off, s[0:3], 0 offset:56
	s_and_saveexec_b64 s[4:5], vcc
	s_cbranch_execz .LBB84_127
; %bb.126:
	buffer_load_dword v46, off, s[0:3], 0 offset:48
	buffer_load_dword v47, off, s[0:3], 0 offset:52
	s_waitcnt vmcnt(0)
	ds_write_b64 v1, v[46:47]
	buffer_store_dword v44, off, s[0:3], 0 offset:48
	buffer_store_dword v44, off, s[0:3], 0 offset:52
.LBB84_127:
	s_or_b64 exec, exec, s[4:5]
	s_waitcnt lgkmcnt(0)
	; wave barrier
	s_waitcnt lgkmcnt(0)
	buffer_load_dword v92, off, s[0:3], 0 offset:60
	buffer_load_dword v94, off, s[0:3], 0 offset:68
	;; [unrolled: 1-line block ×30, first 2 shown]
	ds_read2_b64 v[46:49], v44 offset0:29 offset1:30
	ds_read2_b64 v[50:53], v44 offset0:31 offset1:32
	;; [unrolled: 1-line block ×7, first 2 shown]
	v_cmp_lt_u32_e32 vcc, 5, v0
	s_waitcnt vmcnt(29) lgkmcnt(6)
	v_mul_f32_e32 v105, v46, v92
	s_waitcnt vmcnt(28)
	v_mul_f32_e32 v106, v48, v94
	s_waitcnt vmcnt(27) lgkmcnt(5)
	v_mul_f32_e32 v107, v50, v95
	v_mul_f32_e32 v95, v51, v95
	s_waitcnt vmcnt(26)
	v_mul_f32_e32 v108, v52, v96
	s_waitcnt vmcnt(25) lgkmcnt(4)
	v_mul_f32_e32 v45, v54, v97
	v_mul_f32_e32 v44, v47, v92
	;; [unrolled: 1-line block ×5, first 2 shown]
	s_waitcnt vmcnt(23)
	v_mov_b32_e32 v94, v75
	s_waitcnt vmcnt(22)
	v_mov_b32_e32 v96, v77
	s_waitcnt vmcnt(18)
	v_fma_f32 v95, v50, v101, -v95
	v_fmac_f32_e32 v105, v47, v99
	v_fmac_f32_e32 v106, v49, v100
	s_waitcnt vmcnt(17)
	v_fmac_f32_e32 v108, v53, v102
	v_fma_f32 v53, v46, v99, -v44
	v_fma_f32 v99, v48, v100, -v92
	s_waitcnt lgkmcnt(3)
	v_pk_mul_f32 v[46:47], v[58:59], v[94:95] op_sel_hi:[1,0]
	v_pk_mul_f32 v[48:49], v[60:61], v[96:97] op_sel_hi:[1,0]
	s_waitcnt vmcnt(16)
	v_fmac_f32_e32 v45, v55, v103
	v_fma_f32 v100, v52, v102, -v109
	v_fma_f32 v44, v54, v103, -v97
	v_add_f32_e32 v94, 0, v105
	v_add_f32_e32 v96, 0, v53
	s_waitcnt vmcnt(14)
	v_pk_fma_f32 v[52:53], v[58:59], v[74:75], v[46:47] op_sel:[0,0,1] op_sel_hi:[1,1,0] neg_lo:[0,0,1] neg_hi:[0,0,1]
	v_pk_fma_f32 v[46:47], v[58:59], v[74:75], v[46:47] op_sel:[0,0,1] op_sel_hi:[1,0,0]
	s_waitcnt vmcnt(10)
	v_pk_fma_f32 v[54:55], v[60:61], v[76:77], v[48:49] op_sel:[0,0,1] op_sel_hi:[1,1,0] neg_lo:[0,0,1] neg_hi:[0,0,1]
	v_pk_fma_f32 v[48:49], v[60:61], v[76:77], v[48:49] op_sel:[0,0,1] op_sel_hi:[1,0,0]
	v_fmac_f32_e32 v107, v51, v101
	v_add_f32_e32 v46, v94, v106
	v_add_f32_e32 v48, v96, v99
	v_add_f32_e32 v46, v46, v107
	v_add_f32_e32 v48, v48, v95
	v_mul_f32_e32 v93, v56, v98
	v_mul_f32_e32 v110, v57, v98
	v_mov_b32_e32 v53, v47
	v_add_f32_e32 v47, v46, v108
	v_add_f32_e32 v46, v48, v100
	v_mov_b32_e32 v98, v79
	v_fmac_f32_e32 v93, v57, v104
	v_fma_f32 v92, v56, v104, -v110
	v_pk_add_f32 v[44:45], v[46:47], v[44:45]
	s_waitcnt vmcnt(9)
	v_mov_b32_e32 v46, v83
	s_waitcnt lgkmcnt(2)
	v_pk_mul_f32 v[50:51], v[62:63], v[98:99] op_sel_hi:[1,0]
	v_pk_add_f32 v[44:45], v[44:45], v[92:93]
	v_pk_mul_f32 v[46:47], v[64:65], v[46:47] op_sel_hi:[1,0]
	v_pk_fma_f32 v[56:57], v[62:63], v[78:79], v[50:51] op_sel:[0,0,1] op_sel_hi:[1,1,0] neg_lo:[0,0,1] neg_hi:[0,0,1]
	v_pk_fma_f32 v[50:51], v[62:63], v[78:79], v[50:51] op_sel:[0,0,1] op_sel_hi:[1,0,0]
	v_mov_b32_e32 v55, v49
	v_pk_add_f32 v[44:45], v[44:45], v[52:53]
	v_pk_fma_f32 v[48:49], v[64:65], v[82:83], v[46:47] op_sel:[0,0,1] op_sel_hi:[1,1,0] neg_lo:[0,0,1] neg_hi:[0,0,1]
	v_pk_fma_f32 v[46:47], v[64:65], v[82:83], v[46:47] op_sel:[0,0,1] op_sel_hi:[1,0,0]
	v_mov_b32_e32 v57, v51
	v_pk_add_f32 v[44:45], v[44:45], v[54:55]
	s_waitcnt vmcnt(8)
	v_mov_b32_e32 v46, v81
	v_pk_add_f32 v[44:45], v[44:45], v[56:57]
	v_mov_b32_e32 v49, v47
	s_waitcnt lgkmcnt(1)
	v_pk_mul_f32 v[46:47], v[66:67], v[46:47] op_sel_hi:[1,0]
	v_pk_add_f32 v[44:45], v[44:45], v[48:49]
	v_pk_fma_f32 v[48:49], v[66:67], v[80:81], v[46:47] op_sel:[0,0,1] op_sel_hi:[1,1,0] neg_lo:[0,0,1] neg_hi:[0,0,1]
	v_pk_fma_f32 v[46:47], v[66:67], v[80:81], v[46:47] op_sel:[0,0,1] op_sel_hi:[1,0,0]
	s_waitcnt vmcnt(7)
	v_mov_b32_e32 v46, v85
	v_mov_b32_e32 v49, v47
	v_pk_mul_f32 v[46:47], v[68:69], v[46:47] op_sel_hi:[1,0]
	v_pk_add_f32 v[44:45], v[44:45], v[48:49]
	s_waitcnt vmcnt(4)
	v_pk_fma_f32 v[48:49], v[68:69], v[84:85], v[46:47] op_sel:[0,0,1] op_sel_hi:[1,1,0] neg_lo:[0,0,1] neg_hi:[0,0,1]
	v_pk_fma_f32 v[46:47], v[68:69], v[84:85], v[46:47] op_sel:[0,0,1] op_sel_hi:[1,0,0]
	s_waitcnt vmcnt(3)
	v_mov_b32_e32 v46, v89
	v_mov_b32_e32 v49, v47
	s_waitcnt lgkmcnt(0)
	v_pk_mul_f32 v[46:47], v[70:71], v[46:47] op_sel_hi:[1,0]
	v_pk_add_f32 v[44:45], v[44:45], v[48:49]
	v_pk_fma_f32 v[48:49], v[70:71], v[88:89], v[46:47] op_sel:[0,0,1] op_sel_hi:[1,1,0] neg_lo:[0,0,1] neg_hi:[0,0,1]
	v_pk_fma_f32 v[46:47], v[70:71], v[88:89], v[46:47] op_sel:[0,0,1] op_sel_hi:[1,0,0]
	s_waitcnt vmcnt(0)
	v_mov_b32_e32 v46, v87
	v_mov_b32_e32 v49, v47
	v_pk_mul_f32 v[46:47], v[72:73], v[46:47] op_sel_hi:[1,0]
	v_pk_add_f32 v[44:45], v[44:45], v[48:49]
	v_pk_fma_f32 v[48:49], v[72:73], v[86:87], v[46:47] op_sel:[0,0,1] op_sel_hi:[1,1,0] neg_lo:[0,0,1] neg_hi:[0,0,1]
	v_pk_fma_f32 v[46:47], v[72:73], v[86:87], v[46:47] op_sel:[0,0,1] op_sel_hi:[1,0,0]
	v_mov_b32_e32 v49, v47
	v_pk_add_f32 v[44:45], v[44:45], v[48:49]
	v_pk_add_f32 v[44:45], v[90:91], v[44:45] neg_lo:[0,1] neg_hi:[0,1]
	buffer_store_dword v45, off, s[0:3], 0 offset:52
	buffer_store_dword v44, off, s[0:3], 0 offset:48
	s_and_saveexec_b64 s[4:5], vcc
	s_cbranch_execz .LBB84_129
; %bb.128:
	buffer_load_dword v44, off, s[0:3], 0 offset:40
	buffer_load_dword v45, off, s[0:3], 0 offset:44
	v_mov_b32_e32 v46, 0
	buffer_store_dword v46, off, s[0:3], 0 offset:40
	buffer_store_dword v46, off, s[0:3], 0 offset:44
	s_waitcnt vmcnt(2)
	ds_write_b64 v1, v[44:45]
.LBB84_129:
	s_or_b64 exec, exec, s[4:5]
	s_waitcnt lgkmcnt(0)
	; wave barrier
	s_waitcnt lgkmcnt(0)
	buffer_load_dword v45, off, s[0:3], 0 offset:52
	buffer_load_dword v94, off, s[0:3], 0 offset:60
	;; [unrolled: 1-line block ×32, first 2 shown]
	v_mov_b32_e32 v44, 0
	ds_read_b128 v[46:49], v44 offset:224
	ds_read_b128 v[50:53], v44 offset:240
	;; [unrolled: 1-line block ×7, first 2 shown]
	ds_read_b64 v[92:93], v44 offset:336
	v_cmp_lt_u32_e32 vcc, 4, v0
	s_waitcnt vmcnt(31) lgkmcnt(7)
	v_mul_f32_e32 v109, v46, v45
	v_mul_f32_e32 v45, v47, v45
	s_waitcnt vmcnt(30)
	v_mul_f32_e32 v110, v48, v94
	s_waitcnt vmcnt(28) lgkmcnt(6)
	v_mul_f32_e32 v112, v52, v98
	s_waitcnt vmcnt(27) lgkmcnt(5)
	v_mul_f32_e32 v113, v54, v99
	v_mul_f32_e32 v114, v53, v98
	;; [unrolled: 1-line block ×3, first 2 shown]
	s_waitcnt vmcnt(24)
	v_mov_b32_e32 v98, v75
	v_mul_f32_e32 v111, v50, v96
	v_mul_f32_e32 v94, v49, v94
	s_waitcnt vmcnt(22)
	v_fmac_f32_e32 v109, v47, v102
	v_fma_f32 v45, v46, v102, -v45
	s_waitcnt lgkmcnt(4)
	v_pk_mul_f32 v[46:47], v[60:61], v[98:99] op_sel_hi:[1,0]
	v_mul_f32_e32 v96, v51, v96
	s_waitcnt vmcnt(21)
	v_fmac_f32_e32 v110, v49, v103
	s_waitcnt vmcnt(20)
	v_fmac_f32_e32 v111, v51, v104
	;; [unrolled: 2-line block ×3, first 2 shown]
	v_fma_f32 v51, v48, v103, -v94
	s_waitcnt vmcnt(18)
	v_fma_f32 v53, v54, v106, -v99
	v_add_f32_e32 v54, 0, v109
	v_add_f32_e32 v45, 0, v45
	s_waitcnt vmcnt(12)
	v_pk_fma_f32 v[48:49], v[60:61], v[74:75], v[46:47] op_sel:[0,0,1] op_sel_hi:[1,1,0] neg_lo:[0,0,1] neg_hi:[0,0,1]
	v_pk_fma_f32 v[46:47], v[60:61], v[74:75], v[46:47] op_sel:[0,0,1] op_sel_hi:[1,0,0]
	v_fma_f32 v50, v50, v104, -v96
	v_add_f32_e32 v46, v54, v110
	v_add_f32_e32 v45, v45, v51
	v_fma_f32 v52, v52, v105, -v114
	v_add_f32_e32 v46, v46, v111
	v_add_f32_e32 v45, v45, v50
	v_mul_f32_e32 v95, v56, v100
	v_mul_f32_e32 v115, v57, v100
	v_fmac_f32_e32 v113, v55, v106
	v_add_f32_e32 v46, v46, v112
	v_add_f32_e32 v45, v45, v52
	v_mul_f32_e32 v97, v58, v101
	v_mul_f32_e32 v101, v59, v101
	v_fmac_f32_e32 v95, v57, v107
	v_fma_f32 v94, v56, v107, -v115
	v_mov_b32_e32 v49, v47
	v_add_f32_e32 v47, v46, v113
	v_add_f32_e32 v46, v45, v53
	v_fmac_f32_e32 v97, v59, v108
	v_fma_f32 v96, v58, v108, -v101
	v_pk_add_f32 v[46:47], v[46:47], v[94:95]
	v_mov_b32_e32 v100, v77
	v_pk_add_f32 v[46:47], v[46:47], v[96:97]
	v_pk_add_f32 v[46:47], v[46:47], v[48:49]
	s_waitcnt lgkmcnt(3)
	v_pk_mul_f32 v[48:49], v[62:63], v[100:101] op_sel_hi:[1,0]
	v_pk_fma_f32 v[50:51], v[62:63], v[76:77], v[48:49] op_sel:[0,0,1] op_sel_hi:[1,1,0] neg_lo:[0,0,1] neg_hi:[0,0,1]
	v_pk_fma_f32 v[48:49], v[62:63], v[76:77], v[48:49] op_sel:[0,0,1] op_sel_hi:[1,0,0]
	s_waitcnt vmcnt(11)
	v_mov_b32_e32 v48, v81
	v_mov_b32_e32 v51, v49
	v_pk_mul_f32 v[48:49], v[64:65], v[48:49] op_sel_hi:[1,0]
	v_pk_add_f32 v[46:47], v[46:47], v[50:51]
	v_pk_fma_f32 v[50:51], v[64:65], v[80:81], v[48:49] op_sel:[0,0,1] op_sel_hi:[1,1,0] neg_lo:[0,0,1] neg_hi:[0,0,1]
	v_pk_fma_f32 v[48:49], v[64:65], v[80:81], v[48:49] op_sel:[0,0,1] op_sel_hi:[1,0,0]
	s_waitcnt vmcnt(10)
	v_mov_b32_e32 v48, v79
	v_mov_b32_e32 v51, v49
	s_waitcnt lgkmcnt(2)
	v_pk_mul_f32 v[48:49], v[66:67], v[48:49] op_sel_hi:[1,0]
	v_pk_add_f32 v[46:47], v[46:47], v[50:51]
	v_pk_fma_f32 v[50:51], v[66:67], v[78:79], v[48:49] op_sel:[0,0,1] op_sel_hi:[1,1,0] neg_lo:[0,0,1] neg_hi:[0,0,1]
	v_pk_fma_f32 v[48:49], v[66:67], v[78:79], v[48:49] op_sel:[0,0,1] op_sel_hi:[1,0,0]
	s_waitcnt vmcnt(9)
	v_mov_b32_e32 v48, v83
	v_mov_b32_e32 v51, v49
	v_pk_mul_f32 v[48:49], v[68:69], v[48:49] op_sel_hi:[1,0]
	v_pk_add_f32 v[46:47], v[46:47], v[50:51]
	s_waitcnt vmcnt(4)
	v_pk_fma_f32 v[50:51], v[68:69], v[82:83], v[48:49] op_sel:[0,0,1] op_sel_hi:[1,1,0] neg_lo:[0,0,1] neg_hi:[0,0,1]
	v_pk_fma_f32 v[48:49], v[68:69], v[82:83], v[48:49] op_sel:[0,0,1] op_sel_hi:[1,0,0]
	v_mov_b32_e32 v48, v89
	v_mov_b32_e32 v51, v49
	s_waitcnt lgkmcnt(1)
	v_pk_mul_f32 v[48:49], v[70:71], v[48:49] op_sel_hi:[1,0]
	v_pk_add_f32 v[46:47], v[46:47], v[50:51]
	v_pk_fma_f32 v[50:51], v[70:71], v[88:89], v[48:49] op_sel:[0,0,1] op_sel_hi:[1,1,0] neg_lo:[0,0,1] neg_hi:[0,0,1]
	v_pk_fma_f32 v[48:49], v[70:71], v[88:89], v[48:49] op_sel:[0,0,1] op_sel_hi:[1,0,0]
	s_waitcnt vmcnt(3)
	v_mov_b32_e32 v48, v87
	v_mov_b32_e32 v51, v49
	v_pk_mul_f32 v[48:49], v[72:73], v[48:49] op_sel_hi:[1,0]
	v_pk_add_f32 v[46:47], v[46:47], v[50:51]
	v_pk_fma_f32 v[50:51], v[72:73], v[86:87], v[48:49] op_sel:[0,0,1] op_sel_hi:[1,1,0] neg_lo:[0,0,1] neg_hi:[0,0,1]
	v_pk_fma_f32 v[48:49], v[72:73], v[86:87], v[48:49] op_sel:[0,0,1] op_sel_hi:[1,0,0]
	s_waitcnt vmcnt(0)
	v_mov_b32_e32 v48, v85
	v_mov_b32_e32 v51, v49
	s_waitcnt lgkmcnt(0)
	v_pk_mul_f32 v[48:49], v[92:93], v[48:49] op_sel_hi:[1,0]
	v_pk_add_f32 v[46:47], v[46:47], v[50:51]
	v_pk_fma_f32 v[50:51], v[92:93], v[84:85], v[48:49] op_sel:[0,0,1] op_sel_hi:[1,1,0] neg_lo:[0,0,1] neg_hi:[0,0,1]
	v_pk_fma_f32 v[48:49], v[92:93], v[84:85], v[48:49] op_sel:[0,0,1] op_sel_hi:[1,0,0]
	v_mov_b32_e32 v51, v49
	v_pk_add_f32 v[46:47], v[46:47], v[50:51]
	v_pk_add_f32 v[46:47], v[90:91], v[46:47] neg_lo:[0,1] neg_hi:[0,1]
	buffer_store_dword v47, off, s[0:3], 0 offset:44
	buffer_store_dword v46, off, s[0:3], 0 offset:40
	s_and_saveexec_b64 s[4:5], vcc
	s_cbranch_execz .LBB84_131
; %bb.130:
	buffer_load_dword v46, off, s[0:3], 0 offset:32
	buffer_load_dword v47, off, s[0:3], 0 offset:36
	s_waitcnt vmcnt(0)
	ds_write_b64 v1, v[46:47]
	buffer_store_dword v44, off, s[0:3], 0 offset:32
	buffer_store_dword v44, off, s[0:3], 0 offset:36
.LBB84_131:
	s_or_b64 exec, exec, s[4:5]
	s_waitcnt lgkmcnt(0)
	; wave barrier
	s_waitcnt lgkmcnt(0)
	buffer_load_dword v96, off, s[0:3], 0 offset:44
	buffer_load_dword v98, off, s[0:3], 0 offset:52
	;; [unrolled: 1-line block ×32, first 2 shown]
	ds_read2_b64 v[46:49], v44 offset0:27 offset1:28
	ds_read2_b64 v[50:53], v44 offset0:29 offset1:30
	ds_read2_b64 v[54:57], v44 offset0:31 offset1:32
	ds_read2_b64 v[58:61], v44 offset0:33 offset1:34
	buffer_load_dword v95, off, s[0:3], 0 offset:164
	buffer_load_dword v94, off, s[0:3], 0 offset:160
	ds_read2_b64 v[62:65], v44 offset0:35 offset1:36
	ds_read2_b64 v[66:69], v44 offset0:37 offset1:38
	;; [unrolled: 1-line block ×4, first 2 shown]
	v_cmp_lt_u32_e32 vcc, 3, v0
	s_waitcnt vmcnt(33) lgkmcnt(7)
	v_mul_f32_e32 v113, v46, v96
	v_mul_f32_e32 v44, v47, v96
	s_waitcnt vmcnt(32)
	v_mul_f32_e32 v114, v48, v98
	s_waitcnt vmcnt(31) lgkmcnt(6)
	v_mul_f32_e32 v115, v50, v99
	v_mul_f32_e32 v96, v49, v98
	;; [unrolled: 1-line block ×3, first 2 shown]
	s_waitcnt vmcnt(30)
	v_mul_f32_e32 v99, v53, v100
	v_mul_f32_e32 v116, v52, v100
	s_waitcnt vmcnt(25)
	v_fmac_f32_e32 v113, v47, v105
	v_fma_f32 v46, v46, v105, -v44
	s_waitcnt vmcnt(24)
	v_fmac_f32_e32 v114, v49, v106
	v_fma_f32 v47, v48, v106, -v96
	s_waitcnt vmcnt(22)
	v_fma_f32 v49, v52, v108, -v99
	v_add_f32_e32 v52, 0, v113
	v_add_f32_e32 v46, 0, v46
	v_fmac_f32_e32 v115, v51, v107
	v_fma_f32 v48, v50, v107, -v98
	v_add_f32_e32 v52, v52, v114
	v_add_f32_e32 v46, v46, v47
	s_waitcnt lgkmcnt(5)
	v_mul_f32_e32 v117, v54, v101
	v_mul_f32_e32 v100, v55, v101
	v_fmac_f32_e32 v116, v53, v108
	v_add_f32_e32 v47, v52, v115
	v_add_f32_e32 v46, v46, v48
	v_mul_f32_e32 v118, v56, v102
	v_mul_f32_e32 v101, v57, v102
	s_waitcnt vmcnt(21)
	v_fmac_f32_e32 v117, v55, v109
	v_fma_f32 v50, v54, v109, -v100
	v_add_f32_e32 v47, v47, v116
	v_add_f32_e32 v46, v46, v49
	s_waitcnt lgkmcnt(4)
	v_mul_f32_e32 v45, v58, v103
	v_mul_f32_e32 v102, v59, v103
	s_waitcnt vmcnt(20)
	v_fmac_f32_e32 v118, v57, v110
	v_fma_f32 v51, v56, v110, -v101
	v_add_f32_e32 v47, v47, v117
	v_add_f32_e32 v46, v46, v50
	s_waitcnt vmcnt(19)
	v_fmac_f32_e32 v45, v59, v111
	v_fma_f32 v44, v58, v111, -v102
	v_add_f32_e32 v47, v47, v118
	v_add_f32_e32 v46, v46, v51
	v_pk_add_f32 v[44:45], v[46:47], v[44:45]
	s_waitcnt vmcnt(17)
	v_mov_b32_e32 v46, v79
	s_waitcnt lgkmcnt(3)
	v_pk_mul_f32 v[46:47], v[62:63], v[46:47] op_sel_hi:[1,0]
	v_mul_f32_e32 v97, v60, v104
	v_mul_f32_e32 v103, v61, v104
	s_waitcnt vmcnt(14)
	v_pk_fma_f32 v[48:49], v[62:63], v[78:79], v[46:47] op_sel:[0,0,1] op_sel_hi:[1,1,0] neg_lo:[0,0,1] neg_hi:[0,0,1]
	v_pk_fma_f32 v[46:47], v[62:63], v[78:79], v[46:47] op_sel:[0,0,1] op_sel_hi:[1,0,0]
	v_fmac_f32_e32 v97, v61, v112
	v_fma_f32 v96, v60, v112, -v103
	s_waitcnt vmcnt(13)
	v_mov_b32_e32 v46, v83
	v_pk_add_f32 v[44:45], v[44:45], v[96:97]
	v_mov_b32_e32 v49, v47
	v_pk_mul_f32 v[46:47], v[64:65], v[46:47] op_sel_hi:[1,0]
	v_pk_add_f32 v[44:45], v[44:45], v[48:49]
	v_pk_fma_f32 v[48:49], v[64:65], v[82:83], v[46:47] op_sel:[0,0,1] op_sel_hi:[1,1,0] neg_lo:[0,0,1] neg_hi:[0,0,1]
	v_pk_fma_f32 v[46:47], v[64:65], v[82:83], v[46:47] op_sel:[0,0,1] op_sel_hi:[1,0,0]
	s_waitcnt vmcnt(12)
	v_mov_b32_e32 v46, v81
	v_mov_b32_e32 v49, v47
	s_waitcnt lgkmcnt(2)
	v_pk_mul_f32 v[46:47], v[66:67], v[46:47] op_sel_hi:[1,0]
	v_pk_add_f32 v[44:45], v[44:45], v[48:49]
	v_pk_fma_f32 v[48:49], v[66:67], v[80:81], v[46:47] op_sel:[0,0,1] op_sel_hi:[1,1,0] neg_lo:[0,0,1] neg_hi:[0,0,1]
	v_pk_fma_f32 v[46:47], v[66:67], v[80:81], v[46:47] op_sel:[0,0,1] op_sel_hi:[1,0,0]
	s_waitcnt vmcnt(11)
	v_mov_b32_e32 v46, v85
	v_mov_b32_e32 v49, v47
	v_pk_mul_f32 v[46:47], v[68:69], v[46:47] op_sel_hi:[1,0]
	v_pk_add_f32 v[44:45], v[44:45], v[48:49]
	s_waitcnt vmcnt(5)
	v_pk_fma_f32 v[48:49], v[68:69], v[84:85], v[46:47] op_sel:[0,0,1] op_sel_hi:[1,1,0] neg_lo:[0,0,1] neg_hi:[0,0,1]
	v_pk_fma_f32 v[46:47], v[68:69], v[84:85], v[46:47] op_sel:[0,0,1] op_sel_hi:[1,0,0]
	v_mov_b32_e32 v46, v91
	v_mov_b32_e32 v49, v47
	s_waitcnt lgkmcnt(1)
	v_pk_mul_f32 v[46:47], v[70:71], v[46:47] op_sel_hi:[1,0]
	v_pk_add_f32 v[44:45], v[44:45], v[48:49]
	v_pk_fma_f32 v[48:49], v[70:71], v[90:91], v[46:47] op_sel:[0,0,1] op_sel_hi:[1,1,0] neg_lo:[0,0,1] neg_hi:[0,0,1]
	v_pk_fma_f32 v[46:47], v[70:71], v[90:91], v[46:47] op_sel:[0,0,1] op_sel_hi:[1,0,0]
	v_mov_b32_e32 v46, v89
	v_mov_b32_e32 v49, v47
	v_pk_mul_f32 v[46:47], v[72:73], v[46:47] op_sel_hi:[1,0]
	v_pk_add_f32 v[44:45], v[44:45], v[48:49]
	v_pk_fma_f32 v[48:49], v[72:73], v[88:89], v[46:47] op_sel:[0,0,1] op_sel_hi:[1,1,0] neg_lo:[0,0,1] neg_hi:[0,0,1]
	v_pk_fma_f32 v[46:47], v[72:73], v[88:89], v[46:47] op_sel:[0,0,1] op_sel_hi:[1,0,0]
	s_waitcnt vmcnt(2)
	v_mov_b32_e32 v46, v87
	v_mov_b32_e32 v49, v47
	s_waitcnt lgkmcnt(0)
	v_pk_mul_f32 v[46:47], v[74:75], v[46:47] op_sel_hi:[1,0]
	v_pk_add_f32 v[44:45], v[44:45], v[48:49]
	v_pk_fma_f32 v[48:49], v[74:75], v[86:87], v[46:47] op_sel:[0,0,1] op_sel_hi:[1,1,0] neg_lo:[0,0,1] neg_hi:[0,0,1]
	v_pk_fma_f32 v[46:47], v[74:75], v[86:87], v[46:47] op_sel:[0,0,1] op_sel_hi:[1,0,0]
	s_waitcnt vmcnt(1)
	v_mov_b32_e32 v46, v95
	v_mov_b32_e32 v49, v47
	v_pk_mul_f32 v[46:47], v[76:77], v[46:47] op_sel_hi:[1,0]
	v_pk_add_f32 v[44:45], v[44:45], v[48:49]
	s_waitcnt vmcnt(0)
	v_pk_fma_f32 v[48:49], v[76:77], v[94:95], v[46:47] op_sel:[0,0,1] op_sel_hi:[1,1,0] neg_lo:[0,0,1] neg_hi:[0,0,1]
	v_pk_fma_f32 v[46:47], v[76:77], v[94:95], v[46:47] op_sel:[0,0,1] op_sel_hi:[1,0,0]
	v_mov_b32_e32 v49, v47
	v_pk_add_f32 v[44:45], v[44:45], v[48:49]
	v_pk_add_f32 v[44:45], v[92:93], v[44:45] neg_lo:[0,1] neg_hi:[0,1]
	buffer_store_dword v45, off, s[0:3], 0 offset:36
	buffer_store_dword v44, off, s[0:3], 0 offset:32
	s_and_saveexec_b64 s[4:5], vcc
	s_cbranch_execz .LBB84_133
; %bb.132:
	buffer_load_dword v44, off, s[0:3], 0 offset:24
	buffer_load_dword v45, off, s[0:3], 0 offset:28
	v_mov_b32_e32 v46, 0
	buffer_store_dword v46, off, s[0:3], 0 offset:24
	buffer_store_dword v46, off, s[0:3], 0 offset:28
	s_waitcnt vmcnt(2)
	ds_write_b64 v1, v[44:45]
.LBB84_133:
	s_or_b64 exec, exec, s[4:5]
	s_waitcnt lgkmcnt(0)
	; wave barrier
	s_waitcnt lgkmcnt(0)
	buffer_load_dword v45, off, s[0:3], 0 offset:36
	buffer_load_dword v88, off, s[0:3], 0 offset:44
	;; [unrolled: 1-line block ×36, first 2 shown]
	v_mov_b32_e32 v44, 0
	ds_read_b128 v[46:49], v44 offset:208
	ds_read_b128 v[50:53], v44 offset:224
	;; [unrolled: 1-line block ×6, first 2 shown]
	v_cmp_lt_u32_e32 vcc, 2, v0
	s_waitcnt vmcnt(35) lgkmcnt(5)
	v_mul_f32_e32 v107, v46, v45
	s_waitcnt vmcnt(34)
	v_mul_f32_e32 v108, v48, v88
	s_waitcnt vmcnt(33) lgkmcnt(4)
	v_mul_f32_e32 v109, v50, v90
	v_mul_f32_e32 v45, v47, v45
	;; [unrolled: 1-line block ×4, first 2 shown]
	s_waitcnt vmcnt(32)
	v_mul_f32_e32 v110, v52, v92
	s_waitcnt vmcnt(31) lgkmcnt(3)
	v_mul_f32_e32 v111, v54, v93
	v_mul_f32_e32 v92, v53, v92
	s_waitcnt vmcnt(26)
	v_fmac_f32_e32 v107, v47, v98
	s_waitcnt vmcnt(25)
	v_fmac_f32_e32 v108, v49, v99
	;; [unrolled: 2-line block ×3, first 2 shown]
	v_fma_f32 v45, v46, v98, -v45
	v_add_f32_e32 v51, 0, v107
	v_fma_f32 v46, v48, v99, -v88
	v_add_f32_e32 v45, 0, v45
	v_add_f32_e32 v51, v51, v108
	s_waitcnt vmcnt(23)
	v_fmac_f32_e32 v110, v53, v101
	v_fma_f32 v47, v50, v100, -v90
	v_add_f32_e32 v45, v45, v46
	v_add_f32_e32 v46, v51, v109
	v_mul_f32_e32 v112, v56, v94
	v_mul_f32_e32 v93, v55, v93
	s_waitcnt vmcnt(22)
	v_fmac_f32_e32 v111, v55, v102
	v_fma_f32 v48, v52, v101, -v92
	v_add_f32_e32 v45, v45, v47
	v_add_f32_e32 v46, v46, v110
	s_waitcnt lgkmcnt(2)
	v_mul_f32_e32 v113, v58, v95
	v_mul_f32_e32 v94, v57, v94
	s_waitcnt vmcnt(21)
	v_fmac_f32_e32 v112, v57, v103
	v_fma_f32 v49, v54, v102, -v93
	v_add_f32_e32 v45, v45, v48
	v_add_f32_e32 v46, v46, v111
	v_mul_f32_e32 v95, v59, v95
	s_waitcnt vmcnt(20)
	v_fmac_f32_e32 v113, v59, v104
	v_fma_f32 v50, v56, v103, -v94
	v_add_f32_e32 v45, v45, v49
	v_add_f32_e32 v46, v46, v112
	;; [unrolled: 1-line block ×4, first 2 shown]
	v_fma_f32 v46, v58, v104, -v95
	s_waitcnt vmcnt(17)
	v_mov_b32_e32 v58, v71
	v_mul_f32_e32 v89, v60, v96
	v_add_f32_e32 v54, v45, v46
	v_mul_f32_e32 v45, v61, v96
	s_waitcnt lgkmcnt(1)
	v_pk_mul_f32 v[58:59], v[64:65], v[58:59] op_sel_hi:[1,0]
	v_mul_f32_e32 v91, v62, v97
	v_fmac_f32_e32 v89, v61, v105
	v_fma_f32 v88, v60, v105, -v45
	v_mul_f32_e32 v45, v63, v97
	s_waitcnt vmcnt(15)
	v_pk_fma_f32 v[60:61], v[64:65], v[70:71], v[58:59] op_sel:[0,0,1] op_sel_hi:[1,1,0] neg_lo:[0,0,1] neg_hi:[0,0,1]
	v_pk_fma_f32 v[58:59], v[64:65], v[70:71], v[58:59] op_sel:[0,0,1] op_sel_hi:[1,0,0]
	v_fmac_f32_e32 v91, v63, v106
	v_fma_f32 v90, v62, v106, -v45
	v_pk_add_f32 v[54:55], v[54:55], v[88:89]
	s_waitcnt vmcnt(12)
	v_mov_b32_e32 v58, v73
	v_pk_add_f32 v[54:55], v[54:55], v[90:91]
	v_mov_b32_e32 v61, v59
	s_waitcnt lgkmcnt(0)
	v_pk_mul_f32 v[58:59], v[66:67], v[58:59] op_sel_hi:[1,0]
	v_pk_add_f32 v[54:55], v[54:55], v[60:61]
	v_pk_fma_f32 v[60:61], v[66:67], v[72:73], v[58:59] op_sel:[0,0,1] op_sel_hi:[1,1,0] neg_lo:[0,0,1] neg_hi:[0,0,1]
	v_pk_fma_f32 v[58:59], v[66:67], v[72:73], v[58:59] op_sel:[0,0,1] op_sel_hi:[1,0,0]
	s_waitcnt vmcnt(11)
	v_mov_b32_e32 v58, v77
	ds_read_b128 v[46:49], v44 offset:304
	ds_read_b128 v[50:53], v44 offset:320
	ds_read_b64 v[56:57], v44 offset:336
	v_mov_b32_e32 v61, v59
	v_pk_mul_f32 v[58:59], v[68:69], v[58:59] op_sel_hi:[1,0]
	v_pk_add_f32 v[54:55], v[54:55], v[60:61]
	s_waitcnt vmcnt(4)
	v_pk_fma_f32 v[60:61], v[68:69], v[76:77], v[58:59] op_sel:[0,0,1] op_sel_hi:[1,1,0] neg_lo:[0,0,1] neg_hi:[0,0,1]
	v_pk_fma_f32 v[58:59], v[68:69], v[76:77], v[58:59] op_sel:[0,0,1] op_sel_hi:[1,0,0]
	v_mov_b32_e32 v58, v83
	v_mov_b32_e32 v61, v59
	s_waitcnt lgkmcnt(2)
	v_pk_mul_f32 v[58:59], v[46:47], v[58:59] op_sel_hi:[1,0]
	v_pk_add_f32 v[54:55], v[54:55], v[60:61]
	v_pk_fma_f32 v[60:61], v[46:47], v[82:83], v[58:59] op_sel:[0,0,1] op_sel_hi:[1,1,0] neg_lo:[0,0,1] neg_hi:[0,0,1]
	v_pk_fma_f32 v[46:47], v[46:47], v[82:83], v[58:59] op_sel:[0,0,1] op_sel_hi:[1,0,0]
	v_mov_b32_e32 v61, v47
	v_pk_add_f32 v[46:47], v[54:55], v[60:61]
	v_mov_b32_e32 v54, v81
	v_pk_mul_f32 v[54:55], v[48:49], v[54:55] op_sel_hi:[1,0]
	v_pk_fma_f32 v[58:59], v[48:49], v[80:81], v[54:55] op_sel:[0,0,1] op_sel_hi:[1,1,0] neg_lo:[0,0,1] neg_hi:[0,0,1]
	v_pk_fma_f32 v[48:49], v[48:49], v[80:81], v[54:55] op_sel:[0,0,1] op_sel_hi:[1,0,0]
	v_mov_b32_e32 v48, v79
	v_mov_b32_e32 v59, v49
	s_waitcnt lgkmcnt(1)
	v_pk_mul_f32 v[48:49], v[50:51], v[48:49] op_sel_hi:[1,0]
	v_pk_fma_f32 v[54:55], v[50:51], v[78:79], v[48:49] op_sel:[0,0,1] op_sel_hi:[1,1,0] neg_lo:[0,0,1] neg_hi:[0,0,1]
	v_pk_fma_f32 v[48:49], v[50:51], v[78:79], v[48:49] op_sel:[0,0,1] op_sel_hi:[1,0,0]
	s_waitcnt vmcnt(1)
	v_mov_b32_e32 v48, v87
	v_mov_b32_e32 v55, v49
	v_pk_mul_f32 v[48:49], v[52:53], v[48:49] op_sel_hi:[1,0]
	s_waitcnt vmcnt(0)
	v_pk_fma_f32 v[50:51], v[52:53], v[86:87], v[48:49] op_sel:[0,0,1] op_sel_hi:[1,1,0] neg_lo:[0,0,1] neg_hi:[0,0,1]
	v_pk_fma_f32 v[48:49], v[52:53], v[86:87], v[48:49] op_sel:[0,0,1] op_sel_hi:[1,0,0]
	v_pk_add_f32 v[46:47], v[46:47], v[58:59]
	v_mov_b32_e32 v48, v85
	v_pk_add_f32 v[46:47], v[46:47], v[54:55]
	v_mov_b32_e32 v51, v49
	s_waitcnt lgkmcnt(0)
	v_pk_mul_f32 v[48:49], v[56:57], v[48:49] op_sel_hi:[1,0]
	v_pk_add_f32 v[46:47], v[46:47], v[50:51]
	v_pk_fma_f32 v[50:51], v[56:57], v[84:85], v[48:49] op_sel:[0,0,1] op_sel_hi:[1,1,0] neg_lo:[0,0,1] neg_hi:[0,0,1]
	v_pk_fma_f32 v[48:49], v[56:57], v[84:85], v[48:49] op_sel:[0,0,1] op_sel_hi:[1,0,0]
	v_mov_b32_e32 v51, v49
	v_pk_add_f32 v[46:47], v[46:47], v[50:51]
	v_pk_add_f32 v[46:47], v[74:75], v[46:47] neg_lo:[0,1] neg_hi:[0,1]
	buffer_store_dword v47, off, s[0:3], 0 offset:28
	buffer_store_dword v46, off, s[0:3], 0 offset:24
	s_and_saveexec_b64 s[4:5], vcc
	s_cbranch_execz .LBB84_135
; %bb.134:
	buffer_load_dword v46, off, s[0:3], 0 offset:16
	buffer_load_dword v47, off, s[0:3], 0 offset:20
	s_waitcnt vmcnt(0)
	ds_write_b64 v1, v[46:47]
	buffer_store_dword v44, off, s[0:3], 0 offset:16
	buffer_store_dword v44, off, s[0:3], 0 offset:20
.LBB84_135:
	s_or_b64 exec, exec, s[4:5]
	s_waitcnt lgkmcnt(0)
	; wave barrier
	s_waitcnt lgkmcnt(0)
	buffer_load_dword v45, off, s[0:3], 0 offset:28
	buffer_load_dword v88, off, s[0:3], 0 offset:36
	;; [unrolled: 1-line block ×22, first 2 shown]
	ds_read2_b64 v[46:49], v44 offset0:25 offset1:26
	ds_read2_b64 v[50:53], v44 offset0:27 offset1:28
	buffer_load_dword v73, off, s[0:3], 0 offset:108
	buffer_load_dword v72, off, s[0:3], 0 offset:104
	;; [unrolled: 1-line block ×10, first 2 shown]
	ds_read2_b64 v[54:57], v44 offset0:29 offset1:30
	ds_read2_b64 v[58:61], v44 offset0:31 offset1:32
	;; [unrolled: 1-line block ×4, first 2 shown]
	buffer_load_dword v83, off, s[0:3], 0 offset:164
	buffer_load_dword v82, off, s[0:3], 0 offset:160
	;; [unrolled: 1-line block ×6, first 2 shown]
	v_cmp_lt_u32_e32 vcc, 1, v0
	s_waitcnt vmcnt(37) lgkmcnt(5)
	v_mul_f32_e32 v109, v46, v45
	s_waitcnt vmcnt(36)
	v_mul_f32_e32 v110, v48, v88
	s_waitcnt vmcnt(35) lgkmcnt(4)
	v_mul_f32_e32 v111, v50, v90
	v_mul_f32_e32 v45, v47, v45
	;; [unrolled: 1-line block ×4, first 2 shown]
	s_waitcnt vmcnt(34)
	v_mul_f32_e32 v112, v52, v92
	s_waitcnt vmcnt(33) lgkmcnt(3)
	v_mul_f32_e32 v113, v54, v93
	s_waitcnt vmcnt(32)
	v_mul_f32_e32 v114, v56, v94
	s_waitcnt vmcnt(31) lgkmcnt(2)
	v_mul_f32_e32 v115, v58, v95
	s_waitcnt vmcnt(27)
	v_fmac_f32_e32 v109, v47, v99
	s_waitcnt vmcnt(26)
	v_fmac_f32_e32 v110, v49, v100
	v_fma_f32 v45, v46, v99, -v45
	s_waitcnt vmcnt(25)
	v_fma_f32 v47, v50, v101, -v90
	v_add_f32_e32 v50, 0, v109
	v_fmac_f32_e32 v111, v51, v101
	v_fma_f32 v46, v48, v100, -v88
	v_add_f32_e32 v45, 0, v45
	v_add_f32_e32 v50, v50, v110
	s_waitcnt vmcnt(24)
	v_fmac_f32_e32 v112, v53, v102
	v_add_f32_e32 v45, v45, v46
	v_add_f32_e32 v46, v50, v111
	s_waitcnt vmcnt(23)
	v_fmac_f32_e32 v113, v55, v103
	v_add_f32_e32 v46, v46, v112
	v_mul_f32_e32 v92, v53, v92
	s_waitcnt vmcnt(22)
	v_fmac_f32_e32 v114, v57, v104
	v_add_f32_e32 v46, v46, v113
	v_mul_f32_e32 v116, v60, v96
	v_mul_f32_e32 v93, v55, v93
	s_waitcnt vmcnt(21)
	v_fmac_f32_e32 v115, v59, v105
	v_fma_f32 v48, v52, v102, -v92
	v_add_f32_e32 v45, v45, v47
	v_add_f32_e32 v46, v46, v114
	v_mul_f32_e32 v94, v57, v94
	s_waitcnt vmcnt(20)
	v_fmac_f32_e32 v116, v61, v106
	v_fma_f32 v49, v54, v103, -v93
	v_add_f32_e32 v45, v45, v48
	v_add_f32_e32 v46, v46, v115
	v_add_f32_e32 v45, v45, v49
	v_add_f32_e32 v93, v46, v116
	v_fma_f32 v46, v56, v104, -v94
	v_add_f32_e32 v45, v45, v46
	v_mul_f32_e32 v46, v59, v95
	v_fma_f32 v46, v58, v105, -v46
	v_add_f32_e32 v45, v45, v46
	v_mul_f32_e32 v46, v61, v96
	v_fma_f32 v46, v60, v106, -v46
	s_waitcnt vmcnt(15)
	v_mov_b32_e32 v58, v73
	s_waitcnt lgkmcnt(1)
	v_mul_f32_e32 v89, v62, v97
	v_add_f32_e32 v92, v45, v46
	v_mul_f32_e32 v45, v63, v97
	s_waitcnt lgkmcnt(0)
	v_pk_mul_f32 v[58:59], v[66:67], v[58:59] op_sel_hi:[1,0]
	v_mul_f32_e32 v91, v64, v98
	v_fmac_f32_e32 v89, v63, v107
	v_fma_f32 v88, v62, v107, -v45
	v_mul_f32_e32 v45, v65, v98
	s_waitcnt vmcnt(14)
	v_pk_fma_f32 v[60:61], v[66:67], v[72:73], v[58:59] op_sel:[0,0,1] op_sel_hi:[1,1,0] neg_lo:[0,0,1] neg_hi:[0,0,1]
	v_pk_fma_f32 v[58:59], v[66:67], v[72:73], v[58:59] op_sel:[0,0,1] op_sel_hi:[1,0,0]
	v_fmac_f32_e32 v91, v65, v108
	v_fma_f32 v90, v64, v108, -v45
	ds_read2_b64 v[46:49], v44 offset0:37 offset1:38
	ds_read2_b64 v[50:53], v44 offset0:39 offset1:40
	;; [unrolled: 1-line block ×3, first 2 shown]
	v_pk_add_f32 v[44:45], v[92:93], v[88:89]
	s_waitcnt vmcnt(13)
	v_mov_b32_e32 v58, v75
	v_pk_add_f32 v[44:45], v[44:45], v[90:91]
	v_mov_b32_e32 v61, v59
	v_pk_mul_f32 v[58:59], v[68:69], v[58:59] op_sel_hi:[1,0]
	v_pk_add_f32 v[44:45], v[44:45], v[60:61]
	s_waitcnt vmcnt(6)
	v_pk_fma_f32 v[60:61], v[68:69], v[74:75], v[58:59] op_sel:[0,0,1] op_sel_hi:[1,1,0] neg_lo:[0,0,1] neg_hi:[0,0,1]
	v_pk_fma_f32 v[58:59], v[68:69], v[74:75], v[58:59] op_sel:[0,0,1] op_sel_hi:[1,0,0]
	v_mov_b32_e32 v58, v81
	v_mov_b32_e32 v61, v59
	s_waitcnt lgkmcnt(2)
	v_pk_mul_f32 v[58:59], v[46:47], v[58:59] op_sel_hi:[1,0]
	v_pk_add_f32 v[44:45], v[44:45], v[60:61]
	v_pk_fma_f32 v[60:61], v[46:47], v[80:81], v[58:59] op_sel:[0,0,1] op_sel_hi:[1,1,0] neg_lo:[0,0,1] neg_hi:[0,0,1]
	v_pk_fma_f32 v[46:47], v[46:47], v[80:81], v[58:59] op_sel:[0,0,1] op_sel_hi:[1,0,0]
	v_mov_b32_e32 v46, v79
	v_mov_b32_e32 v61, v47
	v_pk_mul_f32 v[46:47], v[48:49], v[46:47] op_sel_hi:[1,0]
	v_pk_fma_f32 v[58:59], v[48:49], v[78:79], v[46:47] op_sel:[0,0,1] op_sel_hi:[1,1,0] neg_lo:[0,0,1] neg_hi:[0,0,1]
	v_pk_fma_f32 v[46:47], v[48:49], v[78:79], v[46:47] op_sel:[0,0,1] op_sel_hi:[1,0,0]
	v_mov_b32_e32 v46, v77
	v_mov_b32_e32 v59, v47
	s_waitcnt lgkmcnt(1)
	v_pk_mul_f32 v[46:47], v[50:51], v[46:47] op_sel_hi:[1,0]
	v_pk_fma_f32 v[48:49], v[50:51], v[76:77], v[46:47] op_sel:[0,0,1] op_sel_hi:[1,1,0] neg_lo:[0,0,1] neg_hi:[0,0,1]
	v_pk_fma_f32 v[46:47], v[50:51], v[76:77], v[46:47] op_sel:[0,0,1] op_sel_hi:[1,0,0]
	v_pk_add_f32 v[44:45], v[44:45], v[60:61]
	s_waitcnt vmcnt(1)
	v_mov_b32_e32 v46, v87
	v_pk_add_f32 v[44:45], v[44:45], v[58:59]
	v_mov_b32_e32 v49, v47
	v_pk_mul_f32 v[46:47], v[52:53], v[46:47] op_sel_hi:[1,0]
	v_pk_add_f32 v[44:45], v[44:45], v[48:49]
	s_waitcnt vmcnt(0)
	v_pk_fma_f32 v[48:49], v[52:53], v[86:87], v[46:47] op_sel:[0,0,1] op_sel_hi:[1,1,0] neg_lo:[0,0,1] neg_hi:[0,0,1]
	v_pk_fma_f32 v[46:47], v[52:53], v[86:87], v[46:47] op_sel:[0,0,1] op_sel_hi:[1,0,0]
	v_mov_b32_e32 v46, v85
	v_mov_b32_e32 v49, v47
	s_waitcnt lgkmcnt(0)
	v_pk_mul_f32 v[46:47], v[54:55], v[46:47] op_sel_hi:[1,0]
	v_pk_add_f32 v[44:45], v[44:45], v[48:49]
	v_pk_fma_f32 v[48:49], v[54:55], v[84:85], v[46:47] op_sel:[0,0,1] op_sel_hi:[1,1,0] neg_lo:[0,0,1] neg_hi:[0,0,1]
	v_pk_fma_f32 v[46:47], v[54:55], v[84:85], v[46:47] op_sel:[0,0,1] op_sel_hi:[1,0,0]
	v_mov_b32_e32 v46, v83
	v_mov_b32_e32 v49, v47
	v_pk_mul_f32 v[46:47], v[56:57], v[46:47] op_sel_hi:[1,0]
	v_pk_add_f32 v[44:45], v[44:45], v[48:49]
	v_pk_fma_f32 v[48:49], v[56:57], v[82:83], v[46:47] op_sel:[0,0,1] op_sel_hi:[1,1,0] neg_lo:[0,0,1] neg_hi:[0,0,1]
	v_pk_fma_f32 v[46:47], v[56:57], v[82:83], v[46:47] op_sel:[0,0,1] op_sel_hi:[1,0,0]
	v_mov_b32_e32 v49, v47
	v_pk_add_f32 v[44:45], v[44:45], v[48:49]
	v_pk_add_f32 v[44:45], v[70:71], v[44:45] neg_lo:[0,1] neg_hi:[0,1]
	buffer_store_dword v45, off, s[0:3], 0 offset:20
	buffer_store_dword v44, off, s[0:3], 0 offset:16
	s_and_saveexec_b64 s[4:5], vcc
	s_cbranch_execz .LBB84_137
; %bb.136:
	buffer_load_dword v44, off, s[0:3], 0 offset:8
	buffer_load_dword v45, off, s[0:3], 0 offset:12
	v_mov_b32_e32 v46, 0
	buffer_store_dword v46, off, s[0:3], 0 offset:8
	buffer_store_dword v46, off, s[0:3], 0 offset:12
	s_waitcnt vmcnt(2)
	ds_write_b64 v1, v[44:45]
.LBB84_137:
	s_or_b64 exec, exec, s[4:5]
	s_waitcnt lgkmcnt(0)
	; wave barrier
	s_waitcnt lgkmcnt(0)
	buffer_load_dword v45, off, s[0:3], 0 offset:20
	buffer_load_dword v88, off, s[0:3], 0 offset:28
	;; [unrolled: 1-line block ×40, first 2 shown]
	v_mov_b32_e32 v44, 0
	ds_read_b128 v[46:49], v44 offset:192
	ds_read_b128 v[50:53], v44 offset:208
	;; [unrolled: 1-line block ×6, first 2 shown]
	v_cmp_ne_u32_e32 vcc, 0, v0
	s_waitcnt vmcnt(39) lgkmcnt(5)
	v_mul_f32_e32 v111, v46, v45
	s_waitcnt vmcnt(38)
	v_mul_f32_e32 v112, v48, v88
	v_mul_f32_e32 v45, v47, v45
	s_waitcnt vmcnt(37) lgkmcnt(4)
	v_mul_f32_e32 v113, v50, v90
	v_mul_f32_e32 v88, v49, v88
	s_waitcnt vmcnt(36)
	v_mul_f32_e32 v114, v52, v92
	s_waitcnt vmcnt(35) lgkmcnt(3)
	v_mul_f32_e32 v115, v54, v94
	s_waitcnt vmcnt(34)
	v_mul_f32_e32 v116, v56, v95
	s_waitcnt vmcnt(33) lgkmcnt(2)
	;; [unrolled: 4-line block ×3, first 2 shown]
	v_mul_f32_e32 v119, v62, v98
	s_waitcnt vmcnt(28)
	v_fmac_f32_e32 v111, v47, v93
	s_waitcnt vmcnt(27)
	v_fmac_f32_e32 v112, v49, v101
	v_fma_f32 v45, v46, v93, -v45
	v_add_f32_e32 v49, 0, v111
	s_waitcnt vmcnt(26)
	v_fmac_f32_e32 v113, v51, v102
	v_fma_f32 v46, v48, v101, -v88
	v_add_f32_e32 v45, 0, v45
	v_add_f32_e32 v49, v49, v112
	s_waitcnt vmcnt(25)
	v_fmac_f32_e32 v114, v53, v103
	v_add_f32_e32 v45, v45, v46
	v_add_f32_e32 v46, v49, v113
	s_waitcnt vmcnt(24)
	v_fmac_f32_e32 v115, v55, v104
	v_add_f32_e32 v46, v46, v114
	s_waitcnt vmcnt(23)
	v_fmac_f32_e32 v116, v57, v105
	;; [unrolled: 3-line block ×3, first 2 shown]
	v_add_f32_e32 v46, v46, v116
	v_mul_f32_e32 v90, v51, v90
	s_waitcnt vmcnt(21)
	v_fmac_f32_e32 v118, v61, v107
	v_add_f32_e32 v46, v46, v117
	v_mul_f32_e32 v92, v53, v92
	s_waitcnt vmcnt(20)
	v_fmac_f32_e32 v119, v63, v108
	v_fma_f32 v47, v50, v102, -v90
	v_add_f32_e32 v46, v46, v118
	v_fma_f32 v48, v52, v103, -v92
	v_add_f32_e32 v45, v45, v47
	v_add_f32_e32 v93, v46, v119
	v_mul_f32_e32 v46, v55, v94
	v_add_f32_e32 v45, v45, v48
	v_fma_f32 v46, v54, v104, -v46
	v_add_f32_e32 v45, v45, v46
	v_mul_f32_e32 v46, v57, v95
	v_fma_f32 v46, v56, v105, -v46
	v_add_f32_e32 v45, v45, v46
	v_mul_f32_e32 v46, v59, v96
	;; [unrolled: 3-line block ×4, first 2 shown]
	v_fma_f32 v46, v62, v108, -v46
	s_waitcnt vmcnt(9)
	v_mov_b32_e32 v62, v79
	v_mul_f32_e32 v89, v64, v99
	v_add_f32_e32 v92, v45, v46
	v_mul_f32_e32 v45, v65, v99
	s_waitcnt lgkmcnt(0)
	v_pk_mul_f32 v[62:63], v[68:69], v[62:63] op_sel_hi:[1,0]
	v_mul_f32_e32 v91, v66, v100
	v_fmac_f32_e32 v89, v65, v109
	v_fma_f32 v88, v64, v109, -v45
	v_mul_f32_e32 v45, v67, v100
	ds_read_b128 v[46:49], v44 offset:288
	ds_read_b128 v[50:53], v44 offset:304
	;; [unrolled: 1-line block ×3, first 2 shown]
	ds_read_b64 v[58:59], v44 offset:336
	s_waitcnt vmcnt(8)
	v_pk_fma_f32 v[64:65], v[68:69], v[78:79], v[62:63] op_sel:[0,0,1] op_sel_hi:[1,1,0] neg_lo:[0,0,1] neg_hi:[0,0,1]
	v_pk_fma_f32 v[62:63], v[68:69], v[78:79], v[62:63] op_sel:[0,0,1] op_sel_hi:[1,0,0]
	v_fmac_f32_e32 v91, v67, v110
	v_fma_f32 v90, v66, v110, -v45
	v_pk_add_f32 v[60:61], v[92:93], v[88:89]
	v_mov_b32_e32 v62, v77
	v_pk_add_f32 v[60:61], v[60:61], v[90:91]
	v_mov_b32_e32 v65, v63
	s_waitcnt lgkmcnt(3)
	v_pk_mul_f32 v[62:63], v[46:47], v[62:63] op_sel_hi:[1,0]
	v_pk_add_f32 v[60:61], v[60:61], v[64:65]
	v_pk_fma_f32 v[64:65], v[46:47], v[76:77], v[62:63] op_sel:[0,0,1] op_sel_hi:[1,1,0] neg_lo:[0,0,1] neg_hi:[0,0,1]
	v_pk_fma_f32 v[46:47], v[46:47], v[76:77], v[62:63] op_sel:[0,0,1] op_sel_hi:[1,0,0]
	v_mov_b32_e32 v65, v47
	v_pk_add_f32 v[46:47], v[60:61], v[64:65]
	v_mov_b32_e32 v60, v75
	v_pk_mul_f32 v[60:61], v[48:49], v[60:61] op_sel_hi:[1,0]
	v_pk_fma_f32 v[62:63], v[48:49], v[74:75], v[60:61] op_sel:[0,0,1] op_sel_hi:[1,1,0] neg_lo:[0,0,1] neg_hi:[0,0,1]
	v_pk_fma_f32 v[48:49], v[48:49], v[74:75], v[60:61] op_sel:[0,0,1] op_sel_hi:[1,0,0]
	v_mov_b32_e32 v48, v73
	v_mov_b32_e32 v63, v49
	s_waitcnt lgkmcnt(2)
	v_pk_mul_f32 v[48:49], v[50:51], v[48:49] op_sel_hi:[1,0]
	v_pk_fma_f32 v[60:61], v[50:51], v[72:73], v[48:49] op_sel:[0,0,1] op_sel_hi:[1,1,0] neg_lo:[0,0,1] neg_hi:[0,0,1]
	v_pk_fma_f32 v[48:49], v[50:51], v[72:73], v[48:49] op_sel:[0,0,1] op_sel_hi:[1,0,0]
	s_waitcnt vmcnt(1)
	v_mov_b32_e32 v48, v87
	v_mov_b32_e32 v61, v49
	v_pk_mul_f32 v[48:49], v[52:53], v[48:49] op_sel_hi:[1,0]
	s_waitcnt vmcnt(0)
	v_pk_fma_f32 v[50:51], v[52:53], v[86:87], v[48:49] op_sel:[0,0,1] op_sel_hi:[1,1,0] neg_lo:[0,0,1] neg_hi:[0,0,1]
	v_pk_fma_f32 v[48:49], v[52:53], v[86:87], v[48:49] op_sel:[0,0,1] op_sel_hi:[1,0,0]
	v_pk_add_f32 v[46:47], v[46:47], v[62:63]
	v_mov_b32_e32 v48, v85
	v_pk_add_f32 v[46:47], v[46:47], v[60:61]
	v_mov_b32_e32 v51, v49
	s_waitcnt lgkmcnt(1)
	v_pk_mul_f32 v[48:49], v[54:55], v[48:49] op_sel_hi:[1,0]
	v_pk_add_f32 v[46:47], v[46:47], v[50:51]
	v_pk_fma_f32 v[50:51], v[54:55], v[84:85], v[48:49] op_sel:[0,0,1] op_sel_hi:[1,1,0] neg_lo:[0,0,1] neg_hi:[0,0,1]
	v_pk_fma_f32 v[48:49], v[54:55], v[84:85], v[48:49] op_sel:[0,0,1] op_sel_hi:[1,0,0]
	v_mov_b32_e32 v48, v83
	v_mov_b32_e32 v51, v49
	v_pk_mul_f32 v[48:49], v[56:57], v[48:49] op_sel_hi:[1,0]
	v_pk_add_f32 v[46:47], v[46:47], v[50:51]
	v_pk_fma_f32 v[50:51], v[56:57], v[82:83], v[48:49] op_sel:[0,0,1] op_sel_hi:[1,1,0] neg_lo:[0,0,1] neg_hi:[0,0,1]
	v_pk_fma_f32 v[48:49], v[56:57], v[82:83], v[48:49] op_sel:[0,0,1] op_sel_hi:[1,0,0]
	v_mov_b32_e32 v48, v81
	v_mov_b32_e32 v51, v49
	s_waitcnt lgkmcnt(0)
	v_pk_mul_f32 v[48:49], v[58:59], v[48:49] op_sel_hi:[1,0]
	v_pk_add_f32 v[46:47], v[46:47], v[50:51]
	v_pk_fma_f32 v[50:51], v[58:59], v[80:81], v[48:49] op_sel:[0,0,1] op_sel_hi:[1,1,0] neg_lo:[0,0,1] neg_hi:[0,0,1]
	v_pk_fma_f32 v[48:49], v[58:59], v[80:81], v[48:49] op_sel:[0,0,1] op_sel_hi:[1,0,0]
	v_mov_b32_e32 v51, v49
	v_pk_add_f32 v[46:47], v[46:47], v[50:51]
	v_pk_add_f32 v[46:47], v[70:71], v[46:47] neg_lo:[0,1] neg_hi:[0,1]
	buffer_store_dword v47, off, s[0:3], 0 offset:12
	buffer_store_dword v46, off, s[0:3], 0 offset:8
	s_and_saveexec_b64 s[4:5], vcc
	s_cbranch_execz .LBB84_139
; %bb.138:
	buffer_load_dword v46, off, s[0:3], 0
	buffer_load_dword v47, off, s[0:3], 0 offset:4
	s_waitcnt vmcnt(0)
	ds_write_b64 v1, v[46:47]
	buffer_store_dword v44, off, s[0:3], 0
	buffer_store_dword v44, off, s[0:3], 0 offset:4
.LBB84_139:
	s_or_b64 exec, exec, s[4:5]
	s_waitcnt lgkmcnt(0)
	; wave barrier
	s_waitcnt lgkmcnt(0)
	buffer_load_dword v45, off, s[0:3], 0 offset:12
	buffer_load_dword v86, off, s[0:3], 0 offset:20
	;; [unrolled: 1-line block ×24, first 2 shown]
	buffer_load_dword v0, off, s[0:3], 0
	buffer_load_dword v1, off, s[0:3], 0 offset:4
	ds_read2_b64 v[46:49], v44 offset0:23 offset1:24
	ds_read2_b64 v[50:53], v44 offset0:25 offset1:26
	;; [unrolled: 1-line block ×6, first 2 shown]
	buffer_load_dword v71, off, s[0:3], 0 offset:124
	buffer_load_dword v70, off, s[0:3], 0 offset:120
	;; [unrolled: 1-line block ×16, first 2 shown]
	s_and_b64 vcc, exec, s[16:17]
	s_waitcnt vmcnt(41) lgkmcnt(5)
	v_mul_f32_e32 v111, v46, v45
	s_waitcnt vmcnt(40)
	v_mul_f32_e32 v112, v48, v86
	v_mul_f32_e32 v45, v47, v45
	;; [unrolled: 1-line block ×3, first 2 shown]
	s_waitcnt vmcnt(39) lgkmcnt(4)
	v_mul_f32_e32 v113, v50, v88
	s_waitcnt vmcnt(38)
	v_mul_f32_e32 v114, v52, v90
	s_waitcnt vmcnt(37) lgkmcnt(3)
	v_mul_f32_e32 v115, v54, v92
	s_waitcnt vmcnt(36)
	v_mul_f32_e32 v116, v56, v93
	;; [unrolled: 4-line block ×4, first 2 shown]
	s_waitcnt vmcnt(29)
	v_fmac_f32_e32 v111, v47, v91
	s_waitcnt vmcnt(28)
	v_fmac_f32_e32 v112, v49, v100
	v_fma_f32 v45, v46, v91, -v45
	v_fma_f32 v46, v48, v100, -v86
	v_add_f32_e32 v48, 0, v111
	s_waitcnt vmcnt(27)
	v_fmac_f32_e32 v113, v51, v101
	v_add_f32_e32 v45, 0, v45
	v_add_f32_e32 v48, v48, v112
	s_waitcnt vmcnt(26)
	v_fmac_f32_e32 v114, v53, v102
	v_add_f32_e32 v45, v45, v46
	;; [unrolled: 4-line block ×3, first 2 shown]
	s_waitcnt vmcnt(24)
	v_fmac_f32_e32 v116, v57, v104
	v_add_f32_e32 v46, v46, v115
	s_waitcnt vmcnt(23)
	v_fmac_f32_e32 v117, v59, v105
	v_add_f32_e32 v46, v46, v116
	;; [unrolled: 3-line block ×4, first 2 shown]
	v_mul_f32_e32 v88, v51, v88
	s_waitcnt vmcnt(20)
	v_fmac_f32_e32 v120, v65, v108
	v_add_f32_e32 v46, v46, v119
	v_fma_f32 v47, v50, v101, -v88
	v_add_f32_e32 v91, v46, v120
	v_mul_f32_e32 v46, v53, v90
	v_add_f32_e32 v45, v45, v47
	v_fma_f32 v46, v52, v102, -v46
	v_add_f32_e32 v45, v45, v46
	v_mul_f32_e32 v46, v55, v92
	v_fma_f32 v46, v54, v103, -v46
	v_add_f32_e32 v45, v45, v46
	v_mul_f32_e32 v46, v57, v93
	;; [unrolled: 3-line block ×6, first 2 shown]
	v_fma_f32 v46, v64, v108, -v46
	v_add_f32_e32 v90, v45, v46
	ds_read2_b64 v[46:49], v44 offset0:35 offset1:36
	ds_read2_b64 v[50:53], v44 offset0:37 offset1:38
	;; [unrolled: 1-line block ×4, first 2 shown]
	s_waitcnt vmcnt(11)
	v_mov_b32_e32 v62, v75
	s_waitcnt lgkmcnt(3)
	v_pk_mul_f32 v[62:63], v[46:47], v[62:63] op_sel_hi:[1,0]
	s_waitcnt vmcnt(10)
	v_pk_fma_f32 v[64:65], v[46:47], v[74:75], v[62:63] op_sel:[0,0,1] op_sel_hi:[1,1,0] neg_lo:[0,0,1] neg_hi:[0,0,1]
	v_pk_fma_f32 v[46:47], v[46:47], v[74:75], v[62:63] op_sel:[0,0,1] op_sel_hi:[1,0,0]
	v_mov_b32_e32 v46, v73
	v_mov_b32_e32 v65, v47
	v_pk_mul_f32 v[46:47], v[48:49], v[46:47] op_sel_hi:[1,0]
	v_mul_f32_e32 v87, v66, v98
	v_mul_f32_e32 v45, v67, v98
	v_pk_fma_f32 v[62:63], v[48:49], v[72:73], v[46:47] op_sel:[0,0,1] op_sel_hi:[1,1,0] neg_lo:[0,0,1] neg_hi:[0,0,1]
	v_pk_fma_f32 v[46:47], v[48:49], v[72:73], v[46:47] op_sel:[0,0,1] op_sel_hi:[1,0,0]
	v_mul_f32_e32 v89, v68, v99
	v_fmac_f32_e32 v87, v67, v109
	v_fma_f32 v86, v66, v109, -v45
	v_mul_f32_e32 v45, v69, v99
	v_mov_b32_e32 v46, v71
	v_fmac_f32_e32 v89, v69, v110
	v_fma_f32 v88, v68, v110, -v45
	v_pk_add_f32 v[44:45], v[90:91], v[86:87]
	v_mov_b32_e32 v63, v47
	s_waitcnt lgkmcnt(2)
	v_pk_mul_f32 v[46:47], v[50:51], v[46:47] op_sel_hi:[1,0]
	v_pk_add_f32 v[44:45], v[44:45], v[88:89]
	v_pk_fma_f32 v[48:49], v[50:51], v[70:71], v[46:47] op_sel:[0,0,1] op_sel_hi:[1,1,0] neg_lo:[0,0,1] neg_hi:[0,0,1]
	v_pk_fma_f32 v[46:47], v[50:51], v[70:71], v[46:47] op_sel:[0,0,1] op_sel_hi:[1,0,0]
	v_pk_add_f32 v[44:45], v[44:45], v[64:65]
	s_waitcnt vmcnt(3)
	v_mov_b32_e32 v46, v83
	v_pk_add_f32 v[44:45], v[44:45], v[62:63]
	v_mov_b32_e32 v49, v47
	v_pk_mul_f32 v[46:47], v[52:53], v[46:47] op_sel_hi:[1,0]
	v_pk_add_f32 v[44:45], v[44:45], v[48:49]
	s_waitcnt vmcnt(2)
	v_pk_fma_f32 v[48:49], v[52:53], v[82:83], v[46:47] op_sel:[0,0,1] op_sel_hi:[1,1,0] neg_lo:[0,0,1] neg_hi:[0,0,1]
	v_pk_fma_f32 v[46:47], v[52:53], v[82:83], v[46:47] op_sel:[0,0,1] op_sel_hi:[1,0,0]
	v_mov_b32_e32 v46, v81
	v_mov_b32_e32 v49, v47
	s_waitcnt lgkmcnt(1)
	v_pk_mul_f32 v[46:47], v[54:55], v[46:47] op_sel_hi:[1,0]
	v_pk_add_f32 v[44:45], v[44:45], v[48:49]
	v_pk_fma_f32 v[48:49], v[54:55], v[80:81], v[46:47] op_sel:[0,0,1] op_sel_hi:[1,1,0] neg_lo:[0,0,1] neg_hi:[0,0,1]
	v_pk_fma_f32 v[46:47], v[54:55], v[80:81], v[46:47] op_sel:[0,0,1] op_sel_hi:[1,0,0]
	v_mov_b32_e32 v46, v79
	v_mov_b32_e32 v49, v47
	v_pk_mul_f32 v[46:47], v[56:57], v[46:47] op_sel_hi:[1,0]
	v_pk_add_f32 v[44:45], v[44:45], v[48:49]
	v_pk_fma_f32 v[48:49], v[56:57], v[78:79], v[46:47] op_sel:[0,0,1] op_sel_hi:[1,1,0] neg_lo:[0,0,1] neg_hi:[0,0,1]
	v_pk_fma_f32 v[46:47], v[56:57], v[78:79], v[46:47] op_sel:[0,0,1] op_sel_hi:[1,0,0]
	v_mov_b32_e32 v46, v77
	v_mov_b32_e32 v49, v47
	s_waitcnt lgkmcnt(0)
	v_pk_mul_f32 v[46:47], v[58:59], v[46:47] op_sel_hi:[1,0]
	v_pk_add_f32 v[44:45], v[44:45], v[48:49]
	v_pk_fma_f32 v[48:49], v[58:59], v[76:77], v[46:47] op_sel:[0,0,1] op_sel_hi:[1,1,0] neg_lo:[0,0,1] neg_hi:[0,0,1]
	v_pk_fma_f32 v[46:47], v[58:59], v[76:77], v[46:47] op_sel:[0,0,1] op_sel_hi:[1,0,0]
	s_waitcnt vmcnt(1)
	v_mov_b32_e32 v46, v85
	v_mov_b32_e32 v49, v47
	v_pk_mul_f32 v[46:47], v[60:61], v[46:47] op_sel_hi:[1,0]
	v_pk_add_f32 v[44:45], v[44:45], v[48:49]
	s_waitcnt vmcnt(0)
	v_pk_fma_f32 v[48:49], v[60:61], v[84:85], v[46:47] op_sel:[0,0,1] op_sel_hi:[1,1,0] neg_lo:[0,0,1] neg_hi:[0,0,1]
	v_pk_fma_f32 v[46:47], v[60:61], v[84:85], v[46:47] op_sel:[0,0,1] op_sel_hi:[1,0,0]
	v_mov_b32_e32 v49, v47
	v_pk_add_f32 v[44:45], v[44:45], v[48:49]
	v_pk_add_f32 v[0:1], v[0:1], v[44:45] neg_lo:[0,1] neg_hi:[0,1]
	buffer_store_dword v1, off, s[0:3], 0 offset:4
	buffer_store_dword v0, off, s[0:3], 0
	s_cbranch_vccz .LBB84_181
; %bb.140:
	v_pk_mov_b32 v[0:1], s[10:11], s[10:11] op_sel:[0,1]
	flat_load_dword v0, v[0:1] offset:76
	s_waitcnt vmcnt(0) lgkmcnt(0)
	v_add_u32_e32 v0, -1, v0
	v_cmp_ne_u32_e32 vcc, 19, v0
	s_and_saveexec_b64 s[4:5], vcc
	s_cbranch_execz .LBB84_142
; %bb.141:
	v_mov_b32_e32 v1, 0
	v_lshl_add_u32 v0, v0, 3, v1
	buffer_load_dword v1, v0, s[0:3], 0 offen
	buffer_load_dword v44, v0, s[0:3], 0 offen offset:4
	buffer_load_dword v45, off, s[0:3], 0 offset:152
	buffer_load_dword v46, off, s[0:3], 0 offset:156
	s_waitcnt vmcnt(3)
	buffer_store_dword v1, off, s[0:3], 0 offset:152
	s_waitcnt vmcnt(3)
	buffer_store_dword v44, off, s[0:3], 0 offset:156
	s_waitcnt vmcnt(3)
	buffer_store_dword v45, v0, s[0:3], 0 offen
	s_waitcnt vmcnt(3)
	buffer_store_dword v46, v0, s[0:3], 0 offen offset:4
.LBB84_142:
	s_or_b64 exec, exec, s[4:5]
	v_pk_mov_b32 v[0:1], s[10:11], s[10:11] op_sel:[0,1]
	flat_load_dword v0, v[0:1] offset:72
	s_waitcnt vmcnt(0) lgkmcnt(0)
	v_add_u32_e32 v0, -1, v0
	v_cmp_ne_u32_e32 vcc, 18, v0
	s_and_saveexec_b64 s[4:5], vcc
	s_cbranch_execz .LBB84_144
; %bb.143:
	v_mov_b32_e32 v1, 0
	v_lshl_add_u32 v0, v0, 3, v1
	buffer_load_dword v1, v0, s[0:3], 0 offen
	buffer_load_dword v44, v0, s[0:3], 0 offen offset:4
	buffer_load_dword v45, off, s[0:3], 0 offset:148
	buffer_load_dword v46, off, s[0:3], 0 offset:144
	s_waitcnt vmcnt(3)
	buffer_store_dword v1, off, s[0:3], 0 offset:144
	s_waitcnt vmcnt(3)
	buffer_store_dword v44, off, s[0:3], 0 offset:148
	s_waitcnt vmcnt(3)
	buffer_store_dword v45, v0, s[0:3], 0 offen offset:4
	s_waitcnt vmcnt(3)
	buffer_store_dword v46, v0, s[0:3], 0 offen
.LBB84_144:
	s_or_b64 exec, exec, s[4:5]
	v_pk_mov_b32 v[0:1], s[10:11], s[10:11] op_sel:[0,1]
	flat_load_dword v0, v[0:1] offset:68
	s_waitcnt vmcnt(0) lgkmcnt(0)
	v_add_u32_e32 v0, -1, v0
	v_cmp_ne_u32_e32 vcc, 17, v0
	s_and_saveexec_b64 s[4:5], vcc
	s_cbranch_execz .LBB84_146
; %bb.145:
	v_mov_b32_e32 v1, 0
	v_lshl_add_u32 v0, v0, 3, v1
	buffer_load_dword v1, v0, s[0:3], 0 offen
	buffer_load_dword v44, v0, s[0:3], 0 offen offset:4
	buffer_load_dword v45, off, s[0:3], 0 offset:136
	buffer_load_dword v46, off, s[0:3], 0 offset:140
	s_waitcnt vmcnt(3)
	buffer_store_dword v1, off, s[0:3], 0 offset:136
	s_waitcnt vmcnt(3)
	buffer_store_dword v44, off, s[0:3], 0 offset:140
	s_waitcnt vmcnt(3)
	buffer_store_dword v45, v0, s[0:3], 0 offen
	s_waitcnt vmcnt(3)
	buffer_store_dword v46, v0, s[0:3], 0 offen offset:4
.LBB84_146:
	s_or_b64 exec, exec, s[4:5]
	v_pk_mov_b32 v[0:1], s[10:11], s[10:11] op_sel:[0,1]
	flat_load_dword v0, v[0:1] offset:64
	s_waitcnt vmcnt(0) lgkmcnt(0)
	v_add_u32_e32 v0, -1, v0
	v_cmp_ne_u32_e32 vcc, 16, v0
	s_and_saveexec_b64 s[4:5], vcc
	s_cbranch_execz .LBB84_148
; %bb.147:
	v_mov_b32_e32 v1, 0
	v_lshl_add_u32 v0, v0, 3, v1
	buffer_load_dword v1, v0, s[0:3], 0 offen
	buffer_load_dword v44, v0, s[0:3], 0 offen offset:4
	buffer_load_dword v45, off, s[0:3], 0 offset:132
	buffer_load_dword v46, off, s[0:3], 0 offset:128
	s_waitcnt vmcnt(3)
	buffer_store_dword v1, off, s[0:3], 0 offset:128
	s_waitcnt vmcnt(3)
	buffer_store_dword v44, off, s[0:3], 0 offset:132
	s_waitcnt vmcnt(3)
	buffer_store_dword v45, v0, s[0:3], 0 offen offset:4
	s_waitcnt vmcnt(3)
	buffer_store_dword v46, v0, s[0:3], 0 offen
.LBB84_148:
	s_or_b64 exec, exec, s[4:5]
	;; [unrolled: 48-line block ×9, first 2 shown]
	v_pk_mov_b32 v[0:1], s[10:11], s[10:11] op_sel:[0,1]
	flat_load_dword v0, v[0:1] offset:4
	s_waitcnt vmcnt(0) lgkmcnt(0)
	v_add_u32_e32 v0, -1, v0
	v_cmp_ne_u32_e32 vcc, 1, v0
	s_and_saveexec_b64 s[4:5], vcc
	s_cbranch_execz .LBB84_178
; %bb.177:
	v_mov_b32_e32 v1, 0
	v_lshl_add_u32 v0, v0, 3, v1
	buffer_load_dword v1, v0, s[0:3], 0 offen
	buffer_load_dword v44, v0, s[0:3], 0 offen offset:4
	buffer_load_dword v45, off, s[0:3], 0 offset:8
	buffer_load_dword v46, off, s[0:3], 0 offset:12
	s_waitcnt vmcnt(3)
	buffer_store_dword v1, off, s[0:3], 0 offset:8
	s_waitcnt vmcnt(3)
	buffer_store_dword v44, off, s[0:3], 0 offset:12
	s_waitcnt vmcnt(3)
	buffer_store_dword v45, v0, s[0:3], 0 offen
	s_waitcnt vmcnt(3)
	buffer_store_dword v46, v0, s[0:3], 0 offen offset:4
.LBB84_178:
	s_or_b64 exec, exec, s[4:5]
	v_pk_mov_b32 v[0:1], s[10:11], s[10:11] op_sel:[0,1]
	flat_load_dword v44, v[0:1]
	s_nop 0
	buffer_load_dword v0, off, s[0:3], 0
	buffer_load_dword v1, off, s[0:3], 0 offset:4
	s_waitcnt vmcnt(0) lgkmcnt(0)
	v_add_u32_e32 v44, -1, v44
	v_cmp_ne_u32_e32 vcc, 0, v44
	s_and_saveexec_b64 s[4:5], vcc
	s_cbranch_execz .LBB84_180
; %bb.179:
	v_mov_b32_e32 v45, 0
	v_lshl_add_u32 v44, v44, 3, v45
	buffer_load_dword v45, v44, s[0:3], 0 offen offset:4
	buffer_load_dword v46, v44, s[0:3], 0 offen
	s_waitcnt vmcnt(1)
	buffer_store_dword v45, off, s[0:3], 0 offset:4
	s_waitcnt vmcnt(1)
	buffer_store_dword v46, off, s[0:3], 0
	buffer_store_dword v1, v44, s[0:3], 0 offen offset:4
	buffer_store_dword v0, v44, s[0:3], 0 offen
	buffer_load_dword v0, off, s[0:3], 0
	s_nop 0
	buffer_load_dword v1, off, s[0:3], 0 offset:4
.LBB84_180:
	s_or_b64 exec, exec, s[4:5]
.LBB84_181:
	buffer_load_dword v44, off, s[0:3], 0 offset:8
	buffer_load_dword v45, off, s[0:3], 0 offset:12
	;; [unrolled: 1-line block ×40, first 2 shown]
	s_waitcnt vmcnt(40)
	global_store_dwordx2 v[2:3], v[0:1], off
	s_waitcnt vmcnt(39)
	global_store_dwordx2 v[4:5], v[44:45], off
	;; [unrolled: 2-line block ×21, first 2 shown]
	s_endpgm
	.section	.rodata,"a",@progbits
	.p2align	6, 0x0
	.amdhsa_kernel _ZN9rocsolver6v33100L18getri_kernel_smallILi21E19rocblas_complex_numIfEPKPS3_EEvT1_iilPiilS8_bb
		.amdhsa_group_segment_fixed_size 344
		.amdhsa_private_segment_fixed_size 176
		.amdhsa_kernarg_size 60
		.amdhsa_user_sgpr_count 8
		.amdhsa_user_sgpr_private_segment_buffer 1
		.amdhsa_user_sgpr_dispatch_ptr 0
		.amdhsa_user_sgpr_queue_ptr 0
		.amdhsa_user_sgpr_kernarg_segment_ptr 1
		.amdhsa_user_sgpr_dispatch_id 0
		.amdhsa_user_sgpr_flat_scratch_init 1
		.amdhsa_user_sgpr_kernarg_preload_length 0
		.amdhsa_user_sgpr_kernarg_preload_offset 0
		.amdhsa_user_sgpr_private_segment_size 0
		.amdhsa_uses_dynamic_stack 0
		.amdhsa_system_sgpr_private_segment_wavefront_offset 1
		.amdhsa_system_sgpr_workgroup_id_x 1
		.amdhsa_system_sgpr_workgroup_id_y 0
		.amdhsa_system_sgpr_workgroup_id_z 0
		.amdhsa_system_sgpr_workgroup_info 0
		.amdhsa_system_vgpr_workitem_id 0
		.amdhsa_next_free_vgpr 121
		.amdhsa_next_free_sgpr 22
		.amdhsa_accum_offset 124
		.amdhsa_reserve_vcc 1
		.amdhsa_reserve_flat_scratch 1
		.amdhsa_float_round_mode_32 0
		.amdhsa_float_round_mode_16_64 0
		.amdhsa_float_denorm_mode_32 3
		.amdhsa_float_denorm_mode_16_64 3
		.amdhsa_dx10_clamp 1
		.amdhsa_ieee_mode 1
		.amdhsa_fp16_overflow 0
		.amdhsa_tg_split 0
		.amdhsa_exception_fp_ieee_invalid_op 0
		.amdhsa_exception_fp_denorm_src 0
		.amdhsa_exception_fp_ieee_div_zero 0
		.amdhsa_exception_fp_ieee_overflow 0
		.amdhsa_exception_fp_ieee_underflow 0
		.amdhsa_exception_fp_ieee_inexact 0
		.amdhsa_exception_int_div_zero 0
	.end_amdhsa_kernel
	.section	.text._ZN9rocsolver6v33100L18getri_kernel_smallILi21E19rocblas_complex_numIfEPKPS3_EEvT1_iilPiilS8_bb,"axG",@progbits,_ZN9rocsolver6v33100L18getri_kernel_smallILi21E19rocblas_complex_numIfEPKPS3_EEvT1_iilPiilS8_bb,comdat
.Lfunc_end84:
	.size	_ZN9rocsolver6v33100L18getri_kernel_smallILi21E19rocblas_complex_numIfEPKPS3_EEvT1_iilPiilS8_bb, .Lfunc_end84-_ZN9rocsolver6v33100L18getri_kernel_smallILi21E19rocblas_complex_numIfEPKPS3_EEvT1_iilPiilS8_bb
                                        ; -- End function
	.section	.AMDGPU.csdata,"",@progbits
; Kernel info:
; codeLenInByte = 25276
; NumSgprs: 28
; NumVgprs: 121
; NumAgprs: 0
; TotalNumVgprs: 121
; ScratchSize: 176
; MemoryBound: 0
; FloatMode: 240
; IeeeMode: 1
; LDSByteSize: 344 bytes/workgroup (compile time only)
; SGPRBlocks: 3
; VGPRBlocks: 15
; NumSGPRsForWavesPerEU: 28
; NumVGPRsForWavesPerEU: 121
; AccumOffset: 124
; Occupancy: 4
; WaveLimiterHint : 1
; COMPUTE_PGM_RSRC2:SCRATCH_EN: 1
; COMPUTE_PGM_RSRC2:USER_SGPR: 8
; COMPUTE_PGM_RSRC2:TRAP_HANDLER: 0
; COMPUTE_PGM_RSRC2:TGID_X_EN: 1
; COMPUTE_PGM_RSRC2:TGID_Y_EN: 0
; COMPUTE_PGM_RSRC2:TGID_Z_EN: 0
; COMPUTE_PGM_RSRC2:TIDIG_COMP_CNT: 0
; COMPUTE_PGM_RSRC3_GFX90A:ACCUM_OFFSET: 30
; COMPUTE_PGM_RSRC3_GFX90A:TG_SPLIT: 0
	.section	.text._ZN9rocsolver6v33100L18getri_kernel_smallILi22E19rocblas_complex_numIfEPKPS3_EEvT1_iilPiilS8_bb,"axG",@progbits,_ZN9rocsolver6v33100L18getri_kernel_smallILi22E19rocblas_complex_numIfEPKPS3_EEvT1_iilPiilS8_bb,comdat
	.globl	_ZN9rocsolver6v33100L18getri_kernel_smallILi22E19rocblas_complex_numIfEPKPS3_EEvT1_iilPiilS8_bb ; -- Begin function _ZN9rocsolver6v33100L18getri_kernel_smallILi22E19rocblas_complex_numIfEPKPS3_EEvT1_iilPiilS8_bb
	.p2align	8
	.type	_ZN9rocsolver6v33100L18getri_kernel_smallILi22E19rocblas_complex_numIfEPKPS3_EEvT1_iilPiilS8_bb,@function
_ZN9rocsolver6v33100L18getri_kernel_smallILi22E19rocblas_complex_numIfEPKPS3_EEvT1_iilPiilS8_bb: ; @_ZN9rocsolver6v33100L18getri_kernel_smallILi22E19rocblas_complex_numIfEPKPS3_EEvT1_iilPiilS8_bb
; %bb.0:
	s_add_u32 flat_scratch_lo, s6, s9
	s_addc_u32 flat_scratch_hi, s7, 0
	s_add_u32 s0, s0, s9
	s_addc_u32 s1, s1, 0
	v_cmp_gt_u32_e32 vcc, 22, v0
	s_and_saveexec_b64 s[6:7], vcc
	s_cbranch_execz .LBB85_102
; %bb.1:
	s_load_dword s20, s[4:5], 0x38
	s_load_dwordx2 s[6:7], s[4:5], 0x0
	s_load_dwordx4 s[12:15], s[4:5], 0x28
	s_waitcnt lgkmcnt(0)
	s_bitcmp1_b32 s20, 8
	s_cselect_b64 s[16:17], -1, 0
	s_ashr_i32 s9, s8, 31
	s_lshl_b64 s[10:11], s[8:9], 3
	s_add_u32 s6, s6, s10
	s_addc_u32 s7, s7, s11
	s_load_dwordx2 s[18:19], s[6:7], 0x0
	s_bfe_u32 s6, s20, 0x10008
	s_cmp_eq_u32 s6, 0
                                        ; implicit-def: $sgpr10_sgpr11
	s_cbranch_scc1 .LBB85_3
; %bb.2:
	s_load_dword s6, s[4:5], 0x20
	s_load_dwordx2 s[10:11], s[4:5], 0x18
	s_mul_i32 s7, s8, s13
	s_mul_hi_u32 s13, s8, s12
	s_add_i32 s13, s13, s7
	s_mul_i32 s21, s9, s12
	s_add_i32 s13, s13, s21
	s_mul_i32 s12, s8, s12
	s_waitcnt lgkmcnt(0)
	s_ashr_i32 s7, s6, 31
	s_lshl_b64 s[12:13], s[12:13], 2
	s_add_u32 s10, s10, s12
	s_addc_u32 s11, s11, s13
	s_lshl_b64 s[6:7], s[6:7], 2
	s_add_u32 s10, s10, s6
	s_addc_u32 s11, s11, s7
.LBB85_3:
	s_load_dwordx2 s[6:7], s[4:5], 0x8
	v_lshlrev_b32_e32 v56, 3, v0
	s_waitcnt lgkmcnt(0)
	s_ashr_i32 s5, s6, 31
	s_mov_b32 s4, s6
	s_lshl_b64 s[4:5], s[4:5], 3
	s_add_u32 s4, s18, s4
	s_addc_u32 s5, s19, s5
	v_mov_b32_e32 v1, s5
	v_add_co_u32_e32 v4, vcc, s4, v56
	s_ashr_i32 s13, s7, 31
	s_mov_b32 s12, s7
	s_add_i32 s6, s7, s7
	v_addc_co_u32_e32 v5, vcc, 0, v1, vcc
	s_lshl_b64 s[12:13], s[12:13], 3
	v_add_u32_e32 v10, s6, v0
	v_mov_b32_e32 v1, s13
	v_add_co_u32_e32 v6, vcc, s12, v4
	v_ashrrev_i32_e32 v11, 31, v10
	v_addc_co_u32_e32 v7, vcc, v5, v1, vcc
	v_lshlrev_b64 v[8:9], 3, v[10:11]
	v_add_u32_e32 v12, s7, v10
	v_mov_b32_e32 v1, s5
	v_add_co_u32_e32 v8, vcc, s4, v8
	v_ashrrev_i32_e32 v13, 31, v12
	v_addc_co_u32_e32 v9, vcc, v1, v9, vcc
	v_lshlrev_b64 v[10:11], 3, v[12:13]
	v_add_u32_e32 v14, s7, v12
	v_add_co_u32_e32 v10, vcc, s4, v10
	v_ashrrev_i32_e32 v15, 31, v14
	v_addc_co_u32_e32 v11, vcc, v1, v11, vcc
	v_lshlrev_b64 v[12:13], 3, v[14:15]
	v_add_u32_e32 v16, s7, v14
	;; [unrolled: 5-line block ×5, first 2 shown]
	v_add_co_u32_e32 v18, vcc, s4, v18
	v_ashrrev_i32_e32 v21, 31, v20
	v_addc_co_u32_e32 v19, vcc, v1, v19, vcc
	v_add_u32_e32 v22, s7, v20
	v_lshlrev_b64 v[20:21], 3, v[20:21]
	v_mov_b32_e32 v23, s5
	v_add_co_u32_e32 v20, vcc, s4, v20
	v_addc_co_u32_e32 v21, vcc, v23, v21, vcc
	v_ashrrev_i32_e32 v23, 31, v22
	v_add_u32_e32 v24, s7, v22
	v_lshlrev_b64 v[22:23], 3, v[22:23]
	v_mov_b32_e32 v25, s5
	v_add_co_u32_e32 v22, vcc, s4, v22
	v_addc_co_u32_e32 v23, vcc, v25, v23, vcc
	v_ashrrev_i32_e32 v25, 31, v24
	;; [unrolled: 6-line block ×12, first 2 shown]
	v_add_u32_e32 v46, s7, v44
	v_lshlrev_b64 v[44:45], 3, v[44:45]
	v_mov_b32_e32 v57, s5
	v_add_co_u32_e32 v44, vcc, s4, v44
	global_load_dwordx2 v[2:3], v56, s[4:5]
	global_load_dwordx2 v[54:55], v[6:7], off
	global_load_dwordx2 v[50:51], v[8:9], off
	;; [unrolled: 1-line block ×16, first 2 shown]
	v_addc_co_u32_e32 v45, vcc, v57, v45, vcc
	global_load_dwordx2 v[82:83], v[38:39], off
	global_load_dwordx2 v[84:85], v[40:41], off
	;; [unrolled: 1-line block ×4, first 2 shown]
	v_ashrrev_i32_e32 v47, 31, v46
	v_lshlrev_b64 v[46:47], 3, v[46:47]
	v_add_co_u32_e32 v46, vcc, s4, v46
	v_addc_co_u32_e32 v47, vcc, v1, v47, vcc
	global_load_dwordx2 v[90:91], v[46:47], off
	s_bitcmp0_b32 s20, 0
	s_mov_b64 s[6:7], -1
	s_waitcnt vmcnt(21)
	buffer_store_dword v3, off, s[0:3], 0 offset:4
	buffer_store_dword v2, off, s[0:3], 0
	s_waitcnt vmcnt(22)
	buffer_store_dword v55, off, s[0:3], 0 offset:12
	buffer_store_dword v54, off, s[0:3], 0 offset:8
	s_waitcnt vmcnt(23)
	buffer_store_dword v51, off, s[0:3], 0 offset:20
	buffer_store_dword v50, off, s[0:3], 0 offset:16
	;; [unrolled: 3-line block ×21, first 2 shown]
	s_cbranch_scc1 .LBB85_100
; %bb.4:
	v_cmp_eq_u32_e64 s[4:5], 0, v0
	s_and_saveexec_b64 s[6:7], s[4:5]
	s_cbranch_execz .LBB85_6
; %bb.5:
	v_mov_b32_e32 v1, 0
	ds_write_b32 v1, v1 offset:352
.LBB85_6:
	s_or_b64 exec, exec, s[6:7]
	v_mov_b32_e32 v1, 0
	v_lshl_add_u32 v50, v0, 3, v1
	s_waitcnt lgkmcnt(0)
	; wave barrier
	s_waitcnt lgkmcnt(0)
	buffer_load_dword v1, v50, s[0:3], 0 offen
	buffer_load_dword v2, v50, s[0:3], 0 offen offset:4
	s_waitcnt vmcnt(1)
	v_cmp_eq_f32_e32 vcc, 0, v1
	s_waitcnt vmcnt(0)
	v_cmp_eq_f32_e64 s[6:7], 0, v2
	s_and_b64 s[6:7], vcc, s[6:7]
	s_and_saveexec_b64 s[12:13], s[6:7]
	s_cbranch_execz .LBB85_10
; %bb.7:
	v_mov_b32_e32 v1, 0
	ds_read_b32 v3, v1 offset:352
	v_add_u32_e32 v2, 1, v0
	s_waitcnt lgkmcnt(0)
	v_readfirstlane_b32 s6, v3
	s_cmp_eq_u32 s6, 0
	s_cselect_b64 s[18:19], -1, 0
	v_cmp_gt_i32_e32 vcc, s6, v2
	s_or_b64 s[18:19], s[18:19], vcc
	s_and_b64 exec, exec, s[18:19]
	s_cbranch_execz .LBB85_10
; %bb.8:
	s_mov_b64 s[18:19], 0
	v_mov_b32_e32 v3, s6
.LBB85_9:                               ; =>This Inner Loop Header: Depth=1
	ds_cmpst_rtn_b32 v3, v1, v3, v2 offset:352
	s_waitcnt lgkmcnt(0)
	v_cmp_ne_u32_e32 vcc, 0, v3
	v_cmp_le_i32_e64 s[6:7], v3, v2
	s_and_b64 s[6:7], vcc, s[6:7]
	s_and_b64 s[6:7], exec, s[6:7]
	s_or_b64 s[18:19], s[6:7], s[18:19]
	s_andn2_b64 exec, exec, s[18:19]
	s_cbranch_execnz .LBB85_9
.LBB85_10:
	s_or_b64 exec, exec, s[12:13]
	v_mov_b32_e32 v2, 0
	s_waitcnt lgkmcnt(0)
	; wave barrier
	ds_read_b32 v1, v2 offset:352
	s_and_saveexec_b64 s[6:7], s[4:5]
	s_cbranch_execz .LBB85_12
; %bb.11:
	s_lshl_b64 s[12:13], s[8:9], 2
	s_add_u32 s12, s14, s12
	s_addc_u32 s13, s15, s13
	s_waitcnt lgkmcnt(0)
	global_store_dword v2, v1, s[12:13]
.LBB85_12:
	s_or_b64 exec, exec, s[6:7]
	s_waitcnt lgkmcnt(0)
	v_cmp_ne_u32_e32 vcc, 0, v1
	s_mov_b64 s[6:7], 0
	s_cbranch_vccnz .LBB85_100
; %bb.13:
	buffer_load_dword v51, v50, s[0:3], 0 offen offset:4
	buffer_load_dword v3, v50, s[0:3], 0 offen
	s_waitcnt vmcnt(1)
	v_cmp_gt_f32_e32 vcc, 0, v51
	v_cndmask_b32_e64 v1, v51, -v51, vcc
	s_waitcnt vmcnt(0)
	v_cmp_gt_f32_e32 vcc, 0, v3
	v_cndmask_b32_e64 v2, v3, -v3, vcc
	v_cmp_ngt_f32_e32 vcc, v2, v1
                                        ; implicit-def: $vgpr1
                                        ; implicit-def: $vgpr2
	s_and_saveexec_b64 s[6:7], vcc
	s_xor_b64 s[6:7], exec, s[6:7]
                                        ; implicit-def: $vgpr48_vgpr49
	s_cbranch_execz .LBB85_15
; %bb.14:
	v_div_scale_f32 v1, s[12:13], v51, v51, v3
	v_rcp_f32_e32 v2, v1
	v_div_scale_f32 v48, vcc, v3, v51, v3
	v_fma_f32 v49, -v1, v2, 1.0
	v_fmac_f32_e32 v2, v49, v2
	v_mul_f32_e32 v49, v48, v2
	v_fma_f32 v52, -v1, v49, v48
	v_fmac_f32_e32 v49, v52, v2
	v_fma_f32 v1, -v1, v49, v48
	v_div_fmas_f32 v1, v1, v2, v49
	v_div_fixup_f32 v2, v1, v51, v3
	v_fmac_f32_e32 v51, v3, v2
	v_div_scale_f32 v1, s[12:13], v51, v51, -1.0
	v_rcp_f32_e32 v3, v1
	v_fma_f32 v48, -v1, v3, 1.0
	v_fmac_f32_e32 v3, v48, v3
	v_div_scale_f32 v48, vcc, -1.0, v51, -1.0
	v_mul_f32_e32 v49, v48, v3
	v_fma_f32 v52, -v1, v49, v48
	v_fmac_f32_e32 v49, v52, v3
	v_fma_f32 v1, -v1, v49, v48
	v_div_fmas_f32 v1, v1, v3, v49
	v_div_fixup_f32 v1, v1, v51, -1.0
	v_mul_f32_e32 v2, v2, v1
	v_xor_b32_e32 v48, 0x80000000, v2
                                        ; implicit-def: $vgpr3
                                        ; implicit-def: $vgpr51
.LBB85_15:
	s_andn2_saveexec_b64 s[6:7], s[6:7]
	s_cbranch_execz .LBB85_17
; %bb.16:
	v_div_scale_f32 v1, s[12:13], v3, v3, v51
	v_rcp_f32_e32 v2, v1
	v_div_scale_f32 v48, vcc, v51, v3, v51
	v_fma_f32 v49, -v1, v2, 1.0
	v_fmac_f32_e32 v2, v49, v2
	v_mul_f32_e32 v49, v48, v2
	v_fma_f32 v52, -v1, v49, v48
	v_fmac_f32_e32 v49, v52, v2
	v_fma_f32 v1, -v1, v49, v48
	v_div_fmas_f32 v1, v1, v2, v49
	v_div_fixup_f32 v1, v1, v3, v51
	v_fmac_f32_e32 v3, v51, v1
	v_div_scale_f32 v2, s[12:13], v3, v3, 1.0
	v_rcp_f32_e32 v48, v2
	v_fma_f32 v49, -v2, v48, 1.0
	v_fmac_f32_e32 v48, v49, v48
	v_div_scale_f32 v49, vcc, 1.0, v3, 1.0
	v_mul_f32_e32 v51, v49, v48
	v_fma_f32 v52, -v2, v51, v49
	v_fmac_f32_e32 v51, v52, v48
	v_fma_f32 v2, -v2, v51, v49
	v_div_fmas_f32 v2, v2, v48, v51
	v_div_fixup_f32 v48, v2, v3, 1.0
	v_xor_b32_e32 v2, 0x80000000, v48
	v_mul_f32_e64 v1, v1, -v48
.LBB85_17:
	s_or_b64 exec, exec, s[6:7]
	buffer_store_dword v1, v50, s[0:3], 0 offen offset:4
	buffer_store_dword v48, v50, s[0:3], 0 offen
	buffer_load_dword v49, off, s[0:3], 0 offset:12
	s_nop 0
	buffer_load_dword v48, off, s[0:3], 0 offset:8
	v_xor_b32_e32 v3, 0x80000000, v1
	v_add_u32_e32 v1, 0xb0, v56
	s_waitcnt vmcnt(0)
	ds_write2_b64 v56, v[2:3], v[48:49] offset1:22
	s_waitcnt lgkmcnt(0)
	; wave barrier
	s_waitcnt lgkmcnt(0)
	s_and_saveexec_b64 s[6:7], s[4:5]
	s_cbranch_execz .LBB85_19
; %bb.18:
	buffer_load_dword v51, v50, s[0:3], 0 offen offset:4
	buffer_load_dword v52, v50, s[0:3], 0 offen
	ds_read_b64 v[2:3], v1
	v_mov_b32_e32 v48, 0
	ds_read_b64 v[48:49], v48 offset:8
	s_waitcnt vmcnt(1) lgkmcnt(1)
	v_mul_f32_e32 v53, v3, v51
	v_mul_f32_e32 v51, v2, v51
	s_waitcnt vmcnt(0)
	v_fmac_f32_e32 v51, v3, v52
	v_fma_f32 v2, v2, v52, -v53
	v_add_f32_e32 v3, 0, v51
	v_add_f32_e32 v2, 0, v2
	s_waitcnt lgkmcnt(0)
	v_mul_f32_e32 v51, v3, v49
	v_mul_f32_e32 v49, v2, v49
	v_fma_f32 v2, v2, v48, -v51
	v_fmac_f32_e32 v49, v3, v48
	buffer_store_dword v2, off, s[0:3], 0 offset:8
	buffer_store_dword v49, off, s[0:3], 0 offset:12
.LBB85_19:
	s_or_b64 exec, exec, s[6:7]
	s_waitcnt lgkmcnt(0)
	; wave barrier
	buffer_load_dword v2, off, s[0:3], 0 offset:16
	buffer_load_dword v3, off, s[0:3], 0 offset:20
	v_cmp_gt_u32_e32 vcc, 2, v0
	s_waitcnt vmcnt(0)
	ds_write_b64 v1, v[2:3]
	s_waitcnt lgkmcnt(0)
	; wave barrier
	s_waitcnt lgkmcnt(0)
	s_and_saveexec_b64 s[6:7], vcc
	s_cbranch_execz .LBB85_23
; %bb.20:
	buffer_load_dword v48, v50, s[0:3], 0 offen offset:4
	buffer_load_dword v49, v50, s[0:3], 0 offen
	ds_read_b64 v[2:3], v1
	s_waitcnt vmcnt(1) lgkmcnt(0)
	v_mul_f32_e32 v50, v3, v48
	v_mul_f32_e32 v48, v2, v48
	s_waitcnt vmcnt(0)
	v_fma_f32 v2, v2, v49, -v50
	v_fmac_f32_e32 v48, v3, v49
	v_add_f32_e32 v3, 0, v2
	v_add_f32_e32 v2, 0, v48
	s_and_saveexec_b64 s[12:13], s[4:5]
	s_cbranch_execz .LBB85_22
; %bb.21:
	buffer_load_dword v50, off, s[0:3], 0 offset:12
	buffer_load_dword v51, off, s[0:3], 0 offset:8
	v_mov_b32_e32 v48, 0
	ds_read_b64 v[48:49], v48 offset:184
	s_waitcnt vmcnt(1) lgkmcnt(0)
	v_mul_f32_e32 v52, v48, v50
	v_mul_f32_e32 v50, v49, v50
	s_waitcnt vmcnt(0)
	v_fmac_f32_e32 v52, v49, v51
	v_fma_f32 v48, v48, v51, -v50
	v_add_f32_e32 v2, v2, v52
	v_add_f32_e32 v3, v3, v48
.LBB85_22:
	s_or_b64 exec, exec, s[12:13]
	v_mov_b32_e32 v48, 0
	ds_read_b64 v[48:49], v48 offset:16
	s_waitcnt lgkmcnt(0)
	v_mul_f32_e32 v50, v2, v49
	v_mul_f32_e32 v49, v3, v49
	v_fma_f32 v3, v3, v48, -v50
	v_fmac_f32_e32 v49, v2, v48
	buffer_store_dword v3, off, s[0:3], 0 offset:16
	buffer_store_dword v49, off, s[0:3], 0 offset:20
.LBB85_23:
	s_or_b64 exec, exec, s[6:7]
	s_waitcnt lgkmcnt(0)
	; wave barrier
	buffer_load_dword v2, off, s[0:3], 0 offset:24
	buffer_load_dword v3, off, s[0:3], 0 offset:28
	v_cmp_gt_u32_e32 vcc, 3, v0
	s_waitcnt vmcnt(0)
	ds_write_b64 v1, v[2:3]
	v_add_u32_e32 v2, -1, v0
	s_waitcnt lgkmcnt(0)
	; wave barrier
	s_waitcnt lgkmcnt(0)
	s_and_saveexec_b64 s[4:5], vcc
	s_cbranch_execz .LBB85_27
; %bb.24:
	v_add_u32_e32 v48, -1, v0
	v_add_u32_e32 v49, 0xb0, v56
	v_add_u32_e32 v50, 0, v56
	s_mov_b64 s[6:7], 0
	v_mov_b32_e32 v3, 0
	v_mov_b32_e32 v51, 0
.LBB85_25:                              ; =>This Inner Loop Header: Depth=1
	buffer_load_dword v54, v50, s[0:3], 0 offen offset:4
	buffer_load_dword v55, v50, s[0:3], 0 offen
	ds_read_b64 v[52:53], v49
	v_add_u32_e32 v48, 1, v48
	v_cmp_lt_u32_e32 vcc, 1, v48
	v_add_u32_e32 v49, 8, v49
	v_add_u32_e32 v50, 8, v50
	s_or_b64 s[6:7], vcc, s[6:7]
	s_waitcnt vmcnt(1) lgkmcnt(0)
	v_mul_f32_e32 v57, v53, v54
	v_mul_f32_e32 v54, v52, v54
	s_waitcnt vmcnt(0)
	v_fma_f32 v52, v52, v55, -v57
	v_fmac_f32_e32 v54, v53, v55
	v_add_f32_e32 v51, v51, v52
	v_add_f32_e32 v3, v3, v54
	s_andn2_b64 exec, exec, s[6:7]
	s_cbranch_execnz .LBB85_25
; %bb.26:
	s_or_b64 exec, exec, s[6:7]
	v_mov_b32_e32 v48, 0
	ds_read_b64 v[48:49], v48 offset:24
	s_waitcnt lgkmcnt(0)
	v_mul_f32_e32 v50, v3, v49
	v_mul_f32_e32 v49, v51, v49
	v_fma_f32 v50, v51, v48, -v50
	v_fmac_f32_e32 v49, v3, v48
	buffer_store_dword v50, off, s[0:3], 0 offset:24
	buffer_store_dword v49, off, s[0:3], 0 offset:28
.LBB85_27:
	s_or_b64 exec, exec, s[4:5]
	s_waitcnt lgkmcnt(0)
	; wave barrier
	buffer_load_dword v48, off, s[0:3], 0 offset:32
	buffer_load_dword v49, off, s[0:3], 0 offset:36
	v_cmp_gt_u32_e32 vcc, 4, v0
	s_waitcnt vmcnt(0)
	ds_write_b64 v1, v[48:49]
	s_waitcnt lgkmcnt(0)
	; wave barrier
	s_waitcnt lgkmcnt(0)
	s_and_saveexec_b64 s[4:5], vcc
	s_cbranch_execz .LBB85_31
; %bb.28:
	v_add_u32_e32 v48, -1, v0
	v_add_u32_e32 v49, 0xb0, v56
	v_add_u32_e32 v50, 0, v56
	s_mov_b64 s[6:7], 0
	v_mov_b32_e32 v3, 0
	v_mov_b32_e32 v51, 0
.LBB85_29:                              ; =>This Inner Loop Header: Depth=1
	buffer_load_dword v54, v50, s[0:3], 0 offen offset:4
	buffer_load_dword v55, v50, s[0:3], 0 offen
	ds_read_b64 v[52:53], v49
	v_add_u32_e32 v48, 1, v48
	v_cmp_lt_u32_e32 vcc, 2, v48
	v_add_u32_e32 v49, 8, v49
	v_add_u32_e32 v50, 8, v50
	s_or_b64 s[6:7], vcc, s[6:7]
	s_waitcnt vmcnt(1) lgkmcnt(0)
	v_mul_f32_e32 v57, v53, v54
	v_mul_f32_e32 v54, v52, v54
	s_waitcnt vmcnt(0)
	v_fma_f32 v52, v52, v55, -v57
	v_fmac_f32_e32 v54, v53, v55
	v_add_f32_e32 v51, v51, v52
	v_add_f32_e32 v3, v3, v54
	s_andn2_b64 exec, exec, s[6:7]
	s_cbranch_execnz .LBB85_29
; %bb.30:
	s_or_b64 exec, exec, s[6:7]
	v_mov_b32_e32 v48, 0
	ds_read_b64 v[48:49], v48 offset:32
	s_waitcnt lgkmcnt(0)
	v_mul_f32_e32 v50, v3, v49
	v_mul_f32_e32 v49, v51, v49
	v_fma_f32 v50, v51, v48, -v50
	v_fmac_f32_e32 v49, v3, v48
	buffer_store_dword v50, off, s[0:3], 0 offset:32
	buffer_store_dword v49, off, s[0:3], 0 offset:36
.LBB85_31:
	s_or_b64 exec, exec, s[4:5]
	s_waitcnt lgkmcnt(0)
	; wave barrier
	buffer_load_dword v48, off, s[0:3], 0 offset:40
	buffer_load_dword v49, off, s[0:3], 0 offset:44
	v_cmp_gt_u32_e32 vcc, 5, v0
	s_waitcnt vmcnt(0)
	ds_write_b64 v1, v[48:49]
	;; [unrolled: 51-line block ×17, first 2 shown]
	s_waitcnt lgkmcnt(0)
	; wave barrier
	s_waitcnt lgkmcnt(0)
	s_and_saveexec_b64 s[4:5], vcc
	s_cbranch_execz .LBB85_95
; %bb.92:
	v_add_u32_e32 v48, -1, v0
	v_add_u32_e32 v49, 0xb0, v56
	v_add_u32_e32 v50, 0, v56
	s_mov_b64 s[6:7], 0
	v_mov_b32_e32 v3, 0
	v_mov_b32_e32 v51, 0
.LBB85_93:                              ; =>This Inner Loop Header: Depth=1
	buffer_load_dword v54, v50, s[0:3], 0 offen offset:4
	buffer_load_dword v55, v50, s[0:3], 0 offen
	ds_read_b64 v[52:53], v49
	v_add_u32_e32 v48, 1, v48
	v_cmp_lt_u32_e32 vcc, 18, v48
	v_add_u32_e32 v49, 8, v49
	v_add_u32_e32 v50, 8, v50
	s_or_b64 s[6:7], vcc, s[6:7]
	s_waitcnt vmcnt(1) lgkmcnt(0)
	v_mul_f32_e32 v57, v53, v54
	v_mul_f32_e32 v54, v52, v54
	s_waitcnt vmcnt(0)
	v_fma_f32 v52, v52, v55, -v57
	v_fmac_f32_e32 v54, v53, v55
	v_add_f32_e32 v51, v51, v52
	v_add_f32_e32 v3, v3, v54
	s_andn2_b64 exec, exec, s[6:7]
	s_cbranch_execnz .LBB85_93
; %bb.94:
	s_or_b64 exec, exec, s[6:7]
	v_mov_b32_e32 v48, 0
	ds_read_b64 v[48:49], v48 offset:160
	s_waitcnt lgkmcnt(0)
	v_mul_f32_e32 v50, v3, v49
	v_mul_f32_e32 v49, v51, v49
	v_fma_f32 v50, v51, v48, -v50
	v_fmac_f32_e32 v49, v3, v48
	buffer_store_dword v50, off, s[0:3], 0 offset:160
	buffer_store_dword v49, off, s[0:3], 0 offset:164
.LBB85_95:
	s_or_b64 exec, exec, s[4:5]
	s_waitcnt lgkmcnt(0)
	; wave barrier
	buffer_load_dword v48, off, s[0:3], 0 offset:168
	buffer_load_dword v49, off, s[0:3], 0 offset:172
	v_cmp_ne_u32_e32 vcc, 21, v0
	s_waitcnt vmcnt(0)
	ds_write_b64 v1, v[48:49]
	s_waitcnt lgkmcnt(0)
	; wave barrier
	s_waitcnt lgkmcnt(0)
	s_and_saveexec_b64 s[4:5], vcc
	s_cbranch_execz .LBB85_99
; %bb.96:
	v_add_u32_e32 v3, 0xb0, v56
	v_add_u32_e32 v48, 0, v56
	s_mov_b64 s[6:7], 0
	v_mov_b32_e32 v1, 0
	v_mov_b32_e32 v49, 0
.LBB85_97:                              ; =>This Inner Loop Header: Depth=1
	buffer_load_dword v52, v48, s[0:3], 0 offen offset:4
	buffer_load_dword v53, v48, s[0:3], 0 offen
	ds_read_b64 v[50:51], v3
	v_add_u32_e32 v2, 1, v2
	v_cmp_lt_u32_e32 vcc, 19, v2
	v_add_u32_e32 v3, 8, v3
	v_add_u32_e32 v48, 8, v48
	s_or_b64 s[6:7], vcc, s[6:7]
	s_waitcnt vmcnt(1) lgkmcnt(0)
	v_mul_f32_e32 v54, v51, v52
	v_mul_f32_e32 v52, v50, v52
	s_waitcnt vmcnt(0)
	v_fma_f32 v50, v50, v53, -v54
	v_fmac_f32_e32 v52, v51, v53
	v_add_f32_e32 v49, v49, v50
	v_add_f32_e32 v1, v1, v52
	s_andn2_b64 exec, exec, s[6:7]
	s_cbranch_execnz .LBB85_97
; %bb.98:
	s_or_b64 exec, exec, s[6:7]
	v_mov_b32_e32 v2, 0
	ds_read_b64 v[2:3], v2 offset:168
	s_waitcnt lgkmcnt(0)
	v_mul_f32_e32 v48, v1, v3
	v_mul_f32_e32 v3, v49, v3
	v_fma_f32 v48, v49, v2, -v48
	v_fmac_f32_e32 v3, v1, v2
	buffer_store_dword v48, off, s[0:3], 0 offset:168
	buffer_store_dword v3, off, s[0:3], 0 offset:172
.LBB85_99:
	s_or_b64 exec, exec, s[4:5]
	s_mov_b64 s[6:7], -1
	s_waitcnt lgkmcnt(0)
	; wave barrier
.LBB85_100:
	s_and_b64 vcc, exec, s[6:7]
	s_cbranch_vccz .LBB85_102
; %bb.101:
	s_lshl_b64 s[4:5], s[8:9], 2
	s_add_u32 s4, s14, s4
	s_addc_u32 s5, s15, s5
	v_mov_b32_e32 v1, 0
	global_load_dword v1, v1, s[4:5]
	s_waitcnt vmcnt(0)
	v_cmp_ne_u32_e32 vcc, 0, v1
	s_cbranch_vccz .LBB85_103
.LBB85_102:
	s_endpgm
.LBB85_103:
	v_mov_b32_e32 v1, 0xb0
	v_lshl_add_u32 v1, v0, 3, v1
	v_cmp_eq_u32_e32 vcc, 21, v0
	s_and_saveexec_b64 s[4:5], vcc
	s_cbranch_execz .LBB85_105
; %bb.104:
	buffer_load_dword v2, off, s[0:3], 0 offset:160
	buffer_load_dword v3, off, s[0:3], 0 offset:164
	v_mov_b32_e32 v48, 0
	buffer_store_dword v48, off, s[0:3], 0 offset:160
	buffer_store_dword v48, off, s[0:3], 0 offset:164
	s_waitcnt vmcnt(2)
	ds_write_b64 v1, v[2:3]
.LBB85_105:
	s_or_b64 exec, exec, s[4:5]
	s_waitcnt lgkmcnt(0)
	; wave barrier
	s_waitcnt lgkmcnt(0)
	buffer_load_dword v49, off, s[0:3], 0 offset:172
	buffer_load_dword v48, off, s[0:3], 0 offset:168
	;; [unrolled: 1-line block ×4, first 2 shown]
	v_mov_b32_e32 v2, 0
	ds_read_b64 v[52:53], v2 offset:344
	v_cmp_lt_u32_e32 vcc, 19, v0
	s_waitcnt vmcnt(3)
	v_mov_b32_e32 v54, v49
	s_waitcnt lgkmcnt(0)
	v_pk_mul_f32 v[54:55], v[52:53], v[54:55] op_sel_hi:[1,0]
	s_waitcnt vmcnt(2)
	v_pk_fma_f32 v[56:57], v[52:53], v[48:49], v[54:55] op_sel:[0,0,1] op_sel_hi:[1,1,0] neg_lo:[0,0,1] neg_hi:[0,0,1]
	v_pk_fma_f32 v[48:49], v[52:53], v[48:49], v[54:55] op_sel:[0,0,1] op_sel_hi:[1,0,0]
	v_mov_b32_e32 v57, v49
	v_pk_add_f32 v[48:49], v[56:57], 0 op_sel_hi:[1,0]
	s_waitcnt vmcnt(0)
	v_pk_add_f32 v[48:49], v[50:51], v[48:49] neg_lo:[0,1] neg_hi:[0,1]
	buffer_store_dword v48, off, s[0:3], 0 offset:160
	buffer_store_dword v49, off, s[0:3], 0 offset:164
	s_and_saveexec_b64 s[4:5], vcc
	s_cbranch_execz .LBB85_107
; %bb.106:
	buffer_load_dword v48, off, s[0:3], 0 offset:152
	buffer_load_dword v49, off, s[0:3], 0 offset:156
	s_waitcnt vmcnt(0)
	ds_write_b64 v1, v[48:49]
	buffer_store_dword v2, off, s[0:3], 0 offset:152
	buffer_store_dword v2, off, s[0:3], 0 offset:156
.LBB85_107:
	s_or_b64 exec, exec, s[4:5]
	s_waitcnt lgkmcnt(0)
	; wave barrier
	s_waitcnt lgkmcnt(0)
	buffer_load_dword v53, off, s[0:3], 0 offset:164
	buffer_load_dword v55, off, s[0:3], 0 offset:172
	;; [unrolled: 1-line block ×6, first 2 shown]
	ds_read_b128 v[48:51], v2 offset:336
	v_cmp_lt_u32_e32 vcc, 18, v0
	s_waitcnt vmcnt(5)
	v_mov_b32_e32 v2, v53
	s_waitcnt vmcnt(4)
	v_mov_b32_e32 v58, v55
	s_waitcnt lgkmcnt(0)
	v_pk_mul_f32 v[2:3], v[48:49], v[2:3] op_sel_hi:[1,0]
	v_pk_mul_f32 v[58:59], v[50:51], v[58:59] op_sel_hi:[1,0]
	s_waitcnt vmcnt(3)
	v_pk_fma_f32 v[60:61], v[48:49], v[52:53], v[2:3] op_sel:[0,0,1] op_sel_hi:[1,1,0] neg_lo:[0,0,1] neg_hi:[0,0,1]
	v_pk_fma_f32 v[2:3], v[48:49], v[52:53], v[2:3] op_sel:[0,0,1] op_sel_hi:[1,0,0]
	s_waitcnt vmcnt(2)
	v_pk_fma_f32 v[48:49], v[50:51], v[54:55], v[58:59] op_sel:[0,0,1] op_sel_hi:[1,1,0] neg_lo:[0,0,1] neg_hi:[0,0,1]
	v_pk_fma_f32 v[50:51], v[50:51], v[54:55], v[58:59] op_sel:[0,0,1] op_sel_hi:[1,0,0]
	v_mov_b32_e32 v61, v3
	v_mov_b32_e32 v49, v51
	v_pk_add_f32 v[2:3], v[60:61], 0 op_sel_hi:[1,0]
	v_pk_add_f32 v[2:3], v[2:3], v[48:49]
	s_waitcnt vmcnt(0)
	v_pk_add_f32 v[2:3], v[56:57], v[2:3] neg_lo:[0,1] neg_hi:[0,1]
	buffer_store_dword v2, off, s[0:3], 0 offset:152
	buffer_store_dword v3, off, s[0:3], 0 offset:156
	s_and_saveexec_b64 s[4:5], vcc
	s_cbranch_execz .LBB85_109
; %bb.108:
	buffer_load_dword v2, off, s[0:3], 0 offset:144
	buffer_load_dword v3, off, s[0:3], 0 offset:148
	v_mov_b32_e32 v48, 0
	buffer_store_dword v48, off, s[0:3], 0 offset:144
	buffer_store_dword v48, off, s[0:3], 0 offset:148
	s_waitcnt vmcnt(2)
	ds_write_b64 v1, v[2:3]
.LBB85_109:
	s_or_b64 exec, exec, s[4:5]
	s_waitcnt lgkmcnt(0)
	; wave barrier
	s_waitcnt lgkmcnt(0)
	buffer_load_dword v53, off, s[0:3], 0 offset:156
	buffer_load_dword v55, off, s[0:3], 0 offset:164
	;; [unrolled: 1-line block ×8, first 2 shown]
	v_mov_b32_e32 v2, 0
	ds_read2_b64 v[48:51], v2 offset0:41 offset1:42
	ds_read_b64 v[60:61], v2 offset:344
	v_cmp_lt_u32_e32 vcc, 17, v0
	s_waitcnt vmcnt(7)
	v_mov_b32_e32 v62, v53
	s_waitcnt vmcnt(6)
	v_mov_b32_e32 v64, v55
	s_waitcnt lgkmcnt(1)
	v_pk_mul_f32 v[62:63], v[48:49], v[62:63] op_sel_hi:[1,0]
	s_waitcnt vmcnt(5)
	v_mov_b32_e32 v66, v57
	v_pk_mul_f32 v[64:65], v[50:51], v[64:65] op_sel_hi:[1,0]
	s_waitcnt vmcnt(4)
	v_pk_fma_f32 v[68:69], v[48:49], v[52:53], v[62:63] op_sel:[0,0,1] op_sel_hi:[1,1,0] neg_lo:[0,0,1] neg_hi:[0,0,1]
	v_pk_fma_f32 v[48:49], v[48:49], v[52:53], v[62:63] op_sel:[0,0,1] op_sel_hi:[1,0,0]
	s_waitcnt lgkmcnt(0)
	v_pk_mul_f32 v[66:67], v[60:61], v[66:67] op_sel_hi:[1,0]
	s_waitcnt vmcnt(3)
	v_pk_fma_f32 v[52:53], v[50:51], v[54:55], v[64:65] op_sel:[0,0,1] op_sel_hi:[1,1,0] neg_lo:[0,0,1] neg_hi:[0,0,1]
	v_pk_fma_f32 v[50:51], v[50:51], v[54:55], v[64:65] op_sel:[0,0,1] op_sel_hi:[1,0,0]
	v_mov_b32_e32 v69, v49
	s_waitcnt vmcnt(2)
	v_pk_fma_f32 v[54:55], v[60:61], v[56:57], v[66:67] op_sel:[0,0,1] op_sel_hi:[1,1,0] neg_lo:[0,0,1] neg_hi:[0,0,1]
	v_pk_fma_f32 v[56:57], v[60:61], v[56:57], v[66:67] op_sel:[0,0,1] op_sel_hi:[1,0,0]
	v_mov_b32_e32 v53, v51
	v_pk_add_f32 v[48:49], v[68:69], 0 op_sel_hi:[1,0]
	v_mov_b32_e32 v55, v57
	v_pk_add_f32 v[48:49], v[48:49], v[52:53]
	v_pk_add_f32 v[48:49], v[48:49], v[54:55]
	s_waitcnt vmcnt(0)
	v_pk_add_f32 v[48:49], v[58:59], v[48:49] neg_lo:[0,1] neg_hi:[0,1]
	buffer_store_dword v48, off, s[0:3], 0 offset:144
	buffer_store_dword v49, off, s[0:3], 0 offset:148
	s_and_saveexec_b64 s[4:5], vcc
	s_cbranch_execz .LBB85_111
; %bb.110:
	buffer_load_dword v48, off, s[0:3], 0 offset:136
	buffer_load_dword v49, off, s[0:3], 0 offset:140
	s_waitcnt vmcnt(0)
	ds_write_b64 v1, v[48:49]
	buffer_store_dword v2, off, s[0:3], 0 offset:136
	buffer_store_dword v2, off, s[0:3], 0 offset:140
.LBB85_111:
	s_or_b64 exec, exec, s[4:5]
	s_waitcnt lgkmcnt(0)
	; wave barrier
	s_waitcnt lgkmcnt(0)
	buffer_load_dword v57, off, s[0:3], 0 offset:148
	buffer_load_dword v59, off, s[0:3], 0 offset:156
	;; [unrolled: 1-line block ×10, first 2 shown]
	ds_read_b128 v[48:51], v2 offset:320
	ds_read_b128 v[52:55], v2 offset:336
	v_cmp_lt_u32_e32 vcc, 16, v0
	s_waitcnt vmcnt(9)
	v_mov_b32_e32 v2, v57
	s_waitcnt vmcnt(8)
	v_mov_b32_e32 v66, v59
	s_waitcnt lgkmcnt(1)
	v_pk_mul_f32 v[2:3], v[48:49], v[2:3] op_sel_hi:[1,0]
	s_waitcnt vmcnt(7)
	v_mov_b32_e32 v68, v61
	v_pk_mul_f32 v[66:67], v[50:51], v[66:67] op_sel_hi:[1,0]
	s_waitcnt vmcnt(5)
	v_pk_fma_f32 v[72:73], v[48:49], v[56:57], v[2:3] op_sel:[0,0,1] op_sel_hi:[1,1,0] neg_lo:[0,0,1] neg_hi:[0,0,1]
	v_pk_fma_f32 v[2:3], v[48:49], v[56:57], v[2:3] op_sel:[0,0,1] op_sel_hi:[1,0,0]
	v_mov_b32_e32 v70, v63
	s_waitcnt lgkmcnt(0)
	v_pk_mul_f32 v[68:69], v[52:53], v[68:69] op_sel_hi:[1,0]
	s_waitcnt vmcnt(4)
	v_pk_fma_f32 v[48:49], v[50:51], v[58:59], v[66:67] op_sel:[0,0,1] op_sel_hi:[1,1,0] neg_lo:[0,0,1] neg_hi:[0,0,1]
	v_pk_fma_f32 v[50:51], v[50:51], v[58:59], v[66:67] op_sel:[0,0,1] op_sel_hi:[1,0,0]
	v_mov_b32_e32 v73, v3
	v_pk_mul_f32 v[70:71], v[54:55], v[70:71] op_sel_hi:[1,0]
	s_waitcnt vmcnt(3)
	v_pk_fma_f32 v[56:57], v[52:53], v[60:61], v[68:69] op_sel:[0,0,1] op_sel_hi:[1,1,0] neg_lo:[0,0,1] neg_hi:[0,0,1]
	v_pk_fma_f32 v[52:53], v[52:53], v[60:61], v[68:69] op_sel:[0,0,1] op_sel_hi:[1,0,0]
	v_mov_b32_e32 v49, v51
	v_pk_add_f32 v[2:3], v[72:73], 0 op_sel_hi:[1,0]
	s_waitcnt vmcnt(2)
	v_pk_fma_f32 v[58:59], v[54:55], v[62:63], v[70:71] op_sel:[0,0,1] op_sel_hi:[1,1,0] neg_lo:[0,0,1] neg_hi:[0,0,1]
	v_pk_fma_f32 v[54:55], v[54:55], v[62:63], v[70:71] op_sel:[0,0,1] op_sel_hi:[1,0,0]
	v_mov_b32_e32 v57, v53
	v_pk_add_f32 v[2:3], v[2:3], v[48:49]
	v_mov_b32_e32 v59, v55
	v_pk_add_f32 v[2:3], v[2:3], v[56:57]
	v_pk_add_f32 v[2:3], v[2:3], v[58:59]
	s_waitcnt vmcnt(0)
	v_pk_add_f32 v[2:3], v[64:65], v[2:3] neg_lo:[0,1] neg_hi:[0,1]
	buffer_store_dword v2, off, s[0:3], 0 offset:136
	buffer_store_dword v3, off, s[0:3], 0 offset:140
	s_and_saveexec_b64 s[4:5], vcc
	s_cbranch_execz .LBB85_113
; %bb.112:
	buffer_load_dword v2, off, s[0:3], 0 offset:128
	buffer_load_dword v3, off, s[0:3], 0 offset:132
	v_mov_b32_e32 v48, 0
	buffer_store_dword v48, off, s[0:3], 0 offset:128
	buffer_store_dword v48, off, s[0:3], 0 offset:132
	s_waitcnt vmcnt(2)
	ds_write_b64 v1, v[2:3]
.LBB85_113:
	s_or_b64 exec, exec, s[4:5]
	s_waitcnt lgkmcnt(0)
	; wave barrier
	s_waitcnt lgkmcnt(0)
	buffer_load_dword v57, off, s[0:3], 0 offset:140
	buffer_load_dword v59, off, s[0:3], 0 offset:148
	;; [unrolled: 1-line block ×12, first 2 shown]
	v_mov_b32_e32 v2, 0
	ds_read2_b64 v[48:51], v2 offset0:39 offset1:40
	ds_read2_b64 v[52:55], v2 offset0:41 offset1:42
	ds_read_b64 v[68:69], v2 offset:344
	v_cmp_lt_u32_e32 vcc, 15, v0
	s_waitcnt vmcnt(11)
	v_mov_b32_e32 v70, v57
	s_waitcnt vmcnt(10)
	v_mov_b32_e32 v72, v59
	s_waitcnt lgkmcnt(2)
	v_pk_mul_f32 v[70:71], v[48:49], v[70:71] op_sel_hi:[1,0]
	s_waitcnt vmcnt(9)
	v_mov_b32_e32 v74, v61
	v_pk_mul_f32 v[72:73], v[50:51], v[72:73] op_sel_hi:[1,0]
	s_waitcnt vmcnt(6)
	v_pk_fma_f32 v[80:81], v[48:49], v[56:57], v[70:71] op_sel:[0,0,1] op_sel_hi:[1,1,0] neg_lo:[0,0,1] neg_hi:[0,0,1]
	v_pk_fma_f32 v[48:49], v[48:49], v[56:57], v[70:71] op_sel:[0,0,1] op_sel_hi:[1,0,0]
	v_mov_b32_e32 v76, v63
	s_waitcnt lgkmcnt(1)
	v_pk_mul_f32 v[74:75], v[52:53], v[74:75] op_sel_hi:[1,0]
	s_waitcnt vmcnt(5)
	v_pk_fma_f32 v[56:57], v[50:51], v[58:59], v[72:73] op_sel:[0,0,1] op_sel_hi:[1,1,0] neg_lo:[0,0,1] neg_hi:[0,0,1]
	v_pk_fma_f32 v[50:51], v[50:51], v[58:59], v[72:73] op_sel:[0,0,1] op_sel_hi:[1,0,0]
	v_mov_b32_e32 v81, v49
	v_mov_b32_e32 v78, v65
	v_pk_mul_f32 v[76:77], v[54:55], v[76:77] op_sel_hi:[1,0]
	s_waitcnt vmcnt(4)
	v_pk_fma_f32 v[58:59], v[52:53], v[60:61], v[74:75] op_sel:[0,0,1] op_sel_hi:[1,1,0] neg_lo:[0,0,1] neg_hi:[0,0,1]
	v_pk_fma_f32 v[52:53], v[52:53], v[60:61], v[74:75] op_sel:[0,0,1] op_sel_hi:[1,0,0]
	v_mov_b32_e32 v57, v51
	v_pk_add_f32 v[48:49], v[80:81], 0 op_sel_hi:[1,0]
	s_waitcnt lgkmcnt(0)
	v_pk_mul_f32 v[78:79], v[68:69], v[78:79] op_sel_hi:[1,0]
	s_waitcnt vmcnt(3)
	v_pk_fma_f32 v[60:61], v[54:55], v[62:63], v[76:77] op_sel:[0,0,1] op_sel_hi:[1,1,0] neg_lo:[0,0,1] neg_hi:[0,0,1]
	v_pk_fma_f32 v[54:55], v[54:55], v[62:63], v[76:77] op_sel:[0,0,1] op_sel_hi:[1,0,0]
	v_mov_b32_e32 v59, v53
	v_pk_add_f32 v[48:49], v[48:49], v[56:57]
	s_waitcnt vmcnt(2)
	v_pk_fma_f32 v[62:63], v[68:69], v[64:65], v[78:79] op_sel:[0,0,1] op_sel_hi:[1,1,0] neg_lo:[0,0,1] neg_hi:[0,0,1]
	v_pk_fma_f32 v[64:65], v[68:69], v[64:65], v[78:79] op_sel:[0,0,1] op_sel_hi:[1,0,0]
	v_mov_b32_e32 v61, v55
	v_pk_add_f32 v[48:49], v[48:49], v[58:59]
	v_mov_b32_e32 v63, v65
	v_pk_add_f32 v[48:49], v[48:49], v[60:61]
	v_pk_add_f32 v[48:49], v[48:49], v[62:63]
	s_waitcnt vmcnt(0)
	v_pk_add_f32 v[48:49], v[66:67], v[48:49] neg_lo:[0,1] neg_hi:[0,1]
	buffer_store_dword v48, off, s[0:3], 0 offset:128
	buffer_store_dword v49, off, s[0:3], 0 offset:132
	s_and_saveexec_b64 s[4:5], vcc
	s_cbranch_execz .LBB85_115
; %bb.114:
	buffer_load_dword v48, off, s[0:3], 0 offset:120
	buffer_load_dword v49, off, s[0:3], 0 offset:124
	s_waitcnt vmcnt(0)
	ds_write_b64 v1, v[48:49]
	buffer_store_dword v2, off, s[0:3], 0 offset:120
	buffer_store_dword v2, off, s[0:3], 0 offset:124
.LBB85_115:
	s_or_b64 exec, exec, s[4:5]
	s_waitcnt lgkmcnt(0)
	; wave barrier
	s_waitcnt lgkmcnt(0)
	buffer_load_dword v61, off, s[0:3], 0 offset:132
	buffer_load_dword v63, off, s[0:3], 0 offset:140
	buffer_load_dword v65, off, s[0:3], 0 offset:148
	buffer_load_dword v67, off, s[0:3], 0 offset:156
	buffer_load_dword v69, off, s[0:3], 0 offset:164
	buffer_load_dword v71, off, s[0:3], 0 offset:172
	buffer_load_dword v60, off, s[0:3], 0 offset:128
	buffer_load_dword v62, off, s[0:3], 0 offset:136
	buffer_load_dword v64, off, s[0:3], 0 offset:144
	buffer_load_dword v66, off, s[0:3], 0 offset:152
	buffer_load_dword v68, off, s[0:3], 0 offset:160
	buffer_load_dword v70, off, s[0:3], 0 offset:168
	buffer_load_dword v72, off, s[0:3], 0 offset:120
	buffer_load_dword v73, off, s[0:3], 0 offset:124
	ds_read_b128 v[48:51], v2 offset:304
	ds_read_b128 v[52:55], v2 offset:320
	;; [unrolled: 1-line block ×3, first 2 shown]
	v_cmp_lt_u32_e32 vcc, 14, v0
	s_waitcnt vmcnt(13)
	v_mov_b32_e32 v2, v61
	s_waitcnt vmcnt(12)
	v_mov_b32_e32 v74, v63
	s_waitcnt lgkmcnt(2)
	v_pk_mul_f32 v[2:3], v[48:49], v[2:3] op_sel_hi:[1,0]
	s_waitcnt vmcnt(11)
	v_mov_b32_e32 v76, v65
	v_pk_mul_f32 v[74:75], v[50:51], v[74:75] op_sel_hi:[1,0]
	s_waitcnt vmcnt(10)
	v_mov_b32_e32 v78, v67
	s_waitcnt vmcnt(7)
	v_pk_fma_f32 v[84:85], v[48:49], v[60:61], v[2:3] op_sel:[0,0,1] op_sel_hi:[1,1,0] neg_lo:[0,0,1] neg_hi:[0,0,1]
	v_pk_fma_f32 v[2:3], v[48:49], v[60:61], v[2:3] op_sel:[0,0,1] op_sel_hi:[1,0,0]
	s_waitcnt lgkmcnt(1)
	v_pk_mul_f32 v[76:77], v[52:53], v[76:77] op_sel_hi:[1,0]
	s_waitcnt vmcnt(6)
	v_pk_fma_f32 v[48:49], v[50:51], v[62:63], v[74:75] op_sel:[0,0,1] op_sel_hi:[1,1,0] neg_lo:[0,0,1] neg_hi:[0,0,1]
	v_pk_fma_f32 v[50:51], v[50:51], v[62:63], v[74:75] op_sel:[0,0,1] op_sel_hi:[1,0,0]
	v_mov_b32_e32 v85, v3
	v_mov_b32_e32 v80, v69
	v_pk_mul_f32 v[78:79], v[54:55], v[78:79] op_sel_hi:[1,0]
	s_waitcnt vmcnt(5)
	v_pk_fma_f32 v[60:61], v[52:53], v[64:65], v[76:77] op_sel:[0,0,1] op_sel_hi:[1,1,0] neg_lo:[0,0,1] neg_hi:[0,0,1]
	v_pk_fma_f32 v[52:53], v[52:53], v[64:65], v[76:77] op_sel:[0,0,1] op_sel_hi:[1,0,0]
	v_mov_b32_e32 v49, v51
	v_pk_add_f32 v[2:3], v[84:85], 0 op_sel_hi:[1,0]
	v_mov_b32_e32 v82, v71
	s_waitcnt lgkmcnt(0)
	v_pk_mul_f32 v[80:81], v[56:57], v[80:81] op_sel_hi:[1,0]
	s_waitcnt vmcnt(4)
	v_pk_fma_f32 v[62:63], v[54:55], v[66:67], v[78:79] op_sel:[0,0,1] op_sel_hi:[1,1,0] neg_lo:[0,0,1] neg_hi:[0,0,1]
	v_pk_fma_f32 v[54:55], v[54:55], v[66:67], v[78:79] op_sel:[0,0,1] op_sel_hi:[1,0,0]
	v_mov_b32_e32 v61, v53
	v_pk_add_f32 v[2:3], v[2:3], v[48:49]
	v_pk_mul_f32 v[82:83], v[58:59], v[82:83] op_sel_hi:[1,0]
	s_waitcnt vmcnt(3)
	v_pk_fma_f32 v[64:65], v[56:57], v[68:69], v[80:81] op_sel:[0,0,1] op_sel_hi:[1,1,0] neg_lo:[0,0,1] neg_hi:[0,0,1]
	v_pk_fma_f32 v[56:57], v[56:57], v[68:69], v[80:81] op_sel:[0,0,1] op_sel_hi:[1,0,0]
	v_mov_b32_e32 v63, v55
	v_pk_add_f32 v[2:3], v[2:3], v[60:61]
	s_waitcnt vmcnt(2)
	v_pk_fma_f32 v[66:67], v[58:59], v[70:71], v[82:83] op_sel:[0,0,1] op_sel_hi:[1,1,0] neg_lo:[0,0,1] neg_hi:[0,0,1]
	v_pk_fma_f32 v[58:59], v[58:59], v[70:71], v[82:83] op_sel:[0,0,1] op_sel_hi:[1,0,0]
	v_mov_b32_e32 v65, v57
	v_pk_add_f32 v[2:3], v[2:3], v[62:63]
	v_mov_b32_e32 v67, v59
	v_pk_add_f32 v[2:3], v[2:3], v[64:65]
	v_pk_add_f32 v[2:3], v[2:3], v[66:67]
	s_waitcnt vmcnt(0)
	v_pk_add_f32 v[2:3], v[72:73], v[2:3] neg_lo:[0,1] neg_hi:[0,1]
	buffer_store_dword v2, off, s[0:3], 0 offset:120
	buffer_store_dword v3, off, s[0:3], 0 offset:124
	s_and_saveexec_b64 s[4:5], vcc
	s_cbranch_execz .LBB85_117
; %bb.116:
	buffer_load_dword v2, off, s[0:3], 0 offset:112
	buffer_load_dword v3, off, s[0:3], 0 offset:116
	v_mov_b32_e32 v48, 0
	buffer_store_dword v48, off, s[0:3], 0 offset:112
	buffer_store_dword v48, off, s[0:3], 0 offset:116
	s_waitcnt vmcnt(2)
	ds_write_b64 v1, v[2:3]
.LBB85_117:
	s_or_b64 exec, exec, s[4:5]
	s_waitcnt lgkmcnt(0)
	; wave barrier
	s_waitcnt lgkmcnt(0)
	buffer_load_dword v61, off, s[0:3], 0 offset:124
	buffer_load_dword v63, off, s[0:3], 0 offset:132
	buffer_load_dword v65, off, s[0:3], 0 offset:140
	buffer_load_dword v67, off, s[0:3], 0 offset:148
	buffer_load_dword v69, off, s[0:3], 0 offset:156
	buffer_load_dword v71, off, s[0:3], 0 offset:164
	buffer_load_dword v73, off, s[0:3], 0 offset:172
	buffer_load_dword v60, off, s[0:3], 0 offset:120
	buffer_load_dword v62, off, s[0:3], 0 offset:128
	buffer_load_dword v64, off, s[0:3], 0 offset:136
	buffer_load_dword v66, off, s[0:3], 0 offset:144
	buffer_load_dword v68, off, s[0:3], 0 offset:152
	buffer_load_dword v70, off, s[0:3], 0 offset:160
	buffer_load_dword v72, off, s[0:3], 0 offset:168
	buffer_load_dword v74, off, s[0:3], 0 offset:112
	buffer_load_dword v75, off, s[0:3], 0 offset:116
	v_mov_b32_e32 v2, 0
	ds_read2_b64 v[48:51], v2 offset0:37 offset1:38
	ds_read2_b64 v[52:55], v2 offset0:39 offset1:40
	;; [unrolled: 1-line block ×3, first 2 shown]
	ds_read_b64 v[76:77], v2 offset:344
	v_cmp_lt_u32_e32 vcc, 13, v0
	s_waitcnt vmcnt(15)
	v_mov_b32_e32 v78, v61
	s_waitcnt vmcnt(14)
	v_mov_b32_e32 v80, v63
	s_waitcnt lgkmcnt(3)
	v_pk_mul_f32 v[78:79], v[48:49], v[78:79] op_sel_hi:[1,0]
	s_waitcnt vmcnt(13)
	v_mov_b32_e32 v82, v65
	v_pk_mul_f32 v[80:81], v[50:51], v[80:81] op_sel_hi:[1,0]
	s_waitcnt vmcnt(12)
	v_mov_b32_e32 v84, v67
	s_waitcnt lgkmcnt(2)
	v_pk_mul_f32 v[82:83], v[52:53], v[82:83] op_sel_hi:[1,0]
	s_waitcnt vmcnt(8)
	v_pk_fma_f32 v[92:93], v[48:49], v[60:61], v[78:79] op_sel:[0,0,1] op_sel_hi:[1,1,0] neg_lo:[0,0,1] neg_hi:[0,0,1]
	v_pk_fma_f32 v[48:49], v[48:49], v[60:61], v[78:79] op_sel:[0,0,1] op_sel_hi:[1,0,0]
	s_waitcnt vmcnt(7)
	v_pk_fma_f32 v[60:61], v[50:51], v[62:63], v[80:81] op_sel:[0,0,1] op_sel_hi:[1,1,0] neg_lo:[0,0,1] neg_hi:[0,0,1]
	v_pk_fma_f32 v[50:51], v[50:51], v[62:63], v[80:81] op_sel:[0,0,1] op_sel_hi:[1,0,0]
	v_mov_b32_e32 v93, v49
	v_mov_b32_e32 v86, v69
	v_pk_mul_f32 v[84:85], v[54:55], v[84:85] op_sel_hi:[1,0]
	s_waitcnt vmcnt(6)
	v_pk_fma_f32 v[62:63], v[52:53], v[64:65], v[82:83] op_sel:[0,0,1] op_sel_hi:[1,1,0] neg_lo:[0,0,1] neg_hi:[0,0,1]
	v_pk_fma_f32 v[52:53], v[52:53], v[64:65], v[82:83] op_sel:[0,0,1] op_sel_hi:[1,0,0]
	v_mov_b32_e32 v61, v51
	v_pk_add_f32 v[48:49], v[92:93], 0 op_sel_hi:[1,0]
	v_mov_b32_e32 v88, v71
	s_waitcnt lgkmcnt(1)
	v_pk_mul_f32 v[86:87], v[56:57], v[86:87] op_sel_hi:[1,0]
	s_waitcnt vmcnt(5)
	v_pk_fma_f32 v[64:65], v[54:55], v[66:67], v[84:85] op_sel:[0,0,1] op_sel_hi:[1,1,0] neg_lo:[0,0,1] neg_hi:[0,0,1]
	v_pk_fma_f32 v[54:55], v[54:55], v[66:67], v[84:85] op_sel:[0,0,1] op_sel_hi:[1,0,0]
	v_mov_b32_e32 v63, v53
	v_pk_add_f32 v[48:49], v[48:49], v[60:61]
	v_mov_b32_e32 v90, v73
	v_pk_mul_f32 v[88:89], v[58:59], v[88:89] op_sel_hi:[1,0]
	s_waitcnt vmcnt(4)
	v_pk_fma_f32 v[66:67], v[56:57], v[68:69], v[86:87] op_sel:[0,0,1] op_sel_hi:[1,1,0] neg_lo:[0,0,1] neg_hi:[0,0,1]
	v_pk_fma_f32 v[56:57], v[56:57], v[68:69], v[86:87] op_sel:[0,0,1] op_sel_hi:[1,0,0]
	v_mov_b32_e32 v65, v55
	v_pk_add_f32 v[48:49], v[48:49], v[62:63]
	s_waitcnt lgkmcnt(0)
	v_pk_mul_f32 v[90:91], v[76:77], v[90:91] op_sel_hi:[1,0]
	s_waitcnt vmcnt(3)
	v_pk_fma_f32 v[68:69], v[58:59], v[70:71], v[88:89] op_sel:[0,0,1] op_sel_hi:[1,1,0] neg_lo:[0,0,1] neg_hi:[0,0,1]
	v_pk_fma_f32 v[58:59], v[58:59], v[70:71], v[88:89] op_sel:[0,0,1] op_sel_hi:[1,0,0]
	v_mov_b32_e32 v67, v57
	v_pk_add_f32 v[48:49], v[48:49], v[64:65]
	s_waitcnt vmcnt(2)
	v_pk_fma_f32 v[70:71], v[76:77], v[72:73], v[90:91] op_sel:[0,0,1] op_sel_hi:[1,1,0] neg_lo:[0,0,1] neg_hi:[0,0,1]
	v_pk_fma_f32 v[72:73], v[76:77], v[72:73], v[90:91] op_sel:[0,0,1] op_sel_hi:[1,0,0]
	v_mov_b32_e32 v69, v59
	v_pk_add_f32 v[48:49], v[48:49], v[66:67]
	v_mov_b32_e32 v71, v73
	v_pk_add_f32 v[48:49], v[48:49], v[68:69]
	v_pk_add_f32 v[48:49], v[48:49], v[70:71]
	s_waitcnt vmcnt(0)
	v_pk_add_f32 v[48:49], v[74:75], v[48:49] neg_lo:[0,1] neg_hi:[0,1]
	buffer_store_dword v48, off, s[0:3], 0 offset:112
	buffer_store_dword v49, off, s[0:3], 0 offset:116
	s_and_saveexec_b64 s[4:5], vcc
	s_cbranch_execz .LBB85_119
; %bb.118:
	buffer_load_dword v48, off, s[0:3], 0 offset:104
	buffer_load_dword v49, off, s[0:3], 0 offset:108
	s_waitcnt vmcnt(0)
	ds_write_b64 v1, v[48:49]
	buffer_store_dword v2, off, s[0:3], 0 offset:104
	buffer_store_dword v2, off, s[0:3], 0 offset:108
.LBB85_119:
	s_or_b64 exec, exec, s[4:5]
	s_waitcnt lgkmcnt(0)
	; wave barrier
	s_waitcnt lgkmcnt(0)
	buffer_load_dword v65, off, s[0:3], 0 offset:116
	buffer_load_dword v67, off, s[0:3], 0 offset:124
	;; [unrolled: 1-line block ×18, first 2 shown]
	ds_read_b128 v[48:51], v2 offset:288
	ds_read_b128 v[52:55], v2 offset:304
	;; [unrolled: 1-line block ×4, first 2 shown]
	v_cmp_lt_u32_e32 vcc, 12, v0
	s_waitcnt vmcnt(17)
	v_mov_b32_e32 v2, v65
	s_waitcnt vmcnt(16)
	v_mov_b32_e32 v82, v67
	s_waitcnt lgkmcnt(3)
	v_pk_mul_f32 v[2:3], v[48:49], v[2:3] op_sel_hi:[1,0]
	s_waitcnt vmcnt(15)
	v_mov_b32_e32 v84, v69
	v_pk_mul_f32 v[82:83], v[50:51], v[82:83] op_sel_hi:[1,0]
	s_waitcnt vmcnt(14)
	v_mov_b32_e32 v86, v71
	s_waitcnt lgkmcnt(2)
	v_pk_mul_f32 v[84:85], v[52:53], v[84:85] op_sel_hi:[1,0]
	s_waitcnt vmcnt(13)
	v_mov_b32_e32 v88, v73
	s_waitcnt vmcnt(9)
	v_pk_fma_f32 v[96:97], v[48:49], v[64:65], v[2:3] op_sel:[0,0,1] op_sel_hi:[1,1,0] neg_lo:[0,0,1] neg_hi:[0,0,1]
	v_pk_fma_f32 v[2:3], v[48:49], v[64:65], v[2:3] op_sel:[0,0,1] op_sel_hi:[1,0,0]
	s_waitcnt vmcnt(8)
	v_pk_fma_f32 v[48:49], v[50:51], v[66:67], v[82:83] op_sel:[0,0,1] op_sel_hi:[1,1,0] neg_lo:[0,0,1] neg_hi:[0,0,1]
	v_pk_fma_f32 v[50:51], v[50:51], v[66:67], v[82:83] op_sel:[0,0,1] op_sel_hi:[1,0,0]
	v_mov_b32_e32 v97, v3
	v_pk_mul_f32 v[86:87], v[54:55], v[86:87] op_sel_hi:[1,0]
	s_waitcnt vmcnt(7)
	v_pk_fma_f32 v[64:65], v[52:53], v[68:69], v[84:85] op_sel:[0,0,1] op_sel_hi:[1,1,0] neg_lo:[0,0,1] neg_hi:[0,0,1]
	v_pk_fma_f32 v[52:53], v[52:53], v[68:69], v[84:85] op_sel:[0,0,1] op_sel_hi:[1,0,0]
	v_mov_b32_e32 v49, v51
	v_pk_add_f32 v[2:3], v[96:97], 0 op_sel_hi:[1,0]
	v_mov_b32_e32 v90, v75
	s_waitcnt lgkmcnt(1)
	v_pk_mul_f32 v[88:89], v[56:57], v[88:89] op_sel_hi:[1,0]
	s_waitcnt vmcnt(6)
	v_pk_fma_f32 v[66:67], v[54:55], v[70:71], v[86:87] op_sel:[0,0,1] op_sel_hi:[1,1,0] neg_lo:[0,0,1] neg_hi:[0,0,1]
	v_pk_fma_f32 v[54:55], v[54:55], v[70:71], v[86:87] op_sel:[0,0,1] op_sel_hi:[1,0,0]
	v_mov_b32_e32 v65, v53
	v_pk_add_f32 v[2:3], v[2:3], v[48:49]
	v_mov_b32_e32 v92, v77
	v_pk_mul_f32 v[90:91], v[58:59], v[90:91] op_sel_hi:[1,0]
	s_waitcnt vmcnt(5)
	v_pk_fma_f32 v[68:69], v[56:57], v[72:73], v[88:89] op_sel:[0,0,1] op_sel_hi:[1,1,0] neg_lo:[0,0,1] neg_hi:[0,0,1]
	v_pk_fma_f32 v[56:57], v[56:57], v[72:73], v[88:89] op_sel:[0,0,1] op_sel_hi:[1,0,0]
	v_mov_b32_e32 v67, v55
	v_pk_add_f32 v[2:3], v[2:3], v[64:65]
	v_mov_b32_e32 v94, v79
	s_waitcnt lgkmcnt(0)
	v_pk_mul_f32 v[92:93], v[60:61], v[92:93] op_sel_hi:[1,0]
	s_waitcnt vmcnt(4)
	v_pk_fma_f32 v[70:71], v[58:59], v[74:75], v[90:91] op_sel:[0,0,1] op_sel_hi:[1,1,0] neg_lo:[0,0,1] neg_hi:[0,0,1]
	v_pk_fma_f32 v[58:59], v[58:59], v[74:75], v[90:91] op_sel:[0,0,1] op_sel_hi:[1,0,0]
	v_mov_b32_e32 v69, v57
	v_pk_add_f32 v[2:3], v[2:3], v[66:67]
	v_pk_mul_f32 v[94:95], v[62:63], v[94:95] op_sel_hi:[1,0]
	s_waitcnt vmcnt(3)
	v_pk_fma_f32 v[72:73], v[60:61], v[76:77], v[92:93] op_sel:[0,0,1] op_sel_hi:[1,1,0] neg_lo:[0,0,1] neg_hi:[0,0,1]
	v_pk_fma_f32 v[60:61], v[60:61], v[76:77], v[92:93] op_sel:[0,0,1] op_sel_hi:[1,0,0]
	v_mov_b32_e32 v71, v59
	v_pk_add_f32 v[2:3], v[2:3], v[68:69]
	s_waitcnt vmcnt(2)
	v_pk_fma_f32 v[74:75], v[62:63], v[78:79], v[94:95] op_sel:[0,0,1] op_sel_hi:[1,1,0] neg_lo:[0,0,1] neg_hi:[0,0,1]
	v_pk_fma_f32 v[62:63], v[62:63], v[78:79], v[94:95] op_sel:[0,0,1] op_sel_hi:[1,0,0]
	v_mov_b32_e32 v73, v61
	v_pk_add_f32 v[2:3], v[2:3], v[70:71]
	v_mov_b32_e32 v75, v63
	v_pk_add_f32 v[2:3], v[2:3], v[72:73]
	v_pk_add_f32 v[2:3], v[2:3], v[74:75]
	s_waitcnt vmcnt(0)
	v_pk_add_f32 v[2:3], v[80:81], v[2:3] neg_lo:[0,1] neg_hi:[0,1]
	buffer_store_dword v2, off, s[0:3], 0 offset:104
	buffer_store_dword v3, off, s[0:3], 0 offset:108
	s_and_saveexec_b64 s[4:5], vcc
	s_cbranch_execz .LBB85_121
; %bb.120:
	buffer_load_dword v2, off, s[0:3], 0 offset:96
	buffer_load_dword v3, off, s[0:3], 0 offset:100
	v_mov_b32_e32 v48, 0
	buffer_store_dword v48, off, s[0:3], 0 offset:96
	buffer_store_dword v48, off, s[0:3], 0 offset:100
	s_waitcnt vmcnt(2)
	ds_write_b64 v1, v[2:3]
.LBB85_121:
	s_or_b64 exec, exec, s[4:5]
	s_waitcnt lgkmcnt(0)
	; wave barrier
	s_waitcnt lgkmcnt(0)
	buffer_load_dword v3, off, s[0:3], 0 offset:108
	buffer_load_dword v65, off, s[0:3], 0 offset:116
	;; [unrolled: 1-line block ×20, first 2 shown]
	v_mov_b32_e32 v2, 0
	ds_read2_b64 v[48:51], v2 offset0:35 offset1:36
	ds_read2_b64 v[52:55], v2 offset0:37 offset1:38
	;; [unrolled: 1-line block ×4, first 2 shown]
	ds_read_b64 v[82:83], v2 offset:344
	v_cmp_lt_u32_e32 vcc, 11, v0
	s_waitcnt vmcnt(19) lgkmcnt(4)
	v_mul_f32_e32 v85, v48, v3
	v_mul_f32_e32 v3, v49, v3
	s_waitcnt vmcnt(18)
	v_mov_b32_e32 v86, v65
	s_waitcnt vmcnt(17)
	v_mov_b32_e32 v88, v67
	;; [unrolled: 2-line block ×8, first 2 shown]
	s_waitcnt vmcnt(10)
	v_fmac_f32_e32 v85, v49, v84
	v_fma_f32 v84, v48, v84, -v3
	v_pk_mul_f32 v[48:49], v[50:51], v[86:87] op_sel_hi:[1,0]
	s_waitcnt lgkmcnt(3)
	v_pk_mul_f32 v[86:87], v[52:53], v[88:89] op_sel_hi:[1,0]
	v_pk_mul_f32 v[88:89], v[54:55], v[90:91] op_sel_hi:[1,0]
	s_waitcnt lgkmcnt(2)
	v_pk_mul_f32 v[90:91], v[56:57], v[92:93] op_sel_hi:[1,0]
	;; [unrolled: 3-line block ×4, first 2 shown]
	s_waitcnt vmcnt(9)
	v_pk_fma_f32 v[100:101], v[50:51], v[64:65], v[48:49] op_sel:[0,0,1] op_sel_hi:[1,1,0] neg_lo:[0,0,1] neg_hi:[0,0,1]
	v_pk_fma_f32 v[48:49], v[50:51], v[64:65], v[48:49] op_sel:[0,0,1] op_sel_hi:[1,0,0]
	v_pk_add_f32 v[84:85], v[84:85], 0 op_sel_hi:[1,0]
	s_waitcnt vmcnt(8)
	v_pk_fma_f32 v[50:51], v[52:53], v[66:67], v[86:87] op_sel:[0,0,1] op_sel_hi:[1,1,0] neg_lo:[0,0,1] neg_hi:[0,0,1]
	v_pk_fma_f32 v[52:53], v[52:53], v[66:67], v[86:87] op_sel:[0,0,1] op_sel_hi:[1,0,0]
	v_mov_b32_e32 v101, v49
	s_waitcnt vmcnt(7)
	v_pk_fma_f32 v[64:65], v[54:55], v[68:69], v[88:89] op_sel:[0,0,1] op_sel_hi:[1,1,0] neg_lo:[0,0,1] neg_hi:[0,0,1]
	v_pk_fma_f32 v[54:55], v[54:55], v[68:69], v[88:89] op_sel:[0,0,1] op_sel_hi:[1,0,0]
	v_mov_b32_e32 v51, v53
	v_pk_add_f32 v[48:49], v[84:85], v[100:101]
	s_waitcnt vmcnt(6)
	v_pk_fma_f32 v[66:67], v[56:57], v[70:71], v[90:91] op_sel:[0,0,1] op_sel_hi:[1,1,0] neg_lo:[0,0,1] neg_hi:[0,0,1]
	v_pk_fma_f32 v[56:57], v[56:57], v[70:71], v[90:91] op_sel:[0,0,1] op_sel_hi:[1,0,0]
	v_mov_b32_e32 v65, v55
	v_pk_add_f32 v[48:49], v[48:49], v[50:51]
	;; [unrolled: 5-line block ×5, first 2 shown]
	v_pk_fma_f32 v[74:75], v[82:83], v[78:79], v[98:99] op_sel:[0,0,1] op_sel_hi:[1,1,0] neg_lo:[0,0,1] neg_hi:[0,0,1]
	v_pk_fma_f32 v[76:77], v[82:83], v[78:79], v[98:99] op_sel:[0,0,1] op_sel_hi:[1,0,0]
	v_mov_b32_e32 v73, v63
	v_pk_add_f32 v[48:49], v[48:49], v[70:71]
	v_mov_b32_e32 v75, v77
	v_pk_add_f32 v[48:49], v[48:49], v[72:73]
	v_pk_add_f32 v[48:49], v[48:49], v[74:75]
	s_waitcnt vmcnt(0)
	v_pk_add_f32 v[48:49], v[80:81], v[48:49] neg_lo:[0,1] neg_hi:[0,1]
	buffer_store_dword v48, off, s[0:3], 0 offset:96
	buffer_store_dword v49, off, s[0:3], 0 offset:100
	s_and_saveexec_b64 s[4:5], vcc
	s_cbranch_execz .LBB85_123
; %bb.122:
	buffer_load_dword v48, off, s[0:3], 0 offset:88
	buffer_load_dword v49, off, s[0:3], 0 offset:92
	s_waitcnt vmcnt(0)
	ds_write_b64 v1, v[48:49]
	buffer_store_dword v2, off, s[0:3], 0 offset:88
	buffer_store_dword v2, off, s[0:3], 0 offset:92
.LBB85_123:
	s_or_b64 exec, exec, s[4:5]
	s_waitcnt lgkmcnt(0)
	; wave barrier
	s_waitcnt lgkmcnt(0)
	buffer_load_dword v86, off, s[0:3], 0 offset:100
	buffer_load_dword v88, off, s[0:3], 0 offset:108
	;; [unrolled: 1-line block ×22, first 2 shown]
	ds_read_b128 v[48:51], v2 offset:272
	ds_read_b128 v[52:55], v2 offset:288
	;; [unrolled: 1-line block ×5, first 2 shown]
	v_cmp_lt_u32_e32 vcc, 10, v0
	s_waitcnt vmcnt(21) lgkmcnt(4)
	v_mul_f32_e32 v3, v48, v86
	s_waitcnt vmcnt(20)
	v_mul_f32_e32 v87, v50, v88
	v_mul_f32_e32 v2, v49, v86
	;; [unrolled: 1-line block ×3, first 2 shown]
	s_waitcnt vmcnt(19)
	v_mov_b32_e32 v88, v69
	s_waitcnt vmcnt(18)
	v_mov_b32_e32 v90, v71
	;; [unrolled: 2-line block ×5, first 2 shown]
	v_mov_b32_e32 v94, v75
	s_waitcnt vmcnt(11)
	v_fmac_f32_e32 v3, v49, v89
	v_fma_f32 v2, v48, v89, -v2
	s_waitcnt lgkmcnt(3)
	v_pk_mul_f32 v[48:49], v[52:53], v[88:89] op_sel_hi:[1,0]
	s_waitcnt vmcnt(10)
	v_fmac_f32_e32 v87, v51, v91
	v_fma_f32 v86, v50, v91, -v86
	v_pk_mul_f32 v[50:51], v[54:55], v[90:91] op_sel_hi:[1,0]
	s_waitcnt lgkmcnt(2)
	v_pk_mul_f32 v[88:89], v[56:57], v[92:93] op_sel_hi:[1,0]
	s_waitcnt lgkmcnt(1)
	;; [unrolled: 2-line block ×3, first 2 shown]
	v_pk_mul_f32 v[96:97], v[64:65], v[100:101] op_sel_hi:[1,0]
	v_pk_add_f32 v[2:3], v[2:3], 0 op_sel_hi:[1,0]
	s_waitcnt vmcnt(9)
	v_pk_fma_f32 v[100:101], v[52:53], v[68:69], v[48:49] op_sel:[0,0,1] op_sel_hi:[1,1,0] neg_lo:[0,0,1] neg_hi:[0,0,1]
	v_pk_fma_f32 v[48:49], v[52:53], v[68:69], v[48:49] op_sel:[0,0,1] op_sel_hi:[1,0,0]
	s_waitcnt vmcnt(8)
	v_pk_fma_f32 v[52:53], v[54:55], v[70:71], v[50:51] op_sel:[0,0,1] op_sel_hi:[1,1,0] neg_lo:[0,0,1] neg_hi:[0,0,1]
	v_pk_fma_f32 v[50:51], v[54:55], v[70:71], v[50:51] op_sel:[0,0,1] op_sel_hi:[1,0,0]
	v_pk_add_f32 v[2:3], v[2:3], v[86:87]
	v_mov_b32_e32 v101, v49
	v_pk_mul_f32 v[90:91], v[58:59], v[94:95] op_sel_hi:[1,0]
	s_waitcnt vmcnt(7)
	v_pk_fma_f32 v[54:55], v[56:57], v[72:73], v[88:89] op_sel:[0,0,1] op_sel_hi:[1,1,0] neg_lo:[0,0,1] neg_hi:[0,0,1]
	v_pk_fma_f32 v[56:57], v[56:57], v[72:73], v[88:89] op_sel:[0,0,1] op_sel_hi:[1,0,0]
	v_mov_b32_e32 v53, v51
	v_pk_add_f32 v[2:3], v[2:3], v[100:101]
	v_mov_b32_e32 v98, v79
	s_waitcnt vmcnt(6)
	v_pk_fma_f32 v[68:69], v[58:59], v[74:75], v[90:91] op_sel:[0,0,1] op_sel_hi:[1,1,0] neg_lo:[0,0,1] neg_hi:[0,0,1]
	v_pk_fma_f32 v[58:59], v[58:59], v[74:75], v[90:91] op_sel:[0,0,1] op_sel_hi:[1,0,0]
	v_mov_b32_e32 v55, v57
	v_pk_add_f32 v[2:3], v[2:3], v[52:53]
	v_pk_mul_f32 v[94:95], v[62:63], v[98:99] op_sel_hi:[1,0]
	s_waitcnt vmcnt(5)
	v_pk_fma_f32 v[70:71], v[60:61], v[76:77], v[92:93] op_sel:[0,0,1] op_sel_hi:[1,1,0] neg_lo:[0,0,1] neg_hi:[0,0,1]
	v_pk_fma_f32 v[60:61], v[60:61], v[76:77], v[92:93] op_sel:[0,0,1] op_sel_hi:[1,0,0]
	v_mov_b32_e32 v69, v59
	v_pk_add_f32 v[2:3], v[2:3], v[54:55]
	v_mov_b32_e32 v102, v83
	s_waitcnt vmcnt(2)
	v_pk_fma_f32 v[72:73], v[62:63], v[78:79], v[94:95] op_sel:[0,0,1] op_sel_hi:[1,1,0] neg_lo:[0,0,1] neg_hi:[0,0,1]
	v_pk_fma_f32 v[62:63], v[62:63], v[78:79], v[94:95] op_sel:[0,0,1] op_sel_hi:[1,0,0]
	v_mov_b32_e32 v71, v61
	v_pk_add_f32 v[2:3], v[2:3], v[68:69]
	v_pk_mul_f32 v[98:99], v[66:67], v[102:103] op_sel_hi:[1,0]
	v_pk_fma_f32 v[74:75], v[64:65], v[80:81], v[96:97] op_sel:[0,0,1] op_sel_hi:[1,1,0] neg_lo:[0,0,1] neg_hi:[0,0,1]
	v_pk_fma_f32 v[64:65], v[64:65], v[80:81], v[96:97] op_sel:[0,0,1] op_sel_hi:[1,0,0]
	v_mov_b32_e32 v73, v63
	v_pk_add_f32 v[2:3], v[2:3], v[70:71]
	v_pk_fma_f32 v[76:77], v[66:67], v[82:83], v[98:99] op_sel:[0,0,1] op_sel_hi:[1,1,0] neg_lo:[0,0,1] neg_hi:[0,0,1]
	v_pk_fma_f32 v[66:67], v[66:67], v[82:83], v[98:99] op_sel:[0,0,1] op_sel_hi:[1,0,0]
	v_mov_b32_e32 v75, v65
	v_pk_add_f32 v[2:3], v[2:3], v[72:73]
	v_mov_b32_e32 v77, v67
	v_pk_add_f32 v[2:3], v[2:3], v[74:75]
	v_pk_add_f32 v[2:3], v[2:3], v[76:77]
	s_waitcnt vmcnt(0)
	v_pk_add_f32 v[2:3], v[84:85], v[2:3] neg_lo:[0,1] neg_hi:[0,1]
	buffer_store_dword v2, off, s[0:3], 0 offset:88
	buffer_store_dword v3, off, s[0:3], 0 offset:92
	s_and_saveexec_b64 s[4:5], vcc
	s_cbranch_execz .LBB85_125
; %bb.124:
	buffer_load_dword v2, off, s[0:3], 0 offset:80
	buffer_load_dword v3, off, s[0:3], 0 offset:84
	v_mov_b32_e32 v48, 0
	buffer_store_dword v48, off, s[0:3], 0 offset:80
	buffer_store_dword v48, off, s[0:3], 0 offset:84
	s_waitcnt vmcnt(2)
	ds_write_b64 v1, v[2:3]
.LBB85_125:
	s_or_b64 exec, exec, s[4:5]
	s_waitcnt lgkmcnt(0)
	; wave barrier
	s_waitcnt lgkmcnt(0)
	buffer_load_dword v3, off, s[0:3], 0 offset:92
	buffer_load_dword v88, off, s[0:3], 0 offset:100
	;; [unrolled: 1-line block ×24, first 2 shown]
	v_mov_b32_e32 v2, 0
	ds_read2_b64 v[48:51], v2 offset0:33 offset1:34
	ds_read2_b64 v[52:55], v2 offset0:35 offset1:36
	;; [unrolled: 1-line block ×5, first 2 shown]
	ds_read_b64 v[86:87], v2 offset:344
	v_cmp_lt_u32_e32 vcc, 9, v0
	s_waitcnt vmcnt(23) lgkmcnt(5)
	v_mul_f32_e32 v101, v48, v3
	v_mul_f32_e32 v3, v49, v3
	s_waitcnt vmcnt(22)
	v_mul_f32_e32 v89, v50, v88
	s_waitcnt vmcnt(21) lgkmcnt(4)
	v_mul_f32_e32 v91, v52, v90
	v_mul_f32_e32 v88, v51, v88
	;; [unrolled: 1-line block ×3, first 2 shown]
	s_waitcnt vmcnt(20)
	v_mov_b32_e32 v92, v69
	s_waitcnt vmcnt(19)
	v_mov_b32_e32 v94, v71
	;; [unrolled: 2-line block ×5, first 2 shown]
	s_waitcnt vmcnt(12)
	v_fmac_f32_e32 v101, v49, v93
	v_fma_f32 v3, v48, v93, -v3
	v_mov_b32_e32 v102, v79
	s_waitcnt vmcnt(11)
	v_fmac_f32_e32 v89, v51, v95
	s_waitcnt vmcnt(10)
	v_fmac_f32_e32 v91, v53, v97
	v_fma_f32 v88, v50, v95, -v88
	v_fma_f32 v90, v52, v97, -v90
	v_pk_mul_f32 v[48:49], v[54:55], v[92:93] op_sel_hi:[1,0]
	s_waitcnt lgkmcnt(3)
	v_pk_mul_f32 v[50:51], v[56:57], v[94:95] op_sel_hi:[1,0]
	v_pk_mul_f32 v[52:53], v[58:59], v[96:97] op_sel_hi:[1,0]
	s_waitcnt lgkmcnt(2)
	v_pk_mul_f32 v[92:93], v[60:61], v[98:99] op_sel_hi:[1,0]
	v_pk_mul_f32 v[94:95], v[62:63], v[100:101] op_sel_hi:[1,0]
	v_add_f32_e32 v101, 0, v101
	v_add_f32_e32 v100, 0, v3
	s_waitcnt lgkmcnt(1)
	v_pk_mul_f32 v[96:97], v[64:65], v[102:103] op_sel_hi:[1,0]
	s_waitcnt vmcnt(9)
	v_pk_fma_f32 v[102:103], v[54:55], v[68:69], v[48:49] op_sel:[0,0,1] op_sel_hi:[1,1,0] neg_lo:[0,0,1] neg_hi:[0,0,1]
	v_pk_fma_f32 v[48:49], v[54:55], v[68:69], v[48:49] op_sel:[0,0,1] op_sel_hi:[1,0,0]
	s_waitcnt vmcnt(8)
	v_pk_fma_f32 v[54:55], v[56:57], v[70:71], v[50:51] op_sel:[0,0,1] op_sel_hi:[1,1,0] neg_lo:[0,0,1] neg_hi:[0,0,1]
	v_pk_fma_f32 v[50:51], v[56:57], v[70:71], v[50:51] op_sel:[0,0,1] op_sel_hi:[1,0,0]
	;; [unrolled: 3-line block ×4, first 2 shown]
	v_pk_add_f32 v[74:75], v[100:101], v[88:89]
	v_mov_b32_e32 v103, v49
	v_pk_add_f32 v[48:49], v[74:75], v[90:91]
	v_mov_b32_e32 v55, v51
	;; [unrolled: 2-line block ×4, first 2 shown]
	s_waitcnt vmcnt(2)
	v_pk_fma_f32 v[68:69], v[62:63], v[76:77], v[94:95] op_sel:[0,0,1] op_sel_hi:[1,1,0] neg_lo:[0,0,1] neg_hi:[0,0,1]
	v_pk_fma_f32 v[62:63], v[62:63], v[76:77], v[94:95] op_sel:[0,0,1] op_sel_hi:[1,0,0]
	v_mov_b32_e32 v59, v61
	v_pk_add_f32 v[48:49], v[48:49], v[56:57]
	v_mov_b32_e32 v106, v83
	v_pk_mul_f32 v[98:99], v[66:67], v[104:105] op_sel_hi:[1,0]
	v_pk_fma_f32 v[70:71], v[64:65], v[78:79], v[96:97] op_sel:[0,0,1] op_sel_hi:[1,1,0] neg_lo:[0,0,1] neg_hi:[0,0,1]
	v_pk_fma_f32 v[64:65], v[64:65], v[78:79], v[96:97] op_sel:[0,0,1] op_sel_hi:[1,0,0]
	v_mov_b32_e32 v69, v63
	v_pk_add_f32 v[48:49], v[48:49], v[58:59]
	v_pk_fma_f32 v[72:73], v[66:67], v[80:81], v[98:99] op_sel:[0,0,1] op_sel_hi:[1,1,0] neg_lo:[0,0,1] neg_hi:[0,0,1]
	v_pk_fma_f32 v[66:67], v[66:67], v[80:81], v[98:99] op_sel:[0,0,1] op_sel_hi:[1,0,0]
	v_mov_b32_e32 v71, v65
	v_pk_add_f32 v[48:49], v[48:49], v[68:69]
	s_waitcnt lgkmcnt(0)
	v_pk_mul_f32 v[50:51], v[86:87], v[106:107] op_sel_hi:[1,0]
	v_mov_b32_e32 v73, v67
	v_pk_add_f32 v[48:49], v[48:49], v[70:71]
	v_pk_fma_f32 v[52:53], v[86:87], v[82:83], v[50:51] op_sel:[0,0,1] op_sel_hi:[1,1,0] neg_lo:[0,0,1] neg_hi:[0,0,1]
	v_pk_fma_f32 v[50:51], v[86:87], v[82:83], v[50:51] op_sel:[0,0,1] op_sel_hi:[1,0,0]
	v_pk_add_f32 v[48:49], v[48:49], v[72:73]
	v_mov_b32_e32 v53, v51
	v_pk_add_f32 v[48:49], v[48:49], v[52:53]
	s_waitcnt vmcnt(0)
	v_pk_add_f32 v[48:49], v[84:85], v[48:49] neg_lo:[0,1] neg_hi:[0,1]
	buffer_store_dword v49, off, s[0:3], 0 offset:84
	buffer_store_dword v48, off, s[0:3], 0 offset:80
	s_and_saveexec_b64 s[4:5], vcc
	s_cbranch_execz .LBB85_127
; %bb.126:
	buffer_load_dword v48, off, s[0:3], 0 offset:72
	buffer_load_dword v49, off, s[0:3], 0 offset:76
	s_waitcnt vmcnt(0)
	ds_write_b64 v1, v[48:49]
	buffer_store_dword v2, off, s[0:3], 0 offset:72
	buffer_store_dword v2, off, s[0:3], 0 offset:76
.LBB85_127:
	s_or_b64 exec, exec, s[4:5]
	s_waitcnt lgkmcnt(0)
	; wave barrier
	s_waitcnt lgkmcnt(0)
	buffer_load_dword v90, off, s[0:3], 0 offset:84
	buffer_load_dword v92, off, s[0:3], 0 offset:92
	;; [unrolled: 1-line block ×26, first 2 shown]
	ds_read_b128 v[48:51], v2 offset:256
	ds_read_b128 v[52:55], v2 offset:272
	;; [unrolled: 1-line block ×6, first 2 shown]
	v_cmp_lt_u32_e32 vcc, 8, v0
	s_waitcnt vmcnt(25) lgkmcnt(5)
	v_mul_f32_e32 v103, v48, v90
	v_mul_f32_e32 v2, v49, v90
	s_waitcnt vmcnt(24)
	v_mul_f32_e32 v104, v50, v92
	s_waitcnt vmcnt(23) lgkmcnt(4)
	v_mul_f32_e32 v3, v52, v93
	s_waitcnt vmcnt(22)
	v_mul_f32_e32 v91, v54, v94
	v_mul_f32_e32 v90, v51, v92
	;; [unrolled: 1-line block ×4, first 2 shown]
	s_waitcnt vmcnt(21)
	v_mov_b32_e32 v92, v73
	s_waitcnt vmcnt(20)
	v_mov_b32_e32 v94, v75
	;; [unrolled: 2-line block ×3, first 2 shown]
	s_waitcnt vmcnt(15)
	v_fmac_f32_e32 v103, v49, v95
	v_fma_f32 v106, v48, v95, -v2
	v_mov_b32_e32 v96, v77
	s_waitcnt vmcnt(14)
	v_fmac_f32_e32 v104, v51, v97
	s_waitcnt vmcnt(13)
	v_fmac_f32_e32 v3, v53, v99
	;; [unrolled: 2-line block ×3, first 2 shown]
	v_fma_f32 v107, v50, v97, -v90
	v_fma_f32 v2, v52, v99, -v93
	;; [unrolled: 1-line block ×3, first 2 shown]
	s_waitcnt lgkmcnt(3)
	v_pk_mul_f32 v[48:49], v[56:57], v[92:93] op_sel_hi:[1,0]
	v_pk_mul_f32 v[50:51], v[58:59], v[94:95] op_sel_hi:[1,0]
	s_waitcnt lgkmcnt(2)
	v_pk_mul_f32 v[54:55], v[62:63], v[98:99] op_sel_hi:[1,0]
	v_add_f32_e32 v98, 0, v103
	v_add_f32_e32 v99, 0, v106
	v_pk_mul_f32 v[52:53], v[60:61], v[96:97] op_sel_hi:[1,0]
	s_waitcnt vmcnt(11)
	v_pk_fma_f32 v[96:97], v[56:57], v[72:73], v[48:49] op_sel:[0,0,1] op_sel_hi:[1,1,0] neg_lo:[0,0,1] neg_hi:[0,0,1]
	v_pk_fma_f32 v[48:49], v[56:57], v[72:73], v[48:49] op_sel:[0,0,1] op_sel_hi:[1,0,0]
	s_waitcnt vmcnt(10)
	v_pk_fma_f32 v[56:57], v[58:59], v[74:75], v[50:51] op_sel:[0,0,1] op_sel_hi:[1,1,0] neg_lo:[0,0,1] neg_hi:[0,0,1]
	v_pk_fma_f32 v[50:51], v[58:59], v[74:75], v[50:51] op_sel:[0,0,1] op_sel_hi:[1,0,0]
	v_add_f32_e32 v75, v98, v104
	v_add_f32_e32 v74, v99, v107
	v_pk_add_f32 v[2:3], v[74:75], v[2:3]
	v_mov_b32_e32 v97, v49
	v_pk_add_f32 v[2:3], v[2:3], v[90:91]
	v_mov_b32_e32 v100, v81
	s_waitcnt vmcnt(9)
	v_pk_fma_f32 v[58:59], v[60:61], v[76:77], v[52:53] op_sel:[0,0,1] op_sel_hi:[1,1,0] neg_lo:[0,0,1] neg_hi:[0,0,1]
	v_pk_fma_f32 v[52:53], v[60:61], v[76:77], v[52:53] op_sel:[0,0,1] op_sel_hi:[1,0,0]
	v_mov_b32_e32 v57, v51
	v_pk_add_f32 v[2:3], v[2:3], v[96:97]
	v_mov_b32_e32 v102, v83
	s_waitcnt lgkmcnt(1)
	v_pk_mul_f32 v[92:93], v[64:65], v[100:101] op_sel_hi:[1,0]
	s_waitcnt vmcnt(5)
	v_pk_fma_f32 v[60:61], v[62:63], v[78:79], v[54:55] op_sel:[0,0,1] op_sel_hi:[1,1,0] neg_lo:[0,0,1] neg_hi:[0,0,1]
	v_pk_fma_f32 v[54:55], v[62:63], v[78:79], v[54:55] op_sel:[0,0,1] op_sel_hi:[1,0,0]
	v_mov_b32_e32 v59, v53
	v_pk_add_f32 v[2:3], v[2:3], v[56:57]
	s_waitcnt vmcnt(4)
	v_mov_b32_e32 v48, v85
	v_pk_mul_f32 v[94:95], v[66:67], v[102:103] op_sel_hi:[1,0]
	v_pk_fma_f32 v[62:63], v[64:65], v[80:81], v[92:93] op_sel:[0,0,1] op_sel_hi:[1,1,0] neg_lo:[0,0,1] neg_hi:[0,0,1]
	v_pk_fma_f32 v[64:65], v[64:65], v[80:81], v[92:93] op_sel:[0,0,1] op_sel_hi:[1,0,0]
	v_mov_b32_e32 v61, v55
	v_pk_add_f32 v[2:3], v[2:3], v[58:59]
	s_waitcnt lgkmcnt(0)
	v_pk_mul_f32 v[48:49], v[68:69], v[48:49] op_sel_hi:[1,0]
	v_pk_fma_f32 v[72:73], v[66:67], v[82:83], v[94:95] op_sel:[0,0,1] op_sel_hi:[1,1,0] neg_lo:[0,0,1] neg_hi:[0,0,1]
	v_pk_fma_f32 v[66:67], v[66:67], v[82:83], v[94:95] op_sel:[0,0,1] op_sel_hi:[1,0,0]
	v_mov_b32_e32 v63, v65
	v_pk_add_f32 v[2:3], v[2:3], v[60:61]
	v_pk_fma_f32 v[50:51], v[68:69], v[84:85], v[48:49] op_sel:[0,0,1] op_sel_hi:[1,1,0] neg_lo:[0,0,1] neg_hi:[0,0,1]
	v_pk_fma_f32 v[48:49], v[68:69], v[84:85], v[48:49] op_sel:[0,0,1] op_sel_hi:[1,0,0]
	v_mov_b32_e32 v73, v67
	v_pk_add_f32 v[2:3], v[2:3], v[62:63]
	s_waitcnt vmcnt(3)
	v_mov_b32_e32 v48, v87
	v_pk_add_f32 v[2:3], v[2:3], v[72:73]
	v_mov_b32_e32 v51, v49
	v_pk_mul_f32 v[48:49], v[70:71], v[48:49] op_sel_hi:[1,0]
	v_pk_add_f32 v[2:3], v[2:3], v[50:51]
	s_waitcnt vmcnt(2)
	v_pk_fma_f32 v[50:51], v[70:71], v[86:87], v[48:49] op_sel:[0,0,1] op_sel_hi:[1,1,0] neg_lo:[0,0,1] neg_hi:[0,0,1]
	v_pk_fma_f32 v[48:49], v[70:71], v[86:87], v[48:49] op_sel:[0,0,1] op_sel_hi:[1,0,0]
	v_mov_b32_e32 v51, v49
	v_pk_add_f32 v[2:3], v[2:3], v[50:51]
	s_waitcnt vmcnt(0)
	v_pk_add_f32 v[2:3], v[88:89], v[2:3] neg_lo:[0,1] neg_hi:[0,1]
	buffer_store_dword v3, off, s[0:3], 0 offset:76
	buffer_store_dword v2, off, s[0:3], 0 offset:72
	s_and_saveexec_b64 s[4:5], vcc
	s_cbranch_execz .LBB85_129
; %bb.128:
	buffer_load_dword v2, off, s[0:3], 0 offset:64
	buffer_load_dword v3, off, s[0:3], 0 offset:68
	v_mov_b32_e32 v48, 0
	buffer_store_dword v48, off, s[0:3], 0 offset:64
	buffer_store_dword v48, off, s[0:3], 0 offset:68
	s_waitcnt vmcnt(2)
	ds_write_b64 v1, v[2:3]
.LBB85_129:
	s_or_b64 exec, exec, s[4:5]
	s_waitcnt lgkmcnt(0)
	; wave barrier
	s_waitcnt lgkmcnt(0)
	buffer_load_dword v3, off, s[0:3], 0 offset:76
	buffer_load_dword v92, off, s[0:3], 0 offset:84
	;; [unrolled: 1-line block ×28, first 2 shown]
	v_mov_b32_e32 v2, 0
	ds_read2_b64 v[48:51], v2 offset0:31 offset1:32
	ds_read2_b64 v[52:55], v2 offset0:33 offset1:34
	ds_read2_b64 v[56:59], v2 offset0:35 offset1:36
	ds_read2_b64 v[60:63], v2 offset0:37 offset1:38
	ds_read2_b64 v[64:67], v2 offset0:39 offset1:40
	ds_read2_b64 v[68:71], v2 offset0:41 offset1:42
	ds_read_b64 v[90:91], v2 offset:344
	v_cmp_lt_u32_e32 vcc, 7, v0
	s_waitcnt vmcnt(27) lgkmcnt(6)
	v_mul_f32_e32 v107, v48, v3
	v_mul_f32_e32 v3, v49, v3
	s_waitcnt vmcnt(26)
	v_mul_f32_e32 v108, v50, v92
	s_waitcnt vmcnt(24) lgkmcnt(5)
	v_mul_f32_e32 v93, v54, v96
	s_waitcnt vmcnt(23) lgkmcnt(4)
	v_mul_f32_e32 v95, v56, v97
	v_mul_f32_e32 v110, v55, v96
	;; [unrolled: 1-line block ×3, first 2 shown]
	s_waitcnt vmcnt(22)
	v_mov_b32_e32 v96, v73
	v_mul_f32_e32 v109, v52, v94
	v_mul_f32_e32 v92, v51, v92
	;; [unrolled: 1-line block ×3, first 2 shown]
	s_waitcnt vmcnt(17)
	v_fmac_f32_e32 v107, v49, v99
	v_fma_f32 v3, v48, v99, -v3
	v_pk_mul_f32 v[48:49], v[58:59], v[96:97] op_sel_hi:[1,0]
	s_waitcnt vmcnt(16)
	v_fmac_f32_e32 v108, v51, v101
	s_waitcnt vmcnt(13)
	v_fmac_f32_e32 v95, v57, v106
	v_fma_f32 v99, v50, v101, -v92
	v_fma_f32 v101, v52, v103, -v94
	;; [unrolled: 1-line block ×3, first 2 shown]
	v_add_f32_e32 v96, 0, v107
	v_add_f32_e32 v3, 0, v3
	s_waitcnt vmcnt(12)
	v_pk_fma_f32 v[56:57], v[58:59], v[72:73], v[48:49] op_sel:[0,0,1] op_sel_hi:[1,1,0] neg_lo:[0,0,1] neg_hi:[0,0,1]
	v_pk_fma_f32 v[48:49], v[58:59], v[72:73], v[48:49] op_sel:[0,0,1] op_sel_hi:[1,0,0]
	v_fmac_f32_e32 v109, v53, v103
	v_add_f32_e32 v48, v96, v108
	v_add_f32_e32 v3, v3, v99
	v_mov_b32_e32 v98, v75
	v_fmac_f32_e32 v93, v55, v105
	v_fma_f32 v92, v54, v105, -v110
	v_mov_b32_e32 v57, v49
	v_add_f32_e32 v49, v48, v109
	v_add_f32_e32 v48, v3, v101
	v_mov_b32_e32 v100, v77
	s_waitcnt lgkmcnt(3)
	v_pk_mul_f32 v[50:51], v[60:61], v[98:99] op_sel_hi:[1,0]
	v_pk_add_f32 v[48:49], v[48:49], v[92:93]
	v_mov_b32_e32 v102, v79
	v_mov_b32_e32 v104, v81
	v_pk_mul_f32 v[52:53], v[62:63], v[100:101] op_sel_hi:[1,0]
	s_waitcnt vmcnt(11)
	v_pk_fma_f32 v[58:59], v[60:61], v[74:75], v[50:51] op_sel:[0,0,1] op_sel_hi:[1,1,0] neg_lo:[0,0,1] neg_hi:[0,0,1]
	v_pk_fma_f32 v[50:51], v[60:61], v[74:75], v[50:51] op_sel:[0,0,1] op_sel_hi:[1,0,0]
	v_pk_add_f32 v[48:49], v[48:49], v[94:95]
	s_waitcnt lgkmcnt(2)
	v_pk_mul_f32 v[54:55], v[64:65], v[102:103] op_sel_hi:[1,0]
	s_waitcnt vmcnt(7)
	v_pk_fma_f32 v[60:61], v[62:63], v[76:77], v[52:53] op_sel:[0,0,1] op_sel_hi:[1,1,0] neg_lo:[0,0,1] neg_hi:[0,0,1]
	v_pk_fma_f32 v[52:53], v[62:63], v[76:77], v[52:53] op_sel:[0,0,1] op_sel_hi:[1,0,0]
	v_mov_b32_e32 v59, v51
	v_pk_add_f32 v[48:49], v[48:49], v[56:57]
	v_pk_mul_f32 v[50:51], v[66:67], v[104:105] op_sel_hi:[1,0]
	v_pk_fma_f32 v[62:63], v[64:65], v[78:79], v[54:55] op_sel:[0,0,1] op_sel_hi:[1,1,0] neg_lo:[0,0,1] neg_hi:[0,0,1]
	v_pk_fma_f32 v[54:55], v[64:65], v[78:79], v[54:55] op_sel:[0,0,1] op_sel_hi:[1,0,0]
	v_mov_b32_e32 v61, v53
	v_pk_add_f32 v[48:49], v[48:49], v[58:59]
	v_pk_fma_f32 v[52:53], v[66:67], v[80:81], v[50:51] op_sel:[0,0,1] op_sel_hi:[1,1,0] neg_lo:[0,0,1] neg_hi:[0,0,1]
	v_pk_fma_f32 v[50:51], v[66:67], v[80:81], v[50:51] op_sel:[0,0,1] op_sel_hi:[1,0,0]
	v_mov_b32_e32 v63, v55
	v_pk_add_f32 v[48:49], v[48:49], v[60:61]
	s_waitcnt vmcnt(6)
	v_mov_b32_e32 v50, v83
	v_pk_add_f32 v[48:49], v[48:49], v[62:63]
	v_mov_b32_e32 v53, v51
	s_waitcnt lgkmcnt(1)
	v_pk_mul_f32 v[50:51], v[68:69], v[50:51] op_sel_hi:[1,0]
	v_pk_add_f32 v[48:49], v[48:49], v[52:53]
	v_pk_fma_f32 v[52:53], v[68:69], v[82:83], v[50:51] op_sel:[0,0,1] op_sel_hi:[1,1,0] neg_lo:[0,0,1] neg_hi:[0,0,1]
	v_pk_fma_f32 v[50:51], v[68:69], v[82:83], v[50:51] op_sel:[0,0,1] op_sel_hi:[1,0,0]
	s_waitcnt vmcnt(5)
	v_mov_b32_e32 v50, v85
	v_mov_b32_e32 v53, v51
	v_pk_mul_f32 v[50:51], v[70:71], v[50:51] op_sel_hi:[1,0]
	v_pk_add_f32 v[48:49], v[48:49], v[52:53]
	s_waitcnt vmcnt(3)
	v_pk_fma_f32 v[52:53], v[70:71], v[84:85], v[50:51] op_sel:[0,0,1] op_sel_hi:[1,1,0] neg_lo:[0,0,1] neg_hi:[0,0,1]
	v_pk_fma_f32 v[50:51], v[70:71], v[84:85], v[50:51] op_sel:[0,0,1] op_sel_hi:[1,0,0]
	s_waitcnt vmcnt(2)
	v_mov_b32_e32 v50, v87
	v_mov_b32_e32 v53, v51
	s_waitcnt lgkmcnt(0)
	v_pk_mul_f32 v[50:51], v[90:91], v[50:51] op_sel_hi:[1,0]
	v_pk_add_f32 v[48:49], v[48:49], v[52:53]
	v_pk_fma_f32 v[52:53], v[90:91], v[86:87], v[50:51] op_sel:[0,0,1] op_sel_hi:[1,1,0] neg_lo:[0,0,1] neg_hi:[0,0,1]
	v_pk_fma_f32 v[50:51], v[90:91], v[86:87], v[50:51] op_sel:[0,0,1] op_sel_hi:[1,0,0]
	v_mov_b32_e32 v53, v51
	v_pk_add_f32 v[48:49], v[48:49], v[52:53]
	s_waitcnt vmcnt(0)
	v_pk_add_f32 v[48:49], v[88:89], v[48:49] neg_lo:[0,1] neg_hi:[0,1]
	buffer_store_dword v49, off, s[0:3], 0 offset:68
	buffer_store_dword v48, off, s[0:3], 0 offset:64
	s_and_saveexec_b64 s[4:5], vcc
	s_cbranch_execz .LBB85_131
; %bb.130:
	buffer_load_dword v48, off, s[0:3], 0 offset:56
	buffer_load_dword v49, off, s[0:3], 0 offset:60
	s_waitcnt vmcnt(0)
	ds_write_b64 v1, v[48:49]
	buffer_store_dword v2, off, s[0:3], 0 offset:56
	buffer_store_dword v2, off, s[0:3], 0 offset:60
.LBB85_131:
	s_or_b64 exec, exec, s[4:5]
	s_waitcnt lgkmcnt(0)
	; wave barrier
	s_waitcnt lgkmcnt(0)
	buffer_load_dword v94, off, s[0:3], 0 offset:68
	buffer_load_dword v96, off, s[0:3], 0 offset:76
	buffer_load_dword v97, off, s[0:3], 0 offset:84
	buffer_load_dword v98, off, s[0:3], 0 offset:92
	buffer_load_dword v99, off, s[0:3], 0 offset:100
	buffer_load_dword v100, off, s[0:3], 0 offset:108
	buffer_load_dword v77, off, s[0:3], 0 offset:116
	buffer_load_dword v79, off, s[0:3], 0 offset:124
	buffer_load_dword v81, off, s[0:3], 0 offset:132
	buffer_load_dword v101, off, s[0:3], 0 offset:64
	buffer_load_dword v102, off, s[0:3], 0 offset:72
	buffer_load_dword v103, off, s[0:3], 0 offset:80
	buffer_load_dword v104, off, s[0:3], 0 offset:88
	buffer_load_dword v105, off, s[0:3], 0 offset:96
	buffer_load_dword v106, off, s[0:3], 0 offset:104
	buffer_load_dword v76, off, s[0:3], 0 offset:112
	buffer_load_dword v82, off, s[0:3], 0 offset:144
	buffer_load_dword v84, off, s[0:3], 0 offset:136
	buffer_load_dword v80, off, s[0:3], 0 offset:128
	buffer_load_dword v78, off, s[0:3], 0 offset:120
	buffer_load_dword v85, off, s[0:3], 0 offset:140
	buffer_load_dword v83, off, s[0:3], 0 offset:148
	buffer_load_dword v87, off, s[0:3], 0 offset:156
	buffer_load_dword v88, off, s[0:3], 0 offset:168
	buffer_load_dword v90, off, s[0:3], 0 offset:160
	buffer_load_dword v86, off, s[0:3], 0 offset:152
	buffer_load_dword v91, off, s[0:3], 0 offset:164
	buffer_load_dword v92, off, s[0:3], 0 offset:56
	buffer_load_dword v93, off, s[0:3], 0 offset:60
	buffer_load_dword v89, off, s[0:3], 0 offset:172
	ds_read_b128 v[48:51], v2 offset:240
	ds_read_b128 v[52:55], v2 offset:256
	;; [unrolled: 1-line block ×7, first 2 shown]
	v_cmp_lt_u32_e32 vcc, 6, v0
	s_waitcnt vmcnt(29) lgkmcnt(6)
	v_mul_f32_e32 v107, v48, v94
	s_waitcnt vmcnt(28)
	v_mul_f32_e32 v108, v50, v96
	s_waitcnt vmcnt(27) lgkmcnt(5)
	v_mul_f32_e32 v109, v52, v97
	v_mul_f32_e32 v97, v53, v97
	s_waitcnt vmcnt(26)
	v_mul_f32_e32 v110, v54, v98
	s_waitcnt vmcnt(25) lgkmcnt(4)
	v_mul_f32_e32 v3, v56, v99
	v_mul_f32_e32 v2, v49, v94
	;; [unrolled: 1-line block ×5, first 2 shown]
	s_waitcnt vmcnt(23)
	v_mov_b32_e32 v96, v77
	s_waitcnt vmcnt(22)
	v_mov_b32_e32 v98, v79
	s_waitcnt vmcnt(18)
	v_fma_f32 v97, v52, v103, -v97
	v_fmac_f32_e32 v107, v49, v101
	v_fmac_f32_e32 v108, v51, v102
	s_waitcnt vmcnt(17)
	v_fmac_f32_e32 v110, v55, v104
	v_fma_f32 v55, v48, v101, -v2
	v_fma_f32 v101, v50, v102, -v94
	s_waitcnt lgkmcnt(3)
	v_pk_mul_f32 v[48:49], v[60:61], v[96:97] op_sel_hi:[1,0]
	v_pk_mul_f32 v[50:51], v[62:63], v[98:99] op_sel_hi:[1,0]
	s_waitcnt vmcnt(16)
	v_fmac_f32_e32 v3, v57, v105
	v_fma_f32 v102, v54, v104, -v111
	v_fma_f32 v2, v56, v105, -v99
	v_add_f32_e32 v96, 0, v107
	v_add_f32_e32 v98, 0, v55
	s_waitcnt vmcnt(14)
	v_pk_fma_f32 v[54:55], v[60:61], v[76:77], v[48:49] op_sel:[0,0,1] op_sel_hi:[1,1,0] neg_lo:[0,0,1] neg_hi:[0,0,1]
	v_pk_fma_f32 v[48:49], v[60:61], v[76:77], v[48:49] op_sel:[0,0,1] op_sel_hi:[1,0,0]
	s_waitcnt vmcnt(10)
	v_pk_fma_f32 v[56:57], v[62:63], v[78:79], v[50:51] op_sel:[0,0,1] op_sel_hi:[1,1,0] neg_lo:[0,0,1] neg_hi:[0,0,1]
	v_pk_fma_f32 v[50:51], v[62:63], v[78:79], v[50:51] op_sel:[0,0,1] op_sel_hi:[1,0,0]
	v_fmac_f32_e32 v109, v53, v103
	v_add_f32_e32 v48, v96, v108
	v_add_f32_e32 v50, v98, v101
	;; [unrolled: 1-line block ×4, first 2 shown]
	v_mul_f32_e32 v95, v58, v100
	v_mul_f32_e32 v112, v59, v100
	v_mov_b32_e32 v55, v49
	v_add_f32_e32 v49, v48, v110
	v_add_f32_e32 v48, v50, v102
	v_mov_b32_e32 v100, v81
	v_fmac_f32_e32 v95, v59, v106
	v_fma_f32 v94, v58, v106, -v112
	v_pk_add_f32 v[2:3], v[48:49], v[2:3]
	s_waitcnt vmcnt(9)
	v_mov_b32_e32 v48, v85
	s_waitcnt lgkmcnt(2)
	v_pk_mul_f32 v[52:53], v[64:65], v[100:101] op_sel_hi:[1,0]
	v_pk_add_f32 v[2:3], v[2:3], v[94:95]
	v_pk_mul_f32 v[48:49], v[66:67], v[48:49] op_sel_hi:[1,0]
	v_pk_fma_f32 v[58:59], v[64:65], v[80:81], v[52:53] op_sel:[0,0,1] op_sel_hi:[1,1,0] neg_lo:[0,0,1] neg_hi:[0,0,1]
	v_pk_fma_f32 v[52:53], v[64:65], v[80:81], v[52:53] op_sel:[0,0,1] op_sel_hi:[1,0,0]
	v_mov_b32_e32 v57, v51
	v_pk_add_f32 v[2:3], v[2:3], v[54:55]
	v_pk_fma_f32 v[50:51], v[66:67], v[84:85], v[48:49] op_sel:[0,0,1] op_sel_hi:[1,1,0] neg_lo:[0,0,1] neg_hi:[0,0,1]
	v_pk_fma_f32 v[48:49], v[66:67], v[84:85], v[48:49] op_sel:[0,0,1] op_sel_hi:[1,0,0]
	v_mov_b32_e32 v59, v53
	v_pk_add_f32 v[2:3], v[2:3], v[56:57]
	s_waitcnt vmcnt(8)
	v_mov_b32_e32 v48, v83
	v_pk_add_f32 v[2:3], v[2:3], v[58:59]
	v_mov_b32_e32 v51, v49
	s_waitcnt lgkmcnt(1)
	v_pk_mul_f32 v[48:49], v[68:69], v[48:49] op_sel_hi:[1,0]
	v_pk_add_f32 v[2:3], v[2:3], v[50:51]
	v_pk_fma_f32 v[50:51], v[68:69], v[82:83], v[48:49] op_sel:[0,0,1] op_sel_hi:[1,1,0] neg_lo:[0,0,1] neg_hi:[0,0,1]
	v_pk_fma_f32 v[48:49], v[68:69], v[82:83], v[48:49] op_sel:[0,0,1] op_sel_hi:[1,0,0]
	s_waitcnt vmcnt(7)
	v_mov_b32_e32 v48, v87
	v_mov_b32_e32 v51, v49
	v_pk_mul_f32 v[48:49], v[70:71], v[48:49] op_sel_hi:[1,0]
	v_pk_add_f32 v[2:3], v[2:3], v[50:51]
	s_waitcnt vmcnt(4)
	v_pk_fma_f32 v[50:51], v[70:71], v[86:87], v[48:49] op_sel:[0,0,1] op_sel_hi:[1,1,0] neg_lo:[0,0,1] neg_hi:[0,0,1]
	v_pk_fma_f32 v[48:49], v[70:71], v[86:87], v[48:49] op_sel:[0,0,1] op_sel_hi:[1,0,0]
	s_waitcnt vmcnt(3)
	v_mov_b32_e32 v48, v91
	v_mov_b32_e32 v51, v49
	s_waitcnt lgkmcnt(0)
	v_pk_mul_f32 v[48:49], v[72:73], v[48:49] op_sel_hi:[1,0]
	v_pk_add_f32 v[2:3], v[2:3], v[50:51]
	v_pk_fma_f32 v[50:51], v[72:73], v[90:91], v[48:49] op_sel:[0,0,1] op_sel_hi:[1,1,0] neg_lo:[0,0,1] neg_hi:[0,0,1]
	v_pk_fma_f32 v[48:49], v[72:73], v[90:91], v[48:49] op_sel:[0,0,1] op_sel_hi:[1,0,0]
	s_waitcnt vmcnt(0)
	v_mov_b32_e32 v48, v89
	v_mov_b32_e32 v51, v49
	v_pk_mul_f32 v[48:49], v[74:75], v[48:49] op_sel_hi:[1,0]
	v_pk_add_f32 v[2:3], v[2:3], v[50:51]
	v_pk_fma_f32 v[50:51], v[74:75], v[88:89], v[48:49] op_sel:[0,0,1] op_sel_hi:[1,1,0] neg_lo:[0,0,1] neg_hi:[0,0,1]
	v_pk_fma_f32 v[48:49], v[74:75], v[88:89], v[48:49] op_sel:[0,0,1] op_sel_hi:[1,0,0]
	v_mov_b32_e32 v51, v49
	v_pk_add_f32 v[2:3], v[2:3], v[50:51]
	v_pk_add_f32 v[2:3], v[92:93], v[2:3] neg_lo:[0,1] neg_hi:[0,1]
	buffer_store_dword v3, off, s[0:3], 0 offset:60
	buffer_store_dword v2, off, s[0:3], 0 offset:56
	s_and_saveexec_b64 s[4:5], vcc
	s_cbranch_execz .LBB85_133
; %bb.132:
	buffer_load_dword v2, off, s[0:3], 0 offset:48
	buffer_load_dword v3, off, s[0:3], 0 offset:52
	v_mov_b32_e32 v48, 0
	buffer_store_dword v48, off, s[0:3], 0 offset:48
	buffer_store_dword v48, off, s[0:3], 0 offset:52
	s_waitcnt vmcnt(2)
	ds_write_b64 v1, v[2:3]
.LBB85_133:
	s_or_b64 exec, exec, s[4:5]
	s_waitcnt lgkmcnt(0)
	; wave barrier
	s_waitcnt lgkmcnt(0)
	buffer_load_dword v3, off, s[0:3], 0 offset:60
	buffer_load_dword v96, off, s[0:3], 0 offset:68
	;; [unrolled: 1-line block ×32, first 2 shown]
	v_mov_b32_e32 v2, 0
	ds_read2_b64 v[48:51], v2 offset0:29 offset1:30
	ds_read2_b64 v[52:55], v2 offset0:31 offset1:32
	;; [unrolled: 1-line block ×7, first 2 shown]
	ds_read_b64 v[94:95], v2 offset:344
	v_cmp_lt_u32_e32 vcc, 5, v0
	s_waitcnt vmcnt(31) lgkmcnt(7)
	v_mul_f32_e32 v111, v48, v3
	v_mul_f32_e32 v3, v49, v3
	s_waitcnt vmcnt(30)
	v_mul_f32_e32 v112, v50, v96
	s_waitcnt vmcnt(28) lgkmcnt(6)
	v_mul_f32_e32 v114, v54, v100
	s_waitcnt vmcnt(27) lgkmcnt(5)
	v_mul_f32_e32 v115, v56, v101
	v_mul_f32_e32 v116, v55, v100
	;; [unrolled: 1-line block ×3, first 2 shown]
	s_waitcnt vmcnt(24)
	v_mov_b32_e32 v100, v77
	v_mul_f32_e32 v113, v52, v98
	v_mul_f32_e32 v96, v51, v96
	s_waitcnt vmcnt(22)
	v_fmac_f32_e32 v111, v49, v104
	v_fma_f32 v3, v48, v104, -v3
	s_waitcnt lgkmcnt(4)
	v_pk_mul_f32 v[48:49], v[62:63], v[100:101] op_sel_hi:[1,0]
	v_mul_f32_e32 v98, v53, v98
	s_waitcnt vmcnt(21)
	v_fmac_f32_e32 v112, v51, v105
	s_waitcnt vmcnt(20)
	v_fmac_f32_e32 v113, v53, v106
	;; [unrolled: 2-line block ×3, first 2 shown]
	v_fma_f32 v53, v50, v105, -v96
	s_waitcnt vmcnt(18)
	v_fma_f32 v55, v56, v108, -v101
	v_add_f32_e32 v56, 0, v111
	v_add_f32_e32 v3, 0, v3
	s_waitcnt vmcnt(12)
	v_pk_fma_f32 v[50:51], v[62:63], v[76:77], v[48:49] op_sel:[0,0,1] op_sel_hi:[1,1,0] neg_lo:[0,0,1] neg_hi:[0,0,1]
	v_pk_fma_f32 v[48:49], v[62:63], v[76:77], v[48:49] op_sel:[0,0,1] op_sel_hi:[1,0,0]
	v_fma_f32 v52, v52, v106, -v98
	v_add_f32_e32 v48, v56, v112
	v_add_f32_e32 v3, v3, v53
	v_fma_f32 v54, v54, v107, -v116
	v_add_f32_e32 v48, v48, v113
	v_add_f32_e32 v3, v3, v52
	v_mul_f32_e32 v97, v58, v102
	v_mul_f32_e32 v117, v59, v102
	v_fmac_f32_e32 v115, v57, v108
	v_add_f32_e32 v48, v48, v114
	v_add_f32_e32 v3, v3, v54
	v_mul_f32_e32 v99, v60, v103
	v_mul_f32_e32 v103, v61, v103
	v_fmac_f32_e32 v97, v59, v109
	v_fma_f32 v96, v58, v109, -v117
	v_mov_b32_e32 v51, v49
	v_add_f32_e32 v49, v48, v115
	v_add_f32_e32 v48, v3, v55
	v_fmac_f32_e32 v99, v61, v110
	v_fma_f32 v98, v60, v110, -v103
	v_pk_add_f32 v[48:49], v[48:49], v[96:97]
	v_mov_b32_e32 v102, v79
	v_pk_add_f32 v[48:49], v[48:49], v[98:99]
	v_pk_add_f32 v[48:49], v[48:49], v[50:51]
	s_waitcnt lgkmcnt(3)
	v_pk_mul_f32 v[50:51], v[64:65], v[102:103] op_sel_hi:[1,0]
	v_pk_fma_f32 v[52:53], v[64:65], v[78:79], v[50:51] op_sel:[0,0,1] op_sel_hi:[1,1,0] neg_lo:[0,0,1] neg_hi:[0,0,1]
	v_pk_fma_f32 v[50:51], v[64:65], v[78:79], v[50:51] op_sel:[0,0,1] op_sel_hi:[1,0,0]
	s_waitcnt vmcnt(11)
	v_mov_b32_e32 v50, v83
	v_mov_b32_e32 v53, v51
	v_pk_mul_f32 v[50:51], v[66:67], v[50:51] op_sel_hi:[1,0]
	v_pk_add_f32 v[48:49], v[48:49], v[52:53]
	v_pk_fma_f32 v[52:53], v[66:67], v[82:83], v[50:51] op_sel:[0,0,1] op_sel_hi:[1,1,0] neg_lo:[0,0,1] neg_hi:[0,0,1]
	v_pk_fma_f32 v[50:51], v[66:67], v[82:83], v[50:51] op_sel:[0,0,1] op_sel_hi:[1,0,0]
	s_waitcnt vmcnt(10)
	v_mov_b32_e32 v50, v81
	v_mov_b32_e32 v53, v51
	s_waitcnt lgkmcnt(2)
	v_pk_mul_f32 v[50:51], v[68:69], v[50:51] op_sel_hi:[1,0]
	v_pk_add_f32 v[48:49], v[48:49], v[52:53]
	v_pk_fma_f32 v[52:53], v[68:69], v[80:81], v[50:51] op_sel:[0,0,1] op_sel_hi:[1,1,0] neg_lo:[0,0,1] neg_hi:[0,0,1]
	v_pk_fma_f32 v[50:51], v[68:69], v[80:81], v[50:51] op_sel:[0,0,1] op_sel_hi:[1,0,0]
	s_waitcnt vmcnt(9)
	v_mov_b32_e32 v50, v85
	v_mov_b32_e32 v53, v51
	v_pk_mul_f32 v[50:51], v[70:71], v[50:51] op_sel_hi:[1,0]
	v_pk_add_f32 v[48:49], v[48:49], v[52:53]
	s_waitcnt vmcnt(4)
	v_pk_fma_f32 v[52:53], v[70:71], v[84:85], v[50:51] op_sel:[0,0,1] op_sel_hi:[1,1,0] neg_lo:[0,0,1] neg_hi:[0,0,1]
	v_pk_fma_f32 v[50:51], v[70:71], v[84:85], v[50:51] op_sel:[0,0,1] op_sel_hi:[1,0,0]
	v_mov_b32_e32 v50, v91
	v_mov_b32_e32 v53, v51
	s_waitcnt lgkmcnt(1)
	v_pk_mul_f32 v[50:51], v[72:73], v[50:51] op_sel_hi:[1,0]
	v_pk_add_f32 v[48:49], v[48:49], v[52:53]
	v_pk_fma_f32 v[52:53], v[72:73], v[90:91], v[50:51] op_sel:[0,0,1] op_sel_hi:[1,1,0] neg_lo:[0,0,1] neg_hi:[0,0,1]
	v_pk_fma_f32 v[50:51], v[72:73], v[90:91], v[50:51] op_sel:[0,0,1] op_sel_hi:[1,0,0]
	s_waitcnt vmcnt(3)
	v_mov_b32_e32 v50, v89
	v_mov_b32_e32 v53, v51
	v_pk_mul_f32 v[50:51], v[74:75], v[50:51] op_sel_hi:[1,0]
	v_pk_add_f32 v[48:49], v[48:49], v[52:53]
	v_pk_fma_f32 v[52:53], v[74:75], v[88:89], v[50:51] op_sel:[0,0,1] op_sel_hi:[1,1,0] neg_lo:[0,0,1] neg_hi:[0,0,1]
	v_pk_fma_f32 v[50:51], v[74:75], v[88:89], v[50:51] op_sel:[0,0,1] op_sel_hi:[1,0,0]
	s_waitcnt vmcnt(0)
	v_mov_b32_e32 v50, v87
	v_mov_b32_e32 v53, v51
	s_waitcnt lgkmcnt(0)
	v_pk_mul_f32 v[50:51], v[94:95], v[50:51] op_sel_hi:[1,0]
	v_pk_add_f32 v[48:49], v[48:49], v[52:53]
	v_pk_fma_f32 v[52:53], v[94:95], v[86:87], v[50:51] op_sel:[0,0,1] op_sel_hi:[1,1,0] neg_lo:[0,0,1] neg_hi:[0,0,1]
	v_pk_fma_f32 v[50:51], v[94:95], v[86:87], v[50:51] op_sel:[0,0,1] op_sel_hi:[1,0,0]
	v_mov_b32_e32 v53, v51
	v_pk_add_f32 v[48:49], v[48:49], v[52:53]
	v_pk_add_f32 v[48:49], v[92:93], v[48:49] neg_lo:[0,1] neg_hi:[0,1]
	buffer_store_dword v49, off, s[0:3], 0 offset:52
	buffer_store_dword v48, off, s[0:3], 0 offset:48
	s_and_saveexec_b64 s[4:5], vcc
	s_cbranch_execz .LBB85_135
; %bb.134:
	buffer_load_dword v48, off, s[0:3], 0 offset:40
	buffer_load_dword v49, off, s[0:3], 0 offset:44
	s_waitcnt vmcnt(0)
	ds_write_b64 v1, v[48:49]
	buffer_store_dword v2, off, s[0:3], 0 offset:40
	buffer_store_dword v2, off, s[0:3], 0 offset:44
.LBB85_135:
	s_or_b64 exec, exec, s[4:5]
	s_waitcnt lgkmcnt(0)
	; wave barrier
	s_waitcnt lgkmcnt(0)
	buffer_load_dword v98, off, s[0:3], 0 offset:52
	buffer_load_dword v100, off, s[0:3], 0 offset:60
	;; [unrolled: 1-line block ×32, first 2 shown]
	ds_read_b128 v[48:51], v2 offset:224
	ds_read_b128 v[52:55], v2 offset:240
	;; [unrolled: 1-line block ×4, first 2 shown]
	buffer_load_dword v97, off, s[0:3], 0 offset:172
	buffer_load_dword v96, off, s[0:3], 0 offset:168
	ds_read_b128 v[64:67], v2 offset:288
	ds_read_b128 v[68:71], v2 offset:304
	;; [unrolled: 1-line block ×4, first 2 shown]
	v_cmp_lt_u32_e32 vcc, 4, v0
	s_waitcnt vmcnt(33) lgkmcnt(7)
	v_mul_f32_e32 v115, v48, v98
	v_mul_f32_e32 v2, v49, v98
	s_waitcnt vmcnt(32)
	v_mul_f32_e32 v116, v50, v100
	s_waitcnt vmcnt(31) lgkmcnt(6)
	v_mul_f32_e32 v117, v52, v101
	v_mul_f32_e32 v98, v51, v100
	;; [unrolled: 1-line block ×3, first 2 shown]
	s_waitcnt vmcnt(30)
	v_mul_f32_e32 v101, v55, v102
	v_mul_f32_e32 v118, v54, v102
	s_waitcnt vmcnt(25)
	v_fmac_f32_e32 v115, v49, v107
	v_fma_f32 v48, v48, v107, -v2
	s_waitcnt vmcnt(24)
	v_fmac_f32_e32 v116, v51, v108
	v_fma_f32 v49, v50, v108, -v98
	s_waitcnt vmcnt(22)
	v_fma_f32 v51, v54, v110, -v101
	v_add_f32_e32 v54, 0, v115
	v_add_f32_e32 v48, 0, v48
	v_fmac_f32_e32 v117, v53, v109
	v_fma_f32 v50, v52, v109, -v100
	v_add_f32_e32 v54, v54, v116
	v_add_f32_e32 v48, v48, v49
	s_waitcnt lgkmcnt(5)
	v_mul_f32_e32 v119, v56, v103
	v_mul_f32_e32 v102, v57, v103
	v_fmac_f32_e32 v118, v55, v110
	v_add_f32_e32 v49, v54, v117
	v_add_f32_e32 v48, v48, v50
	v_mul_f32_e32 v120, v58, v104
	v_mul_f32_e32 v103, v59, v104
	s_waitcnt vmcnt(21)
	v_fmac_f32_e32 v119, v57, v111
	v_fma_f32 v52, v56, v111, -v102
	v_add_f32_e32 v49, v49, v118
	v_add_f32_e32 v48, v48, v51
	s_waitcnt lgkmcnt(4)
	v_mul_f32_e32 v3, v60, v105
	v_mul_f32_e32 v104, v61, v105
	s_waitcnt vmcnt(20)
	v_fmac_f32_e32 v120, v59, v112
	v_fma_f32 v53, v58, v112, -v103
	v_add_f32_e32 v49, v49, v119
	v_add_f32_e32 v48, v48, v52
	s_waitcnt vmcnt(19)
	v_fmac_f32_e32 v3, v61, v113
	v_fma_f32 v2, v60, v113, -v104
	v_add_f32_e32 v49, v49, v120
	v_add_f32_e32 v48, v48, v53
	v_pk_add_f32 v[2:3], v[48:49], v[2:3]
	s_waitcnt vmcnt(17)
	v_mov_b32_e32 v48, v81
	s_waitcnt lgkmcnt(3)
	v_pk_mul_f32 v[48:49], v[64:65], v[48:49] op_sel_hi:[1,0]
	v_mul_f32_e32 v99, v62, v106
	v_mul_f32_e32 v105, v63, v106
	s_waitcnt vmcnt(14)
	v_pk_fma_f32 v[50:51], v[64:65], v[80:81], v[48:49] op_sel:[0,0,1] op_sel_hi:[1,1,0] neg_lo:[0,0,1] neg_hi:[0,0,1]
	v_pk_fma_f32 v[48:49], v[64:65], v[80:81], v[48:49] op_sel:[0,0,1] op_sel_hi:[1,0,0]
	v_fmac_f32_e32 v99, v63, v114
	v_fma_f32 v98, v62, v114, -v105
	s_waitcnt vmcnt(13)
	v_mov_b32_e32 v48, v85
	v_pk_add_f32 v[2:3], v[2:3], v[98:99]
	v_mov_b32_e32 v51, v49
	v_pk_mul_f32 v[48:49], v[66:67], v[48:49] op_sel_hi:[1,0]
	v_pk_add_f32 v[2:3], v[2:3], v[50:51]
	v_pk_fma_f32 v[50:51], v[66:67], v[84:85], v[48:49] op_sel:[0,0,1] op_sel_hi:[1,1,0] neg_lo:[0,0,1] neg_hi:[0,0,1]
	v_pk_fma_f32 v[48:49], v[66:67], v[84:85], v[48:49] op_sel:[0,0,1] op_sel_hi:[1,0,0]
	s_waitcnt vmcnt(12)
	v_mov_b32_e32 v48, v83
	v_mov_b32_e32 v51, v49
	s_waitcnt lgkmcnt(2)
	v_pk_mul_f32 v[48:49], v[68:69], v[48:49] op_sel_hi:[1,0]
	v_pk_add_f32 v[2:3], v[2:3], v[50:51]
	v_pk_fma_f32 v[50:51], v[68:69], v[82:83], v[48:49] op_sel:[0,0,1] op_sel_hi:[1,1,0] neg_lo:[0,0,1] neg_hi:[0,0,1]
	v_pk_fma_f32 v[48:49], v[68:69], v[82:83], v[48:49] op_sel:[0,0,1] op_sel_hi:[1,0,0]
	s_waitcnt vmcnt(11)
	v_mov_b32_e32 v48, v87
	v_mov_b32_e32 v51, v49
	v_pk_mul_f32 v[48:49], v[70:71], v[48:49] op_sel_hi:[1,0]
	v_pk_add_f32 v[2:3], v[2:3], v[50:51]
	s_waitcnt vmcnt(5)
	v_pk_fma_f32 v[50:51], v[70:71], v[86:87], v[48:49] op_sel:[0,0,1] op_sel_hi:[1,1,0] neg_lo:[0,0,1] neg_hi:[0,0,1]
	v_pk_fma_f32 v[48:49], v[70:71], v[86:87], v[48:49] op_sel:[0,0,1] op_sel_hi:[1,0,0]
	v_mov_b32_e32 v48, v93
	v_mov_b32_e32 v51, v49
	s_waitcnt lgkmcnt(1)
	v_pk_mul_f32 v[48:49], v[72:73], v[48:49] op_sel_hi:[1,0]
	v_pk_add_f32 v[2:3], v[2:3], v[50:51]
	v_pk_fma_f32 v[50:51], v[72:73], v[92:93], v[48:49] op_sel:[0,0,1] op_sel_hi:[1,1,0] neg_lo:[0,0,1] neg_hi:[0,0,1]
	v_pk_fma_f32 v[48:49], v[72:73], v[92:93], v[48:49] op_sel:[0,0,1] op_sel_hi:[1,0,0]
	v_mov_b32_e32 v48, v91
	v_mov_b32_e32 v51, v49
	v_pk_mul_f32 v[48:49], v[74:75], v[48:49] op_sel_hi:[1,0]
	v_pk_add_f32 v[2:3], v[2:3], v[50:51]
	v_pk_fma_f32 v[50:51], v[74:75], v[90:91], v[48:49] op_sel:[0,0,1] op_sel_hi:[1,1,0] neg_lo:[0,0,1] neg_hi:[0,0,1]
	v_pk_fma_f32 v[48:49], v[74:75], v[90:91], v[48:49] op_sel:[0,0,1] op_sel_hi:[1,0,0]
	s_waitcnt vmcnt(2)
	v_mov_b32_e32 v48, v89
	v_mov_b32_e32 v51, v49
	s_waitcnt lgkmcnt(0)
	v_pk_mul_f32 v[48:49], v[76:77], v[48:49] op_sel_hi:[1,0]
	v_pk_add_f32 v[2:3], v[2:3], v[50:51]
	v_pk_fma_f32 v[50:51], v[76:77], v[88:89], v[48:49] op_sel:[0,0,1] op_sel_hi:[1,1,0] neg_lo:[0,0,1] neg_hi:[0,0,1]
	v_pk_fma_f32 v[48:49], v[76:77], v[88:89], v[48:49] op_sel:[0,0,1] op_sel_hi:[1,0,0]
	s_waitcnt vmcnt(1)
	v_mov_b32_e32 v48, v97
	v_mov_b32_e32 v51, v49
	v_pk_mul_f32 v[48:49], v[78:79], v[48:49] op_sel_hi:[1,0]
	v_pk_add_f32 v[2:3], v[2:3], v[50:51]
	s_waitcnt vmcnt(0)
	v_pk_fma_f32 v[50:51], v[78:79], v[96:97], v[48:49] op_sel:[0,0,1] op_sel_hi:[1,1,0] neg_lo:[0,0,1] neg_hi:[0,0,1]
	v_pk_fma_f32 v[48:49], v[78:79], v[96:97], v[48:49] op_sel:[0,0,1] op_sel_hi:[1,0,0]
	v_mov_b32_e32 v51, v49
	v_pk_add_f32 v[2:3], v[2:3], v[50:51]
	v_pk_add_f32 v[2:3], v[94:95], v[2:3] neg_lo:[0,1] neg_hi:[0,1]
	buffer_store_dword v3, off, s[0:3], 0 offset:44
	buffer_store_dword v2, off, s[0:3], 0 offset:40
	s_and_saveexec_b64 s[4:5], vcc
	s_cbranch_execz .LBB85_137
; %bb.136:
	buffer_load_dword v2, off, s[0:3], 0 offset:32
	buffer_load_dword v3, off, s[0:3], 0 offset:36
	v_mov_b32_e32 v48, 0
	buffer_store_dword v48, off, s[0:3], 0 offset:32
	buffer_store_dword v48, off, s[0:3], 0 offset:36
	s_waitcnt vmcnt(2)
	ds_write_b64 v1, v[2:3]
.LBB85_137:
	s_or_b64 exec, exec, s[4:5]
	s_waitcnt lgkmcnt(0)
	; wave barrier
	s_waitcnt lgkmcnt(0)
	buffer_load_dword v3, off, s[0:3], 0 offset:44
	buffer_load_dword v90, off, s[0:3], 0 offset:52
	;; [unrolled: 1-line block ×36, first 2 shown]
	v_mov_b32_e32 v2, 0
	ds_read2_b64 v[48:51], v2 offset0:27 offset1:28
	ds_read2_b64 v[52:55], v2 offset0:29 offset1:30
	;; [unrolled: 1-line block ×6, first 2 shown]
	v_cmp_lt_u32_e32 vcc, 3, v0
	s_waitcnt vmcnt(35) lgkmcnt(5)
	v_mul_f32_e32 v109, v48, v3
	s_waitcnt vmcnt(34)
	v_mul_f32_e32 v110, v50, v90
	s_waitcnt vmcnt(33) lgkmcnt(4)
	v_mul_f32_e32 v111, v52, v92
	v_mul_f32_e32 v3, v49, v3
	;; [unrolled: 1-line block ×4, first 2 shown]
	s_waitcnt vmcnt(32)
	v_mul_f32_e32 v112, v54, v94
	s_waitcnt vmcnt(31) lgkmcnt(3)
	v_mul_f32_e32 v113, v56, v95
	v_mul_f32_e32 v94, v55, v94
	s_waitcnt vmcnt(26)
	v_fmac_f32_e32 v109, v49, v100
	s_waitcnt vmcnt(25)
	v_fmac_f32_e32 v110, v51, v101
	;; [unrolled: 2-line block ×3, first 2 shown]
	v_fma_f32 v3, v48, v100, -v3
	v_add_f32_e32 v53, 0, v109
	v_fma_f32 v48, v50, v101, -v90
	v_add_f32_e32 v3, 0, v3
	v_add_f32_e32 v53, v53, v110
	s_waitcnt vmcnt(23)
	v_fmac_f32_e32 v112, v55, v103
	v_fma_f32 v49, v52, v102, -v92
	v_add_f32_e32 v3, v3, v48
	v_add_f32_e32 v48, v53, v111
	v_mul_f32_e32 v114, v58, v96
	v_mul_f32_e32 v95, v57, v95
	s_waitcnt vmcnt(22)
	v_fmac_f32_e32 v113, v57, v104
	v_fma_f32 v50, v54, v103, -v94
	v_add_f32_e32 v3, v3, v49
	v_add_f32_e32 v48, v48, v112
	s_waitcnt lgkmcnt(2)
	v_mul_f32_e32 v115, v60, v97
	v_mul_f32_e32 v96, v59, v96
	s_waitcnt vmcnt(21)
	v_fmac_f32_e32 v114, v59, v105
	v_fma_f32 v51, v56, v104, -v95
	v_add_f32_e32 v3, v3, v50
	v_add_f32_e32 v48, v48, v113
	v_mul_f32_e32 v97, v61, v97
	s_waitcnt vmcnt(20)
	v_fmac_f32_e32 v115, v61, v106
	v_fma_f32 v52, v58, v105, -v96
	v_add_f32_e32 v3, v3, v51
	v_add_f32_e32 v48, v48, v114
	;; [unrolled: 1-line block ×4, first 2 shown]
	v_fma_f32 v48, v60, v106, -v97
	s_waitcnt vmcnt(17)
	v_mov_b32_e32 v60, v73
	v_mul_f32_e32 v91, v62, v98
	v_add_f32_e32 v56, v3, v48
	v_mul_f32_e32 v3, v63, v98
	s_waitcnt lgkmcnt(1)
	v_pk_mul_f32 v[60:61], v[66:67], v[60:61] op_sel_hi:[1,0]
	v_mul_f32_e32 v93, v64, v99
	v_fmac_f32_e32 v91, v63, v107
	v_fma_f32 v90, v62, v107, -v3
	v_mul_f32_e32 v3, v65, v99
	s_waitcnt vmcnt(15)
	v_pk_fma_f32 v[62:63], v[66:67], v[72:73], v[60:61] op_sel:[0,0,1] op_sel_hi:[1,1,0] neg_lo:[0,0,1] neg_hi:[0,0,1]
	v_pk_fma_f32 v[60:61], v[66:67], v[72:73], v[60:61] op_sel:[0,0,1] op_sel_hi:[1,0,0]
	v_fmac_f32_e32 v93, v65, v108
	v_fma_f32 v92, v64, v108, -v3
	v_pk_add_f32 v[56:57], v[56:57], v[90:91]
	s_waitcnt vmcnt(12)
	v_mov_b32_e32 v60, v75
	v_pk_add_f32 v[56:57], v[56:57], v[92:93]
	v_mov_b32_e32 v63, v61
	s_waitcnt lgkmcnt(0)
	v_pk_mul_f32 v[60:61], v[68:69], v[60:61] op_sel_hi:[1,0]
	v_pk_add_f32 v[56:57], v[56:57], v[62:63]
	v_pk_fma_f32 v[62:63], v[68:69], v[74:75], v[60:61] op_sel:[0,0,1] op_sel_hi:[1,1,0] neg_lo:[0,0,1] neg_hi:[0,0,1]
	v_pk_fma_f32 v[60:61], v[68:69], v[74:75], v[60:61] op_sel:[0,0,1] op_sel_hi:[1,0,0]
	s_waitcnt vmcnt(11)
	v_mov_b32_e32 v60, v79
	ds_read2_b64 v[48:51], v2 offset0:39 offset1:40
	ds_read2_b64 v[52:55], v2 offset0:41 offset1:42
	ds_read_b64 v[58:59], v2 offset:344
	v_mov_b32_e32 v63, v61
	v_pk_mul_f32 v[60:61], v[70:71], v[60:61] op_sel_hi:[1,0]
	v_pk_add_f32 v[56:57], v[56:57], v[62:63]
	s_waitcnt vmcnt(4)
	v_pk_fma_f32 v[62:63], v[70:71], v[78:79], v[60:61] op_sel:[0,0,1] op_sel_hi:[1,1,0] neg_lo:[0,0,1] neg_hi:[0,0,1]
	v_pk_fma_f32 v[60:61], v[70:71], v[78:79], v[60:61] op_sel:[0,0,1] op_sel_hi:[1,0,0]
	v_mov_b32_e32 v60, v85
	v_mov_b32_e32 v63, v61
	s_waitcnt lgkmcnt(2)
	v_pk_mul_f32 v[60:61], v[48:49], v[60:61] op_sel_hi:[1,0]
	v_pk_add_f32 v[56:57], v[56:57], v[62:63]
	v_pk_fma_f32 v[62:63], v[48:49], v[84:85], v[60:61] op_sel:[0,0,1] op_sel_hi:[1,1,0] neg_lo:[0,0,1] neg_hi:[0,0,1]
	v_pk_fma_f32 v[48:49], v[48:49], v[84:85], v[60:61] op_sel:[0,0,1] op_sel_hi:[1,0,0]
	v_mov_b32_e32 v63, v49
	v_pk_add_f32 v[48:49], v[56:57], v[62:63]
	v_mov_b32_e32 v56, v83
	v_pk_mul_f32 v[56:57], v[50:51], v[56:57] op_sel_hi:[1,0]
	v_pk_fma_f32 v[60:61], v[50:51], v[82:83], v[56:57] op_sel:[0,0,1] op_sel_hi:[1,1,0] neg_lo:[0,0,1] neg_hi:[0,0,1]
	v_pk_fma_f32 v[50:51], v[50:51], v[82:83], v[56:57] op_sel:[0,0,1] op_sel_hi:[1,0,0]
	v_mov_b32_e32 v50, v81
	v_mov_b32_e32 v61, v51
	s_waitcnt lgkmcnt(1)
	v_pk_mul_f32 v[50:51], v[52:53], v[50:51] op_sel_hi:[1,0]
	v_pk_fma_f32 v[56:57], v[52:53], v[80:81], v[50:51] op_sel:[0,0,1] op_sel_hi:[1,1,0] neg_lo:[0,0,1] neg_hi:[0,0,1]
	v_pk_fma_f32 v[50:51], v[52:53], v[80:81], v[50:51] op_sel:[0,0,1] op_sel_hi:[1,0,0]
	s_waitcnt vmcnt(1)
	v_mov_b32_e32 v50, v89
	v_mov_b32_e32 v57, v51
	v_pk_mul_f32 v[50:51], v[54:55], v[50:51] op_sel_hi:[1,0]
	s_waitcnt vmcnt(0)
	v_pk_fma_f32 v[52:53], v[54:55], v[88:89], v[50:51] op_sel:[0,0,1] op_sel_hi:[1,1,0] neg_lo:[0,0,1] neg_hi:[0,0,1]
	v_pk_fma_f32 v[50:51], v[54:55], v[88:89], v[50:51] op_sel:[0,0,1] op_sel_hi:[1,0,0]
	v_pk_add_f32 v[48:49], v[48:49], v[60:61]
	v_mov_b32_e32 v50, v87
	v_pk_add_f32 v[48:49], v[48:49], v[56:57]
	v_mov_b32_e32 v53, v51
	s_waitcnt lgkmcnt(0)
	v_pk_mul_f32 v[50:51], v[58:59], v[50:51] op_sel_hi:[1,0]
	v_pk_add_f32 v[48:49], v[48:49], v[52:53]
	v_pk_fma_f32 v[52:53], v[58:59], v[86:87], v[50:51] op_sel:[0,0,1] op_sel_hi:[1,1,0] neg_lo:[0,0,1] neg_hi:[0,0,1]
	v_pk_fma_f32 v[50:51], v[58:59], v[86:87], v[50:51] op_sel:[0,0,1] op_sel_hi:[1,0,0]
	v_mov_b32_e32 v53, v51
	v_pk_add_f32 v[48:49], v[48:49], v[52:53]
	v_pk_add_f32 v[48:49], v[76:77], v[48:49] neg_lo:[0,1] neg_hi:[0,1]
	buffer_store_dword v49, off, s[0:3], 0 offset:36
	buffer_store_dword v48, off, s[0:3], 0 offset:32
	s_and_saveexec_b64 s[4:5], vcc
	s_cbranch_execz .LBB85_139
; %bb.138:
	buffer_load_dword v48, off, s[0:3], 0 offset:24
	buffer_load_dword v49, off, s[0:3], 0 offset:28
	s_waitcnt vmcnt(0)
	ds_write_b64 v1, v[48:49]
	buffer_store_dword v2, off, s[0:3], 0 offset:24
	buffer_store_dword v2, off, s[0:3], 0 offset:28
.LBB85_139:
	s_or_b64 exec, exec, s[4:5]
	s_waitcnt lgkmcnt(0)
	; wave barrier
	s_waitcnt lgkmcnt(0)
	buffer_load_dword v3, off, s[0:3], 0 offset:36
	buffer_load_dword v90, off, s[0:3], 0 offset:44
	;; [unrolled: 1-line block ×22, first 2 shown]
	ds_read_b128 v[48:51], v2 offset:208
	ds_read_b128 v[52:55], v2 offset:224
	buffer_load_dword v75, off, s[0:3], 0 offset:116
	buffer_load_dword v74, off, s[0:3], 0 offset:112
	;; [unrolled: 1-line block ×10, first 2 shown]
	ds_read_b128 v[56:59], v2 offset:240
	ds_read_b128 v[60:63], v2 offset:256
	;; [unrolled: 1-line block ×4, first 2 shown]
	buffer_load_dword v85, off, s[0:3], 0 offset:172
	buffer_load_dword v84, off, s[0:3], 0 offset:168
	;; [unrolled: 1-line block ×6, first 2 shown]
	v_cmp_lt_u32_e32 vcc, 2, v0
	s_waitcnt vmcnt(37) lgkmcnt(5)
	v_mul_f32_e32 v111, v48, v3
	s_waitcnt vmcnt(36)
	v_mul_f32_e32 v112, v50, v90
	s_waitcnt vmcnt(35) lgkmcnt(4)
	v_mul_f32_e32 v113, v52, v92
	v_mul_f32_e32 v3, v49, v3
	;; [unrolled: 1-line block ×4, first 2 shown]
	s_waitcnt vmcnt(34)
	v_mul_f32_e32 v114, v54, v94
	s_waitcnt vmcnt(33) lgkmcnt(3)
	v_mul_f32_e32 v115, v56, v95
	s_waitcnt vmcnt(32)
	v_mul_f32_e32 v116, v58, v96
	s_waitcnt vmcnt(31) lgkmcnt(2)
	v_mul_f32_e32 v117, v60, v97
	s_waitcnt vmcnt(27)
	v_fmac_f32_e32 v111, v49, v101
	s_waitcnt vmcnt(26)
	v_fmac_f32_e32 v112, v51, v102
	v_fma_f32 v3, v48, v101, -v3
	s_waitcnt vmcnt(25)
	v_fma_f32 v49, v52, v103, -v92
	v_add_f32_e32 v52, 0, v111
	v_fmac_f32_e32 v113, v53, v103
	v_fma_f32 v48, v50, v102, -v90
	v_add_f32_e32 v3, 0, v3
	v_add_f32_e32 v52, v52, v112
	s_waitcnt vmcnt(24)
	v_fmac_f32_e32 v114, v55, v104
	v_add_f32_e32 v3, v3, v48
	v_add_f32_e32 v48, v52, v113
	s_waitcnt vmcnt(23)
	v_fmac_f32_e32 v115, v57, v105
	v_add_f32_e32 v48, v48, v114
	v_mul_f32_e32 v94, v55, v94
	s_waitcnt vmcnt(22)
	v_fmac_f32_e32 v116, v59, v106
	v_add_f32_e32 v48, v48, v115
	v_mul_f32_e32 v118, v62, v98
	v_mul_f32_e32 v95, v57, v95
	s_waitcnt vmcnt(21)
	v_fmac_f32_e32 v117, v61, v107
	v_fma_f32 v50, v54, v104, -v94
	v_add_f32_e32 v3, v3, v49
	v_add_f32_e32 v48, v48, v116
	v_mul_f32_e32 v96, v59, v96
	s_waitcnt vmcnt(20)
	v_fmac_f32_e32 v118, v63, v108
	v_fma_f32 v51, v56, v105, -v95
	v_add_f32_e32 v3, v3, v50
	v_add_f32_e32 v48, v48, v117
	;; [unrolled: 1-line block ×4, first 2 shown]
	v_fma_f32 v48, v58, v106, -v96
	v_add_f32_e32 v3, v3, v48
	v_mul_f32_e32 v48, v61, v97
	v_fma_f32 v48, v60, v107, -v48
	v_add_f32_e32 v3, v3, v48
	v_mul_f32_e32 v48, v63, v98
	v_fma_f32 v48, v62, v108, -v48
	s_waitcnt vmcnt(15)
	v_mov_b32_e32 v60, v75
	s_waitcnt lgkmcnt(1)
	v_mul_f32_e32 v91, v64, v99
	v_add_f32_e32 v94, v3, v48
	v_mul_f32_e32 v3, v65, v99
	s_waitcnt lgkmcnt(0)
	v_pk_mul_f32 v[60:61], v[68:69], v[60:61] op_sel_hi:[1,0]
	v_mul_f32_e32 v93, v66, v100
	v_fmac_f32_e32 v91, v65, v109
	v_fma_f32 v90, v64, v109, -v3
	v_mul_f32_e32 v3, v67, v100
	s_waitcnt vmcnt(14)
	v_pk_fma_f32 v[62:63], v[68:69], v[74:75], v[60:61] op_sel:[0,0,1] op_sel_hi:[1,1,0] neg_lo:[0,0,1] neg_hi:[0,0,1]
	v_pk_fma_f32 v[60:61], v[68:69], v[74:75], v[60:61] op_sel:[0,0,1] op_sel_hi:[1,0,0]
	v_fmac_f32_e32 v93, v67, v110
	v_fma_f32 v92, v66, v110, -v3
	ds_read_b128 v[48:51], v2 offset:304
	ds_read_b128 v[52:55], v2 offset:320
	;; [unrolled: 1-line block ×3, first 2 shown]
	v_pk_add_f32 v[2:3], v[94:95], v[90:91]
	s_waitcnt vmcnt(13)
	v_mov_b32_e32 v60, v77
	v_pk_add_f32 v[2:3], v[2:3], v[92:93]
	v_mov_b32_e32 v63, v61
	v_pk_mul_f32 v[60:61], v[70:71], v[60:61] op_sel_hi:[1,0]
	v_pk_add_f32 v[2:3], v[2:3], v[62:63]
	s_waitcnt vmcnt(6)
	v_pk_fma_f32 v[62:63], v[70:71], v[76:77], v[60:61] op_sel:[0,0,1] op_sel_hi:[1,1,0] neg_lo:[0,0,1] neg_hi:[0,0,1]
	v_pk_fma_f32 v[60:61], v[70:71], v[76:77], v[60:61] op_sel:[0,0,1] op_sel_hi:[1,0,0]
	v_mov_b32_e32 v60, v83
	v_mov_b32_e32 v63, v61
	s_waitcnt lgkmcnt(2)
	v_pk_mul_f32 v[60:61], v[48:49], v[60:61] op_sel_hi:[1,0]
	v_pk_add_f32 v[2:3], v[2:3], v[62:63]
	v_pk_fma_f32 v[62:63], v[48:49], v[82:83], v[60:61] op_sel:[0,0,1] op_sel_hi:[1,1,0] neg_lo:[0,0,1] neg_hi:[0,0,1]
	v_pk_fma_f32 v[48:49], v[48:49], v[82:83], v[60:61] op_sel:[0,0,1] op_sel_hi:[1,0,0]
	v_mov_b32_e32 v48, v81
	v_mov_b32_e32 v63, v49
	v_pk_mul_f32 v[48:49], v[50:51], v[48:49] op_sel_hi:[1,0]
	v_pk_fma_f32 v[60:61], v[50:51], v[80:81], v[48:49] op_sel:[0,0,1] op_sel_hi:[1,1,0] neg_lo:[0,0,1] neg_hi:[0,0,1]
	v_pk_fma_f32 v[48:49], v[50:51], v[80:81], v[48:49] op_sel:[0,0,1] op_sel_hi:[1,0,0]
	v_mov_b32_e32 v48, v79
	v_mov_b32_e32 v61, v49
	s_waitcnt lgkmcnt(1)
	v_pk_mul_f32 v[48:49], v[52:53], v[48:49] op_sel_hi:[1,0]
	v_pk_fma_f32 v[50:51], v[52:53], v[78:79], v[48:49] op_sel:[0,0,1] op_sel_hi:[1,1,0] neg_lo:[0,0,1] neg_hi:[0,0,1]
	v_pk_fma_f32 v[48:49], v[52:53], v[78:79], v[48:49] op_sel:[0,0,1] op_sel_hi:[1,0,0]
	v_pk_add_f32 v[2:3], v[2:3], v[62:63]
	s_waitcnt vmcnt(1)
	v_mov_b32_e32 v48, v89
	v_pk_add_f32 v[2:3], v[2:3], v[60:61]
	v_mov_b32_e32 v51, v49
	v_pk_mul_f32 v[48:49], v[54:55], v[48:49] op_sel_hi:[1,0]
	v_pk_add_f32 v[2:3], v[2:3], v[50:51]
	s_waitcnt vmcnt(0)
	v_pk_fma_f32 v[50:51], v[54:55], v[88:89], v[48:49] op_sel:[0,0,1] op_sel_hi:[1,1,0] neg_lo:[0,0,1] neg_hi:[0,0,1]
	v_pk_fma_f32 v[48:49], v[54:55], v[88:89], v[48:49] op_sel:[0,0,1] op_sel_hi:[1,0,0]
	v_mov_b32_e32 v48, v87
	v_mov_b32_e32 v51, v49
	s_waitcnt lgkmcnt(0)
	v_pk_mul_f32 v[48:49], v[56:57], v[48:49] op_sel_hi:[1,0]
	v_pk_add_f32 v[2:3], v[2:3], v[50:51]
	v_pk_fma_f32 v[50:51], v[56:57], v[86:87], v[48:49] op_sel:[0,0,1] op_sel_hi:[1,1,0] neg_lo:[0,0,1] neg_hi:[0,0,1]
	v_pk_fma_f32 v[48:49], v[56:57], v[86:87], v[48:49] op_sel:[0,0,1] op_sel_hi:[1,0,0]
	v_mov_b32_e32 v48, v85
	v_mov_b32_e32 v51, v49
	v_pk_mul_f32 v[48:49], v[58:59], v[48:49] op_sel_hi:[1,0]
	v_pk_add_f32 v[2:3], v[2:3], v[50:51]
	v_pk_fma_f32 v[50:51], v[58:59], v[84:85], v[48:49] op_sel:[0,0,1] op_sel_hi:[1,1,0] neg_lo:[0,0,1] neg_hi:[0,0,1]
	v_pk_fma_f32 v[48:49], v[58:59], v[84:85], v[48:49] op_sel:[0,0,1] op_sel_hi:[1,0,0]
	v_mov_b32_e32 v51, v49
	v_pk_add_f32 v[2:3], v[2:3], v[50:51]
	v_pk_add_f32 v[2:3], v[72:73], v[2:3] neg_lo:[0,1] neg_hi:[0,1]
	buffer_store_dword v3, off, s[0:3], 0 offset:28
	buffer_store_dword v2, off, s[0:3], 0 offset:24
	s_and_saveexec_b64 s[4:5], vcc
	s_cbranch_execz .LBB85_141
; %bb.140:
	buffer_load_dword v2, off, s[0:3], 0 offset:16
	buffer_load_dword v3, off, s[0:3], 0 offset:20
	v_mov_b32_e32 v48, 0
	buffer_store_dword v48, off, s[0:3], 0 offset:16
	buffer_store_dword v48, off, s[0:3], 0 offset:20
	s_waitcnt vmcnt(2)
	ds_write_b64 v1, v[2:3]
.LBB85_141:
	s_or_b64 exec, exec, s[4:5]
	s_waitcnt lgkmcnt(0)
	; wave barrier
	s_waitcnt lgkmcnt(0)
	buffer_load_dword v3, off, s[0:3], 0 offset:28
	buffer_load_dword v90, off, s[0:3], 0 offset:36
	;; [unrolled: 1-line block ×40, first 2 shown]
	v_mov_b32_e32 v2, 0
	ds_read2_b64 v[48:51], v2 offset0:25 offset1:26
	ds_read2_b64 v[52:55], v2 offset0:27 offset1:28
	;; [unrolled: 1-line block ×6, first 2 shown]
	v_cmp_lt_u32_e32 vcc, 1, v0
	s_waitcnt vmcnt(39) lgkmcnt(5)
	v_mul_f32_e32 v113, v48, v3
	s_waitcnt vmcnt(38)
	v_mul_f32_e32 v114, v50, v90
	v_mul_f32_e32 v3, v49, v3
	s_waitcnt vmcnt(37) lgkmcnt(4)
	v_mul_f32_e32 v115, v52, v92
	v_mul_f32_e32 v90, v51, v90
	s_waitcnt vmcnt(36)
	v_mul_f32_e32 v116, v54, v94
	s_waitcnt vmcnt(35) lgkmcnt(3)
	v_mul_f32_e32 v117, v56, v96
	s_waitcnt vmcnt(34)
	v_mul_f32_e32 v118, v58, v97
	s_waitcnt vmcnt(33) lgkmcnt(2)
	;; [unrolled: 4-line block ×3, first 2 shown]
	v_mul_f32_e32 v121, v64, v100
	s_waitcnt vmcnt(28)
	v_fmac_f32_e32 v113, v49, v95
	s_waitcnt vmcnt(27)
	v_fmac_f32_e32 v114, v51, v103
	v_fma_f32 v3, v48, v95, -v3
	v_add_f32_e32 v51, 0, v113
	s_waitcnt vmcnt(26)
	v_fmac_f32_e32 v115, v53, v104
	v_fma_f32 v48, v50, v103, -v90
	v_add_f32_e32 v3, 0, v3
	v_add_f32_e32 v51, v51, v114
	s_waitcnt vmcnt(25)
	v_fmac_f32_e32 v116, v55, v105
	v_add_f32_e32 v3, v3, v48
	v_add_f32_e32 v48, v51, v115
	s_waitcnt vmcnt(24)
	v_fmac_f32_e32 v117, v57, v106
	v_add_f32_e32 v48, v48, v116
	s_waitcnt vmcnt(23)
	v_fmac_f32_e32 v118, v59, v107
	;; [unrolled: 3-line block ×3, first 2 shown]
	v_add_f32_e32 v48, v48, v118
	v_mul_f32_e32 v92, v53, v92
	s_waitcnt vmcnt(21)
	v_fmac_f32_e32 v120, v63, v109
	v_add_f32_e32 v48, v48, v119
	v_mul_f32_e32 v94, v55, v94
	s_waitcnt vmcnt(20)
	v_fmac_f32_e32 v121, v65, v110
	v_fma_f32 v49, v52, v104, -v92
	v_add_f32_e32 v48, v48, v120
	v_fma_f32 v50, v54, v105, -v94
	v_add_f32_e32 v3, v3, v49
	v_add_f32_e32 v95, v48, v121
	v_mul_f32_e32 v48, v57, v96
	v_add_f32_e32 v3, v3, v50
	v_fma_f32 v48, v56, v106, -v48
	v_add_f32_e32 v3, v3, v48
	v_mul_f32_e32 v48, v59, v97
	v_fma_f32 v48, v58, v107, -v48
	v_add_f32_e32 v3, v3, v48
	v_mul_f32_e32 v48, v61, v98
	;; [unrolled: 3-line block ×4, first 2 shown]
	v_fma_f32 v48, v64, v110, -v48
	s_waitcnt vmcnt(9)
	v_mov_b32_e32 v64, v81
	v_mul_f32_e32 v91, v66, v101
	v_add_f32_e32 v94, v3, v48
	v_mul_f32_e32 v3, v67, v101
	s_waitcnt lgkmcnt(0)
	v_pk_mul_f32 v[64:65], v[70:71], v[64:65] op_sel_hi:[1,0]
	v_mul_f32_e32 v93, v68, v102
	v_fmac_f32_e32 v91, v67, v111
	v_fma_f32 v90, v66, v111, -v3
	v_mul_f32_e32 v3, v69, v102
	ds_read2_b64 v[48:51], v2 offset0:37 offset1:38
	ds_read2_b64 v[52:55], v2 offset0:39 offset1:40
	;; [unrolled: 1-line block ×3, first 2 shown]
	ds_read_b64 v[60:61], v2 offset:344
	s_waitcnt vmcnt(8)
	v_pk_fma_f32 v[66:67], v[70:71], v[80:81], v[64:65] op_sel:[0,0,1] op_sel_hi:[1,1,0] neg_lo:[0,0,1] neg_hi:[0,0,1]
	v_pk_fma_f32 v[64:65], v[70:71], v[80:81], v[64:65] op_sel:[0,0,1] op_sel_hi:[1,0,0]
	v_fmac_f32_e32 v93, v69, v112
	v_fma_f32 v92, v68, v112, -v3
	v_pk_add_f32 v[62:63], v[94:95], v[90:91]
	v_mov_b32_e32 v64, v79
	v_pk_add_f32 v[62:63], v[62:63], v[92:93]
	v_mov_b32_e32 v67, v65
	s_waitcnt lgkmcnt(3)
	v_pk_mul_f32 v[64:65], v[48:49], v[64:65] op_sel_hi:[1,0]
	v_pk_add_f32 v[62:63], v[62:63], v[66:67]
	v_pk_fma_f32 v[66:67], v[48:49], v[78:79], v[64:65] op_sel:[0,0,1] op_sel_hi:[1,1,0] neg_lo:[0,0,1] neg_hi:[0,0,1]
	v_pk_fma_f32 v[48:49], v[48:49], v[78:79], v[64:65] op_sel:[0,0,1] op_sel_hi:[1,0,0]
	v_mov_b32_e32 v67, v49
	v_pk_add_f32 v[48:49], v[62:63], v[66:67]
	v_mov_b32_e32 v62, v77
	v_pk_mul_f32 v[62:63], v[50:51], v[62:63] op_sel_hi:[1,0]
	v_pk_fma_f32 v[64:65], v[50:51], v[76:77], v[62:63] op_sel:[0,0,1] op_sel_hi:[1,1,0] neg_lo:[0,0,1] neg_hi:[0,0,1]
	v_pk_fma_f32 v[50:51], v[50:51], v[76:77], v[62:63] op_sel:[0,0,1] op_sel_hi:[1,0,0]
	v_mov_b32_e32 v50, v75
	v_mov_b32_e32 v65, v51
	s_waitcnt lgkmcnt(2)
	v_pk_mul_f32 v[50:51], v[52:53], v[50:51] op_sel_hi:[1,0]
	v_pk_fma_f32 v[62:63], v[52:53], v[74:75], v[50:51] op_sel:[0,0,1] op_sel_hi:[1,1,0] neg_lo:[0,0,1] neg_hi:[0,0,1]
	v_pk_fma_f32 v[50:51], v[52:53], v[74:75], v[50:51] op_sel:[0,0,1] op_sel_hi:[1,0,0]
	s_waitcnt vmcnt(1)
	v_mov_b32_e32 v50, v89
	v_mov_b32_e32 v63, v51
	v_pk_mul_f32 v[50:51], v[54:55], v[50:51] op_sel_hi:[1,0]
	s_waitcnt vmcnt(0)
	v_pk_fma_f32 v[52:53], v[54:55], v[88:89], v[50:51] op_sel:[0,0,1] op_sel_hi:[1,1,0] neg_lo:[0,0,1] neg_hi:[0,0,1]
	v_pk_fma_f32 v[50:51], v[54:55], v[88:89], v[50:51] op_sel:[0,0,1] op_sel_hi:[1,0,0]
	v_pk_add_f32 v[48:49], v[48:49], v[64:65]
	v_mov_b32_e32 v50, v87
	v_pk_add_f32 v[48:49], v[48:49], v[62:63]
	v_mov_b32_e32 v53, v51
	s_waitcnt lgkmcnt(1)
	v_pk_mul_f32 v[50:51], v[56:57], v[50:51] op_sel_hi:[1,0]
	v_pk_add_f32 v[48:49], v[48:49], v[52:53]
	v_pk_fma_f32 v[52:53], v[56:57], v[86:87], v[50:51] op_sel:[0,0,1] op_sel_hi:[1,1,0] neg_lo:[0,0,1] neg_hi:[0,0,1]
	v_pk_fma_f32 v[50:51], v[56:57], v[86:87], v[50:51] op_sel:[0,0,1] op_sel_hi:[1,0,0]
	v_mov_b32_e32 v50, v85
	v_mov_b32_e32 v53, v51
	v_pk_mul_f32 v[50:51], v[58:59], v[50:51] op_sel_hi:[1,0]
	v_pk_add_f32 v[48:49], v[48:49], v[52:53]
	v_pk_fma_f32 v[52:53], v[58:59], v[84:85], v[50:51] op_sel:[0,0,1] op_sel_hi:[1,1,0] neg_lo:[0,0,1] neg_hi:[0,0,1]
	v_pk_fma_f32 v[50:51], v[58:59], v[84:85], v[50:51] op_sel:[0,0,1] op_sel_hi:[1,0,0]
	v_mov_b32_e32 v50, v83
	v_mov_b32_e32 v53, v51
	s_waitcnt lgkmcnt(0)
	v_pk_mul_f32 v[50:51], v[60:61], v[50:51] op_sel_hi:[1,0]
	v_pk_add_f32 v[48:49], v[48:49], v[52:53]
	v_pk_fma_f32 v[52:53], v[60:61], v[82:83], v[50:51] op_sel:[0,0,1] op_sel_hi:[1,1,0] neg_lo:[0,0,1] neg_hi:[0,0,1]
	v_pk_fma_f32 v[50:51], v[60:61], v[82:83], v[50:51] op_sel:[0,0,1] op_sel_hi:[1,0,0]
	v_mov_b32_e32 v53, v51
	v_pk_add_f32 v[48:49], v[48:49], v[52:53]
	v_pk_add_f32 v[48:49], v[72:73], v[48:49] neg_lo:[0,1] neg_hi:[0,1]
	buffer_store_dword v49, off, s[0:3], 0 offset:20
	buffer_store_dword v48, off, s[0:3], 0 offset:16
	s_and_saveexec_b64 s[4:5], vcc
	s_cbranch_execz .LBB85_143
; %bb.142:
	buffer_load_dword v48, off, s[0:3], 0 offset:8
	buffer_load_dword v49, off, s[0:3], 0 offset:12
	s_waitcnt vmcnt(0)
	ds_write_b64 v1, v[48:49]
	buffer_store_dword v2, off, s[0:3], 0 offset:8
	buffer_store_dword v2, off, s[0:3], 0 offset:12
.LBB85_143:
	s_or_b64 exec, exec, s[4:5]
	s_waitcnt lgkmcnt(0)
	; wave barrier
	s_waitcnt lgkmcnt(0)
	buffer_load_dword v3, off, s[0:3], 0 offset:20
	buffer_load_dword v90, off, s[0:3], 0 offset:28
	;; [unrolled: 1-line block ×26, first 2 shown]
	ds_read_b128 v[48:51], v2 offset:192
	ds_read_b128 v[52:55], v2 offset:208
	ds_read_b128 v[56:59], v2 offset:224
	ds_read_b128 v[60:63], v2 offset:240
	ds_read_b128 v[64:67], v2 offset:256
	ds_read_b128 v[68:71], v2 offset:272
	buffer_load_dword v75, off, s[0:3], 0 offset:132
	buffer_load_dword v74, off, s[0:3], 0 offset:128
	;; [unrolled: 1-line block ×16, first 2 shown]
	v_cmp_ne_u32_e32 vcc, 0, v0
	s_waitcnt vmcnt(41) lgkmcnt(5)
	v_mul_f32_e32 v115, v48, v3
	s_waitcnt vmcnt(40)
	v_mul_f32_e32 v116, v50, v90
	v_mul_f32_e32 v3, v49, v3
	;; [unrolled: 1-line block ×3, first 2 shown]
	s_waitcnt vmcnt(39) lgkmcnt(4)
	v_mul_f32_e32 v117, v52, v92
	s_waitcnt vmcnt(38)
	v_mul_f32_e32 v118, v54, v94
	s_waitcnt vmcnt(37) lgkmcnt(3)
	v_mul_f32_e32 v119, v56, v96
	s_waitcnt vmcnt(36)
	v_mul_f32_e32 v120, v58, v97
	s_waitcnt vmcnt(35) lgkmcnt(2)
	v_mul_f32_e32 v121, v60, v98
	s_waitcnt vmcnt(34)
	v_mul_f32_e32 v122, v62, v99
	s_waitcnt vmcnt(33) lgkmcnt(1)
	v_mul_f32_e32 v123, v64, v100
	s_waitcnt vmcnt(32)
	v_mul_f32_e32 v124, v66, v101
	s_waitcnt vmcnt(29)
	v_fmac_f32_e32 v115, v49, v95
	s_waitcnt vmcnt(28)
	v_fmac_f32_e32 v116, v51, v104
	v_fma_f32 v3, v48, v95, -v3
	v_fma_f32 v48, v50, v104, -v90
	v_add_f32_e32 v50, 0, v115
	s_waitcnt vmcnt(27)
	v_fmac_f32_e32 v117, v53, v105
	v_add_f32_e32 v3, 0, v3
	v_add_f32_e32 v50, v50, v116
	s_waitcnt vmcnt(26)
	v_fmac_f32_e32 v118, v55, v106
	v_add_f32_e32 v3, v3, v48
	;; [unrolled: 4-line block ×3, first 2 shown]
	s_waitcnt vmcnt(24)
	v_fmac_f32_e32 v120, v59, v108
	v_add_f32_e32 v48, v48, v119
	s_waitcnt vmcnt(23)
	v_fmac_f32_e32 v121, v61, v109
	v_add_f32_e32 v48, v48, v120
	;; [unrolled: 3-line block ×4, first 2 shown]
	v_mul_f32_e32 v92, v53, v92
	s_waitcnt vmcnt(20)
	v_fmac_f32_e32 v124, v67, v112
	v_add_f32_e32 v48, v48, v123
	v_fma_f32 v49, v52, v105, -v92
	v_add_f32_e32 v95, v48, v124
	v_mul_f32_e32 v48, v55, v94
	v_add_f32_e32 v3, v3, v49
	v_fma_f32 v48, v54, v106, -v48
	v_add_f32_e32 v3, v3, v48
	v_mul_f32_e32 v48, v57, v96
	v_fma_f32 v48, v56, v107, -v48
	v_add_f32_e32 v3, v3, v48
	v_mul_f32_e32 v48, v59, v97
	;; [unrolled: 3-line block ×6, first 2 shown]
	v_fma_f32 v48, v66, v112, -v48
	v_add_f32_e32 v94, v3, v48
	ds_read_b128 v[48:51], v2 offset:288
	ds_read_b128 v[52:55], v2 offset:304
	;; [unrolled: 1-line block ×4, first 2 shown]
	s_waitcnt vmcnt(11)
	v_mov_b32_e32 v64, v79
	s_waitcnt lgkmcnt(3)
	v_pk_mul_f32 v[64:65], v[48:49], v[64:65] op_sel_hi:[1,0]
	s_waitcnt vmcnt(10)
	v_pk_fma_f32 v[66:67], v[48:49], v[78:79], v[64:65] op_sel:[0,0,1] op_sel_hi:[1,1,0] neg_lo:[0,0,1] neg_hi:[0,0,1]
	v_pk_fma_f32 v[48:49], v[48:49], v[78:79], v[64:65] op_sel:[0,0,1] op_sel_hi:[1,0,0]
	v_mov_b32_e32 v48, v77
	v_mov_b32_e32 v67, v49
	v_pk_mul_f32 v[48:49], v[50:51], v[48:49] op_sel_hi:[1,0]
	v_mul_f32_e32 v91, v68, v102
	v_mul_f32_e32 v3, v69, v102
	v_pk_fma_f32 v[64:65], v[50:51], v[76:77], v[48:49] op_sel:[0,0,1] op_sel_hi:[1,1,0] neg_lo:[0,0,1] neg_hi:[0,0,1]
	v_pk_fma_f32 v[48:49], v[50:51], v[76:77], v[48:49] op_sel:[0,0,1] op_sel_hi:[1,0,0]
	v_mul_f32_e32 v93, v70, v103
	v_fmac_f32_e32 v91, v69, v113
	v_fma_f32 v90, v68, v113, -v3
	v_mul_f32_e32 v3, v71, v103
	v_mov_b32_e32 v48, v75
	v_fmac_f32_e32 v93, v71, v114
	v_fma_f32 v92, v70, v114, -v3
	v_pk_add_f32 v[2:3], v[94:95], v[90:91]
	v_mov_b32_e32 v65, v49
	s_waitcnt lgkmcnt(2)
	v_pk_mul_f32 v[48:49], v[52:53], v[48:49] op_sel_hi:[1,0]
	v_pk_add_f32 v[2:3], v[2:3], v[92:93]
	v_pk_fma_f32 v[50:51], v[52:53], v[74:75], v[48:49] op_sel:[0,0,1] op_sel_hi:[1,1,0] neg_lo:[0,0,1] neg_hi:[0,0,1]
	v_pk_fma_f32 v[48:49], v[52:53], v[74:75], v[48:49] op_sel:[0,0,1] op_sel_hi:[1,0,0]
	v_pk_add_f32 v[2:3], v[2:3], v[66:67]
	s_waitcnt vmcnt(3)
	v_mov_b32_e32 v48, v87
	v_pk_add_f32 v[2:3], v[2:3], v[64:65]
	v_mov_b32_e32 v51, v49
	v_pk_mul_f32 v[48:49], v[54:55], v[48:49] op_sel_hi:[1,0]
	v_pk_add_f32 v[2:3], v[2:3], v[50:51]
	s_waitcnt vmcnt(2)
	v_pk_fma_f32 v[50:51], v[54:55], v[86:87], v[48:49] op_sel:[0,0,1] op_sel_hi:[1,1,0] neg_lo:[0,0,1] neg_hi:[0,0,1]
	v_pk_fma_f32 v[48:49], v[54:55], v[86:87], v[48:49] op_sel:[0,0,1] op_sel_hi:[1,0,0]
	v_mov_b32_e32 v48, v85
	v_mov_b32_e32 v51, v49
	s_waitcnt lgkmcnt(1)
	v_pk_mul_f32 v[48:49], v[56:57], v[48:49] op_sel_hi:[1,0]
	v_pk_add_f32 v[2:3], v[2:3], v[50:51]
	v_pk_fma_f32 v[50:51], v[56:57], v[84:85], v[48:49] op_sel:[0,0,1] op_sel_hi:[1,1,0] neg_lo:[0,0,1] neg_hi:[0,0,1]
	v_pk_fma_f32 v[48:49], v[56:57], v[84:85], v[48:49] op_sel:[0,0,1] op_sel_hi:[1,0,0]
	v_mov_b32_e32 v48, v83
	v_mov_b32_e32 v51, v49
	v_pk_mul_f32 v[48:49], v[58:59], v[48:49] op_sel_hi:[1,0]
	v_pk_add_f32 v[2:3], v[2:3], v[50:51]
	v_pk_fma_f32 v[50:51], v[58:59], v[82:83], v[48:49] op_sel:[0,0,1] op_sel_hi:[1,1,0] neg_lo:[0,0,1] neg_hi:[0,0,1]
	v_pk_fma_f32 v[48:49], v[58:59], v[82:83], v[48:49] op_sel:[0,0,1] op_sel_hi:[1,0,0]
	v_mov_b32_e32 v48, v81
	v_mov_b32_e32 v51, v49
	s_waitcnt lgkmcnt(0)
	v_pk_mul_f32 v[48:49], v[60:61], v[48:49] op_sel_hi:[1,0]
	v_pk_add_f32 v[2:3], v[2:3], v[50:51]
	v_pk_fma_f32 v[50:51], v[60:61], v[80:81], v[48:49] op_sel:[0,0,1] op_sel_hi:[1,1,0] neg_lo:[0,0,1] neg_hi:[0,0,1]
	v_pk_fma_f32 v[48:49], v[60:61], v[80:81], v[48:49] op_sel:[0,0,1] op_sel_hi:[1,0,0]
	s_waitcnt vmcnt(1)
	v_mov_b32_e32 v48, v89
	v_mov_b32_e32 v51, v49
	v_pk_mul_f32 v[48:49], v[62:63], v[48:49] op_sel_hi:[1,0]
	v_pk_add_f32 v[2:3], v[2:3], v[50:51]
	s_waitcnt vmcnt(0)
	v_pk_fma_f32 v[50:51], v[62:63], v[88:89], v[48:49] op_sel:[0,0,1] op_sel_hi:[1,1,0] neg_lo:[0,0,1] neg_hi:[0,0,1]
	v_pk_fma_f32 v[48:49], v[62:63], v[88:89], v[48:49] op_sel:[0,0,1] op_sel_hi:[1,0,0]
	v_mov_b32_e32 v51, v49
	v_pk_add_f32 v[2:3], v[2:3], v[50:51]
	v_pk_add_f32 v[2:3], v[72:73], v[2:3] neg_lo:[0,1] neg_hi:[0,1]
	buffer_store_dword v3, off, s[0:3], 0 offset:12
	buffer_store_dword v2, off, s[0:3], 0 offset:8
	s_and_saveexec_b64 s[4:5], vcc
	s_cbranch_execz .LBB85_145
; %bb.144:
	buffer_load_dword v2, off, s[0:3], 0
	buffer_load_dword v3, off, s[0:3], 0 offset:4
	v_mov_b32_e32 v0, 0
	buffer_store_dword v0, off, s[0:3], 0
	buffer_store_dword v0, off, s[0:3], 0 offset:4
	s_waitcnt vmcnt(2)
	ds_write_b64 v1, v[2:3]
.LBB85_145:
	s_or_b64 exec, exec, s[4:5]
	v_mov_b32_e32 v96, 0
	s_waitcnt lgkmcnt(0)
	; wave barrier
	s_waitcnt lgkmcnt(0)
	ds_read2_b64 v[54:57], v96 offset0:23 offset1:24
	buffer_load_dword v48, off, s[0:3], 0
	buffer_load_dword v49, off, s[0:3], 0 offset:4
	buffer_load_dword v50, off, s[0:3], 0 offset:8
	;; [unrolled: 1-line block ×15, first 2 shown]
	ds_read2_b64 v[58:61], v96 offset0:25 offset1:26
	ds_read2_b64 v[62:65], v96 offset0:27 offset1:28
	;; [unrolled: 1-line block ×3, first 2 shown]
	buffer_load_dword v108, off, s[0:3], 0 offset:64
	buffer_load_dword v109, off, s[0:3], 0 offset:68
	ds_read2_b64 v[70:73], v96 offset0:31 offset1:32
	buffer_load_dword v110, off, s[0:3], 0 offset:72
	buffer_load_dword v111, off, s[0:3], 0 offset:76
	;; [unrolled: 1-line block ×4, first 2 shown]
	ds_read2_b64 v[74:77], v96 offset0:33 offset1:34
	buffer_load_dword v114, off, s[0:3], 0 offset:88
	buffer_load_dword v115, off, s[0:3], 0 offset:92
	;; [unrolled: 1-line block ×4, first 2 shown]
	s_and_b64 vcc, exec, s[16:17]
	s_waitcnt vmcnt(22) lgkmcnt(5)
	v_mul_f32_e32 v0, v54, v52
	v_fmac_f32_e32 v0, v55, v50
	s_waitcnt vmcnt(20)
	v_mul_f32_e32 v1, v56, v97
	v_add_f32_e32 v0, 0, v0
	v_fmac_f32_e32 v1, v57, v78
	v_add_f32_e32 v0, v0, v1
	s_waitcnt vmcnt(18) lgkmcnt(4)
	v_mul_f32_e32 v1, v58, v99
	v_fmac_f32_e32 v1, v59, v98
	v_add_f32_e32 v0, v0, v1
	s_waitcnt vmcnt(16)
	v_mul_f32_e32 v1, v60, v101
	v_fmac_f32_e32 v1, v61, v100
	v_add_f32_e32 v0, v0, v1
	s_waitcnt vmcnt(14) lgkmcnt(3)
	v_mul_f32_e32 v1, v62, v103
	v_fmac_f32_e32 v1, v63, v102
	v_add_f32_e32 v0, v0, v1
	s_waitcnt vmcnt(12)
	v_mul_f32_e32 v1, v64, v105
	;; [unrolled: 8-line block ×4, first 2 shown]
	v_fmac_f32_e32 v1, v73, v112
	v_add_f32_e32 v0, v0, v1
	s_waitcnt vmcnt(2) lgkmcnt(0)
	v_mul_f32_e32 v1, v74, v115
	v_fmac_f32_e32 v1, v75, v114
	v_add_f32_e32 v51, v0, v1
	ds_read2_b64 v[0:3], v96 offset0:35 offset1:36
	buffer_load_dword v118, off, s[0:3], 0 offset:104
	buffer_load_dword v119, off, s[0:3], 0 offset:108
	;; [unrolled: 1-line block ×18, first 2 shown]
	v_mul_f32_e32 v52, v55, v52
	v_fma_f32 v50, v54, v50, -v52
	v_mul_f32_e32 v52, v57, v97
	v_add_f32_e32 v50, 0, v50
	v_fma_f32 v52, v56, v78, -v52
	v_add_f32_e32 v50, v50, v52
	v_mul_f32_e32 v52, v59, v99
	v_fma_f32 v52, v58, v98, -v52
	v_add_f32_e32 v50, v50, v52
	v_mul_f32_e32 v52, v61, v101
	;; [unrolled: 3-line block ×9, first 2 shown]
	v_fma_f32 v52, v74, v114, -v52
	s_waitcnt vmcnt(18)
	v_mul_f32_e32 v53, v76, v117
	v_add_f32_e32 v50, v50, v52
	v_mul_f32_e32 v52, v77, v117
	v_fmac_f32_e32 v53, v77, v116
	v_fma_f32 v52, v76, v116, -v52
	v_pk_add_f32 v[50:51], v[50:51], v[52:53]
	s_waitcnt vmcnt(15)
	v_mov_b32_e32 v52, v81
	s_waitcnt lgkmcnt(0)
	v_pk_mul_f32 v[52:53], v[2:3], v[52:53] op_sel_hi:[1,0]
	s_waitcnt vmcnt(14)
	v_pk_fma_f32 v[66:67], v[2:3], v[80:81], v[52:53] op_sel:[0,0,1] op_sel_hi:[1,1,0] neg_lo:[0,0,1] neg_hi:[0,0,1]
	v_pk_fma_f32 v[2:3], v[2:3], v[80:81], v[52:53] op_sel:[0,0,1] op_sel_hi:[1,0,0]
	v_mov_b32_e32 v67, v3
	v_mul_f32_e32 v79, v0, v119
	v_fmac_f32_e32 v79, v1, v118
	v_mul_f32_e32 v1, v1, v119
	v_fma_f32 v78, v0, v118, -v1
	ds_read2_b64 v[54:57], v96 offset0:37 offset1:38
	ds_read2_b64 v[58:61], v96 offset0:39 offset1:40
	;; [unrolled: 1-line block ×3, first 2 shown]
	ds_read_b64 v[0:1], v96 offset:344
	v_pk_add_f32 v[50:51], v[50:51], v[78:79]
	v_pk_add_f32 v[2:3], v[50:51], v[66:67]
	s_waitcnt vmcnt(13)
	v_mov_b32_e32 v50, v83
	s_waitcnt lgkmcnt(3)
	v_pk_mul_f32 v[50:51], v[54:55], v[50:51] op_sel_hi:[1,0]
	s_waitcnt vmcnt(12)
	v_pk_fma_f32 v[52:53], v[54:55], v[82:83], v[50:51] op_sel:[0,0,1] op_sel_hi:[1,1,0] neg_lo:[0,0,1] neg_hi:[0,0,1]
	v_pk_fma_f32 v[50:51], v[54:55], v[82:83], v[50:51] op_sel:[0,0,1] op_sel_hi:[1,0,0]
	s_waitcnt vmcnt(11)
	v_mov_b32_e32 v50, v85
	v_mov_b32_e32 v53, v51
	v_pk_mul_f32 v[50:51], v[56:57], v[50:51] op_sel_hi:[1,0]
	v_pk_add_f32 v[2:3], v[2:3], v[52:53]
	s_waitcnt vmcnt(10)
	v_pk_fma_f32 v[52:53], v[56:57], v[84:85], v[50:51] op_sel:[0,0,1] op_sel_hi:[1,1,0] neg_lo:[0,0,1] neg_hi:[0,0,1]
	v_pk_fma_f32 v[50:51], v[56:57], v[84:85], v[50:51] op_sel:[0,0,1] op_sel_hi:[1,0,0]
	s_waitcnt vmcnt(9)
	v_mov_b32_e32 v50, v87
	v_mov_b32_e32 v53, v51
	s_waitcnt lgkmcnt(2)
	v_pk_mul_f32 v[50:51], v[58:59], v[50:51] op_sel_hi:[1,0]
	v_pk_add_f32 v[2:3], v[2:3], v[52:53]
	s_waitcnt vmcnt(8)
	v_pk_fma_f32 v[52:53], v[58:59], v[86:87], v[50:51] op_sel:[0,0,1] op_sel_hi:[1,1,0] neg_lo:[0,0,1] neg_hi:[0,0,1]
	v_pk_fma_f32 v[50:51], v[58:59], v[86:87], v[50:51] op_sel:[0,0,1] op_sel_hi:[1,0,0]
	s_waitcnt vmcnt(7)
	v_mov_b32_e32 v50, v89
	v_mov_b32_e32 v53, v51
	v_pk_mul_f32 v[50:51], v[60:61], v[50:51] op_sel_hi:[1,0]
	v_pk_add_f32 v[2:3], v[2:3], v[52:53]
	s_waitcnt vmcnt(6)
	v_pk_fma_f32 v[52:53], v[60:61], v[88:89], v[50:51] op_sel:[0,0,1] op_sel_hi:[1,1,0] neg_lo:[0,0,1] neg_hi:[0,0,1]
	v_pk_fma_f32 v[50:51], v[60:61], v[88:89], v[50:51] op_sel:[0,0,1] op_sel_hi:[1,0,0]
	s_waitcnt vmcnt(5)
	v_mov_b32_e32 v50, v91
	v_mov_b32_e32 v53, v51
	s_waitcnt lgkmcnt(1)
	v_pk_mul_f32 v[50:51], v[62:63], v[50:51] op_sel_hi:[1,0]
	v_pk_add_f32 v[2:3], v[2:3], v[52:53]
	;; [unrolled: 17-line block ×3, first 2 shown]
	s_waitcnt vmcnt(0)
	v_pk_fma_f32 v[52:53], v[0:1], v[94:95], v[50:51] op_sel:[0,0,1] op_sel_hi:[1,1,0] neg_lo:[0,0,1] neg_hi:[0,0,1]
	v_pk_fma_f32 v[0:1], v[0:1], v[94:95], v[50:51] op_sel:[0,0,1] op_sel_hi:[1,0,0]
	v_mov_b32_e32 v53, v1
	v_pk_add_f32 v[0:1], v[2:3], v[52:53]
	v_pk_add_f32 v[0:1], v[48:49], v[0:1] neg_lo:[0,1] neg_hi:[0,1]
	buffer_store_dword v1, off, s[0:3], 0 offset:4
	buffer_store_dword v0, off, s[0:3], 0
	s_cbranch_vccz .LBB85_189
; %bb.146:
	v_pk_mov_b32 v[0:1], s[10:11], s[10:11] op_sel:[0,1]
	flat_load_dword v0, v[0:1] offset:80
	s_waitcnt vmcnt(0) lgkmcnt(0)
	v_add_u32_e32 v0, -1, v0
	v_cmp_ne_u32_e32 vcc, 20, v0
	s_and_saveexec_b64 s[4:5], vcc
	s_cbranch_execz .LBB85_148
; %bb.147:
	v_mov_b32_e32 v1, 0
	v_lshl_add_u32 v0, v0, 3, v1
	buffer_load_dword v1, v0, s[0:3], 0 offen
	buffer_load_dword v2, v0, s[0:3], 0 offen offset:4
	buffer_load_dword v3, off, s[0:3], 0 offset:164
	buffer_load_dword v48, off, s[0:3], 0 offset:160
	s_waitcnt vmcnt(3)
	buffer_store_dword v1, off, s[0:3], 0 offset:160
	s_waitcnt vmcnt(3)
	buffer_store_dword v2, off, s[0:3], 0 offset:164
	s_waitcnt vmcnt(3)
	buffer_store_dword v3, v0, s[0:3], 0 offen offset:4
	s_waitcnt vmcnt(3)
	buffer_store_dword v48, v0, s[0:3], 0 offen
.LBB85_148:
	s_or_b64 exec, exec, s[4:5]
	v_pk_mov_b32 v[0:1], s[10:11], s[10:11] op_sel:[0,1]
	flat_load_dword v0, v[0:1] offset:76
	s_waitcnt vmcnt(0) lgkmcnt(0)
	v_add_u32_e32 v0, -1, v0
	v_cmp_ne_u32_e32 vcc, 19, v0
	s_and_saveexec_b64 s[4:5], vcc
	s_cbranch_execz .LBB85_150
; %bb.149:
	v_mov_b32_e32 v1, 0
	v_lshl_add_u32 v0, v0, 3, v1
	buffer_load_dword v1, v0, s[0:3], 0 offen
	buffer_load_dword v2, v0, s[0:3], 0 offen offset:4
	buffer_load_dword v3, off, s[0:3], 0 offset:152
	buffer_load_dword v48, off, s[0:3], 0 offset:156
	s_waitcnt vmcnt(3)
	buffer_store_dword v1, off, s[0:3], 0 offset:152
	s_waitcnt vmcnt(3)
	buffer_store_dword v2, off, s[0:3], 0 offset:156
	s_waitcnt vmcnt(3)
	buffer_store_dword v3, v0, s[0:3], 0 offen
	s_waitcnt vmcnt(3)
	buffer_store_dword v48, v0, s[0:3], 0 offen offset:4
.LBB85_150:
	s_or_b64 exec, exec, s[4:5]
	v_pk_mov_b32 v[0:1], s[10:11], s[10:11] op_sel:[0,1]
	flat_load_dword v0, v[0:1] offset:72
	s_waitcnt vmcnt(0) lgkmcnt(0)
	v_add_u32_e32 v0, -1, v0
	v_cmp_ne_u32_e32 vcc, 18, v0
	s_and_saveexec_b64 s[4:5], vcc
	s_cbranch_execz .LBB85_152
; %bb.151:
	v_mov_b32_e32 v1, 0
	v_lshl_add_u32 v0, v0, 3, v1
	buffer_load_dword v1, v0, s[0:3], 0 offen
	buffer_load_dword v2, v0, s[0:3], 0 offen offset:4
	buffer_load_dword v3, off, s[0:3], 0 offset:148
	buffer_load_dword v48, off, s[0:3], 0 offset:144
	s_waitcnt vmcnt(3)
	buffer_store_dword v1, off, s[0:3], 0 offset:144
	s_waitcnt vmcnt(3)
	buffer_store_dword v2, off, s[0:3], 0 offset:148
	s_waitcnt vmcnt(3)
	buffer_store_dword v3, v0, s[0:3], 0 offen offset:4
	s_waitcnt vmcnt(3)
	buffer_store_dword v48, v0, s[0:3], 0 offen
.LBB85_152:
	s_or_b64 exec, exec, s[4:5]
	v_pk_mov_b32 v[0:1], s[10:11], s[10:11] op_sel:[0,1]
	flat_load_dword v0, v[0:1] offset:68
	s_waitcnt vmcnt(0) lgkmcnt(0)
	v_add_u32_e32 v0, -1, v0
	v_cmp_ne_u32_e32 vcc, 17, v0
	s_and_saveexec_b64 s[4:5], vcc
	s_cbranch_execz .LBB85_154
; %bb.153:
	v_mov_b32_e32 v1, 0
	v_lshl_add_u32 v0, v0, 3, v1
	buffer_load_dword v1, v0, s[0:3], 0 offen
	buffer_load_dword v2, v0, s[0:3], 0 offen offset:4
	buffer_load_dword v3, off, s[0:3], 0 offset:136
	buffer_load_dword v48, off, s[0:3], 0 offset:140
	s_waitcnt vmcnt(3)
	buffer_store_dword v1, off, s[0:3], 0 offset:136
	s_waitcnt vmcnt(3)
	buffer_store_dword v2, off, s[0:3], 0 offset:140
	s_waitcnt vmcnt(3)
	buffer_store_dword v3, v0, s[0:3], 0 offen
	s_waitcnt vmcnt(3)
	buffer_store_dword v48, v0, s[0:3], 0 offen offset:4
.LBB85_154:
	s_or_b64 exec, exec, s[4:5]
	v_pk_mov_b32 v[0:1], s[10:11], s[10:11] op_sel:[0,1]
	flat_load_dword v0, v[0:1] offset:64
	s_waitcnt vmcnt(0) lgkmcnt(0)
	v_add_u32_e32 v0, -1, v0
	v_cmp_ne_u32_e32 vcc, 16, v0
	s_and_saveexec_b64 s[4:5], vcc
	s_cbranch_execz .LBB85_156
; %bb.155:
	v_mov_b32_e32 v1, 0
	v_lshl_add_u32 v0, v0, 3, v1
	buffer_load_dword v1, v0, s[0:3], 0 offen
	buffer_load_dword v2, v0, s[0:3], 0 offen offset:4
	buffer_load_dword v3, off, s[0:3], 0 offset:132
	buffer_load_dword v48, off, s[0:3], 0 offset:128
	s_waitcnt vmcnt(3)
	buffer_store_dword v1, off, s[0:3], 0 offset:128
	s_waitcnt vmcnt(3)
	buffer_store_dword v2, off, s[0:3], 0 offset:132
	s_waitcnt vmcnt(3)
	buffer_store_dword v3, v0, s[0:3], 0 offen offset:4
	s_waitcnt vmcnt(3)
	buffer_store_dword v48, v0, s[0:3], 0 offen
.LBB85_156:
	s_or_b64 exec, exec, s[4:5]
	v_pk_mov_b32 v[0:1], s[10:11], s[10:11] op_sel:[0,1]
	flat_load_dword v0, v[0:1] offset:60
	s_waitcnt vmcnt(0) lgkmcnt(0)
	v_add_u32_e32 v0, -1, v0
	v_cmp_ne_u32_e32 vcc, 15, v0
	s_and_saveexec_b64 s[4:5], vcc
	s_cbranch_execz .LBB85_158
; %bb.157:
	v_mov_b32_e32 v1, 0
	v_lshl_add_u32 v0, v0, 3, v1
	buffer_load_dword v1, v0, s[0:3], 0 offen
	buffer_load_dword v2, v0, s[0:3], 0 offen offset:4
	buffer_load_dword v3, off, s[0:3], 0 offset:120
	buffer_load_dword v48, off, s[0:3], 0 offset:124
	s_waitcnt vmcnt(3)
	buffer_store_dword v1, off, s[0:3], 0 offset:120
	s_waitcnt vmcnt(3)
	buffer_store_dword v2, off, s[0:3], 0 offset:124
	s_waitcnt vmcnt(3)
	buffer_store_dword v3, v0, s[0:3], 0 offen
	s_waitcnt vmcnt(3)
	buffer_store_dword v48, v0, s[0:3], 0 offen offset:4
.LBB85_158:
	s_or_b64 exec, exec, s[4:5]
	v_pk_mov_b32 v[0:1], s[10:11], s[10:11] op_sel:[0,1]
	flat_load_dword v0, v[0:1] offset:56
	s_waitcnt vmcnt(0) lgkmcnt(0)
	v_add_u32_e32 v0, -1, v0
	v_cmp_ne_u32_e32 vcc, 14, v0
	s_and_saveexec_b64 s[4:5], vcc
	s_cbranch_execz .LBB85_160
; %bb.159:
	v_mov_b32_e32 v1, 0
	v_lshl_add_u32 v0, v0, 3, v1
	buffer_load_dword v1, v0, s[0:3], 0 offen
	buffer_load_dword v2, v0, s[0:3], 0 offen offset:4
	buffer_load_dword v3, off, s[0:3], 0 offset:116
	buffer_load_dword v48, off, s[0:3], 0 offset:112
	s_waitcnt vmcnt(3)
	buffer_store_dword v1, off, s[0:3], 0 offset:112
	s_waitcnt vmcnt(3)
	buffer_store_dword v2, off, s[0:3], 0 offset:116
	s_waitcnt vmcnt(3)
	buffer_store_dword v3, v0, s[0:3], 0 offen offset:4
	s_waitcnt vmcnt(3)
	buffer_store_dword v48, v0, s[0:3], 0 offen
.LBB85_160:
	s_or_b64 exec, exec, s[4:5]
	v_pk_mov_b32 v[0:1], s[10:11], s[10:11] op_sel:[0,1]
	flat_load_dword v0, v[0:1] offset:52
	s_waitcnt vmcnt(0) lgkmcnt(0)
	v_add_u32_e32 v0, -1, v0
	v_cmp_ne_u32_e32 vcc, 13, v0
	s_and_saveexec_b64 s[4:5], vcc
	s_cbranch_execz .LBB85_162
; %bb.161:
	v_mov_b32_e32 v1, 0
	v_lshl_add_u32 v0, v0, 3, v1
	buffer_load_dword v1, v0, s[0:3], 0 offen
	buffer_load_dword v2, v0, s[0:3], 0 offen offset:4
	buffer_load_dword v3, off, s[0:3], 0 offset:104
	buffer_load_dword v48, off, s[0:3], 0 offset:108
	s_waitcnt vmcnt(3)
	buffer_store_dword v1, off, s[0:3], 0 offset:104
	s_waitcnt vmcnt(3)
	buffer_store_dword v2, off, s[0:3], 0 offset:108
	s_waitcnt vmcnt(3)
	buffer_store_dword v3, v0, s[0:3], 0 offen
	s_waitcnt vmcnt(3)
	buffer_store_dword v48, v0, s[0:3], 0 offen offset:4
.LBB85_162:
	s_or_b64 exec, exec, s[4:5]
	v_pk_mov_b32 v[0:1], s[10:11], s[10:11] op_sel:[0,1]
	flat_load_dword v0, v[0:1] offset:48
	s_waitcnt vmcnt(0) lgkmcnt(0)
	v_add_u32_e32 v0, -1, v0
	v_cmp_ne_u32_e32 vcc, 12, v0
	s_and_saveexec_b64 s[4:5], vcc
	s_cbranch_execz .LBB85_164
; %bb.163:
	v_mov_b32_e32 v1, 0
	v_lshl_add_u32 v0, v0, 3, v1
	buffer_load_dword v1, v0, s[0:3], 0 offen
	buffer_load_dword v2, v0, s[0:3], 0 offen offset:4
	buffer_load_dword v3, off, s[0:3], 0 offset:100
	buffer_load_dword v48, off, s[0:3], 0 offset:96
	s_waitcnt vmcnt(3)
	buffer_store_dword v1, off, s[0:3], 0 offset:96
	s_waitcnt vmcnt(3)
	buffer_store_dword v2, off, s[0:3], 0 offset:100
	s_waitcnt vmcnt(3)
	buffer_store_dword v3, v0, s[0:3], 0 offen offset:4
	s_waitcnt vmcnt(3)
	buffer_store_dword v48, v0, s[0:3], 0 offen
.LBB85_164:
	s_or_b64 exec, exec, s[4:5]
	v_pk_mov_b32 v[0:1], s[10:11], s[10:11] op_sel:[0,1]
	flat_load_dword v0, v[0:1] offset:44
	s_waitcnt vmcnt(0) lgkmcnt(0)
	v_add_u32_e32 v0, -1, v0
	v_cmp_ne_u32_e32 vcc, 11, v0
	s_and_saveexec_b64 s[4:5], vcc
	s_cbranch_execz .LBB85_166
; %bb.165:
	v_mov_b32_e32 v1, 0
	v_lshl_add_u32 v0, v0, 3, v1
	buffer_load_dword v1, v0, s[0:3], 0 offen
	buffer_load_dword v2, v0, s[0:3], 0 offen offset:4
	buffer_load_dword v3, off, s[0:3], 0 offset:88
	buffer_load_dword v48, off, s[0:3], 0 offset:92
	s_waitcnt vmcnt(3)
	buffer_store_dword v1, off, s[0:3], 0 offset:88
	s_waitcnt vmcnt(3)
	buffer_store_dword v2, off, s[0:3], 0 offset:92
	s_waitcnt vmcnt(3)
	buffer_store_dword v3, v0, s[0:3], 0 offen
	s_waitcnt vmcnt(3)
	buffer_store_dword v48, v0, s[0:3], 0 offen offset:4
.LBB85_166:
	s_or_b64 exec, exec, s[4:5]
	v_pk_mov_b32 v[0:1], s[10:11], s[10:11] op_sel:[0,1]
	flat_load_dword v0, v[0:1] offset:40
	s_waitcnt vmcnt(0) lgkmcnt(0)
	v_add_u32_e32 v0, -1, v0
	v_cmp_ne_u32_e32 vcc, 10, v0
	s_and_saveexec_b64 s[4:5], vcc
	s_cbranch_execz .LBB85_168
; %bb.167:
	v_mov_b32_e32 v1, 0
	v_lshl_add_u32 v0, v0, 3, v1
	buffer_load_dword v1, v0, s[0:3], 0 offen
	buffer_load_dword v2, v0, s[0:3], 0 offen offset:4
	buffer_load_dword v3, off, s[0:3], 0 offset:84
	buffer_load_dword v48, off, s[0:3], 0 offset:80
	s_waitcnt vmcnt(3)
	buffer_store_dword v1, off, s[0:3], 0 offset:80
	s_waitcnt vmcnt(3)
	buffer_store_dword v2, off, s[0:3], 0 offset:84
	s_waitcnt vmcnt(3)
	buffer_store_dword v3, v0, s[0:3], 0 offen offset:4
	s_waitcnt vmcnt(3)
	buffer_store_dword v48, v0, s[0:3], 0 offen
.LBB85_168:
	s_or_b64 exec, exec, s[4:5]
	v_pk_mov_b32 v[0:1], s[10:11], s[10:11] op_sel:[0,1]
	flat_load_dword v0, v[0:1] offset:36
	s_waitcnt vmcnt(0) lgkmcnt(0)
	v_add_u32_e32 v0, -1, v0
	v_cmp_ne_u32_e32 vcc, 9, v0
	s_and_saveexec_b64 s[4:5], vcc
	s_cbranch_execz .LBB85_170
; %bb.169:
	v_mov_b32_e32 v1, 0
	v_lshl_add_u32 v0, v0, 3, v1
	buffer_load_dword v1, v0, s[0:3], 0 offen
	buffer_load_dword v2, v0, s[0:3], 0 offen offset:4
	buffer_load_dword v3, off, s[0:3], 0 offset:72
	buffer_load_dword v48, off, s[0:3], 0 offset:76
	s_waitcnt vmcnt(3)
	buffer_store_dword v1, off, s[0:3], 0 offset:72
	s_waitcnt vmcnt(3)
	buffer_store_dword v2, off, s[0:3], 0 offset:76
	s_waitcnt vmcnt(3)
	buffer_store_dword v3, v0, s[0:3], 0 offen
	s_waitcnt vmcnt(3)
	buffer_store_dword v48, v0, s[0:3], 0 offen offset:4
.LBB85_170:
	s_or_b64 exec, exec, s[4:5]
	v_pk_mov_b32 v[0:1], s[10:11], s[10:11] op_sel:[0,1]
	flat_load_dword v0, v[0:1] offset:32
	s_waitcnt vmcnt(0) lgkmcnt(0)
	v_add_u32_e32 v0, -1, v0
	v_cmp_ne_u32_e32 vcc, 8, v0
	s_and_saveexec_b64 s[4:5], vcc
	s_cbranch_execz .LBB85_172
; %bb.171:
	v_mov_b32_e32 v1, 0
	v_lshl_add_u32 v0, v0, 3, v1
	buffer_load_dword v1, v0, s[0:3], 0 offen
	buffer_load_dword v2, v0, s[0:3], 0 offen offset:4
	buffer_load_dword v3, off, s[0:3], 0 offset:68
	buffer_load_dword v48, off, s[0:3], 0 offset:64
	s_waitcnt vmcnt(3)
	buffer_store_dword v1, off, s[0:3], 0 offset:64
	s_waitcnt vmcnt(3)
	buffer_store_dword v2, off, s[0:3], 0 offset:68
	s_waitcnt vmcnt(3)
	buffer_store_dword v3, v0, s[0:3], 0 offen offset:4
	s_waitcnt vmcnt(3)
	buffer_store_dword v48, v0, s[0:3], 0 offen
.LBB85_172:
	s_or_b64 exec, exec, s[4:5]
	v_pk_mov_b32 v[0:1], s[10:11], s[10:11] op_sel:[0,1]
	flat_load_dword v0, v[0:1] offset:28
	s_waitcnt vmcnt(0) lgkmcnt(0)
	v_add_u32_e32 v0, -1, v0
	v_cmp_ne_u32_e32 vcc, 7, v0
	s_and_saveexec_b64 s[4:5], vcc
	s_cbranch_execz .LBB85_174
; %bb.173:
	v_mov_b32_e32 v1, 0
	v_lshl_add_u32 v0, v0, 3, v1
	buffer_load_dword v1, v0, s[0:3], 0 offen
	buffer_load_dword v2, v0, s[0:3], 0 offen offset:4
	buffer_load_dword v3, off, s[0:3], 0 offset:56
	buffer_load_dword v48, off, s[0:3], 0 offset:60
	s_waitcnt vmcnt(3)
	buffer_store_dword v1, off, s[0:3], 0 offset:56
	s_waitcnt vmcnt(3)
	buffer_store_dword v2, off, s[0:3], 0 offset:60
	s_waitcnt vmcnt(3)
	buffer_store_dword v3, v0, s[0:3], 0 offen
	s_waitcnt vmcnt(3)
	buffer_store_dword v48, v0, s[0:3], 0 offen offset:4
.LBB85_174:
	s_or_b64 exec, exec, s[4:5]
	v_pk_mov_b32 v[0:1], s[10:11], s[10:11] op_sel:[0,1]
	flat_load_dword v0, v[0:1] offset:24
	s_waitcnt vmcnt(0) lgkmcnt(0)
	v_add_u32_e32 v0, -1, v0
	v_cmp_ne_u32_e32 vcc, 6, v0
	s_and_saveexec_b64 s[4:5], vcc
	s_cbranch_execz .LBB85_176
; %bb.175:
	v_mov_b32_e32 v1, 0
	v_lshl_add_u32 v0, v0, 3, v1
	buffer_load_dword v1, v0, s[0:3], 0 offen
	buffer_load_dword v2, v0, s[0:3], 0 offen offset:4
	buffer_load_dword v3, off, s[0:3], 0 offset:52
	buffer_load_dword v48, off, s[0:3], 0 offset:48
	s_waitcnt vmcnt(3)
	buffer_store_dword v1, off, s[0:3], 0 offset:48
	s_waitcnt vmcnt(3)
	buffer_store_dword v2, off, s[0:3], 0 offset:52
	s_waitcnt vmcnt(3)
	buffer_store_dword v3, v0, s[0:3], 0 offen offset:4
	s_waitcnt vmcnt(3)
	buffer_store_dword v48, v0, s[0:3], 0 offen
.LBB85_176:
	s_or_b64 exec, exec, s[4:5]
	v_pk_mov_b32 v[0:1], s[10:11], s[10:11] op_sel:[0,1]
	flat_load_dword v0, v[0:1] offset:20
	s_waitcnt vmcnt(0) lgkmcnt(0)
	v_add_u32_e32 v0, -1, v0
	v_cmp_ne_u32_e32 vcc, 5, v0
	s_and_saveexec_b64 s[4:5], vcc
	s_cbranch_execz .LBB85_178
; %bb.177:
	v_mov_b32_e32 v1, 0
	v_lshl_add_u32 v0, v0, 3, v1
	buffer_load_dword v1, v0, s[0:3], 0 offen
	buffer_load_dword v2, v0, s[0:3], 0 offen offset:4
	buffer_load_dword v3, off, s[0:3], 0 offset:40
	buffer_load_dword v48, off, s[0:3], 0 offset:44
	s_waitcnt vmcnt(3)
	buffer_store_dword v1, off, s[0:3], 0 offset:40
	s_waitcnt vmcnt(3)
	buffer_store_dword v2, off, s[0:3], 0 offset:44
	s_waitcnt vmcnt(3)
	buffer_store_dword v3, v0, s[0:3], 0 offen
	s_waitcnt vmcnt(3)
	buffer_store_dword v48, v0, s[0:3], 0 offen offset:4
.LBB85_178:
	s_or_b64 exec, exec, s[4:5]
	v_pk_mov_b32 v[0:1], s[10:11], s[10:11] op_sel:[0,1]
	flat_load_dword v0, v[0:1] offset:16
	s_waitcnt vmcnt(0) lgkmcnt(0)
	v_add_u32_e32 v0, -1, v0
	v_cmp_ne_u32_e32 vcc, 4, v0
	s_and_saveexec_b64 s[4:5], vcc
	s_cbranch_execz .LBB85_180
; %bb.179:
	v_mov_b32_e32 v1, 0
	v_lshl_add_u32 v0, v0, 3, v1
	buffer_load_dword v1, v0, s[0:3], 0 offen
	buffer_load_dword v2, v0, s[0:3], 0 offen offset:4
	buffer_load_dword v3, off, s[0:3], 0 offset:36
	buffer_load_dword v48, off, s[0:3], 0 offset:32
	s_waitcnt vmcnt(3)
	buffer_store_dword v1, off, s[0:3], 0 offset:32
	s_waitcnt vmcnt(3)
	buffer_store_dword v2, off, s[0:3], 0 offset:36
	s_waitcnt vmcnt(3)
	buffer_store_dword v3, v0, s[0:3], 0 offen offset:4
	s_waitcnt vmcnt(3)
	buffer_store_dword v48, v0, s[0:3], 0 offen
.LBB85_180:
	s_or_b64 exec, exec, s[4:5]
	v_pk_mov_b32 v[0:1], s[10:11], s[10:11] op_sel:[0,1]
	flat_load_dword v0, v[0:1] offset:12
	s_waitcnt vmcnt(0) lgkmcnt(0)
	v_add_u32_e32 v0, -1, v0
	v_cmp_ne_u32_e32 vcc, 3, v0
	s_and_saveexec_b64 s[4:5], vcc
	s_cbranch_execz .LBB85_182
; %bb.181:
	v_mov_b32_e32 v1, 0
	v_lshl_add_u32 v0, v0, 3, v1
	buffer_load_dword v1, v0, s[0:3], 0 offen
	buffer_load_dword v2, v0, s[0:3], 0 offen offset:4
	buffer_load_dword v3, off, s[0:3], 0 offset:24
	buffer_load_dword v48, off, s[0:3], 0 offset:28
	s_waitcnt vmcnt(3)
	buffer_store_dword v1, off, s[0:3], 0 offset:24
	s_waitcnt vmcnt(3)
	buffer_store_dword v2, off, s[0:3], 0 offset:28
	s_waitcnt vmcnt(3)
	buffer_store_dword v3, v0, s[0:3], 0 offen
	s_waitcnt vmcnt(3)
	buffer_store_dword v48, v0, s[0:3], 0 offen offset:4
.LBB85_182:
	s_or_b64 exec, exec, s[4:5]
	v_pk_mov_b32 v[0:1], s[10:11], s[10:11] op_sel:[0,1]
	flat_load_dword v0, v[0:1] offset:8
	s_waitcnt vmcnt(0) lgkmcnt(0)
	v_add_u32_e32 v0, -1, v0
	v_cmp_ne_u32_e32 vcc, 2, v0
	s_and_saveexec_b64 s[4:5], vcc
	s_cbranch_execz .LBB85_184
; %bb.183:
	v_mov_b32_e32 v1, 0
	v_lshl_add_u32 v0, v0, 3, v1
	buffer_load_dword v1, v0, s[0:3], 0 offen
	buffer_load_dword v2, v0, s[0:3], 0 offen offset:4
	buffer_load_dword v3, off, s[0:3], 0 offset:20
	buffer_load_dword v48, off, s[0:3], 0 offset:16
	s_waitcnt vmcnt(3)
	buffer_store_dword v1, off, s[0:3], 0 offset:16
	s_waitcnt vmcnt(3)
	buffer_store_dword v2, off, s[0:3], 0 offset:20
	s_waitcnt vmcnt(3)
	buffer_store_dword v3, v0, s[0:3], 0 offen offset:4
	s_waitcnt vmcnt(3)
	buffer_store_dword v48, v0, s[0:3], 0 offen
.LBB85_184:
	s_or_b64 exec, exec, s[4:5]
	v_pk_mov_b32 v[0:1], s[10:11], s[10:11] op_sel:[0,1]
	flat_load_dword v0, v[0:1] offset:4
	s_waitcnt vmcnt(0) lgkmcnt(0)
	v_add_u32_e32 v0, -1, v0
	v_cmp_ne_u32_e32 vcc, 1, v0
	s_and_saveexec_b64 s[4:5], vcc
	s_cbranch_execz .LBB85_186
; %bb.185:
	v_mov_b32_e32 v1, 0
	v_lshl_add_u32 v0, v0, 3, v1
	buffer_load_dword v1, v0, s[0:3], 0 offen
	buffer_load_dword v2, v0, s[0:3], 0 offen offset:4
	buffer_load_dword v3, off, s[0:3], 0 offset:8
	buffer_load_dword v48, off, s[0:3], 0 offset:12
	s_waitcnt vmcnt(3)
	buffer_store_dword v1, off, s[0:3], 0 offset:8
	s_waitcnt vmcnt(3)
	buffer_store_dword v2, off, s[0:3], 0 offset:12
	s_waitcnt vmcnt(3)
	buffer_store_dword v3, v0, s[0:3], 0 offen
	s_waitcnt vmcnt(3)
	buffer_store_dword v48, v0, s[0:3], 0 offen offset:4
.LBB85_186:
	s_or_b64 exec, exec, s[4:5]
	v_pk_mov_b32 v[0:1], s[10:11], s[10:11] op_sel:[0,1]
	flat_load_dword v2, v[0:1]
	s_nop 0
	buffer_load_dword v0, off, s[0:3], 0
	buffer_load_dword v1, off, s[0:3], 0 offset:4
	s_waitcnt vmcnt(0) lgkmcnt(0)
	v_add_u32_e32 v2, -1, v2
	v_cmp_ne_u32_e32 vcc, 0, v2
	s_and_saveexec_b64 s[4:5], vcc
	s_cbranch_execz .LBB85_188
; %bb.187:
	v_mov_b32_e32 v3, 0
	v_lshl_add_u32 v2, v2, 3, v3
	buffer_load_dword v3, v2, s[0:3], 0 offen offset:4
	buffer_load_dword v48, v2, s[0:3], 0 offen
	s_waitcnt vmcnt(1)
	buffer_store_dword v3, off, s[0:3], 0 offset:4
	s_waitcnt vmcnt(1)
	buffer_store_dword v48, off, s[0:3], 0
	buffer_store_dword v1, v2, s[0:3], 0 offen offset:4
	buffer_store_dword v0, v2, s[0:3], 0 offen
	buffer_load_dword v0, off, s[0:3], 0
	s_nop 0
	buffer_load_dword v1, off, s[0:3], 0 offset:4
.LBB85_188:
	s_or_b64 exec, exec, s[4:5]
.LBB85_189:
	buffer_load_dword v2, off, s[0:3], 0 offset:8
	buffer_load_dword v3, off, s[0:3], 0 offset:12
	buffer_load_dword v48, off, s[0:3], 0 offset:16
	buffer_load_dword v49, off, s[0:3], 0 offset:20
	buffer_load_dword v50, off, s[0:3], 0 offset:24
	buffer_load_dword v51, off, s[0:3], 0 offset:28
	buffer_load_dword v52, off, s[0:3], 0 offset:32
	buffer_load_dword v53, off, s[0:3], 0 offset:36
	buffer_load_dword v54, off, s[0:3], 0 offset:40
	buffer_load_dword v55, off, s[0:3], 0 offset:44
	buffer_load_dword v56, off, s[0:3], 0 offset:48
	buffer_load_dword v57, off, s[0:3], 0 offset:52
	buffer_load_dword v58, off, s[0:3], 0 offset:56
	buffer_load_dword v59, off, s[0:3], 0 offset:60
	buffer_load_dword v60, off, s[0:3], 0 offset:64
	buffer_load_dword v61, off, s[0:3], 0 offset:68
	buffer_load_dword v62, off, s[0:3], 0 offset:72
	buffer_load_dword v63, off, s[0:3], 0 offset:76
	buffer_load_dword v64, off, s[0:3], 0 offset:80
	buffer_load_dword v65, off, s[0:3], 0 offset:84
	buffer_load_dword v66, off, s[0:3], 0 offset:88
	buffer_load_dword v67, off, s[0:3], 0 offset:92
	buffer_load_dword v68, off, s[0:3], 0 offset:96
	buffer_load_dword v69, off, s[0:3], 0 offset:100
	buffer_load_dword v70, off, s[0:3], 0 offset:104
	buffer_load_dword v71, off, s[0:3], 0 offset:108
	buffer_load_dword v72, off, s[0:3], 0 offset:112
	buffer_load_dword v73, off, s[0:3], 0 offset:116
	buffer_load_dword v74, off, s[0:3], 0 offset:120
	buffer_load_dword v75, off, s[0:3], 0 offset:124
	buffer_load_dword v76, off, s[0:3], 0 offset:128
	buffer_load_dword v77, off, s[0:3], 0 offset:132
	buffer_load_dword v78, off, s[0:3], 0 offset:136
	buffer_load_dword v79, off, s[0:3], 0 offset:140
	buffer_load_dword v80, off, s[0:3], 0 offset:144
	buffer_load_dword v81, off, s[0:3], 0 offset:148
	buffer_load_dword v82, off, s[0:3], 0 offset:152
	buffer_load_dword v83, off, s[0:3], 0 offset:156
	buffer_load_dword v84, off, s[0:3], 0 offset:160
	buffer_load_dword v85, off, s[0:3], 0 offset:164
	buffer_load_dword v86, off, s[0:3], 0 offset:168
	buffer_load_dword v87, off, s[0:3], 0 offset:172
	s_waitcnt vmcnt(42)
	global_store_dwordx2 v[4:5], v[0:1], off
	s_waitcnt vmcnt(41)
	global_store_dwordx2 v[6:7], v[2:3], off
	;; [unrolled: 2-line block ×22, first 2 shown]
	s_endpgm
	.section	.rodata,"a",@progbits
	.p2align	6, 0x0
	.amdhsa_kernel _ZN9rocsolver6v33100L18getri_kernel_smallILi22E19rocblas_complex_numIfEPKPS3_EEvT1_iilPiilS8_bb
		.amdhsa_group_segment_fixed_size 356
		.amdhsa_private_segment_fixed_size 192
		.amdhsa_kernarg_size 60
		.amdhsa_user_sgpr_count 8
		.amdhsa_user_sgpr_private_segment_buffer 1
		.amdhsa_user_sgpr_dispatch_ptr 0
		.amdhsa_user_sgpr_queue_ptr 0
		.amdhsa_user_sgpr_kernarg_segment_ptr 1
		.amdhsa_user_sgpr_dispatch_id 0
		.amdhsa_user_sgpr_flat_scratch_init 1
		.amdhsa_user_sgpr_kernarg_preload_length 0
		.amdhsa_user_sgpr_kernarg_preload_offset 0
		.amdhsa_user_sgpr_private_segment_size 0
		.amdhsa_uses_dynamic_stack 0
		.amdhsa_system_sgpr_private_segment_wavefront_offset 1
		.amdhsa_system_sgpr_workgroup_id_x 1
		.amdhsa_system_sgpr_workgroup_id_y 0
		.amdhsa_system_sgpr_workgroup_id_z 0
		.amdhsa_system_sgpr_workgroup_info 0
		.amdhsa_system_vgpr_workitem_id 0
		.amdhsa_next_free_vgpr 125
		.amdhsa_next_free_sgpr 22
		.amdhsa_accum_offset 128
		.amdhsa_reserve_vcc 1
		.amdhsa_reserve_flat_scratch 1
		.amdhsa_float_round_mode_32 0
		.amdhsa_float_round_mode_16_64 0
		.amdhsa_float_denorm_mode_32 3
		.amdhsa_float_denorm_mode_16_64 3
		.amdhsa_dx10_clamp 1
		.amdhsa_ieee_mode 1
		.amdhsa_fp16_overflow 0
		.amdhsa_tg_split 0
		.amdhsa_exception_fp_ieee_invalid_op 0
		.amdhsa_exception_fp_denorm_src 0
		.amdhsa_exception_fp_ieee_div_zero 0
		.amdhsa_exception_fp_ieee_overflow 0
		.amdhsa_exception_fp_ieee_underflow 0
		.amdhsa_exception_fp_ieee_inexact 0
		.amdhsa_exception_int_div_zero 0
	.end_amdhsa_kernel
	.section	.text._ZN9rocsolver6v33100L18getri_kernel_smallILi22E19rocblas_complex_numIfEPKPS3_EEvT1_iilPiilS8_bb,"axG",@progbits,_ZN9rocsolver6v33100L18getri_kernel_smallILi22E19rocblas_complex_numIfEPKPS3_EEvT1_iilPiilS8_bb,comdat
.Lfunc_end85:
	.size	_ZN9rocsolver6v33100L18getri_kernel_smallILi22E19rocblas_complex_numIfEPKPS3_EEvT1_iilPiilS8_bb, .Lfunc_end85-_ZN9rocsolver6v33100L18getri_kernel_smallILi22E19rocblas_complex_numIfEPKPS3_EEvT1_iilPiilS8_bb
                                        ; -- End function
	.section	.AMDGPU.csdata,"",@progbits
; Kernel info:
; codeLenInByte = 27120
; NumSgprs: 28
; NumVgprs: 125
; NumAgprs: 0
; TotalNumVgprs: 125
; ScratchSize: 192
; MemoryBound: 0
; FloatMode: 240
; IeeeMode: 1
; LDSByteSize: 356 bytes/workgroup (compile time only)
; SGPRBlocks: 3
; VGPRBlocks: 15
; NumSGPRsForWavesPerEU: 28
; NumVGPRsForWavesPerEU: 125
; AccumOffset: 128
; Occupancy: 4
; WaveLimiterHint : 1
; COMPUTE_PGM_RSRC2:SCRATCH_EN: 1
; COMPUTE_PGM_RSRC2:USER_SGPR: 8
; COMPUTE_PGM_RSRC2:TRAP_HANDLER: 0
; COMPUTE_PGM_RSRC2:TGID_X_EN: 1
; COMPUTE_PGM_RSRC2:TGID_Y_EN: 0
; COMPUTE_PGM_RSRC2:TGID_Z_EN: 0
; COMPUTE_PGM_RSRC2:TIDIG_COMP_CNT: 0
; COMPUTE_PGM_RSRC3_GFX90A:ACCUM_OFFSET: 31
; COMPUTE_PGM_RSRC3_GFX90A:TG_SPLIT: 0
	.section	.text._ZN9rocsolver6v33100L18getri_kernel_smallILi23E19rocblas_complex_numIfEPKPS3_EEvT1_iilPiilS8_bb,"axG",@progbits,_ZN9rocsolver6v33100L18getri_kernel_smallILi23E19rocblas_complex_numIfEPKPS3_EEvT1_iilPiilS8_bb,comdat
	.globl	_ZN9rocsolver6v33100L18getri_kernel_smallILi23E19rocblas_complex_numIfEPKPS3_EEvT1_iilPiilS8_bb ; -- Begin function _ZN9rocsolver6v33100L18getri_kernel_smallILi23E19rocblas_complex_numIfEPKPS3_EEvT1_iilPiilS8_bb
	.p2align	8
	.type	_ZN9rocsolver6v33100L18getri_kernel_smallILi23E19rocblas_complex_numIfEPKPS3_EEvT1_iilPiilS8_bb,@function
_ZN9rocsolver6v33100L18getri_kernel_smallILi23E19rocblas_complex_numIfEPKPS3_EEvT1_iilPiilS8_bb: ; @_ZN9rocsolver6v33100L18getri_kernel_smallILi23E19rocblas_complex_numIfEPKPS3_EEvT1_iilPiilS8_bb
; %bb.0:
	s_add_u32 flat_scratch_lo, s6, s9
	s_addc_u32 flat_scratch_hi, s7, 0
	s_add_u32 s0, s0, s9
	s_addc_u32 s1, s1, 0
	v_cmp_gt_u32_e32 vcc, 23, v0
	s_and_saveexec_b64 s[6:7], vcc
	s_cbranch_execz .LBB86_106
; %bb.1:
	s_load_dword s20, s[4:5], 0x38
	s_load_dwordx2 s[6:7], s[4:5], 0x0
	s_load_dwordx4 s[12:15], s[4:5], 0x28
	s_waitcnt lgkmcnt(0)
	s_bitcmp1_b32 s20, 8
	s_cselect_b64 s[16:17], -1, 0
	s_ashr_i32 s9, s8, 31
	s_lshl_b64 s[10:11], s[8:9], 3
	s_add_u32 s6, s6, s10
	s_addc_u32 s7, s7, s11
	s_load_dwordx2 s[18:19], s[6:7], 0x0
	s_bfe_u32 s6, s20, 0x10008
	s_cmp_eq_u32 s6, 0
                                        ; implicit-def: $sgpr10_sgpr11
	s_cbranch_scc1 .LBB86_3
; %bb.2:
	s_load_dword s6, s[4:5], 0x20
	s_load_dwordx2 s[10:11], s[4:5], 0x18
	s_mul_i32 s7, s8, s13
	s_mul_hi_u32 s13, s8, s12
	s_add_i32 s13, s13, s7
	s_mul_i32 s21, s9, s12
	s_add_i32 s13, s13, s21
	s_mul_i32 s12, s8, s12
	s_waitcnt lgkmcnt(0)
	s_ashr_i32 s7, s6, 31
	s_lshl_b64 s[12:13], s[12:13], 2
	s_add_u32 s10, s10, s12
	s_addc_u32 s11, s11, s13
	s_lshl_b64 s[6:7], s[6:7], 2
	s_add_u32 s10, s10, s6
	s_addc_u32 s11, s11, s7
.LBB86_3:
	s_load_dwordx2 s[6:7], s[4:5], 0x8
	v_lshlrev_b32_e32 v52, 3, v0
	s_waitcnt lgkmcnt(0)
	s_ashr_i32 s5, s6, 31
	s_mov_b32 s4, s6
	s_lshl_b64 s[4:5], s[4:5], 3
	s_add_u32 s4, s18, s4
	s_addc_u32 s5, s19, s5
	s_add_i32 s6, s7, s7
	v_add_u32_e32 v4, s6, v0
	v_ashrrev_i32_e32 v5, 31, v4
	v_lshlrev_b64 v[10:11], 3, v[4:5]
	v_add_u32_e32 v4, s7, v4
	v_ashrrev_i32_e32 v5, 31, v4
	v_lshlrev_b64 v[12:13], 3, v[4:5]
	;; [unrolled: 3-line block ×4, first 2 shown]
	v_add_u32_e32 v4, s7, v4
	v_add_u32_e32 v20, s7, v4
	;; [unrolled: 1-line block ×6, first 2 shown]
	v_mov_b32_e32 v1, s5
	v_add_co_u32_e32 v6, vcc, s4, v52
	s_ashr_i32 s13, s7, 31
	s_mov_b32 s12, s7
	v_add_u32_e32 v30, s7, v28
	v_addc_co_u32_e32 v7, vcc, 0, v1, vcc
	s_lshl_b64 s[12:13], s[12:13], 3
	v_add_u32_e32 v32, s7, v30
	v_mov_b32_e32 v1, s13
	v_add_co_u32_e32 v8, vcc, s12, v6
	v_add_u32_e32 v34, s7, v32
	v_addc_co_u32_e32 v9, vcc, v7, v1, vcc
	v_add_u32_e32 v36, s7, v34
	v_mov_b32_e32 v1, s5
	v_add_co_u32_e32 v10, vcc, s4, v10
	v_add_u32_e32 v38, s7, v36
	v_addc_co_u32_e32 v11, vcc, v1, v11, vcc
	v_add_u32_e32 v40, s7, v38
	v_add_co_u32_e32 v12, vcc, s4, v12
	v_add_u32_e32 v42, s7, v40
	v_addc_co_u32_e32 v13, vcc, v1, v13, vcc
	v_add_u32_e32 v44, s7, v42
	;; [unrolled: 4-line block ×3, first 2 shown]
	v_add_co_u32_e32 v16, vcc, s4, v16
	v_add_u32_e32 v18, s7, v48
	v_ashrrev_i32_e32 v5, 31, v4
	v_addc_co_u32_e32 v17, vcc, v1, v17, vcc
	v_ashrrev_i32_e32 v19, 31, v18
	v_lshlrev_b64 v[4:5], 3, v[4:5]
	v_lshlrev_b64 v[50:51], 3, v[18:19]
	v_mov_b32_e32 v19, s5
	v_add_co_u32_e32 v18, vcc, s4, v4
	v_ashrrev_i32_e32 v21, 31, v20
	v_addc_co_u32_e32 v19, vcc, v19, v5, vcc
	v_lshlrev_b64 v[4:5], 3, v[20:21]
	v_mov_b32_e32 v21, s5
	v_add_co_u32_e32 v20, vcc, s4, v4
	v_ashrrev_i32_e32 v23, 31, v22
	v_addc_co_u32_e32 v21, vcc, v21, v5, vcc
	;; [unrolled: 5-line block ×5, first 2 shown]
	v_lshlrev_b64 v[28:29], 3, v[28:29]
	v_mov_b32_e32 v31, s5
	v_add_co_u32_e32 v28, vcc, s4, v28
	v_addc_co_u32_e32 v29, vcc, v31, v29, vcc
	v_ashrrev_i32_e32 v31, 31, v30
	v_lshlrev_b64 v[30:31], 3, v[30:31]
	v_mov_b32_e32 v33, s5
	v_add_co_u32_e32 v30, vcc, s4, v30
	v_addc_co_u32_e32 v31, vcc, v33, v31, vcc
	v_ashrrev_i32_e32 v33, 31, v32
	;; [unrolled: 5-line block ×10, first 2 shown]
	v_lshlrev_b64 v[48:49], 3, v[48:49]
	v_mov_b32_e32 v53, s5
	v_add_co_u32_e32 v48, vcc, s4, v48
	global_load_dwordx2 v[2:3], v52, s[4:5]
	global_load_dwordx2 v[54:55], v[8:9], off
	global_load_dwordx2 v[56:57], v[10:11], off
	;; [unrolled: 1-line block ×17, first 2 shown]
	v_addc_co_u32_e32 v49, vcc, v53, v49, vcc
	global_load_dwordx2 v[86:87], v[42:43], off
	global_load_dwordx2 v[88:89], v[44:45], off
	;; [unrolled: 1-line block ×4, first 2 shown]
	v_add_co_u32_e32 v50, vcc, s4, v50
	v_addc_co_u32_e32 v51, vcc, v1, v51, vcc
	global_load_dwordx2 v[94:95], v[50:51], off
	s_bitcmp0_b32 s20, 0
	s_mov_b64 s[6:7], -1
	s_waitcnt vmcnt(22)
	buffer_store_dword v3, off, s[0:3], 0 offset:4
	buffer_store_dword v2, off, s[0:3], 0
	s_waitcnt vmcnt(23)
	buffer_store_dword v55, off, s[0:3], 0 offset:12
	buffer_store_dword v54, off, s[0:3], 0 offset:8
	s_waitcnt vmcnt(24)
	buffer_store_dword v57, off, s[0:3], 0 offset:20
	buffer_store_dword v56, off, s[0:3], 0 offset:16
	;; [unrolled: 3-line block ×22, first 2 shown]
	s_cbranch_scc1 .LBB86_104
; %bb.4:
	v_cmp_eq_u32_e64 s[4:5], 0, v0
	s_and_saveexec_b64 s[6:7], s[4:5]
	s_cbranch_execz .LBB86_6
; %bb.5:
	v_mov_b32_e32 v1, 0
	ds_write_b32 v1, v1 offset:184
.LBB86_6:
	s_or_b64 exec, exec, s[6:7]
	v_mov_b32_e32 v1, 0
	v_lshl_add_u32 v53, v0, 3, v1
	s_waitcnt lgkmcnt(0)
	; wave barrier
	s_waitcnt lgkmcnt(0)
	buffer_load_dword v1, v53, s[0:3], 0 offen
	buffer_load_dword v2, v53, s[0:3], 0 offen offset:4
	s_waitcnt vmcnt(1)
	v_cmp_eq_f32_e32 vcc, 0, v1
	s_waitcnt vmcnt(0)
	v_cmp_eq_f32_e64 s[6:7], 0, v2
	s_and_b64 s[6:7], vcc, s[6:7]
	s_and_saveexec_b64 s[12:13], s[6:7]
	s_cbranch_execz .LBB86_10
; %bb.7:
	v_mov_b32_e32 v1, 0
	ds_read_b32 v3, v1 offset:184
	v_add_u32_e32 v2, 1, v0
	s_waitcnt lgkmcnt(0)
	v_readfirstlane_b32 s6, v3
	s_cmp_eq_u32 s6, 0
	s_cselect_b64 s[18:19], -1, 0
	v_cmp_gt_i32_e32 vcc, s6, v2
	s_or_b64 s[18:19], s[18:19], vcc
	s_and_b64 exec, exec, s[18:19]
	s_cbranch_execz .LBB86_10
; %bb.8:
	s_mov_b64 s[18:19], 0
	v_mov_b32_e32 v3, s6
.LBB86_9:                               ; =>This Inner Loop Header: Depth=1
	ds_cmpst_rtn_b32 v3, v1, v3, v2 offset:184
	s_waitcnt lgkmcnt(0)
	v_cmp_ne_u32_e32 vcc, 0, v3
	v_cmp_le_i32_e64 s[6:7], v3, v2
	s_and_b64 s[6:7], vcc, s[6:7]
	s_and_b64 s[6:7], exec, s[6:7]
	s_or_b64 s[18:19], s[6:7], s[18:19]
	s_andn2_b64 exec, exec, s[18:19]
	s_cbranch_execnz .LBB86_9
.LBB86_10:
	s_or_b64 exec, exec, s[12:13]
	v_mov_b32_e32 v2, 0
	s_waitcnt lgkmcnt(0)
	; wave barrier
	ds_read_b32 v1, v2 offset:184
	s_and_saveexec_b64 s[6:7], s[4:5]
	s_cbranch_execz .LBB86_12
; %bb.11:
	s_lshl_b64 s[12:13], s[8:9], 2
	s_add_u32 s12, s14, s12
	s_addc_u32 s13, s15, s13
	s_waitcnt lgkmcnt(0)
	global_store_dword v2, v1, s[12:13]
.LBB86_12:
	s_or_b64 exec, exec, s[6:7]
	s_waitcnt lgkmcnt(0)
	v_cmp_ne_u32_e32 vcc, 0, v1
	s_mov_b64 s[6:7], 0
	s_cbranch_vccnz .LBB86_104
; %bb.13:
	buffer_load_dword v54, v53, s[0:3], 0 offen offset:4
	buffer_load_dword v3, v53, s[0:3], 0 offen
	s_waitcnt vmcnt(1)
	v_cmp_gt_f32_e32 vcc, 0, v54
	v_cndmask_b32_e64 v1, v54, -v54, vcc
	s_waitcnt vmcnt(0)
	v_cmp_gt_f32_e32 vcc, 0, v3
	v_cndmask_b32_e64 v2, v3, -v3, vcc
	v_cmp_ngt_f32_e32 vcc, v2, v1
                                        ; implicit-def: $vgpr1
                                        ; implicit-def: $vgpr2
	s_and_saveexec_b64 s[6:7], vcc
	s_xor_b64 s[6:7], exec, s[6:7]
                                        ; implicit-def: $vgpr4_vgpr5
	s_cbranch_execz .LBB86_15
; %bb.14:
	v_div_scale_f32 v1, s[12:13], v54, v54, v3
	v_rcp_f32_e32 v2, v1
	v_div_scale_f32 v4, vcc, v3, v54, v3
	v_fma_f32 v5, -v1, v2, 1.0
	v_fmac_f32_e32 v2, v5, v2
	v_mul_f32_e32 v5, v4, v2
	v_fma_f32 v55, -v1, v5, v4
	v_fmac_f32_e32 v5, v55, v2
	v_fma_f32 v1, -v1, v5, v4
	v_div_fmas_f32 v1, v1, v2, v5
	v_div_fixup_f32 v2, v1, v54, v3
	v_fmac_f32_e32 v54, v3, v2
	v_div_scale_f32 v1, s[12:13], v54, v54, -1.0
	v_rcp_f32_e32 v3, v1
	v_fma_f32 v4, -v1, v3, 1.0
	v_fmac_f32_e32 v3, v4, v3
	v_div_scale_f32 v4, vcc, -1.0, v54, -1.0
	v_mul_f32_e32 v5, v4, v3
	v_fma_f32 v55, -v1, v5, v4
	v_fmac_f32_e32 v5, v55, v3
	v_fma_f32 v1, -v1, v5, v4
	v_div_fmas_f32 v1, v1, v3, v5
	v_div_fixup_f32 v1, v1, v54, -1.0
	v_mul_f32_e32 v2, v2, v1
	v_xor_b32_e32 v4, 0x80000000, v2
                                        ; implicit-def: $vgpr3
                                        ; implicit-def: $vgpr54
.LBB86_15:
	s_andn2_saveexec_b64 s[6:7], s[6:7]
	s_cbranch_execz .LBB86_17
; %bb.16:
	v_div_scale_f32 v1, s[12:13], v3, v3, v54
	v_rcp_f32_e32 v2, v1
	v_div_scale_f32 v4, vcc, v54, v3, v54
	v_fma_f32 v5, -v1, v2, 1.0
	v_fmac_f32_e32 v2, v5, v2
	v_mul_f32_e32 v5, v4, v2
	v_fma_f32 v55, -v1, v5, v4
	v_fmac_f32_e32 v5, v55, v2
	v_fma_f32 v1, -v1, v5, v4
	v_div_fmas_f32 v1, v1, v2, v5
	v_div_fixup_f32 v1, v1, v3, v54
	v_fmac_f32_e32 v3, v54, v1
	v_div_scale_f32 v2, s[12:13], v3, v3, 1.0
	v_rcp_f32_e32 v4, v2
	v_fma_f32 v5, -v2, v4, 1.0
	v_fmac_f32_e32 v4, v5, v4
	v_div_scale_f32 v5, vcc, 1.0, v3, 1.0
	v_mul_f32_e32 v54, v5, v4
	v_fma_f32 v55, -v2, v54, v5
	v_fmac_f32_e32 v54, v55, v4
	v_fma_f32 v2, -v2, v54, v5
	v_div_fmas_f32 v2, v2, v4, v54
	v_div_fixup_f32 v4, v2, v3, 1.0
	v_xor_b32_e32 v2, 0x80000000, v4
	v_mul_f32_e64 v1, v1, -v4
.LBB86_17:
	s_or_b64 exec, exec, s[6:7]
	buffer_store_dword v1, v53, s[0:3], 0 offen offset:4
	buffer_store_dword v4, v53, s[0:3], 0 offen
	buffer_load_dword v5, off, s[0:3], 0 offset:12
	s_nop 0
	buffer_load_dword v4, off, s[0:3], 0 offset:8
	v_xor_b32_e32 v3, 0x80000000, v1
	v_add_u32_e32 v1, 0xc0, v52
	s_waitcnt vmcnt(0)
	ds_write2_b64 v52, v[2:3], v[4:5] offset1:24
	s_waitcnt lgkmcnt(0)
	; wave barrier
	s_waitcnt lgkmcnt(0)
	s_and_saveexec_b64 s[6:7], s[4:5]
	s_cbranch_execz .LBB86_19
; %bb.18:
	buffer_load_dword v54, v53, s[0:3], 0 offen offset:4
	buffer_load_dword v55, v53, s[0:3], 0 offen
	ds_read_b64 v[2:3], v1
	v_mov_b32_e32 v4, 0
	ds_read_b64 v[4:5], v4 offset:8
	s_waitcnt vmcnt(1) lgkmcnt(1)
	v_mul_f32_e32 v56, v3, v54
	v_mul_f32_e32 v54, v2, v54
	s_waitcnt vmcnt(0)
	v_fmac_f32_e32 v54, v3, v55
	v_fma_f32 v2, v2, v55, -v56
	v_add_f32_e32 v3, 0, v54
	v_add_f32_e32 v2, 0, v2
	s_waitcnt lgkmcnt(0)
	v_mul_f32_e32 v54, v3, v5
	v_mul_f32_e32 v5, v2, v5
	v_fma_f32 v2, v2, v4, -v54
	v_fmac_f32_e32 v5, v3, v4
	buffer_store_dword v2, off, s[0:3], 0 offset:8
	buffer_store_dword v5, off, s[0:3], 0 offset:12
.LBB86_19:
	s_or_b64 exec, exec, s[6:7]
	s_waitcnt lgkmcnt(0)
	; wave barrier
	buffer_load_dword v2, off, s[0:3], 0 offset:16
	buffer_load_dword v3, off, s[0:3], 0 offset:20
	v_cmp_gt_u32_e32 vcc, 2, v0
	s_waitcnt vmcnt(0)
	ds_write_b64 v1, v[2:3]
	s_waitcnt lgkmcnt(0)
	; wave barrier
	s_waitcnt lgkmcnt(0)
	s_and_saveexec_b64 s[6:7], vcc
	s_cbranch_execz .LBB86_23
; %bb.20:
	buffer_load_dword v4, v53, s[0:3], 0 offen offset:4
	buffer_load_dword v5, v53, s[0:3], 0 offen
	ds_read_b64 v[2:3], v1
	s_waitcnt vmcnt(1) lgkmcnt(0)
	v_mul_f32_e32 v53, v3, v4
	v_mul_f32_e32 v4, v2, v4
	s_waitcnt vmcnt(0)
	v_fma_f32 v2, v2, v5, -v53
	v_fmac_f32_e32 v4, v3, v5
	v_add_f32_e32 v3, 0, v2
	v_add_f32_e32 v2, 0, v4
	s_and_saveexec_b64 s[12:13], s[4:5]
	s_cbranch_execz .LBB86_22
; %bb.21:
	buffer_load_dword v53, off, s[0:3], 0 offset:12
	buffer_load_dword v54, off, s[0:3], 0 offset:8
	v_mov_b32_e32 v4, 0
	ds_read_b64 v[4:5], v4 offset:200
	s_waitcnt vmcnt(1) lgkmcnt(0)
	v_mul_f32_e32 v55, v4, v53
	v_mul_f32_e32 v53, v5, v53
	s_waitcnt vmcnt(0)
	v_fmac_f32_e32 v55, v5, v54
	v_fma_f32 v4, v4, v54, -v53
	v_add_f32_e32 v2, v2, v55
	v_add_f32_e32 v3, v3, v4
.LBB86_22:
	s_or_b64 exec, exec, s[12:13]
	v_mov_b32_e32 v4, 0
	ds_read_b64 v[4:5], v4 offset:16
	s_waitcnt lgkmcnt(0)
	v_mul_f32_e32 v53, v2, v5
	v_mul_f32_e32 v5, v3, v5
	v_fma_f32 v3, v3, v4, -v53
	v_fmac_f32_e32 v5, v2, v4
	buffer_store_dword v3, off, s[0:3], 0 offset:16
	buffer_store_dword v5, off, s[0:3], 0 offset:20
.LBB86_23:
	s_or_b64 exec, exec, s[6:7]
	s_waitcnt lgkmcnt(0)
	; wave barrier
	buffer_load_dword v2, off, s[0:3], 0 offset:24
	buffer_load_dword v3, off, s[0:3], 0 offset:28
	v_cmp_gt_u32_e32 vcc, 3, v0
	s_waitcnt vmcnt(0)
	ds_write_b64 v1, v[2:3]
	v_add_u32_e32 v2, -1, v0
	s_waitcnt lgkmcnt(0)
	; wave barrier
	s_waitcnt lgkmcnt(0)
	s_and_saveexec_b64 s[4:5], vcc
	s_cbranch_execz .LBB86_27
; %bb.24:
	v_add_u32_e32 v4, -1, v0
	v_add_u32_e32 v5, 0xc0, v52
	v_add_u32_e32 v53, 0, v52
	s_mov_b64 s[6:7], 0
	v_mov_b32_e32 v3, 0
	v_mov_b32_e32 v54, 0
.LBB86_25:                              ; =>This Inner Loop Header: Depth=1
	buffer_load_dword v55, v53, s[0:3], 0 offen offset:4
	buffer_load_dword v58, v53, s[0:3], 0 offen
	ds_read_b64 v[56:57], v5
	v_add_u32_e32 v4, 1, v4
	v_cmp_lt_u32_e32 vcc, 1, v4
	v_add_u32_e32 v5, 8, v5
	v_add_u32_e32 v53, 8, v53
	s_or_b64 s[6:7], vcc, s[6:7]
	s_waitcnt vmcnt(1) lgkmcnt(0)
	v_mul_f32_e32 v59, v57, v55
	v_mul_f32_e32 v55, v56, v55
	s_waitcnt vmcnt(0)
	v_fma_f32 v56, v56, v58, -v59
	v_fmac_f32_e32 v55, v57, v58
	v_add_f32_e32 v54, v54, v56
	v_add_f32_e32 v3, v3, v55
	s_andn2_b64 exec, exec, s[6:7]
	s_cbranch_execnz .LBB86_25
; %bb.26:
	s_or_b64 exec, exec, s[6:7]
	v_mov_b32_e32 v4, 0
	ds_read_b64 v[4:5], v4 offset:24
	s_waitcnt lgkmcnt(0)
	v_mul_f32_e32 v53, v3, v5
	v_mul_f32_e32 v5, v54, v5
	v_fma_f32 v53, v54, v4, -v53
	v_fmac_f32_e32 v5, v3, v4
	buffer_store_dword v53, off, s[0:3], 0 offset:24
	buffer_store_dword v5, off, s[0:3], 0 offset:28
.LBB86_27:
	s_or_b64 exec, exec, s[4:5]
	s_waitcnt lgkmcnt(0)
	; wave barrier
	buffer_load_dword v4, off, s[0:3], 0 offset:32
	buffer_load_dword v5, off, s[0:3], 0 offset:36
	v_cmp_gt_u32_e32 vcc, 4, v0
	s_waitcnt vmcnt(0)
	ds_write_b64 v1, v[4:5]
	s_waitcnt lgkmcnt(0)
	; wave barrier
	s_waitcnt lgkmcnt(0)
	s_and_saveexec_b64 s[4:5], vcc
	s_cbranch_execz .LBB86_31
; %bb.28:
	v_add_u32_e32 v4, -1, v0
	v_add_u32_e32 v5, 0xc0, v52
	v_add_u32_e32 v53, 0, v52
	s_mov_b64 s[6:7], 0
	v_mov_b32_e32 v3, 0
	v_mov_b32_e32 v54, 0
.LBB86_29:                              ; =>This Inner Loop Header: Depth=1
	buffer_load_dword v55, v53, s[0:3], 0 offen offset:4
	buffer_load_dword v58, v53, s[0:3], 0 offen
	ds_read_b64 v[56:57], v5
	v_add_u32_e32 v4, 1, v4
	v_cmp_lt_u32_e32 vcc, 2, v4
	v_add_u32_e32 v5, 8, v5
	v_add_u32_e32 v53, 8, v53
	s_or_b64 s[6:7], vcc, s[6:7]
	s_waitcnt vmcnt(1) lgkmcnt(0)
	v_mul_f32_e32 v59, v57, v55
	v_mul_f32_e32 v55, v56, v55
	s_waitcnt vmcnt(0)
	v_fma_f32 v56, v56, v58, -v59
	v_fmac_f32_e32 v55, v57, v58
	v_add_f32_e32 v54, v54, v56
	v_add_f32_e32 v3, v3, v55
	s_andn2_b64 exec, exec, s[6:7]
	s_cbranch_execnz .LBB86_29
; %bb.30:
	s_or_b64 exec, exec, s[6:7]
	v_mov_b32_e32 v4, 0
	ds_read_b64 v[4:5], v4 offset:32
	s_waitcnt lgkmcnt(0)
	v_mul_f32_e32 v53, v3, v5
	v_mul_f32_e32 v5, v54, v5
	v_fma_f32 v53, v54, v4, -v53
	v_fmac_f32_e32 v5, v3, v4
	buffer_store_dword v53, off, s[0:3], 0 offset:32
	buffer_store_dword v5, off, s[0:3], 0 offset:36
.LBB86_31:
	s_or_b64 exec, exec, s[4:5]
	s_waitcnt lgkmcnt(0)
	; wave barrier
	buffer_load_dword v4, off, s[0:3], 0 offset:40
	buffer_load_dword v5, off, s[0:3], 0 offset:44
	v_cmp_gt_u32_e32 vcc, 5, v0
	s_waitcnt vmcnt(0)
	ds_write_b64 v1, v[4:5]
	;; [unrolled: 51-line block ×18, first 2 shown]
	s_waitcnt lgkmcnt(0)
	; wave barrier
	s_waitcnt lgkmcnt(0)
	s_and_saveexec_b64 s[4:5], vcc
	s_cbranch_execz .LBB86_99
; %bb.96:
	v_add_u32_e32 v4, -1, v0
	v_add_u32_e32 v5, 0xc0, v52
	v_add_u32_e32 v53, 0, v52
	s_mov_b64 s[6:7], 0
	v_mov_b32_e32 v3, 0
	v_mov_b32_e32 v54, 0
.LBB86_97:                              ; =>This Inner Loop Header: Depth=1
	buffer_load_dword v55, v53, s[0:3], 0 offen offset:4
	buffer_load_dword v58, v53, s[0:3], 0 offen
	ds_read_b64 v[56:57], v5
	v_add_u32_e32 v4, 1, v4
	v_cmp_lt_u32_e32 vcc, 19, v4
	v_add_u32_e32 v5, 8, v5
	v_add_u32_e32 v53, 8, v53
	s_or_b64 s[6:7], vcc, s[6:7]
	s_waitcnt vmcnt(1) lgkmcnt(0)
	v_mul_f32_e32 v59, v57, v55
	v_mul_f32_e32 v55, v56, v55
	s_waitcnt vmcnt(0)
	v_fma_f32 v56, v56, v58, -v59
	v_fmac_f32_e32 v55, v57, v58
	v_add_f32_e32 v54, v54, v56
	v_add_f32_e32 v3, v3, v55
	s_andn2_b64 exec, exec, s[6:7]
	s_cbranch_execnz .LBB86_97
; %bb.98:
	s_or_b64 exec, exec, s[6:7]
	v_mov_b32_e32 v4, 0
	ds_read_b64 v[4:5], v4 offset:168
	s_waitcnt lgkmcnt(0)
	v_mul_f32_e32 v53, v3, v5
	v_mul_f32_e32 v5, v54, v5
	v_fma_f32 v53, v54, v4, -v53
	v_fmac_f32_e32 v5, v3, v4
	buffer_store_dword v53, off, s[0:3], 0 offset:168
	buffer_store_dword v5, off, s[0:3], 0 offset:172
.LBB86_99:
	s_or_b64 exec, exec, s[4:5]
	s_waitcnt lgkmcnt(0)
	; wave barrier
	buffer_load_dword v4, off, s[0:3], 0 offset:176
	buffer_load_dword v5, off, s[0:3], 0 offset:180
	v_cmp_ne_u32_e32 vcc, 22, v0
	s_waitcnt vmcnt(0)
	ds_write_b64 v1, v[4:5]
	s_waitcnt lgkmcnt(0)
	; wave barrier
	s_waitcnt lgkmcnt(0)
	s_and_saveexec_b64 s[4:5], vcc
	s_cbranch_execz .LBB86_103
; %bb.100:
	v_add_u32_e32 v3, 0xc0, v52
	v_add_u32_e32 v4, 0, v52
	s_mov_b64 s[6:7], 0
	v_mov_b32_e32 v1, 0
	v_mov_b32_e32 v5, 0
.LBB86_101:                             ; =>This Inner Loop Header: Depth=1
	buffer_load_dword v54, v4, s[0:3], 0 offen offset:4
	buffer_load_dword v55, v4, s[0:3], 0 offen
	ds_read_b64 v[52:53], v3
	v_add_u32_e32 v2, 1, v2
	v_cmp_lt_u32_e32 vcc, 20, v2
	v_add_u32_e32 v3, 8, v3
	v_add_u32_e32 v4, 8, v4
	s_or_b64 s[6:7], vcc, s[6:7]
	s_waitcnt vmcnt(1) lgkmcnt(0)
	v_mul_f32_e32 v56, v53, v54
	v_mul_f32_e32 v54, v52, v54
	s_waitcnt vmcnt(0)
	v_fma_f32 v52, v52, v55, -v56
	v_fmac_f32_e32 v54, v53, v55
	v_add_f32_e32 v5, v5, v52
	v_add_f32_e32 v1, v1, v54
	s_andn2_b64 exec, exec, s[6:7]
	s_cbranch_execnz .LBB86_101
; %bb.102:
	s_or_b64 exec, exec, s[6:7]
	v_mov_b32_e32 v2, 0
	ds_read_b64 v[2:3], v2 offset:176
	s_waitcnt lgkmcnt(0)
	v_mul_f32_e32 v4, v1, v3
	v_mul_f32_e32 v3, v5, v3
	v_fma_f32 v4, v5, v2, -v4
	v_fmac_f32_e32 v3, v1, v2
	buffer_store_dword v4, off, s[0:3], 0 offset:176
	buffer_store_dword v3, off, s[0:3], 0 offset:180
.LBB86_103:
	s_or_b64 exec, exec, s[4:5]
	s_mov_b64 s[6:7], -1
	s_waitcnt lgkmcnt(0)
	; wave barrier
.LBB86_104:
	s_and_b64 vcc, exec, s[6:7]
	s_cbranch_vccz .LBB86_106
; %bb.105:
	s_lshl_b64 s[4:5], s[8:9], 2
	s_add_u32 s4, s14, s4
	s_addc_u32 s5, s15, s5
	v_mov_b32_e32 v1, 0
	global_load_dword v1, v1, s[4:5]
	s_waitcnt vmcnt(0)
	v_cmp_ne_u32_e32 vcc, 0, v1
	s_cbranch_vccz .LBB86_107
.LBB86_106:
	s_endpgm
.LBB86_107:
	v_mov_b32_e32 v1, 0xc0
	v_lshl_add_u32 v1, v0, 3, v1
	v_cmp_eq_u32_e32 vcc, 22, v0
	s_and_saveexec_b64 s[4:5], vcc
	s_cbranch_execz .LBB86_109
; %bb.108:
	buffer_load_dword v2, off, s[0:3], 0 offset:168
	buffer_load_dword v3, off, s[0:3], 0 offset:172
	v_mov_b32_e32 v4, 0
	buffer_store_dword v4, off, s[0:3], 0 offset:168
	buffer_store_dword v4, off, s[0:3], 0 offset:172
	s_waitcnt vmcnt(2)
	ds_write_b64 v1, v[2:3]
.LBB86_109:
	s_or_b64 exec, exec, s[4:5]
	s_waitcnt lgkmcnt(0)
	; wave barrier
	s_waitcnt lgkmcnt(0)
	buffer_load_dword v5, off, s[0:3], 0 offset:180
	buffer_load_dword v4, off, s[0:3], 0 offset:176
	;; [unrolled: 1-line block ×4, first 2 shown]
	v_mov_b32_e32 v2, 0
	ds_read_b64 v[54:55], v2 offset:368
	v_cmp_lt_u32_e32 vcc, 20, v0
	s_waitcnt vmcnt(3)
	v_mov_b32_e32 v56, v5
	s_waitcnt lgkmcnt(0)
	v_pk_mul_f32 v[56:57], v[54:55], v[56:57] op_sel_hi:[1,0]
	s_waitcnt vmcnt(2)
	v_pk_fma_f32 v[58:59], v[54:55], v[4:5], v[56:57] op_sel:[0,0,1] op_sel_hi:[1,1,0] neg_lo:[0,0,1] neg_hi:[0,0,1]
	v_pk_fma_f32 v[4:5], v[54:55], v[4:5], v[56:57] op_sel:[0,0,1] op_sel_hi:[1,0,0]
	v_mov_b32_e32 v59, v5
	v_pk_add_f32 v[4:5], v[58:59], 0 op_sel_hi:[1,0]
	s_waitcnt vmcnt(0)
	v_pk_add_f32 v[4:5], v[52:53], v[4:5] neg_lo:[0,1] neg_hi:[0,1]
	buffer_store_dword v4, off, s[0:3], 0 offset:168
	buffer_store_dword v5, off, s[0:3], 0 offset:172
	s_and_saveexec_b64 s[4:5], vcc
	s_cbranch_execz .LBB86_111
; %bb.110:
	buffer_load_dword v4, off, s[0:3], 0 offset:160
	buffer_load_dword v5, off, s[0:3], 0 offset:164
	s_waitcnt vmcnt(0)
	ds_write_b64 v1, v[4:5]
	buffer_store_dword v2, off, s[0:3], 0 offset:160
	buffer_store_dword v2, off, s[0:3], 0 offset:164
.LBB86_111:
	s_or_b64 exec, exec, s[4:5]
	s_waitcnt lgkmcnt(0)
	; wave barrier
	s_waitcnt lgkmcnt(0)
	buffer_load_dword v53, off, s[0:3], 0 offset:172
	buffer_load_dword v55, off, s[0:3], 0 offset:180
	;; [unrolled: 1-line block ×6, first 2 shown]
	ds_read2_b64 v[2:5], v2 offset0:45 offset1:46
	v_cmp_lt_u32_e32 vcc, 19, v0
	s_waitcnt vmcnt(5)
	v_mov_b32_e32 v58, v53
	s_waitcnt vmcnt(4)
	v_mov_b32_e32 v60, v55
	s_waitcnt lgkmcnt(0)
	v_pk_mul_f32 v[58:59], v[2:3], v[58:59] op_sel_hi:[1,0]
	v_pk_mul_f32 v[60:61], v[4:5], v[60:61] op_sel_hi:[1,0]
	s_waitcnt vmcnt(3)
	v_pk_fma_f32 v[62:63], v[2:3], v[52:53], v[58:59] op_sel:[0,0,1] op_sel_hi:[1,1,0] neg_lo:[0,0,1] neg_hi:[0,0,1]
	v_pk_fma_f32 v[2:3], v[2:3], v[52:53], v[58:59] op_sel:[0,0,1] op_sel_hi:[1,0,0]
	s_waitcnt vmcnt(2)
	v_pk_fma_f32 v[52:53], v[4:5], v[54:55], v[60:61] op_sel:[0,0,1] op_sel_hi:[1,1,0] neg_lo:[0,0,1] neg_hi:[0,0,1]
	v_pk_fma_f32 v[4:5], v[4:5], v[54:55], v[60:61] op_sel:[0,0,1] op_sel_hi:[1,0,0]
	v_mov_b32_e32 v63, v3
	v_mov_b32_e32 v53, v5
	v_pk_add_f32 v[2:3], v[62:63], 0 op_sel_hi:[1,0]
	v_pk_add_f32 v[2:3], v[2:3], v[52:53]
	s_waitcnt vmcnt(0)
	v_pk_add_f32 v[2:3], v[56:57], v[2:3] neg_lo:[0,1] neg_hi:[0,1]
	buffer_store_dword v2, off, s[0:3], 0 offset:160
	buffer_store_dword v3, off, s[0:3], 0 offset:164
	s_and_saveexec_b64 s[4:5], vcc
	s_cbranch_execz .LBB86_113
; %bb.112:
	buffer_load_dword v2, off, s[0:3], 0 offset:152
	buffer_load_dword v3, off, s[0:3], 0 offset:156
	v_mov_b32_e32 v4, 0
	buffer_store_dword v4, off, s[0:3], 0 offset:152
	buffer_store_dword v4, off, s[0:3], 0 offset:156
	s_waitcnt vmcnt(2)
	ds_write_b64 v1, v[2:3]
.LBB86_113:
	s_or_b64 exec, exec, s[4:5]
	s_waitcnt lgkmcnt(0)
	; wave barrier
	s_waitcnt lgkmcnt(0)
	buffer_load_dword v5, off, s[0:3], 0 offset:164
	buffer_load_dword v57, off, s[0:3], 0 offset:172
	buffer_load_dword v59, off, s[0:3], 0 offset:180
	buffer_load_dword v4, off, s[0:3], 0 offset:160
	buffer_load_dword v56, off, s[0:3], 0 offset:168
	buffer_load_dword v58, off, s[0:3], 0 offset:176
	buffer_load_dword v60, off, s[0:3], 0 offset:152
	buffer_load_dword v61, off, s[0:3], 0 offset:156
	v_mov_b32_e32 v2, 0
	ds_read_b128 v[52:55], v2 offset:352
	ds_read_b64 v[62:63], v2 offset:368
	v_cmp_lt_u32_e32 vcc, 18, v0
	s_waitcnt vmcnt(7)
	v_mov_b32_e32 v64, v5
	s_waitcnt vmcnt(6)
	v_mov_b32_e32 v66, v57
	s_waitcnt lgkmcnt(1)
	v_pk_mul_f32 v[64:65], v[52:53], v[64:65] op_sel_hi:[1,0]
	s_waitcnt vmcnt(5)
	v_mov_b32_e32 v68, v59
	v_pk_mul_f32 v[66:67], v[54:55], v[66:67] op_sel_hi:[1,0]
	s_waitcnt vmcnt(4)
	v_pk_fma_f32 v[70:71], v[52:53], v[4:5], v[64:65] op_sel:[0,0,1] op_sel_hi:[1,1,0] neg_lo:[0,0,1] neg_hi:[0,0,1]
	v_pk_fma_f32 v[4:5], v[52:53], v[4:5], v[64:65] op_sel:[0,0,1] op_sel_hi:[1,0,0]
	s_waitcnt lgkmcnt(0)
	v_pk_mul_f32 v[68:69], v[62:63], v[68:69] op_sel_hi:[1,0]
	s_waitcnt vmcnt(3)
	v_pk_fma_f32 v[52:53], v[54:55], v[56:57], v[66:67] op_sel:[0,0,1] op_sel_hi:[1,1,0] neg_lo:[0,0,1] neg_hi:[0,0,1]
	v_pk_fma_f32 v[54:55], v[54:55], v[56:57], v[66:67] op_sel:[0,0,1] op_sel_hi:[1,0,0]
	v_mov_b32_e32 v71, v5
	s_waitcnt vmcnt(2)
	v_pk_fma_f32 v[56:57], v[62:63], v[58:59], v[68:69] op_sel:[0,0,1] op_sel_hi:[1,1,0] neg_lo:[0,0,1] neg_hi:[0,0,1]
	v_pk_fma_f32 v[58:59], v[62:63], v[58:59], v[68:69] op_sel:[0,0,1] op_sel_hi:[1,0,0]
	v_mov_b32_e32 v53, v55
	v_pk_add_f32 v[4:5], v[70:71], 0 op_sel_hi:[1,0]
	v_mov_b32_e32 v57, v59
	v_pk_add_f32 v[4:5], v[4:5], v[52:53]
	v_pk_add_f32 v[4:5], v[4:5], v[56:57]
	s_waitcnt vmcnt(0)
	v_pk_add_f32 v[4:5], v[60:61], v[4:5] neg_lo:[0,1] neg_hi:[0,1]
	buffer_store_dword v4, off, s[0:3], 0 offset:152
	buffer_store_dword v5, off, s[0:3], 0 offset:156
	s_and_saveexec_b64 s[4:5], vcc
	s_cbranch_execz .LBB86_115
; %bb.114:
	buffer_load_dword v4, off, s[0:3], 0 offset:144
	buffer_load_dword v5, off, s[0:3], 0 offset:148
	s_waitcnt vmcnt(0)
	ds_write_b64 v1, v[4:5]
	buffer_store_dword v2, off, s[0:3], 0 offset:144
	buffer_store_dword v2, off, s[0:3], 0 offset:148
.LBB86_115:
	s_or_b64 exec, exec, s[4:5]
	s_waitcnt lgkmcnt(0)
	; wave barrier
	s_waitcnt lgkmcnt(0)
	buffer_load_dword v57, off, s[0:3], 0 offset:156
	buffer_load_dword v59, off, s[0:3], 0 offset:164
	;; [unrolled: 1-line block ×10, first 2 shown]
	ds_read2_b64 v[52:55], v2 offset0:43 offset1:44
	ds_read2_b64 v[2:5], v2 offset0:45 offset1:46
	v_cmp_lt_u32_e32 vcc, 17, v0
	s_waitcnt vmcnt(9)
	v_mov_b32_e32 v66, v57
	s_waitcnt vmcnt(8)
	v_mov_b32_e32 v68, v59
	;; [unrolled: 2-line block ×3, first 2 shown]
	s_waitcnt lgkmcnt(1)
	v_pk_mul_f32 v[66:67], v[52:53], v[66:67] op_sel_hi:[1,0]
	v_pk_mul_f32 v[68:69], v[54:55], v[68:69] op_sel_hi:[1,0]
	s_waitcnt lgkmcnt(0)
	v_pk_mul_f32 v[70:71], v[2:3], v[70:71] op_sel_hi:[1,0]
	s_waitcnt vmcnt(5)
	v_pk_fma_f32 v[74:75], v[52:53], v[56:57], v[66:67] op_sel:[0,0,1] op_sel_hi:[1,1,0] neg_lo:[0,0,1] neg_hi:[0,0,1]
	v_pk_fma_f32 v[52:53], v[52:53], v[56:57], v[66:67] op_sel:[0,0,1] op_sel_hi:[1,0,0]
	v_mov_b32_e32 v72, v63
	s_waitcnt vmcnt(4)
	v_pk_fma_f32 v[56:57], v[54:55], v[58:59], v[68:69] op_sel:[0,0,1] op_sel_hi:[1,1,0] neg_lo:[0,0,1] neg_hi:[0,0,1]
	v_pk_fma_f32 v[54:55], v[54:55], v[58:59], v[68:69] op_sel:[0,0,1] op_sel_hi:[1,0,0]
	s_waitcnt vmcnt(3)
	v_pk_fma_f32 v[58:59], v[2:3], v[60:61], v[70:71] op_sel:[0,0,1] op_sel_hi:[1,1,0] neg_lo:[0,0,1] neg_hi:[0,0,1]
	v_pk_fma_f32 v[2:3], v[2:3], v[60:61], v[70:71] op_sel:[0,0,1] op_sel_hi:[1,0,0]
	v_mov_b32_e32 v75, v53
	v_pk_mul_f32 v[72:73], v[4:5], v[72:73] op_sel_hi:[1,0]
	v_mov_b32_e32 v57, v55
	v_mov_b32_e32 v59, v3
	v_pk_add_f32 v[2:3], v[74:75], 0 op_sel_hi:[1,0]
	s_waitcnt vmcnt(2)
	v_pk_fma_f32 v[60:61], v[4:5], v[62:63], v[72:73] op_sel:[0,0,1] op_sel_hi:[1,1,0] neg_lo:[0,0,1] neg_hi:[0,0,1]
	v_pk_fma_f32 v[4:5], v[4:5], v[62:63], v[72:73] op_sel:[0,0,1] op_sel_hi:[1,0,0]
	v_pk_add_f32 v[2:3], v[2:3], v[56:57]
	v_mov_b32_e32 v61, v5
	v_pk_add_f32 v[2:3], v[2:3], v[58:59]
	v_pk_add_f32 v[2:3], v[2:3], v[60:61]
	s_waitcnt vmcnt(0)
	v_pk_add_f32 v[2:3], v[64:65], v[2:3] neg_lo:[0,1] neg_hi:[0,1]
	buffer_store_dword v2, off, s[0:3], 0 offset:144
	buffer_store_dword v3, off, s[0:3], 0 offset:148
	s_and_saveexec_b64 s[4:5], vcc
	s_cbranch_execz .LBB86_117
; %bb.116:
	buffer_load_dword v2, off, s[0:3], 0 offset:136
	buffer_load_dword v3, off, s[0:3], 0 offset:140
	v_mov_b32_e32 v4, 0
	buffer_store_dword v4, off, s[0:3], 0 offset:136
	buffer_store_dword v4, off, s[0:3], 0 offset:140
	s_waitcnt vmcnt(2)
	ds_write_b64 v1, v[2:3]
.LBB86_117:
	s_or_b64 exec, exec, s[4:5]
	s_waitcnt lgkmcnt(0)
	; wave barrier
	s_waitcnt lgkmcnt(0)
	buffer_load_dword v5, off, s[0:3], 0 offset:148
	buffer_load_dword v61, off, s[0:3], 0 offset:156
	;; [unrolled: 1-line block ×12, first 2 shown]
	v_mov_b32_e32 v2, 0
	ds_read_b128 v[52:55], v2 offset:336
	ds_read_b128 v[56:59], v2 offset:352
	ds_read_b64 v[70:71], v2 offset:368
	v_cmp_lt_u32_e32 vcc, 16, v0
	s_waitcnt vmcnt(11)
	v_mov_b32_e32 v72, v5
	s_waitcnt vmcnt(10)
	v_mov_b32_e32 v74, v61
	s_waitcnt lgkmcnt(2)
	v_pk_mul_f32 v[72:73], v[52:53], v[72:73] op_sel_hi:[1,0]
	s_waitcnt vmcnt(9)
	v_mov_b32_e32 v76, v63
	v_pk_mul_f32 v[74:75], v[54:55], v[74:75] op_sel_hi:[1,0]
	s_waitcnt vmcnt(6)
	v_pk_fma_f32 v[82:83], v[52:53], v[4:5], v[72:73] op_sel:[0,0,1] op_sel_hi:[1,1,0] neg_lo:[0,0,1] neg_hi:[0,0,1]
	v_pk_fma_f32 v[4:5], v[52:53], v[4:5], v[72:73] op_sel:[0,0,1] op_sel_hi:[1,0,0]
	v_mov_b32_e32 v78, v65
	s_waitcnt lgkmcnt(1)
	v_pk_mul_f32 v[76:77], v[56:57], v[76:77] op_sel_hi:[1,0]
	s_waitcnt vmcnt(5)
	v_pk_fma_f32 v[52:53], v[54:55], v[60:61], v[74:75] op_sel:[0,0,1] op_sel_hi:[1,1,0] neg_lo:[0,0,1] neg_hi:[0,0,1]
	v_pk_fma_f32 v[54:55], v[54:55], v[60:61], v[74:75] op_sel:[0,0,1] op_sel_hi:[1,0,0]
	v_mov_b32_e32 v83, v5
	v_mov_b32_e32 v80, v67
	v_pk_mul_f32 v[78:79], v[58:59], v[78:79] op_sel_hi:[1,0]
	s_waitcnt vmcnt(4)
	v_pk_fma_f32 v[60:61], v[56:57], v[62:63], v[76:77] op_sel:[0,0,1] op_sel_hi:[1,1,0] neg_lo:[0,0,1] neg_hi:[0,0,1]
	v_pk_fma_f32 v[56:57], v[56:57], v[62:63], v[76:77] op_sel:[0,0,1] op_sel_hi:[1,0,0]
	v_mov_b32_e32 v53, v55
	v_pk_add_f32 v[4:5], v[82:83], 0 op_sel_hi:[1,0]
	s_waitcnt lgkmcnt(0)
	v_pk_mul_f32 v[80:81], v[70:71], v[80:81] op_sel_hi:[1,0]
	s_waitcnt vmcnt(3)
	v_pk_fma_f32 v[62:63], v[58:59], v[64:65], v[78:79] op_sel:[0,0,1] op_sel_hi:[1,1,0] neg_lo:[0,0,1] neg_hi:[0,0,1]
	v_pk_fma_f32 v[58:59], v[58:59], v[64:65], v[78:79] op_sel:[0,0,1] op_sel_hi:[1,0,0]
	v_mov_b32_e32 v61, v57
	v_pk_add_f32 v[4:5], v[4:5], v[52:53]
	s_waitcnt vmcnt(2)
	v_pk_fma_f32 v[64:65], v[70:71], v[66:67], v[80:81] op_sel:[0,0,1] op_sel_hi:[1,1,0] neg_lo:[0,0,1] neg_hi:[0,0,1]
	v_pk_fma_f32 v[66:67], v[70:71], v[66:67], v[80:81] op_sel:[0,0,1] op_sel_hi:[1,0,0]
	v_mov_b32_e32 v63, v59
	v_pk_add_f32 v[4:5], v[4:5], v[60:61]
	v_mov_b32_e32 v65, v67
	v_pk_add_f32 v[4:5], v[4:5], v[62:63]
	v_pk_add_f32 v[4:5], v[4:5], v[64:65]
	s_waitcnt vmcnt(0)
	v_pk_add_f32 v[4:5], v[68:69], v[4:5] neg_lo:[0,1] neg_hi:[0,1]
	buffer_store_dword v4, off, s[0:3], 0 offset:136
	buffer_store_dword v5, off, s[0:3], 0 offset:140
	s_and_saveexec_b64 s[4:5], vcc
	s_cbranch_execz .LBB86_119
; %bb.118:
	buffer_load_dword v4, off, s[0:3], 0 offset:128
	buffer_load_dword v5, off, s[0:3], 0 offset:132
	s_waitcnt vmcnt(0)
	ds_write_b64 v1, v[4:5]
	buffer_store_dword v2, off, s[0:3], 0 offset:128
	buffer_store_dword v2, off, s[0:3], 0 offset:132
.LBB86_119:
	s_or_b64 exec, exec, s[4:5]
	s_waitcnt lgkmcnt(0)
	; wave barrier
	s_waitcnt lgkmcnt(0)
	buffer_load_dword v61, off, s[0:3], 0 offset:140
	buffer_load_dword v63, off, s[0:3], 0 offset:148
	;; [unrolled: 1-line block ×14, first 2 shown]
	ds_read2_b64 v[52:55], v2 offset0:41 offset1:42
	ds_read2_b64 v[56:59], v2 offset0:43 offset1:44
	;; [unrolled: 1-line block ×3, first 2 shown]
	v_cmp_lt_u32_e32 vcc, 15, v0
	s_waitcnt vmcnt(13)
	v_mov_b32_e32 v74, v61
	s_waitcnt vmcnt(12)
	v_mov_b32_e32 v76, v63
	;; [unrolled: 2-line block ×5, first 2 shown]
	s_waitcnt lgkmcnt(2)
	v_pk_mul_f32 v[74:75], v[52:53], v[74:75] op_sel_hi:[1,0]
	v_pk_mul_f32 v[76:77], v[54:55], v[76:77] op_sel_hi:[1,0]
	s_waitcnt lgkmcnt(1)
	v_pk_mul_f32 v[78:79], v[56:57], v[78:79] op_sel_hi:[1,0]
	v_pk_mul_f32 v[80:81], v[58:59], v[80:81] op_sel_hi:[1,0]
	s_waitcnt lgkmcnt(0)
	v_pk_mul_f32 v[82:83], v[2:3], v[82:83] op_sel_hi:[1,0]
	s_waitcnt vmcnt(7)
	v_pk_fma_f32 v[86:87], v[52:53], v[60:61], v[74:75] op_sel:[0,0,1] op_sel_hi:[1,1,0] neg_lo:[0,0,1] neg_hi:[0,0,1]
	v_pk_fma_f32 v[52:53], v[52:53], v[60:61], v[74:75] op_sel:[0,0,1] op_sel_hi:[1,0,0]
	s_waitcnt vmcnt(6)
	v_pk_fma_f32 v[60:61], v[54:55], v[62:63], v[76:77] op_sel:[0,0,1] op_sel_hi:[1,1,0] neg_lo:[0,0,1] neg_hi:[0,0,1]
	v_pk_fma_f32 v[54:55], v[54:55], v[62:63], v[76:77] op_sel:[0,0,1] op_sel_hi:[1,0,0]
	;; [unrolled: 3-line block ×5, first 2 shown]
	v_mov_b32_e32 v87, v53
	v_mov_b32_e32 v61, v55
	;; [unrolled: 1-line block ×3, first 2 shown]
	v_pk_add_f32 v[2:3], v[86:87], 0 op_sel_hi:[1,0]
	v_mov_b32_e32 v84, v71
	v_mov_b32_e32 v63, v57
	v_pk_add_f32 v[2:3], v[2:3], v[60:61]
	v_pk_mul_f32 v[84:85], v[4:5], v[84:85] op_sel_hi:[1,0]
	v_mov_b32_e32 v65, v59
	v_pk_add_f32 v[2:3], v[2:3], v[62:63]
	s_waitcnt vmcnt(2)
	v_pk_fma_f32 v[68:69], v[4:5], v[70:71], v[84:85] op_sel:[0,0,1] op_sel_hi:[1,1,0] neg_lo:[0,0,1] neg_hi:[0,0,1]
	v_pk_fma_f32 v[4:5], v[4:5], v[70:71], v[84:85] op_sel:[0,0,1] op_sel_hi:[1,0,0]
	v_pk_add_f32 v[2:3], v[2:3], v[64:65]
	v_mov_b32_e32 v69, v5
	v_pk_add_f32 v[2:3], v[2:3], v[66:67]
	v_pk_add_f32 v[2:3], v[2:3], v[68:69]
	s_waitcnt vmcnt(0)
	v_pk_add_f32 v[2:3], v[72:73], v[2:3] neg_lo:[0,1] neg_hi:[0,1]
	buffer_store_dword v2, off, s[0:3], 0 offset:128
	buffer_store_dword v3, off, s[0:3], 0 offset:132
	s_and_saveexec_b64 s[4:5], vcc
	s_cbranch_execz .LBB86_121
; %bb.120:
	buffer_load_dword v2, off, s[0:3], 0 offset:120
	buffer_load_dword v3, off, s[0:3], 0 offset:124
	v_mov_b32_e32 v4, 0
	buffer_store_dword v4, off, s[0:3], 0 offset:120
	buffer_store_dword v4, off, s[0:3], 0 offset:124
	s_waitcnt vmcnt(2)
	ds_write_b64 v1, v[2:3]
.LBB86_121:
	s_or_b64 exec, exec, s[4:5]
	s_waitcnt lgkmcnt(0)
	; wave barrier
	s_waitcnt lgkmcnt(0)
	buffer_load_dword v5, off, s[0:3], 0 offset:132
	buffer_load_dword v65, off, s[0:3], 0 offset:140
	;; [unrolled: 1-line block ×16, first 2 shown]
	v_mov_b32_e32 v2, 0
	ds_read_b128 v[52:55], v2 offset:320
	ds_read_b128 v[56:59], v2 offset:336
	;; [unrolled: 1-line block ×3, first 2 shown]
	ds_read_b64 v[78:79], v2 offset:368
	v_cmp_lt_u32_e32 vcc, 14, v0
	s_waitcnt vmcnt(15)
	v_mov_b32_e32 v80, v5
	s_waitcnt vmcnt(14)
	v_mov_b32_e32 v82, v65
	s_waitcnt lgkmcnt(3)
	v_pk_mul_f32 v[80:81], v[52:53], v[80:81] op_sel_hi:[1,0]
	s_waitcnt vmcnt(13)
	v_mov_b32_e32 v84, v67
	v_pk_mul_f32 v[82:83], v[54:55], v[82:83] op_sel_hi:[1,0]
	s_waitcnt vmcnt(12)
	v_mov_b32_e32 v86, v69
	s_waitcnt lgkmcnt(2)
	v_pk_mul_f32 v[84:85], v[56:57], v[84:85] op_sel_hi:[1,0]
	s_waitcnt vmcnt(8)
	v_pk_fma_f32 v[94:95], v[52:53], v[4:5], v[80:81] op_sel:[0,0,1] op_sel_hi:[1,1,0] neg_lo:[0,0,1] neg_hi:[0,0,1]
	v_pk_fma_f32 v[4:5], v[52:53], v[4:5], v[80:81] op_sel:[0,0,1] op_sel_hi:[1,0,0]
	s_waitcnt vmcnt(7)
	v_pk_fma_f32 v[52:53], v[54:55], v[64:65], v[82:83] op_sel:[0,0,1] op_sel_hi:[1,1,0] neg_lo:[0,0,1] neg_hi:[0,0,1]
	v_pk_fma_f32 v[54:55], v[54:55], v[64:65], v[82:83] op_sel:[0,0,1] op_sel_hi:[1,0,0]
	v_mov_b32_e32 v95, v5
	v_mov_b32_e32 v88, v71
	v_pk_mul_f32 v[86:87], v[58:59], v[86:87] op_sel_hi:[1,0]
	s_waitcnt vmcnt(6)
	v_pk_fma_f32 v[64:65], v[56:57], v[66:67], v[84:85] op_sel:[0,0,1] op_sel_hi:[1,1,0] neg_lo:[0,0,1] neg_hi:[0,0,1]
	v_pk_fma_f32 v[56:57], v[56:57], v[66:67], v[84:85] op_sel:[0,0,1] op_sel_hi:[1,0,0]
	v_mov_b32_e32 v53, v55
	v_pk_add_f32 v[4:5], v[94:95], 0 op_sel_hi:[1,0]
	v_mov_b32_e32 v90, v73
	s_waitcnt lgkmcnt(1)
	v_pk_mul_f32 v[88:89], v[60:61], v[88:89] op_sel_hi:[1,0]
	s_waitcnt vmcnt(5)
	v_pk_fma_f32 v[66:67], v[58:59], v[68:69], v[86:87] op_sel:[0,0,1] op_sel_hi:[1,1,0] neg_lo:[0,0,1] neg_hi:[0,0,1]
	v_pk_fma_f32 v[58:59], v[58:59], v[68:69], v[86:87] op_sel:[0,0,1] op_sel_hi:[1,0,0]
	v_mov_b32_e32 v65, v57
	v_pk_add_f32 v[4:5], v[4:5], v[52:53]
	v_mov_b32_e32 v92, v75
	v_pk_mul_f32 v[90:91], v[62:63], v[90:91] op_sel_hi:[1,0]
	s_waitcnt vmcnt(4)
	v_pk_fma_f32 v[68:69], v[60:61], v[70:71], v[88:89] op_sel:[0,0,1] op_sel_hi:[1,1,0] neg_lo:[0,0,1] neg_hi:[0,0,1]
	v_pk_fma_f32 v[60:61], v[60:61], v[70:71], v[88:89] op_sel:[0,0,1] op_sel_hi:[1,0,0]
	v_mov_b32_e32 v67, v59
	v_pk_add_f32 v[4:5], v[4:5], v[64:65]
	s_waitcnt lgkmcnt(0)
	v_pk_mul_f32 v[92:93], v[78:79], v[92:93] op_sel_hi:[1,0]
	s_waitcnt vmcnt(3)
	v_pk_fma_f32 v[70:71], v[62:63], v[72:73], v[90:91] op_sel:[0,0,1] op_sel_hi:[1,1,0] neg_lo:[0,0,1] neg_hi:[0,0,1]
	v_pk_fma_f32 v[62:63], v[62:63], v[72:73], v[90:91] op_sel:[0,0,1] op_sel_hi:[1,0,0]
	v_mov_b32_e32 v69, v61
	v_pk_add_f32 v[4:5], v[4:5], v[66:67]
	s_waitcnt vmcnt(2)
	v_pk_fma_f32 v[72:73], v[78:79], v[74:75], v[92:93] op_sel:[0,0,1] op_sel_hi:[1,1,0] neg_lo:[0,0,1] neg_hi:[0,0,1]
	v_pk_fma_f32 v[74:75], v[78:79], v[74:75], v[92:93] op_sel:[0,0,1] op_sel_hi:[1,0,0]
	v_mov_b32_e32 v71, v63
	v_pk_add_f32 v[4:5], v[4:5], v[68:69]
	v_mov_b32_e32 v73, v75
	v_pk_add_f32 v[4:5], v[4:5], v[70:71]
	v_pk_add_f32 v[4:5], v[4:5], v[72:73]
	s_waitcnt vmcnt(0)
	v_pk_add_f32 v[4:5], v[76:77], v[4:5] neg_lo:[0,1] neg_hi:[0,1]
	buffer_store_dword v4, off, s[0:3], 0 offset:120
	buffer_store_dword v5, off, s[0:3], 0 offset:124
	s_and_saveexec_b64 s[4:5], vcc
	s_cbranch_execz .LBB86_123
; %bb.122:
	buffer_load_dword v4, off, s[0:3], 0 offset:112
	buffer_load_dword v5, off, s[0:3], 0 offset:116
	s_waitcnt vmcnt(0)
	ds_write_b64 v1, v[4:5]
	buffer_store_dword v2, off, s[0:3], 0 offset:112
	buffer_store_dword v2, off, s[0:3], 0 offset:116
.LBB86_123:
	s_or_b64 exec, exec, s[4:5]
	s_waitcnt lgkmcnt(0)
	; wave barrier
	s_waitcnt lgkmcnt(0)
	buffer_load_dword v65, off, s[0:3], 0 offset:124
	buffer_load_dword v67, off, s[0:3], 0 offset:132
	;; [unrolled: 1-line block ×18, first 2 shown]
	ds_read2_b64 v[52:55], v2 offset0:39 offset1:40
	ds_read2_b64 v[56:59], v2 offset0:41 offset1:42
	ds_read2_b64 v[60:63], v2 offset0:43 offset1:44
	ds_read2_b64 v[2:5], v2 offset0:45 offset1:46
	v_cmp_lt_u32_e32 vcc, 13, v0
	s_waitcnt vmcnt(17)
	v_mov_b32_e32 v82, v65
	s_waitcnt vmcnt(16)
	v_mov_b32_e32 v84, v67
	;; [unrolled: 2-line block ×7, first 2 shown]
	s_waitcnt lgkmcnt(3)
	v_pk_mul_f32 v[82:83], v[52:53], v[82:83] op_sel_hi:[1,0]
	v_pk_mul_f32 v[84:85], v[54:55], v[84:85] op_sel_hi:[1,0]
	s_waitcnt lgkmcnt(2)
	v_pk_mul_f32 v[86:87], v[56:57], v[86:87] op_sel_hi:[1,0]
	v_pk_mul_f32 v[88:89], v[58:59], v[88:89] op_sel_hi:[1,0]
	;; [unrolled: 3-line block ×3, first 2 shown]
	s_waitcnt lgkmcnt(0)
	v_pk_mul_f32 v[94:95], v[2:3], v[94:95] op_sel_hi:[1,0]
	s_waitcnt vmcnt(9)
	v_pk_fma_f32 v[98:99], v[52:53], v[64:65], v[82:83] op_sel:[0,0,1] op_sel_hi:[1,1,0] neg_lo:[0,0,1] neg_hi:[0,0,1]
	v_pk_fma_f32 v[52:53], v[52:53], v[64:65], v[82:83] op_sel:[0,0,1] op_sel_hi:[1,0,0]
	s_waitcnt vmcnt(8)
	v_pk_fma_f32 v[64:65], v[54:55], v[66:67], v[84:85] op_sel:[0,0,1] op_sel_hi:[1,1,0] neg_lo:[0,0,1] neg_hi:[0,0,1]
	v_pk_fma_f32 v[54:55], v[54:55], v[66:67], v[84:85] op_sel:[0,0,1] op_sel_hi:[1,0,0]
	;; [unrolled: 3-line block ×7, first 2 shown]
	v_mov_b32_e32 v99, v53
	v_mov_b32_e32 v65, v55
	;; [unrolled: 1-line block ×3, first 2 shown]
	v_pk_add_f32 v[2:3], v[98:99], 0 op_sel_hi:[1,0]
	v_mov_b32_e32 v67, v57
	v_pk_add_f32 v[2:3], v[2:3], v[64:65]
	v_mov_b32_e32 v69, v59
	v_pk_add_f32 v[2:3], v[2:3], v[66:67]
	v_mov_b32_e32 v96, v79
	v_mov_b32_e32 v71, v61
	v_pk_add_f32 v[2:3], v[2:3], v[68:69]
	v_pk_mul_f32 v[96:97], v[4:5], v[96:97] op_sel_hi:[1,0]
	v_mov_b32_e32 v73, v63
	v_pk_add_f32 v[2:3], v[2:3], v[70:71]
	s_waitcnt vmcnt(2)
	v_pk_fma_f32 v[76:77], v[4:5], v[78:79], v[96:97] op_sel:[0,0,1] op_sel_hi:[1,1,0] neg_lo:[0,0,1] neg_hi:[0,0,1]
	v_pk_fma_f32 v[4:5], v[4:5], v[78:79], v[96:97] op_sel:[0,0,1] op_sel_hi:[1,0,0]
	v_pk_add_f32 v[2:3], v[2:3], v[72:73]
	v_mov_b32_e32 v77, v5
	v_pk_add_f32 v[2:3], v[2:3], v[74:75]
	v_pk_add_f32 v[2:3], v[2:3], v[76:77]
	s_waitcnt vmcnt(0)
	v_pk_add_f32 v[2:3], v[80:81], v[2:3] neg_lo:[0,1] neg_hi:[0,1]
	buffer_store_dword v2, off, s[0:3], 0 offset:112
	buffer_store_dword v3, off, s[0:3], 0 offset:116
	s_and_saveexec_b64 s[4:5], vcc
	s_cbranch_execz .LBB86_125
; %bb.124:
	buffer_load_dword v2, off, s[0:3], 0 offset:104
	buffer_load_dword v3, off, s[0:3], 0 offset:108
	v_mov_b32_e32 v4, 0
	buffer_store_dword v4, off, s[0:3], 0 offset:104
	buffer_store_dword v4, off, s[0:3], 0 offset:108
	s_waitcnt vmcnt(2)
	ds_write_b64 v1, v[2:3]
.LBB86_125:
	s_or_b64 exec, exec, s[4:5]
	s_waitcnt lgkmcnt(0)
	; wave barrier
	s_waitcnt lgkmcnt(0)
	buffer_load_dword v3, off, s[0:3], 0 offset:116
	buffer_load_dword v5, off, s[0:3], 0 offset:124
	;; [unrolled: 1-line block ×20, first 2 shown]
	v_mov_b32_e32 v2, 0
	ds_read_b128 v[52:55], v2 offset:304
	ds_read_b128 v[56:59], v2 offset:320
	;; [unrolled: 1-line block ×4, first 2 shown]
	ds_read_b64 v[84:85], v2 offset:368
	v_cmp_lt_u32_e32 vcc, 12, v0
	s_waitcnt vmcnt(19) lgkmcnt(4)
	v_mul_f32_e32 v87, v52, v3
	v_mul_f32_e32 v3, v53, v3
	s_waitcnt vmcnt(18)
	v_mov_b32_e32 v88, v5
	s_waitcnt vmcnt(17)
	v_mov_b32_e32 v90, v69
	;; [unrolled: 2-line block ×8, first 2 shown]
	s_waitcnt vmcnt(10)
	v_fmac_f32_e32 v87, v53, v86
	v_fma_f32 v86, v52, v86, -v3
	v_pk_mul_f32 v[52:53], v[54:55], v[88:89] op_sel_hi:[1,0]
	s_waitcnt lgkmcnt(3)
	v_pk_mul_f32 v[88:89], v[56:57], v[90:91] op_sel_hi:[1,0]
	v_pk_mul_f32 v[90:91], v[58:59], v[92:93] op_sel_hi:[1,0]
	s_waitcnt lgkmcnt(2)
	v_pk_mul_f32 v[92:93], v[60:61], v[94:95] op_sel_hi:[1,0]
	;; [unrolled: 3-line block ×4, first 2 shown]
	s_waitcnt vmcnt(9)
	v_pk_fma_f32 v[102:103], v[54:55], v[4:5], v[52:53] op_sel:[0,0,1] op_sel_hi:[1,1,0] neg_lo:[0,0,1] neg_hi:[0,0,1]
	v_pk_fma_f32 v[4:5], v[54:55], v[4:5], v[52:53] op_sel:[0,0,1] op_sel_hi:[1,0,0]
	v_pk_add_f32 v[86:87], v[86:87], 0 op_sel_hi:[1,0]
	s_waitcnt vmcnt(8)
	v_pk_fma_f32 v[52:53], v[56:57], v[68:69], v[88:89] op_sel:[0,0,1] op_sel_hi:[1,1,0] neg_lo:[0,0,1] neg_hi:[0,0,1]
	v_pk_fma_f32 v[54:55], v[56:57], v[68:69], v[88:89] op_sel:[0,0,1] op_sel_hi:[1,0,0]
	v_mov_b32_e32 v103, v5
	s_waitcnt vmcnt(7)
	v_pk_fma_f32 v[56:57], v[58:59], v[70:71], v[90:91] op_sel:[0,0,1] op_sel_hi:[1,1,0] neg_lo:[0,0,1] neg_hi:[0,0,1]
	v_pk_fma_f32 v[58:59], v[58:59], v[70:71], v[90:91] op_sel:[0,0,1] op_sel_hi:[1,0,0]
	v_mov_b32_e32 v53, v55
	v_pk_add_f32 v[4:5], v[86:87], v[102:103]
	s_waitcnt vmcnt(6)
	v_pk_fma_f32 v[68:69], v[60:61], v[72:73], v[92:93] op_sel:[0,0,1] op_sel_hi:[1,1,0] neg_lo:[0,0,1] neg_hi:[0,0,1]
	v_pk_fma_f32 v[60:61], v[60:61], v[72:73], v[92:93] op_sel:[0,0,1] op_sel_hi:[1,0,0]
	v_mov_b32_e32 v57, v59
	v_pk_add_f32 v[4:5], v[4:5], v[52:53]
	;; [unrolled: 5-line block ×5, first 2 shown]
	v_pk_fma_f32 v[76:77], v[84:85], v[80:81], v[100:101] op_sel:[0,0,1] op_sel_hi:[1,1,0] neg_lo:[0,0,1] neg_hi:[0,0,1]
	v_pk_fma_f32 v[78:79], v[84:85], v[80:81], v[100:101] op_sel:[0,0,1] op_sel_hi:[1,0,0]
	v_mov_b32_e32 v75, v67
	v_pk_add_f32 v[4:5], v[4:5], v[72:73]
	v_mov_b32_e32 v77, v79
	v_pk_add_f32 v[4:5], v[4:5], v[74:75]
	v_pk_add_f32 v[4:5], v[4:5], v[76:77]
	s_waitcnt vmcnt(0)
	v_pk_add_f32 v[4:5], v[82:83], v[4:5] neg_lo:[0,1] neg_hi:[0,1]
	buffer_store_dword v4, off, s[0:3], 0 offset:104
	buffer_store_dword v5, off, s[0:3], 0 offset:108
	s_and_saveexec_b64 s[4:5], vcc
	s_cbranch_execz .LBB86_127
; %bb.126:
	buffer_load_dword v4, off, s[0:3], 0 offset:96
	buffer_load_dword v5, off, s[0:3], 0 offset:100
	s_waitcnt vmcnt(0)
	ds_write_b64 v1, v[4:5]
	buffer_store_dword v2, off, s[0:3], 0 offset:96
	buffer_store_dword v2, off, s[0:3], 0 offset:100
.LBB86_127:
	s_or_b64 exec, exec, s[4:5]
	s_waitcnt lgkmcnt(0)
	; wave barrier
	s_waitcnt lgkmcnt(0)
	buffer_load_dword v86, off, s[0:3], 0 offset:108
	buffer_load_dword v88, off, s[0:3], 0 offset:116
	;; [unrolled: 1-line block ×22, first 2 shown]
	ds_read2_b64 v[52:55], v2 offset0:37 offset1:38
	ds_read2_b64 v[56:59], v2 offset0:39 offset1:40
	;; [unrolled: 1-line block ×5, first 2 shown]
	v_cmp_lt_u32_e32 vcc, 11, v0
	s_waitcnt vmcnt(21) lgkmcnt(4)
	v_mul_f32_e32 v87, v52, v86
	v_mul_f32_e32 v86, v53, v86
	s_waitcnt vmcnt(19)
	v_mov_b32_e32 v90, v69
	v_mul_f32_e32 v89, v54, v88
	v_mul_f32_e32 v88, v55, v88
	s_waitcnt vmcnt(18)
	v_mov_b32_e32 v92, v71
	s_waitcnt vmcnt(17)
	v_mov_b32_e32 v94, v73
	;; [unrolled: 2-line block ×6, first 2 shown]
	s_waitcnt vmcnt(11)
	v_fmac_f32_e32 v87, v53, v91
	v_fma_f32 v86, v52, v91, -v86
	s_waitcnt lgkmcnt(3)
	v_pk_mul_f32 v[52:53], v[56:57], v[90:91] op_sel_hi:[1,0]
	s_waitcnt vmcnt(10)
	v_fmac_f32_e32 v89, v55, v93
	v_fma_f32 v88, v54, v93, -v88
	v_pk_mul_f32 v[54:55], v[58:59], v[92:93] op_sel_hi:[1,0]
	s_waitcnt lgkmcnt(2)
	v_pk_mul_f32 v[90:91], v[60:61], v[94:95] op_sel_hi:[1,0]
	v_pk_mul_f32 v[92:93], v[62:63], v[96:97] op_sel_hi:[1,0]
	s_waitcnt lgkmcnt(1)
	v_pk_mul_f32 v[94:95], v[64:65], v[98:99] op_sel_hi:[1,0]
	;; [unrolled: 3-line block ×3, first 2 shown]
	v_pk_add_f32 v[86:87], v[86:87], 0 op_sel_hi:[1,0]
	s_waitcnt vmcnt(9)
	v_pk_fma_f32 v[102:103], v[56:57], v[68:69], v[52:53] op_sel:[0,0,1] op_sel_hi:[1,1,0] neg_lo:[0,0,1] neg_hi:[0,0,1]
	v_pk_fma_f32 v[52:53], v[56:57], v[68:69], v[52:53] op_sel:[0,0,1] op_sel_hi:[1,0,0]
	s_waitcnt vmcnt(8)
	v_pk_fma_f32 v[56:57], v[58:59], v[70:71], v[54:55] op_sel:[0,0,1] op_sel_hi:[1,1,0] neg_lo:[0,0,1] neg_hi:[0,0,1]
	v_pk_fma_f32 v[54:55], v[58:59], v[70:71], v[54:55] op_sel:[0,0,1] op_sel_hi:[1,0,0]
	;; [unrolled: 3-line block ×5, first 2 shown]
	v_pk_fma_f32 v[74:75], v[2:3], v[80:81], v[98:99] op_sel:[0,0,1] op_sel_hi:[1,1,0] neg_lo:[0,0,1] neg_hi:[0,0,1]
	v_pk_fma_f32 v[2:3], v[2:3], v[80:81], v[98:99] op_sel:[0,0,1] op_sel_hi:[1,0,0]
	v_pk_add_f32 v[78:79], v[86:87], v[88:89]
	v_mov_b32_e32 v103, v53
	v_mov_b32_e32 v57, v55
	;; [unrolled: 1-line block ×3, first 2 shown]
	v_pk_add_f32 v[2:3], v[78:79], v[102:103]
	v_mov_b32_e32 v59, v61
	v_pk_add_f32 v[2:3], v[2:3], v[56:57]
	v_pk_fma_f32 v[70:71], v[64:65], v[76:77], v[94:95] op_sel:[0,0,1] op_sel_hi:[1,1,0] neg_lo:[0,0,1] neg_hi:[0,0,1]
	v_pk_fma_f32 v[64:65], v[64:65], v[76:77], v[94:95] op_sel:[0,0,1] op_sel_hi:[1,0,0]
	v_mov_b32_e32 v69, v63
	v_pk_add_f32 v[2:3], v[2:3], v[58:59]
	v_mov_b32_e32 v104, v83
	v_mov_b32_e32 v71, v65
	v_pk_add_f32 v[2:3], v[2:3], v[68:69]
	v_pk_mul_f32 v[100:101], v[4:5], v[104:105] op_sel_hi:[1,0]
	v_mov_b32_e32 v73, v67
	v_pk_add_f32 v[2:3], v[2:3], v[70:71]
	v_pk_fma_f32 v[76:77], v[4:5], v[82:83], v[100:101] op_sel:[0,0,1] op_sel_hi:[1,1,0] neg_lo:[0,0,1] neg_hi:[0,0,1]
	v_pk_fma_f32 v[4:5], v[4:5], v[82:83], v[100:101] op_sel:[0,0,1] op_sel_hi:[1,0,0]
	v_pk_add_f32 v[2:3], v[2:3], v[72:73]
	v_mov_b32_e32 v77, v5
	v_pk_add_f32 v[2:3], v[2:3], v[74:75]
	v_pk_add_f32 v[2:3], v[2:3], v[76:77]
	s_waitcnt vmcnt(0)
	v_pk_add_f32 v[2:3], v[84:85], v[2:3] neg_lo:[0,1] neg_hi:[0,1]
	buffer_store_dword v2, off, s[0:3], 0 offset:96
	buffer_store_dword v3, off, s[0:3], 0 offset:100
	s_and_saveexec_b64 s[4:5], vcc
	s_cbranch_execz .LBB86_129
; %bb.128:
	buffer_load_dword v2, off, s[0:3], 0 offset:88
	buffer_load_dword v3, off, s[0:3], 0 offset:92
	v_mov_b32_e32 v4, 0
	buffer_store_dword v4, off, s[0:3], 0 offset:88
	buffer_store_dword v4, off, s[0:3], 0 offset:92
	s_waitcnt vmcnt(2)
	ds_write_b64 v1, v[2:3]
.LBB86_129:
	s_or_b64 exec, exec, s[4:5]
	s_waitcnt lgkmcnt(0)
	; wave barrier
	s_waitcnt lgkmcnt(0)
	buffer_load_dword v3, off, s[0:3], 0 offset:100
	buffer_load_dword v90, off, s[0:3], 0 offset:108
	;; [unrolled: 1-line block ×24, first 2 shown]
	v_mov_b32_e32 v2, 0
	ds_read_b128 v[52:55], v2 offset:288
	ds_read_b128 v[56:59], v2 offset:304
	;; [unrolled: 1-line block ×5, first 2 shown]
	ds_read_b64 v[88:89], v2 offset:368
	v_cmp_lt_u32_e32 vcc, 10, v0
	s_waitcnt vmcnt(23) lgkmcnt(5)
	v_mul_f32_e32 v103, v52, v3
	v_mul_f32_e32 v3, v53, v3
	s_waitcnt vmcnt(22)
	v_mul_f32_e32 v91, v54, v90
	s_waitcnt vmcnt(21) lgkmcnt(4)
	v_mul_f32_e32 v93, v56, v92
	v_mul_f32_e32 v90, v55, v90
	;; [unrolled: 1-line block ×3, first 2 shown]
	s_waitcnt vmcnt(20)
	v_mov_b32_e32 v94, v5
	s_waitcnt vmcnt(19)
	v_mov_b32_e32 v96, v73
	;; [unrolled: 2-line block ×5, first 2 shown]
	s_waitcnt vmcnt(12)
	v_fmac_f32_e32 v103, v53, v95
	v_fma_f32 v3, v52, v95, -v3
	v_mov_b32_e32 v104, v81
	s_waitcnt vmcnt(11)
	v_fmac_f32_e32 v91, v55, v97
	s_waitcnt vmcnt(10)
	v_fmac_f32_e32 v93, v57, v99
	v_fma_f32 v90, v54, v97, -v90
	v_fma_f32 v92, v56, v99, -v92
	v_pk_mul_f32 v[52:53], v[58:59], v[94:95] op_sel_hi:[1,0]
	s_waitcnt lgkmcnt(3)
	v_pk_mul_f32 v[54:55], v[60:61], v[96:97] op_sel_hi:[1,0]
	v_pk_mul_f32 v[56:57], v[62:63], v[98:99] op_sel_hi:[1,0]
	s_waitcnt lgkmcnt(2)
	v_pk_mul_f32 v[94:95], v[64:65], v[100:101] op_sel_hi:[1,0]
	v_pk_mul_f32 v[96:97], v[66:67], v[102:103] op_sel_hi:[1,0]
	v_add_f32_e32 v103, 0, v103
	v_add_f32_e32 v102, 0, v3
	s_waitcnt lgkmcnt(1)
	v_pk_mul_f32 v[98:99], v[68:69], v[104:105] op_sel_hi:[1,0]
	s_waitcnt vmcnt(9)
	v_pk_fma_f32 v[104:105], v[58:59], v[4:5], v[52:53] op_sel:[0,0,1] op_sel_hi:[1,1,0] neg_lo:[0,0,1] neg_hi:[0,0,1]
	v_pk_fma_f32 v[4:5], v[58:59], v[4:5], v[52:53] op_sel:[0,0,1] op_sel_hi:[1,0,0]
	s_waitcnt vmcnt(8)
	v_pk_fma_f32 v[52:53], v[60:61], v[72:73], v[54:55] op_sel:[0,0,1] op_sel_hi:[1,1,0] neg_lo:[0,0,1] neg_hi:[0,0,1]
	v_pk_fma_f32 v[54:55], v[60:61], v[72:73], v[54:55] op_sel:[0,0,1] op_sel_hi:[1,0,0]
	;; [unrolled: 3-line block ×4, first 2 shown]
	v_pk_add_f32 v[76:77], v[102:103], v[90:91]
	v_mov_b32_e32 v105, v5
	v_pk_add_f32 v[4:5], v[76:77], v[92:93]
	v_mov_b32_e32 v53, v55
	;; [unrolled: 2-line block ×4, first 2 shown]
	s_waitcnt vmcnt(2)
	v_pk_fma_f32 v[64:65], v[66:67], v[78:79], v[96:97] op_sel:[0,0,1] op_sel_hi:[1,1,0] neg_lo:[0,0,1] neg_hi:[0,0,1]
	v_pk_fma_f32 v[66:67], v[66:67], v[78:79], v[96:97] op_sel:[0,0,1] op_sel_hi:[1,0,0]
	v_mov_b32_e32 v61, v63
	v_pk_add_f32 v[4:5], v[4:5], v[58:59]
	v_mov_b32_e32 v108, v85
	v_pk_mul_f32 v[100:101], v[70:71], v[106:107] op_sel_hi:[1,0]
	v_pk_fma_f32 v[72:73], v[68:69], v[80:81], v[98:99] op_sel:[0,0,1] op_sel_hi:[1,1,0] neg_lo:[0,0,1] neg_hi:[0,0,1]
	v_pk_fma_f32 v[68:69], v[68:69], v[80:81], v[98:99] op_sel:[0,0,1] op_sel_hi:[1,0,0]
	v_mov_b32_e32 v65, v67
	v_pk_add_f32 v[4:5], v[4:5], v[60:61]
	v_pk_fma_f32 v[74:75], v[70:71], v[82:83], v[100:101] op_sel:[0,0,1] op_sel_hi:[1,1,0] neg_lo:[0,0,1] neg_hi:[0,0,1]
	v_pk_fma_f32 v[70:71], v[70:71], v[82:83], v[100:101] op_sel:[0,0,1] op_sel_hi:[1,0,0]
	v_mov_b32_e32 v73, v69
	v_pk_add_f32 v[4:5], v[4:5], v[64:65]
	s_waitcnt lgkmcnt(0)
	v_pk_mul_f32 v[52:53], v[88:89], v[108:109] op_sel_hi:[1,0]
	v_mov_b32_e32 v75, v71
	v_pk_add_f32 v[4:5], v[4:5], v[72:73]
	v_pk_fma_f32 v[54:55], v[88:89], v[84:85], v[52:53] op_sel:[0,0,1] op_sel_hi:[1,1,0] neg_lo:[0,0,1] neg_hi:[0,0,1]
	v_pk_fma_f32 v[52:53], v[88:89], v[84:85], v[52:53] op_sel:[0,0,1] op_sel_hi:[1,0,0]
	v_pk_add_f32 v[4:5], v[4:5], v[74:75]
	v_mov_b32_e32 v55, v53
	v_pk_add_f32 v[4:5], v[4:5], v[54:55]
	s_waitcnt vmcnt(0)
	v_pk_add_f32 v[4:5], v[86:87], v[4:5] neg_lo:[0,1] neg_hi:[0,1]
	buffer_store_dword v5, off, s[0:3], 0 offset:92
	buffer_store_dword v4, off, s[0:3], 0 offset:88
	s_and_saveexec_b64 s[4:5], vcc
	s_cbranch_execz .LBB86_131
; %bb.130:
	buffer_load_dword v4, off, s[0:3], 0 offset:80
	buffer_load_dword v5, off, s[0:3], 0 offset:84
	s_waitcnt vmcnt(0)
	ds_write_b64 v1, v[4:5]
	buffer_store_dword v2, off, s[0:3], 0 offset:80
	buffer_store_dword v2, off, s[0:3], 0 offset:84
.LBB86_131:
	s_or_b64 exec, exec, s[4:5]
	s_waitcnt lgkmcnt(0)
	; wave barrier
	s_waitcnt lgkmcnt(0)
	buffer_load_dword v90, off, s[0:3], 0 offset:92
	buffer_load_dword v92, off, s[0:3], 0 offset:100
	;; [unrolled: 1-line block ×26, first 2 shown]
	ds_read2_b64 v[52:55], v2 offset0:35 offset1:36
	ds_read2_b64 v[56:59], v2 offset0:37 offset1:38
	;; [unrolled: 1-line block ×6, first 2 shown]
	v_cmp_lt_u32_e32 vcc, 9, v0
	s_waitcnt vmcnt(25) lgkmcnt(5)
	v_mul_f32_e32 v105, v52, v90
	v_mul_f32_e32 v90, v53, v90
	s_waitcnt vmcnt(24)
	v_mul_f32_e32 v106, v54, v92
	s_waitcnt vmcnt(23) lgkmcnt(4)
	v_mul_f32_e32 v91, v56, v94
	s_waitcnt vmcnt(22)
	v_mul_f32_e32 v93, v58, v95
	v_mul_f32_e32 v92, v55, v92
	v_mul_f32_e32 v107, v57, v94
	v_mul_f32_e32 v95, v59, v95
	s_waitcnt vmcnt(21)
	v_mov_b32_e32 v94, v73
	s_waitcnt vmcnt(20)
	v_mov_b32_e32 v96, v75
	;; [unrolled: 2-line block ×3, first 2 shown]
	s_waitcnt vmcnt(15)
	v_fmac_f32_e32 v105, v53, v97
	v_fma_f32 v108, v52, v97, -v90
	v_mov_b32_e32 v98, v77
	s_waitcnt vmcnt(14)
	v_fmac_f32_e32 v106, v55, v99
	s_waitcnt vmcnt(13)
	v_fmac_f32_e32 v91, v57, v101
	;; [unrolled: 2-line block ×3, first 2 shown]
	v_fma_f32 v109, v54, v99, -v92
	v_fma_f32 v90, v56, v101, -v107
	;; [unrolled: 1-line block ×3, first 2 shown]
	s_waitcnt lgkmcnt(3)
	v_pk_mul_f32 v[52:53], v[60:61], v[94:95] op_sel_hi:[1,0]
	v_pk_mul_f32 v[54:55], v[62:63], v[96:97] op_sel_hi:[1,0]
	s_waitcnt lgkmcnt(2)
	v_pk_mul_f32 v[58:59], v[66:67], v[100:101] op_sel_hi:[1,0]
	v_add_f32_e32 v100, 0, v105
	v_add_f32_e32 v101, 0, v108
	v_pk_mul_f32 v[56:57], v[64:65], v[98:99] op_sel_hi:[1,0]
	s_waitcnt vmcnt(11)
	v_pk_fma_f32 v[98:99], v[60:61], v[72:73], v[52:53] op_sel:[0,0,1] op_sel_hi:[1,1,0] neg_lo:[0,0,1] neg_hi:[0,0,1]
	v_pk_fma_f32 v[52:53], v[60:61], v[72:73], v[52:53] op_sel:[0,0,1] op_sel_hi:[1,0,0]
	s_waitcnt vmcnt(10)
	v_pk_fma_f32 v[60:61], v[62:63], v[74:75], v[54:55] op_sel:[0,0,1] op_sel_hi:[1,1,0] neg_lo:[0,0,1] neg_hi:[0,0,1]
	v_pk_fma_f32 v[54:55], v[62:63], v[74:75], v[54:55] op_sel:[0,0,1] op_sel_hi:[1,0,0]
	v_add_f32_e32 v75, v100, v106
	v_add_f32_e32 v74, v101, v109
	v_mov_b32_e32 v99, v53
	v_pk_add_f32 v[52:53], v[74:75], v[90:91]
	v_pk_add_f32 v[52:53], v[52:53], v[92:93]
	v_mov_b32_e32 v102, v81
	s_waitcnt vmcnt(9)
	v_pk_fma_f32 v[62:63], v[64:65], v[76:77], v[56:57] op_sel:[0,0,1] op_sel_hi:[1,1,0] neg_lo:[0,0,1] neg_hi:[0,0,1]
	v_pk_fma_f32 v[56:57], v[64:65], v[76:77], v[56:57] op_sel:[0,0,1] op_sel_hi:[1,0,0]
	v_mov_b32_e32 v61, v55
	v_pk_add_f32 v[52:53], v[52:53], v[98:99]
	v_mov_b32_e32 v104, v83
	s_waitcnt lgkmcnt(1)
	v_pk_mul_f32 v[94:95], v[68:69], v[102:103] op_sel_hi:[1,0]
	s_waitcnt vmcnt(5)
	v_pk_fma_f32 v[64:65], v[66:67], v[78:79], v[58:59] op_sel:[0,0,1] op_sel_hi:[1,1,0] neg_lo:[0,0,1] neg_hi:[0,0,1]
	v_pk_fma_f32 v[58:59], v[66:67], v[78:79], v[58:59] op_sel:[0,0,1] op_sel_hi:[1,0,0]
	v_mov_b32_e32 v63, v57
	v_pk_add_f32 v[52:53], v[52:53], v[60:61]
	v_pk_mul_f32 v[96:97], v[70:71], v[104:105] op_sel_hi:[1,0]
	v_pk_fma_f32 v[66:67], v[68:69], v[80:81], v[94:95] op_sel:[0,0,1] op_sel_hi:[1,1,0] neg_lo:[0,0,1] neg_hi:[0,0,1]
	v_pk_fma_f32 v[68:69], v[68:69], v[80:81], v[94:95] op_sel:[0,0,1] op_sel_hi:[1,0,0]
	v_mov_b32_e32 v65, v59
	v_pk_add_f32 v[52:53], v[52:53], v[62:63]
	s_waitcnt vmcnt(4)
	v_mov_b32_e32 v54, v85
	v_pk_fma_f32 v[72:73], v[70:71], v[82:83], v[96:97] op_sel:[0,0,1] op_sel_hi:[1,1,0] neg_lo:[0,0,1] neg_hi:[0,0,1]
	v_pk_fma_f32 v[70:71], v[70:71], v[82:83], v[96:97] op_sel:[0,0,1] op_sel_hi:[1,0,0]
	v_mov_b32_e32 v67, v69
	v_pk_add_f32 v[52:53], v[52:53], v[64:65]
	s_waitcnt lgkmcnt(0)
	v_pk_mul_f32 v[54:55], v[2:3], v[54:55] op_sel_hi:[1,0]
	v_mov_b32_e32 v73, v71
	v_pk_add_f32 v[52:53], v[52:53], v[66:67]
	v_pk_fma_f32 v[56:57], v[2:3], v[84:85], v[54:55] op_sel:[0,0,1] op_sel_hi:[1,1,0] neg_lo:[0,0,1] neg_hi:[0,0,1]
	v_pk_fma_f32 v[2:3], v[2:3], v[84:85], v[54:55] op_sel:[0,0,1] op_sel_hi:[1,0,0]
	v_pk_add_f32 v[52:53], v[52:53], v[72:73]
	v_mov_b32_e32 v57, v3
	v_pk_add_f32 v[2:3], v[52:53], v[56:57]
	s_waitcnt vmcnt(3)
	v_mov_b32_e32 v52, v87
	v_pk_mul_f32 v[52:53], v[4:5], v[52:53] op_sel_hi:[1,0]
	s_waitcnt vmcnt(2)
	v_pk_fma_f32 v[54:55], v[4:5], v[86:87], v[52:53] op_sel:[0,0,1] op_sel_hi:[1,1,0] neg_lo:[0,0,1] neg_hi:[0,0,1]
	v_pk_fma_f32 v[4:5], v[4:5], v[86:87], v[52:53] op_sel:[0,0,1] op_sel_hi:[1,0,0]
	v_mov_b32_e32 v55, v5
	v_pk_add_f32 v[2:3], v[2:3], v[54:55]
	s_waitcnt vmcnt(0)
	v_pk_add_f32 v[2:3], v[88:89], v[2:3] neg_lo:[0,1] neg_hi:[0,1]
	buffer_store_dword v3, off, s[0:3], 0 offset:84
	buffer_store_dword v2, off, s[0:3], 0 offset:80
	s_and_saveexec_b64 s[4:5], vcc
	s_cbranch_execz .LBB86_133
; %bb.132:
	buffer_load_dword v2, off, s[0:3], 0 offset:72
	buffer_load_dword v3, off, s[0:3], 0 offset:76
	v_mov_b32_e32 v4, 0
	buffer_store_dword v4, off, s[0:3], 0 offset:72
	buffer_store_dword v4, off, s[0:3], 0 offset:76
	s_waitcnt vmcnt(2)
	ds_write_b64 v1, v[2:3]
.LBB86_133:
	s_or_b64 exec, exec, s[4:5]
	s_waitcnt lgkmcnt(0)
	; wave barrier
	s_waitcnt lgkmcnt(0)
	buffer_load_dword v3, off, s[0:3], 0 offset:84
	buffer_load_dword v94, off, s[0:3], 0 offset:92
	;; [unrolled: 1-line block ×28, first 2 shown]
	v_mov_b32_e32 v2, 0
	ds_read_b128 v[52:55], v2 offset:272
	ds_read_b128 v[56:59], v2 offset:288
	ds_read_b128 v[60:63], v2 offset:304
	ds_read_b128 v[64:67], v2 offset:320
	ds_read_b128 v[68:71], v2 offset:336
	ds_read_b128 v[72:75], v2 offset:352
	ds_read_b64 v[92:93], v2 offset:368
	v_cmp_lt_u32_e32 vcc, 8, v0
	s_waitcnt vmcnt(27) lgkmcnt(6)
	v_mul_f32_e32 v109, v52, v3
	v_mul_f32_e32 v3, v53, v3
	s_waitcnt vmcnt(26)
	v_mul_f32_e32 v110, v54, v94
	s_waitcnt vmcnt(24) lgkmcnt(5)
	v_mul_f32_e32 v95, v58, v98
	s_waitcnt vmcnt(23) lgkmcnt(4)
	v_mul_f32_e32 v97, v60, v99
	v_mul_f32_e32 v112, v59, v98
	;; [unrolled: 1-line block ×3, first 2 shown]
	s_waitcnt vmcnt(22)
	v_mov_b32_e32 v98, v5
	v_mul_f32_e32 v111, v56, v96
	v_mul_f32_e32 v94, v55, v94
	;; [unrolled: 1-line block ×3, first 2 shown]
	s_waitcnt vmcnt(17)
	v_fmac_f32_e32 v109, v53, v101
	v_fma_f32 v3, v52, v101, -v3
	v_pk_mul_f32 v[52:53], v[62:63], v[98:99] op_sel_hi:[1,0]
	s_waitcnt vmcnt(16)
	v_fmac_f32_e32 v110, v55, v103
	s_waitcnt vmcnt(13)
	v_fmac_f32_e32 v97, v61, v108
	v_fma_f32 v101, v54, v103, -v94
	v_fma_f32 v103, v56, v105, -v96
	;; [unrolled: 1-line block ×3, first 2 shown]
	v_add_f32_e32 v98, 0, v109
	v_add_f32_e32 v3, 0, v3
	s_waitcnt vmcnt(12)
	v_pk_fma_f32 v[60:61], v[62:63], v[4:5], v[52:53] op_sel:[0,0,1] op_sel_hi:[1,1,0] neg_lo:[0,0,1] neg_hi:[0,0,1]
	v_pk_fma_f32 v[4:5], v[62:63], v[4:5], v[52:53] op_sel:[0,0,1] op_sel_hi:[1,0,0]
	v_fmac_f32_e32 v111, v57, v105
	v_add_f32_e32 v4, v98, v110
	v_add_f32_e32 v3, v3, v101
	v_mov_b32_e32 v100, v77
	v_fmac_f32_e32 v95, v59, v107
	v_fma_f32 v94, v58, v107, -v112
	v_mov_b32_e32 v61, v5
	v_add_f32_e32 v5, v4, v111
	v_add_f32_e32 v4, v3, v103
	s_waitcnt lgkmcnt(3)
	v_pk_mul_f32 v[54:55], v[64:65], v[100:101] op_sel_hi:[1,0]
	v_pk_add_f32 v[4:5], v[4:5], v[94:95]
	v_mov_b32_e32 v102, v79
	s_waitcnt vmcnt(11)
	v_pk_fma_f32 v[52:53], v[64:65], v[76:77], v[54:55] op_sel:[0,0,1] op_sel_hi:[1,1,0] neg_lo:[0,0,1] neg_hi:[0,0,1]
	v_pk_fma_f32 v[54:55], v[64:65], v[76:77], v[54:55] op_sel:[0,0,1] op_sel_hi:[1,0,0]
	v_pk_add_f32 v[4:5], v[4:5], v[96:97]
	v_mov_b32_e32 v104, v81
	v_mov_b32_e32 v106, v83
	v_pk_mul_f32 v[56:57], v[66:67], v[102:103] op_sel_hi:[1,0]
	v_mov_b32_e32 v53, v55
	v_pk_add_f32 v[4:5], v[4:5], v[60:61]
	s_waitcnt lgkmcnt(2)
	v_pk_mul_f32 v[58:59], v[68:69], v[104:105] op_sel_hi:[1,0]
	s_waitcnt vmcnt(7)
	v_pk_fma_f32 v[62:63], v[66:67], v[78:79], v[56:57] op_sel:[0,0,1] op_sel_hi:[1,1,0] neg_lo:[0,0,1] neg_hi:[0,0,1]
	v_pk_fma_f32 v[56:57], v[66:67], v[78:79], v[56:57] op_sel:[0,0,1] op_sel_hi:[1,0,0]
	v_pk_add_f32 v[4:5], v[4:5], v[52:53]
	v_pk_mul_f32 v[52:53], v[70:71], v[106:107] op_sel_hi:[1,0]
	v_pk_fma_f32 v[64:65], v[68:69], v[80:81], v[58:59] op_sel:[0,0,1] op_sel_hi:[1,1,0] neg_lo:[0,0,1] neg_hi:[0,0,1]
	v_pk_fma_f32 v[58:59], v[68:69], v[80:81], v[58:59] op_sel:[0,0,1] op_sel_hi:[1,0,0]
	v_mov_b32_e32 v63, v57
	v_pk_fma_f32 v[54:55], v[70:71], v[82:83], v[52:53] op_sel:[0,0,1] op_sel_hi:[1,1,0] neg_lo:[0,0,1] neg_hi:[0,0,1]
	v_pk_fma_f32 v[52:53], v[70:71], v[82:83], v[52:53] op_sel:[0,0,1] op_sel_hi:[1,0,0]
	v_mov_b32_e32 v65, v59
	v_pk_add_f32 v[4:5], v[4:5], v[62:63]
	s_waitcnt vmcnt(6)
	v_mov_b32_e32 v52, v85
	v_pk_add_f32 v[4:5], v[4:5], v[64:65]
	v_mov_b32_e32 v55, v53
	s_waitcnt lgkmcnt(1)
	v_pk_mul_f32 v[52:53], v[72:73], v[52:53] op_sel_hi:[1,0]
	v_pk_add_f32 v[4:5], v[4:5], v[54:55]
	v_pk_fma_f32 v[54:55], v[72:73], v[84:85], v[52:53] op_sel:[0,0,1] op_sel_hi:[1,1,0] neg_lo:[0,0,1] neg_hi:[0,0,1]
	v_pk_fma_f32 v[52:53], v[72:73], v[84:85], v[52:53] op_sel:[0,0,1] op_sel_hi:[1,0,0]
	s_waitcnt vmcnt(5)
	v_mov_b32_e32 v52, v87
	v_mov_b32_e32 v55, v53
	v_pk_mul_f32 v[52:53], v[74:75], v[52:53] op_sel_hi:[1,0]
	v_pk_add_f32 v[4:5], v[4:5], v[54:55]
	s_waitcnt vmcnt(3)
	v_pk_fma_f32 v[54:55], v[74:75], v[86:87], v[52:53] op_sel:[0,0,1] op_sel_hi:[1,1,0] neg_lo:[0,0,1] neg_hi:[0,0,1]
	v_pk_fma_f32 v[52:53], v[74:75], v[86:87], v[52:53] op_sel:[0,0,1] op_sel_hi:[1,0,0]
	s_waitcnt vmcnt(2)
	v_mov_b32_e32 v52, v89
	v_mov_b32_e32 v55, v53
	s_waitcnt lgkmcnt(0)
	v_pk_mul_f32 v[52:53], v[92:93], v[52:53] op_sel_hi:[1,0]
	v_pk_add_f32 v[4:5], v[4:5], v[54:55]
	v_pk_fma_f32 v[54:55], v[92:93], v[88:89], v[52:53] op_sel:[0,0,1] op_sel_hi:[1,1,0] neg_lo:[0,0,1] neg_hi:[0,0,1]
	v_pk_fma_f32 v[52:53], v[92:93], v[88:89], v[52:53] op_sel:[0,0,1] op_sel_hi:[1,0,0]
	v_mov_b32_e32 v55, v53
	v_pk_add_f32 v[4:5], v[4:5], v[54:55]
	s_waitcnt vmcnt(0)
	v_pk_add_f32 v[4:5], v[90:91], v[4:5] neg_lo:[0,1] neg_hi:[0,1]
	buffer_store_dword v5, off, s[0:3], 0 offset:76
	buffer_store_dword v4, off, s[0:3], 0 offset:72
	s_and_saveexec_b64 s[4:5], vcc
	s_cbranch_execz .LBB86_135
; %bb.134:
	buffer_load_dword v4, off, s[0:3], 0 offset:64
	buffer_load_dword v5, off, s[0:3], 0 offset:68
	s_waitcnt vmcnt(0)
	ds_write_b64 v1, v[4:5]
	buffer_store_dword v2, off, s[0:3], 0 offset:64
	buffer_store_dword v2, off, s[0:3], 0 offset:68
.LBB86_135:
	s_or_b64 exec, exec, s[4:5]
	s_waitcnt lgkmcnt(0)
	; wave barrier
	s_waitcnt lgkmcnt(0)
	buffer_load_dword v94, off, s[0:3], 0 offset:76
	buffer_load_dword v96, off, s[0:3], 0 offset:84
	;; [unrolled: 1-line block ×30, first 2 shown]
	ds_read2_b64 v[52:55], v2 offset0:33 offset1:34
	ds_read2_b64 v[56:59], v2 offset0:35 offset1:36
	;; [unrolled: 1-line block ×7, first 2 shown]
	v_cmp_lt_u32_e32 vcc, 7, v0
	s_waitcnt vmcnt(29) lgkmcnt(6)
	v_mul_f32_e32 v109, v52, v94
	s_waitcnt vmcnt(28)
	v_mul_f32_e32 v110, v54, v96
	s_waitcnt vmcnt(27) lgkmcnt(5)
	v_mul_f32_e32 v111, v56, v98
	s_waitcnt vmcnt(26)
	v_mul_f32_e32 v112, v58, v99
	v_mul_f32_e32 v99, v59, v99
	s_waitcnt vmcnt(25) lgkmcnt(4)
	v_mul_f32_e32 v95, v60, v100
	s_waitcnt vmcnt(24)
	v_mul_f32_e32 v97, v62, v101
	v_mul_f32_e32 v94, v53, v94
	;; [unrolled: 1-line block ×6, first 2 shown]
	s_waitcnt vmcnt(23)
	v_mov_b32_e32 v98, v77
	s_waitcnt vmcnt(22)
	v_mov_b32_e32 v100, v79
	s_waitcnt vmcnt(17)
	v_fma_f32 v99, v58, v106, -v99
	v_fmac_f32_e32 v109, v53, v103
	v_fmac_f32_e32 v110, v55, v104
	;; [unrolled: 1-line block ×3, first 2 shown]
	v_fma_f32 v59, v52, v103, -v94
	v_fma_f32 v103, v54, v104, -v96
	s_waitcnt lgkmcnt(3)
	v_pk_mul_f32 v[52:53], v[64:65], v[98:99] op_sel_hi:[1,0]
	v_pk_mul_f32 v[54:55], v[66:67], v[100:101] op_sel_hi:[1,0]
	s_waitcnt vmcnt(16)
	v_fmac_f32_e32 v95, v61, v107
	v_fma_f32 v94, v60, v107, -v114
	v_add_f32_e32 v98, 0, v109
	v_add_f32_e32 v100, 0, v59
	s_waitcnt vmcnt(14)
	v_pk_fma_f32 v[58:59], v[64:65], v[76:77], v[52:53] op_sel:[0,0,1] op_sel_hi:[1,1,0] neg_lo:[0,0,1] neg_hi:[0,0,1]
	v_pk_fma_f32 v[52:53], v[64:65], v[76:77], v[52:53] op_sel:[0,0,1] op_sel_hi:[1,0,0]
	s_waitcnt vmcnt(10)
	v_pk_fma_f32 v[60:61], v[66:67], v[78:79], v[54:55] op_sel:[0,0,1] op_sel_hi:[1,1,0] neg_lo:[0,0,1] neg_hi:[0,0,1]
	v_pk_fma_f32 v[54:55], v[66:67], v[78:79], v[54:55] op_sel:[0,0,1] op_sel_hi:[1,0,0]
	v_fmac_f32_e32 v111, v57, v105
	v_fma_f32 v104, v56, v105, -v113
	v_add_f32_e32 v52, v98, v110
	v_add_f32_e32 v54, v100, v103
	;; [unrolled: 1-line block ×4, first 2 shown]
	v_mov_b32_e32 v102, v81
	v_mov_b32_e32 v59, v53
	v_add_f32_e32 v53, v52, v112
	v_add_f32_e32 v52, v54, v99
	v_fmac_f32_e32 v97, v63, v108
	v_fma_f32 v96, v62, v108, -v101
	s_waitcnt lgkmcnt(2)
	v_pk_mul_f32 v[56:57], v[68:69], v[102:103] op_sel_hi:[1,0]
	v_pk_add_f32 v[52:53], v[52:53], v[94:95]
	s_waitcnt vmcnt(9)
	v_mov_b32_e32 v54, v85
	v_pk_fma_f32 v[62:63], v[68:69], v[80:81], v[56:57] op_sel:[0,0,1] op_sel_hi:[1,1,0] neg_lo:[0,0,1] neg_hi:[0,0,1]
	v_pk_fma_f32 v[56:57], v[68:69], v[80:81], v[56:57] op_sel:[0,0,1] op_sel_hi:[1,0,0]
	v_mov_b32_e32 v61, v55
	v_pk_add_f32 v[52:53], v[52:53], v[96:97]
	v_pk_mul_f32 v[54:55], v[70:71], v[54:55] op_sel_hi:[1,0]
	v_mov_b32_e32 v63, v57
	v_pk_add_f32 v[52:53], v[52:53], v[58:59]
	v_pk_fma_f32 v[56:57], v[70:71], v[84:85], v[54:55] op_sel:[0,0,1] op_sel_hi:[1,1,0] neg_lo:[0,0,1] neg_hi:[0,0,1]
	v_pk_fma_f32 v[54:55], v[70:71], v[84:85], v[54:55] op_sel:[0,0,1] op_sel_hi:[1,0,0]
	v_pk_add_f32 v[52:53], v[52:53], v[60:61]
	s_waitcnt vmcnt(8)
	v_mov_b32_e32 v54, v83
	v_pk_add_f32 v[52:53], v[52:53], v[62:63]
	v_mov_b32_e32 v57, v55
	s_waitcnt lgkmcnt(1)
	v_pk_mul_f32 v[54:55], v[72:73], v[54:55] op_sel_hi:[1,0]
	v_pk_add_f32 v[52:53], v[52:53], v[56:57]
	v_pk_fma_f32 v[56:57], v[72:73], v[82:83], v[54:55] op_sel:[0,0,1] op_sel_hi:[1,1,0] neg_lo:[0,0,1] neg_hi:[0,0,1]
	v_pk_fma_f32 v[54:55], v[72:73], v[82:83], v[54:55] op_sel:[0,0,1] op_sel_hi:[1,0,0]
	s_waitcnt vmcnt(7)
	v_mov_b32_e32 v54, v87
	v_mov_b32_e32 v57, v55
	v_pk_mul_f32 v[54:55], v[74:75], v[54:55] op_sel_hi:[1,0]
	v_pk_add_f32 v[52:53], v[52:53], v[56:57]
	s_waitcnt vmcnt(4)
	v_pk_fma_f32 v[56:57], v[74:75], v[86:87], v[54:55] op_sel:[0,0,1] op_sel_hi:[1,1,0] neg_lo:[0,0,1] neg_hi:[0,0,1]
	v_pk_fma_f32 v[54:55], v[74:75], v[86:87], v[54:55] op_sel:[0,0,1] op_sel_hi:[1,0,0]
	s_waitcnt vmcnt(3)
	v_mov_b32_e32 v54, v91
	v_mov_b32_e32 v57, v55
	s_waitcnt lgkmcnt(0)
	v_pk_mul_f32 v[54:55], v[2:3], v[54:55] op_sel_hi:[1,0]
	v_pk_add_f32 v[52:53], v[52:53], v[56:57]
	v_pk_fma_f32 v[56:57], v[2:3], v[90:91], v[54:55] op_sel:[0,0,1] op_sel_hi:[1,1,0] neg_lo:[0,0,1] neg_hi:[0,0,1]
	v_pk_fma_f32 v[2:3], v[2:3], v[90:91], v[54:55] op_sel:[0,0,1] op_sel_hi:[1,0,0]
	v_mov_b32_e32 v57, v3
	v_pk_add_f32 v[2:3], v[52:53], v[56:57]
	s_waitcnt vmcnt(0)
	v_mov_b32_e32 v52, v89
	v_pk_mul_f32 v[52:53], v[4:5], v[52:53] op_sel_hi:[1,0]
	v_pk_fma_f32 v[54:55], v[4:5], v[88:89], v[52:53] op_sel:[0,0,1] op_sel_hi:[1,1,0] neg_lo:[0,0,1] neg_hi:[0,0,1]
	v_pk_fma_f32 v[4:5], v[4:5], v[88:89], v[52:53] op_sel:[0,0,1] op_sel_hi:[1,0,0]
	v_mov_b32_e32 v55, v5
	v_pk_add_f32 v[2:3], v[2:3], v[54:55]
	v_pk_add_f32 v[2:3], v[92:93], v[2:3] neg_lo:[0,1] neg_hi:[0,1]
	buffer_store_dword v3, off, s[0:3], 0 offset:68
	buffer_store_dword v2, off, s[0:3], 0 offset:64
	s_and_saveexec_b64 s[4:5], vcc
	s_cbranch_execz .LBB86_137
; %bb.136:
	buffer_load_dword v2, off, s[0:3], 0 offset:56
	buffer_load_dword v3, off, s[0:3], 0 offset:60
	v_mov_b32_e32 v4, 0
	buffer_store_dword v4, off, s[0:3], 0 offset:56
	buffer_store_dword v4, off, s[0:3], 0 offset:60
	s_waitcnt vmcnt(2)
	ds_write_b64 v1, v[2:3]
.LBB86_137:
	s_or_b64 exec, exec, s[4:5]
	s_waitcnt lgkmcnt(0)
	; wave barrier
	s_waitcnt lgkmcnt(0)
	buffer_load_dword v3, off, s[0:3], 0 offset:68
	buffer_load_dword v98, off, s[0:3], 0 offset:76
	;; [unrolled: 1-line block ×32, first 2 shown]
	v_mov_b32_e32 v2, 0
	ds_read_b128 v[52:55], v2 offset:256
	ds_read_b128 v[56:59], v2 offset:272
	;; [unrolled: 1-line block ×7, first 2 shown]
	ds_read_b64 v[96:97], v2 offset:368
	v_cmp_lt_u32_e32 vcc, 6, v0
	s_waitcnt vmcnt(31) lgkmcnt(7)
	v_mul_f32_e32 v113, v52, v3
	v_mul_f32_e32 v3, v53, v3
	s_waitcnt vmcnt(30)
	v_mul_f32_e32 v114, v54, v98
	s_waitcnt vmcnt(28) lgkmcnt(6)
	v_mul_f32_e32 v116, v58, v102
	s_waitcnt vmcnt(27) lgkmcnt(5)
	v_mul_f32_e32 v117, v60, v103
	v_mul_f32_e32 v118, v59, v102
	;; [unrolled: 1-line block ×3, first 2 shown]
	s_waitcnt vmcnt(24)
	v_mov_b32_e32 v102, v5
	v_mul_f32_e32 v115, v56, v100
	v_mul_f32_e32 v98, v55, v98
	s_waitcnt vmcnt(22)
	v_fmac_f32_e32 v113, v53, v106
	v_fma_f32 v3, v52, v106, -v3
	s_waitcnt lgkmcnt(4)
	v_pk_mul_f32 v[52:53], v[66:67], v[102:103] op_sel_hi:[1,0]
	v_mul_f32_e32 v100, v57, v100
	s_waitcnt vmcnt(21)
	v_fmac_f32_e32 v114, v55, v107
	s_waitcnt vmcnt(20)
	v_fmac_f32_e32 v115, v57, v108
	s_waitcnt vmcnt(19)
	v_fmac_f32_e32 v116, v59, v109
	v_fma_f32 v57, v54, v107, -v98
	s_waitcnt vmcnt(18)
	v_fma_f32 v59, v60, v110, -v103
	v_add_f32_e32 v60, 0, v113
	v_add_f32_e32 v3, 0, v3
	s_waitcnt vmcnt(12)
	v_pk_fma_f32 v[54:55], v[66:67], v[4:5], v[52:53] op_sel:[0,0,1] op_sel_hi:[1,1,0] neg_lo:[0,0,1] neg_hi:[0,0,1]
	v_pk_fma_f32 v[4:5], v[66:67], v[4:5], v[52:53] op_sel:[0,0,1] op_sel_hi:[1,0,0]
	v_fma_f32 v56, v56, v108, -v100
	v_add_f32_e32 v4, v60, v114
	v_add_f32_e32 v3, v3, v57
	v_fma_f32 v58, v58, v109, -v118
	v_add_f32_e32 v4, v4, v115
	v_add_f32_e32 v3, v3, v56
	v_mul_f32_e32 v99, v62, v104
	v_mul_f32_e32 v119, v63, v104
	v_fmac_f32_e32 v117, v61, v110
	v_add_f32_e32 v4, v4, v116
	v_add_f32_e32 v3, v3, v58
	v_mul_f32_e32 v101, v64, v105
	v_mul_f32_e32 v105, v65, v105
	v_fmac_f32_e32 v99, v63, v111
	v_fma_f32 v98, v62, v111, -v119
	v_mov_b32_e32 v55, v5
	v_add_f32_e32 v5, v4, v117
	v_add_f32_e32 v4, v3, v59
	v_mov_b32_e32 v104, v81
	v_fmac_f32_e32 v101, v65, v112
	v_fma_f32 v100, v64, v112, -v105
	v_pk_add_f32 v[4:5], v[4:5], v[98:99]
	v_pk_add_f32 v[4:5], v[4:5], v[100:101]
	s_waitcnt lgkmcnt(3)
	v_pk_mul_f32 v[52:53], v[68:69], v[104:105] op_sel_hi:[1,0]
	v_pk_add_f32 v[4:5], v[4:5], v[54:55]
	v_pk_fma_f32 v[54:55], v[68:69], v[80:81], v[52:53] op_sel:[0,0,1] op_sel_hi:[1,1,0] neg_lo:[0,0,1] neg_hi:[0,0,1]
	v_pk_fma_f32 v[52:53], v[68:69], v[80:81], v[52:53] op_sel:[0,0,1] op_sel_hi:[1,0,0]
	s_waitcnt vmcnt(11)
	v_mov_b32_e32 v52, v85
	v_mov_b32_e32 v55, v53
	v_pk_mul_f32 v[52:53], v[70:71], v[52:53] op_sel_hi:[1,0]
	v_pk_add_f32 v[4:5], v[4:5], v[54:55]
	v_pk_fma_f32 v[54:55], v[70:71], v[84:85], v[52:53] op_sel:[0,0,1] op_sel_hi:[1,1,0] neg_lo:[0,0,1] neg_hi:[0,0,1]
	v_pk_fma_f32 v[52:53], v[70:71], v[84:85], v[52:53] op_sel:[0,0,1] op_sel_hi:[1,0,0]
	s_waitcnt vmcnt(10)
	v_mov_b32_e32 v52, v83
	v_mov_b32_e32 v55, v53
	s_waitcnt lgkmcnt(2)
	v_pk_mul_f32 v[52:53], v[72:73], v[52:53] op_sel_hi:[1,0]
	v_pk_add_f32 v[4:5], v[4:5], v[54:55]
	v_pk_fma_f32 v[54:55], v[72:73], v[82:83], v[52:53] op_sel:[0,0,1] op_sel_hi:[1,1,0] neg_lo:[0,0,1] neg_hi:[0,0,1]
	v_pk_fma_f32 v[52:53], v[72:73], v[82:83], v[52:53] op_sel:[0,0,1] op_sel_hi:[1,0,0]
	s_waitcnt vmcnt(9)
	v_mov_b32_e32 v52, v87
	v_mov_b32_e32 v55, v53
	v_pk_mul_f32 v[52:53], v[74:75], v[52:53] op_sel_hi:[1,0]
	v_pk_add_f32 v[4:5], v[4:5], v[54:55]
	s_waitcnt vmcnt(4)
	v_pk_fma_f32 v[54:55], v[74:75], v[86:87], v[52:53] op_sel:[0,0,1] op_sel_hi:[1,1,0] neg_lo:[0,0,1] neg_hi:[0,0,1]
	v_pk_fma_f32 v[52:53], v[74:75], v[86:87], v[52:53] op_sel:[0,0,1] op_sel_hi:[1,0,0]
	v_mov_b32_e32 v52, v93
	v_mov_b32_e32 v55, v53
	s_waitcnt lgkmcnt(1)
	v_pk_mul_f32 v[52:53], v[76:77], v[52:53] op_sel_hi:[1,0]
	v_pk_add_f32 v[4:5], v[4:5], v[54:55]
	v_pk_fma_f32 v[54:55], v[76:77], v[92:93], v[52:53] op_sel:[0,0,1] op_sel_hi:[1,1,0] neg_lo:[0,0,1] neg_hi:[0,0,1]
	v_pk_fma_f32 v[52:53], v[76:77], v[92:93], v[52:53] op_sel:[0,0,1] op_sel_hi:[1,0,0]
	s_waitcnt vmcnt(3)
	v_mov_b32_e32 v52, v91
	v_mov_b32_e32 v55, v53
	v_pk_mul_f32 v[52:53], v[78:79], v[52:53] op_sel_hi:[1,0]
	v_pk_add_f32 v[4:5], v[4:5], v[54:55]
	v_pk_fma_f32 v[54:55], v[78:79], v[90:91], v[52:53] op_sel:[0,0,1] op_sel_hi:[1,1,0] neg_lo:[0,0,1] neg_hi:[0,0,1]
	v_pk_fma_f32 v[52:53], v[78:79], v[90:91], v[52:53] op_sel:[0,0,1] op_sel_hi:[1,0,0]
	s_waitcnt vmcnt(0)
	v_mov_b32_e32 v52, v89
	v_mov_b32_e32 v55, v53
	s_waitcnt lgkmcnt(0)
	v_pk_mul_f32 v[52:53], v[96:97], v[52:53] op_sel_hi:[1,0]
	v_pk_add_f32 v[4:5], v[4:5], v[54:55]
	v_pk_fma_f32 v[54:55], v[96:97], v[88:89], v[52:53] op_sel:[0,0,1] op_sel_hi:[1,1,0] neg_lo:[0,0,1] neg_hi:[0,0,1]
	v_pk_fma_f32 v[52:53], v[96:97], v[88:89], v[52:53] op_sel:[0,0,1] op_sel_hi:[1,0,0]
	v_mov_b32_e32 v55, v53
	v_pk_add_f32 v[4:5], v[4:5], v[54:55]
	v_pk_add_f32 v[4:5], v[94:95], v[4:5] neg_lo:[0,1] neg_hi:[0,1]
	buffer_store_dword v5, off, s[0:3], 0 offset:60
	buffer_store_dword v4, off, s[0:3], 0 offset:56
	s_and_saveexec_b64 s[4:5], vcc
	s_cbranch_execz .LBB86_139
; %bb.138:
	buffer_load_dword v4, off, s[0:3], 0 offset:48
	buffer_load_dword v5, off, s[0:3], 0 offset:52
	s_waitcnt vmcnt(0)
	ds_write_b64 v1, v[4:5]
	buffer_store_dword v2, off, s[0:3], 0 offset:48
	buffer_store_dword v2, off, s[0:3], 0 offset:52
.LBB86_139:
	s_or_b64 exec, exec, s[4:5]
	s_waitcnt lgkmcnt(0)
	; wave barrier
	s_waitcnt lgkmcnt(0)
	buffer_load_dword v98, off, s[0:3], 0 offset:60
	buffer_load_dword v100, off, s[0:3], 0 offset:68
	;; [unrolled: 1-line block ×32, first 2 shown]
	ds_read2_b64 v[52:55], v2 offset0:31 offset1:32
	ds_read2_b64 v[56:59], v2 offset0:33 offset1:34
	;; [unrolled: 1-line block ×4, first 2 shown]
	buffer_load_dword v97, off, s[0:3], 0 offset:180
	buffer_load_dword v96, off, s[0:3], 0 offset:176
	ds_read2_b64 v[68:71], v2 offset0:39 offset1:40
	ds_read2_b64 v[72:75], v2 offset0:41 offset1:42
	;; [unrolled: 1-line block ×4, first 2 shown]
	v_cmp_lt_u32_e32 vcc, 5, v0
	s_waitcnt vmcnt(33) lgkmcnt(7)
	v_mul_f32_e32 v116, v52, v98
	v_mul_f32_e32 v98, v53, v98
	s_waitcnt vmcnt(32)
	v_mul_f32_e32 v117, v54, v100
	s_waitcnt vmcnt(30) lgkmcnt(6)
	v_mul_f32_e32 v119, v58, v103
	v_mul_f32_e32 v100, v55, v100
	;; [unrolled: 1-line block ×5, first 2 shown]
	s_waitcnt vmcnt(25)
	v_fmac_f32_e32 v116, v53, v108
	v_fma_f32 v52, v52, v108, -v98
	s_waitcnt vmcnt(24)
	v_fmac_f32_e32 v117, v55, v109
	v_fma_f32 v53, v54, v109, -v100
	s_waitcnt vmcnt(22)
	v_fma_f32 v55, v58, v111, -v103
	v_add_f32_e32 v58, 0, v116
	v_add_f32_e32 v52, 0, v52
	v_fmac_f32_e32 v118, v57, v110
	v_fma_f32 v54, v56, v110, -v102
	v_add_f32_e32 v58, v58, v117
	v_add_f32_e32 v52, v52, v53
	s_waitcnt lgkmcnt(5)
	v_mul_f32_e32 v120, v60, v104
	v_mul_f32_e32 v104, v61, v104
	v_fmac_f32_e32 v119, v59, v111
	v_add_f32_e32 v53, v58, v118
	v_add_f32_e32 v52, v52, v54
	v_mul_f32_e32 v121, v62, v105
	v_mul_f32_e32 v105, v63, v105
	s_waitcnt vmcnt(21)
	v_fmac_f32_e32 v120, v61, v112
	v_fma_f32 v56, v60, v112, -v104
	v_add_f32_e32 v53, v53, v119
	v_add_f32_e32 v52, v52, v55
	s_waitcnt vmcnt(17)
	v_mov_b32_e32 v54, v81
	s_waitcnt lgkmcnt(4)
	v_mul_f32_e32 v99, v64, v106
	v_mul_f32_e32 v106, v65, v106
	v_fmac_f32_e32 v121, v63, v113
	v_fma_f32 v57, v62, v113, -v105
	v_add_f32_e32 v53, v53, v120
	v_add_f32_e32 v52, v52, v56
	s_waitcnt lgkmcnt(3)
	v_pk_mul_f32 v[54:55], v[68:69], v[54:55] op_sel_hi:[1,0]
	v_mul_f32_e32 v101, v66, v107
	v_mul_f32_e32 v107, v67, v107
	v_fmac_f32_e32 v99, v65, v114
	v_fma_f32 v98, v64, v114, -v106
	v_add_f32_e32 v53, v53, v121
	v_add_f32_e32 v52, v52, v57
	s_waitcnt vmcnt(14)
	v_pk_fma_f32 v[56:57], v[68:69], v[80:81], v[54:55] op_sel:[0,0,1] op_sel_hi:[1,1,0] neg_lo:[0,0,1] neg_hi:[0,0,1]
	v_pk_fma_f32 v[54:55], v[68:69], v[80:81], v[54:55] op_sel:[0,0,1] op_sel_hi:[1,0,0]
	v_fmac_f32_e32 v101, v67, v115
	v_fma_f32 v100, v66, v115, -v107
	v_pk_add_f32 v[52:53], v[52:53], v[98:99]
	s_waitcnt vmcnt(13)
	v_mov_b32_e32 v54, v85
	v_pk_add_f32 v[52:53], v[52:53], v[100:101]
	v_mov_b32_e32 v57, v55
	v_pk_mul_f32 v[54:55], v[70:71], v[54:55] op_sel_hi:[1,0]
	v_pk_add_f32 v[52:53], v[52:53], v[56:57]
	v_pk_fma_f32 v[56:57], v[70:71], v[84:85], v[54:55] op_sel:[0,0,1] op_sel_hi:[1,1,0] neg_lo:[0,0,1] neg_hi:[0,0,1]
	v_pk_fma_f32 v[54:55], v[70:71], v[84:85], v[54:55] op_sel:[0,0,1] op_sel_hi:[1,0,0]
	s_waitcnt vmcnt(12)
	v_mov_b32_e32 v54, v83
	v_mov_b32_e32 v57, v55
	s_waitcnt lgkmcnt(2)
	v_pk_mul_f32 v[54:55], v[72:73], v[54:55] op_sel_hi:[1,0]
	v_pk_add_f32 v[52:53], v[52:53], v[56:57]
	v_pk_fma_f32 v[56:57], v[72:73], v[82:83], v[54:55] op_sel:[0,0,1] op_sel_hi:[1,1,0] neg_lo:[0,0,1] neg_hi:[0,0,1]
	v_pk_fma_f32 v[54:55], v[72:73], v[82:83], v[54:55] op_sel:[0,0,1] op_sel_hi:[1,0,0]
	s_waitcnt vmcnt(11)
	v_mov_b32_e32 v54, v87
	v_mov_b32_e32 v57, v55
	v_pk_mul_f32 v[54:55], v[74:75], v[54:55] op_sel_hi:[1,0]
	v_pk_add_f32 v[52:53], v[52:53], v[56:57]
	s_waitcnt vmcnt(5)
	v_pk_fma_f32 v[56:57], v[74:75], v[86:87], v[54:55] op_sel:[0,0,1] op_sel_hi:[1,1,0] neg_lo:[0,0,1] neg_hi:[0,0,1]
	v_pk_fma_f32 v[54:55], v[74:75], v[86:87], v[54:55] op_sel:[0,0,1] op_sel_hi:[1,0,0]
	v_mov_b32_e32 v54, v93
	v_mov_b32_e32 v57, v55
	s_waitcnt lgkmcnt(1)
	v_pk_mul_f32 v[54:55], v[76:77], v[54:55] op_sel_hi:[1,0]
	v_pk_add_f32 v[52:53], v[52:53], v[56:57]
	v_pk_fma_f32 v[56:57], v[76:77], v[92:93], v[54:55] op_sel:[0,0,1] op_sel_hi:[1,1,0] neg_lo:[0,0,1] neg_hi:[0,0,1]
	v_pk_fma_f32 v[54:55], v[76:77], v[92:93], v[54:55] op_sel:[0,0,1] op_sel_hi:[1,0,0]
	v_mov_b32_e32 v54, v91
	v_mov_b32_e32 v57, v55
	v_pk_mul_f32 v[54:55], v[78:79], v[54:55] op_sel_hi:[1,0]
	v_pk_add_f32 v[52:53], v[52:53], v[56:57]
	v_pk_fma_f32 v[56:57], v[78:79], v[90:91], v[54:55] op_sel:[0,0,1] op_sel_hi:[1,1,0] neg_lo:[0,0,1] neg_hi:[0,0,1]
	v_pk_fma_f32 v[54:55], v[78:79], v[90:91], v[54:55] op_sel:[0,0,1] op_sel_hi:[1,0,0]
	s_waitcnt vmcnt(2)
	v_mov_b32_e32 v54, v89
	v_mov_b32_e32 v57, v55
	s_waitcnt lgkmcnt(0)
	v_pk_mul_f32 v[54:55], v[2:3], v[54:55] op_sel_hi:[1,0]
	v_pk_add_f32 v[52:53], v[52:53], v[56:57]
	v_pk_fma_f32 v[56:57], v[2:3], v[88:89], v[54:55] op_sel:[0,0,1] op_sel_hi:[1,1,0] neg_lo:[0,0,1] neg_hi:[0,0,1]
	v_pk_fma_f32 v[2:3], v[2:3], v[88:89], v[54:55] op_sel:[0,0,1] op_sel_hi:[1,0,0]
	v_mov_b32_e32 v57, v3
	v_pk_add_f32 v[2:3], v[52:53], v[56:57]
	s_waitcnt vmcnt(1)
	v_mov_b32_e32 v52, v97
	v_pk_mul_f32 v[52:53], v[4:5], v[52:53] op_sel_hi:[1,0]
	s_waitcnt vmcnt(0)
	v_pk_fma_f32 v[54:55], v[4:5], v[96:97], v[52:53] op_sel:[0,0,1] op_sel_hi:[1,1,0] neg_lo:[0,0,1] neg_hi:[0,0,1]
	v_pk_fma_f32 v[4:5], v[4:5], v[96:97], v[52:53] op_sel:[0,0,1] op_sel_hi:[1,0,0]
	v_mov_b32_e32 v55, v5
	v_pk_add_f32 v[2:3], v[2:3], v[54:55]
	v_pk_add_f32 v[2:3], v[94:95], v[2:3] neg_lo:[0,1] neg_hi:[0,1]
	buffer_store_dword v3, off, s[0:3], 0 offset:52
	buffer_store_dword v2, off, s[0:3], 0 offset:48
	s_and_saveexec_b64 s[4:5], vcc
	s_cbranch_execz .LBB86_141
; %bb.140:
	buffer_load_dword v2, off, s[0:3], 0 offset:40
	buffer_load_dword v3, off, s[0:3], 0 offset:44
	v_mov_b32_e32 v4, 0
	buffer_store_dword v4, off, s[0:3], 0 offset:40
	buffer_store_dword v4, off, s[0:3], 0 offset:44
	s_waitcnt vmcnt(2)
	ds_write_b64 v1, v[2:3]
.LBB86_141:
	s_or_b64 exec, exec, s[4:5]
	s_waitcnt lgkmcnt(0)
	; wave barrier
	s_waitcnt lgkmcnt(0)
	buffer_load_dword v3, off, s[0:3], 0 offset:52
	buffer_load_dword v92, off, s[0:3], 0 offset:60
	;; [unrolled: 1-line block ×36, first 2 shown]
	v_mov_b32_e32 v2, 0
	ds_read_b128 v[52:55], v2 offset:240
	ds_read_b128 v[56:59], v2 offset:256
	;; [unrolled: 1-line block ×6, first 2 shown]
	v_cmp_lt_u32_e32 vcc, 4, v0
	s_waitcnt vmcnt(35) lgkmcnt(5)
	v_mul_f32_e32 v111, v52, v3
	s_waitcnt vmcnt(34)
	v_mul_f32_e32 v112, v54, v92
	s_waitcnt vmcnt(33) lgkmcnt(4)
	v_mul_f32_e32 v113, v56, v94
	v_mul_f32_e32 v3, v53, v3
	;; [unrolled: 1-line block ×4, first 2 shown]
	s_waitcnt vmcnt(32)
	v_mul_f32_e32 v114, v58, v96
	s_waitcnt vmcnt(31) lgkmcnt(3)
	v_mul_f32_e32 v115, v60, v97
	v_mul_f32_e32 v96, v59, v96
	s_waitcnt vmcnt(26)
	v_fmac_f32_e32 v111, v53, v102
	s_waitcnt vmcnt(25)
	v_fmac_f32_e32 v112, v55, v103
	;; [unrolled: 2-line block ×3, first 2 shown]
	v_fma_f32 v3, v52, v102, -v3
	v_add_f32_e32 v57, 0, v111
	v_fma_f32 v52, v54, v103, -v92
	v_add_f32_e32 v3, 0, v3
	v_add_f32_e32 v57, v57, v112
	s_waitcnt vmcnt(23)
	v_fmac_f32_e32 v114, v59, v105
	v_fma_f32 v53, v56, v104, -v94
	v_add_f32_e32 v3, v3, v52
	v_add_f32_e32 v52, v57, v113
	v_mul_f32_e32 v116, v62, v98
	v_mul_f32_e32 v97, v61, v97
	s_waitcnt vmcnt(22)
	v_fmac_f32_e32 v115, v61, v106
	v_fma_f32 v54, v58, v105, -v96
	v_add_f32_e32 v3, v3, v53
	v_add_f32_e32 v52, v52, v114
	s_waitcnt lgkmcnt(2)
	v_mul_f32_e32 v117, v64, v99
	v_mul_f32_e32 v98, v63, v98
	s_waitcnt vmcnt(21)
	v_fmac_f32_e32 v116, v63, v107
	v_fma_f32 v55, v60, v106, -v97
	v_add_f32_e32 v3, v3, v54
	v_add_f32_e32 v52, v52, v115
	v_mul_f32_e32 v99, v65, v99
	s_waitcnt vmcnt(20)
	v_fmac_f32_e32 v117, v65, v108
	v_fma_f32 v56, v62, v107, -v98
	v_add_f32_e32 v3, v3, v55
	v_add_f32_e32 v52, v52, v116
	;; [unrolled: 1-line block ×4, first 2 shown]
	v_fma_f32 v52, v64, v108, -v99
	v_mul_f32_e32 v93, v66, v100
	v_add_f32_e32 v60, v3, v52
	v_mul_f32_e32 v3, v67, v100
	s_waitcnt vmcnt(17)
	v_mov_b32_e32 v64, v5
	s_waitcnt lgkmcnt(1)
	v_mul_f32_e32 v95, v68, v101
	v_fmac_f32_e32 v93, v67, v109
	v_fma_f32 v92, v66, v109, -v3
	v_mul_f32_e32 v3, v69, v101
	v_pk_mul_f32 v[64:65], v[70:71], v[64:65] op_sel_hi:[1,0]
	v_fmac_f32_e32 v95, v69, v110
	v_fma_f32 v94, v68, v110, -v3
	v_pk_add_f32 v[60:61], v[60:61], v[92:93]
	s_waitcnt vmcnt(15)
	v_pk_fma_f32 v[66:67], v[70:71], v[4:5], v[64:65] op_sel:[0,0,1] op_sel_hi:[1,1,0] neg_lo:[0,0,1] neg_hi:[0,0,1]
	v_pk_fma_f32 v[4:5], v[70:71], v[4:5], v[64:65] op_sel:[0,0,1] op_sel_hi:[1,0,0]
	v_pk_add_f32 v[60:61], v[60:61], v[94:95]
	v_mov_b32_e32 v67, v5
	v_pk_add_f32 v[4:5], v[60:61], v[66:67]
	s_waitcnt vmcnt(12)
	v_mov_b32_e32 v60, v77
	s_waitcnt lgkmcnt(0)
	v_pk_mul_f32 v[60:61], v[72:73], v[60:61] op_sel_hi:[1,0]
	v_pk_fma_f32 v[64:65], v[72:73], v[76:77], v[60:61] op_sel:[0,0,1] op_sel_hi:[1,1,0] neg_lo:[0,0,1] neg_hi:[0,0,1]
	v_pk_fma_f32 v[60:61], v[72:73], v[76:77], v[60:61] op_sel:[0,0,1] op_sel_hi:[1,0,0]
	s_waitcnt vmcnt(11)
	v_mov_b32_e32 v60, v81
	ds_read_b128 v[52:55], v2 offset:336
	ds_read_b128 v[56:59], v2 offset:352
	ds_read_b64 v[62:63], v2 offset:368
	v_mov_b32_e32 v65, v61
	v_pk_mul_f32 v[60:61], v[74:75], v[60:61] op_sel_hi:[1,0]
	v_pk_add_f32 v[4:5], v[4:5], v[64:65]
	s_waitcnt vmcnt(4)
	v_pk_fma_f32 v[64:65], v[74:75], v[80:81], v[60:61] op_sel:[0,0,1] op_sel_hi:[1,1,0] neg_lo:[0,0,1] neg_hi:[0,0,1]
	v_pk_fma_f32 v[60:61], v[74:75], v[80:81], v[60:61] op_sel:[0,0,1] op_sel_hi:[1,0,0]
	v_mov_b32_e32 v60, v87
	v_mov_b32_e32 v65, v61
	s_waitcnt lgkmcnt(2)
	v_pk_mul_f32 v[60:61], v[52:53], v[60:61] op_sel_hi:[1,0]
	v_pk_add_f32 v[4:5], v[4:5], v[64:65]
	v_pk_fma_f32 v[64:65], v[52:53], v[86:87], v[60:61] op_sel:[0,0,1] op_sel_hi:[1,1,0] neg_lo:[0,0,1] neg_hi:[0,0,1]
	v_pk_fma_f32 v[52:53], v[52:53], v[86:87], v[60:61] op_sel:[0,0,1] op_sel_hi:[1,0,0]
	v_mov_b32_e32 v52, v85
	v_mov_b32_e32 v65, v53
	v_pk_mul_f32 v[52:53], v[54:55], v[52:53] op_sel_hi:[1,0]
	v_pk_fma_f32 v[60:61], v[54:55], v[84:85], v[52:53] op_sel:[0,0,1] op_sel_hi:[1,1,0] neg_lo:[0,0,1] neg_hi:[0,0,1]
	v_pk_fma_f32 v[52:53], v[54:55], v[84:85], v[52:53] op_sel:[0,0,1] op_sel_hi:[1,0,0]
	v_mov_b32_e32 v52, v83
	v_mov_b32_e32 v61, v53
	s_waitcnt lgkmcnt(1)
	v_pk_mul_f32 v[52:53], v[56:57], v[52:53] op_sel_hi:[1,0]
	v_pk_fma_f32 v[54:55], v[56:57], v[82:83], v[52:53] op_sel:[0,0,1] op_sel_hi:[1,1,0] neg_lo:[0,0,1] neg_hi:[0,0,1]
	v_pk_fma_f32 v[52:53], v[56:57], v[82:83], v[52:53] op_sel:[0,0,1] op_sel_hi:[1,0,0]
	v_pk_add_f32 v[4:5], v[4:5], v[64:65]
	s_waitcnt vmcnt(1)
	v_mov_b32_e32 v52, v91
	v_pk_add_f32 v[4:5], v[4:5], v[60:61]
	v_mov_b32_e32 v55, v53
	v_pk_mul_f32 v[52:53], v[58:59], v[52:53] op_sel_hi:[1,0]
	v_pk_add_f32 v[4:5], v[4:5], v[54:55]
	s_waitcnt vmcnt(0)
	v_pk_fma_f32 v[54:55], v[58:59], v[90:91], v[52:53] op_sel:[0,0,1] op_sel_hi:[1,1,0] neg_lo:[0,0,1] neg_hi:[0,0,1]
	v_pk_fma_f32 v[52:53], v[58:59], v[90:91], v[52:53] op_sel:[0,0,1] op_sel_hi:[1,0,0]
	v_mov_b32_e32 v52, v89
	v_mov_b32_e32 v55, v53
	s_waitcnt lgkmcnt(0)
	v_pk_mul_f32 v[52:53], v[62:63], v[52:53] op_sel_hi:[1,0]
	v_pk_add_f32 v[4:5], v[4:5], v[54:55]
	v_pk_fma_f32 v[54:55], v[62:63], v[88:89], v[52:53] op_sel:[0,0,1] op_sel_hi:[1,1,0] neg_lo:[0,0,1] neg_hi:[0,0,1]
	v_pk_fma_f32 v[52:53], v[62:63], v[88:89], v[52:53] op_sel:[0,0,1] op_sel_hi:[1,0,0]
	v_mov_b32_e32 v55, v53
	v_pk_add_f32 v[4:5], v[4:5], v[54:55]
	v_pk_add_f32 v[4:5], v[78:79], v[4:5] neg_lo:[0,1] neg_hi:[0,1]
	buffer_store_dword v5, off, s[0:3], 0 offset:44
	buffer_store_dword v4, off, s[0:3], 0 offset:40
	s_and_saveexec_b64 s[4:5], vcc
	s_cbranch_execz .LBB86_143
; %bb.142:
	buffer_load_dword v4, off, s[0:3], 0 offset:32
	buffer_load_dword v5, off, s[0:3], 0 offset:36
	s_waitcnt vmcnt(0)
	ds_write_b64 v1, v[4:5]
	buffer_store_dword v2, off, s[0:3], 0 offset:32
	buffer_store_dword v2, off, s[0:3], 0 offset:36
.LBB86_143:
	s_or_b64 exec, exec, s[4:5]
	s_waitcnt lgkmcnt(0)
	; wave barrier
	s_waitcnt lgkmcnt(0)
	buffer_load_dword v3, off, s[0:3], 0 offset:44
	buffer_load_dword v4, off, s[0:3], 0 offset:52
	;; [unrolled: 1-line block ×22, first 2 shown]
	ds_read2_b64 v[52:55], v2 offset0:29 offset1:30
	ds_read2_b64 v[56:59], v2 offset0:31 offset1:32
	buffer_load_dword v79, off, s[0:3], 0 offset:124
	buffer_load_dword v78, off, s[0:3], 0 offset:120
	;; [unrolled: 1-line block ×10, first 2 shown]
	ds_read2_b64 v[60:63], v2 offset0:33 offset1:34
	ds_read2_b64 v[64:67], v2 offset0:35 offset1:36
	;; [unrolled: 1-line block ×4, first 2 shown]
	buffer_load_dword v89, off, s[0:3], 0 offset:180
	buffer_load_dword v88, off, s[0:3], 0 offset:176
	;; [unrolled: 1-line block ×6, first 2 shown]
	v_cmp_lt_u32_e32 vcc, 3, v0
	s_waitcnt vmcnt(37) lgkmcnt(5)
	v_mul_f32_e32 v113, v52, v3
	s_waitcnt vmcnt(36)
	v_mul_f32_e32 v114, v54, v4
	v_mul_f32_e32 v3, v53, v3
	;; [unrolled: 1-line block ×3, first 2 shown]
	s_waitcnt vmcnt(35) lgkmcnt(4)
	v_mul_f32_e32 v115, v56, v5
	s_waitcnt vmcnt(34)
	v_mul_f32_e32 v116, v58, v94
	s_waitcnt vmcnt(33) lgkmcnt(3)
	v_mul_f32_e32 v117, v60, v96
	s_waitcnt vmcnt(32)
	v_mul_f32_e32 v118, v62, v98
	v_mul_f32_e32 v5, v57, v5
	s_waitcnt vmcnt(31) lgkmcnt(2)
	v_mul_f32_e32 v119, v64, v99
	s_waitcnt vmcnt(27)
	v_fmac_f32_e32 v113, v53, v103
	s_waitcnt vmcnt(26)
	v_fmac_f32_e32 v114, v55, v104
	v_fma_f32 v3, v52, v103, -v3
	v_fma_f32 v4, v54, v104, -v4
	v_add_f32_e32 v54, 0, v113
	s_waitcnt vmcnt(25)
	v_fmac_f32_e32 v115, v57, v105
	v_add_f32_e32 v3, 0, v3
	v_add_f32_e32 v54, v54, v114
	s_waitcnt vmcnt(24)
	v_fmac_f32_e32 v116, v59, v106
	v_add_f32_e32 v3, v3, v4
	;; [unrolled: 4-line block ×3, first 2 shown]
	v_mul_f32_e32 v94, v59, v94
	s_waitcnt vmcnt(22)
	v_fmac_f32_e32 v118, v63, v108
	v_fma_f32 v5, v56, v105, -v5
	v_add_f32_e32 v4, v4, v117
	v_mul_f32_e32 v120, v66, v100
	v_mul_f32_e32 v96, v61, v96
	s_waitcnt vmcnt(21)
	v_fmac_f32_e32 v119, v65, v109
	v_fma_f32 v52, v58, v106, -v94
	v_add_f32_e32 v3, v3, v5
	v_add_f32_e32 v4, v4, v118
	v_mul_f32_e32 v98, v63, v98
	s_waitcnt vmcnt(20)
	v_fmac_f32_e32 v120, v67, v110
	v_fma_f32 v53, v60, v107, -v96
	v_add_f32_e32 v3, v3, v52
	v_add_f32_e32 v4, v4, v119
	;; [unrolled: 1-line block ×4, first 2 shown]
	v_fma_f32 v4, v62, v108, -v98
	v_add_f32_e32 v3, v3, v4
	v_mul_f32_e32 v4, v65, v99
	v_fma_f32 v4, v64, v109, -v4
	v_add_f32_e32 v3, v3, v4
	v_mul_f32_e32 v4, v67, v100
	v_fma_f32 v4, v66, v110, -v4
	s_waitcnt vmcnt(15)
	v_mov_b32_e32 v62, v79
	s_waitcnt lgkmcnt(1)
	v_mul_f32_e32 v95, v68, v101
	v_add_f32_e32 v60, v3, v4
	v_mul_f32_e32 v3, v69, v101
	s_waitcnt lgkmcnt(0)
	v_pk_mul_f32 v[62:63], v[72:73], v[62:63] op_sel_hi:[1,0]
	v_mul_f32_e32 v97, v70, v102
	v_fmac_f32_e32 v95, v69, v111
	v_fma_f32 v94, v68, v111, -v3
	v_mul_f32_e32 v3, v71, v102
	s_waitcnt vmcnt(14)
	v_pk_fma_f32 v[64:65], v[72:73], v[78:79], v[62:63] op_sel:[0,0,1] op_sel_hi:[1,1,0] neg_lo:[0,0,1] neg_hi:[0,0,1]
	v_pk_fma_f32 v[62:63], v[72:73], v[78:79], v[62:63] op_sel:[0,0,1] op_sel_hi:[1,0,0]
	v_fmac_f32_e32 v97, v71, v112
	v_fma_f32 v96, v70, v112, -v3
	v_pk_add_f32 v[60:61], v[60:61], v[94:95]
	s_waitcnt vmcnt(13)
	v_mov_b32_e32 v62, v81
	ds_read2_b64 v[52:55], v2 offset0:41 offset1:42
	ds_read2_b64 v[56:59], v2 offset0:43 offset1:44
	;; [unrolled: 1-line block ×3, first 2 shown]
	v_pk_add_f32 v[60:61], v[60:61], v[96:97]
	v_mov_b32_e32 v65, v63
	v_pk_mul_f32 v[62:63], v[74:75], v[62:63] op_sel_hi:[1,0]
	v_pk_add_f32 v[60:61], v[60:61], v[64:65]
	s_waitcnt vmcnt(6)
	v_pk_fma_f32 v[64:65], v[74:75], v[80:81], v[62:63] op_sel:[0,0,1] op_sel_hi:[1,1,0] neg_lo:[0,0,1] neg_hi:[0,0,1]
	v_pk_fma_f32 v[62:63], v[74:75], v[80:81], v[62:63] op_sel:[0,0,1] op_sel_hi:[1,0,0]
	v_mov_b32_e32 v62, v87
	v_mov_b32_e32 v65, v63
	s_waitcnt lgkmcnt(2)
	v_pk_mul_f32 v[62:63], v[52:53], v[62:63] op_sel_hi:[1,0]
	v_pk_add_f32 v[60:61], v[60:61], v[64:65]
	v_pk_fma_f32 v[64:65], v[52:53], v[86:87], v[62:63] op_sel:[0,0,1] op_sel_hi:[1,1,0] neg_lo:[0,0,1] neg_hi:[0,0,1]
	v_pk_fma_f32 v[52:53], v[52:53], v[86:87], v[62:63] op_sel:[0,0,1] op_sel_hi:[1,0,0]
	v_mov_b32_e32 v65, v53
	v_pk_add_f32 v[52:53], v[60:61], v[64:65]
	v_mov_b32_e32 v60, v85
	v_pk_mul_f32 v[60:61], v[54:55], v[60:61] op_sel_hi:[1,0]
	v_pk_fma_f32 v[62:63], v[54:55], v[84:85], v[60:61] op_sel:[0,0,1] op_sel_hi:[1,1,0] neg_lo:[0,0,1] neg_hi:[0,0,1]
	v_pk_fma_f32 v[54:55], v[54:55], v[84:85], v[60:61] op_sel:[0,0,1] op_sel_hi:[1,0,0]
	v_mov_b32_e32 v54, v83
	v_mov_b32_e32 v63, v55
	s_waitcnt lgkmcnt(1)
	v_pk_mul_f32 v[54:55], v[56:57], v[54:55] op_sel_hi:[1,0]
	v_pk_fma_f32 v[60:61], v[56:57], v[82:83], v[54:55] op_sel:[0,0,1] op_sel_hi:[1,1,0] neg_lo:[0,0,1] neg_hi:[0,0,1]
	v_pk_fma_f32 v[54:55], v[56:57], v[82:83], v[54:55] op_sel:[0,0,1] op_sel_hi:[1,0,0]
	s_waitcnt vmcnt(1)
	v_mov_b32_e32 v54, v93
	v_mov_b32_e32 v61, v55
	v_pk_mul_f32 v[54:55], v[58:59], v[54:55] op_sel_hi:[1,0]
	s_waitcnt vmcnt(0)
	v_pk_fma_f32 v[56:57], v[58:59], v[92:93], v[54:55] op_sel:[0,0,1] op_sel_hi:[1,1,0] neg_lo:[0,0,1] neg_hi:[0,0,1]
	v_pk_fma_f32 v[54:55], v[58:59], v[92:93], v[54:55] op_sel:[0,0,1] op_sel_hi:[1,0,0]
	v_pk_add_f32 v[52:53], v[52:53], v[62:63]
	v_mov_b32_e32 v54, v91
	v_pk_add_f32 v[52:53], v[52:53], v[60:61]
	v_mov_b32_e32 v57, v55
	s_waitcnt lgkmcnt(0)
	v_pk_mul_f32 v[54:55], v[2:3], v[54:55] op_sel_hi:[1,0]
	v_pk_add_f32 v[52:53], v[52:53], v[56:57]
	v_pk_fma_f32 v[56:57], v[2:3], v[90:91], v[54:55] op_sel:[0,0,1] op_sel_hi:[1,1,0] neg_lo:[0,0,1] neg_hi:[0,0,1]
	v_pk_fma_f32 v[2:3], v[2:3], v[90:91], v[54:55] op_sel:[0,0,1] op_sel_hi:[1,0,0]
	v_mov_b32_e32 v57, v3
	v_pk_add_f32 v[2:3], v[52:53], v[56:57]
	v_mov_b32_e32 v52, v89
	v_pk_mul_f32 v[52:53], v[4:5], v[52:53] op_sel_hi:[1,0]
	v_pk_fma_f32 v[54:55], v[4:5], v[88:89], v[52:53] op_sel:[0,0,1] op_sel_hi:[1,1,0] neg_lo:[0,0,1] neg_hi:[0,0,1]
	v_pk_fma_f32 v[4:5], v[4:5], v[88:89], v[52:53] op_sel:[0,0,1] op_sel_hi:[1,0,0]
	v_mov_b32_e32 v55, v5
	v_pk_add_f32 v[2:3], v[2:3], v[54:55]
	v_pk_add_f32 v[2:3], v[76:77], v[2:3] neg_lo:[0,1] neg_hi:[0,1]
	buffer_store_dword v3, off, s[0:3], 0 offset:36
	buffer_store_dword v2, off, s[0:3], 0 offset:32
	s_and_saveexec_b64 s[4:5], vcc
	s_cbranch_execz .LBB86_145
; %bb.144:
	buffer_load_dword v2, off, s[0:3], 0 offset:24
	buffer_load_dword v3, off, s[0:3], 0 offset:28
	v_mov_b32_e32 v4, 0
	buffer_store_dword v4, off, s[0:3], 0 offset:24
	buffer_store_dword v4, off, s[0:3], 0 offset:28
	s_waitcnt vmcnt(2)
	ds_write_b64 v1, v[2:3]
.LBB86_145:
	s_or_b64 exec, exec, s[4:5]
	s_waitcnt lgkmcnt(0)
	; wave barrier
	s_waitcnt lgkmcnt(0)
	buffer_load_dword v3, off, s[0:3], 0 offset:36
	buffer_load_dword v92, off, s[0:3], 0 offset:44
	;; [unrolled: 1-line block ×40, first 2 shown]
	v_mov_b32_e32 v2, 0
	ds_read_b128 v[52:55], v2 offset:224
	ds_read_b128 v[56:59], v2 offset:240
	;; [unrolled: 1-line block ×6, first 2 shown]
	v_cmp_lt_u32_e32 vcc, 2, v0
	s_waitcnt vmcnt(39) lgkmcnt(5)
	v_mul_f32_e32 v115, v52, v3
	s_waitcnt vmcnt(38)
	v_mul_f32_e32 v116, v54, v92
	v_mul_f32_e32 v3, v53, v3
	s_waitcnt vmcnt(37) lgkmcnt(4)
	v_mul_f32_e32 v117, v56, v94
	v_mul_f32_e32 v92, v55, v92
	s_waitcnt vmcnt(36)
	v_mul_f32_e32 v118, v58, v96
	s_waitcnt vmcnt(35) lgkmcnt(3)
	v_mul_f32_e32 v119, v60, v98
	s_waitcnt vmcnt(34)
	v_mul_f32_e32 v120, v62, v99
	s_waitcnt vmcnt(33) lgkmcnt(2)
	;; [unrolled: 4-line block ×3, first 2 shown]
	v_mul_f32_e32 v123, v68, v102
	s_waitcnt vmcnt(28)
	v_fmac_f32_e32 v115, v53, v97
	s_waitcnt vmcnt(27)
	v_fmac_f32_e32 v116, v55, v105
	v_fma_f32 v3, v52, v97, -v3
	v_add_f32_e32 v55, 0, v115
	s_waitcnt vmcnt(26)
	v_fmac_f32_e32 v117, v57, v106
	v_fma_f32 v52, v54, v105, -v92
	v_add_f32_e32 v3, 0, v3
	v_add_f32_e32 v55, v55, v116
	s_waitcnt vmcnt(25)
	v_fmac_f32_e32 v118, v59, v107
	v_add_f32_e32 v3, v3, v52
	v_add_f32_e32 v52, v55, v117
	s_waitcnt vmcnt(24)
	v_fmac_f32_e32 v119, v61, v108
	v_add_f32_e32 v52, v52, v118
	s_waitcnt vmcnt(23)
	v_fmac_f32_e32 v120, v63, v109
	;; [unrolled: 3-line block ×3, first 2 shown]
	v_add_f32_e32 v52, v52, v120
	v_mul_f32_e32 v94, v57, v94
	s_waitcnt vmcnt(21)
	v_fmac_f32_e32 v122, v67, v111
	v_add_f32_e32 v52, v52, v121
	v_mul_f32_e32 v96, v59, v96
	s_waitcnt vmcnt(20)
	v_fmac_f32_e32 v123, v69, v112
	v_fma_f32 v53, v56, v106, -v94
	v_add_f32_e32 v52, v52, v122
	v_fma_f32 v54, v58, v107, -v96
	v_add_f32_e32 v3, v3, v53
	v_add_f32_e32 v97, v52, v123
	v_mul_f32_e32 v52, v61, v98
	v_add_f32_e32 v3, v3, v54
	v_fma_f32 v52, v60, v108, -v52
	v_add_f32_e32 v3, v3, v52
	v_mul_f32_e32 v52, v63, v99
	v_fma_f32 v52, v62, v109, -v52
	v_add_f32_e32 v3, v3, v52
	v_mul_f32_e32 v52, v65, v100
	;; [unrolled: 3-line block ×4, first 2 shown]
	v_fma_f32 v52, v68, v112, -v52
	s_waitcnt vmcnt(9)
	v_mov_b32_e32 v68, v83
	v_mul_f32_e32 v93, v70, v103
	v_add_f32_e32 v96, v3, v52
	v_mul_f32_e32 v3, v71, v103
	s_waitcnt lgkmcnt(0)
	v_pk_mul_f32 v[68:69], v[74:75], v[68:69] op_sel_hi:[1,0]
	v_mul_f32_e32 v95, v72, v104
	v_fmac_f32_e32 v93, v71, v113
	v_fma_f32 v92, v70, v113, -v3
	v_mul_f32_e32 v3, v73, v104
	ds_read_b128 v[52:55], v2 offset:320
	ds_read_b128 v[56:59], v2 offset:336
	;; [unrolled: 1-line block ×3, first 2 shown]
	ds_read_b64 v[64:65], v2 offset:368
	s_waitcnt vmcnt(8)
	v_pk_fma_f32 v[70:71], v[74:75], v[82:83], v[68:69] op_sel:[0,0,1] op_sel_hi:[1,1,0] neg_lo:[0,0,1] neg_hi:[0,0,1]
	v_pk_fma_f32 v[68:69], v[74:75], v[82:83], v[68:69] op_sel:[0,0,1] op_sel_hi:[1,0,0]
	v_fmac_f32_e32 v95, v73, v114
	v_fma_f32 v94, v72, v114, -v3
	v_pk_add_f32 v[66:67], v[96:97], v[92:93]
	v_mov_b32_e32 v68, v81
	v_pk_add_f32 v[66:67], v[66:67], v[94:95]
	v_mov_b32_e32 v71, v69
	s_waitcnt lgkmcnt(3)
	v_pk_mul_f32 v[68:69], v[52:53], v[68:69] op_sel_hi:[1,0]
	v_pk_add_f32 v[66:67], v[66:67], v[70:71]
	v_pk_fma_f32 v[70:71], v[52:53], v[80:81], v[68:69] op_sel:[0,0,1] op_sel_hi:[1,1,0] neg_lo:[0,0,1] neg_hi:[0,0,1]
	v_pk_fma_f32 v[52:53], v[52:53], v[80:81], v[68:69] op_sel:[0,0,1] op_sel_hi:[1,0,0]
	v_mov_b32_e32 v71, v53
	v_pk_add_f32 v[52:53], v[66:67], v[70:71]
	v_mov_b32_e32 v66, v79
	v_pk_mul_f32 v[66:67], v[54:55], v[66:67] op_sel_hi:[1,0]
	v_pk_fma_f32 v[68:69], v[54:55], v[78:79], v[66:67] op_sel:[0,0,1] op_sel_hi:[1,1,0] neg_lo:[0,0,1] neg_hi:[0,0,1]
	v_pk_fma_f32 v[54:55], v[54:55], v[78:79], v[66:67] op_sel:[0,0,1] op_sel_hi:[1,0,0]
	v_mov_b32_e32 v54, v77
	v_mov_b32_e32 v69, v55
	s_waitcnt lgkmcnt(2)
	v_pk_mul_f32 v[54:55], v[56:57], v[54:55] op_sel_hi:[1,0]
	v_pk_fma_f32 v[66:67], v[56:57], v[76:77], v[54:55] op_sel:[0,0,1] op_sel_hi:[1,1,0] neg_lo:[0,0,1] neg_hi:[0,0,1]
	v_pk_fma_f32 v[54:55], v[56:57], v[76:77], v[54:55] op_sel:[0,0,1] op_sel_hi:[1,0,0]
	s_waitcnt vmcnt(1)
	v_mov_b32_e32 v54, v91
	v_mov_b32_e32 v67, v55
	v_pk_mul_f32 v[54:55], v[58:59], v[54:55] op_sel_hi:[1,0]
	s_waitcnt vmcnt(0)
	v_pk_fma_f32 v[56:57], v[58:59], v[90:91], v[54:55] op_sel:[0,0,1] op_sel_hi:[1,1,0] neg_lo:[0,0,1] neg_hi:[0,0,1]
	v_pk_fma_f32 v[54:55], v[58:59], v[90:91], v[54:55] op_sel:[0,0,1] op_sel_hi:[1,0,0]
	v_pk_add_f32 v[52:53], v[52:53], v[68:69]
	v_mov_b32_e32 v54, v89
	v_pk_add_f32 v[52:53], v[52:53], v[66:67]
	v_mov_b32_e32 v57, v55
	s_waitcnt lgkmcnt(1)
	v_pk_mul_f32 v[54:55], v[60:61], v[54:55] op_sel_hi:[1,0]
	v_pk_add_f32 v[52:53], v[52:53], v[56:57]
	v_pk_fma_f32 v[56:57], v[60:61], v[88:89], v[54:55] op_sel:[0,0,1] op_sel_hi:[1,1,0] neg_lo:[0,0,1] neg_hi:[0,0,1]
	v_pk_fma_f32 v[54:55], v[60:61], v[88:89], v[54:55] op_sel:[0,0,1] op_sel_hi:[1,0,0]
	v_mov_b32_e32 v54, v87
	v_mov_b32_e32 v57, v55
	v_pk_mul_f32 v[54:55], v[62:63], v[54:55] op_sel_hi:[1,0]
	v_pk_add_f32 v[52:53], v[52:53], v[56:57]
	v_pk_fma_f32 v[56:57], v[62:63], v[86:87], v[54:55] op_sel:[0,0,1] op_sel_hi:[1,1,0] neg_lo:[0,0,1] neg_hi:[0,0,1]
	v_pk_fma_f32 v[54:55], v[62:63], v[86:87], v[54:55] op_sel:[0,0,1] op_sel_hi:[1,0,0]
	v_mov_b32_e32 v54, v85
	v_mov_b32_e32 v57, v55
	s_waitcnt lgkmcnt(0)
	v_pk_mul_f32 v[54:55], v[64:65], v[54:55] op_sel_hi:[1,0]
	v_pk_add_f32 v[52:53], v[52:53], v[56:57]
	v_pk_fma_f32 v[56:57], v[64:65], v[84:85], v[54:55] op_sel:[0,0,1] op_sel_hi:[1,1,0] neg_lo:[0,0,1] neg_hi:[0,0,1]
	v_pk_fma_f32 v[54:55], v[64:65], v[84:85], v[54:55] op_sel:[0,0,1] op_sel_hi:[1,0,0]
	v_mov_b32_e32 v57, v55
	v_pk_add_f32 v[52:53], v[52:53], v[56:57]
	v_pk_add_f32 v[4:5], v[4:5], v[52:53] neg_lo:[0,1] neg_hi:[0,1]
	buffer_store_dword v5, off, s[0:3], 0 offset:28
	buffer_store_dword v4, off, s[0:3], 0 offset:24
	s_and_saveexec_b64 s[4:5], vcc
	s_cbranch_execz .LBB86_147
; %bb.146:
	buffer_load_dword v4, off, s[0:3], 0 offset:16
	buffer_load_dword v5, off, s[0:3], 0 offset:20
	s_waitcnt vmcnt(0)
	ds_write_b64 v1, v[4:5]
	buffer_store_dword v2, off, s[0:3], 0 offset:16
	buffer_store_dword v2, off, s[0:3], 0 offset:20
.LBB86_147:
	s_or_b64 exec, exec, s[4:5]
	s_waitcnt lgkmcnt(0)
	; wave barrier
	s_waitcnt lgkmcnt(0)
	buffer_load_dword v3, off, s[0:3], 0 offset:28
	buffer_load_dword v4, off, s[0:3], 0 offset:36
	buffer_load_dword v5, off, s[0:3], 0 offset:44
	buffer_load_dword v94, off, s[0:3], 0 offset:52
	buffer_load_dword v96, off, s[0:3], 0 offset:60
	buffer_load_dword v98, off, s[0:3], 0 offset:68
	buffer_load_dword v100, off, s[0:3], 0 offset:76
	buffer_load_dword v101, off, s[0:3], 0 offset:84
	buffer_load_dword v102, off, s[0:3], 0 offset:92
	buffer_load_dword v103, off, s[0:3], 0 offset:100
	buffer_load_dword v104, off, s[0:3], 0 offset:108
	buffer_load_dword v105, off, s[0:3], 0 offset:116
	buffer_load_dword v99, off, s[0:3], 0 offset:24
	buffer_load_dword v106, off, s[0:3], 0 offset:32
	buffer_load_dword v107, off, s[0:3], 0 offset:40
	buffer_load_dword v108, off, s[0:3], 0 offset:48
	buffer_load_dword v109, off, s[0:3], 0 offset:56
	buffer_load_dword v110, off, s[0:3], 0 offset:64
	buffer_load_dword v111, off, s[0:3], 0 offset:72
	buffer_load_dword v112, off, s[0:3], 0 offset:80
	buffer_load_dword v113, off, s[0:3], 0 offset:88
	buffer_load_dword v114, off, s[0:3], 0 offset:96
	buffer_load_dword v115, off, s[0:3], 0 offset:104
	buffer_load_dword v116, off, s[0:3], 0 offset:112
	buffer_load_dword v76, off, s[0:3], 0 offset:16
	buffer_load_dword v77, off, s[0:3], 0 offset:20
	ds_read2_b64 v[52:55], v2 offset0:27 offset1:28
	ds_read2_b64 v[56:59], v2 offset0:29 offset1:30
	ds_read2_b64 v[60:63], v2 offset0:31 offset1:32
	ds_read2_b64 v[64:67], v2 offset0:33 offset1:34
	ds_read2_b64 v[68:71], v2 offset0:35 offset1:36
	ds_read2_b64 v[72:75], v2 offset0:37 offset1:38
	buffer_load_dword v79, off, s[0:3], 0 offset:140
	buffer_load_dword v78, off, s[0:3], 0 offset:136
	buffer_load_dword v81, off, s[0:3], 0 offset:132
	buffer_load_dword v80, off, s[0:3], 0 offset:128
	buffer_load_dword v83, off, s[0:3], 0 offset:124
	buffer_load_dword v82, off, s[0:3], 0 offset:120
	buffer_load_dword v85, off, s[0:3], 0 offset:172
	buffer_load_dword v84, off, s[0:3], 0 offset:168
	buffer_load_dword v87, off, s[0:3], 0 offset:164
	buffer_load_dword v86, off, s[0:3], 0 offset:160
	buffer_load_dword v89, off, s[0:3], 0 offset:156
	buffer_load_dword v88, off, s[0:3], 0 offset:152
	buffer_load_dword v91, off, s[0:3], 0 offset:148
	buffer_load_dword v90, off, s[0:3], 0 offset:144
	buffer_load_dword v93, off, s[0:3], 0 offset:180
	buffer_load_dword v92, off, s[0:3], 0 offset:176
	v_cmp_lt_u32_e32 vcc, 1, v0
	s_waitcnt vmcnt(41) lgkmcnt(5)
	v_mul_f32_e32 v117, v52, v3
	s_waitcnt vmcnt(40)
	v_mul_f32_e32 v118, v54, v4
	v_mul_f32_e32 v3, v53, v3
	s_waitcnt vmcnt(39) lgkmcnt(4)
	v_mul_f32_e32 v119, v56, v5
	v_mul_f32_e32 v4, v55, v4
	s_waitcnt vmcnt(38)
	v_mul_f32_e32 v120, v58, v94
	s_waitcnt vmcnt(37) lgkmcnt(3)
	v_mul_f32_e32 v121, v60, v96
	s_waitcnt vmcnt(36)
	v_mul_f32_e32 v122, v62, v98
	s_waitcnt vmcnt(35) lgkmcnt(2)
	;; [unrolled: 4-line block ×3, first 2 shown]
	v_mul_f32_e32 v125, v68, v102
	s_waitcnt vmcnt(32)
	v_mul_f32_e32 v126, v70, v103
	s_waitcnt vmcnt(29)
	v_fmac_f32_e32 v117, v53, v99
	s_waitcnt vmcnt(28)
	v_fmac_f32_e32 v118, v55, v106
	v_fma_f32 v3, v52, v99, -v3
	v_add_f32_e32 v52, 0, v117
	s_waitcnt vmcnt(27)
	v_fmac_f32_e32 v119, v57, v107
	v_fma_f32 v4, v54, v106, -v4
	v_add_f32_e32 v3, 0, v3
	v_add_f32_e32 v52, v52, v118
	s_waitcnt vmcnt(26)
	v_fmac_f32_e32 v120, v59, v108
	v_add_f32_e32 v3, v3, v4
	v_add_f32_e32 v4, v52, v119
	s_waitcnt vmcnt(25)
	v_fmac_f32_e32 v121, v61, v109
	v_add_f32_e32 v4, v4, v120
	s_waitcnt vmcnt(24)
	v_fmac_f32_e32 v122, v63, v110
	;; [unrolled: 3-line block ×5, first 2 shown]
	v_add_f32_e32 v4, v4, v124
	v_mul_f32_e32 v5, v57, v5
	s_waitcnt vmcnt(20)
	v_fmac_f32_e32 v126, v71, v114
	v_add_f32_e32 v4, v4, v125
	v_fma_f32 v5, v56, v107, -v5
	v_add_f32_e32 v99, v4, v126
	v_mul_f32_e32 v4, v59, v94
	v_add_f32_e32 v3, v3, v5
	v_fma_f32 v4, v58, v108, -v4
	v_add_f32_e32 v3, v3, v4
	v_mul_f32_e32 v4, v61, v96
	v_fma_f32 v4, v60, v109, -v4
	v_add_f32_e32 v3, v3, v4
	v_mul_f32_e32 v4, v63, v98
	;; [unrolled: 3-line block ×6, first 2 shown]
	v_fma_f32 v4, v70, v114, -v4
	v_add_f32_e32 v98, v3, v4
	s_waitcnt lgkmcnt(0)
	v_mul_f32_e32 v3, v73, v104
	s_waitcnt vmcnt(19)
	v_fma_f32 v94, v72, v115, -v3
	v_mul_f32_e32 v3, v75, v105
	s_waitcnt vmcnt(18)
	v_fma_f32 v96, v74, v116, -v3
	ds_read2_b64 v[52:55], v2 offset0:39 offset1:40
	ds_read2_b64 v[56:59], v2 offset0:41 offset1:42
	;; [unrolled: 1-line block ×4, first 2 shown]
	v_mul_f32_e32 v95, v72, v104
	s_waitcnt vmcnt(11)
	v_mov_b32_e32 v66, v83
	v_mul_f32_e32 v97, v74, v105
	v_fmac_f32_e32 v95, v73, v115
	s_waitcnt lgkmcnt(3)
	v_pk_mul_f32 v[66:67], v[52:53], v[66:67] op_sel_hi:[1,0]
	v_fmac_f32_e32 v97, v75, v116
	v_pk_add_f32 v[64:65], v[98:99], v[94:95]
	s_waitcnt vmcnt(10)
	v_pk_fma_f32 v[68:69], v[52:53], v[82:83], v[66:67] op_sel:[0,0,1] op_sel_hi:[1,1,0] neg_lo:[0,0,1] neg_hi:[0,0,1]
	v_pk_fma_f32 v[52:53], v[52:53], v[82:83], v[66:67] op_sel:[0,0,1] op_sel_hi:[1,0,0]
	v_pk_add_f32 v[64:65], v[64:65], v[96:97]
	v_mov_b32_e32 v69, v53
	v_pk_add_f32 v[52:53], v[64:65], v[68:69]
	v_mov_b32_e32 v64, v81
	v_pk_mul_f32 v[64:65], v[54:55], v[64:65] op_sel_hi:[1,0]
	v_pk_fma_f32 v[66:67], v[54:55], v[80:81], v[64:65] op_sel:[0,0,1] op_sel_hi:[1,1,0] neg_lo:[0,0,1] neg_hi:[0,0,1]
	v_pk_fma_f32 v[54:55], v[54:55], v[80:81], v[64:65] op_sel:[0,0,1] op_sel_hi:[1,0,0]
	v_mov_b32_e32 v54, v79
	v_mov_b32_e32 v67, v55
	s_waitcnt lgkmcnt(2)
	v_pk_mul_f32 v[54:55], v[56:57], v[54:55] op_sel_hi:[1,0]
	v_pk_fma_f32 v[64:65], v[56:57], v[78:79], v[54:55] op_sel:[0,0,1] op_sel_hi:[1,1,0] neg_lo:[0,0,1] neg_hi:[0,0,1]
	v_pk_fma_f32 v[54:55], v[56:57], v[78:79], v[54:55] op_sel:[0,0,1] op_sel_hi:[1,0,0]
	s_waitcnt vmcnt(3)
	v_mov_b32_e32 v54, v91
	v_mov_b32_e32 v65, v55
	v_pk_mul_f32 v[54:55], v[58:59], v[54:55] op_sel_hi:[1,0]
	s_waitcnt vmcnt(2)
	v_pk_fma_f32 v[56:57], v[58:59], v[90:91], v[54:55] op_sel:[0,0,1] op_sel_hi:[1,1,0] neg_lo:[0,0,1] neg_hi:[0,0,1]
	v_pk_fma_f32 v[54:55], v[58:59], v[90:91], v[54:55] op_sel:[0,0,1] op_sel_hi:[1,0,0]
	v_pk_add_f32 v[52:53], v[52:53], v[66:67]
	v_mov_b32_e32 v54, v89
	v_pk_add_f32 v[52:53], v[52:53], v[64:65]
	v_mov_b32_e32 v57, v55
	s_waitcnt lgkmcnt(1)
	v_pk_mul_f32 v[54:55], v[60:61], v[54:55] op_sel_hi:[1,0]
	v_pk_add_f32 v[52:53], v[52:53], v[56:57]
	v_pk_fma_f32 v[56:57], v[60:61], v[88:89], v[54:55] op_sel:[0,0,1] op_sel_hi:[1,1,0] neg_lo:[0,0,1] neg_hi:[0,0,1]
	v_pk_fma_f32 v[54:55], v[60:61], v[88:89], v[54:55] op_sel:[0,0,1] op_sel_hi:[1,0,0]
	v_mov_b32_e32 v54, v87
	v_mov_b32_e32 v57, v55
	v_pk_mul_f32 v[54:55], v[62:63], v[54:55] op_sel_hi:[1,0]
	v_pk_add_f32 v[52:53], v[52:53], v[56:57]
	v_pk_fma_f32 v[56:57], v[62:63], v[86:87], v[54:55] op_sel:[0,0,1] op_sel_hi:[1,1,0] neg_lo:[0,0,1] neg_hi:[0,0,1]
	v_pk_fma_f32 v[54:55], v[62:63], v[86:87], v[54:55] op_sel:[0,0,1] op_sel_hi:[1,0,0]
	v_mov_b32_e32 v54, v85
	v_mov_b32_e32 v57, v55
	s_waitcnt lgkmcnt(0)
	v_pk_mul_f32 v[54:55], v[2:3], v[54:55] op_sel_hi:[1,0]
	v_pk_add_f32 v[52:53], v[52:53], v[56:57]
	v_pk_fma_f32 v[56:57], v[2:3], v[84:85], v[54:55] op_sel:[0,0,1] op_sel_hi:[1,1,0] neg_lo:[0,0,1] neg_hi:[0,0,1]
	v_pk_fma_f32 v[2:3], v[2:3], v[84:85], v[54:55] op_sel:[0,0,1] op_sel_hi:[1,0,0]
	v_mov_b32_e32 v57, v3
	v_pk_add_f32 v[2:3], v[52:53], v[56:57]
	s_waitcnt vmcnt(1)
	v_mov_b32_e32 v52, v93
	v_pk_mul_f32 v[52:53], v[4:5], v[52:53] op_sel_hi:[1,0]
	s_waitcnt vmcnt(0)
	v_pk_fma_f32 v[54:55], v[4:5], v[92:93], v[52:53] op_sel:[0,0,1] op_sel_hi:[1,1,0] neg_lo:[0,0,1] neg_hi:[0,0,1]
	v_pk_fma_f32 v[4:5], v[4:5], v[92:93], v[52:53] op_sel:[0,0,1] op_sel_hi:[1,0,0]
	v_mov_b32_e32 v55, v5
	v_pk_add_f32 v[2:3], v[2:3], v[54:55]
	v_pk_add_f32 v[2:3], v[76:77], v[2:3] neg_lo:[0,1] neg_hi:[0,1]
	buffer_store_dword v3, off, s[0:3], 0 offset:20
	buffer_store_dword v2, off, s[0:3], 0 offset:16
	s_and_saveexec_b64 s[4:5], vcc
	s_cbranch_execz .LBB86_149
; %bb.148:
	buffer_load_dword v2, off, s[0:3], 0 offset:8
	buffer_load_dword v3, off, s[0:3], 0 offset:12
	v_mov_b32_e32 v4, 0
	buffer_store_dword v4, off, s[0:3], 0 offset:8
	buffer_store_dword v4, off, s[0:3], 0 offset:12
	s_waitcnt vmcnt(2)
	ds_write_b64 v1, v[2:3]
.LBB86_149:
	s_or_b64 exec, exec, s[4:5]
	v_mov_b32_e32 v58, 0
	s_waitcnt lgkmcnt(0)
	; wave barrier
	s_waitcnt lgkmcnt(0)
	ds_read_b128 v[60:63], v58 offset:208
	ds_read_b128 v[64:67], v58 offset:224
	;; [unrolled: 1-line block ×4, first 2 shown]
	buffer_load_dword v52, off, s[0:3], 0 offset:8
	buffer_load_dword v53, off, s[0:3], 0 offset:12
	;; [unrolled: 1-line block ×18, first 2 shown]
	ds_read_b128 v[76:79], v58 offset:272
	buffer_load_dword v114, off, s[0:3], 0 offset:80
	buffer_load_dword v115, off, s[0:3], 0 offset:84
	;; [unrolled: 1-line block ×4, first 2 shown]
	ds_read_b128 v[80:83], v58 offset:288
	buffer_load_dword v118, off, s[0:3], 0 offset:96
	buffer_load_dword v119, off, s[0:3], 0 offset:100
	;; [unrolled: 1-line block ×4, first 2 shown]
	v_cmp_ne_u32_e32 vcc, 0, v0
	s_waitcnt vmcnt(22) lgkmcnt(5)
	v_mul_f32_e32 v2, v60, v56
	v_fmac_f32_e32 v2, v61, v54
	s_waitcnt vmcnt(20)
	v_mul_f32_e32 v3, v62, v84
	v_add_f32_e32 v2, 0, v2
	v_fmac_f32_e32 v3, v63, v59
	v_add_f32_e32 v2, v2, v3
	s_waitcnt vmcnt(18) lgkmcnt(4)
	v_mul_f32_e32 v3, v64, v103
	v_fmac_f32_e32 v3, v65, v102
	v_add_f32_e32 v2, v2, v3
	s_waitcnt vmcnt(16)
	v_mul_f32_e32 v3, v66, v105
	v_fmac_f32_e32 v3, v67, v104
	v_add_f32_e32 v2, v2, v3
	s_waitcnt vmcnt(14) lgkmcnt(3)
	v_mul_f32_e32 v3, v68, v107
	v_fmac_f32_e32 v3, v69, v106
	v_add_f32_e32 v2, v2, v3
	s_waitcnt vmcnt(12)
	v_mul_f32_e32 v3, v70, v109
	;; [unrolled: 8-line block ×4, first 2 shown]
	v_fmac_f32_e32 v3, v79, v116
	v_add_f32_e32 v2, v2, v3
	s_waitcnt vmcnt(2) lgkmcnt(0)
	v_mul_f32_e32 v3, v80, v119
	v_fmac_f32_e32 v3, v81, v118
	v_add_f32_e32 v55, v2, v3
	ds_read_b128 v[2:5], v58 offset:304
	buffer_load_dword v122, off, s[0:3], 0 offset:112
	buffer_load_dword v123, off, s[0:3], 0 offset:116
	;; [unrolled: 1-line block ×18, first 2 shown]
	v_mul_f32_e32 v56, v61, v56
	v_fma_f32 v54, v60, v54, -v56
	v_mul_f32_e32 v56, v63, v84
	v_add_f32_e32 v54, 0, v54
	v_fma_f32 v56, v62, v59, -v56
	v_add_f32_e32 v54, v54, v56
	v_mul_f32_e32 v56, v65, v103
	v_fma_f32 v56, v64, v102, -v56
	v_add_f32_e32 v54, v54, v56
	v_mul_f32_e32 v56, v67, v105
	;; [unrolled: 3-line block ×9, first 2 shown]
	v_fma_f32 v56, v80, v118, -v56
	s_waitcnt vmcnt(18)
	v_mul_f32_e32 v57, v82, v121
	v_add_f32_e32 v54, v54, v56
	v_mul_f32_e32 v56, v83, v121
	v_fmac_f32_e32 v57, v83, v120
	v_fma_f32 v56, v82, v120, -v56
	v_pk_add_f32 v[54:55], v[54:55], v[56:57]
	s_waitcnt vmcnt(15)
	v_mov_b32_e32 v56, v87
	s_waitcnt lgkmcnt(0)
	v_pk_mul_f32 v[56:57], v[4:5], v[56:57] op_sel_hi:[1,0]
	s_waitcnt vmcnt(14)
	v_pk_fma_f32 v[72:73], v[4:5], v[86:87], v[56:57] op_sel:[0,0,1] op_sel_hi:[1,1,0] neg_lo:[0,0,1] neg_hi:[0,0,1]
	v_pk_fma_f32 v[4:5], v[4:5], v[86:87], v[56:57] op_sel:[0,0,1] op_sel_hi:[1,0,0]
	v_mov_b32_e32 v73, v5
	v_mul_f32_e32 v85, v2, v123
	v_fmac_f32_e32 v85, v3, v122
	v_mul_f32_e32 v3, v3, v123
	v_fma_f32 v84, v2, v122, -v3
	ds_read_b128 v[60:63], v58 offset:320
	ds_read_b128 v[64:67], v58 offset:336
	;; [unrolled: 1-line block ×3, first 2 shown]
	ds_read_b64 v[2:3], v58 offset:368
	v_pk_add_f32 v[54:55], v[54:55], v[84:85]
	v_pk_add_f32 v[4:5], v[54:55], v[72:73]
	s_waitcnt vmcnt(13)
	v_mov_b32_e32 v54, v89
	s_waitcnt lgkmcnt(3)
	v_pk_mul_f32 v[54:55], v[60:61], v[54:55] op_sel_hi:[1,0]
	s_waitcnt vmcnt(12)
	v_pk_fma_f32 v[56:57], v[60:61], v[88:89], v[54:55] op_sel:[0,0,1] op_sel_hi:[1,1,0] neg_lo:[0,0,1] neg_hi:[0,0,1]
	v_pk_fma_f32 v[54:55], v[60:61], v[88:89], v[54:55] op_sel:[0,0,1] op_sel_hi:[1,0,0]
	s_waitcnt vmcnt(11)
	v_mov_b32_e32 v54, v91
	v_mov_b32_e32 v57, v55
	v_pk_mul_f32 v[54:55], v[62:63], v[54:55] op_sel_hi:[1,0]
	v_pk_add_f32 v[4:5], v[4:5], v[56:57]
	s_waitcnt vmcnt(10)
	v_pk_fma_f32 v[56:57], v[62:63], v[90:91], v[54:55] op_sel:[0,0,1] op_sel_hi:[1,1,0] neg_lo:[0,0,1] neg_hi:[0,0,1]
	v_pk_fma_f32 v[54:55], v[62:63], v[90:91], v[54:55] op_sel:[0,0,1] op_sel_hi:[1,0,0]
	s_waitcnt vmcnt(9)
	v_mov_b32_e32 v54, v93
	v_mov_b32_e32 v57, v55
	s_waitcnt lgkmcnt(2)
	v_pk_mul_f32 v[54:55], v[64:65], v[54:55] op_sel_hi:[1,0]
	v_pk_add_f32 v[4:5], v[4:5], v[56:57]
	s_waitcnt vmcnt(8)
	v_pk_fma_f32 v[56:57], v[64:65], v[92:93], v[54:55] op_sel:[0,0,1] op_sel_hi:[1,1,0] neg_lo:[0,0,1] neg_hi:[0,0,1]
	v_pk_fma_f32 v[54:55], v[64:65], v[92:93], v[54:55] op_sel:[0,0,1] op_sel_hi:[1,0,0]
	s_waitcnt vmcnt(7)
	v_mov_b32_e32 v54, v95
	v_mov_b32_e32 v57, v55
	v_pk_mul_f32 v[54:55], v[66:67], v[54:55] op_sel_hi:[1,0]
	v_pk_add_f32 v[4:5], v[4:5], v[56:57]
	s_waitcnt vmcnt(6)
	v_pk_fma_f32 v[56:57], v[66:67], v[94:95], v[54:55] op_sel:[0,0,1] op_sel_hi:[1,1,0] neg_lo:[0,0,1] neg_hi:[0,0,1]
	v_pk_fma_f32 v[54:55], v[66:67], v[94:95], v[54:55] op_sel:[0,0,1] op_sel_hi:[1,0,0]
	s_waitcnt vmcnt(5)
	v_mov_b32_e32 v54, v97
	v_mov_b32_e32 v57, v55
	s_waitcnt lgkmcnt(1)
	v_pk_mul_f32 v[54:55], v[68:69], v[54:55] op_sel_hi:[1,0]
	v_pk_add_f32 v[4:5], v[4:5], v[56:57]
	;; [unrolled: 17-line block ×3, first 2 shown]
	s_waitcnt vmcnt(0)
	v_pk_fma_f32 v[56:57], v[2:3], v[100:101], v[54:55] op_sel:[0,0,1] op_sel_hi:[1,1,0] neg_lo:[0,0,1] neg_hi:[0,0,1]
	v_pk_fma_f32 v[2:3], v[2:3], v[100:101], v[54:55] op_sel:[0,0,1] op_sel_hi:[1,0,0]
	v_mov_b32_e32 v57, v3
	v_pk_add_f32 v[2:3], v[4:5], v[56:57]
	v_pk_add_f32 v[2:3], v[52:53], v[2:3] neg_lo:[0,1] neg_hi:[0,1]
	buffer_store_dword v3, off, s[0:3], 0 offset:12
	buffer_store_dword v2, off, s[0:3], 0 offset:8
	s_and_saveexec_b64 s[4:5], vcc
	s_cbranch_execz .LBB86_151
; %bb.150:
	buffer_load_dword v2, off, s[0:3], 0
	buffer_load_dword v3, off, s[0:3], 0 offset:4
	s_waitcnt vmcnt(0)
	ds_write_b64 v1, v[2:3]
	buffer_store_dword v58, off, s[0:3], 0
	buffer_store_dword v58, off, s[0:3], 0 offset:4
.LBB86_151:
	s_or_b64 exec, exec, s[4:5]
	s_waitcnt lgkmcnt(0)
	; wave barrier
	s_waitcnt lgkmcnt(0)
	buffer_load_dword v56, off, s[0:3], 0 offset:12
	buffer_load_dword v57, off, s[0:3], 0 offset:20
	;; [unrolled: 1-line block ×28, first 2 shown]
	buffer_load_dword v4, off, s[0:3], 0
	buffer_load_dword v5, off, s[0:3], 0 offset:4
	ds_read2_b64 v[0:3], v58 offset0:25 offset1:26
	ds_read2_b64 v[52:55], v58 offset0:27 offset1:28
	;; [unrolled: 1-line block ×6, first 2 shown]
	buffer_load_dword v85, off, s[0:3], 0 offset:124
	buffer_load_dword v84, off, s[0:3], 0 offset:120
	ds_read2_b64 v[76:79], v58 offset0:37 offset1:38
	ds_read2_b64 v[80:83], v58 offset0:39 offset1:40
	buffer_load_dword v87, off, s[0:3], 0 offset:156
	buffer_load_dword v86, off, s[0:3], 0 offset:152
	;; [unrolled: 1-line block ×14, first 2 shown]
	s_and_b64 vcc, exec, s[16:17]
	s_waitcnt vmcnt(45) lgkmcnt(7)
	v_mul_f32_e32 v103, v0, v56
	s_waitcnt vmcnt(44)
	v_mul_f32_e32 v105, v2, v57
	s_waitcnt vmcnt(43) lgkmcnt(6)
	v_mul_f32_e32 v128, v52, v59
	s_waitcnt vmcnt(42)
	v_mul_f32_e32 v129, v54, v100
	;; [unrolled: 4-line block ×6, first 2 shown]
	s_waitcnt vmcnt(33) lgkmcnt(1)
	v_mul_f32_e32 v101, v76, v112
	s_waitcnt vmcnt(32)
	v_fmac_f32_e32 v103, v1, v113
	v_mul_f32_e32 v1, v1, v56
	v_fma_f32 v0, v0, v113, -v1
	v_mul_f32_e32 v1, v3, v57
	v_add_f32_e32 v0, 0, v0
	s_waitcnt vmcnt(31)
	v_fma_f32 v1, v2, v114, -v1
	v_add_f32_e32 v0, v0, v1
	v_mul_f32_e32 v1, v53, v59
	s_waitcnt vmcnt(30)
	v_fma_f32 v1, v52, v115, -v1
	v_add_f32_e32 v0, v0, v1
	v_mul_f32_e32 v1, v55, v100
	;; [unrolled: 4-line block ×5, first 2 shown]
	s_waitcnt vmcnt(26)
	v_fma_f32 v1, v64, v119, -v1
	v_fmac_f32_e32 v105, v3, v114
	v_add_f32_e32 v103, 0, v103
	v_add_f32_e32 v0, v0, v1
	v_mul_f32_e32 v1, v67, v107
	v_fmac_f32_e32 v128, v53, v115
	v_add_f32_e32 v103, v103, v105
	s_waitcnt vmcnt(25)
	v_fma_f32 v1, v66, v120, -v1
	v_fmac_f32_e32 v129, v55, v116
	v_add_f32_e32 v103, v103, v128
	v_add_f32_e32 v0, v0, v1
	v_mul_f32_e32 v1, v69, v108
	v_fmac_f32_e32 v130, v61, v117
	v_add_f32_e32 v103, v103, v129
	;; [unrolled: 8-line block ×5, first 2 shown]
	s_waitcnt vmcnt(21)
	v_fma_f32 v1, v74, v124, -v1
	s_waitcnt vmcnt(15)
	v_mov_b32_e32 v62, v85
	v_fmac_f32_e32 v137, v75, v124
	v_add_f32_e32 v103, v103, v136
	v_add_f32_e32 v102, v0, v1
	v_mul_f32_e32 v0, v77, v112
	s_waitcnt lgkmcnt(0)
	v_pk_mul_f32 v[62:63], v[80:81], v[62:63] op_sel_hi:[1,0]
	v_fmac_f32_e32 v101, v77, v125
	v_add_f32_e32 v103, v103, v137
	v_mul_f32_e32 v105, v78, v126
	v_fma_f32 v100, v76, v125, -v0
	v_mul_f32_e32 v0, v79, v126
	s_waitcnt vmcnt(14)
	v_pk_fma_f32 v[64:65], v[80:81], v[84:85], v[62:63] op_sel:[0,0,1] op_sel_hi:[1,1,0] neg_lo:[0,0,1] neg_hi:[0,0,1]
	v_pk_fma_f32 v[62:63], v[80:81], v[84:85], v[62:63] op_sel:[0,0,1] op_sel_hi:[1,0,0]
	v_fmac_f32_e32 v105, v79, v127
	v_fma_f32 v104, v78, v127, -v0
	v_pk_add_f32 v[60:61], v[102:103], v[100:101]
	s_waitcnt vmcnt(7)
	v_mov_b32_e32 v62, v93
	ds_read2_b64 v[0:3], v58 offset0:41 offset1:42
	ds_read2_b64 v[52:55], v58 offset0:43 offset1:44
	;; [unrolled: 1-line block ×3, first 2 shown]
	v_pk_add_f32 v[60:61], v[60:61], v[104:105]
	v_mov_b32_e32 v65, v63
	v_pk_mul_f32 v[62:63], v[82:83], v[62:63] op_sel_hi:[1,0]
	v_pk_add_f32 v[60:61], v[60:61], v[64:65]
	s_waitcnt vmcnt(6)
	v_pk_fma_f32 v[64:65], v[82:83], v[92:93], v[62:63] op_sel:[0,0,1] op_sel_hi:[1,1,0] neg_lo:[0,0,1] neg_hi:[0,0,1]
	v_pk_fma_f32 v[62:63], v[82:83], v[92:93], v[62:63] op_sel:[0,0,1] op_sel_hi:[1,0,0]
	v_mov_b32_e32 v62, v91
	v_mov_b32_e32 v65, v63
	s_waitcnt lgkmcnt(2)
	v_pk_mul_f32 v[62:63], v[0:1], v[62:63] op_sel_hi:[1,0]
	v_pk_add_f32 v[60:61], v[60:61], v[64:65]
	v_pk_fma_f32 v[64:65], v[0:1], v[90:91], v[62:63] op_sel:[0,0,1] op_sel_hi:[1,1,0] neg_lo:[0,0,1] neg_hi:[0,0,1]
	v_pk_fma_f32 v[0:1], v[0:1], v[90:91], v[62:63] op_sel:[0,0,1] op_sel_hi:[1,0,0]
	v_mov_b32_e32 v65, v1
	v_pk_add_f32 v[0:1], v[60:61], v[64:65]
	v_mov_b32_e32 v60, v89
	v_pk_mul_f32 v[60:61], v[2:3], v[60:61] op_sel_hi:[1,0]
	v_pk_fma_f32 v[62:63], v[2:3], v[88:89], v[60:61] op_sel:[0,0,1] op_sel_hi:[1,1,0] neg_lo:[0,0,1] neg_hi:[0,0,1]
	v_pk_fma_f32 v[2:3], v[2:3], v[88:89], v[60:61] op_sel:[0,0,1] op_sel_hi:[1,0,0]
	v_mov_b32_e32 v2, v87
	v_mov_b32_e32 v63, v3
	s_waitcnt lgkmcnt(1)
	v_pk_mul_f32 v[2:3], v[52:53], v[2:3] op_sel_hi:[1,0]
	v_pk_fma_f32 v[60:61], v[52:53], v[86:87], v[2:3] op_sel:[0,0,1] op_sel_hi:[1,1,0] neg_lo:[0,0,1] neg_hi:[0,0,1]
	v_pk_fma_f32 v[2:3], v[52:53], v[86:87], v[2:3] op_sel:[0,0,1] op_sel_hi:[1,0,0]
	s_waitcnt vmcnt(1)
	v_mov_b32_e32 v2, v99
	v_mov_b32_e32 v61, v3
	v_pk_mul_f32 v[2:3], v[54:55], v[2:3] op_sel_hi:[1,0]
	s_waitcnt vmcnt(0)
	v_pk_fma_f32 v[52:53], v[54:55], v[98:99], v[2:3] op_sel:[0,0,1] op_sel_hi:[1,1,0] neg_lo:[0,0,1] neg_hi:[0,0,1]
	v_pk_fma_f32 v[2:3], v[54:55], v[98:99], v[2:3] op_sel:[0,0,1] op_sel_hi:[1,0,0]
	v_pk_add_f32 v[0:1], v[0:1], v[62:63]
	v_mov_b32_e32 v2, v97
	v_pk_add_f32 v[0:1], v[0:1], v[60:61]
	v_mov_b32_e32 v53, v3
	s_waitcnt lgkmcnt(0)
	v_pk_mul_f32 v[2:3], v[56:57], v[2:3] op_sel_hi:[1,0]
	v_pk_add_f32 v[0:1], v[0:1], v[52:53]
	v_pk_fma_f32 v[52:53], v[56:57], v[96:97], v[2:3] op_sel:[0,0,1] op_sel_hi:[1,1,0] neg_lo:[0,0,1] neg_hi:[0,0,1]
	v_pk_fma_f32 v[2:3], v[56:57], v[96:97], v[2:3] op_sel:[0,0,1] op_sel_hi:[1,0,0]
	v_mov_b32_e32 v2, v95
	v_mov_b32_e32 v53, v3
	v_pk_mul_f32 v[2:3], v[58:59], v[2:3] op_sel_hi:[1,0]
	v_pk_add_f32 v[0:1], v[0:1], v[52:53]
	v_pk_fma_f32 v[52:53], v[58:59], v[94:95], v[2:3] op_sel:[0,0,1] op_sel_hi:[1,1,0] neg_lo:[0,0,1] neg_hi:[0,0,1]
	v_pk_fma_f32 v[2:3], v[58:59], v[94:95], v[2:3] op_sel:[0,0,1] op_sel_hi:[1,0,0]
	v_mov_b32_e32 v53, v3
	v_pk_add_f32 v[0:1], v[0:1], v[52:53]
	v_pk_add_f32 v[0:1], v[4:5], v[0:1] neg_lo:[0,1] neg_hi:[0,1]
	buffer_store_dword v1, off, s[0:3], 0 offset:4
	buffer_store_dword v0, off, s[0:3], 0
	s_cbranch_vccz .LBB86_197
; %bb.152:
	v_pk_mov_b32 v[0:1], s[10:11], s[10:11] op_sel:[0,1]
	flat_load_dword v0, v[0:1] offset:84
	s_waitcnt vmcnt(0) lgkmcnt(0)
	v_add_u32_e32 v0, -1, v0
	v_cmp_ne_u32_e32 vcc, 21, v0
	s_and_saveexec_b64 s[4:5], vcc
	s_cbranch_execz .LBB86_154
; %bb.153:
	v_mov_b32_e32 v1, 0
	v_lshl_add_u32 v0, v0, 3, v1
	buffer_load_dword v1, v0, s[0:3], 0 offen
	buffer_load_dword v2, v0, s[0:3], 0 offen offset:4
	buffer_load_dword v3, off, s[0:3], 0 offset:168
	buffer_load_dword v4, off, s[0:3], 0 offset:172
	s_waitcnt vmcnt(3)
	buffer_store_dword v1, off, s[0:3], 0 offset:168
	s_waitcnt vmcnt(3)
	buffer_store_dword v2, off, s[0:3], 0 offset:172
	s_waitcnt vmcnt(3)
	buffer_store_dword v3, v0, s[0:3], 0 offen
	s_waitcnt vmcnt(3)
	buffer_store_dword v4, v0, s[0:3], 0 offen offset:4
.LBB86_154:
	s_or_b64 exec, exec, s[4:5]
	v_pk_mov_b32 v[0:1], s[10:11], s[10:11] op_sel:[0,1]
	flat_load_dword v0, v[0:1] offset:80
	s_waitcnt vmcnt(0) lgkmcnt(0)
	v_add_u32_e32 v0, -1, v0
	v_cmp_ne_u32_e32 vcc, 20, v0
	s_and_saveexec_b64 s[4:5], vcc
	s_cbranch_execz .LBB86_156
; %bb.155:
	v_mov_b32_e32 v1, 0
	v_lshl_add_u32 v0, v0, 3, v1
	buffer_load_dword v1, v0, s[0:3], 0 offen
	buffer_load_dword v2, v0, s[0:3], 0 offen offset:4
	buffer_load_dword v3, off, s[0:3], 0 offset:164
	buffer_load_dword v4, off, s[0:3], 0 offset:160
	s_waitcnt vmcnt(3)
	buffer_store_dword v1, off, s[0:3], 0 offset:160
	s_waitcnt vmcnt(3)
	buffer_store_dword v2, off, s[0:3], 0 offset:164
	s_waitcnt vmcnt(3)
	buffer_store_dword v3, v0, s[0:3], 0 offen offset:4
	s_waitcnt vmcnt(3)
	buffer_store_dword v4, v0, s[0:3], 0 offen
.LBB86_156:
	s_or_b64 exec, exec, s[4:5]
	v_pk_mov_b32 v[0:1], s[10:11], s[10:11] op_sel:[0,1]
	flat_load_dword v0, v[0:1] offset:76
	s_waitcnt vmcnt(0) lgkmcnt(0)
	v_add_u32_e32 v0, -1, v0
	v_cmp_ne_u32_e32 vcc, 19, v0
	s_and_saveexec_b64 s[4:5], vcc
	s_cbranch_execz .LBB86_158
; %bb.157:
	v_mov_b32_e32 v1, 0
	v_lshl_add_u32 v0, v0, 3, v1
	buffer_load_dword v1, v0, s[0:3], 0 offen
	buffer_load_dword v2, v0, s[0:3], 0 offen offset:4
	buffer_load_dword v3, off, s[0:3], 0 offset:152
	buffer_load_dword v4, off, s[0:3], 0 offset:156
	s_waitcnt vmcnt(3)
	buffer_store_dword v1, off, s[0:3], 0 offset:152
	s_waitcnt vmcnt(3)
	buffer_store_dword v2, off, s[0:3], 0 offset:156
	s_waitcnt vmcnt(3)
	buffer_store_dword v3, v0, s[0:3], 0 offen
	s_waitcnt vmcnt(3)
	buffer_store_dword v4, v0, s[0:3], 0 offen offset:4
.LBB86_158:
	s_or_b64 exec, exec, s[4:5]
	v_pk_mov_b32 v[0:1], s[10:11], s[10:11] op_sel:[0,1]
	flat_load_dword v0, v[0:1] offset:72
	s_waitcnt vmcnt(0) lgkmcnt(0)
	v_add_u32_e32 v0, -1, v0
	v_cmp_ne_u32_e32 vcc, 18, v0
	s_and_saveexec_b64 s[4:5], vcc
	s_cbranch_execz .LBB86_160
; %bb.159:
	v_mov_b32_e32 v1, 0
	v_lshl_add_u32 v0, v0, 3, v1
	buffer_load_dword v1, v0, s[0:3], 0 offen
	buffer_load_dword v2, v0, s[0:3], 0 offen offset:4
	buffer_load_dword v3, off, s[0:3], 0 offset:148
	buffer_load_dword v4, off, s[0:3], 0 offset:144
	s_waitcnt vmcnt(3)
	buffer_store_dword v1, off, s[0:3], 0 offset:144
	s_waitcnt vmcnt(3)
	buffer_store_dword v2, off, s[0:3], 0 offset:148
	s_waitcnt vmcnt(3)
	buffer_store_dword v3, v0, s[0:3], 0 offen offset:4
	s_waitcnt vmcnt(3)
	buffer_store_dword v4, v0, s[0:3], 0 offen
.LBB86_160:
	s_or_b64 exec, exec, s[4:5]
	;; [unrolled: 48-line block ×10, first 2 shown]
	v_pk_mov_b32 v[0:1], s[10:11], s[10:11] op_sel:[0,1]
	flat_load_dword v0, v[0:1] offset:4
	s_waitcnt vmcnt(0) lgkmcnt(0)
	v_add_u32_e32 v0, -1, v0
	v_cmp_ne_u32_e32 vcc, 1, v0
	s_and_saveexec_b64 s[4:5], vcc
	s_cbranch_execz .LBB86_194
; %bb.193:
	v_mov_b32_e32 v1, 0
	v_lshl_add_u32 v0, v0, 3, v1
	buffer_load_dword v1, v0, s[0:3], 0 offen
	buffer_load_dword v2, v0, s[0:3], 0 offen offset:4
	buffer_load_dword v3, off, s[0:3], 0 offset:8
	buffer_load_dword v4, off, s[0:3], 0 offset:12
	s_waitcnt vmcnt(3)
	buffer_store_dword v1, off, s[0:3], 0 offset:8
	s_waitcnt vmcnt(3)
	buffer_store_dword v2, off, s[0:3], 0 offset:12
	s_waitcnt vmcnt(3)
	buffer_store_dword v3, v0, s[0:3], 0 offen
	s_waitcnt vmcnt(3)
	buffer_store_dword v4, v0, s[0:3], 0 offen offset:4
.LBB86_194:
	s_or_b64 exec, exec, s[4:5]
	v_pk_mov_b32 v[0:1], s[10:11], s[10:11] op_sel:[0,1]
	flat_load_dword v2, v[0:1]
	s_nop 0
	buffer_load_dword v0, off, s[0:3], 0
	buffer_load_dword v1, off, s[0:3], 0 offset:4
	s_waitcnt vmcnt(0) lgkmcnt(0)
	v_add_u32_e32 v2, -1, v2
	v_cmp_ne_u32_e32 vcc, 0, v2
	s_and_saveexec_b64 s[4:5], vcc
	s_cbranch_execz .LBB86_196
; %bb.195:
	v_mov_b32_e32 v3, 0
	v_lshl_add_u32 v2, v2, 3, v3
	buffer_load_dword v3, v2, s[0:3], 0 offen offset:4
	buffer_load_dword v4, v2, s[0:3], 0 offen
	s_waitcnt vmcnt(1)
	buffer_store_dword v3, off, s[0:3], 0 offset:4
	s_waitcnt vmcnt(1)
	buffer_store_dword v4, off, s[0:3], 0
	buffer_store_dword v1, v2, s[0:3], 0 offen offset:4
	buffer_store_dword v0, v2, s[0:3], 0 offen
	buffer_load_dword v0, off, s[0:3], 0
	s_nop 0
	buffer_load_dword v1, off, s[0:3], 0 offset:4
.LBB86_196:
	s_or_b64 exec, exec, s[4:5]
.LBB86_197:
	buffer_load_dword v2, off, s[0:3], 0 offset:8
	buffer_load_dword v3, off, s[0:3], 0 offset:12
	;; [unrolled: 1-line block ×44, first 2 shown]
	s_waitcnt vmcnt(44)
	global_store_dwordx2 v[6:7], v[0:1], off
	s_waitcnt vmcnt(43)
	global_store_dwordx2 v[8:9], v[2:3], off
	;; [unrolled: 2-line block ×23, first 2 shown]
	s_endpgm
	.section	.rodata,"a",@progbits
	.p2align	6, 0x0
	.amdhsa_kernel _ZN9rocsolver6v33100L18getri_kernel_smallILi23E19rocblas_complex_numIfEPKPS3_EEvT1_iilPiilS8_bb
		.amdhsa_group_segment_fixed_size 376
		.amdhsa_private_segment_fixed_size 192
		.amdhsa_kernarg_size 60
		.amdhsa_user_sgpr_count 8
		.amdhsa_user_sgpr_private_segment_buffer 1
		.amdhsa_user_sgpr_dispatch_ptr 0
		.amdhsa_user_sgpr_queue_ptr 0
		.amdhsa_user_sgpr_kernarg_segment_ptr 1
		.amdhsa_user_sgpr_dispatch_id 0
		.amdhsa_user_sgpr_flat_scratch_init 1
		.amdhsa_user_sgpr_kernarg_preload_length 0
		.amdhsa_user_sgpr_kernarg_preload_offset 0
		.amdhsa_user_sgpr_private_segment_size 0
		.amdhsa_uses_dynamic_stack 0
		.amdhsa_system_sgpr_private_segment_wavefront_offset 1
		.amdhsa_system_sgpr_workgroup_id_x 1
		.amdhsa_system_sgpr_workgroup_id_y 0
		.amdhsa_system_sgpr_workgroup_id_z 0
		.amdhsa_system_sgpr_workgroup_info 0
		.amdhsa_system_vgpr_workitem_id 0
		.amdhsa_next_free_vgpr 138
		.amdhsa_next_free_sgpr 22
		.amdhsa_accum_offset 140
		.amdhsa_reserve_vcc 1
		.amdhsa_reserve_flat_scratch 1
		.amdhsa_float_round_mode_32 0
		.amdhsa_float_round_mode_16_64 0
		.amdhsa_float_denorm_mode_32 3
		.amdhsa_float_denorm_mode_16_64 3
		.amdhsa_dx10_clamp 1
		.amdhsa_ieee_mode 1
		.amdhsa_fp16_overflow 0
		.amdhsa_tg_split 0
		.amdhsa_exception_fp_ieee_invalid_op 0
		.amdhsa_exception_fp_denorm_src 0
		.amdhsa_exception_fp_ieee_div_zero 0
		.amdhsa_exception_fp_ieee_overflow 0
		.amdhsa_exception_fp_ieee_underflow 0
		.amdhsa_exception_fp_ieee_inexact 0
		.amdhsa_exception_int_div_zero 0
	.end_amdhsa_kernel
	.section	.text._ZN9rocsolver6v33100L18getri_kernel_smallILi23E19rocblas_complex_numIfEPKPS3_EEvT1_iilPiilS8_bb,"axG",@progbits,_ZN9rocsolver6v33100L18getri_kernel_smallILi23E19rocblas_complex_numIfEPKPS3_EEvT1_iilPiilS8_bb,comdat
.Lfunc_end86:
	.size	_ZN9rocsolver6v33100L18getri_kernel_smallILi23E19rocblas_complex_numIfEPKPS3_EEvT1_iilPiilS8_bb, .Lfunc_end86-_ZN9rocsolver6v33100L18getri_kernel_smallILi23E19rocblas_complex_numIfEPKPS3_EEvT1_iilPiilS8_bb
                                        ; -- End function
	.section	.AMDGPU.csdata,"",@progbits
; Kernel info:
; codeLenInByte = 28984
; NumSgprs: 28
; NumVgprs: 138
; NumAgprs: 0
; TotalNumVgprs: 138
; ScratchSize: 192
; MemoryBound: 0
; FloatMode: 240
; IeeeMode: 1
; LDSByteSize: 376 bytes/workgroup (compile time only)
; SGPRBlocks: 3
; VGPRBlocks: 17
; NumSGPRsForWavesPerEU: 28
; NumVGPRsForWavesPerEU: 138
; AccumOffset: 140
; Occupancy: 3
; WaveLimiterHint : 1
; COMPUTE_PGM_RSRC2:SCRATCH_EN: 1
; COMPUTE_PGM_RSRC2:USER_SGPR: 8
; COMPUTE_PGM_RSRC2:TRAP_HANDLER: 0
; COMPUTE_PGM_RSRC2:TGID_X_EN: 1
; COMPUTE_PGM_RSRC2:TGID_Y_EN: 0
; COMPUTE_PGM_RSRC2:TGID_Z_EN: 0
; COMPUTE_PGM_RSRC2:TIDIG_COMP_CNT: 0
; COMPUTE_PGM_RSRC3_GFX90A:ACCUM_OFFSET: 34
; COMPUTE_PGM_RSRC3_GFX90A:TG_SPLIT: 0
	.section	.text._ZN9rocsolver6v33100L18getri_kernel_smallILi24E19rocblas_complex_numIfEPKPS3_EEvT1_iilPiilS8_bb,"axG",@progbits,_ZN9rocsolver6v33100L18getri_kernel_smallILi24E19rocblas_complex_numIfEPKPS3_EEvT1_iilPiilS8_bb,comdat
	.globl	_ZN9rocsolver6v33100L18getri_kernel_smallILi24E19rocblas_complex_numIfEPKPS3_EEvT1_iilPiilS8_bb ; -- Begin function _ZN9rocsolver6v33100L18getri_kernel_smallILi24E19rocblas_complex_numIfEPKPS3_EEvT1_iilPiilS8_bb
	.p2align	8
	.type	_ZN9rocsolver6v33100L18getri_kernel_smallILi24E19rocblas_complex_numIfEPKPS3_EEvT1_iilPiilS8_bb,@function
_ZN9rocsolver6v33100L18getri_kernel_smallILi24E19rocblas_complex_numIfEPKPS3_EEvT1_iilPiilS8_bb: ; @_ZN9rocsolver6v33100L18getri_kernel_smallILi24E19rocblas_complex_numIfEPKPS3_EEvT1_iilPiilS8_bb
; %bb.0:
	s_add_u32 flat_scratch_lo, s6, s9
	s_addc_u32 flat_scratch_hi, s7, 0
	s_add_u32 s0, s0, s9
	s_addc_u32 s1, s1, 0
	v_cmp_gt_u32_e32 vcc, 24, v0
	s_and_saveexec_b64 s[6:7], vcc
	s_cbranch_execz .LBB87_110
; %bb.1:
	s_load_dword s20, s[4:5], 0x38
	s_load_dwordx2 s[6:7], s[4:5], 0x0
	s_load_dwordx4 s[12:15], s[4:5], 0x28
	s_waitcnt lgkmcnt(0)
	s_bitcmp1_b32 s20, 8
	s_cselect_b64 s[16:17], -1, 0
	s_ashr_i32 s9, s8, 31
	s_lshl_b64 s[10:11], s[8:9], 3
	s_add_u32 s6, s6, s10
	s_addc_u32 s7, s7, s11
	s_load_dwordx2 s[18:19], s[6:7], 0x0
	s_bfe_u32 s6, s20, 0x10008
	s_cmp_eq_u32 s6, 0
                                        ; implicit-def: $sgpr10_sgpr11
	s_cbranch_scc1 .LBB87_3
; %bb.2:
	s_load_dword s6, s[4:5], 0x20
	s_load_dwordx2 s[10:11], s[4:5], 0x18
	s_mul_i32 s7, s8, s13
	s_mul_hi_u32 s13, s8, s12
	s_add_i32 s13, s13, s7
	s_mul_i32 s21, s9, s12
	s_add_i32 s13, s13, s21
	s_mul_i32 s12, s8, s12
	s_waitcnt lgkmcnt(0)
	s_ashr_i32 s7, s6, 31
	s_lshl_b64 s[12:13], s[12:13], 2
	s_add_u32 s10, s10, s12
	s_addc_u32 s11, s11, s13
	s_lshl_b64 s[6:7], s[6:7], 2
	s_add_u32 s10, s10, s6
	s_addc_u32 s11, s11, s7
.LBB87_3:
	s_load_dwordx2 s[6:7], s[4:5], 0x8
	v_lshlrev_b32_e32 v6, 3, v0
	s_waitcnt lgkmcnt(0)
	s_ashr_i32 s5, s6, 31
	s_mov_b32 s4, s6
	s_lshl_b64 s[4:5], s[4:5], 3
	s_add_u32 s4, s18, s4
	s_addc_u32 s5, s19, s5
	v_mov_b32_e32 v1, s5
	v_add_co_u32_e32 v14, vcc, s4, v6
	s_ashr_i32 s13, s7, 31
	s_mov_b32 s12, s7
	s_add_i32 s6, s7, s7
	v_addc_co_u32_e32 v15, vcc, 0, v1, vcc
	s_lshl_b64 s[12:13], s[12:13], 3
	v_add_u32_e32 v4, s6, v0
	v_mov_b32_e32 v1, s13
	v_add_co_u32_e32 v16, vcc, s12, v14
	v_ashrrev_i32_e32 v5, 31, v4
	v_addc_co_u32_e32 v17, vcc, v15, v1, vcc
	v_lshlrev_b64 v[8:9], 3, v[4:5]
	v_add_u32_e32 v4, s7, v4
	v_mov_b32_e32 v1, s5
	v_add_co_u32_e32 v18, vcc, s4, v8
	v_ashrrev_i32_e32 v5, 31, v4
	v_addc_co_u32_e32 v19, vcc, v1, v9, vcc
	v_lshlrev_b64 v[8:9], 3, v[4:5]
	v_add_u32_e32 v4, s7, v4
	v_add_co_u32_e32 v20, vcc, s4, v8
	v_ashrrev_i32_e32 v5, 31, v4
	v_addc_co_u32_e32 v21, vcc, v1, v9, vcc
	v_lshlrev_b64 v[8:9], 3, v[4:5]
	v_add_u32_e32 v4, s7, v4
	;; [unrolled: 5-line block ×16, first 2 shown]
	v_add_co_u32_e32 v50, vcc, s4, v8
	v_add_u32_e32 v8, s7, v4
	v_add_u32_e32 v10, s7, v8
	;; [unrolled: 1-line block ×4, first 2 shown]
	v_ashrrev_i32_e32 v5, 31, v4
	v_addc_co_u32_e32 v51, vcc, v1, v9, vcc
	v_ashrrev_i32_e32 v53, 31, v52
	v_lshlrev_b64 v[4:5], 3, v[4:5]
	v_lshlrev_b64 v[60:61], 3, v[52:53]
	v_mov_b32_e32 v7, s5
	v_add_co_u32_e32 v52, vcc, s4, v4
	v_ashrrev_i32_e32 v9, 31, v8
	v_addc_co_u32_e32 v53, vcc, v7, v5, vcc
	v_lshlrev_b64 v[4:5], 3, v[8:9]
	v_add_co_u32_e32 v54, vcc, s4, v4
	v_ashrrev_i32_e32 v11, 31, v10
	v_addc_co_u32_e32 v55, vcc, v7, v5, vcc
	v_lshlrev_b64 v[4:5], 3, v[10:11]
	;; [unrolled: 4-line block ×3, first 2 shown]
	v_add_co_u32_e32 v58, vcc, s4, v4
	global_load_dwordx2 v[2:3], v6, s[4:5]
	global_load_dwordx2 v[62:63], v[16:17], off
	global_load_dwordx2 v[64:65], v[18:19], off
	;; [unrolled: 1-line block ×18, first 2 shown]
	v_addc_co_u32_e32 v59, vcc, v7, v5, vcc
	global_load_dwordx2 v[4:5], v[52:53], off
	global_load_dwordx2 v[8:9], v[54:55], off
	;; [unrolled: 1-line block ×4, first 2 shown]
	v_add_co_u32_e32 v60, vcc, s4, v60
	v_addc_co_u32_e32 v61, vcc, v1, v61, vcc
	global_load_dwordx2 v[98:99], v[60:61], off
	s_bitcmp0_b32 s20, 0
	s_mov_b64 s[6:7], -1
	s_waitcnt vmcnt(23)
	buffer_store_dword v3, off, s[0:3], 0 offset:4
	buffer_store_dword v2, off, s[0:3], 0
	s_waitcnt vmcnt(24)
	buffer_store_dword v63, off, s[0:3], 0 offset:12
	buffer_store_dword v62, off, s[0:3], 0 offset:8
	s_waitcnt vmcnt(25)
	buffer_store_dword v65, off, s[0:3], 0 offset:20
	buffer_store_dword v64, off, s[0:3], 0 offset:16
	;; [unrolled: 3-line block ×23, first 2 shown]
	s_cbranch_scc1 .LBB87_108
; %bb.4:
	v_cmp_eq_u32_e64 s[4:5], 0, v0
	s_and_saveexec_b64 s[6:7], s[4:5]
	s_cbranch_execz .LBB87_6
; %bb.5:
	v_mov_b32_e32 v1, 0
	ds_write_b32 v1, v1 offset:384
.LBB87_6:
	s_or_b64 exec, exec, s[6:7]
	v_mov_b32_e32 v1, 0
	v_lshl_add_u32 v7, v0, 3, v1
	s_waitcnt lgkmcnt(0)
	; wave barrier
	s_waitcnt lgkmcnt(0)
	buffer_load_dword v1, v7, s[0:3], 0 offen
	buffer_load_dword v2, v7, s[0:3], 0 offen offset:4
	s_waitcnt vmcnt(1)
	v_cmp_eq_f32_e32 vcc, 0, v1
	s_waitcnt vmcnt(0)
	v_cmp_eq_f32_e64 s[6:7], 0, v2
	s_and_b64 s[6:7], vcc, s[6:7]
	s_and_saveexec_b64 s[12:13], s[6:7]
	s_cbranch_execz .LBB87_10
; %bb.7:
	v_mov_b32_e32 v1, 0
	ds_read_b32 v3, v1 offset:384
	v_add_u32_e32 v2, 1, v0
	s_waitcnt lgkmcnt(0)
	v_readfirstlane_b32 s6, v3
	s_cmp_eq_u32 s6, 0
	s_cselect_b64 s[18:19], -1, 0
	v_cmp_gt_i32_e32 vcc, s6, v2
	s_or_b64 s[18:19], s[18:19], vcc
	s_and_b64 exec, exec, s[18:19]
	s_cbranch_execz .LBB87_10
; %bb.8:
	s_mov_b64 s[18:19], 0
	v_mov_b32_e32 v3, s6
.LBB87_9:                               ; =>This Inner Loop Header: Depth=1
	ds_cmpst_rtn_b32 v3, v1, v3, v2 offset:384
	s_waitcnt lgkmcnt(0)
	v_cmp_ne_u32_e32 vcc, 0, v3
	v_cmp_le_i32_e64 s[6:7], v3, v2
	s_and_b64 s[6:7], vcc, s[6:7]
	s_and_b64 s[6:7], exec, s[6:7]
	s_or_b64 s[18:19], s[6:7], s[18:19]
	s_andn2_b64 exec, exec, s[18:19]
	s_cbranch_execnz .LBB87_9
.LBB87_10:
	s_or_b64 exec, exec, s[12:13]
	v_mov_b32_e32 v2, 0
	s_waitcnt lgkmcnt(0)
	; wave barrier
	ds_read_b32 v1, v2 offset:384
	s_and_saveexec_b64 s[6:7], s[4:5]
	s_cbranch_execz .LBB87_12
; %bb.11:
	s_lshl_b64 s[12:13], s[8:9], 2
	s_add_u32 s12, s14, s12
	s_addc_u32 s13, s15, s13
	s_waitcnt lgkmcnt(0)
	global_store_dword v2, v1, s[12:13]
.LBB87_12:
	s_or_b64 exec, exec, s[6:7]
	s_waitcnt lgkmcnt(0)
	v_cmp_ne_u32_e32 vcc, 0, v1
	s_mov_b64 s[6:7], 0
	s_cbranch_vccnz .LBB87_108
; %bb.13:
	buffer_load_dword v8, v7, s[0:3], 0 offen offset:4
	buffer_load_dword v3, v7, s[0:3], 0 offen
	s_waitcnt vmcnt(1)
	v_cmp_gt_f32_e32 vcc, 0, v8
	v_cndmask_b32_e64 v1, v8, -v8, vcc
	s_waitcnt vmcnt(0)
	v_cmp_gt_f32_e32 vcc, 0, v3
	v_cndmask_b32_e64 v2, v3, -v3, vcc
	v_cmp_ngt_f32_e32 vcc, v2, v1
                                        ; implicit-def: $vgpr1
                                        ; implicit-def: $vgpr2
	s_and_saveexec_b64 s[6:7], vcc
	s_xor_b64 s[6:7], exec, s[6:7]
                                        ; implicit-def: $vgpr4_vgpr5
	s_cbranch_execz .LBB87_15
; %bb.14:
	v_div_scale_f32 v1, s[12:13], v8, v8, v3
	v_rcp_f32_e32 v2, v1
	v_div_scale_f32 v4, vcc, v3, v8, v3
	v_fma_f32 v5, -v1, v2, 1.0
	v_fmac_f32_e32 v2, v5, v2
	v_mul_f32_e32 v5, v4, v2
	v_fma_f32 v9, -v1, v5, v4
	v_fmac_f32_e32 v5, v9, v2
	v_fma_f32 v1, -v1, v5, v4
	v_div_fmas_f32 v1, v1, v2, v5
	v_div_fixup_f32 v2, v1, v8, v3
	v_fmac_f32_e32 v8, v3, v2
	v_div_scale_f32 v1, s[12:13], v8, v8, -1.0
	v_rcp_f32_e32 v3, v1
	v_fma_f32 v4, -v1, v3, 1.0
	v_fmac_f32_e32 v3, v4, v3
	v_div_scale_f32 v4, vcc, -1.0, v8, -1.0
	v_mul_f32_e32 v5, v4, v3
	v_fma_f32 v9, -v1, v5, v4
	v_fmac_f32_e32 v5, v9, v3
	v_fma_f32 v1, -v1, v5, v4
	v_div_fmas_f32 v1, v1, v3, v5
	v_div_fixup_f32 v1, v1, v8, -1.0
	v_mul_f32_e32 v2, v2, v1
	v_xor_b32_e32 v4, 0x80000000, v2
                                        ; implicit-def: $vgpr3
                                        ; implicit-def: $vgpr8
.LBB87_15:
	s_andn2_saveexec_b64 s[6:7], s[6:7]
	s_cbranch_execz .LBB87_17
; %bb.16:
	v_div_scale_f32 v1, s[12:13], v3, v3, v8
	v_rcp_f32_e32 v2, v1
	v_div_scale_f32 v4, vcc, v8, v3, v8
	v_fma_f32 v5, -v1, v2, 1.0
	v_fmac_f32_e32 v2, v5, v2
	v_mul_f32_e32 v5, v4, v2
	v_fma_f32 v9, -v1, v5, v4
	v_fmac_f32_e32 v5, v9, v2
	v_fma_f32 v1, -v1, v5, v4
	v_div_fmas_f32 v1, v1, v2, v5
	v_div_fixup_f32 v1, v1, v3, v8
	v_fmac_f32_e32 v3, v8, v1
	v_div_scale_f32 v2, s[12:13], v3, v3, 1.0
	v_rcp_f32_e32 v4, v2
	v_fma_f32 v5, -v2, v4, 1.0
	v_fmac_f32_e32 v4, v5, v4
	v_div_scale_f32 v5, vcc, 1.0, v3, 1.0
	v_mul_f32_e32 v8, v5, v4
	v_fma_f32 v9, -v2, v8, v5
	v_fmac_f32_e32 v8, v9, v4
	v_fma_f32 v2, -v2, v8, v5
	v_div_fmas_f32 v2, v2, v4, v8
	v_div_fixup_f32 v4, v2, v3, 1.0
	v_xor_b32_e32 v2, 0x80000000, v4
	v_mul_f32_e64 v1, v1, -v4
.LBB87_17:
	s_or_b64 exec, exec, s[6:7]
	buffer_store_dword v1, v7, s[0:3], 0 offen offset:4
	buffer_store_dword v4, v7, s[0:3], 0 offen
	buffer_load_dword v5, off, s[0:3], 0 offset:12
	s_nop 0
	buffer_load_dword v4, off, s[0:3], 0 offset:8
	v_xor_b32_e32 v3, 0x80000000, v1
	v_add_u32_e32 v1, 0xc0, v6
	s_waitcnt vmcnt(0)
	ds_write2_b64 v6, v[2:3], v[4:5] offset1:24
	s_waitcnt lgkmcnt(0)
	; wave barrier
	s_waitcnt lgkmcnt(0)
	s_and_saveexec_b64 s[6:7], s[4:5]
	s_cbranch_execz .LBB87_19
; %bb.18:
	buffer_load_dword v8, v7, s[0:3], 0 offen offset:4
	buffer_load_dword v9, v7, s[0:3], 0 offen
	ds_read_b64 v[2:3], v1
	v_mov_b32_e32 v4, 0
	ds_read_b64 v[4:5], v4 offset:8
	s_waitcnt vmcnt(1) lgkmcnt(1)
	v_mul_f32_e32 v10, v3, v8
	v_mul_f32_e32 v8, v2, v8
	s_waitcnt vmcnt(0)
	v_fmac_f32_e32 v8, v3, v9
	v_fma_f32 v2, v2, v9, -v10
	v_add_f32_e32 v3, 0, v8
	v_add_f32_e32 v2, 0, v2
	s_waitcnt lgkmcnt(0)
	v_mul_f32_e32 v8, v3, v5
	v_mul_f32_e32 v5, v2, v5
	v_fma_f32 v2, v2, v4, -v8
	v_fmac_f32_e32 v5, v3, v4
	buffer_store_dword v2, off, s[0:3], 0 offset:8
	buffer_store_dword v5, off, s[0:3], 0 offset:12
.LBB87_19:
	s_or_b64 exec, exec, s[6:7]
	s_waitcnt lgkmcnt(0)
	; wave barrier
	buffer_load_dword v2, off, s[0:3], 0 offset:16
	buffer_load_dword v3, off, s[0:3], 0 offset:20
	v_cmp_gt_u32_e32 vcc, 2, v0
	s_waitcnt vmcnt(0)
	ds_write_b64 v1, v[2:3]
	s_waitcnt lgkmcnt(0)
	; wave barrier
	s_waitcnt lgkmcnt(0)
	s_and_saveexec_b64 s[6:7], vcc
	s_cbranch_execz .LBB87_23
; %bb.20:
	buffer_load_dword v4, v7, s[0:3], 0 offen offset:4
	buffer_load_dword v5, v7, s[0:3], 0 offen
	ds_read_b64 v[2:3], v1
	s_waitcnt vmcnt(1) lgkmcnt(0)
	v_mul_f32_e32 v7, v3, v4
	v_mul_f32_e32 v4, v2, v4
	s_waitcnt vmcnt(0)
	v_fma_f32 v2, v2, v5, -v7
	v_fmac_f32_e32 v4, v3, v5
	v_add_f32_e32 v3, 0, v2
	v_add_f32_e32 v2, 0, v4
	s_and_saveexec_b64 s[12:13], s[4:5]
	s_cbranch_execz .LBB87_22
; %bb.21:
	buffer_load_dword v7, off, s[0:3], 0 offset:12
	buffer_load_dword v8, off, s[0:3], 0 offset:8
	v_mov_b32_e32 v4, 0
	ds_read_b64 v[4:5], v4 offset:200
	s_waitcnt vmcnt(1) lgkmcnt(0)
	v_mul_f32_e32 v9, v4, v7
	v_mul_f32_e32 v7, v5, v7
	s_waitcnt vmcnt(0)
	v_fmac_f32_e32 v9, v5, v8
	v_fma_f32 v4, v4, v8, -v7
	v_add_f32_e32 v2, v2, v9
	v_add_f32_e32 v3, v3, v4
.LBB87_22:
	s_or_b64 exec, exec, s[12:13]
	v_mov_b32_e32 v4, 0
	ds_read_b64 v[4:5], v4 offset:16
	s_waitcnt lgkmcnt(0)
	v_mul_f32_e32 v7, v2, v5
	v_mul_f32_e32 v5, v3, v5
	v_fma_f32 v3, v3, v4, -v7
	v_fmac_f32_e32 v5, v2, v4
	buffer_store_dword v3, off, s[0:3], 0 offset:16
	buffer_store_dword v5, off, s[0:3], 0 offset:20
.LBB87_23:
	s_or_b64 exec, exec, s[6:7]
	s_waitcnt lgkmcnt(0)
	; wave barrier
	buffer_load_dword v2, off, s[0:3], 0 offset:24
	buffer_load_dword v3, off, s[0:3], 0 offset:28
	v_cmp_gt_u32_e32 vcc, 3, v0
	s_waitcnt vmcnt(0)
	ds_write_b64 v1, v[2:3]
	v_add_u32_e32 v2, -1, v0
	s_waitcnt lgkmcnt(0)
	; wave barrier
	s_waitcnt lgkmcnt(0)
	s_and_saveexec_b64 s[4:5], vcc
	s_cbranch_execz .LBB87_27
; %bb.24:
	v_add_u32_e32 v4, -1, v0
	v_add_u32_e32 v5, 0xc0, v6
	v_add_u32_e32 v7, 0, v6
	s_mov_b64 s[6:7], 0
	v_mov_b32_e32 v3, 0
	v_mov_b32_e32 v8, 0
.LBB87_25:                              ; =>This Inner Loop Header: Depth=1
	buffer_load_dword v9, v7, s[0:3], 0 offen offset:4
	buffer_load_dword v12, v7, s[0:3], 0 offen
	ds_read_b64 v[10:11], v5
	v_add_u32_e32 v4, 1, v4
	v_cmp_lt_u32_e32 vcc, 1, v4
	v_add_u32_e32 v5, 8, v5
	v_add_u32_e32 v7, 8, v7
	s_or_b64 s[6:7], vcc, s[6:7]
	s_waitcnt vmcnt(1) lgkmcnt(0)
	v_mul_f32_e32 v13, v11, v9
	v_mul_f32_e32 v9, v10, v9
	s_waitcnt vmcnt(0)
	v_fma_f32 v10, v10, v12, -v13
	v_fmac_f32_e32 v9, v11, v12
	v_add_f32_e32 v8, v8, v10
	v_add_f32_e32 v3, v3, v9
	s_andn2_b64 exec, exec, s[6:7]
	s_cbranch_execnz .LBB87_25
; %bb.26:
	s_or_b64 exec, exec, s[6:7]
	v_mov_b32_e32 v4, 0
	ds_read_b64 v[4:5], v4 offset:24
	s_waitcnt lgkmcnt(0)
	v_mul_f32_e32 v7, v3, v5
	v_mul_f32_e32 v5, v8, v5
	v_fma_f32 v7, v8, v4, -v7
	v_fmac_f32_e32 v5, v3, v4
	buffer_store_dword v7, off, s[0:3], 0 offset:24
	buffer_store_dword v5, off, s[0:3], 0 offset:28
.LBB87_27:
	s_or_b64 exec, exec, s[4:5]
	s_waitcnt lgkmcnt(0)
	; wave barrier
	buffer_load_dword v4, off, s[0:3], 0 offset:32
	buffer_load_dword v5, off, s[0:3], 0 offset:36
	v_cmp_gt_u32_e32 vcc, 4, v0
	s_waitcnt vmcnt(0)
	ds_write_b64 v1, v[4:5]
	s_waitcnt lgkmcnt(0)
	; wave barrier
	s_waitcnt lgkmcnt(0)
	s_and_saveexec_b64 s[4:5], vcc
	s_cbranch_execz .LBB87_31
; %bb.28:
	v_add_u32_e32 v4, -1, v0
	v_add_u32_e32 v5, 0xc0, v6
	v_add_u32_e32 v7, 0, v6
	s_mov_b64 s[6:7], 0
	v_mov_b32_e32 v3, 0
	v_mov_b32_e32 v8, 0
.LBB87_29:                              ; =>This Inner Loop Header: Depth=1
	buffer_load_dword v9, v7, s[0:3], 0 offen offset:4
	buffer_load_dword v12, v7, s[0:3], 0 offen
	ds_read_b64 v[10:11], v5
	v_add_u32_e32 v4, 1, v4
	v_cmp_lt_u32_e32 vcc, 2, v4
	v_add_u32_e32 v5, 8, v5
	v_add_u32_e32 v7, 8, v7
	s_or_b64 s[6:7], vcc, s[6:7]
	s_waitcnt vmcnt(1) lgkmcnt(0)
	v_mul_f32_e32 v13, v11, v9
	v_mul_f32_e32 v9, v10, v9
	s_waitcnt vmcnt(0)
	v_fma_f32 v10, v10, v12, -v13
	v_fmac_f32_e32 v9, v11, v12
	v_add_f32_e32 v8, v8, v10
	v_add_f32_e32 v3, v3, v9
	s_andn2_b64 exec, exec, s[6:7]
	s_cbranch_execnz .LBB87_29
; %bb.30:
	s_or_b64 exec, exec, s[6:7]
	v_mov_b32_e32 v4, 0
	ds_read_b64 v[4:5], v4 offset:32
	s_waitcnt lgkmcnt(0)
	v_mul_f32_e32 v7, v3, v5
	v_mul_f32_e32 v5, v8, v5
	v_fma_f32 v7, v8, v4, -v7
	v_fmac_f32_e32 v5, v3, v4
	buffer_store_dword v7, off, s[0:3], 0 offset:32
	buffer_store_dword v5, off, s[0:3], 0 offset:36
.LBB87_31:
	s_or_b64 exec, exec, s[4:5]
	s_waitcnt lgkmcnt(0)
	; wave barrier
	buffer_load_dword v4, off, s[0:3], 0 offset:40
	buffer_load_dword v5, off, s[0:3], 0 offset:44
	v_cmp_gt_u32_e32 vcc, 5, v0
	s_waitcnt vmcnt(0)
	ds_write_b64 v1, v[4:5]
	;; [unrolled: 51-line block ×19, first 2 shown]
	s_waitcnt lgkmcnt(0)
	; wave barrier
	s_waitcnt lgkmcnt(0)
	s_and_saveexec_b64 s[4:5], vcc
	s_cbranch_execz .LBB87_103
; %bb.100:
	v_add_u32_e32 v4, -1, v0
	v_add_u32_e32 v5, 0xc0, v6
	v_add_u32_e32 v7, 0, v6
	s_mov_b64 s[6:7], 0
	v_mov_b32_e32 v3, 0
	v_mov_b32_e32 v8, 0
.LBB87_101:                             ; =>This Inner Loop Header: Depth=1
	buffer_load_dword v9, v7, s[0:3], 0 offen offset:4
	buffer_load_dword v12, v7, s[0:3], 0 offen
	ds_read_b64 v[10:11], v5
	v_add_u32_e32 v4, 1, v4
	v_cmp_lt_u32_e32 vcc, 20, v4
	v_add_u32_e32 v5, 8, v5
	v_add_u32_e32 v7, 8, v7
	s_or_b64 s[6:7], vcc, s[6:7]
	s_waitcnt vmcnt(1) lgkmcnt(0)
	v_mul_f32_e32 v13, v11, v9
	v_mul_f32_e32 v9, v10, v9
	s_waitcnt vmcnt(0)
	v_fma_f32 v10, v10, v12, -v13
	v_fmac_f32_e32 v9, v11, v12
	v_add_f32_e32 v8, v8, v10
	v_add_f32_e32 v3, v3, v9
	s_andn2_b64 exec, exec, s[6:7]
	s_cbranch_execnz .LBB87_101
; %bb.102:
	s_or_b64 exec, exec, s[6:7]
	v_mov_b32_e32 v4, 0
	ds_read_b64 v[4:5], v4 offset:176
	s_waitcnt lgkmcnt(0)
	v_mul_f32_e32 v7, v3, v5
	v_mul_f32_e32 v5, v8, v5
	v_fma_f32 v7, v8, v4, -v7
	v_fmac_f32_e32 v5, v3, v4
	buffer_store_dword v7, off, s[0:3], 0 offset:176
	buffer_store_dword v5, off, s[0:3], 0 offset:180
.LBB87_103:
	s_or_b64 exec, exec, s[4:5]
	s_waitcnt lgkmcnt(0)
	; wave barrier
	buffer_load_dword v4, off, s[0:3], 0 offset:184
	buffer_load_dword v5, off, s[0:3], 0 offset:188
	v_cmp_ne_u32_e32 vcc, 23, v0
	s_waitcnt vmcnt(0)
	ds_write_b64 v1, v[4:5]
	s_waitcnt lgkmcnt(0)
	; wave barrier
	s_waitcnt lgkmcnt(0)
	s_and_saveexec_b64 s[4:5], vcc
	s_cbranch_execz .LBB87_107
; %bb.104:
	v_add_u32_e32 v3, 0xc0, v6
	v_add_u32_e32 v4, 0, v6
	s_mov_b64 s[6:7], 0
	v_mov_b32_e32 v1, 0
	v_mov_b32_e32 v5, 0
.LBB87_105:                             ; =>This Inner Loop Header: Depth=1
	buffer_load_dword v8, v4, s[0:3], 0 offen offset:4
	buffer_load_dword v9, v4, s[0:3], 0 offen
	ds_read_b64 v[6:7], v3
	v_add_u32_e32 v2, 1, v2
	v_cmp_lt_u32_e32 vcc, 21, v2
	v_add_u32_e32 v3, 8, v3
	v_add_u32_e32 v4, 8, v4
	s_or_b64 s[6:7], vcc, s[6:7]
	s_waitcnt vmcnt(1) lgkmcnt(0)
	v_mul_f32_e32 v10, v7, v8
	v_mul_f32_e32 v8, v6, v8
	s_waitcnt vmcnt(0)
	v_fma_f32 v6, v6, v9, -v10
	v_fmac_f32_e32 v8, v7, v9
	v_add_f32_e32 v5, v5, v6
	v_add_f32_e32 v1, v1, v8
	s_andn2_b64 exec, exec, s[6:7]
	s_cbranch_execnz .LBB87_105
; %bb.106:
	s_or_b64 exec, exec, s[6:7]
	v_mov_b32_e32 v2, 0
	ds_read_b64 v[2:3], v2 offset:184
	s_waitcnt lgkmcnt(0)
	v_mul_f32_e32 v4, v1, v3
	v_mul_f32_e32 v3, v5, v3
	v_fma_f32 v4, v5, v2, -v4
	v_fmac_f32_e32 v3, v1, v2
	buffer_store_dword v4, off, s[0:3], 0 offset:184
	buffer_store_dword v3, off, s[0:3], 0 offset:188
.LBB87_107:
	s_or_b64 exec, exec, s[4:5]
	s_mov_b64 s[6:7], -1
	s_waitcnt lgkmcnt(0)
	; wave barrier
.LBB87_108:
	s_and_b64 vcc, exec, s[6:7]
	s_cbranch_vccz .LBB87_110
; %bb.109:
	s_lshl_b64 s[4:5], s[8:9], 2
	s_add_u32 s4, s14, s4
	s_addc_u32 s5, s15, s5
	v_mov_b32_e32 v1, 0
	global_load_dword v1, v1, s[4:5]
	s_waitcnt vmcnt(0)
	v_cmp_ne_u32_e32 vcc, 0, v1
	s_cbranch_vccz .LBB87_111
.LBB87_110:
	s_endpgm
.LBB87_111:
	v_mov_b32_e32 v1, 0xc0
	v_lshl_add_u32 v1, v0, 3, v1
	v_cmp_eq_u32_e32 vcc, 23, v0
	s_and_saveexec_b64 s[4:5], vcc
	s_cbranch_execz .LBB87_113
; %bb.112:
	buffer_load_dword v2, off, s[0:3], 0 offset:176
	buffer_load_dword v3, off, s[0:3], 0 offset:180
	v_mov_b32_e32 v4, 0
	buffer_store_dword v4, off, s[0:3], 0 offset:176
	buffer_store_dword v4, off, s[0:3], 0 offset:180
	s_waitcnt vmcnt(2)
	ds_write_b64 v1, v[2:3]
.LBB87_113:
	s_or_b64 exec, exec, s[4:5]
	s_waitcnt lgkmcnt(0)
	; wave barrier
	s_waitcnt lgkmcnt(0)
	buffer_load_dword v5, off, s[0:3], 0 offset:188
	buffer_load_dword v4, off, s[0:3], 0 offset:184
	;; [unrolled: 1-line block ×4, first 2 shown]
	v_mov_b32_e32 v2, 0
	ds_read_b64 v[8:9], v2 offset:376
	v_cmp_lt_u32_e32 vcc, 21, v0
	s_waitcnt vmcnt(3)
	v_mov_b32_e32 v10, v5
	s_waitcnt lgkmcnt(0)
	v_pk_mul_f32 v[10:11], v[8:9], v[10:11] op_sel_hi:[1,0]
	s_waitcnt vmcnt(2)
	v_pk_fma_f32 v[12:13], v[8:9], v[4:5], v[10:11] op_sel:[0,0,1] op_sel_hi:[1,1,0] neg_lo:[0,0,1] neg_hi:[0,0,1]
	v_pk_fma_f32 v[4:5], v[8:9], v[4:5], v[10:11] op_sel:[0,0,1] op_sel_hi:[1,0,0]
	v_mov_b32_e32 v13, v5
	v_pk_add_f32 v[4:5], v[12:13], 0 op_sel_hi:[1,0]
	s_waitcnt vmcnt(0)
	v_pk_add_f32 v[4:5], v[6:7], v[4:5] neg_lo:[0,1] neg_hi:[0,1]
	buffer_store_dword v4, off, s[0:3], 0 offset:176
	buffer_store_dword v5, off, s[0:3], 0 offset:180
	s_and_saveexec_b64 s[4:5], vcc
	s_cbranch_execz .LBB87_115
; %bb.114:
	buffer_load_dword v4, off, s[0:3], 0 offset:168
	buffer_load_dword v5, off, s[0:3], 0 offset:172
	s_waitcnt vmcnt(0)
	ds_write_b64 v1, v[4:5]
	buffer_store_dword v2, off, s[0:3], 0 offset:168
	buffer_store_dword v2, off, s[0:3], 0 offset:172
.LBB87_115:
	s_or_b64 exec, exec, s[4:5]
	s_waitcnt lgkmcnt(0)
	; wave barrier
	s_waitcnt lgkmcnt(0)
	buffer_load_dword v7, off, s[0:3], 0 offset:180
	buffer_load_dword v9, off, s[0:3], 0 offset:188
	;; [unrolled: 1-line block ×6, first 2 shown]
	ds_read_b128 v[2:5], v2 offset:368
	v_cmp_lt_u32_e32 vcc, 20, v0
	s_waitcnt vmcnt(5)
	v_mov_b32_e32 v12, v7
	s_waitcnt vmcnt(4)
	v_mov_b32_e32 v62, v9
	s_waitcnt lgkmcnt(0)
	v_pk_mul_f32 v[12:13], v[2:3], v[12:13] op_sel_hi:[1,0]
	v_pk_mul_f32 v[62:63], v[4:5], v[62:63] op_sel_hi:[1,0]
	s_waitcnt vmcnt(3)
	v_pk_fma_f32 v[64:65], v[2:3], v[6:7], v[12:13] op_sel:[0,0,1] op_sel_hi:[1,1,0] neg_lo:[0,0,1] neg_hi:[0,0,1]
	v_pk_fma_f32 v[2:3], v[2:3], v[6:7], v[12:13] op_sel:[0,0,1] op_sel_hi:[1,0,0]
	s_waitcnt vmcnt(2)
	v_pk_fma_f32 v[6:7], v[4:5], v[8:9], v[62:63] op_sel:[0,0,1] op_sel_hi:[1,1,0] neg_lo:[0,0,1] neg_hi:[0,0,1]
	v_pk_fma_f32 v[4:5], v[4:5], v[8:9], v[62:63] op_sel:[0,0,1] op_sel_hi:[1,0,0]
	v_mov_b32_e32 v65, v3
	v_mov_b32_e32 v7, v5
	v_pk_add_f32 v[2:3], v[64:65], 0 op_sel_hi:[1,0]
	v_pk_add_f32 v[2:3], v[2:3], v[6:7]
	s_waitcnt vmcnt(0)
	v_pk_add_f32 v[2:3], v[10:11], v[2:3] neg_lo:[0,1] neg_hi:[0,1]
	buffer_store_dword v2, off, s[0:3], 0 offset:168
	buffer_store_dword v3, off, s[0:3], 0 offset:172
	s_and_saveexec_b64 s[4:5], vcc
	s_cbranch_execz .LBB87_117
; %bb.116:
	buffer_load_dword v2, off, s[0:3], 0 offset:160
	buffer_load_dword v3, off, s[0:3], 0 offset:164
	v_mov_b32_e32 v4, 0
	buffer_store_dword v4, off, s[0:3], 0 offset:160
	buffer_store_dword v4, off, s[0:3], 0 offset:164
	s_waitcnt vmcnt(2)
	ds_write_b64 v1, v[2:3]
.LBB87_117:
	s_or_b64 exec, exec, s[4:5]
	s_waitcnt lgkmcnt(0)
	; wave barrier
	s_waitcnt lgkmcnt(0)
	buffer_load_dword v9, off, s[0:3], 0 offset:172
	buffer_load_dword v11, off, s[0:3], 0 offset:180
	;; [unrolled: 1-line block ×8, first 2 shown]
	v_mov_b32_e32 v2, 0
	ds_read2_b64 v[4:7], v2 offset0:45 offset1:46
	ds_read_b64 v[64:65], v2 offset:376
	v_cmp_lt_u32_e32 vcc, 19, v0
	s_waitcnt vmcnt(7)
	v_mov_b32_e32 v66, v9
	s_waitcnt vmcnt(6)
	v_mov_b32_e32 v68, v11
	s_waitcnt lgkmcnt(1)
	v_pk_mul_f32 v[66:67], v[4:5], v[66:67] op_sel_hi:[1,0]
	s_waitcnt vmcnt(5)
	v_mov_b32_e32 v70, v13
	v_pk_mul_f32 v[68:69], v[6:7], v[68:69] op_sel_hi:[1,0]
	s_waitcnt vmcnt(4)
	v_pk_fma_f32 v[72:73], v[4:5], v[8:9], v[66:67] op_sel:[0,0,1] op_sel_hi:[1,1,0] neg_lo:[0,0,1] neg_hi:[0,0,1]
	v_pk_fma_f32 v[4:5], v[4:5], v[8:9], v[66:67] op_sel:[0,0,1] op_sel_hi:[1,0,0]
	s_waitcnt lgkmcnt(0)
	v_pk_mul_f32 v[70:71], v[64:65], v[70:71] op_sel_hi:[1,0]
	s_waitcnt vmcnt(3)
	v_pk_fma_f32 v[8:9], v[6:7], v[10:11], v[68:69] op_sel:[0,0,1] op_sel_hi:[1,1,0] neg_lo:[0,0,1] neg_hi:[0,0,1]
	v_pk_fma_f32 v[6:7], v[6:7], v[10:11], v[68:69] op_sel:[0,0,1] op_sel_hi:[1,0,0]
	v_mov_b32_e32 v73, v5
	s_waitcnt vmcnt(2)
	v_pk_fma_f32 v[10:11], v[64:65], v[12:13], v[70:71] op_sel:[0,0,1] op_sel_hi:[1,1,0] neg_lo:[0,0,1] neg_hi:[0,0,1]
	v_pk_fma_f32 v[12:13], v[64:65], v[12:13], v[70:71] op_sel:[0,0,1] op_sel_hi:[1,0,0]
	v_mov_b32_e32 v9, v7
	v_pk_add_f32 v[4:5], v[72:73], 0 op_sel_hi:[1,0]
	v_mov_b32_e32 v11, v13
	v_pk_add_f32 v[4:5], v[4:5], v[8:9]
	v_pk_add_f32 v[4:5], v[4:5], v[10:11]
	s_waitcnt vmcnt(0)
	v_pk_add_f32 v[4:5], v[62:63], v[4:5] neg_lo:[0,1] neg_hi:[0,1]
	buffer_store_dword v4, off, s[0:3], 0 offset:160
	buffer_store_dword v5, off, s[0:3], 0 offset:164
	s_and_saveexec_b64 s[4:5], vcc
	s_cbranch_execz .LBB87_119
; %bb.118:
	buffer_load_dword v4, off, s[0:3], 0 offset:152
	buffer_load_dword v5, off, s[0:3], 0 offset:156
	s_waitcnt vmcnt(0)
	ds_write_b64 v1, v[4:5]
	buffer_store_dword v2, off, s[0:3], 0 offset:152
	buffer_store_dword v2, off, s[0:3], 0 offset:156
.LBB87_119:
	s_or_b64 exec, exec, s[4:5]
	s_waitcnt lgkmcnt(0)
	; wave barrier
	s_waitcnt lgkmcnt(0)
	buffer_load_dword v13, off, s[0:3], 0 offset:164
	buffer_load_dword v63, off, s[0:3], 0 offset:172
	;; [unrolled: 1-line block ×10, first 2 shown]
	ds_read_b128 v[4:7], v2 offset:352
	ds_read_b128 v[8:11], v2 offset:368
	v_cmp_lt_u32_e32 vcc, 18, v0
	s_waitcnt vmcnt(9)
	v_mov_b32_e32 v2, v13
	s_waitcnt vmcnt(8)
	v_mov_b32_e32 v70, v63
	s_waitcnt lgkmcnt(1)
	v_pk_mul_f32 v[2:3], v[4:5], v[2:3] op_sel_hi:[1,0]
	s_waitcnt vmcnt(7)
	v_mov_b32_e32 v72, v65
	v_pk_mul_f32 v[70:71], v[6:7], v[70:71] op_sel_hi:[1,0]
	s_waitcnt vmcnt(5)
	v_pk_fma_f32 v[76:77], v[4:5], v[12:13], v[2:3] op_sel:[0,0,1] op_sel_hi:[1,1,0] neg_lo:[0,0,1] neg_hi:[0,0,1]
	v_pk_fma_f32 v[2:3], v[4:5], v[12:13], v[2:3] op_sel:[0,0,1] op_sel_hi:[1,0,0]
	v_mov_b32_e32 v74, v67
	s_waitcnt lgkmcnt(0)
	v_pk_mul_f32 v[72:73], v[8:9], v[72:73] op_sel_hi:[1,0]
	s_waitcnt vmcnt(4)
	v_pk_fma_f32 v[4:5], v[6:7], v[62:63], v[70:71] op_sel:[0,0,1] op_sel_hi:[1,1,0] neg_lo:[0,0,1] neg_hi:[0,0,1]
	v_pk_fma_f32 v[6:7], v[6:7], v[62:63], v[70:71] op_sel:[0,0,1] op_sel_hi:[1,0,0]
	v_mov_b32_e32 v77, v3
	v_pk_mul_f32 v[74:75], v[10:11], v[74:75] op_sel_hi:[1,0]
	s_waitcnt vmcnt(3)
	v_pk_fma_f32 v[12:13], v[8:9], v[64:65], v[72:73] op_sel:[0,0,1] op_sel_hi:[1,1,0] neg_lo:[0,0,1] neg_hi:[0,0,1]
	v_pk_fma_f32 v[8:9], v[8:9], v[64:65], v[72:73] op_sel:[0,0,1] op_sel_hi:[1,0,0]
	v_mov_b32_e32 v5, v7
	v_pk_add_f32 v[2:3], v[76:77], 0 op_sel_hi:[1,0]
	s_waitcnt vmcnt(2)
	v_pk_fma_f32 v[62:63], v[10:11], v[66:67], v[74:75] op_sel:[0,0,1] op_sel_hi:[1,1,0] neg_lo:[0,0,1] neg_hi:[0,0,1]
	v_pk_fma_f32 v[10:11], v[10:11], v[66:67], v[74:75] op_sel:[0,0,1] op_sel_hi:[1,0,0]
	v_mov_b32_e32 v13, v9
	v_pk_add_f32 v[2:3], v[2:3], v[4:5]
	v_mov_b32_e32 v63, v11
	v_pk_add_f32 v[2:3], v[2:3], v[12:13]
	v_pk_add_f32 v[2:3], v[2:3], v[62:63]
	s_waitcnt vmcnt(0)
	v_pk_add_f32 v[2:3], v[68:69], v[2:3] neg_lo:[0,1] neg_hi:[0,1]
	buffer_store_dword v2, off, s[0:3], 0 offset:152
	buffer_store_dword v3, off, s[0:3], 0 offset:156
	s_and_saveexec_b64 s[4:5], vcc
	s_cbranch_execz .LBB87_121
; %bb.120:
	buffer_load_dword v2, off, s[0:3], 0 offset:144
	buffer_load_dword v3, off, s[0:3], 0 offset:148
	v_mov_b32_e32 v4, 0
	buffer_store_dword v4, off, s[0:3], 0 offset:144
	buffer_store_dword v4, off, s[0:3], 0 offset:148
	s_waitcnt vmcnt(2)
	ds_write_b64 v1, v[2:3]
.LBB87_121:
	s_or_b64 exec, exec, s[4:5]
	s_waitcnt lgkmcnt(0)
	; wave barrier
	s_waitcnt lgkmcnt(0)
	buffer_load_dword v13, off, s[0:3], 0 offset:156
	buffer_load_dword v63, off, s[0:3], 0 offset:164
	;; [unrolled: 1-line block ×12, first 2 shown]
	v_mov_b32_e32 v2, 0
	ds_read2_b64 v[4:7], v2 offset0:43 offset1:44
	ds_read2_b64 v[8:11], v2 offset0:45 offset1:46
	ds_read_b64 v[72:73], v2 offset:376
	v_cmp_lt_u32_e32 vcc, 17, v0
	s_waitcnt vmcnt(11)
	v_mov_b32_e32 v74, v13
	s_waitcnt vmcnt(10)
	v_mov_b32_e32 v76, v63
	s_waitcnt lgkmcnt(2)
	v_pk_mul_f32 v[74:75], v[4:5], v[74:75] op_sel_hi:[1,0]
	s_waitcnt vmcnt(9)
	v_mov_b32_e32 v78, v65
	v_pk_mul_f32 v[76:77], v[6:7], v[76:77] op_sel_hi:[1,0]
	s_waitcnt vmcnt(6)
	v_pk_fma_f32 v[84:85], v[4:5], v[12:13], v[74:75] op_sel:[0,0,1] op_sel_hi:[1,1,0] neg_lo:[0,0,1] neg_hi:[0,0,1]
	v_pk_fma_f32 v[4:5], v[4:5], v[12:13], v[74:75] op_sel:[0,0,1] op_sel_hi:[1,0,0]
	v_mov_b32_e32 v80, v67
	s_waitcnt lgkmcnt(1)
	v_pk_mul_f32 v[78:79], v[8:9], v[78:79] op_sel_hi:[1,0]
	s_waitcnt vmcnt(5)
	v_pk_fma_f32 v[12:13], v[6:7], v[62:63], v[76:77] op_sel:[0,0,1] op_sel_hi:[1,1,0] neg_lo:[0,0,1] neg_hi:[0,0,1]
	v_pk_fma_f32 v[6:7], v[6:7], v[62:63], v[76:77] op_sel:[0,0,1] op_sel_hi:[1,0,0]
	v_mov_b32_e32 v85, v5
	v_mov_b32_e32 v82, v69
	v_pk_mul_f32 v[80:81], v[10:11], v[80:81] op_sel_hi:[1,0]
	s_waitcnt vmcnt(4)
	v_pk_fma_f32 v[62:63], v[8:9], v[64:65], v[78:79] op_sel:[0,0,1] op_sel_hi:[1,1,0] neg_lo:[0,0,1] neg_hi:[0,0,1]
	v_pk_fma_f32 v[8:9], v[8:9], v[64:65], v[78:79] op_sel:[0,0,1] op_sel_hi:[1,0,0]
	v_mov_b32_e32 v13, v7
	v_pk_add_f32 v[4:5], v[84:85], 0 op_sel_hi:[1,0]
	s_waitcnt lgkmcnt(0)
	v_pk_mul_f32 v[82:83], v[72:73], v[82:83] op_sel_hi:[1,0]
	s_waitcnt vmcnt(3)
	v_pk_fma_f32 v[64:65], v[10:11], v[66:67], v[80:81] op_sel:[0,0,1] op_sel_hi:[1,1,0] neg_lo:[0,0,1] neg_hi:[0,0,1]
	v_pk_fma_f32 v[10:11], v[10:11], v[66:67], v[80:81] op_sel:[0,0,1] op_sel_hi:[1,0,0]
	v_mov_b32_e32 v63, v9
	v_pk_add_f32 v[4:5], v[4:5], v[12:13]
	s_waitcnt vmcnt(2)
	v_pk_fma_f32 v[66:67], v[72:73], v[68:69], v[82:83] op_sel:[0,0,1] op_sel_hi:[1,1,0] neg_lo:[0,0,1] neg_hi:[0,0,1]
	v_pk_fma_f32 v[68:69], v[72:73], v[68:69], v[82:83] op_sel:[0,0,1] op_sel_hi:[1,0,0]
	v_mov_b32_e32 v65, v11
	v_pk_add_f32 v[4:5], v[4:5], v[62:63]
	v_mov_b32_e32 v67, v69
	v_pk_add_f32 v[4:5], v[4:5], v[64:65]
	v_pk_add_f32 v[4:5], v[4:5], v[66:67]
	s_waitcnt vmcnt(0)
	v_pk_add_f32 v[4:5], v[70:71], v[4:5] neg_lo:[0,1] neg_hi:[0,1]
	buffer_store_dword v4, off, s[0:3], 0 offset:144
	buffer_store_dword v5, off, s[0:3], 0 offset:148
	s_and_saveexec_b64 s[4:5], vcc
	s_cbranch_execz .LBB87_123
; %bb.122:
	buffer_load_dword v4, off, s[0:3], 0 offset:136
	buffer_load_dword v5, off, s[0:3], 0 offset:140
	s_waitcnt vmcnt(0)
	ds_write_b64 v1, v[4:5]
	buffer_store_dword v2, off, s[0:3], 0 offset:136
	buffer_store_dword v2, off, s[0:3], 0 offset:140
.LBB87_123:
	s_or_b64 exec, exec, s[4:5]
	s_waitcnt lgkmcnt(0)
	; wave barrier
	s_waitcnt lgkmcnt(0)
	buffer_load_dword v13, off, s[0:3], 0 offset:148
	buffer_load_dword v67, off, s[0:3], 0 offset:156
	;; [unrolled: 1-line block ×14, first 2 shown]
	ds_read_b128 v[4:7], v2 offset:336
	ds_read_b128 v[8:11], v2 offset:352
	;; [unrolled: 1-line block ×3, first 2 shown]
	v_cmp_lt_u32_e32 vcc, 16, v0
	s_waitcnt vmcnt(13)
	v_mov_b32_e32 v2, v13
	s_waitcnt vmcnt(12)
	v_mov_b32_e32 v78, v67
	s_waitcnt lgkmcnt(2)
	v_pk_mul_f32 v[2:3], v[4:5], v[2:3] op_sel_hi:[1,0]
	s_waitcnt vmcnt(11)
	v_mov_b32_e32 v80, v69
	v_pk_mul_f32 v[78:79], v[6:7], v[78:79] op_sel_hi:[1,0]
	s_waitcnt vmcnt(10)
	v_mov_b32_e32 v82, v71
	s_waitcnt vmcnt(7)
	v_pk_fma_f32 v[88:89], v[4:5], v[12:13], v[2:3] op_sel:[0,0,1] op_sel_hi:[1,1,0] neg_lo:[0,0,1] neg_hi:[0,0,1]
	v_pk_fma_f32 v[2:3], v[4:5], v[12:13], v[2:3] op_sel:[0,0,1] op_sel_hi:[1,0,0]
	s_waitcnt lgkmcnt(1)
	v_pk_mul_f32 v[80:81], v[8:9], v[80:81] op_sel_hi:[1,0]
	s_waitcnt vmcnt(6)
	v_pk_fma_f32 v[4:5], v[6:7], v[66:67], v[78:79] op_sel:[0,0,1] op_sel_hi:[1,1,0] neg_lo:[0,0,1] neg_hi:[0,0,1]
	v_pk_fma_f32 v[6:7], v[6:7], v[66:67], v[78:79] op_sel:[0,0,1] op_sel_hi:[1,0,0]
	v_mov_b32_e32 v89, v3
	v_mov_b32_e32 v84, v73
	v_pk_mul_f32 v[82:83], v[10:11], v[82:83] op_sel_hi:[1,0]
	s_waitcnt vmcnt(5)
	v_pk_fma_f32 v[12:13], v[8:9], v[68:69], v[80:81] op_sel:[0,0,1] op_sel_hi:[1,1,0] neg_lo:[0,0,1] neg_hi:[0,0,1]
	v_pk_fma_f32 v[8:9], v[8:9], v[68:69], v[80:81] op_sel:[0,0,1] op_sel_hi:[1,0,0]
	v_mov_b32_e32 v5, v7
	v_pk_add_f32 v[2:3], v[88:89], 0 op_sel_hi:[1,0]
	v_mov_b32_e32 v86, v75
	s_waitcnt lgkmcnt(0)
	v_pk_mul_f32 v[84:85], v[62:63], v[84:85] op_sel_hi:[1,0]
	s_waitcnt vmcnt(4)
	v_pk_fma_f32 v[66:67], v[10:11], v[70:71], v[82:83] op_sel:[0,0,1] op_sel_hi:[1,1,0] neg_lo:[0,0,1] neg_hi:[0,0,1]
	v_pk_fma_f32 v[10:11], v[10:11], v[70:71], v[82:83] op_sel:[0,0,1] op_sel_hi:[1,0,0]
	v_mov_b32_e32 v13, v9
	v_pk_add_f32 v[2:3], v[2:3], v[4:5]
	v_pk_mul_f32 v[86:87], v[64:65], v[86:87] op_sel_hi:[1,0]
	s_waitcnt vmcnt(3)
	v_pk_fma_f32 v[68:69], v[62:63], v[72:73], v[84:85] op_sel:[0,0,1] op_sel_hi:[1,1,0] neg_lo:[0,0,1] neg_hi:[0,0,1]
	v_pk_fma_f32 v[62:63], v[62:63], v[72:73], v[84:85] op_sel:[0,0,1] op_sel_hi:[1,0,0]
	v_mov_b32_e32 v67, v11
	v_pk_add_f32 v[2:3], v[2:3], v[12:13]
	s_waitcnt vmcnt(2)
	v_pk_fma_f32 v[70:71], v[64:65], v[74:75], v[86:87] op_sel:[0,0,1] op_sel_hi:[1,1,0] neg_lo:[0,0,1] neg_hi:[0,0,1]
	v_pk_fma_f32 v[64:65], v[64:65], v[74:75], v[86:87] op_sel:[0,0,1] op_sel_hi:[1,0,0]
	v_mov_b32_e32 v69, v63
	v_pk_add_f32 v[2:3], v[2:3], v[66:67]
	v_mov_b32_e32 v71, v65
	v_pk_add_f32 v[2:3], v[2:3], v[68:69]
	v_pk_add_f32 v[2:3], v[2:3], v[70:71]
	s_waitcnt vmcnt(0)
	v_pk_add_f32 v[2:3], v[76:77], v[2:3] neg_lo:[0,1] neg_hi:[0,1]
	buffer_store_dword v2, off, s[0:3], 0 offset:136
	buffer_store_dword v3, off, s[0:3], 0 offset:140
	s_and_saveexec_b64 s[4:5], vcc
	s_cbranch_execz .LBB87_125
; %bb.124:
	buffer_load_dword v2, off, s[0:3], 0 offset:128
	buffer_load_dword v3, off, s[0:3], 0 offset:132
	v_mov_b32_e32 v4, 0
	buffer_store_dword v4, off, s[0:3], 0 offset:128
	buffer_store_dword v4, off, s[0:3], 0 offset:132
	s_waitcnt vmcnt(2)
	ds_write_b64 v1, v[2:3]
.LBB87_125:
	s_or_b64 exec, exec, s[4:5]
	s_waitcnt lgkmcnt(0)
	; wave barrier
	s_waitcnt lgkmcnt(0)
	buffer_load_dword v13, off, s[0:3], 0 offset:140
	buffer_load_dword v67, off, s[0:3], 0 offset:148
	;; [unrolled: 1-line block ×16, first 2 shown]
	v_mov_b32_e32 v2, 0
	ds_read2_b64 v[4:7], v2 offset0:41 offset1:42
	ds_read2_b64 v[8:11], v2 offset0:43 offset1:44
	;; [unrolled: 1-line block ×3, first 2 shown]
	ds_read_b64 v[80:81], v2 offset:376
	v_cmp_lt_u32_e32 vcc, 15, v0
	s_waitcnt vmcnt(15)
	v_mov_b32_e32 v82, v13
	s_waitcnt vmcnt(14)
	v_mov_b32_e32 v84, v67
	s_waitcnt lgkmcnt(3)
	v_pk_mul_f32 v[82:83], v[4:5], v[82:83] op_sel_hi:[1,0]
	s_waitcnt vmcnt(13)
	v_mov_b32_e32 v86, v69
	v_pk_mul_f32 v[84:85], v[6:7], v[84:85] op_sel_hi:[1,0]
	s_waitcnt vmcnt(12)
	v_mov_b32_e32 v88, v71
	s_waitcnt lgkmcnt(2)
	v_pk_mul_f32 v[86:87], v[8:9], v[86:87] op_sel_hi:[1,0]
	s_waitcnt vmcnt(8)
	v_pk_fma_f32 v[96:97], v[4:5], v[12:13], v[82:83] op_sel:[0,0,1] op_sel_hi:[1,1,0] neg_lo:[0,0,1] neg_hi:[0,0,1]
	v_pk_fma_f32 v[4:5], v[4:5], v[12:13], v[82:83] op_sel:[0,0,1] op_sel_hi:[1,0,0]
	s_waitcnt vmcnt(7)
	v_pk_fma_f32 v[12:13], v[6:7], v[66:67], v[84:85] op_sel:[0,0,1] op_sel_hi:[1,1,0] neg_lo:[0,0,1] neg_hi:[0,0,1]
	v_pk_fma_f32 v[6:7], v[6:7], v[66:67], v[84:85] op_sel:[0,0,1] op_sel_hi:[1,0,0]
	v_mov_b32_e32 v97, v5
	v_mov_b32_e32 v90, v73
	v_pk_mul_f32 v[88:89], v[10:11], v[88:89] op_sel_hi:[1,0]
	s_waitcnt vmcnt(6)
	v_pk_fma_f32 v[66:67], v[8:9], v[68:69], v[86:87] op_sel:[0,0,1] op_sel_hi:[1,1,0] neg_lo:[0,0,1] neg_hi:[0,0,1]
	v_pk_fma_f32 v[8:9], v[8:9], v[68:69], v[86:87] op_sel:[0,0,1] op_sel_hi:[1,0,0]
	v_mov_b32_e32 v13, v7
	v_pk_add_f32 v[4:5], v[96:97], 0 op_sel_hi:[1,0]
	v_mov_b32_e32 v92, v75
	s_waitcnt lgkmcnt(1)
	v_pk_mul_f32 v[90:91], v[62:63], v[90:91] op_sel_hi:[1,0]
	s_waitcnt vmcnt(5)
	v_pk_fma_f32 v[68:69], v[10:11], v[70:71], v[88:89] op_sel:[0,0,1] op_sel_hi:[1,1,0] neg_lo:[0,0,1] neg_hi:[0,0,1]
	v_pk_fma_f32 v[10:11], v[10:11], v[70:71], v[88:89] op_sel:[0,0,1] op_sel_hi:[1,0,0]
	v_mov_b32_e32 v67, v9
	v_pk_add_f32 v[4:5], v[4:5], v[12:13]
	v_mov_b32_e32 v94, v77
	v_pk_mul_f32 v[92:93], v[64:65], v[92:93] op_sel_hi:[1,0]
	s_waitcnt vmcnt(4)
	v_pk_fma_f32 v[70:71], v[62:63], v[72:73], v[90:91] op_sel:[0,0,1] op_sel_hi:[1,1,0] neg_lo:[0,0,1] neg_hi:[0,0,1]
	v_pk_fma_f32 v[62:63], v[62:63], v[72:73], v[90:91] op_sel:[0,0,1] op_sel_hi:[1,0,0]
	v_mov_b32_e32 v69, v11
	v_pk_add_f32 v[4:5], v[4:5], v[66:67]
	s_waitcnt lgkmcnt(0)
	v_pk_mul_f32 v[94:95], v[80:81], v[94:95] op_sel_hi:[1,0]
	s_waitcnt vmcnt(3)
	v_pk_fma_f32 v[72:73], v[64:65], v[74:75], v[92:93] op_sel:[0,0,1] op_sel_hi:[1,1,0] neg_lo:[0,0,1] neg_hi:[0,0,1]
	v_pk_fma_f32 v[64:65], v[64:65], v[74:75], v[92:93] op_sel:[0,0,1] op_sel_hi:[1,0,0]
	v_mov_b32_e32 v71, v63
	v_pk_add_f32 v[4:5], v[4:5], v[68:69]
	s_waitcnt vmcnt(2)
	v_pk_fma_f32 v[74:75], v[80:81], v[76:77], v[94:95] op_sel:[0,0,1] op_sel_hi:[1,1,0] neg_lo:[0,0,1] neg_hi:[0,0,1]
	v_pk_fma_f32 v[76:77], v[80:81], v[76:77], v[94:95] op_sel:[0,0,1] op_sel_hi:[1,0,0]
	v_mov_b32_e32 v73, v65
	v_pk_add_f32 v[4:5], v[4:5], v[70:71]
	v_mov_b32_e32 v75, v77
	v_pk_add_f32 v[4:5], v[4:5], v[72:73]
	v_pk_add_f32 v[4:5], v[4:5], v[74:75]
	s_waitcnt vmcnt(0)
	v_pk_add_f32 v[4:5], v[78:79], v[4:5] neg_lo:[0,1] neg_hi:[0,1]
	buffer_store_dword v4, off, s[0:3], 0 offset:128
	buffer_store_dword v5, off, s[0:3], 0 offset:132
	s_and_saveexec_b64 s[4:5], vcc
	s_cbranch_execz .LBB87_127
; %bb.126:
	buffer_load_dword v4, off, s[0:3], 0 offset:120
	buffer_load_dword v5, off, s[0:3], 0 offset:124
	s_waitcnt vmcnt(0)
	ds_write_b64 v1, v[4:5]
	buffer_store_dword v2, off, s[0:3], 0 offset:120
	buffer_store_dword v2, off, s[0:3], 0 offset:124
.LBB87_127:
	s_or_b64 exec, exec, s[4:5]
	s_waitcnt lgkmcnt(0)
	; wave barrier
	s_waitcnt lgkmcnt(0)
	buffer_load_dword v13, off, s[0:3], 0 offset:132
	buffer_load_dword v71, off, s[0:3], 0 offset:140
	;; [unrolled: 1-line block ×18, first 2 shown]
	ds_read_b128 v[4:7], v2 offset:320
	ds_read_b128 v[8:11], v2 offset:336
	;; [unrolled: 1-line block ×4, first 2 shown]
	v_cmp_lt_u32_e32 vcc, 14, v0
	s_waitcnt vmcnt(17)
	v_mov_b32_e32 v2, v13
	s_waitcnt vmcnt(16)
	v_mov_b32_e32 v86, v71
	s_waitcnt lgkmcnt(3)
	v_pk_mul_f32 v[2:3], v[4:5], v[2:3] op_sel_hi:[1,0]
	s_waitcnt vmcnt(15)
	v_mov_b32_e32 v88, v73
	v_pk_mul_f32 v[86:87], v[6:7], v[86:87] op_sel_hi:[1,0]
	s_waitcnt vmcnt(14)
	v_mov_b32_e32 v90, v75
	s_waitcnt lgkmcnt(2)
	v_pk_mul_f32 v[88:89], v[8:9], v[88:89] op_sel_hi:[1,0]
	s_waitcnt vmcnt(13)
	v_mov_b32_e32 v92, v77
	s_waitcnt vmcnt(9)
	v_pk_fma_f32 v[100:101], v[4:5], v[12:13], v[2:3] op_sel:[0,0,1] op_sel_hi:[1,1,0] neg_lo:[0,0,1] neg_hi:[0,0,1]
	v_pk_fma_f32 v[2:3], v[4:5], v[12:13], v[2:3] op_sel:[0,0,1] op_sel_hi:[1,0,0]
	s_waitcnt vmcnt(8)
	v_pk_fma_f32 v[4:5], v[6:7], v[70:71], v[86:87] op_sel:[0,0,1] op_sel_hi:[1,1,0] neg_lo:[0,0,1] neg_hi:[0,0,1]
	v_pk_fma_f32 v[6:7], v[6:7], v[70:71], v[86:87] op_sel:[0,0,1] op_sel_hi:[1,0,0]
	v_mov_b32_e32 v101, v3
	v_pk_mul_f32 v[90:91], v[10:11], v[90:91] op_sel_hi:[1,0]
	s_waitcnt vmcnt(7)
	v_pk_fma_f32 v[12:13], v[8:9], v[72:73], v[88:89] op_sel:[0,0,1] op_sel_hi:[1,1,0] neg_lo:[0,0,1] neg_hi:[0,0,1]
	v_pk_fma_f32 v[8:9], v[8:9], v[72:73], v[88:89] op_sel:[0,0,1] op_sel_hi:[1,0,0]
	v_mov_b32_e32 v5, v7
	v_pk_add_f32 v[2:3], v[100:101], 0 op_sel_hi:[1,0]
	v_mov_b32_e32 v94, v79
	s_waitcnt lgkmcnt(1)
	v_pk_mul_f32 v[92:93], v[62:63], v[92:93] op_sel_hi:[1,0]
	s_waitcnt vmcnt(6)
	v_pk_fma_f32 v[70:71], v[10:11], v[74:75], v[90:91] op_sel:[0,0,1] op_sel_hi:[1,1,0] neg_lo:[0,0,1] neg_hi:[0,0,1]
	v_pk_fma_f32 v[10:11], v[10:11], v[74:75], v[90:91] op_sel:[0,0,1] op_sel_hi:[1,0,0]
	v_mov_b32_e32 v13, v9
	v_pk_add_f32 v[2:3], v[2:3], v[4:5]
	v_mov_b32_e32 v96, v81
	v_pk_mul_f32 v[94:95], v[64:65], v[94:95] op_sel_hi:[1,0]
	s_waitcnt vmcnt(5)
	v_pk_fma_f32 v[72:73], v[62:63], v[76:77], v[92:93] op_sel:[0,0,1] op_sel_hi:[1,1,0] neg_lo:[0,0,1] neg_hi:[0,0,1]
	v_pk_fma_f32 v[62:63], v[62:63], v[76:77], v[92:93] op_sel:[0,0,1] op_sel_hi:[1,0,0]
	v_mov_b32_e32 v71, v11
	v_pk_add_f32 v[2:3], v[2:3], v[12:13]
	v_mov_b32_e32 v98, v83
	s_waitcnt lgkmcnt(0)
	v_pk_mul_f32 v[96:97], v[66:67], v[96:97] op_sel_hi:[1,0]
	s_waitcnt vmcnt(4)
	v_pk_fma_f32 v[74:75], v[64:65], v[78:79], v[94:95] op_sel:[0,0,1] op_sel_hi:[1,1,0] neg_lo:[0,0,1] neg_hi:[0,0,1]
	v_pk_fma_f32 v[64:65], v[64:65], v[78:79], v[94:95] op_sel:[0,0,1] op_sel_hi:[1,0,0]
	v_mov_b32_e32 v73, v63
	v_pk_add_f32 v[2:3], v[2:3], v[70:71]
	v_pk_mul_f32 v[98:99], v[68:69], v[98:99] op_sel_hi:[1,0]
	s_waitcnt vmcnt(3)
	v_pk_fma_f32 v[76:77], v[66:67], v[80:81], v[96:97] op_sel:[0,0,1] op_sel_hi:[1,1,0] neg_lo:[0,0,1] neg_hi:[0,0,1]
	v_pk_fma_f32 v[66:67], v[66:67], v[80:81], v[96:97] op_sel:[0,0,1] op_sel_hi:[1,0,0]
	v_mov_b32_e32 v75, v65
	v_pk_add_f32 v[2:3], v[2:3], v[72:73]
	s_waitcnt vmcnt(2)
	v_pk_fma_f32 v[78:79], v[68:69], v[82:83], v[98:99] op_sel:[0,0,1] op_sel_hi:[1,1,0] neg_lo:[0,0,1] neg_hi:[0,0,1]
	v_pk_fma_f32 v[68:69], v[68:69], v[82:83], v[98:99] op_sel:[0,0,1] op_sel_hi:[1,0,0]
	v_mov_b32_e32 v77, v67
	v_pk_add_f32 v[2:3], v[2:3], v[74:75]
	v_mov_b32_e32 v79, v69
	v_pk_add_f32 v[2:3], v[2:3], v[76:77]
	v_pk_add_f32 v[2:3], v[2:3], v[78:79]
	s_waitcnt vmcnt(0)
	v_pk_add_f32 v[2:3], v[84:85], v[2:3] neg_lo:[0,1] neg_hi:[0,1]
	buffer_store_dword v2, off, s[0:3], 0 offset:120
	buffer_store_dword v3, off, s[0:3], 0 offset:124
	s_and_saveexec_b64 s[4:5], vcc
	s_cbranch_execz .LBB87_129
; %bb.128:
	buffer_load_dword v2, off, s[0:3], 0 offset:112
	buffer_load_dword v3, off, s[0:3], 0 offset:116
	v_mov_b32_e32 v4, 0
	buffer_store_dword v4, off, s[0:3], 0 offset:112
	buffer_store_dword v4, off, s[0:3], 0 offset:116
	s_waitcnt vmcnt(2)
	ds_write_b64 v1, v[2:3]
.LBB87_129:
	s_or_b64 exec, exec, s[4:5]
	s_waitcnt lgkmcnt(0)
	; wave barrier
	s_waitcnt lgkmcnt(0)
	buffer_load_dword v3, off, s[0:3], 0 offset:124
	buffer_load_dword v13, off, s[0:3], 0 offset:132
	;; [unrolled: 1-line block ×20, first 2 shown]
	v_mov_b32_e32 v2, 0
	ds_read2_b64 v[4:7], v2 offset0:39 offset1:40
	ds_read2_b64 v[8:11], v2 offset0:41 offset1:42
	;; [unrolled: 1-line block ×4, first 2 shown]
	ds_read_b64 v[86:87], v2 offset:376
	v_cmp_lt_u32_e32 vcc, 13, v0
	s_waitcnt vmcnt(19) lgkmcnt(4)
	v_mul_f32_e32 v89, v4, v3
	v_mul_f32_e32 v3, v5, v3
	s_waitcnt vmcnt(18)
	v_mov_b32_e32 v90, v13
	s_waitcnt vmcnt(17)
	v_mov_b32_e32 v92, v71
	;; [unrolled: 2-line block ×8, first 2 shown]
	s_waitcnt vmcnt(10)
	v_fmac_f32_e32 v89, v5, v88
	v_fma_f32 v88, v4, v88, -v3
	v_pk_mul_f32 v[4:5], v[6:7], v[90:91] op_sel_hi:[1,0]
	s_waitcnt lgkmcnt(3)
	v_pk_mul_f32 v[90:91], v[8:9], v[92:93] op_sel_hi:[1,0]
	v_pk_mul_f32 v[92:93], v[10:11], v[94:95] op_sel_hi:[1,0]
	s_waitcnt lgkmcnt(2)
	v_pk_mul_f32 v[94:95], v[62:63], v[96:97] op_sel_hi:[1,0]
	;; [unrolled: 3-line block ×4, first 2 shown]
	s_waitcnt vmcnt(9)
	v_pk_fma_f32 v[104:105], v[6:7], v[12:13], v[4:5] op_sel:[0,0,1] op_sel_hi:[1,1,0] neg_lo:[0,0,1] neg_hi:[0,0,1]
	v_pk_fma_f32 v[4:5], v[6:7], v[12:13], v[4:5] op_sel:[0,0,1] op_sel_hi:[1,0,0]
	v_pk_add_f32 v[88:89], v[88:89], 0 op_sel_hi:[1,0]
	s_waitcnt vmcnt(8)
	v_pk_fma_f32 v[6:7], v[8:9], v[70:71], v[90:91] op_sel:[0,0,1] op_sel_hi:[1,1,0] neg_lo:[0,0,1] neg_hi:[0,0,1]
	v_pk_fma_f32 v[8:9], v[8:9], v[70:71], v[90:91] op_sel:[0,0,1] op_sel_hi:[1,0,0]
	v_mov_b32_e32 v105, v5
	s_waitcnt vmcnt(7)
	v_pk_fma_f32 v[12:13], v[10:11], v[72:73], v[92:93] op_sel:[0,0,1] op_sel_hi:[1,1,0] neg_lo:[0,0,1] neg_hi:[0,0,1]
	v_pk_fma_f32 v[10:11], v[10:11], v[72:73], v[92:93] op_sel:[0,0,1] op_sel_hi:[1,0,0]
	v_mov_b32_e32 v7, v9
	v_pk_add_f32 v[4:5], v[88:89], v[104:105]
	s_waitcnt vmcnt(6)
	v_pk_fma_f32 v[70:71], v[62:63], v[74:75], v[94:95] op_sel:[0,0,1] op_sel_hi:[1,1,0] neg_lo:[0,0,1] neg_hi:[0,0,1]
	v_pk_fma_f32 v[62:63], v[62:63], v[74:75], v[94:95] op_sel:[0,0,1] op_sel_hi:[1,0,0]
	v_mov_b32_e32 v13, v11
	v_pk_add_f32 v[4:5], v[4:5], v[6:7]
	;; [unrolled: 5-line block ×5, first 2 shown]
	v_pk_fma_f32 v[78:79], v[86:87], v[82:83], v[102:103] op_sel:[0,0,1] op_sel_hi:[1,1,0] neg_lo:[0,0,1] neg_hi:[0,0,1]
	v_pk_fma_f32 v[80:81], v[86:87], v[82:83], v[102:103] op_sel:[0,0,1] op_sel_hi:[1,0,0]
	v_mov_b32_e32 v77, v69
	v_pk_add_f32 v[4:5], v[4:5], v[74:75]
	v_mov_b32_e32 v79, v81
	v_pk_add_f32 v[4:5], v[4:5], v[76:77]
	v_pk_add_f32 v[4:5], v[4:5], v[78:79]
	s_waitcnt vmcnt(0)
	v_pk_add_f32 v[4:5], v[84:85], v[4:5] neg_lo:[0,1] neg_hi:[0,1]
	buffer_store_dword v4, off, s[0:3], 0 offset:112
	buffer_store_dword v5, off, s[0:3], 0 offset:116
	s_and_saveexec_b64 s[4:5], vcc
	s_cbranch_execz .LBB87_131
; %bb.130:
	buffer_load_dword v4, off, s[0:3], 0 offset:104
	buffer_load_dword v5, off, s[0:3], 0 offset:108
	s_waitcnt vmcnt(0)
	ds_write_b64 v1, v[4:5]
	buffer_store_dword v2, off, s[0:3], 0 offset:104
	buffer_store_dword v2, off, s[0:3], 0 offset:108
.LBB87_131:
	s_or_b64 exec, exec, s[4:5]
	s_waitcnt lgkmcnt(0)
	; wave barrier
	s_waitcnt lgkmcnt(0)
	buffer_load_dword v90, off, s[0:3], 0 offset:116
	buffer_load_dword v92, off, s[0:3], 0 offset:124
	;; [unrolled: 1-line block ×22, first 2 shown]
	ds_read_b128 v[4:7], v2 offset:304
	ds_read_b128 v[8:11], v2 offset:320
	;; [unrolled: 1-line block ×5, first 2 shown]
	v_cmp_lt_u32_e32 vcc, 12, v0
	s_waitcnt vmcnt(21) lgkmcnt(4)
	v_mul_f32_e32 v3, v4, v90
	s_waitcnt vmcnt(20)
	v_mul_f32_e32 v91, v6, v92
	v_mul_f32_e32 v2, v5, v90
	;; [unrolled: 1-line block ×3, first 2 shown]
	s_waitcnt vmcnt(19)
	v_mov_b32_e32 v92, v13
	s_waitcnt vmcnt(18)
	v_mov_b32_e32 v94, v75
	;; [unrolled: 2-line block ×5, first 2 shown]
	v_mov_b32_e32 v98, v79
	s_waitcnt vmcnt(11)
	v_fmac_f32_e32 v3, v5, v93
	v_fma_f32 v2, v4, v93, -v2
	s_waitcnt lgkmcnt(3)
	v_pk_mul_f32 v[4:5], v[8:9], v[92:93] op_sel_hi:[1,0]
	s_waitcnt vmcnt(10)
	v_fmac_f32_e32 v91, v7, v95
	v_fma_f32 v90, v6, v95, -v90
	v_pk_mul_f32 v[6:7], v[10:11], v[94:95] op_sel_hi:[1,0]
	s_waitcnt lgkmcnt(2)
	v_pk_mul_f32 v[92:93], v[62:63], v[96:97] op_sel_hi:[1,0]
	s_waitcnt lgkmcnt(1)
	;; [unrolled: 2-line block ×3, first 2 shown]
	v_pk_mul_f32 v[100:101], v[70:71], v[104:105] op_sel_hi:[1,0]
	v_pk_add_f32 v[2:3], v[2:3], 0 op_sel_hi:[1,0]
	s_waitcnt vmcnt(9)
	v_pk_fma_f32 v[104:105], v[8:9], v[12:13], v[4:5] op_sel:[0,0,1] op_sel_hi:[1,1,0] neg_lo:[0,0,1] neg_hi:[0,0,1]
	v_pk_fma_f32 v[4:5], v[8:9], v[12:13], v[4:5] op_sel:[0,0,1] op_sel_hi:[1,0,0]
	s_waitcnt vmcnt(8)
	v_pk_fma_f32 v[8:9], v[10:11], v[74:75], v[6:7] op_sel:[0,0,1] op_sel_hi:[1,1,0] neg_lo:[0,0,1] neg_hi:[0,0,1]
	v_pk_fma_f32 v[6:7], v[10:11], v[74:75], v[6:7] op_sel:[0,0,1] op_sel_hi:[1,0,0]
	v_pk_add_f32 v[2:3], v[2:3], v[90:91]
	v_mov_b32_e32 v105, v5
	v_pk_mul_f32 v[94:95], v[64:65], v[98:99] op_sel_hi:[1,0]
	s_waitcnt vmcnt(7)
	v_pk_fma_f32 v[10:11], v[62:63], v[76:77], v[92:93] op_sel:[0,0,1] op_sel_hi:[1,1,0] neg_lo:[0,0,1] neg_hi:[0,0,1]
	v_pk_fma_f32 v[12:13], v[62:63], v[76:77], v[92:93] op_sel:[0,0,1] op_sel_hi:[1,0,0]
	v_mov_b32_e32 v9, v7
	v_pk_add_f32 v[2:3], v[2:3], v[104:105]
	v_mov_b32_e32 v102, v83
	s_waitcnt vmcnt(6)
	v_pk_fma_f32 v[62:63], v[64:65], v[78:79], v[94:95] op_sel:[0,0,1] op_sel_hi:[1,1,0] neg_lo:[0,0,1] neg_hi:[0,0,1]
	v_pk_fma_f32 v[64:65], v[64:65], v[78:79], v[94:95] op_sel:[0,0,1] op_sel_hi:[1,0,0]
	v_mov_b32_e32 v11, v13
	v_pk_add_f32 v[2:3], v[2:3], v[8:9]
	v_pk_mul_f32 v[98:99], v[68:69], v[102:103] op_sel_hi:[1,0]
	s_waitcnt vmcnt(5)
	v_pk_fma_f32 v[74:75], v[66:67], v[80:81], v[96:97] op_sel:[0,0,1] op_sel_hi:[1,1,0] neg_lo:[0,0,1] neg_hi:[0,0,1]
	v_pk_fma_f32 v[66:67], v[66:67], v[80:81], v[96:97] op_sel:[0,0,1] op_sel_hi:[1,0,0]
	v_mov_b32_e32 v63, v65
	v_pk_add_f32 v[2:3], v[2:3], v[10:11]
	v_mov_b32_e32 v106, v87
	s_waitcnt vmcnt(2)
	v_pk_fma_f32 v[76:77], v[68:69], v[82:83], v[98:99] op_sel:[0,0,1] op_sel_hi:[1,1,0] neg_lo:[0,0,1] neg_hi:[0,0,1]
	v_pk_fma_f32 v[68:69], v[68:69], v[82:83], v[98:99] op_sel:[0,0,1] op_sel_hi:[1,0,0]
	v_mov_b32_e32 v75, v67
	v_pk_add_f32 v[2:3], v[2:3], v[62:63]
	v_pk_mul_f32 v[102:103], v[72:73], v[106:107] op_sel_hi:[1,0]
	v_pk_fma_f32 v[78:79], v[70:71], v[84:85], v[100:101] op_sel:[0,0,1] op_sel_hi:[1,1,0] neg_lo:[0,0,1] neg_hi:[0,0,1]
	v_pk_fma_f32 v[70:71], v[70:71], v[84:85], v[100:101] op_sel:[0,0,1] op_sel_hi:[1,0,0]
	v_mov_b32_e32 v77, v69
	v_pk_add_f32 v[2:3], v[2:3], v[74:75]
	v_pk_fma_f32 v[80:81], v[72:73], v[86:87], v[102:103] op_sel:[0,0,1] op_sel_hi:[1,1,0] neg_lo:[0,0,1] neg_hi:[0,0,1]
	v_pk_fma_f32 v[72:73], v[72:73], v[86:87], v[102:103] op_sel:[0,0,1] op_sel_hi:[1,0,0]
	v_mov_b32_e32 v79, v71
	v_pk_add_f32 v[2:3], v[2:3], v[76:77]
	v_mov_b32_e32 v81, v73
	v_pk_add_f32 v[2:3], v[2:3], v[78:79]
	v_pk_add_f32 v[2:3], v[2:3], v[80:81]
	s_waitcnt vmcnt(0)
	v_pk_add_f32 v[2:3], v[88:89], v[2:3] neg_lo:[0,1] neg_hi:[0,1]
	buffer_store_dword v2, off, s[0:3], 0 offset:104
	buffer_store_dword v3, off, s[0:3], 0 offset:108
	s_and_saveexec_b64 s[4:5], vcc
	s_cbranch_execz .LBB87_133
; %bb.132:
	buffer_load_dword v2, off, s[0:3], 0 offset:96
	buffer_load_dword v3, off, s[0:3], 0 offset:100
	v_mov_b32_e32 v4, 0
	buffer_store_dword v4, off, s[0:3], 0 offset:96
	buffer_store_dword v4, off, s[0:3], 0 offset:100
	s_waitcnt vmcnt(2)
	ds_write_b64 v1, v[2:3]
.LBB87_133:
	s_or_b64 exec, exec, s[4:5]
	s_waitcnt lgkmcnt(0)
	; wave barrier
	s_waitcnt lgkmcnt(0)
	buffer_load_dword v3, off, s[0:3], 0 offset:108
	buffer_load_dword v92, off, s[0:3], 0 offset:116
	;; [unrolled: 1-line block ×24, first 2 shown]
	v_mov_b32_e32 v2, 0
	ds_read2_b64 v[4:7], v2 offset0:37 offset1:38
	ds_read2_b64 v[8:11], v2 offset0:39 offset1:40
	;; [unrolled: 1-line block ×5, first 2 shown]
	ds_read_b64 v[90:91], v2 offset:376
	v_cmp_lt_u32_e32 vcc, 11, v0
	s_waitcnt vmcnt(23) lgkmcnt(5)
	v_mul_f32_e32 v105, v4, v3
	v_mul_f32_e32 v3, v5, v3
	s_waitcnt vmcnt(22)
	v_mul_f32_e32 v93, v6, v92
	s_waitcnt vmcnt(21) lgkmcnt(4)
	v_mul_f32_e32 v95, v8, v94
	v_mul_f32_e32 v92, v7, v92
	;; [unrolled: 1-line block ×3, first 2 shown]
	s_waitcnt vmcnt(20)
	v_mov_b32_e32 v96, v13
	s_waitcnt vmcnt(19)
	v_mov_b32_e32 v98, v75
	;; [unrolled: 2-line block ×5, first 2 shown]
	s_waitcnt vmcnt(12)
	v_fmac_f32_e32 v105, v5, v97
	v_fma_f32 v3, v4, v97, -v3
	v_mov_b32_e32 v106, v83
	s_waitcnt vmcnt(11)
	v_fmac_f32_e32 v93, v7, v99
	s_waitcnt vmcnt(10)
	v_fmac_f32_e32 v95, v9, v101
	v_fma_f32 v92, v6, v99, -v92
	v_fma_f32 v94, v8, v101, -v94
	v_pk_mul_f32 v[4:5], v[10:11], v[96:97] op_sel_hi:[1,0]
	s_waitcnt lgkmcnt(3)
	v_pk_mul_f32 v[6:7], v[62:63], v[98:99] op_sel_hi:[1,0]
	v_pk_mul_f32 v[8:9], v[64:65], v[100:101] op_sel_hi:[1,0]
	s_waitcnt lgkmcnt(2)
	v_pk_mul_f32 v[96:97], v[66:67], v[102:103] op_sel_hi:[1,0]
	v_pk_mul_f32 v[98:99], v[68:69], v[104:105] op_sel_hi:[1,0]
	v_add_f32_e32 v105, 0, v105
	v_add_f32_e32 v104, 0, v3
	s_waitcnt lgkmcnt(1)
	v_pk_mul_f32 v[100:101], v[70:71], v[106:107] op_sel_hi:[1,0]
	s_waitcnt vmcnt(9)
	v_pk_fma_f32 v[106:107], v[10:11], v[12:13], v[4:5] op_sel:[0,0,1] op_sel_hi:[1,1,0] neg_lo:[0,0,1] neg_hi:[0,0,1]
	v_pk_fma_f32 v[4:5], v[10:11], v[12:13], v[4:5] op_sel:[0,0,1] op_sel_hi:[1,0,0]
	s_waitcnt vmcnt(8)
	v_pk_fma_f32 v[10:11], v[62:63], v[74:75], v[6:7] op_sel:[0,0,1] op_sel_hi:[1,1,0] neg_lo:[0,0,1] neg_hi:[0,0,1]
	v_pk_fma_f32 v[6:7], v[62:63], v[74:75], v[6:7] op_sel:[0,0,1] op_sel_hi:[1,0,0]
	;; [unrolled: 3-line block ×4, first 2 shown]
	v_pk_add_f32 v[78:79], v[104:105], v[92:93]
	v_mov_b32_e32 v107, v5
	v_pk_add_f32 v[4:5], v[78:79], v[94:95]
	v_mov_b32_e32 v11, v7
	;; [unrolled: 2-line block ×4, first 2 shown]
	s_waitcnt vmcnt(2)
	v_pk_fma_f32 v[66:67], v[68:69], v[80:81], v[98:99] op_sel:[0,0,1] op_sel_hi:[1,1,0] neg_lo:[0,0,1] neg_hi:[0,0,1]
	v_pk_fma_f32 v[68:69], v[68:69], v[80:81], v[98:99] op_sel:[0,0,1] op_sel_hi:[1,0,0]
	v_mov_b32_e32 v63, v65
	v_pk_add_f32 v[4:5], v[4:5], v[12:13]
	v_mov_b32_e32 v110, v87
	v_pk_mul_f32 v[102:103], v[72:73], v[108:109] op_sel_hi:[1,0]
	v_pk_fma_f32 v[74:75], v[70:71], v[82:83], v[100:101] op_sel:[0,0,1] op_sel_hi:[1,1,0] neg_lo:[0,0,1] neg_hi:[0,0,1]
	v_pk_fma_f32 v[70:71], v[70:71], v[82:83], v[100:101] op_sel:[0,0,1] op_sel_hi:[1,0,0]
	v_mov_b32_e32 v67, v69
	v_pk_add_f32 v[4:5], v[4:5], v[62:63]
	v_pk_fma_f32 v[76:77], v[72:73], v[84:85], v[102:103] op_sel:[0,0,1] op_sel_hi:[1,1,0] neg_lo:[0,0,1] neg_hi:[0,0,1]
	v_pk_fma_f32 v[72:73], v[72:73], v[84:85], v[102:103] op_sel:[0,0,1] op_sel_hi:[1,0,0]
	v_mov_b32_e32 v75, v71
	v_pk_add_f32 v[4:5], v[4:5], v[66:67]
	s_waitcnt lgkmcnt(0)
	v_pk_mul_f32 v[6:7], v[90:91], v[110:111] op_sel_hi:[1,0]
	v_mov_b32_e32 v77, v73
	v_pk_add_f32 v[4:5], v[4:5], v[74:75]
	v_pk_fma_f32 v[8:9], v[90:91], v[86:87], v[6:7] op_sel:[0,0,1] op_sel_hi:[1,1,0] neg_lo:[0,0,1] neg_hi:[0,0,1]
	v_pk_fma_f32 v[6:7], v[90:91], v[86:87], v[6:7] op_sel:[0,0,1] op_sel_hi:[1,0,0]
	v_pk_add_f32 v[4:5], v[4:5], v[76:77]
	v_mov_b32_e32 v9, v7
	v_pk_add_f32 v[4:5], v[4:5], v[8:9]
	s_waitcnt vmcnt(0)
	v_pk_add_f32 v[4:5], v[88:89], v[4:5] neg_lo:[0,1] neg_hi:[0,1]
	buffer_store_dword v5, off, s[0:3], 0 offset:100
	buffer_store_dword v4, off, s[0:3], 0 offset:96
	s_and_saveexec_b64 s[4:5], vcc
	s_cbranch_execz .LBB87_135
; %bb.134:
	buffer_load_dword v4, off, s[0:3], 0 offset:88
	buffer_load_dword v5, off, s[0:3], 0 offset:92
	s_waitcnt vmcnt(0)
	ds_write_b64 v1, v[4:5]
	buffer_store_dword v2, off, s[0:3], 0 offset:88
	buffer_store_dword v2, off, s[0:3], 0 offset:92
.LBB87_135:
	s_or_b64 exec, exec, s[4:5]
	s_waitcnt lgkmcnt(0)
	; wave barrier
	s_waitcnt lgkmcnt(0)
	buffer_load_dword v94, off, s[0:3], 0 offset:100
	buffer_load_dword v96, off, s[0:3], 0 offset:108
	;; [unrolled: 1-line block ×26, first 2 shown]
	ds_read_b128 v[4:7], v2 offset:288
	ds_read_b128 v[8:11], v2 offset:304
	;; [unrolled: 1-line block ×6, first 2 shown]
	v_cmp_lt_u32_e32 vcc, 10, v0
	s_waitcnt vmcnt(25) lgkmcnt(5)
	v_mul_f32_e32 v107, v4, v94
	v_mul_f32_e32 v2, v5, v94
	s_waitcnt vmcnt(24)
	v_mul_f32_e32 v108, v6, v96
	s_waitcnt vmcnt(23) lgkmcnt(4)
	v_mul_f32_e32 v3, v8, v97
	s_waitcnt vmcnt(22)
	v_mul_f32_e32 v95, v10, v98
	v_mul_f32_e32 v94, v7, v96
	;; [unrolled: 1-line block ×4, first 2 shown]
	s_waitcnt vmcnt(21)
	v_mov_b32_e32 v96, v13
	s_waitcnt vmcnt(20)
	v_mov_b32_e32 v98, v79
	;; [unrolled: 2-line block ×3, first 2 shown]
	s_waitcnt vmcnt(15)
	v_fmac_f32_e32 v107, v5, v99
	v_fma_f32 v110, v4, v99, -v2
	v_mov_b32_e32 v100, v81
	s_waitcnt vmcnt(14)
	v_fmac_f32_e32 v108, v7, v101
	s_waitcnt vmcnt(13)
	v_fmac_f32_e32 v3, v9, v103
	;; [unrolled: 2-line block ×3, first 2 shown]
	v_fma_f32 v111, v6, v101, -v94
	v_fma_f32 v2, v8, v103, -v97
	;; [unrolled: 1-line block ×3, first 2 shown]
	s_waitcnt lgkmcnt(3)
	v_pk_mul_f32 v[4:5], v[62:63], v[96:97] op_sel_hi:[1,0]
	v_pk_mul_f32 v[6:7], v[64:65], v[98:99] op_sel_hi:[1,0]
	s_waitcnt lgkmcnt(2)
	v_pk_mul_f32 v[10:11], v[68:69], v[102:103] op_sel_hi:[1,0]
	v_add_f32_e32 v102, 0, v107
	v_add_f32_e32 v103, 0, v110
	v_pk_mul_f32 v[8:9], v[66:67], v[100:101] op_sel_hi:[1,0]
	s_waitcnt vmcnt(11)
	v_pk_fma_f32 v[100:101], v[62:63], v[12:13], v[4:5] op_sel:[0,0,1] op_sel_hi:[1,1,0] neg_lo:[0,0,1] neg_hi:[0,0,1]
	v_pk_fma_f32 v[4:5], v[62:63], v[12:13], v[4:5] op_sel:[0,0,1] op_sel_hi:[1,0,0]
	s_waitcnt vmcnt(10)
	v_pk_fma_f32 v[12:13], v[64:65], v[78:79], v[6:7] op_sel:[0,0,1] op_sel_hi:[1,1,0] neg_lo:[0,0,1] neg_hi:[0,0,1]
	v_pk_fma_f32 v[6:7], v[64:65], v[78:79], v[6:7] op_sel:[0,0,1] op_sel_hi:[1,0,0]
	v_add_f32_e32 v79, v102, v108
	v_add_f32_e32 v78, v103, v111
	v_pk_add_f32 v[2:3], v[78:79], v[2:3]
	v_mov_b32_e32 v101, v5
	v_pk_add_f32 v[2:3], v[2:3], v[94:95]
	v_mov_b32_e32 v104, v85
	s_waitcnt vmcnt(9)
	v_pk_fma_f32 v[62:63], v[66:67], v[80:81], v[8:9] op_sel:[0,0,1] op_sel_hi:[1,1,0] neg_lo:[0,0,1] neg_hi:[0,0,1]
	v_pk_fma_f32 v[8:9], v[66:67], v[80:81], v[8:9] op_sel:[0,0,1] op_sel_hi:[1,0,0]
	v_mov_b32_e32 v13, v7
	v_pk_add_f32 v[2:3], v[2:3], v[100:101]
	v_mov_b32_e32 v106, v87
	s_waitcnt lgkmcnt(1)
	v_pk_mul_f32 v[96:97], v[70:71], v[104:105] op_sel_hi:[1,0]
	s_waitcnt vmcnt(5)
	v_pk_fma_f32 v[64:65], v[68:69], v[82:83], v[10:11] op_sel:[0,0,1] op_sel_hi:[1,1,0] neg_lo:[0,0,1] neg_hi:[0,0,1]
	v_pk_fma_f32 v[10:11], v[68:69], v[82:83], v[10:11] op_sel:[0,0,1] op_sel_hi:[1,0,0]
	v_mov_b32_e32 v63, v9
	v_pk_add_f32 v[2:3], v[2:3], v[12:13]
	s_waitcnt vmcnt(4)
	v_mov_b32_e32 v4, v89
	v_pk_mul_f32 v[98:99], v[72:73], v[106:107] op_sel_hi:[1,0]
	v_pk_fma_f32 v[66:67], v[70:71], v[84:85], v[96:97] op_sel:[0,0,1] op_sel_hi:[1,1,0] neg_lo:[0,0,1] neg_hi:[0,0,1]
	v_pk_fma_f32 v[68:69], v[70:71], v[84:85], v[96:97] op_sel:[0,0,1] op_sel_hi:[1,0,0]
	v_mov_b32_e32 v65, v11
	v_pk_add_f32 v[2:3], v[2:3], v[62:63]
	s_waitcnt lgkmcnt(0)
	v_pk_mul_f32 v[4:5], v[74:75], v[4:5] op_sel_hi:[1,0]
	v_pk_fma_f32 v[70:71], v[72:73], v[86:87], v[98:99] op_sel:[0,0,1] op_sel_hi:[1,1,0] neg_lo:[0,0,1] neg_hi:[0,0,1]
	v_pk_fma_f32 v[72:73], v[72:73], v[86:87], v[98:99] op_sel:[0,0,1] op_sel_hi:[1,0,0]
	v_mov_b32_e32 v67, v69
	v_pk_add_f32 v[2:3], v[2:3], v[64:65]
	v_pk_fma_f32 v[6:7], v[74:75], v[88:89], v[4:5] op_sel:[0,0,1] op_sel_hi:[1,1,0] neg_lo:[0,0,1] neg_hi:[0,0,1]
	v_pk_fma_f32 v[4:5], v[74:75], v[88:89], v[4:5] op_sel:[0,0,1] op_sel_hi:[1,0,0]
	v_mov_b32_e32 v71, v73
	v_pk_add_f32 v[2:3], v[2:3], v[66:67]
	s_waitcnt vmcnt(3)
	v_mov_b32_e32 v4, v91
	v_pk_add_f32 v[2:3], v[2:3], v[70:71]
	v_mov_b32_e32 v7, v5
	v_pk_mul_f32 v[4:5], v[76:77], v[4:5] op_sel_hi:[1,0]
	v_pk_add_f32 v[2:3], v[2:3], v[6:7]
	s_waitcnt vmcnt(2)
	v_pk_fma_f32 v[6:7], v[76:77], v[90:91], v[4:5] op_sel:[0,0,1] op_sel_hi:[1,1,0] neg_lo:[0,0,1] neg_hi:[0,0,1]
	v_pk_fma_f32 v[4:5], v[76:77], v[90:91], v[4:5] op_sel:[0,0,1] op_sel_hi:[1,0,0]
	v_mov_b32_e32 v7, v5
	v_pk_add_f32 v[2:3], v[2:3], v[6:7]
	s_waitcnt vmcnt(0)
	v_pk_add_f32 v[2:3], v[92:93], v[2:3] neg_lo:[0,1] neg_hi:[0,1]
	buffer_store_dword v3, off, s[0:3], 0 offset:92
	buffer_store_dword v2, off, s[0:3], 0 offset:88
	s_and_saveexec_b64 s[4:5], vcc
	s_cbranch_execz .LBB87_137
; %bb.136:
	buffer_load_dword v2, off, s[0:3], 0 offset:80
	buffer_load_dword v3, off, s[0:3], 0 offset:84
	v_mov_b32_e32 v4, 0
	buffer_store_dword v4, off, s[0:3], 0 offset:80
	buffer_store_dword v4, off, s[0:3], 0 offset:84
	s_waitcnt vmcnt(2)
	ds_write_b64 v1, v[2:3]
.LBB87_137:
	s_or_b64 exec, exec, s[4:5]
	s_waitcnt lgkmcnt(0)
	; wave barrier
	s_waitcnt lgkmcnt(0)
	buffer_load_dword v3, off, s[0:3], 0 offset:92
	buffer_load_dword v96, off, s[0:3], 0 offset:100
	;; [unrolled: 1-line block ×28, first 2 shown]
	v_mov_b32_e32 v2, 0
	ds_read2_b64 v[4:7], v2 offset0:35 offset1:36
	ds_read2_b64 v[8:11], v2 offset0:37 offset1:38
	;; [unrolled: 1-line block ×6, first 2 shown]
	ds_read_b64 v[94:95], v2 offset:376
	v_cmp_lt_u32_e32 vcc, 9, v0
	s_waitcnt vmcnt(27) lgkmcnt(6)
	v_mul_f32_e32 v111, v4, v3
	v_mul_f32_e32 v3, v5, v3
	s_waitcnt vmcnt(26)
	v_mul_f32_e32 v112, v6, v96
	s_waitcnt vmcnt(24) lgkmcnt(5)
	v_mul_f32_e32 v97, v10, v100
	s_waitcnt vmcnt(23) lgkmcnt(4)
	v_mul_f32_e32 v99, v62, v101
	v_mul_f32_e32 v114, v11, v100
	;; [unrolled: 1-line block ×3, first 2 shown]
	s_waitcnt vmcnt(22)
	v_mov_b32_e32 v100, v13
	v_mul_f32_e32 v113, v8, v98
	v_mul_f32_e32 v96, v7, v96
	;; [unrolled: 1-line block ×3, first 2 shown]
	s_waitcnt vmcnt(17)
	v_fmac_f32_e32 v111, v5, v103
	v_fma_f32 v3, v4, v103, -v3
	v_pk_mul_f32 v[4:5], v[64:65], v[100:101] op_sel_hi:[1,0]
	s_waitcnt vmcnt(16)
	v_fmac_f32_e32 v112, v7, v105
	s_waitcnt vmcnt(13)
	v_fmac_f32_e32 v99, v63, v110
	v_fma_f32 v103, v6, v105, -v96
	v_fma_f32 v105, v8, v107, -v98
	;; [unrolled: 1-line block ×3, first 2 shown]
	v_add_f32_e32 v100, 0, v111
	v_add_f32_e32 v3, 0, v3
	s_waitcnt vmcnt(12)
	v_pk_fma_f32 v[62:63], v[64:65], v[12:13], v[4:5] op_sel:[0,0,1] op_sel_hi:[1,1,0] neg_lo:[0,0,1] neg_hi:[0,0,1]
	v_pk_fma_f32 v[4:5], v[64:65], v[12:13], v[4:5] op_sel:[0,0,1] op_sel_hi:[1,0,0]
	v_fmac_f32_e32 v113, v9, v107
	v_add_f32_e32 v4, v100, v112
	v_add_f32_e32 v3, v3, v103
	v_mov_b32_e32 v102, v79
	v_fmac_f32_e32 v97, v11, v109
	v_fma_f32 v96, v10, v109, -v114
	v_mov_b32_e32 v63, v5
	v_add_f32_e32 v5, v4, v113
	v_add_f32_e32 v4, v3, v105
	v_mov_b32_e32 v104, v81
	s_waitcnt lgkmcnt(3)
	v_pk_mul_f32 v[6:7], v[66:67], v[102:103] op_sel_hi:[1,0]
	v_pk_add_f32 v[4:5], v[4:5], v[96:97]
	v_mov_b32_e32 v106, v83
	v_mov_b32_e32 v108, v85
	v_pk_mul_f32 v[8:9], v[68:69], v[104:105] op_sel_hi:[1,0]
	s_waitcnt vmcnt(11)
	v_pk_fma_f32 v[12:13], v[66:67], v[78:79], v[6:7] op_sel:[0,0,1] op_sel_hi:[1,1,0] neg_lo:[0,0,1] neg_hi:[0,0,1]
	v_pk_fma_f32 v[6:7], v[66:67], v[78:79], v[6:7] op_sel:[0,0,1] op_sel_hi:[1,0,0]
	v_pk_add_f32 v[4:5], v[4:5], v[98:99]
	s_waitcnt lgkmcnt(2)
	v_pk_mul_f32 v[10:11], v[70:71], v[106:107] op_sel_hi:[1,0]
	s_waitcnt vmcnt(7)
	v_pk_fma_f32 v[64:65], v[68:69], v[80:81], v[8:9] op_sel:[0,0,1] op_sel_hi:[1,1,0] neg_lo:[0,0,1] neg_hi:[0,0,1]
	v_pk_fma_f32 v[8:9], v[68:69], v[80:81], v[8:9] op_sel:[0,0,1] op_sel_hi:[1,0,0]
	v_mov_b32_e32 v13, v7
	v_pk_add_f32 v[4:5], v[4:5], v[62:63]
	v_pk_mul_f32 v[6:7], v[72:73], v[108:109] op_sel_hi:[1,0]
	v_pk_fma_f32 v[66:67], v[70:71], v[82:83], v[10:11] op_sel:[0,0,1] op_sel_hi:[1,1,0] neg_lo:[0,0,1] neg_hi:[0,0,1]
	v_pk_fma_f32 v[10:11], v[70:71], v[82:83], v[10:11] op_sel:[0,0,1] op_sel_hi:[1,0,0]
	v_mov_b32_e32 v65, v9
	v_pk_add_f32 v[4:5], v[4:5], v[12:13]
	v_pk_fma_f32 v[8:9], v[72:73], v[84:85], v[6:7] op_sel:[0,0,1] op_sel_hi:[1,1,0] neg_lo:[0,0,1] neg_hi:[0,0,1]
	v_pk_fma_f32 v[6:7], v[72:73], v[84:85], v[6:7] op_sel:[0,0,1] op_sel_hi:[1,0,0]
	v_mov_b32_e32 v67, v11
	v_pk_add_f32 v[4:5], v[4:5], v[64:65]
	s_waitcnt vmcnt(6)
	v_mov_b32_e32 v6, v87
	v_pk_add_f32 v[4:5], v[4:5], v[66:67]
	v_mov_b32_e32 v9, v7
	s_waitcnt lgkmcnt(1)
	v_pk_mul_f32 v[6:7], v[74:75], v[6:7] op_sel_hi:[1,0]
	v_pk_add_f32 v[4:5], v[4:5], v[8:9]
	v_pk_fma_f32 v[8:9], v[74:75], v[86:87], v[6:7] op_sel:[0,0,1] op_sel_hi:[1,1,0] neg_lo:[0,0,1] neg_hi:[0,0,1]
	v_pk_fma_f32 v[6:7], v[74:75], v[86:87], v[6:7] op_sel:[0,0,1] op_sel_hi:[1,0,0]
	s_waitcnt vmcnt(5)
	v_mov_b32_e32 v6, v89
	v_mov_b32_e32 v9, v7
	v_pk_mul_f32 v[6:7], v[76:77], v[6:7] op_sel_hi:[1,0]
	v_pk_add_f32 v[4:5], v[4:5], v[8:9]
	s_waitcnt vmcnt(3)
	v_pk_fma_f32 v[8:9], v[76:77], v[88:89], v[6:7] op_sel:[0,0,1] op_sel_hi:[1,1,0] neg_lo:[0,0,1] neg_hi:[0,0,1]
	v_pk_fma_f32 v[6:7], v[76:77], v[88:89], v[6:7] op_sel:[0,0,1] op_sel_hi:[1,0,0]
	s_waitcnt vmcnt(2)
	v_mov_b32_e32 v6, v91
	v_mov_b32_e32 v9, v7
	s_waitcnt lgkmcnt(0)
	v_pk_mul_f32 v[6:7], v[94:95], v[6:7] op_sel_hi:[1,0]
	v_pk_add_f32 v[4:5], v[4:5], v[8:9]
	v_pk_fma_f32 v[8:9], v[94:95], v[90:91], v[6:7] op_sel:[0,0,1] op_sel_hi:[1,1,0] neg_lo:[0,0,1] neg_hi:[0,0,1]
	v_pk_fma_f32 v[6:7], v[94:95], v[90:91], v[6:7] op_sel:[0,0,1] op_sel_hi:[1,0,0]
	v_mov_b32_e32 v9, v7
	v_pk_add_f32 v[4:5], v[4:5], v[8:9]
	s_waitcnt vmcnt(0)
	v_pk_add_f32 v[4:5], v[92:93], v[4:5] neg_lo:[0,1] neg_hi:[0,1]
	buffer_store_dword v5, off, s[0:3], 0 offset:84
	buffer_store_dword v4, off, s[0:3], 0 offset:80
	s_and_saveexec_b64 s[4:5], vcc
	s_cbranch_execz .LBB87_139
; %bb.138:
	buffer_load_dword v4, off, s[0:3], 0 offset:72
	buffer_load_dword v5, off, s[0:3], 0 offset:76
	s_waitcnt vmcnt(0)
	ds_write_b64 v1, v[4:5]
	buffer_store_dword v2, off, s[0:3], 0 offset:72
	buffer_store_dword v2, off, s[0:3], 0 offset:76
.LBB87_139:
	s_or_b64 exec, exec, s[4:5]
	s_waitcnt lgkmcnt(0)
	; wave barrier
	s_waitcnt lgkmcnt(0)
	buffer_load_dword v98, off, s[0:3], 0 offset:84
	buffer_load_dword v100, off, s[0:3], 0 offset:92
	;; [unrolled: 1-line block ×30, first 2 shown]
	ds_read_b128 v[4:7], v2 offset:272
	ds_read_b128 v[8:11], v2 offset:288
	;; [unrolled: 1-line block ×7, first 2 shown]
	v_cmp_lt_u32_e32 vcc, 8, v0
	s_waitcnt vmcnt(29) lgkmcnt(6)
	v_mul_f32_e32 v111, v4, v98
	s_waitcnt vmcnt(28)
	v_mul_f32_e32 v112, v6, v100
	s_waitcnt vmcnt(27) lgkmcnt(5)
	v_mul_f32_e32 v113, v8, v101
	v_mul_f32_e32 v101, v9, v101
	s_waitcnt vmcnt(26)
	v_mul_f32_e32 v114, v10, v102
	s_waitcnt vmcnt(25) lgkmcnt(4)
	v_mul_f32_e32 v3, v62, v103
	s_waitcnt vmcnt(24)
	v_mul_f32_e32 v99, v64, v104
	v_mul_f32_e32 v2, v5, v98
	;; [unrolled: 1-line block ×5, first 2 shown]
	s_waitcnt vmcnt(23)
	v_mov_b32_e32 v100, v13
	s_waitcnt vmcnt(22)
	v_mov_b32_e32 v102, v83
	s_waitcnt vmcnt(18)
	v_fma_f32 v101, v8, v107, -v101
	v_mul_f32_e32 v116, v65, v104
	v_fmac_f32_e32 v111, v5, v105
	v_fmac_f32_e32 v112, v7, v106
	s_waitcnt vmcnt(17)
	v_fmac_f32_e32 v114, v11, v108
	s_waitcnt vmcnt(15)
	v_fmac_f32_e32 v99, v65, v110
	v_fma_f32 v11, v4, v105, -v2
	v_fma_f32 v65, v6, v106, -v98
	s_waitcnt lgkmcnt(3)
	v_pk_mul_f32 v[4:5], v[66:67], v[100:101] op_sel_hi:[1,0]
	v_pk_mul_f32 v[6:7], v[68:69], v[102:103] op_sel_hi:[1,0]
	v_fma_f32 v105, v10, v108, -v115
	v_fma_f32 v98, v64, v110, -v116
	v_add_f32_e32 v64, 0, v111
	v_add_f32_e32 v100, 0, v11
	s_waitcnt vmcnt(14)
	v_pk_fma_f32 v[10:11], v[66:67], v[12:13], v[4:5] op_sel:[0,0,1] op_sel_hi:[1,1,0] neg_lo:[0,0,1] neg_hi:[0,0,1]
	v_pk_fma_f32 v[4:5], v[66:67], v[12:13], v[4:5] op_sel:[0,0,1] op_sel_hi:[1,0,0]
	s_waitcnt vmcnt(10)
	v_pk_fma_f32 v[12:13], v[68:69], v[82:83], v[6:7] op_sel:[0,0,1] op_sel_hi:[1,1,0] neg_lo:[0,0,1] neg_hi:[0,0,1]
	v_pk_fma_f32 v[6:7], v[68:69], v[82:83], v[6:7] op_sel:[0,0,1] op_sel_hi:[1,0,0]
	v_fmac_f32_e32 v113, v9, v107
	v_add_f32_e32 v4, v64, v112
	v_add_f32_e32 v6, v100, v65
	;; [unrolled: 1-line block ×4, first 2 shown]
	v_fmac_f32_e32 v3, v63, v109
	v_fma_f32 v2, v62, v109, -v103
	v_mov_b32_e32 v11, v5
	v_add_f32_e32 v5, v4, v114
	v_add_f32_e32 v4, v6, v105
	v_mov_b32_e32 v104, v85
	v_pk_add_f32 v[2:3], v[4:5], v[2:3]
	s_waitcnt vmcnt(9)
	v_mov_b32_e32 v4, v89
	s_waitcnt lgkmcnt(2)
	v_pk_mul_f32 v[8:9], v[70:71], v[104:105] op_sel_hi:[1,0]
	v_pk_add_f32 v[2:3], v[2:3], v[98:99]
	v_pk_mul_f32 v[4:5], v[72:73], v[4:5] op_sel_hi:[1,0]
	v_pk_fma_f32 v[62:63], v[70:71], v[84:85], v[8:9] op_sel:[0,0,1] op_sel_hi:[1,1,0] neg_lo:[0,0,1] neg_hi:[0,0,1]
	v_pk_fma_f32 v[8:9], v[70:71], v[84:85], v[8:9] op_sel:[0,0,1] op_sel_hi:[1,0,0]
	v_mov_b32_e32 v13, v7
	v_pk_add_f32 v[2:3], v[2:3], v[10:11]
	v_pk_fma_f32 v[6:7], v[72:73], v[88:89], v[4:5] op_sel:[0,0,1] op_sel_hi:[1,1,0] neg_lo:[0,0,1] neg_hi:[0,0,1]
	v_pk_fma_f32 v[4:5], v[72:73], v[88:89], v[4:5] op_sel:[0,0,1] op_sel_hi:[1,0,0]
	v_mov_b32_e32 v63, v9
	v_pk_add_f32 v[2:3], v[2:3], v[12:13]
	s_waitcnt vmcnt(8)
	v_mov_b32_e32 v4, v87
	v_pk_add_f32 v[2:3], v[2:3], v[62:63]
	v_mov_b32_e32 v7, v5
	s_waitcnt lgkmcnt(1)
	v_pk_mul_f32 v[4:5], v[74:75], v[4:5] op_sel_hi:[1,0]
	v_pk_add_f32 v[2:3], v[2:3], v[6:7]
	v_pk_fma_f32 v[6:7], v[74:75], v[86:87], v[4:5] op_sel:[0,0,1] op_sel_hi:[1,1,0] neg_lo:[0,0,1] neg_hi:[0,0,1]
	v_pk_fma_f32 v[4:5], v[74:75], v[86:87], v[4:5] op_sel:[0,0,1] op_sel_hi:[1,0,0]
	s_waitcnt vmcnt(7)
	v_mov_b32_e32 v4, v91
	v_mov_b32_e32 v7, v5
	v_pk_mul_f32 v[4:5], v[76:77], v[4:5] op_sel_hi:[1,0]
	v_pk_add_f32 v[2:3], v[2:3], v[6:7]
	s_waitcnt vmcnt(4)
	v_pk_fma_f32 v[6:7], v[76:77], v[90:91], v[4:5] op_sel:[0,0,1] op_sel_hi:[1,1,0] neg_lo:[0,0,1] neg_hi:[0,0,1]
	v_pk_fma_f32 v[4:5], v[76:77], v[90:91], v[4:5] op_sel:[0,0,1] op_sel_hi:[1,0,0]
	s_waitcnt vmcnt(3)
	v_mov_b32_e32 v4, v95
	v_mov_b32_e32 v7, v5
	s_waitcnt lgkmcnt(0)
	v_pk_mul_f32 v[4:5], v[78:79], v[4:5] op_sel_hi:[1,0]
	v_pk_add_f32 v[2:3], v[2:3], v[6:7]
	v_pk_fma_f32 v[6:7], v[78:79], v[94:95], v[4:5] op_sel:[0,0,1] op_sel_hi:[1,1,0] neg_lo:[0,0,1] neg_hi:[0,0,1]
	v_pk_fma_f32 v[4:5], v[78:79], v[94:95], v[4:5] op_sel:[0,0,1] op_sel_hi:[1,0,0]
	s_waitcnt vmcnt(0)
	v_mov_b32_e32 v4, v93
	v_mov_b32_e32 v7, v5
	v_pk_mul_f32 v[4:5], v[80:81], v[4:5] op_sel_hi:[1,0]
	v_pk_add_f32 v[2:3], v[2:3], v[6:7]
	v_pk_fma_f32 v[6:7], v[80:81], v[92:93], v[4:5] op_sel:[0,0,1] op_sel_hi:[1,1,0] neg_lo:[0,0,1] neg_hi:[0,0,1]
	v_pk_fma_f32 v[4:5], v[80:81], v[92:93], v[4:5] op_sel:[0,0,1] op_sel_hi:[1,0,0]
	v_mov_b32_e32 v7, v5
	v_pk_add_f32 v[2:3], v[2:3], v[6:7]
	v_pk_add_f32 v[2:3], v[96:97], v[2:3] neg_lo:[0,1] neg_hi:[0,1]
	buffer_store_dword v3, off, s[0:3], 0 offset:76
	buffer_store_dword v2, off, s[0:3], 0 offset:72
	s_and_saveexec_b64 s[4:5], vcc
	s_cbranch_execz .LBB87_141
; %bb.140:
	buffer_load_dword v2, off, s[0:3], 0 offset:64
	buffer_load_dword v3, off, s[0:3], 0 offset:68
	v_mov_b32_e32 v4, 0
	buffer_store_dword v4, off, s[0:3], 0 offset:64
	buffer_store_dword v4, off, s[0:3], 0 offset:68
	s_waitcnt vmcnt(2)
	ds_write_b64 v1, v[2:3]
.LBB87_141:
	s_or_b64 exec, exec, s[4:5]
	s_waitcnt lgkmcnt(0)
	; wave barrier
	s_waitcnt lgkmcnt(0)
	buffer_load_dword v3, off, s[0:3], 0 offset:76
	buffer_load_dword v100, off, s[0:3], 0 offset:84
	;; [unrolled: 1-line block ×32, first 2 shown]
	v_mov_b32_e32 v2, 0
	ds_read2_b64 v[4:7], v2 offset0:33 offset1:34
	ds_read2_b64 v[8:11], v2 offset0:35 offset1:36
	ds_read2_b64 v[62:65], v2 offset0:37 offset1:38
	ds_read2_b64 v[66:69], v2 offset0:39 offset1:40
	ds_read2_b64 v[70:73], v2 offset0:41 offset1:42
	ds_read2_b64 v[74:77], v2 offset0:43 offset1:44
	ds_read2_b64 v[78:81], v2 offset0:45 offset1:46
	ds_read_b64 v[98:99], v2 offset:376
	v_cmp_lt_u32_e32 vcc, 7, v0
	s_waitcnt vmcnt(31) lgkmcnt(7)
	v_mul_f32_e32 v115, v4, v3
	v_mul_f32_e32 v3, v5, v3
	s_waitcnt vmcnt(30)
	v_mul_f32_e32 v116, v6, v100
	s_waitcnt vmcnt(28) lgkmcnt(6)
	v_mul_f32_e32 v118, v10, v104
	s_waitcnt vmcnt(27) lgkmcnt(5)
	v_mul_f32_e32 v119, v62, v105
	v_mul_f32_e32 v120, v11, v104
	;; [unrolled: 1-line block ×3, first 2 shown]
	s_waitcnt vmcnt(24)
	v_mov_b32_e32 v104, v13
	v_mul_f32_e32 v117, v8, v102
	v_mul_f32_e32 v100, v7, v100
	s_waitcnt vmcnt(22)
	v_fmac_f32_e32 v115, v5, v108
	v_fma_f32 v3, v4, v108, -v3
	s_waitcnt lgkmcnt(4)
	v_pk_mul_f32 v[4:5], v[68:69], v[104:105] op_sel_hi:[1,0]
	v_mul_f32_e32 v102, v9, v102
	s_waitcnt vmcnt(21)
	v_fmac_f32_e32 v116, v7, v109
	s_waitcnt vmcnt(20)
	v_fmac_f32_e32 v117, v9, v110
	;; [unrolled: 2-line block ×3, first 2 shown]
	v_fma_f32 v9, v6, v109, -v100
	s_waitcnt vmcnt(18)
	v_fma_f32 v11, v62, v112, -v105
	v_add_f32_e32 v62, 0, v115
	v_add_f32_e32 v3, 0, v3
	s_waitcnt vmcnt(12)
	v_pk_fma_f32 v[6:7], v[68:69], v[12:13], v[4:5] op_sel:[0,0,1] op_sel_hi:[1,1,0] neg_lo:[0,0,1] neg_hi:[0,0,1]
	v_pk_fma_f32 v[4:5], v[68:69], v[12:13], v[4:5] op_sel:[0,0,1] op_sel_hi:[1,0,0]
	v_fma_f32 v8, v8, v110, -v102
	v_add_f32_e32 v4, v62, v116
	v_add_f32_e32 v3, v3, v9
	v_fma_f32 v10, v10, v111, -v120
	v_add_f32_e32 v4, v4, v117
	v_add_f32_e32 v3, v3, v8
	v_mul_f32_e32 v101, v64, v106
	v_mul_f32_e32 v121, v65, v106
	v_fmac_f32_e32 v119, v63, v112
	v_add_f32_e32 v4, v4, v118
	v_add_f32_e32 v3, v3, v10
	v_mul_f32_e32 v103, v66, v107
	v_mul_f32_e32 v107, v67, v107
	v_fmac_f32_e32 v101, v65, v113
	v_fma_f32 v100, v64, v113, -v121
	v_mov_b32_e32 v7, v5
	v_add_f32_e32 v5, v4, v119
	v_add_f32_e32 v4, v3, v11
	v_fmac_f32_e32 v103, v67, v114
	v_fma_f32 v102, v66, v114, -v107
	v_pk_add_f32 v[4:5], v[4:5], v[100:101]
	v_mov_b32_e32 v106, v83
	v_pk_add_f32 v[4:5], v[4:5], v[102:103]
	v_pk_add_f32 v[4:5], v[4:5], v[6:7]
	s_waitcnt lgkmcnt(3)
	v_pk_mul_f32 v[6:7], v[70:71], v[106:107] op_sel_hi:[1,0]
	v_pk_fma_f32 v[8:9], v[70:71], v[82:83], v[6:7] op_sel:[0,0,1] op_sel_hi:[1,1,0] neg_lo:[0,0,1] neg_hi:[0,0,1]
	v_pk_fma_f32 v[6:7], v[70:71], v[82:83], v[6:7] op_sel:[0,0,1] op_sel_hi:[1,0,0]
	s_waitcnt vmcnt(11)
	v_mov_b32_e32 v6, v87
	v_mov_b32_e32 v9, v7
	v_pk_mul_f32 v[6:7], v[72:73], v[6:7] op_sel_hi:[1,0]
	v_pk_add_f32 v[4:5], v[4:5], v[8:9]
	v_pk_fma_f32 v[8:9], v[72:73], v[86:87], v[6:7] op_sel:[0,0,1] op_sel_hi:[1,1,0] neg_lo:[0,0,1] neg_hi:[0,0,1]
	v_pk_fma_f32 v[6:7], v[72:73], v[86:87], v[6:7] op_sel:[0,0,1] op_sel_hi:[1,0,0]
	s_waitcnt vmcnt(10)
	v_mov_b32_e32 v6, v85
	v_mov_b32_e32 v9, v7
	s_waitcnt lgkmcnt(2)
	v_pk_mul_f32 v[6:7], v[74:75], v[6:7] op_sel_hi:[1,0]
	v_pk_add_f32 v[4:5], v[4:5], v[8:9]
	v_pk_fma_f32 v[8:9], v[74:75], v[84:85], v[6:7] op_sel:[0,0,1] op_sel_hi:[1,1,0] neg_lo:[0,0,1] neg_hi:[0,0,1]
	v_pk_fma_f32 v[6:7], v[74:75], v[84:85], v[6:7] op_sel:[0,0,1] op_sel_hi:[1,0,0]
	s_waitcnt vmcnt(9)
	v_mov_b32_e32 v6, v89
	v_mov_b32_e32 v9, v7
	v_pk_mul_f32 v[6:7], v[76:77], v[6:7] op_sel_hi:[1,0]
	v_pk_add_f32 v[4:5], v[4:5], v[8:9]
	s_waitcnt vmcnt(4)
	v_pk_fma_f32 v[8:9], v[76:77], v[88:89], v[6:7] op_sel:[0,0,1] op_sel_hi:[1,1,0] neg_lo:[0,0,1] neg_hi:[0,0,1]
	v_pk_fma_f32 v[6:7], v[76:77], v[88:89], v[6:7] op_sel:[0,0,1] op_sel_hi:[1,0,0]
	v_mov_b32_e32 v6, v95
	v_mov_b32_e32 v9, v7
	s_waitcnt lgkmcnt(1)
	v_pk_mul_f32 v[6:7], v[78:79], v[6:7] op_sel_hi:[1,0]
	v_pk_add_f32 v[4:5], v[4:5], v[8:9]
	v_pk_fma_f32 v[8:9], v[78:79], v[94:95], v[6:7] op_sel:[0,0,1] op_sel_hi:[1,1,0] neg_lo:[0,0,1] neg_hi:[0,0,1]
	v_pk_fma_f32 v[6:7], v[78:79], v[94:95], v[6:7] op_sel:[0,0,1] op_sel_hi:[1,0,0]
	s_waitcnt vmcnt(3)
	v_mov_b32_e32 v6, v93
	v_mov_b32_e32 v9, v7
	v_pk_mul_f32 v[6:7], v[80:81], v[6:7] op_sel_hi:[1,0]
	v_pk_add_f32 v[4:5], v[4:5], v[8:9]
	v_pk_fma_f32 v[8:9], v[80:81], v[92:93], v[6:7] op_sel:[0,0,1] op_sel_hi:[1,1,0] neg_lo:[0,0,1] neg_hi:[0,0,1]
	v_pk_fma_f32 v[6:7], v[80:81], v[92:93], v[6:7] op_sel:[0,0,1] op_sel_hi:[1,0,0]
	s_waitcnt vmcnt(0)
	v_mov_b32_e32 v6, v91
	v_mov_b32_e32 v9, v7
	s_waitcnt lgkmcnt(0)
	v_pk_mul_f32 v[6:7], v[98:99], v[6:7] op_sel_hi:[1,0]
	v_pk_add_f32 v[4:5], v[4:5], v[8:9]
	v_pk_fma_f32 v[8:9], v[98:99], v[90:91], v[6:7] op_sel:[0,0,1] op_sel_hi:[1,1,0] neg_lo:[0,0,1] neg_hi:[0,0,1]
	v_pk_fma_f32 v[6:7], v[98:99], v[90:91], v[6:7] op_sel:[0,0,1] op_sel_hi:[1,0,0]
	v_mov_b32_e32 v9, v7
	v_pk_add_f32 v[4:5], v[4:5], v[8:9]
	v_pk_add_f32 v[4:5], v[96:97], v[4:5] neg_lo:[0,1] neg_hi:[0,1]
	buffer_store_dword v5, off, s[0:3], 0 offset:68
	buffer_store_dword v4, off, s[0:3], 0 offset:64
	s_and_saveexec_b64 s[4:5], vcc
	s_cbranch_execz .LBB87_143
; %bb.142:
	buffer_load_dword v4, off, s[0:3], 0 offset:56
	buffer_load_dword v5, off, s[0:3], 0 offset:60
	s_waitcnt vmcnt(0)
	ds_write_b64 v1, v[4:5]
	buffer_store_dword v2, off, s[0:3], 0 offset:56
	buffer_store_dword v2, off, s[0:3], 0 offset:60
.LBB87_143:
	s_or_b64 exec, exec, s[4:5]
	s_waitcnt lgkmcnt(0)
	; wave barrier
	s_waitcnt lgkmcnt(0)
	buffer_load_dword v102, off, s[0:3], 0 offset:68
	buffer_load_dword v104, off, s[0:3], 0 offset:76
	;; [unrolled: 1-line block ×32, first 2 shown]
	ds_read_b128 v[4:7], v2 offset:256
	ds_read_b128 v[8:11], v2 offset:272
	;; [unrolled: 1-line block ×4, first 2 shown]
	buffer_load_dword v101, off, s[0:3], 0 offset:188
	buffer_load_dword v100, off, s[0:3], 0 offset:184
	ds_read_b128 v[70:73], v2 offset:320
	ds_read_b128 v[74:77], v2 offset:336
	;; [unrolled: 1-line block ×4, first 2 shown]
	v_cmp_lt_u32_e32 vcc, 6, v0
	s_waitcnt vmcnt(33) lgkmcnt(7)
	v_mul_f32_e32 v119, v4, v102
	v_mul_f32_e32 v2, v5, v102
	s_waitcnt vmcnt(32)
	v_mul_f32_e32 v120, v6, v104
	s_waitcnt vmcnt(31) lgkmcnt(6)
	v_mul_f32_e32 v121, v8, v105
	v_mul_f32_e32 v102, v7, v104
	;; [unrolled: 1-line block ×3, first 2 shown]
	s_waitcnt vmcnt(30)
	v_mul_f32_e32 v105, v11, v106
	v_mul_f32_e32 v122, v10, v106
	s_waitcnt vmcnt(25)
	v_fmac_f32_e32 v119, v5, v111
	v_fma_f32 v4, v4, v111, -v2
	s_waitcnt vmcnt(24)
	v_fmac_f32_e32 v120, v7, v112
	v_fma_f32 v5, v6, v112, -v102
	s_waitcnt vmcnt(22)
	v_fma_f32 v7, v10, v114, -v105
	v_add_f32_e32 v10, 0, v119
	v_add_f32_e32 v4, 0, v4
	v_fmac_f32_e32 v121, v9, v113
	v_fma_f32 v6, v8, v113, -v104
	v_add_f32_e32 v10, v10, v120
	v_add_f32_e32 v4, v4, v5
	s_waitcnt lgkmcnt(5)
	v_mul_f32_e32 v123, v62, v107
	v_mul_f32_e32 v106, v63, v107
	v_fmac_f32_e32 v122, v11, v114
	v_add_f32_e32 v5, v10, v121
	v_add_f32_e32 v4, v4, v6
	v_mul_f32_e32 v124, v64, v108
	v_mul_f32_e32 v107, v65, v108
	s_waitcnt vmcnt(21)
	v_fmac_f32_e32 v123, v63, v115
	v_fma_f32 v8, v62, v115, -v106
	v_add_f32_e32 v5, v5, v122
	v_add_f32_e32 v4, v4, v7
	s_waitcnt lgkmcnt(4)
	v_mul_f32_e32 v3, v66, v109
	v_mul_f32_e32 v108, v67, v109
	s_waitcnt vmcnt(20)
	v_fmac_f32_e32 v124, v65, v116
	v_fma_f32 v9, v64, v116, -v107
	v_add_f32_e32 v5, v5, v123
	v_add_f32_e32 v4, v4, v8
	s_waitcnt vmcnt(19)
	v_fmac_f32_e32 v3, v67, v117
	v_fma_f32 v2, v66, v117, -v108
	v_add_f32_e32 v5, v5, v124
	v_add_f32_e32 v4, v4, v9
	v_pk_add_f32 v[2:3], v[4:5], v[2:3]
	s_waitcnt vmcnt(17)
	v_mov_b32_e32 v4, v13
	s_waitcnt lgkmcnt(3)
	v_pk_mul_f32 v[4:5], v[70:71], v[4:5] op_sel_hi:[1,0]
	v_mul_f32_e32 v103, v68, v110
	v_mul_f32_e32 v109, v69, v110
	s_waitcnt vmcnt(14)
	v_pk_fma_f32 v[6:7], v[70:71], v[12:13], v[4:5] op_sel:[0,0,1] op_sel_hi:[1,1,0] neg_lo:[0,0,1] neg_hi:[0,0,1]
	v_pk_fma_f32 v[4:5], v[70:71], v[12:13], v[4:5] op_sel:[0,0,1] op_sel_hi:[1,0,0]
	v_fmac_f32_e32 v103, v69, v118
	v_fma_f32 v102, v68, v118, -v109
	s_waitcnt vmcnt(13)
	v_mov_b32_e32 v4, v89
	v_pk_add_f32 v[2:3], v[2:3], v[102:103]
	v_mov_b32_e32 v7, v5
	v_pk_mul_f32 v[4:5], v[72:73], v[4:5] op_sel_hi:[1,0]
	v_pk_add_f32 v[2:3], v[2:3], v[6:7]
	v_pk_fma_f32 v[6:7], v[72:73], v[88:89], v[4:5] op_sel:[0,0,1] op_sel_hi:[1,1,0] neg_lo:[0,0,1] neg_hi:[0,0,1]
	v_pk_fma_f32 v[4:5], v[72:73], v[88:89], v[4:5] op_sel:[0,0,1] op_sel_hi:[1,0,0]
	s_waitcnt vmcnt(12)
	v_mov_b32_e32 v4, v87
	v_mov_b32_e32 v7, v5
	s_waitcnt lgkmcnt(2)
	v_pk_mul_f32 v[4:5], v[74:75], v[4:5] op_sel_hi:[1,0]
	v_pk_add_f32 v[2:3], v[2:3], v[6:7]
	v_pk_fma_f32 v[6:7], v[74:75], v[86:87], v[4:5] op_sel:[0,0,1] op_sel_hi:[1,1,0] neg_lo:[0,0,1] neg_hi:[0,0,1]
	v_pk_fma_f32 v[4:5], v[74:75], v[86:87], v[4:5] op_sel:[0,0,1] op_sel_hi:[1,0,0]
	s_waitcnt vmcnt(11)
	v_mov_b32_e32 v4, v91
	v_mov_b32_e32 v7, v5
	v_pk_mul_f32 v[4:5], v[76:77], v[4:5] op_sel_hi:[1,0]
	v_pk_add_f32 v[2:3], v[2:3], v[6:7]
	s_waitcnt vmcnt(5)
	v_pk_fma_f32 v[6:7], v[76:77], v[90:91], v[4:5] op_sel:[0,0,1] op_sel_hi:[1,1,0] neg_lo:[0,0,1] neg_hi:[0,0,1]
	v_pk_fma_f32 v[4:5], v[76:77], v[90:91], v[4:5] op_sel:[0,0,1] op_sel_hi:[1,0,0]
	v_mov_b32_e32 v4, v97
	v_mov_b32_e32 v7, v5
	s_waitcnt lgkmcnt(1)
	v_pk_mul_f32 v[4:5], v[78:79], v[4:5] op_sel_hi:[1,0]
	v_pk_add_f32 v[2:3], v[2:3], v[6:7]
	v_pk_fma_f32 v[6:7], v[78:79], v[96:97], v[4:5] op_sel:[0,0,1] op_sel_hi:[1,1,0] neg_lo:[0,0,1] neg_hi:[0,0,1]
	v_pk_fma_f32 v[4:5], v[78:79], v[96:97], v[4:5] op_sel:[0,0,1] op_sel_hi:[1,0,0]
	v_mov_b32_e32 v4, v95
	v_mov_b32_e32 v7, v5
	v_pk_mul_f32 v[4:5], v[80:81], v[4:5] op_sel_hi:[1,0]
	v_pk_add_f32 v[2:3], v[2:3], v[6:7]
	v_pk_fma_f32 v[6:7], v[80:81], v[94:95], v[4:5] op_sel:[0,0,1] op_sel_hi:[1,1,0] neg_lo:[0,0,1] neg_hi:[0,0,1]
	v_pk_fma_f32 v[4:5], v[80:81], v[94:95], v[4:5] op_sel:[0,0,1] op_sel_hi:[1,0,0]
	s_waitcnt vmcnt(2)
	v_mov_b32_e32 v4, v93
	v_mov_b32_e32 v7, v5
	s_waitcnt lgkmcnt(0)
	v_pk_mul_f32 v[4:5], v[82:83], v[4:5] op_sel_hi:[1,0]
	v_pk_add_f32 v[2:3], v[2:3], v[6:7]
	v_pk_fma_f32 v[6:7], v[82:83], v[92:93], v[4:5] op_sel:[0,0,1] op_sel_hi:[1,1,0] neg_lo:[0,0,1] neg_hi:[0,0,1]
	v_pk_fma_f32 v[4:5], v[82:83], v[92:93], v[4:5] op_sel:[0,0,1] op_sel_hi:[1,0,0]
	s_waitcnt vmcnt(1)
	v_mov_b32_e32 v4, v101
	v_mov_b32_e32 v7, v5
	v_pk_mul_f32 v[4:5], v[84:85], v[4:5] op_sel_hi:[1,0]
	v_pk_add_f32 v[2:3], v[2:3], v[6:7]
	s_waitcnt vmcnt(0)
	v_pk_fma_f32 v[6:7], v[84:85], v[100:101], v[4:5] op_sel:[0,0,1] op_sel_hi:[1,1,0] neg_lo:[0,0,1] neg_hi:[0,0,1]
	v_pk_fma_f32 v[4:5], v[84:85], v[100:101], v[4:5] op_sel:[0,0,1] op_sel_hi:[1,0,0]
	v_mov_b32_e32 v7, v5
	v_pk_add_f32 v[2:3], v[2:3], v[6:7]
	v_pk_add_f32 v[2:3], v[98:99], v[2:3] neg_lo:[0,1] neg_hi:[0,1]
	buffer_store_dword v3, off, s[0:3], 0 offset:60
	buffer_store_dword v2, off, s[0:3], 0 offset:56
	s_and_saveexec_b64 s[4:5], vcc
	s_cbranch_execz .LBB87_145
; %bb.144:
	buffer_load_dword v2, off, s[0:3], 0 offset:48
	buffer_load_dword v3, off, s[0:3], 0 offset:52
	v_mov_b32_e32 v4, 0
	buffer_store_dword v4, off, s[0:3], 0 offset:48
	buffer_store_dword v4, off, s[0:3], 0 offset:52
	s_waitcnt vmcnt(2)
	ds_write_b64 v1, v[2:3]
.LBB87_145:
	s_or_b64 exec, exec, s[4:5]
	s_waitcnt lgkmcnt(0)
	; wave barrier
	s_waitcnt lgkmcnt(0)
	buffer_load_dword v3, off, s[0:3], 0 offset:60
	buffer_load_dword v94, off, s[0:3], 0 offset:68
	;; [unrolled: 1-line block ×36, first 2 shown]
	v_mov_b32_e32 v2, 0
	ds_read2_b64 v[4:7], v2 offset0:31 offset1:32
	ds_read2_b64 v[8:11], v2 offset0:33 offset1:34
	ds_read2_b64 v[62:65], v2 offset0:35 offset1:36
	ds_read2_b64 v[66:69], v2 offset0:37 offset1:38
	ds_read2_b64 v[70:73], v2 offset0:39 offset1:40
	ds_read2_b64 v[74:77], v2 offset0:41 offset1:42
	v_cmp_lt_u32_e32 vcc, 5, v0
	s_waitcnt vmcnt(35) lgkmcnt(5)
	v_mul_f32_e32 v113, v4, v3
	s_waitcnt vmcnt(34)
	v_mul_f32_e32 v114, v6, v94
	s_waitcnt vmcnt(33) lgkmcnt(4)
	v_mul_f32_e32 v115, v8, v96
	v_mul_f32_e32 v3, v5, v3
	;; [unrolled: 1-line block ×4, first 2 shown]
	s_waitcnt vmcnt(32)
	v_mul_f32_e32 v116, v10, v98
	s_waitcnt vmcnt(31) lgkmcnt(3)
	v_mul_f32_e32 v117, v62, v99
	v_mul_f32_e32 v98, v11, v98
	s_waitcnt vmcnt(26)
	v_fmac_f32_e32 v113, v5, v104
	s_waitcnt vmcnt(25)
	v_fmac_f32_e32 v114, v7, v105
	;; [unrolled: 2-line block ×3, first 2 shown]
	v_fma_f32 v3, v4, v104, -v3
	v_add_f32_e32 v9, 0, v113
	v_fma_f32 v4, v6, v105, -v94
	v_add_f32_e32 v3, 0, v3
	v_add_f32_e32 v9, v9, v114
	s_waitcnt vmcnt(23)
	v_fmac_f32_e32 v116, v11, v107
	v_fma_f32 v5, v8, v106, -v96
	v_add_f32_e32 v3, v3, v4
	v_add_f32_e32 v4, v9, v115
	v_mul_f32_e32 v118, v64, v100
	v_mul_f32_e32 v99, v63, v99
	s_waitcnt vmcnt(22)
	v_fmac_f32_e32 v117, v63, v108
	v_fma_f32 v6, v10, v107, -v98
	v_add_f32_e32 v3, v3, v5
	v_add_f32_e32 v4, v4, v116
	s_waitcnt lgkmcnt(2)
	v_mul_f32_e32 v119, v66, v101
	v_mul_f32_e32 v100, v65, v100
	s_waitcnt vmcnt(21)
	v_fmac_f32_e32 v118, v65, v109
	v_fma_f32 v7, v62, v108, -v99
	v_add_f32_e32 v3, v3, v6
	v_add_f32_e32 v4, v4, v117
	v_mul_f32_e32 v101, v67, v101
	s_waitcnt vmcnt(20)
	v_fmac_f32_e32 v119, v67, v110
	v_fma_f32 v8, v64, v109, -v100
	v_add_f32_e32 v3, v3, v7
	v_add_f32_e32 v4, v4, v118
	;; [unrolled: 1-line block ×4, first 2 shown]
	v_fma_f32 v4, v66, v110, -v101
	v_mul_f32_e32 v95, v68, v102
	v_add_f32_e32 v62, v3, v4
	v_mul_f32_e32 v3, v69, v102
	s_waitcnt vmcnt(17)
	v_mov_b32_e32 v66, v13
	s_waitcnt lgkmcnt(1)
	v_mul_f32_e32 v97, v70, v103
	v_fmac_f32_e32 v95, v69, v111
	v_fma_f32 v94, v68, v111, -v3
	v_mul_f32_e32 v3, v71, v103
	v_pk_mul_f32 v[66:67], v[72:73], v[66:67] op_sel_hi:[1,0]
	v_fmac_f32_e32 v97, v71, v112
	v_fma_f32 v96, v70, v112, -v3
	v_pk_add_f32 v[62:63], v[62:63], v[94:95]
	s_waitcnt vmcnt(15)
	v_pk_fma_f32 v[68:69], v[72:73], v[12:13], v[66:67] op_sel:[0,0,1] op_sel_hi:[1,1,0] neg_lo:[0,0,1] neg_hi:[0,0,1]
	v_pk_fma_f32 v[12:13], v[72:73], v[12:13], v[66:67] op_sel:[0,0,1] op_sel_hi:[1,0,0]
	v_pk_add_f32 v[62:63], v[62:63], v[96:97]
	v_mov_b32_e32 v69, v13
	v_pk_add_f32 v[12:13], v[62:63], v[68:69]
	s_waitcnt vmcnt(12)
	v_mov_b32_e32 v62, v79
	s_waitcnt lgkmcnt(0)
	v_pk_mul_f32 v[62:63], v[74:75], v[62:63] op_sel_hi:[1,0]
	v_pk_fma_f32 v[66:67], v[74:75], v[78:79], v[62:63] op_sel:[0,0,1] op_sel_hi:[1,1,0] neg_lo:[0,0,1] neg_hi:[0,0,1]
	v_pk_fma_f32 v[62:63], v[74:75], v[78:79], v[62:63] op_sel:[0,0,1] op_sel_hi:[1,0,0]
	s_waitcnt vmcnt(11)
	v_mov_b32_e32 v62, v83
	ds_read2_b64 v[4:7], v2 offset0:43 offset1:44
	ds_read2_b64 v[8:11], v2 offset0:45 offset1:46
	ds_read_b64 v[64:65], v2 offset:376
	v_mov_b32_e32 v67, v63
	v_pk_mul_f32 v[62:63], v[76:77], v[62:63] op_sel_hi:[1,0]
	v_pk_add_f32 v[12:13], v[12:13], v[66:67]
	s_waitcnt vmcnt(4)
	v_pk_fma_f32 v[66:67], v[76:77], v[82:83], v[62:63] op_sel:[0,0,1] op_sel_hi:[1,1,0] neg_lo:[0,0,1] neg_hi:[0,0,1]
	v_pk_fma_f32 v[62:63], v[76:77], v[82:83], v[62:63] op_sel:[0,0,1] op_sel_hi:[1,0,0]
	v_mov_b32_e32 v62, v89
	v_mov_b32_e32 v67, v63
	s_waitcnt lgkmcnt(2)
	v_pk_mul_f32 v[62:63], v[4:5], v[62:63] op_sel_hi:[1,0]
	v_pk_add_f32 v[12:13], v[12:13], v[66:67]
	v_pk_fma_f32 v[66:67], v[4:5], v[88:89], v[62:63] op_sel:[0,0,1] op_sel_hi:[1,1,0] neg_lo:[0,0,1] neg_hi:[0,0,1]
	v_pk_fma_f32 v[4:5], v[4:5], v[88:89], v[62:63] op_sel:[0,0,1] op_sel_hi:[1,0,0]
	v_mov_b32_e32 v67, v5
	v_pk_add_f32 v[4:5], v[12:13], v[66:67]
	v_mov_b32_e32 v12, v87
	v_pk_mul_f32 v[12:13], v[6:7], v[12:13] op_sel_hi:[1,0]
	v_pk_fma_f32 v[62:63], v[6:7], v[86:87], v[12:13] op_sel:[0,0,1] op_sel_hi:[1,1,0] neg_lo:[0,0,1] neg_hi:[0,0,1]
	v_pk_fma_f32 v[6:7], v[6:7], v[86:87], v[12:13] op_sel:[0,0,1] op_sel_hi:[1,0,0]
	v_mov_b32_e32 v6, v85
	v_mov_b32_e32 v63, v7
	s_waitcnt lgkmcnt(1)
	v_pk_mul_f32 v[6:7], v[8:9], v[6:7] op_sel_hi:[1,0]
	v_pk_fma_f32 v[12:13], v[8:9], v[84:85], v[6:7] op_sel:[0,0,1] op_sel_hi:[1,1,0] neg_lo:[0,0,1] neg_hi:[0,0,1]
	v_pk_fma_f32 v[6:7], v[8:9], v[84:85], v[6:7] op_sel:[0,0,1] op_sel_hi:[1,0,0]
	s_waitcnt vmcnt(1)
	v_mov_b32_e32 v6, v93
	v_mov_b32_e32 v13, v7
	v_pk_mul_f32 v[6:7], v[10:11], v[6:7] op_sel_hi:[1,0]
	s_waitcnt vmcnt(0)
	v_pk_fma_f32 v[8:9], v[10:11], v[92:93], v[6:7] op_sel:[0,0,1] op_sel_hi:[1,1,0] neg_lo:[0,0,1] neg_hi:[0,0,1]
	v_pk_fma_f32 v[6:7], v[10:11], v[92:93], v[6:7] op_sel:[0,0,1] op_sel_hi:[1,0,0]
	v_pk_add_f32 v[4:5], v[4:5], v[62:63]
	v_mov_b32_e32 v6, v91
	v_pk_add_f32 v[4:5], v[4:5], v[12:13]
	v_mov_b32_e32 v9, v7
	s_waitcnt lgkmcnt(0)
	v_pk_mul_f32 v[6:7], v[64:65], v[6:7] op_sel_hi:[1,0]
	v_pk_add_f32 v[4:5], v[4:5], v[8:9]
	v_pk_fma_f32 v[8:9], v[64:65], v[90:91], v[6:7] op_sel:[0,0,1] op_sel_hi:[1,1,0] neg_lo:[0,0,1] neg_hi:[0,0,1]
	v_pk_fma_f32 v[6:7], v[64:65], v[90:91], v[6:7] op_sel:[0,0,1] op_sel_hi:[1,0,0]
	v_mov_b32_e32 v9, v7
	v_pk_add_f32 v[4:5], v[4:5], v[8:9]
	v_pk_add_f32 v[4:5], v[80:81], v[4:5] neg_lo:[0,1] neg_hi:[0,1]
	buffer_store_dword v5, off, s[0:3], 0 offset:52
	buffer_store_dword v4, off, s[0:3], 0 offset:48
	s_and_saveexec_b64 s[4:5], vcc
	s_cbranch_execz .LBB87_147
; %bb.146:
	buffer_load_dword v4, off, s[0:3], 0 offset:40
	buffer_load_dword v5, off, s[0:3], 0 offset:44
	s_waitcnt vmcnt(0)
	ds_write_b64 v1, v[4:5]
	buffer_store_dword v2, off, s[0:3], 0 offset:40
	buffer_store_dword v2, off, s[0:3], 0 offset:44
.LBB87_147:
	s_or_b64 exec, exec, s[4:5]
	s_waitcnt lgkmcnt(0)
	; wave barrier
	s_waitcnt lgkmcnt(0)
	buffer_load_dword v3, off, s[0:3], 0 offset:52
	buffer_load_dword v94, off, s[0:3], 0 offset:60
	;; [unrolled: 1-line block ×22, first 2 shown]
	ds_read_b128 v[4:7], v2 offset:240
	ds_read_b128 v[8:11], v2 offset:256
	buffer_load_dword v79, off, s[0:3], 0 offset:132
	buffer_load_dword v78, off, s[0:3], 0 offset:128
	buffer_load_dword v81, off, s[0:3], 0 offset:140
	buffer_load_dword v83, off, s[0:3], 0 offset:164
	buffer_load_dword v82, off, s[0:3], 0 offset:160
	buffer_load_dword v85, off, s[0:3], 0 offset:156
	buffer_load_dword v84, off, s[0:3], 0 offset:152
	buffer_load_dword v87, off, s[0:3], 0 offset:148
	buffer_load_dword v86, off, s[0:3], 0 offset:144
	buffer_load_dword v80, off, s[0:3], 0 offset:136
	ds_read_b128 v[62:65], v2 offset:272
	ds_read_b128 v[66:69], v2 offset:288
	;; [unrolled: 1-line block ×4, first 2 shown]
	buffer_load_dword v89, off, s[0:3], 0 offset:188
	buffer_load_dword v88, off, s[0:3], 0 offset:184
	;; [unrolled: 1-line block ×6, first 2 shown]
	v_cmp_lt_u32_e32 vcc, 4, v0
	s_waitcnt vmcnt(37) lgkmcnt(5)
	v_mul_f32_e32 v115, v4, v3
	s_waitcnt vmcnt(36)
	v_mul_f32_e32 v116, v6, v94
	s_waitcnt vmcnt(35) lgkmcnt(4)
	v_mul_f32_e32 v117, v8, v96
	v_mul_f32_e32 v3, v5, v3
	;; [unrolled: 1-line block ×4, first 2 shown]
	s_waitcnt vmcnt(34)
	v_mul_f32_e32 v118, v10, v98
	s_waitcnt vmcnt(33) lgkmcnt(3)
	v_mul_f32_e32 v119, v62, v99
	s_waitcnt vmcnt(32)
	v_mul_f32_e32 v120, v64, v100
	s_waitcnt vmcnt(31) lgkmcnt(2)
	v_mul_f32_e32 v121, v66, v101
	s_waitcnt vmcnt(27)
	v_fmac_f32_e32 v115, v5, v105
	s_waitcnt vmcnt(26)
	v_fmac_f32_e32 v116, v7, v106
	v_fma_f32 v3, v4, v105, -v3
	s_waitcnt vmcnt(25)
	v_fma_f32 v5, v8, v107, -v96
	v_add_f32_e32 v8, 0, v115
	v_fmac_f32_e32 v117, v9, v107
	v_fma_f32 v4, v6, v106, -v94
	v_add_f32_e32 v3, 0, v3
	v_add_f32_e32 v8, v8, v116
	s_waitcnt vmcnt(24)
	v_fmac_f32_e32 v118, v11, v108
	v_add_f32_e32 v3, v3, v4
	v_add_f32_e32 v4, v8, v117
	s_waitcnt vmcnt(23)
	v_fmac_f32_e32 v119, v63, v109
	v_add_f32_e32 v4, v4, v118
	v_mul_f32_e32 v98, v11, v98
	s_waitcnt vmcnt(22)
	v_fmac_f32_e32 v120, v65, v110
	v_add_f32_e32 v4, v4, v119
	v_mul_f32_e32 v122, v68, v102
	v_mul_f32_e32 v99, v63, v99
	s_waitcnt vmcnt(21)
	v_fmac_f32_e32 v121, v67, v111
	v_fma_f32 v6, v10, v108, -v98
	v_add_f32_e32 v3, v3, v5
	v_add_f32_e32 v4, v4, v120
	v_mul_f32_e32 v100, v65, v100
	s_waitcnt vmcnt(20)
	v_fmac_f32_e32 v122, v69, v112
	v_fma_f32 v7, v62, v109, -v99
	v_add_f32_e32 v3, v3, v6
	v_add_f32_e32 v4, v4, v121
	;; [unrolled: 1-line block ×4, first 2 shown]
	v_fma_f32 v4, v64, v110, -v100
	v_add_f32_e32 v3, v3, v4
	v_mul_f32_e32 v4, v67, v101
	v_fma_f32 v4, v66, v111, -v4
	v_add_f32_e32 v3, v3, v4
	v_mul_f32_e32 v4, v69, v102
	v_fma_f32 v4, v68, v112, -v4
	s_waitcnt vmcnt(15)
	v_mov_b32_e32 v66, v79
	s_waitcnt lgkmcnt(1)
	v_mul_f32_e32 v95, v70, v103
	v_add_f32_e32 v98, v3, v4
	v_mul_f32_e32 v3, v71, v103
	s_waitcnt lgkmcnt(0)
	v_pk_mul_f32 v[66:67], v[74:75], v[66:67] op_sel_hi:[1,0]
	v_mul_f32_e32 v97, v72, v104
	v_fmac_f32_e32 v95, v71, v113
	v_fma_f32 v94, v70, v113, -v3
	v_mul_f32_e32 v3, v73, v104
	s_waitcnt vmcnt(14)
	v_pk_fma_f32 v[68:69], v[74:75], v[78:79], v[66:67] op_sel:[0,0,1] op_sel_hi:[1,1,0] neg_lo:[0,0,1] neg_hi:[0,0,1]
	v_pk_fma_f32 v[66:67], v[74:75], v[78:79], v[66:67] op_sel:[0,0,1] op_sel_hi:[1,0,0]
	v_fmac_f32_e32 v97, v73, v114
	v_fma_f32 v96, v72, v114, -v3
	ds_read_b128 v[4:7], v2 offset:336
	ds_read_b128 v[8:11], v2 offset:352
	;; [unrolled: 1-line block ×3, first 2 shown]
	v_pk_add_f32 v[2:3], v[98:99], v[94:95]
	s_waitcnt vmcnt(13)
	v_mov_b32_e32 v66, v81
	v_pk_add_f32 v[2:3], v[2:3], v[96:97]
	v_mov_b32_e32 v69, v67
	v_pk_mul_f32 v[66:67], v[76:77], v[66:67] op_sel_hi:[1,0]
	v_pk_add_f32 v[2:3], v[2:3], v[68:69]
	s_waitcnt vmcnt(6)
	v_pk_fma_f32 v[68:69], v[76:77], v[80:81], v[66:67] op_sel:[0,0,1] op_sel_hi:[1,1,0] neg_lo:[0,0,1] neg_hi:[0,0,1]
	v_pk_fma_f32 v[66:67], v[76:77], v[80:81], v[66:67] op_sel:[0,0,1] op_sel_hi:[1,0,0]
	v_mov_b32_e32 v66, v87
	v_mov_b32_e32 v69, v67
	s_waitcnt lgkmcnt(2)
	v_pk_mul_f32 v[66:67], v[4:5], v[66:67] op_sel_hi:[1,0]
	v_pk_add_f32 v[2:3], v[2:3], v[68:69]
	v_pk_fma_f32 v[68:69], v[4:5], v[86:87], v[66:67] op_sel:[0,0,1] op_sel_hi:[1,1,0] neg_lo:[0,0,1] neg_hi:[0,0,1]
	v_pk_fma_f32 v[4:5], v[4:5], v[86:87], v[66:67] op_sel:[0,0,1] op_sel_hi:[1,0,0]
	v_mov_b32_e32 v4, v85
	v_mov_b32_e32 v69, v5
	v_pk_mul_f32 v[4:5], v[6:7], v[4:5] op_sel_hi:[1,0]
	v_pk_fma_f32 v[66:67], v[6:7], v[84:85], v[4:5] op_sel:[0,0,1] op_sel_hi:[1,1,0] neg_lo:[0,0,1] neg_hi:[0,0,1]
	v_pk_fma_f32 v[4:5], v[6:7], v[84:85], v[4:5] op_sel:[0,0,1] op_sel_hi:[1,0,0]
	v_mov_b32_e32 v4, v83
	v_mov_b32_e32 v67, v5
	s_waitcnt lgkmcnt(1)
	v_pk_mul_f32 v[4:5], v[8:9], v[4:5] op_sel_hi:[1,0]
	v_pk_fma_f32 v[6:7], v[8:9], v[82:83], v[4:5] op_sel:[0,0,1] op_sel_hi:[1,1,0] neg_lo:[0,0,1] neg_hi:[0,0,1]
	v_pk_fma_f32 v[4:5], v[8:9], v[82:83], v[4:5] op_sel:[0,0,1] op_sel_hi:[1,0,0]
	v_pk_add_f32 v[2:3], v[2:3], v[68:69]
	s_waitcnt vmcnt(1)
	v_mov_b32_e32 v4, v93
	v_pk_add_f32 v[2:3], v[2:3], v[66:67]
	v_mov_b32_e32 v7, v5
	v_pk_mul_f32 v[4:5], v[10:11], v[4:5] op_sel_hi:[1,0]
	v_pk_add_f32 v[2:3], v[2:3], v[6:7]
	s_waitcnt vmcnt(0)
	v_pk_fma_f32 v[6:7], v[10:11], v[92:93], v[4:5] op_sel:[0,0,1] op_sel_hi:[1,1,0] neg_lo:[0,0,1] neg_hi:[0,0,1]
	v_pk_fma_f32 v[4:5], v[10:11], v[92:93], v[4:5] op_sel:[0,0,1] op_sel_hi:[1,0,0]
	v_mov_b32_e32 v4, v91
	v_mov_b32_e32 v7, v5
	s_waitcnt lgkmcnt(0)
	v_pk_mul_f32 v[4:5], v[62:63], v[4:5] op_sel_hi:[1,0]
	v_pk_add_f32 v[2:3], v[2:3], v[6:7]
	v_pk_fma_f32 v[6:7], v[62:63], v[90:91], v[4:5] op_sel:[0,0,1] op_sel_hi:[1,1,0] neg_lo:[0,0,1] neg_hi:[0,0,1]
	v_pk_fma_f32 v[4:5], v[62:63], v[90:91], v[4:5] op_sel:[0,0,1] op_sel_hi:[1,0,0]
	v_mov_b32_e32 v4, v89
	v_mov_b32_e32 v7, v5
	v_pk_mul_f32 v[4:5], v[64:65], v[4:5] op_sel_hi:[1,0]
	v_pk_add_f32 v[2:3], v[2:3], v[6:7]
	v_pk_fma_f32 v[6:7], v[64:65], v[88:89], v[4:5] op_sel:[0,0,1] op_sel_hi:[1,1,0] neg_lo:[0,0,1] neg_hi:[0,0,1]
	v_pk_fma_f32 v[4:5], v[64:65], v[88:89], v[4:5] op_sel:[0,0,1] op_sel_hi:[1,0,0]
	v_mov_b32_e32 v7, v5
	v_pk_add_f32 v[2:3], v[2:3], v[6:7]
	v_pk_add_f32 v[2:3], v[12:13], v[2:3] neg_lo:[0,1] neg_hi:[0,1]
	buffer_store_dword v3, off, s[0:3], 0 offset:44
	buffer_store_dword v2, off, s[0:3], 0 offset:40
	s_and_saveexec_b64 s[4:5], vcc
	s_cbranch_execz .LBB87_149
; %bb.148:
	buffer_load_dword v2, off, s[0:3], 0 offset:32
	buffer_load_dword v3, off, s[0:3], 0 offset:36
	v_mov_b32_e32 v4, 0
	buffer_store_dword v4, off, s[0:3], 0 offset:32
	buffer_store_dword v4, off, s[0:3], 0 offset:36
	s_waitcnt vmcnt(2)
	ds_write_b64 v1, v[2:3]
.LBB87_149:
	s_or_b64 exec, exec, s[4:5]
	s_waitcnt lgkmcnt(0)
	; wave barrier
	s_waitcnt lgkmcnt(0)
	buffer_load_dword v65, off, s[0:3], 0 offset:44
	buffer_load_dword v94, off, s[0:3], 0 offset:52
	;; [unrolled: 1-line block ×40, first 2 shown]
	v_mov_b32_e32 v64, 0
	ds_read2_b64 v[2:5], v64 offset0:29 offset1:30
	ds_read2_b64 v[6:9], v64 offset0:31 offset1:32
	;; [unrolled: 1-line block ×6, first 2 shown]
	v_cmp_lt_u32_e32 vcc, 3, v0
	s_waitcnt vmcnt(39) lgkmcnt(5)
	v_mul_f32_e32 v117, v2, v65
	s_waitcnt vmcnt(38)
	v_mul_f32_e32 v118, v4, v94
	s_waitcnt vmcnt(37) lgkmcnt(4)
	v_mul_f32_e32 v119, v6, v96
	v_mul_f32_e32 v65, v3, v65
	;; [unrolled: 1-line block ×4, first 2 shown]
	s_waitcnt vmcnt(36)
	v_mul_f32_e32 v120, v8, v98
	s_waitcnt vmcnt(35) lgkmcnt(3)
	v_mul_f32_e32 v121, v10, v100
	s_waitcnt vmcnt(34)
	v_mul_f32_e32 v122, v12, v101
	s_waitcnt vmcnt(33) lgkmcnt(2)
	v_mul_f32_e32 v123, v66, v102
	s_waitcnt vmcnt(32)
	v_mul_f32_e32 v124, v68, v103
	s_waitcnt vmcnt(28)
	v_fmac_f32_e32 v117, v3, v99
	s_waitcnt vmcnt(27)
	v_fmac_f32_e32 v118, v5, v107
	v_fma_f32 v2, v2, v99, -v65
	v_fma_f32 v3, v4, v107, -v94
	s_waitcnt vmcnt(26)
	v_fma_f32 v4, v6, v108, -v96
	v_add_f32_e32 v6, 0, v117
	v_fmac_f32_e32 v119, v7, v108
	v_add_f32_e32 v2, 0, v2
	v_add_f32_e32 v6, v6, v118
	s_waitcnt vmcnt(25)
	v_fmac_f32_e32 v120, v9, v109
	v_add_f32_e32 v2, v2, v3
	v_add_f32_e32 v3, v6, v119
	s_waitcnt vmcnt(24)
	v_fmac_f32_e32 v121, v11, v110
	v_add_f32_e32 v3, v3, v120
	s_waitcnt vmcnt(23)
	v_fmac_f32_e32 v122, v13, v111
	;; [unrolled: 3-line block ×3, first 2 shown]
	v_add_f32_e32 v3, v3, v122
	s_waitcnt lgkmcnt(1)
	v_mul_f32_e32 v125, v70, v104
	s_waitcnt vmcnt(21)
	v_fmac_f32_e32 v124, v69, v113
	v_add_f32_e32 v3, v3, v123
	v_mul_f32_e32 v98, v9, v98
	s_waitcnt vmcnt(20)
	v_fmac_f32_e32 v125, v71, v114
	v_add_f32_e32 v3, v3, v124
	v_fma_f32 v5, v8, v109, -v98
	v_add_f32_e32 v2, v2, v4
	v_add_f32_e32 v99, v3, v125
	v_mul_f32_e32 v3, v11, v100
	v_add_f32_e32 v2, v2, v5
	v_fma_f32 v3, v10, v110, -v3
	v_add_f32_e32 v2, v2, v3
	v_mul_f32_e32 v3, v13, v101
	v_fma_f32 v3, v12, v111, -v3
	v_add_f32_e32 v2, v2, v3
	v_mul_f32_e32 v3, v67, v102
	;; [unrolled: 3-line block ×5, first 2 shown]
	s_waitcnt vmcnt(9)
	v_mov_b32_e32 v70, v85
	v_mul_f32_e32 v95, v72, v105
	v_fma_f32 v94, v72, v115, -v2
	s_waitcnt lgkmcnt(0)
	v_mul_f32_e32 v2, v75, v106
	v_pk_mul_f32 v[70:71], v[76:77], v[70:71] op_sel_hi:[1,0]
	v_mul_f32_e32 v97, v74, v106
	v_fmac_f32_e32 v95, v73, v115
	v_fma_f32 v96, v74, v116, -v2
	ds_read2_b64 v[2:5], v64 offset0:41 offset1:42
	ds_read2_b64 v[6:9], v64 offset0:43 offset1:44
	;; [unrolled: 1-line block ×3, first 2 shown]
	ds_read_b64 v[66:67], v64 offset:376
	s_waitcnt vmcnt(8)
	v_pk_fma_f32 v[72:73], v[76:77], v[84:85], v[70:71] op_sel:[0,0,1] op_sel_hi:[1,1,0] neg_lo:[0,0,1] neg_hi:[0,0,1]
	v_pk_fma_f32 v[70:71], v[76:77], v[84:85], v[70:71] op_sel:[0,0,1] op_sel_hi:[1,0,0]
	v_fmac_f32_e32 v97, v75, v116
	v_pk_add_f32 v[68:69], v[98:99], v[94:95]
	v_mov_b32_e32 v70, v83
	v_pk_add_f32 v[68:69], v[68:69], v[96:97]
	v_mov_b32_e32 v73, v71
	s_waitcnt lgkmcnt(3)
	v_pk_mul_f32 v[70:71], v[2:3], v[70:71] op_sel_hi:[1,0]
	v_pk_add_f32 v[68:69], v[68:69], v[72:73]
	v_pk_fma_f32 v[72:73], v[2:3], v[82:83], v[70:71] op_sel:[0,0,1] op_sel_hi:[1,1,0] neg_lo:[0,0,1] neg_hi:[0,0,1]
	v_pk_fma_f32 v[2:3], v[2:3], v[82:83], v[70:71] op_sel:[0,0,1] op_sel_hi:[1,0,0]
	v_mov_b32_e32 v73, v3
	v_pk_add_f32 v[2:3], v[68:69], v[72:73]
	v_mov_b32_e32 v68, v81
	v_pk_mul_f32 v[68:69], v[4:5], v[68:69] op_sel_hi:[1,0]
	v_pk_fma_f32 v[70:71], v[4:5], v[80:81], v[68:69] op_sel:[0,0,1] op_sel_hi:[1,1,0] neg_lo:[0,0,1] neg_hi:[0,0,1]
	v_pk_fma_f32 v[4:5], v[4:5], v[80:81], v[68:69] op_sel:[0,0,1] op_sel_hi:[1,0,0]
	v_mov_b32_e32 v4, v79
	v_mov_b32_e32 v71, v5
	s_waitcnt lgkmcnt(2)
	v_pk_mul_f32 v[4:5], v[6:7], v[4:5] op_sel_hi:[1,0]
	v_pk_fma_f32 v[68:69], v[6:7], v[78:79], v[4:5] op_sel:[0,0,1] op_sel_hi:[1,1,0] neg_lo:[0,0,1] neg_hi:[0,0,1]
	v_pk_fma_f32 v[4:5], v[6:7], v[78:79], v[4:5] op_sel:[0,0,1] op_sel_hi:[1,0,0]
	s_waitcnt vmcnt(1)
	v_mov_b32_e32 v4, v93
	v_mov_b32_e32 v69, v5
	v_pk_mul_f32 v[4:5], v[8:9], v[4:5] op_sel_hi:[1,0]
	s_waitcnt vmcnt(0)
	v_pk_fma_f32 v[6:7], v[8:9], v[92:93], v[4:5] op_sel:[0,0,1] op_sel_hi:[1,1,0] neg_lo:[0,0,1] neg_hi:[0,0,1]
	v_pk_fma_f32 v[4:5], v[8:9], v[92:93], v[4:5] op_sel:[0,0,1] op_sel_hi:[1,0,0]
	v_pk_add_f32 v[2:3], v[2:3], v[70:71]
	v_mov_b32_e32 v4, v91
	v_pk_add_f32 v[2:3], v[2:3], v[68:69]
	v_mov_b32_e32 v7, v5
	s_waitcnt lgkmcnt(1)
	v_pk_mul_f32 v[4:5], v[10:11], v[4:5] op_sel_hi:[1,0]
	v_pk_add_f32 v[2:3], v[2:3], v[6:7]
	v_pk_fma_f32 v[6:7], v[10:11], v[90:91], v[4:5] op_sel:[0,0,1] op_sel_hi:[1,1,0] neg_lo:[0,0,1] neg_hi:[0,0,1]
	v_pk_fma_f32 v[4:5], v[10:11], v[90:91], v[4:5] op_sel:[0,0,1] op_sel_hi:[1,0,0]
	v_mov_b32_e32 v4, v89
	v_mov_b32_e32 v7, v5
	v_pk_mul_f32 v[4:5], v[12:13], v[4:5] op_sel_hi:[1,0]
	v_pk_add_f32 v[2:3], v[2:3], v[6:7]
	v_pk_fma_f32 v[6:7], v[12:13], v[88:89], v[4:5] op_sel:[0,0,1] op_sel_hi:[1,1,0] neg_lo:[0,0,1] neg_hi:[0,0,1]
	v_pk_fma_f32 v[4:5], v[12:13], v[88:89], v[4:5] op_sel:[0,0,1] op_sel_hi:[1,0,0]
	v_mov_b32_e32 v4, v87
	v_mov_b32_e32 v7, v5
	s_waitcnt lgkmcnt(0)
	v_pk_mul_f32 v[4:5], v[66:67], v[4:5] op_sel_hi:[1,0]
	v_pk_add_f32 v[2:3], v[2:3], v[6:7]
	v_pk_fma_f32 v[6:7], v[66:67], v[86:87], v[4:5] op_sel:[0,0,1] op_sel_hi:[1,1,0] neg_lo:[0,0,1] neg_hi:[0,0,1]
	v_pk_fma_f32 v[4:5], v[66:67], v[86:87], v[4:5] op_sel:[0,0,1] op_sel_hi:[1,0,0]
	v_mov_b32_e32 v7, v5
	v_pk_add_f32 v[2:3], v[2:3], v[6:7]
	v_pk_add_f32 v[2:3], v[62:63], v[2:3] neg_lo:[0,1] neg_hi:[0,1]
	buffer_store_dword v3, off, s[0:3], 0 offset:36
	buffer_store_dword v2, off, s[0:3], 0 offset:32
	s_and_saveexec_b64 s[4:5], vcc
	s_cbranch_execz .LBB87_151
; %bb.150:
	buffer_load_dword v2, off, s[0:3], 0 offset:24
	buffer_load_dword v3, off, s[0:3], 0 offset:28
	s_waitcnt vmcnt(0)
	ds_write_b64 v1, v[2:3]
	buffer_store_dword v64, off, s[0:3], 0 offset:24
	buffer_store_dword v64, off, s[0:3], 0 offset:28
.LBB87_151:
	s_or_b64 exec, exec, s[4:5]
	s_waitcnt lgkmcnt(0)
	; wave barrier
	s_waitcnt lgkmcnt(0)
	ds_read_b128 v[66:69], v64 offset:224
	ds_read_b128 v[10:13], v64 offset:240
	;; [unrolled: 1-line block ×4, first 2 shown]
	buffer_load_dword v62, off, s[0:3], 0 offset:24
	buffer_load_dword v63, off, s[0:3], 0 offset:28
	;; [unrolled: 1-line block ×18, first 2 shown]
	v_cmp_lt_u32_e32 vcc, 2, v0
	s_waitcnt vmcnt(14) lgkmcnt(3)
	v_mul_f32_e32 v70, v66, v82
	v_fmac_f32_e32 v70, v67, v65
	s_waitcnt vmcnt(12)
	v_mul_f32_e32 v71, v68, v86
	v_add_f32_e32 v70, 0, v70
	v_fmac_f32_e32 v71, v69, v84
	v_add_f32_e32 v70, v70, v71
	s_waitcnt vmcnt(10) lgkmcnt(2)
	v_mul_f32_e32 v71, v10, v105
	v_fmac_f32_e32 v71, v11, v104
	v_add_f32_e32 v70, v70, v71
	s_waitcnt vmcnt(8)
	v_mul_f32_e32 v71, v12, v107
	v_fmac_f32_e32 v71, v13, v106
	v_add_f32_e32 v70, v70, v71
	s_waitcnt vmcnt(6) lgkmcnt(1)
	v_mul_f32_e32 v71, v6, v109
	v_fmac_f32_e32 v71, v7, v108
	v_add_f32_e32 v70, v70, v71
	s_waitcnt vmcnt(4)
	v_mul_f32_e32 v71, v8, v111
	;; [unrolled: 8-line block ×3, first 2 shown]
	v_fmac_f32_e32 v71, v5, v114
	v_add_f32_e32 v74, v70, v71
	ds_read_b128 v[70:73], v64 offset:288
	buffer_load_dword v116, off, s[0:3], 0 offset:96
	buffer_load_dword v117, off, s[0:3], 0 offset:100
	;; [unrolled: 1-line block ×4, first 2 shown]
	v_mul_f32_e32 v67, v67, v82
	v_fma_f32 v65, v66, v65, -v67
	v_mul_f32_e32 v66, v69, v86
	v_add_f32_e32 v65, 0, v65
	v_fma_f32 v66, v68, v84, -v66
	v_mul_f32_e32 v11, v11, v105
	v_add_f32_e32 v65, v65, v66
	v_fma_f32 v10, v10, v104, -v11
	v_mul_f32_e32 v11, v13, v107
	v_add_f32_e32 v10, v65, v10
	v_fma_f32 v11, v12, v106, -v11
	v_mul_f32_e32 v7, v7, v109
	v_add_f32_e32 v10, v10, v11
	v_fma_f32 v6, v6, v108, -v7
	v_mul_f32_e32 v7, v9, v111
	v_add_f32_e32 v6, v10, v6
	v_fma_f32 v7, v8, v110, -v7
	v_mul_f32_e32 v3, v3, v113
	v_add_f32_e32 v6, v6, v7
	v_fma_f32 v2, v2, v112, -v3
	v_mul_f32_e32 v3, v5, v115
	v_add_f32_e32 v2, v6, v2
	v_fma_f32 v3, v4, v114, -v3
	v_add_f32_e32 v2, v2, v3
	s_waitcnt vmcnt(2) lgkmcnt(0)
	v_mul_f32_e32 v75, v70, v117
	v_fmac_f32_e32 v75, v71, v116
	v_add_f32_e32 v74, v74, v75
	s_waitcnt vmcnt(0)
	v_mul_f32_e32 v75, v72, v119
	v_fmac_f32_e32 v75, v73, v118
	v_add_f32_e32 v83, v74, v75
	ds_read_b128 v[74:77], v64 offset:304
	buffer_load_dword v120, off, s[0:3], 0 offset:112
	buffer_load_dword v121, off, s[0:3], 0 offset:116
	;; [unrolled: 1-line block ×6, first 2 shown]
	ds_read_b128 v[78:81], v64 offset:320
	buffer_load_dword v91, off, s[0:3], 0 offset:140
	buffer_load_dword v90, off, s[0:3], 0 offset:136
	;; [unrolled: 1-line block ×14, first 2 shown]
	v_mul_f32_e32 v3, v71, v117
	v_fma_f32 v3, v70, v116, -v3
	v_add_f32_e32 v2, v2, v3
	v_mul_f32_e32 v3, v73, v119
	v_fma_f32 v3, v72, v118, -v3
	v_add_f32_e32 v82, v2, v3
	s_waitcnt vmcnt(18) lgkmcnt(1)
	v_mul_f32_e32 v85, v74, v121
	s_waitcnt vmcnt(15)
	v_mov_b32_e32 v66, v89
	v_mul_f32_e32 v2, v75, v121
	s_waitcnt lgkmcnt(0)
	v_pk_mul_f32 v[66:67], v[78:79], v[66:67] op_sel_hi:[1,0]
	v_fmac_f32_e32 v85, v75, v120
	v_mul_f32_e32 v87, v76, v123
	v_fma_f32 v84, v74, v120, -v2
	v_mul_f32_e32 v2, v77, v123
	s_waitcnt vmcnt(14)
	v_pk_fma_f32 v[68:69], v[78:79], v[88:89], v[66:67] op_sel:[0,0,1] op_sel_hi:[1,1,0] neg_lo:[0,0,1] neg_hi:[0,0,1]
	v_pk_fma_f32 v[66:67], v[78:79], v[88:89], v[66:67] op_sel:[0,0,1] op_sel_hi:[1,0,0]
	v_fmac_f32_e32 v87, v77, v122
	v_fma_f32 v86, v76, v122, -v2
	ds_read_b128 v[2:5], v64 offset:336
	ds_read_b128 v[6:9], v64 offset:352
	;; [unrolled: 1-line block ×3, first 2 shown]
	v_pk_add_f32 v[64:65], v[82:83], v[84:85]
	s_waitcnt vmcnt(13)
	v_mov_b32_e32 v66, v91
	v_pk_add_f32 v[64:65], v[64:65], v[86:87]
	v_mov_b32_e32 v69, v67
	v_pk_mul_f32 v[66:67], v[80:81], v[66:67] op_sel_hi:[1,0]
	v_pk_add_f32 v[64:65], v[64:65], v[68:69]
	s_waitcnt vmcnt(12)
	v_pk_fma_f32 v[68:69], v[80:81], v[90:91], v[66:67] op_sel:[0,0,1] op_sel_hi:[1,1,0] neg_lo:[0,0,1] neg_hi:[0,0,1]
	v_pk_fma_f32 v[66:67], v[80:81], v[90:91], v[66:67] op_sel:[0,0,1] op_sel_hi:[1,0,0]
	s_waitcnt vmcnt(11)
	v_mov_b32_e32 v66, v93
	v_mov_b32_e32 v69, v67
	s_waitcnt lgkmcnt(2)
	v_pk_mul_f32 v[66:67], v[2:3], v[66:67] op_sel_hi:[1,0]
	v_pk_add_f32 v[64:65], v[64:65], v[68:69]
	s_waitcnt vmcnt(10)
	v_pk_fma_f32 v[68:69], v[2:3], v[92:93], v[66:67] op_sel:[0,0,1] op_sel_hi:[1,1,0] neg_lo:[0,0,1] neg_hi:[0,0,1]
	v_pk_fma_f32 v[2:3], v[2:3], v[92:93], v[66:67] op_sel:[0,0,1] op_sel_hi:[1,0,0]
	v_mov_b32_e32 v69, v3
	v_pk_add_f32 v[2:3], v[64:65], v[68:69]
	s_waitcnt vmcnt(9)
	v_mov_b32_e32 v64, v95
	v_pk_mul_f32 v[64:65], v[4:5], v[64:65] op_sel_hi:[1,0]
	s_waitcnt vmcnt(8)
	v_pk_fma_f32 v[66:67], v[4:5], v[94:95], v[64:65] op_sel:[0,0,1] op_sel_hi:[1,1,0] neg_lo:[0,0,1] neg_hi:[0,0,1]
	v_pk_fma_f32 v[4:5], v[4:5], v[94:95], v[64:65] op_sel:[0,0,1] op_sel_hi:[1,0,0]
	s_waitcnt vmcnt(7)
	v_mov_b32_e32 v4, v97
	v_mov_b32_e32 v67, v5
	s_waitcnt lgkmcnt(1)
	v_pk_mul_f32 v[4:5], v[6:7], v[4:5] op_sel_hi:[1,0]
	s_waitcnt vmcnt(6)
	v_pk_fma_f32 v[64:65], v[6:7], v[96:97], v[4:5] op_sel:[0,0,1] op_sel_hi:[1,1,0] neg_lo:[0,0,1] neg_hi:[0,0,1]
	v_pk_fma_f32 v[4:5], v[6:7], v[96:97], v[4:5] op_sel:[0,0,1] op_sel_hi:[1,0,0]
	s_waitcnt vmcnt(5)
	v_mov_b32_e32 v4, v99
	v_mov_b32_e32 v65, v5
	v_pk_mul_f32 v[4:5], v[8:9], v[4:5] op_sel_hi:[1,0]
	s_waitcnt vmcnt(4)
	v_pk_fma_f32 v[6:7], v[8:9], v[98:99], v[4:5] op_sel:[0,0,1] op_sel_hi:[1,1,0] neg_lo:[0,0,1] neg_hi:[0,0,1]
	v_pk_fma_f32 v[4:5], v[8:9], v[98:99], v[4:5] op_sel:[0,0,1] op_sel_hi:[1,0,0]
	v_pk_add_f32 v[2:3], v[2:3], v[66:67]
	s_waitcnt vmcnt(3)
	v_mov_b32_e32 v4, v101
	v_pk_add_f32 v[2:3], v[2:3], v[64:65]
	v_mov_b32_e32 v7, v5
	s_waitcnt lgkmcnt(0)
	v_pk_mul_f32 v[4:5], v[10:11], v[4:5] op_sel_hi:[1,0]
	v_pk_add_f32 v[2:3], v[2:3], v[6:7]
	s_waitcnt vmcnt(2)
	v_pk_fma_f32 v[6:7], v[10:11], v[100:101], v[4:5] op_sel:[0,0,1] op_sel_hi:[1,1,0] neg_lo:[0,0,1] neg_hi:[0,0,1]
	v_pk_fma_f32 v[4:5], v[10:11], v[100:101], v[4:5] op_sel:[0,0,1] op_sel_hi:[1,0,0]
	s_waitcnt vmcnt(1)
	v_mov_b32_e32 v4, v103
	v_mov_b32_e32 v7, v5
	v_pk_mul_f32 v[4:5], v[12:13], v[4:5] op_sel_hi:[1,0]
	v_pk_add_f32 v[2:3], v[2:3], v[6:7]
	s_waitcnt vmcnt(0)
	v_pk_fma_f32 v[6:7], v[12:13], v[102:103], v[4:5] op_sel:[0,0,1] op_sel_hi:[1,1,0] neg_lo:[0,0,1] neg_hi:[0,0,1]
	v_pk_fma_f32 v[4:5], v[12:13], v[102:103], v[4:5] op_sel:[0,0,1] op_sel_hi:[1,0,0]
	v_mov_b32_e32 v7, v5
	v_pk_add_f32 v[2:3], v[2:3], v[6:7]
	v_pk_add_f32 v[2:3], v[62:63], v[2:3] neg_lo:[0,1] neg_hi:[0,1]
	buffer_store_dword v3, off, s[0:3], 0 offset:28
	buffer_store_dword v2, off, s[0:3], 0 offset:24
	s_and_saveexec_b64 s[4:5], vcc
	s_cbranch_execz .LBB87_153
; %bb.152:
	buffer_load_dword v2, off, s[0:3], 0 offset:16
	buffer_load_dword v3, off, s[0:3], 0 offset:20
	v_mov_b32_e32 v4, 0
	buffer_store_dword v4, off, s[0:3], 0 offset:16
	buffer_store_dword v4, off, s[0:3], 0 offset:20
	s_waitcnt vmcnt(2)
	ds_write_b64 v1, v[2:3]
.LBB87_153:
	s_or_b64 exec, exec, s[4:5]
	v_mov_b32_e32 v12, 0
	s_waitcnt lgkmcnt(0)
	; wave barrier
	s_waitcnt lgkmcnt(0)
	ds_read2_b64 v[62:65], v12 offset0:27 offset1:28
	buffer_load_dword v6, off, s[0:3], 0 offset:16
	buffer_load_dword v7, off, s[0:3], 0 offset:20
	;; [unrolled: 1-line block ×16, first 2 shown]
	ds_read2_b64 v[66:69], v12 offset0:29 offset1:30
	ds_read2_b64 v[70:73], v12 offset0:31 offset1:32
	;; [unrolled: 1-line block ×3, first 2 shown]
	buffer_load_dword v114, off, s[0:3], 0 offset:80
	buffer_load_dword v115, off, s[0:3], 0 offset:84
	ds_read2_b64 v[78:81], v12 offset0:35 offset1:36
	buffer_load_dword v116, off, s[0:3], 0 offset:88
	buffer_load_dword v117, off, s[0:3], 0 offset:92
	;; [unrolled: 1-line block ×4, first 2 shown]
	ds_read2_b64 v[82:85], v12 offset0:37 offset1:38
	buffer_load_dword v120, off, s[0:3], 0 offset:104
	buffer_load_dword v121, off, s[0:3], 0 offset:108
	;; [unrolled: 1-line block ×4, first 2 shown]
	v_cmp_lt_u32_e32 vcc, 1, v0
	s_waitcnt vmcnt(22) lgkmcnt(5)
	v_mul_f32_e32 v2, v62, v10
	v_fmac_f32_e32 v2, v63, v8
	s_waitcnt vmcnt(20)
	v_mul_f32_e32 v3, v64, v86
	v_add_f32_e32 v2, 0, v2
	v_fmac_f32_e32 v3, v65, v13
	v_add_f32_e32 v2, v2, v3
	s_waitcnt vmcnt(18) lgkmcnt(4)
	v_mul_f32_e32 v3, v66, v105
	v_fmac_f32_e32 v3, v67, v104
	v_add_f32_e32 v2, v2, v3
	s_waitcnt vmcnt(16)
	v_mul_f32_e32 v3, v68, v107
	v_fmac_f32_e32 v3, v69, v106
	v_add_f32_e32 v2, v2, v3
	s_waitcnt vmcnt(14) lgkmcnt(3)
	v_mul_f32_e32 v3, v70, v109
	v_fmac_f32_e32 v3, v71, v108
	v_add_f32_e32 v2, v2, v3
	s_waitcnt vmcnt(12)
	v_mul_f32_e32 v3, v72, v111
	;; [unrolled: 8-line block ×4, first 2 shown]
	v_fmac_f32_e32 v3, v81, v118
	v_add_f32_e32 v2, v2, v3
	s_waitcnt vmcnt(2) lgkmcnt(0)
	v_mul_f32_e32 v3, v82, v121
	v_fmac_f32_e32 v3, v83, v120
	v_add_f32_e32 v9, v2, v3
	ds_read2_b64 v[2:5], v12 offset0:39 offset1:40
	buffer_load_dword v124, off, s[0:3], 0 offset:120
	buffer_load_dword v125, off, s[0:3], 0 offset:124
	buffer_load_dword v89, off, s[0:3], 0 offset:132
	buffer_load_dword v88, off, s[0:3], 0 offset:128
	buffer_load_dword v91, off, s[0:3], 0 offset:140
	buffer_load_dword v90, off, s[0:3], 0 offset:136
	buffer_load_dword v93, off, s[0:3], 0 offset:148
	buffer_load_dword v92, off, s[0:3], 0 offset:144
	buffer_load_dword v95, off, s[0:3], 0 offset:156
	buffer_load_dword v94, off, s[0:3], 0 offset:152
	buffer_load_dword v97, off, s[0:3], 0 offset:164
	buffer_load_dword v96, off, s[0:3], 0 offset:160
	buffer_load_dword v99, off, s[0:3], 0 offset:172
	buffer_load_dword v98, off, s[0:3], 0 offset:168
	buffer_load_dword v101, off, s[0:3], 0 offset:180
	buffer_load_dword v100, off, s[0:3], 0 offset:176
	buffer_load_dword v103, off, s[0:3], 0 offset:188
	buffer_load_dword v102, off, s[0:3], 0 offset:184
	v_mul_f32_e32 v10, v63, v10
	v_fma_f32 v8, v62, v8, -v10
	v_mul_f32_e32 v10, v65, v86
	v_add_f32_e32 v8, 0, v8
	v_fma_f32 v10, v64, v13, -v10
	v_add_f32_e32 v8, v8, v10
	v_mul_f32_e32 v10, v67, v105
	v_fma_f32 v10, v66, v104, -v10
	v_add_f32_e32 v8, v8, v10
	v_mul_f32_e32 v10, v69, v107
	;; [unrolled: 3-line block ×9, first 2 shown]
	v_fma_f32 v10, v82, v120, -v10
	s_waitcnt vmcnt(18)
	v_mul_f32_e32 v11, v84, v123
	v_add_f32_e32 v8, v8, v10
	v_mul_f32_e32 v10, v85, v123
	v_fmac_f32_e32 v11, v85, v122
	v_fma_f32 v10, v84, v122, -v10
	v_pk_add_f32 v[8:9], v[8:9], v[10:11]
	s_waitcnt vmcnt(15)
	v_mov_b32_e32 v10, v89
	s_waitcnt lgkmcnt(0)
	v_pk_mul_f32 v[10:11], v[4:5], v[10:11] op_sel_hi:[1,0]
	s_waitcnt vmcnt(14)
	v_pk_fma_f32 v[74:75], v[4:5], v[88:89], v[10:11] op_sel:[0,0,1] op_sel_hi:[1,1,0] neg_lo:[0,0,1] neg_hi:[0,0,1]
	v_pk_fma_f32 v[4:5], v[4:5], v[88:89], v[10:11] op_sel:[0,0,1] op_sel_hi:[1,0,0]
	v_mov_b32_e32 v75, v5
	v_mul_f32_e32 v87, v2, v125
	v_fmac_f32_e32 v87, v3, v124
	v_mul_f32_e32 v3, v3, v125
	v_fma_f32 v86, v2, v124, -v3
	ds_read2_b64 v[62:65], v12 offset0:41 offset1:42
	ds_read2_b64 v[66:69], v12 offset0:43 offset1:44
	;; [unrolled: 1-line block ×3, first 2 shown]
	ds_read_b64 v[2:3], v12 offset:376
	v_pk_add_f32 v[8:9], v[8:9], v[86:87]
	v_pk_add_f32 v[4:5], v[8:9], v[74:75]
	s_waitcnt vmcnt(13)
	v_mov_b32_e32 v8, v91
	s_waitcnt lgkmcnt(3)
	v_pk_mul_f32 v[8:9], v[62:63], v[8:9] op_sel_hi:[1,0]
	s_waitcnt vmcnt(12)
	v_pk_fma_f32 v[10:11], v[62:63], v[90:91], v[8:9] op_sel:[0,0,1] op_sel_hi:[1,1,0] neg_lo:[0,0,1] neg_hi:[0,0,1]
	v_pk_fma_f32 v[8:9], v[62:63], v[90:91], v[8:9] op_sel:[0,0,1] op_sel_hi:[1,0,0]
	s_waitcnt vmcnt(11)
	v_mov_b32_e32 v8, v93
	v_mov_b32_e32 v11, v9
	v_pk_mul_f32 v[8:9], v[64:65], v[8:9] op_sel_hi:[1,0]
	v_pk_add_f32 v[4:5], v[4:5], v[10:11]
	s_waitcnt vmcnt(10)
	v_pk_fma_f32 v[10:11], v[64:65], v[92:93], v[8:9] op_sel:[0,0,1] op_sel_hi:[1,1,0] neg_lo:[0,0,1] neg_hi:[0,0,1]
	v_pk_fma_f32 v[8:9], v[64:65], v[92:93], v[8:9] op_sel:[0,0,1] op_sel_hi:[1,0,0]
	s_waitcnt vmcnt(9)
	v_mov_b32_e32 v8, v95
	v_mov_b32_e32 v11, v9
	s_waitcnt lgkmcnt(2)
	v_pk_mul_f32 v[8:9], v[66:67], v[8:9] op_sel_hi:[1,0]
	v_pk_add_f32 v[4:5], v[4:5], v[10:11]
	s_waitcnt vmcnt(8)
	v_pk_fma_f32 v[10:11], v[66:67], v[94:95], v[8:9] op_sel:[0,0,1] op_sel_hi:[1,1,0] neg_lo:[0,0,1] neg_hi:[0,0,1]
	v_pk_fma_f32 v[8:9], v[66:67], v[94:95], v[8:9] op_sel:[0,0,1] op_sel_hi:[1,0,0]
	s_waitcnt vmcnt(7)
	v_mov_b32_e32 v8, v97
	v_mov_b32_e32 v11, v9
	v_pk_mul_f32 v[8:9], v[68:69], v[8:9] op_sel_hi:[1,0]
	v_pk_add_f32 v[4:5], v[4:5], v[10:11]
	s_waitcnt vmcnt(6)
	v_pk_fma_f32 v[10:11], v[68:69], v[96:97], v[8:9] op_sel:[0,0,1] op_sel_hi:[1,1,0] neg_lo:[0,0,1] neg_hi:[0,0,1]
	v_pk_fma_f32 v[8:9], v[68:69], v[96:97], v[8:9] op_sel:[0,0,1] op_sel_hi:[1,0,0]
	s_waitcnt vmcnt(5)
	v_mov_b32_e32 v8, v99
	v_mov_b32_e32 v11, v9
	s_waitcnt lgkmcnt(1)
	v_pk_mul_f32 v[8:9], v[70:71], v[8:9] op_sel_hi:[1,0]
	v_pk_add_f32 v[4:5], v[4:5], v[10:11]
	s_waitcnt vmcnt(4)
	v_pk_fma_f32 v[10:11], v[70:71], v[98:99], v[8:9] op_sel:[0,0,1] op_sel_hi:[1,1,0] neg_lo:[0,0,1] neg_hi:[0,0,1]
	v_pk_fma_f32 v[8:9], v[70:71], v[98:99], v[8:9] op_sel:[0,0,1] op_sel_hi:[1,0,0]
	s_waitcnt vmcnt(3)
	v_mov_b32_e32 v8, v101
	v_mov_b32_e32 v11, v9
	v_pk_mul_f32 v[8:9], v[72:73], v[8:9] op_sel_hi:[1,0]
	v_pk_add_f32 v[4:5], v[4:5], v[10:11]
	s_waitcnt vmcnt(2)
	v_pk_fma_f32 v[10:11], v[72:73], v[100:101], v[8:9] op_sel:[0,0,1] op_sel_hi:[1,1,0] neg_lo:[0,0,1] neg_hi:[0,0,1]
	v_pk_fma_f32 v[8:9], v[72:73], v[100:101], v[8:9] op_sel:[0,0,1] op_sel_hi:[1,0,0]
	s_waitcnt vmcnt(1)
	v_mov_b32_e32 v8, v103
	v_mov_b32_e32 v11, v9
	s_waitcnt lgkmcnt(0)
	v_pk_mul_f32 v[8:9], v[2:3], v[8:9] op_sel_hi:[1,0]
	v_pk_add_f32 v[4:5], v[4:5], v[10:11]
	s_waitcnt vmcnt(0)
	v_pk_fma_f32 v[10:11], v[2:3], v[102:103], v[8:9] op_sel:[0,0,1] op_sel_hi:[1,1,0] neg_lo:[0,0,1] neg_hi:[0,0,1]
	v_pk_fma_f32 v[2:3], v[2:3], v[102:103], v[8:9] op_sel:[0,0,1] op_sel_hi:[1,0,0]
	v_mov_b32_e32 v11, v3
	v_pk_add_f32 v[2:3], v[4:5], v[10:11]
	v_pk_add_f32 v[2:3], v[6:7], v[2:3] neg_lo:[0,1] neg_hi:[0,1]
	buffer_store_dword v3, off, s[0:3], 0 offset:20
	buffer_store_dword v2, off, s[0:3], 0 offset:16
	s_and_saveexec_b64 s[4:5], vcc
	s_cbranch_execz .LBB87_155
; %bb.154:
	buffer_load_dword v2, off, s[0:3], 0 offset:8
	buffer_load_dword v3, off, s[0:3], 0 offset:12
	s_waitcnt vmcnt(0)
	ds_write_b64 v1, v[2:3]
	buffer_store_dword v12, off, s[0:3], 0 offset:8
	buffer_store_dword v12, off, s[0:3], 0 offset:12
.LBB87_155:
	s_or_b64 exec, exec, s[4:5]
	s_waitcnt lgkmcnt(0)
	; wave barrier
	s_waitcnt lgkmcnt(0)
	buffer_load_dword v10, off, s[0:3], 0 offset:20
	buffer_load_dword v11, off, s[0:3], 0 offset:28
	;; [unrolled: 1-line block ×30, first 2 shown]
	ds_read_b128 v[2:5], v12 offset:208
	ds_read_b128 v[6:9], v12 offset:224
	;; [unrolled: 1-line block ×6, first 2 shown]
	buffer_load_dword v89, off, s[0:3], 0 offset:132
	buffer_load_dword v88, off, s[0:3], 0 offset:128
	ds_read_b128 v[78:81], v12 offset:304
	ds_read_b128 v[82:85], v12 offset:320
	buffer_load_dword v91, off, s[0:3], 0 offset:164
	buffer_load_dword v90, off, s[0:3], 0 offset:160
	;; [unrolled: 1-line block ×14, first 2 shown]
	v_cmp_ne_u32_e32 vcc, 0, v0
	s_waitcnt vmcnt(45) lgkmcnt(7)
	v_mul_f32_e32 v107, v2, v10
	s_waitcnt vmcnt(44)
	v_mul_f32_e32 v109, v4, v11
	s_waitcnt vmcnt(43) lgkmcnt(6)
	v_mul_f32_e32 v132, v6, v13
	s_waitcnt vmcnt(42)
	v_mul_f32_e32 v133, v8, v104
	;; [unrolled: 4-line block ×6, first 2 shown]
	s_waitcnt vmcnt(33) lgkmcnt(1)
	v_mul_f32_e32 v105, v78, v116
	s_waitcnt vmcnt(32)
	v_fmac_f32_e32 v107, v3, v117
	v_mul_f32_e32 v3, v3, v10
	v_fma_f32 v2, v2, v117, -v3
	v_mul_f32_e32 v3, v5, v11
	v_add_f32_e32 v2, 0, v2
	s_waitcnt vmcnt(31)
	v_fma_f32 v3, v4, v118, -v3
	v_add_f32_e32 v2, v2, v3
	v_mul_f32_e32 v3, v7, v13
	s_waitcnt vmcnt(30)
	v_fma_f32 v3, v6, v119, -v3
	v_add_f32_e32 v2, v2, v3
	v_mul_f32_e32 v3, v9, v104
	;; [unrolled: 4-line block ×5, first 2 shown]
	s_waitcnt vmcnt(26)
	v_fma_f32 v3, v66, v123, -v3
	v_fmac_f32_e32 v109, v5, v118
	v_add_f32_e32 v107, 0, v107
	v_add_f32_e32 v2, v2, v3
	v_mul_f32_e32 v3, v69, v111
	v_fmac_f32_e32 v132, v7, v119
	v_add_f32_e32 v107, v107, v109
	s_waitcnt vmcnt(25)
	v_fma_f32 v3, v68, v124, -v3
	v_fmac_f32_e32 v133, v9, v120
	v_add_f32_e32 v107, v107, v132
	v_add_f32_e32 v2, v2, v3
	v_mul_f32_e32 v3, v71, v112
	v_fmac_f32_e32 v134, v63, v121
	v_add_f32_e32 v107, v107, v133
	;; [unrolled: 8-line block ×5, first 2 shown]
	s_waitcnt vmcnt(21)
	v_fma_f32 v3, v76, v128, -v3
	s_waitcnt vmcnt(15)
	v_mov_b32_e32 v64, v89
	v_fmac_f32_e32 v141, v77, v128
	v_add_f32_e32 v107, v107, v140
	v_add_f32_e32 v106, v2, v3
	v_mul_f32_e32 v2, v79, v116
	s_waitcnt lgkmcnt(0)
	v_pk_mul_f32 v[64:65], v[82:83], v[64:65] op_sel_hi:[1,0]
	v_fmac_f32_e32 v105, v79, v129
	v_add_f32_e32 v107, v107, v141
	v_mul_f32_e32 v109, v80, v130
	v_fma_f32 v104, v78, v129, -v2
	v_mul_f32_e32 v2, v81, v130
	s_waitcnt vmcnt(14)
	v_pk_fma_f32 v[66:67], v[82:83], v[88:89], v[64:65] op_sel:[0,0,1] op_sel_hi:[1,1,0] neg_lo:[0,0,1] neg_hi:[0,0,1]
	v_pk_fma_f32 v[64:65], v[82:83], v[88:89], v[64:65] op_sel:[0,0,1] op_sel_hi:[1,0,0]
	v_fmac_f32_e32 v109, v81, v131
	v_fma_f32 v108, v80, v131, -v2
	v_pk_add_f32 v[62:63], v[106:107], v[104:105]
	s_waitcnt vmcnt(7)
	v_mov_b32_e32 v64, v97
	ds_read_b128 v[2:5], v12 offset:336
	ds_read_b128 v[6:9], v12 offset:352
	ds_read_b128 v[10:13], v12 offset:368
	v_pk_add_f32 v[62:63], v[62:63], v[108:109]
	v_mov_b32_e32 v67, v65
	v_pk_mul_f32 v[64:65], v[84:85], v[64:65] op_sel_hi:[1,0]
	v_pk_add_f32 v[62:63], v[62:63], v[66:67]
	s_waitcnt vmcnt(6)
	v_pk_fma_f32 v[66:67], v[84:85], v[96:97], v[64:65] op_sel:[0,0,1] op_sel_hi:[1,1,0] neg_lo:[0,0,1] neg_hi:[0,0,1]
	v_pk_fma_f32 v[64:65], v[84:85], v[96:97], v[64:65] op_sel:[0,0,1] op_sel_hi:[1,0,0]
	v_mov_b32_e32 v64, v95
	v_mov_b32_e32 v67, v65
	s_waitcnt lgkmcnt(2)
	v_pk_mul_f32 v[64:65], v[2:3], v[64:65] op_sel_hi:[1,0]
	v_pk_add_f32 v[62:63], v[62:63], v[66:67]
	v_pk_fma_f32 v[66:67], v[2:3], v[94:95], v[64:65] op_sel:[0,0,1] op_sel_hi:[1,1,0] neg_lo:[0,0,1] neg_hi:[0,0,1]
	v_pk_fma_f32 v[2:3], v[2:3], v[94:95], v[64:65] op_sel:[0,0,1] op_sel_hi:[1,0,0]
	v_mov_b32_e32 v67, v3
	v_pk_add_f32 v[2:3], v[62:63], v[66:67]
	v_mov_b32_e32 v62, v93
	v_pk_mul_f32 v[62:63], v[4:5], v[62:63] op_sel_hi:[1,0]
	v_pk_fma_f32 v[64:65], v[4:5], v[92:93], v[62:63] op_sel:[0,0,1] op_sel_hi:[1,1,0] neg_lo:[0,0,1] neg_hi:[0,0,1]
	v_pk_fma_f32 v[4:5], v[4:5], v[92:93], v[62:63] op_sel:[0,0,1] op_sel_hi:[1,0,0]
	v_mov_b32_e32 v4, v91
	v_mov_b32_e32 v65, v5
	s_waitcnt lgkmcnt(1)
	v_pk_mul_f32 v[4:5], v[6:7], v[4:5] op_sel_hi:[1,0]
	v_pk_fma_f32 v[62:63], v[6:7], v[90:91], v[4:5] op_sel:[0,0,1] op_sel_hi:[1,1,0] neg_lo:[0,0,1] neg_hi:[0,0,1]
	v_pk_fma_f32 v[4:5], v[6:7], v[90:91], v[4:5] op_sel:[0,0,1] op_sel_hi:[1,0,0]
	s_waitcnt vmcnt(1)
	v_mov_b32_e32 v4, v103
	v_mov_b32_e32 v63, v5
	v_pk_mul_f32 v[4:5], v[8:9], v[4:5] op_sel_hi:[1,0]
	s_waitcnt vmcnt(0)
	v_pk_fma_f32 v[6:7], v[8:9], v[102:103], v[4:5] op_sel:[0,0,1] op_sel_hi:[1,1,0] neg_lo:[0,0,1] neg_hi:[0,0,1]
	v_pk_fma_f32 v[4:5], v[8:9], v[102:103], v[4:5] op_sel:[0,0,1] op_sel_hi:[1,0,0]
	v_pk_add_f32 v[2:3], v[2:3], v[64:65]
	v_mov_b32_e32 v4, v101
	v_pk_add_f32 v[2:3], v[2:3], v[62:63]
	v_mov_b32_e32 v7, v5
	s_waitcnt lgkmcnt(0)
	v_pk_mul_f32 v[4:5], v[10:11], v[4:5] op_sel_hi:[1,0]
	v_pk_add_f32 v[2:3], v[2:3], v[6:7]
	v_pk_fma_f32 v[6:7], v[10:11], v[100:101], v[4:5] op_sel:[0,0,1] op_sel_hi:[1,1,0] neg_lo:[0,0,1] neg_hi:[0,0,1]
	v_pk_fma_f32 v[4:5], v[10:11], v[100:101], v[4:5] op_sel:[0,0,1] op_sel_hi:[1,0,0]
	v_mov_b32_e32 v4, v99
	v_mov_b32_e32 v7, v5
	v_pk_mul_f32 v[4:5], v[12:13], v[4:5] op_sel_hi:[1,0]
	v_pk_add_f32 v[2:3], v[2:3], v[6:7]
	v_pk_fma_f32 v[6:7], v[12:13], v[98:99], v[4:5] op_sel:[0,0,1] op_sel_hi:[1,1,0] neg_lo:[0,0,1] neg_hi:[0,0,1]
	v_pk_fma_f32 v[4:5], v[12:13], v[98:99], v[4:5] op_sel:[0,0,1] op_sel_hi:[1,0,0]
	v_mov_b32_e32 v7, v5
	v_pk_add_f32 v[2:3], v[2:3], v[6:7]
	v_pk_add_f32 v[2:3], v[86:87], v[2:3] neg_lo:[0,1] neg_hi:[0,1]
	buffer_store_dword v3, off, s[0:3], 0 offset:12
	buffer_store_dword v2, off, s[0:3], 0 offset:8
	s_and_saveexec_b64 s[4:5], vcc
	s_cbranch_execz .LBB87_157
; %bb.156:
	buffer_load_dword v2, off, s[0:3], 0
	buffer_load_dword v3, off, s[0:3], 0 offset:4
	v_mov_b32_e32 v0, 0
	buffer_store_dword v0, off, s[0:3], 0
	buffer_store_dword v0, off, s[0:3], 0 offset:4
	s_waitcnt vmcnt(2)
	ds_write_b64 v1, v[2:3]
.LBB87_157:
	s_or_b64 exec, exec, s[4:5]
	s_waitcnt lgkmcnt(0)
	; wave barrier
	s_waitcnt lgkmcnt(0)
	buffer_load_dword v96, off, s[0:3], 0 offset:12
	buffer_load_dword v100, off, s[0:3], 0 offset:20
	;; [unrolled: 1-line block ×30, first 2 shown]
	buffer_load_dword v12, off, s[0:3], 0
	buffer_load_dword v13, off, s[0:3], 0 offset:4
	v_mov_b32_e32 v131, 0
	buffer_load_dword v83, off, s[0:3], 0 offset:156
	buffer_load_dword v82, off, s[0:3], 0 offset:152
	;; [unrolled: 1-line block ×13, first 2 shown]
	ds_read2_b64 v[0:3], v131 offset0:25 offset1:26
	ds_read2_b64 v[4:7], v131 offset0:27 offset1:28
	;; [unrolled: 1-line block ×8, first 2 shown]
	s_and_b64 vcc, exec, s[16:17]
	s_waitcnt vmcnt(44) lgkmcnt(7)
	v_mul_f32_e32 v90, v0, v96
	s_waitcnt vmcnt(43)
	v_mul_f32_e32 v97, v2, v100
	s_waitcnt vmcnt(42) lgkmcnt(6)
	v_mul_f32_e32 v98, v4, v102
	s_waitcnt vmcnt(41)
	v_mul_f32_e32 v99, v6, v104
	;; [unrolled: 4-line block ×6, first 2 shown]
	s_waitcnt vmcnt(32) lgkmcnt(1)
	v_mul_f32_e32 v138, v74, v113
	s_waitcnt vmcnt(31)
	v_fmac_f32_e32 v90, v1, v114
	s_waitcnt vmcnt(30)
	v_fmac_f32_e32 v97, v3, v115
	v_add_f32_e32 v90, 0, v90
	s_waitcnt vmcnt(29)
	v_fmac_f32_e32 v98, v5, v116
	v_add_f32_e32 v90, v90, v97
	;; [unrolled: 3-line block ×12, first 2 shown]
	v_add_f32_e32 v97, v90, v138
	buffer_load_dword v99, off, s[0:3], 0 offset:172
	buffer_load_dword v98, off, s[0:3], 0 offset:168
	;; [unrolled: 1-line block ×3, first 2 shown]
	v_mul_f32_e32 v1, v1, v96
	v_fma_f32 v0, v0, v114, -v1
	v_mul_f32_e32 v1, v3, v100
	v_add_f32_e32 v0, 0, v0
	v_fma_f32 v1, v2, v115, -v1
	v_add_f32_e32 v0, v0, v1
	v_mul_f32_e32 v1, v5, v102
	v_fma_f32 v1, v4, v116, -v1
	v_add_f32_e32 v0, v0, v1
	v_mul_f32_e32 v1, v7, v104
	;; [unrolled: 3-line block ×11, first 2 shown]
	v_fma_f32 v1, v74, v126, -v1
	v_add_f32_e32 v96, v0, v1
	s_waitcnt vmcnt(21)
	v_mul_f32_e32 v0, v77, v127
	s_waitcnt vmcnt(9)
	v_mov_b32_e32 v66, v89
	v_mul_f32_e32 v101, v76, v127
	v_fma_f32 v100, v76, v128, -v0
	s_waitcnt lgkmcnt(0)
	v_mul_f32_e32 v0, v79, v129
	v_pk_mul_f32 v[66:67], v[80:81], v[66:67] op_sel_hi:[1,0]
	v_fmac_f32_e32 v101, v77, v128
	v_mul_f32_e32 v103, v78, v129
	v_fma_f32 v102, v78, v130, -v0
	ds_read2_b64 v[0:3], v131 offset0:41 offset1:42
	ds_read2_b64 v[4:7], v131 offset0:43 offset1:44
	;; [unrolled: 1-line block ×3, first 2 shown]
	ds_read_b64 v[62:63], v131 offset:376
	s_waitcnt vmcnt(8)
	v_pk_fma_f32 v[68:69], v[80:81], v[88:89], v[66:67] op_sel:[0,0,1] op_sel_hi:[1,1,0] neg_lo:[0,0,1] neg_hi:[0,0,1]
	v_pk_fma_f32 v[66:67], v[80:81], v[88:89], v[66:67] op_sel:[0,0,1] op_sel_hi:[1,0,0]
	v_fmac_f32_e32 v103, v79, v130
	v_pk_add_f32 v[64:65], v[96:97], v[100:101]
	v_mov_b32_e32 v66, v87
	v_pk_add_f32 v[64:65], v[64:65], v[102:103]
	v_mov_b32_e32 v69, v67
	s_waitcnt lgkmcnt(3)
	v_pk_mul_f32 v[66:67], v[0:1], v[66:67] op_sel_hi:[1,0]
	v_pk_add_f32 v[64:65], v[64:65], v[68:69]
	v_pk_fma_f32 v[68:69], v[0:1], v[86:87], v[66:67] op_sel:[0,0,1] op_sel_hi:[1,1,0] neg_lo:[0,0,1] neg_hi:[0,0,1]
	v_pk_fma_f32 v[0:1], v[0:1], v[86:87], v[66:67] op_sel:[0,0,1] op_sel_hi:[1,0,0]
	v_mov_b32_e32 v69, v1
	v_pk_add_f32 v[0:1], v[64:65], v[68:69]
	v_mov_b32_e32 v64, v85
	v_pk_mul_f32 v[64:65], v[2:3], v[64:65] op_sel_hi:[1,0]
	v_pk_fma_f32 v[66:67], v[2:3], v[84:85], v[64:65] op_sel:[0,0,1] op_sel_hi:[1,1,0] neg_lo:[0,0,1] neg_hi:[0,0,1]
	v_pk_fma_f32 v[2:3], v[2:3], v[84:85], v[64:65] op_sel:[0,0,1] op_sel_hi:[1,0,0]
	v_mov_b32_e32 v2, v83
	v_mov_b32_e32 v67, v3
	s_waitcnt lgkmcnt(2)
	v_pk_mul_f32 v[2:3], v[4:5], v[2:3] op_sel_hi:[1,0]
	v_pk_fma_f32 v[64:65], v[4:5], v[82:83], v[2:3] op_sel:[0,0,1] op_sel_hi:[1,1,0] neg_lo:[0,0,1] neg_hi:[0,0,1]
	v_pk_fma_f32 v[2:3], v[4:5], v[82:83], v[2:3] op_sel:[0,0,1] op_sel_hi:[1,0,0]
	s_waitcnt vmcnt(7)
	v_mov_b32_e32 v2, v91
	v_mov_b32_e32 v65, v3
	v_pk_mul_f32 v[2:3], v[6:7], v[2:3] op_sel_hi:[1,0]
	v_pk_add_f32 v[0:1], v[0:1], v[66:67]
	v_pk_add_f32 v[0:1], v[0:1], v[64:65]
	s_waitcnt vmcnt(0)
	v_pk_fma_f32 v[4:5], v[6:7], v[90:91], v[2:3] op_sel:[0,0,1] op_sel_hi:[1,1,0] neg_lo:[0,0,1] neg_hi:[0,0,1]
	v_pk_fma_f32 v[2:3], v[6:7], v[90:91], v[2:3] op_sel:[0,0,1] op_sel_hi:[1,0,0]
	v_mov_b32_e32 v2, v99
	v_mov_b32_e32 v5, v3
	s_waitcnt lgkmcnt(1)
	v_pk_mul_f32 v[2:3], v[8:9], v[2:3] op_sel_hi:[1,0]
	v_pk_add_f32 v[0:1], v[0:1], v[4:5]
	v_pk_fma_f32 v[4:5], v[8:9], v[98:99], v[2:3] op_sel:[0,0,1] op_sel_hi:[1,1,0] neg_lo:[0,0,1] neg_hi:[0,0,1]
	v_pk_fma_f32 v[2:3], v[8:9], v[98:99], v[2:3] op_sel:[0,0,1] op_sel_hi:[1,0,0]
	v_mov_b32_e32 v2, v95
	v_mov_b32_e32 v5, v3
	v_pk_mul_f32 v[2:3], v[10:11], v[2:3] op_sel_hi:[1,0]
	v_pk_add_f32 v[0:1], v[0:1], v[4:5]
	v_pk_fma_f32 v[4:5], v[10:11], v[94:95], v[2:3] op_sel:[0,0,1] op_sel_hi:[1,1,0] neg_lo:[0,0,1] neg_hi:[0,0,1]
	v_pk_fma_f32 v[2:3], v[10:11], v[94:95], v[2:3] op_sel:[0,0,1] op_sel_hi:[1,0,0]
	v_mov_b32_e32 v2, v93
	v_mov_b32_e32 v5, v3
	s_waitcnt lgkmcnt(0)
	v_pk_mul_f32 v[2:3], v[62:63], v[2:3] op_sel_hi:[1,0]
	v_pk_add_f32 v[0:1], v[0:1], v[4:5]
	v_pk_fma_f32 v[4:5], v[62:63], v[92:93], v[2:3] op_sel:[0,0,1] op_sel_hi:[1,1,0] neg_lo:[0,0,1] neg_hi:[0,0,1]
	v_pk_fma_f32 v[2:3], v[62:63], v[92:93], v[2:3] op_sel:[0,0,1] op_sel_hi:[1,0,0]
	v_mov_b32_e32 v5, v3
	v_pk_add_f32 v[0:1], v[0:1], v[4:5]
	v_pk_add_f32 v[0:1], v[12:13], v[0:1] neg_lo:[0,1] neg_hi:[0,1]
	buffer_store_dword v1, off, s[0:3], 0 offset:4
	buffer_store_dword v0, off, s[0:3], 0
	s_cbranch_vccz .LBB87_205
; %bb.158:
	v_pk_mov_b32 v[0:1], s[10:11], s[10:11] op_sel:[0,1]
	flat_load_dword v0, v[0:1] offset:88
	s_waitcnt vmcnt(0) lgkmcnt(0)
	v_add_u32_e32 v0, -1, v0
	v_cmp_ne_u32_e32 vcc, 22, v0
	s_and_saveexec_b64 s[4:5], vcc
	s_cbranch_execz .LBB87_160
; %bb.159:
	v_mov_b32_e32 v1, 0
	v_lshl_add_u32 v0, v0, 3, v1
	buffer_load_dword v1, v0, s[0:3], 0 offen
	buffer_load_dword v2, v0, s[0:3], 0 offen offset:4
	buffer_load_dword v3, off, s[0:3], 0 offset:180
	buffer_load_dword v4, off, s[0:3], 0 offset:176
	s_waitcnt vmcnt(3)
	buffer_store_dword v1, off, s[0:3], 0 offset:176
	s_waitcnt vmcnt(3)
	buffer_store_dword v2, off, s[0:3], 0 offset:180
	s_waitcnt vmcnt(3)
	buffer_store_dword v3, v0, s[0:3], 0 offen offset:4
	s_waitcnt vmcnt(3)
	buffer_store_dword v4, v0, s[0:3], 0 offen
.LBB87_160:
	s_or_b64 exec, exec, s[4:5]
	v_pk_mov_b32 v[0:1], s[10:11], s[10:11] op_sel:[0,1]
	flat_load_dword v0, v[0:1] offset:84
	s_waitcnt vmcnt(0) lgkmcnt(0)
	v_add_u32_e32 v0, -1, v0
	v_cmp_ne_u32_e32 vcc, 21, v0
	s_and_saveexec_b64 s[4:5], vcc
	s_cbranch_execz .LBB87_162
; %bb.161:
	v_mov_b32_e32 v1, 0
	v_lshl_add_u32 v0, v0, 3, v1
	buffer_load_dword v1, v0, s[0:3], 0 offen
	buffer_load_dword v2, v0, s[0:3], 0 offen offset:4
	buffer_load_dword v3, off, s[0:3], 0 offset:168
	buffer_load_dword v4, off, s[0:3], 0 offset:172
	s_waitcnt vmcnt(3)
	buffer_store_dword v1, off, s[0:3], 0 offset:168
	s_waitcnt vmcnt(3)
	buffer_store_dword v2, off, s[0:3], 0 offset:172
	s_waitcnt vmcnt(3)
	buffer_store_dword v3, v0, s[0:3], 0 offen
	s_waitcnt vmcnt(3)
	buffer_store_dword v4, v0, s[0:3], 0 offen offset:4
.LBB87_162:
	s_or_b64 exec, exec, s[4:5]
	v_pk_mov_b32 v[0:1], s[10:11], s[10:11] op_sel:[0,1]
	flat_load_dword v0, v[0:1] offset:80
	s_waitcnt vmcnt(0) lgkmcnt(0)
	v_add_u32_e32 v0, -1, v0
	v_cmp_ne_u32_e32 vcc, 20, v0
	s_and_saveexec_b64 s[4:5], vcc
	s_cbranch_execz .LBB87_164
; %bb.163:
	v_mov_b32_e32 v1, 0
	v_lshl_add_u32 v0, v0, 3, v1
	buffer_load_dword v1, v0, s[0:3], 0 offen
	buffer_load_dword v2, v0, s[0:3], 0 offen offset:4
	buffer_load_dword v3, off, s[0:3], 0 offset:164
	buffer_load_dword v4, off, s[0:3], 0 offset:160
	s_waitcnt vmcnt(3)
	buffer_store_dword v1, off, s[0:3], 0 offset:160
	s_waitcnt vmcnt(3)
	buffer_store_dword v2, off, s[0:3], 0 offset:164
	s_waitcnt vmcnt(3)
	buffer_store_dword v3, v0, s[0:3], 0 offen offset:4
	s_waitcnt vmcnt(3)
	buffer_store_dword v4, v0, s[0:3], 0 offen
.LBB87_164:
	s_or_b64 exec, exec, s[4:5]
	v_pk_mov_b32 v[0:1], s[10:11], s[10:11] op_sel:[0,1]
	flat_load_dword v0, v[0:1] offset:76
	s_waitcnt vmcnt(0) lgkmcnt(0)
	v_add_u32_e32 v0, -1, v0
	v_cmp_ne_u32_e32 vcc, 19, v0
	s_and_saveexec_b64 s[4:5], vcc
	s_cbranch_execz .LBB87_166
; %bb.165:
	v_mov_b32_e32 v1, 0
	v_lshl_add_u32 v0, v0, 3, v1
	buffer_load_dword v1, v0, s[0:3], 0 offen
	buffer_load_dword v2, v0, s[0:3], 0 offen offset:4
	buffer_load_dword v3, off, s[0:3], 0 offset:152
	buffer_load_dword v4, off, s[0:3], 0 offset:156
	s_waitcnt vmcnt(3)
	buffer_store_dword v1, off, s[0:3], 0 offset:152
	s_waitcnt vmcnt(3)
	buffer_store_dword v2, off, s[0:3], 0 offset:156
	s_waitcnt vmcnt(3)
	buffer_store_dword v3, v0, s[0:3], 0 offen
	s_waitcnt vmcnt(3)
	buffer_store_dword v4, v0, s[0:3], 0 offen offset:4
.LBB87_166:
	s_or_b64 exec, exec, s[4:5]
	;; [unrolled: 48-line block ×11, first 2 shown]
	v_pk_mov_b32 v[0:1], s[10:11], s[10:11] op_sel:[0,1]
	flat_load_dword v2, v[0:1]
	s_nop 0
	buffer_load_dword v0, off, s[0:3], 0
	buffer_load_dword v1, off, s[0:3], 0 offset:4
	s_waitcnt vmcnt(0) lgkmcnt(0)
	v_add_u32_e32 v2, -1, v2
	v_cmp_ne_u32_e32 vcc, 0, v2
	s_and_saveexec_b64 s[4:5], vcc
	s_cbranch_execz .LBB87_204
; %bb.203:
	v_mov_b32_e32 v3, 0
	v_lshl_add_u32 v2, v2, 3, v3
	buffer_load_dword v3, v2, s[0:3], 0 offen offset:4
	buffer_load_dword v4, v2, s[0:3], 0 offen
	s_waitcnt vmcnt(1)
	buffer_store_dword v3, off, s[0:3], 0 offset:4
	s_waitcnt vmcnt(1)
	buffer_store_dword v4, off, s[0:3], 0
	buffer_store_dword v1, v2, s[0:3], 0 offen offset:4
	buffer_store_dword v0, v2, s[0:3], 0 offen
	buffer_load_dword v0, off, s[0:3], 0
	s_nop 0
	buffer_load_dword v1, off, s[0:3], 0 offset:4
.LBB87_204:
	s_or_b64 exec, exec, s[4:5]
.LBB87_205:
	buffer_load_dword v2, off, s[0:3], 0 offset:8
	buffer_load_dword v3, off, s[0:3], 0 offset:12
	;; [unrolled: 1-line block ×46, first 2 shown]
	s_waitcnt vmcnt(46)
	global_store_dwordx2 v[14:15], v[0:1], off
	s_waitcnt vmcnt(45)
	global_store_dwordx2 v[16:17], v[2:3], off
	;; [unrolled: 2-line block ×24, first 2 shown]
	s_endpgm
	.section	.rodata,"a",@progbits
	.p2align	6, 0x0
	.amdhsa_kernel _ZN9rocsolver6v33100L18getri_kernel_smallILi24E19rocblas_complex_numIfEPKPS3_EEvT1_iilPiilS8_bb
		.amdhsa_group_segment_fixed_size 388
		.amdhsa_private_segment_fixed_size 208
		.amdhsa_kernarg_size 60
		.amdhsa_user_sgpr_count 8
		.amdhsa_user_sgpr_private_segment_buffer 1
		.amdhsa_user_sgpr_dispatch_ptr 0
		.amdhsa_user_sgpr_queue_ptr 0
		.amdhsa_user_sgpr_kernarg_segment_ptr 1
		.amdhsa_user_sgpr_dispatch_id 0
		.amdhsa_user_sgpr_flat_scratch_init 1
		.amdhsa_user_sgpr_kernarg_preload_length 0
		.amdhsa_user_sgpr_kernarg_preload_offset 0
		.amdhsa_user_sgpr_private_segment_size 0
		.amdhsa_uses_dynamic_stack 0
		.amdhsa_system_sgpr_private_segment_wavefront_offset 1
		.amdhsa_system_sgpr_workgroup_id_x 1
		.amdhsa_system_sgpr_workgroup_id_y 0
		.amdhsa_system_sgpr_workgroup_id_z 0
		.amdhsa_system_sgpr_workgroup_info 0
		.amdhsa_system_vgpr_workitem_id 0
		.amdhsa_next_free_vgpr 142
		.amdhsa_next_free_sgpr 22
		.amdhsa_accum_offset 144
		.amdhsa_reserve_vcc 1
		.amdhsa_reserve_flat_scratch 1
		.amdhsa_float_round_mode_32 0
		.amdhsa_float_round_mode_16_64 0
		.amdhsa_float_denorm_mode_32 3
		.amdhsa_float_denorm_mode_16_64 3
		.amdhsa_dx10_clamp 1
		.amdhsa_ieee_mode 1
		.amdhsa_fp16_overflow 0
		.amdhsa_tg_split 0
		.amdhsa_exception_fp_ieee_invalid_op 0
		.amdhsa_exception_fp_denorm_src 0
		.amdhsa_exception_fp_ieee_div_zero 0
		.amdhsa_exception_fp_ieee_overflow 0
		.amdhsa_exception_fp_ieee_underflow 0
		.amdhsa_exception_fp_ieee_inexact 0
		.amdhsa_exception_int_div_zero 0
	.end_amdhsa_kernel
	.section	.text._ZN9rocsolver6v33100L18getri_kernel_smallILi24E19rocblas_complex_numIfEPKPS3_EEvT1_iilPiilS8_bb,"axG",@progbits,_ZN9rocsolver6v33100L18getri_kernel_smallILi24E19rocblas_complex_numIfEPKPS3_EEvT1_iilPiilS8_bb,comdat
.Lfunc_end87:
	.size	_ZN9rocsolver6v33100L18getri_kernel_smallILi24E19rocblas_complex_numIfEPKPS3_EEvT1_iilPiilS8_bb, .Lfunc_end87-_ZN9rocsolver6v33100L18getri_kernel_smallILi24E19rocblas_complex_numIfEPKPS3_EEvT1_iilPiilS8_bb
                                        ; -- End function
	.section	.AMDGPU.csdata,"",@progbits
; Kernel info:
; codeLenInByte = 30824
; NumSgprs: 28
; NumVgprs: 142
; NumAgprs: 0
; TotalNumVgprs: 142
; ScratchSize: 208
; MemoryBound: 0
; FloatMode: 240
; IeeeMode: 1
; LDSByteSize: 388 bytes/workgroup (compile time only)
; SGPRBlocks: 3
; VGPRBlocks: 17
; NumSGPRsForWavesPerEU: 28
; NumVGPRsForWavesPerEU: 142
; AccumOffset: 144
; Occupancy: 3
; WaveLimiterHint : 1
; COMPUTE_PGM_RSRC2:SCRATCH_EN: 1
; COMPUTE_PGM_RSRC2:USER_SGPR: 8
; COMPUTE_PGM_RSRC2:TRAP_HANDLER: 0
; COMPUTE_PGM_RSRC2:TGID_X_EN: 1
; COMPUTE_PGM_RSRC2:TGID_Y_EN: 0
; COMPUTE_PGM_RSRC2:TGID_Z_EN: 0
; COMPUTE_PGM_RSRC2:TIDIG_COMP_CNT: 0
; COMPUTE_PGM_RSRC3_GFX90A:ACCUM_OFFSET: 35
; COMPUTE_PGM_RSRC3_GFX90A:TG_SPLIT: 0
	.section	.text._ZN9rocsolver6v33100L18getri_kernel_smallILi25E19rocblas_complex_numIfEPKPS3_EEvT1_iilPiilS8_bb,"axG",@progbits,_ZN9rocsolver6v33100L18getri_kernel_smallILi25E19rocblas_complex_numIfEPKPS3_EEvT1_iilPiilS8_bb,comdat
	.globl	_ZN9rocsolver6v33100L18getri_kernel_smallILi25E19rocblas_complex_numIfEPKPS3_EEvT1_iilPiilS8_bb ; -- Begin function _ZN9rocsolver6v33100L18getri_kernel_smallILi25E19rocblas_complex_numIfEPKPS3_EEvT1_iilPiilS8_bb
	.p2align	8
	.type	_ZN9rocsolver6v33100L18getri_kernel_smallILi25E19rocblas_complex_numIfEPKPS3_EEvT1_iilPiilS8_bb,@function
_ZN9rocsolver6v33100L18getri_kernel_smallILi25E19rocblas_complex_numIfEPKPS3_EEvT1_iilPiilS8_bb: ; @_ZN9rocsolver6v33100L18getri_kernel_smallILi25E19rocblas_complex_numIfEPKPS3_EEvT1_iilPiilS8_bb
; %bb.0:
	s_add_u32 flat_scratch_lo, s6, s9
	s_addc_u32 flat_scratch_hi, s7, 0
	s_add_u32 s0, s0, s9
	s_addc_u32 s1, s1, 0
	v_cmp_gt_u32_e32 vcc, 25, v0
	s_and_saveexec_b64 s[6:7], vcc
	s_cbranch_execz .LBB88_114
; %bb.1:
	s_load_dword s18, s[4:5], 0x38
	s_load_dwordx2 s[6:7], s[4:5], 0x0
	s_load_dwordx4 s[12:15], s[4:5], 0x28
	s_waitcnt lgkmcnt(0)
	s_bitcmp1_b32 s18, 8
	s_cselect_b64 s[16:17], -1, 0
	s_ashr_i32 s9, s8, 31
	s_lshl_b64 s[10:11], s[8:9], 3
	s_add_u32 s6, s6, s10
	s_addc_u32 s7, s7, s11
	s_load_dwordx2 s[6:7], s[6:7], 0x0
	s_bfe_u32 s10, s18, 0x10008
	s_cmp_eq_u32 s10, 0
                                        ; implicit-def: $sgpr10_sgpr11
	s_cbranch_scc1 .LBB88_3
; %bb.2:
	s_load_dword s10, s[4:5], 0x20
	s_load_dwordx2 s[20:21], s[4:5], 0x18
	s_mul_i32 s11, s8, s13
	s_mul_hi_u32 s13, s8, s12
	s_add_i32 s13, s13, s11
	s_mul_i32 s19, s9, s12
	s_add_i32 s13, s13, s19
	s_mul_i32 s12, s8, s12
	s_waitcnt lgkmcnt(0)
	s_ashr_i32 s11, s10, 31
	s_lshl_b64 s[12:13], s[12:13], 2
	s_add_u32 s12, s20, s12
	s_addc_u32 s13, s21, s13
	s_lshl_b64 s[10:11], s[10:11], 2
	s_add_u32 s10, s12, s10
	s_addc_u32 s11, s13, s11
.LBB88_3:
	s_load_dwordx2 s[4:5], s[4:5], 0x8
	v_lshlrev_b32_e32 v70, 3, v0
	s_waitcnt lgkmcnt(0)
	s_ashr_i32 s13, s4, 31
	s_mov_b32 s12, s4
	s_lshl_b64 s[12:13], s[12:13], 3
	s_add_u32 s6, s6, s12
	s_addc_u32 s7, s7, s13
	v_mov_b32_e32 v1, s7
	v_add_co_u32_e32 v10, vcc, s6, v70
	s_ashr_i32 s13, s5, 31
	s_mov_b32 s12, s5
	s_add_i32 s4, s5, s5
	v_addc_co_u32_e32 v11, vcc, 0, v1, vcc
	s_lshl_b64 s[12:13], s[12:13], 3
	v_add_u32_e32 v4, s4, v0
	v_mov_b32_e32 v1, s13
	v_add_co_u32_e32 v12, vcc, s12, v10
	v_ashrrev_i32_e32 v5, 31, v4
	v_addc_co_u32_e32 v13, vcc, v11, v1, vcc
	v_lshlrev_b64 v[6:7], 3, v[4:5]
	v_add_u32_e32 v4, s5, v4
	v_mov_b32_e32 v1, s7
	v_add_co_u32_e32 v14, vcc, s6, v6
	v_ashrrev_i32_e32 v5, 31, v4
	v_addc_co_u32_e32 v15, vcc, v1, v7, vcc
	v_lshlrev_b64 v[6:7], 3, v[4:5]
	v_add_u32_e32 v20, s5, v4
	v_add_co_u32_e32 v16, vcc, s6, v6
	v_ashrrev_i32_e32 v21, 31, v20
	v_addc_co_u32_e32 v17, vcc, v1, v7, vcc
	v_lshlrev_b64 v[4:5], 3, v[20:21]
	v_add_u32_e32 v22, s5, v20
	;; [unrolled: 5-line block ×20, first 2 shown]
	v_add_co_u32_e32 v54, vcc, s6, v54
	v_ashrrev_i32_e32 v59, 31, v58
	v_addc_co_u32_e32 v55, vcc, v1, v55, vcc
	v_lshlrev_b64 v[56:57], 3, v[58:59]
	v_add_co_u32_e32 v56, vcc, s6, v56
	global_load_dwordx2 v[2:3], v70, s[6:7]
	global_load_dwordx2 v[60:61], v[12:13], off
	global_load_dwordx2 v[6:7], v[14:15], off
	;; [unrolled: 1-line block ×20, first 2 shown]
	v_addc_co_u32_e32 v57, vcc, v1, v57, vcc
	global_load_dwordx2 v[96:97], v[52:53], off
	global_load_dwordx2 v[98:99], v[54:55], off
	;; [unrolled: 1-line block ×3, first 2 shown]
	v_add_u32_e32 v58, s5, v58
	v_ashrrev_i32_e32 v59, 31, v58
	v_lshlrev_b64 v[58:59], 3, v[58:59]
	v_add_co_u32_e32 v58, vcc, s6, v58
	v_addc_co_u32_e32 v59, vcc, v1, v59, vcc
	global_load_dwordx2 v[102:103], v[58:59], off
	s_bitcmp0_b32 s18, 0
	s_mov_b64 s[6:7], -1
	s_waitcnt vmcnt(24)
	buffer_store_dword v3, off, s[0:3], 0 offset:4
	buffer_store_dword v2, off, s[0:3], 0
	s_waitcnt vmcnt(25)
	buffer_store_dword v61, off, s[0:3], 0 offset:12
	buffer_store_dword v60, off, s[0:3], 0 offset:8
	s_waitcnt vmcnt(26)
	buffer_store_dword v7, off, s[0:3], 0 offset:20
	buffer_store_dword v6, off, s[0:3], 0 offset:16
	;; [unrolled: 3-line block ×24, first 2 shown]
	s_cbranch_scc1 .LBB88_112
; %bb.4:
	v_cmp_eq_u32_e64 s[4:5], 0, v0
	s_and_saveexec_b64 s[6:7], s[4:5]
	s_cbranch_execz .LBB88_6
; %bb.5:
	v_mov_b32_e32 v1, 0
	ds_write_b32 v1, v1 offset:200
.LBB88_6:
	s_or_b64 exec, exec, s[6:7]
	v_mov_b32_e32 v1, 0
	v_lshl_add_u32 v6, v0, 3, v1
	s_waitcnt lgkmcnt(0)
	; wave barrier
	s_waitcnt lgkmcnt(0)
	buffer_load_dword v1, v6, s[0:3], 0 offen
	buffer_load_dword v2, v6, s[0:3], 0 offen offset:4
	s_waitcnt vmcnt(1)
	v_cmp_eq_f32_e32 vcc, 0, v1
	s_waitcnt vmcnt(0)
	v_cmp_eq_f32_e64 s[6:7], 0, v2
	s_and_b64 s[6:7], vcc, s[6:7]
	s_and_saveexec_b64 s[12:13], s[6:7]
	s_cbranch_execz .LBB88_10
; %bb.7:
	v_mov_b32_e32 v1, 0
	ds_read_b32 v3, v1 offset:200
	v_add_u32_e32 v2, 1, v0
	s_waitcnt lgkmcnt(0)
	v_readfirstlane_b32 s6, v3
	s_cmp_eq_u32 s6, 0
	s_cselect_b64 s[18:19], -1, 0
	v_cmp_gt_i32_e32 vcc, s6, v2
	s_or_b64 s[18:19], s[18:19], vcc
	s_and_b64 exec, exec, s[18:19]
	s_cbranch_execz .LBB88_10
; %bb.8:
	s_mov_b64 s[18:19], 0
	v_mov_b32_e32 v3, s6
.LBB88_9:                               ; =>This Inner Loop Header: Depth=1
	ds_cmpst_rtn_b32 v3, v1, v3, v2 offset:200
	s_waitcnt lgkmcnt(0)
	v_cmp_ne_u32_e32 vcc, 0, v3
	v_cmp_le_i32_e64 s[6:7], v3, v2
	s_and_b64 s[6:7], vcc, s[6:7]
	s_and_b64 s[6:7], exec, s[6:7]
	s_or_b64 s[18:19], s[6:7], s[18:19]
	s_andn2_b64 exec, exec, s[18:19]
	s_cbranch_execnz .LBB88_9
.LBB88_10:
	s_or_b64 exec, exec, s[12:13]
	v_mov_b32_e32 v2, 0
	s_waitcnt lgkmcnt(0)
	; wave barrier
	ds_read_b32 v1, v2 offset:200
	s_and_saveexec_b64 s[6:7], s[4:5]
	s_cbranch_execz .LBB88_12
; %bb.11:
	s_lshl_b64 s[12:13], s[8:9], 2
	s_add_u32 s12, s14, s12
	s_addc_u32 s13, s15, s13
	s_waitcnt lgkmcnt(0)
	global_store_dword v2, v1, s[12:13]
.LBB88_12:
	s_or_b64 exec, exec, s[6:7]
	s_waitcnt lgkmcnt(0)
	v_cmp_ne_u32_e32 vcc, 0, v1
	s_mov_b64 s[6:7], 0
	s_cbranch_vccnz .LBB88_112
; %bb.13:
	buffer_load_dword v7, v6, s[0:3], 0 offen offset:4
	buffer_load_dword v3, v6, s[0:3], 0 offen
	s_waitcnt vmcnt(1)
	v_cmp_gt_f32_e32 vcc, 0, v7
	v_cndmask_b32_e64 v1, v7, -v7, vcc
	s_waitcnt vmcnt(0)
	v_cmp_gt_f32_e32 vcc, 0, v3
	v_cndmask_b32_e64 v2, v3, -v3, vcc
	v_cmp_ngt_f32_e32 vcc, v2, v1
                                        ; implicit-def: $vgpr1
                                        ; implicit-def: $vgpr2
	s_and_saveexec_b64 s[6:7], vcc
	s_xor_b64 s[6:7], exec, s[6:7]
                                        ; implicit-def: $vgpr4_vgpr5
	s_cbranch_execz .LBB88_15
; %bb.14:
	v_div_scale_f32 v1, s[12:13], v7, v7, v3
	v_rcp_f32_e32 v2, v1
	v_div_scale_f32 v4, vcc, v3, v7, v3
	v_fma_f32 v5, -v1, v2, 1.0
	v_fmac_f32_e32 v2, v5, v2
	v_mul_f32_e32 v5, v4, v2
	v_fma_f32 v8, -v1, v5, v4
	v_fmac_f32_e32 v5, v8, v2
	v_fma_f32 v1, -v1, v5, v4
	v_div_fmas_f32 v1, v1, v2, v5
	v_div_fixup_f32 v2, v1, v7, v3
	v_fmac_f32_e32 v7, v3, v2
	v_div_scale_f32 v1, s[12:13], v7, v7, -1.0
	v_rcp_f32_e32 v3, v1
	v_fma_f32 v4, -v1, v3, 1.0
	v_fmac_f32_e32 v3, v4, v3
	v_div_scale_f32 v4, vcc, -1.0, v7, -1.0
	v_mul_f32_e32 v5, v4, v3
	v_fma_f32 v8, -v1, v5, v4
	v_fmac_f32_e32 v5, v8, v3
	v_fma_f32 v1, -v1, v5, v4
	v_div_fmas_f32 v1, v1, v3, v5
	v_div_fixup_f32 v1, v1, v7, -1.0
	v_mul_f32_e32 v2, v2, v1
	v_xor_b32_e32 v4, 0x80000000, v2
                                        ; implicit-def: $vgpr3
                                        ; implicit-def: $vgpr7
.LBB88_15:
	s_andn2_saveexec_b64 s[6:7], s[6:7]
	s_cbranch_execz .LBB88_17
; %bb.16:
	v_div_scale_f32 v1, s[12:13], v3, v3, v7
	v_rcp_f32_e32 v2, v1
	v_div_scale_f32 v4, vcc, v7, v3, v7
	v_fma_f32 v5, -v1, v2, 1.0
	v_fmac_f32_e32 v2, v5, v2
	v_mul_f32_e32 v5, v4, v2
	v_fma_f32 v8, -v1, v5, v4
	v_fmac_f32_e32 v5, v8, v2
	v_fma_f32 v1, -v1, v5, v4
	v_div_fmas_f32 v1, v1, v2, v5
	v_div_fixup_f32 v1, v1, v3, v7
	v_fmac_f32_e32 v3, v7, v1
	v_div_scale_f32 v2, s[12:13], v3, v3, 1.0
	v_rcp_f32_e32 v4, v2
	v_fma_f32 v5, -v2, v4, 1.0
	v_fmac_f32_e32 v4, v5, v4
	v_div_scale_f32 v5, vcc, 1.0, v3, 1.0
	v_mul_f32_e32 v7, v5, v4
	v_fma_f32 v8, -v2, v7, v5
	v_fmac_f32_e32 v7, v8, v4
	v_fma_f32 v2, -v2, v7, v5
	v_div_fmas_f32 v2, v2, v4, v7
	v_div_fixup_f32 v4, v2, v3, 1.0
	v_xor_b32_e32 v2, 0x80000000, v4
	v_mul_f32_e64 v1, v1, -v4
.LBB88_17:
	s_or_b64 exec, exec, s[6:7]
	buffer_store_dword v1, v6, s[0:3], 0 offen offset:4
	buffer_store_dword v4, v6, s[0:3], 0 offen
	buffer_load_dword v5, off, s[0:3], 0 offset:12
	s_nop 0
	buffer_load_dword v4, off, s[0:3], 0 offset:8
	v_xor_b32_e32 v3, 0x80000000, v1
	v_add_u32_e32 v1, 0xd0, v70
	s_waitcnt vmcnt(0)
	ds_write2_b64 v70, v[2:3], v[4:5] offset1:26
	s_waitcnt lgkmcnt(0)
	; wave barrier
	s_waitcnt lgkmcnt(0)
	s_and_saveexec_b64 s[6:7], s[4:5]
	s_cbranch_execz .LBB88_19
; %bb.18:
	buffer_load_dword v7, v6, s[0:3], 0 offen offset:4
	buffer_load_dword v8, v6, s[0:3], 0 offen
	ds_read_b64 v[2:3], v1
	v_mov_b32_e32 v4, 0
	ds_read_b64 v[4:5], v4 offset:8
	s_waitcnt vmcnt(1) lgkmcnt(1)
	v_mul_f32_e32 v9, v3, v7
	v_mul_f32_e32 v7, v2, v7
	s_waitcnt vmcnt(0)
	v_fmac_f32_e32 v7, v3, v8
	v_fma_f32 v2, v2, v8, -v9
	v_add_f32_e32 v3, 0, v7
	v_add_f32_e32 v2, 0, v2
	s_waitcnt lgkmcnt(0)
	v_mul_f32_e32 v7, v3, v5
	v_mul_f32_e32 v5, v2, v5
	v_fma_f32 v2, v2, v4, -v7
	v_fmac_f32_e32 v5, v3, v4
	buffer_store_dword v2, off, s[0:3], 0 offset:8
	buffer_store_dword v5, off, s[0:3], 0 offset:12
.LBB88_19:
	s_or_b64 exec, exec, s[6:7]
	s_waitcnt lgkmcnt(0)
	; wave barrier
	buffer_load_dword v2, off, s[0:3], 0 offset:16
	buffer_load_dword v3, off, s[0:3], 0 offset:20
	v_cmp_gt_u32_e32 vcc, 2, v0
	s_waitcnt vmcnt(0)
	ds_write_b64 v1, v[2:3]
	s_waitcnt lgkmcnt(0)
	; wave barrier
	s_waitcnt lgkmcnt(0)
	s_and_saveexec_b64 s[6:7], vcc
	s_cbranch_execz .LBB88_23
; %bb.20:
	buffer_load_dword v4, v6, s[0:3], 0 offen offset:4
	buffer_load_dword v5, v6, s[0:3], 0 offen
	ds_read_b64 v[2:3], v1
	s_waitcnt vmcnt(1) lgkmcnt(0)
	v_mul_f32_e32 v6, v3, v4
	v_mul_f32_e32 v4, v2, v4
	s_waitcnt vmcnt(0)
	v_fma_f32 v2, v2, v5, -v6
	v_fmac_f32_e32 v4, v3, v5
	v_add_f32_e32 v3, 0, v2
	v_add_f32_e32 v2, 0, v4
	s_and_saveexec_b64 s[12:13], s[4:5]
	s_cbranch_execz .LBB88_22
; %bb.21:
	buffer_load_dword v6, off, s[0:3], 0 offset:12
	buffer_load_dword v7, off, s[0:3], 0 offset:8
	v_mov_b32_e32 v4, 0
	ds_read_b64 v[4:5], v4 offset:216
	s_waitcnt vmcnt(1) lgkmcnt(0)
	v_mul_f32_e32 v8, v4, v6
	v_mul_f32_e32 v6, v5, v6
	s_waitcnt vmcnt(0)
	v_fmac_f32_e32 v8, v5, v7
	v_fma_f32 v4, v4, v7, -v6
	v_add_f32_e32 v2, v2, v8
	v_add_f32_e32 v3, v3, v4
.LBB88_22:
	s_or_b64 exec, exec, s[12:13]
	v_mov_b32_e32 v4, 0
	ds_read_b64 v[4:5], v4 offset:16
	s_waitcnt lgkmcnt(0)
	v_mul_f32_e32 v6, v2, v5
	v_mul_f32_e32 v5, v3, v5
	v_fma_f32 v3, v3, v4, -v6
	v_fmac_f32_e32 v5, v2, v4
	buffer_store_dword v3, off, s[0:3], 0 offset:16
	buffer_store_dword v5, off, s[0:3], 0 offset:20
.LBB88_23:
	s_or_b64 exec, exec, s[6:7]
	s_waitcnt lgkmcnt(0)
	; wave barrier
	buffer_load_dword v2, off, s[0:3], 0 offset:24
	buffer_load_dword v3, off, s[0:3], 0 offset:28
	v_cmp_gt_u32_e32 vcc, 3, v0
	s_waitcnt vmcnt(0)
	ds_write_b64 v1, v[2:3]
	v_add_u32_e32 v2, -1, v0
	s_waitcnt lgkmcnt(0)
	; wave barrier
	s_waitcnt lgkmcnt(0)
	s_and_saveexec_b64 s[4:5], vcc
	s_cbranch_execz .LBB88_27
; %bb.24:
	v_add_u32_e32 v4, -1, v0
	v_add_u32_e32 v5, 0xd0, v70
	v_add_u32_e32 v6, 0, v70
	s_mov_b64 s[6:7], 0
	v_mov_b32_e32 v3, 0
	v_mov_b32_e32 v7, 0
.LBB88_25:                              ; =>This Inner Loop Header: Depth=1
	buffer_load_dword v60, v6, s[0:3], 0 offen offset:4
	buffer_load_dword v61, v6, s[0:3], 0 offen
	ds_read_b64 v[8:9], v5
	v_add_u32_e32 v4, 1, v4
	v_cmp_lt_u32_e32 vcc, 1, v4
	v_add_u32_e32 v5, 8, v5
	v_add_u32_e32 v6, 8, v6
	s_or_b64 s[6:7], vcc, s[6:7]
	s_waitcnt vmcnt(1) lgkmcnt(0)
	v_mul_f32_e32 v62, v9, v60
	v_mul_f32_e32 v60, v8, v60
	s_waitcnt vmcnt(0)
	v_fma_f32 v8, v8, v61, -v62
	v_fmac_f32_e32 v60, v9, v61
	v_add_f32_e32 v7, v7, v8
	v_add_f32_e32 v3, v3, v60
	s_andn2_b64 exec, exec, s[6:7]
	s_cbranch_execnz .LBB88_25
; %bb.26:
	s_or_b64 exec, exec, s[6:7]
	v_mov_b32_e32 v4, 0
	ds_read_b64 v[4:5], v4 offset:24
	s_waitcnt lgkmcnt(0)
	v_mul_f32_e32 v6, v3, v5
	v_mul_f32_e32 v5, v7, v5
	v_fma_f32 v6, v7, v4, -v6
	v_fmac_f32_e32 v5, v3, v4
	buffer_store_dword v6, off, s[0:3], 0 offset:24
	buffer_store_dword v5, off, s[0:3], 0 offset:28
.LBB88_27:
	s_or_b64 exec, exec, s[4:5]
	s_waitcnt lgkmcnt(0)
	; wave barrier
	buffer_load_dword v4, off, s[0:3], 0 offset:32
	buffer_load_dword v5, off, s[0:3], 0 offset:36
	v_cmp_gt_u32_e32 vcc, 4, v0
	s_waitcnt vmcnt(0)
	ds_write_b64 v1, v[4:5]
	s_waitcnt lgkmcnt(0)
	; wave barrier
	s_waitcnt lgkmcnt(0)
	s_and_saveexec_b64 s[4:5], vcc
	s_cbranch_execz .LBB88_31
; %bb.28:
	v_add_u32_e32 v4, -1, v0
	v_add_u32_e32 v5, 0xd0, v70
	v_add_u32_e32 v6, 0, v70
	s_mov_b64 s[6:7], 0
	v_mov_b32_e32 v3, 0
	v_mov_b32_e32 v7, 0
.LBB88_29:                              ; =>This Inner Loop Header: Depth=1
	buffer_load_dword v60, v6, s[0:3], 0 offen offset:4
	buffer_load_dword v61, v6, s[0:3], 0 offen
	ds_read_b64 v[8:9], v5
	v_add_u32_e32 v4, 1, v4
	v_cmp_lt_u32_e32 vcc, 2, v4
	v_add_u32_e32 v5, 8, v5
	v_add_u32_e32 v6, 8, v6
	s_or_b64 s[6:7], vcc, s[6:7]
	s_waitcnt vmcnt(1) lgkmcnt(0)
	v_mul_f32_e32 v62, v9, v60
	v_mul_f32_e32 v60, v8, v60
	s_waitcnt vmcnt(0)
	v_fma_f32 v8, v8, v61, -v62
	v_fmac_f32_e32 v60, v9, v61
	v_add_f32_e32 v7, v7, v8
	v_add_f32_e32 v3, v3, v60
	s_andn2_b64 exec, exec, s[6:7]
	s_cbranch_execnz .LBB88_29
; %bb.30:
	s_or_b64 exec, exec, s[6:7]
	v_mov_b32_e32 v4, 0
	ds_read_b64 v[4:5], v4 offset:32
	s_waitcnt lgkmcnt(0)
	v_mul_f32_e32 v6, v3, v5
	v_mul_f32_e32 v5, v7, v5
	v_fma_f32 v6, v7, v4, -v6
	v_fmac_f32_e32 v5, v3, v4
	buffer_store_dword v6, off, s[0:3], 0 offset:32
	buffer_store_dword v5, off, s[0:3], 0 offset:36
.LBB88_31:
	s_or_b64 exec, exec, s[4:5]
	s_waitcnt lgkmcnt(0)
	; wave barrier
	buffer_load_dword v4, off, s[0:3], 0 offset:40
	buffer_load_dword v5, off, s[0:3], 0 offset:44
	v_cmp_gt_u32_e32 vcc, 5, v0
	s_waitcnt vmcnt(0)
	ds_write_b64 v1, v[4:5]
	;; [unrolled: 51-line block ×19, first 2 shown]
	s_waitcnt lgkmcnt(0)
	; wave barrier
	s_waitcnt lgkmcnt(0)
	s_and_saveexec_b64 s[4:5], vcc
	s_cbranch_execz .LBB88_103
; %bb.100:
	v_add_u32_e32 v4, -1, v0
	v_add_u32_e32 v5, 0xd0, v70
	v_add_u32_e32 v6, 0, v70
	s_mov_b64 s[6:7], 0
	v_mov_b32_e32 v3, 0
	v_mov_b32_e32 v7, 0
.LBB88_101:                             ; =>This Inner Loop Header: Depth=1
	buffer_load_dword v60, v6, s[0:3], 0 offen offset:4
	buffer_load_dword v61, v6, s[0:3], 0 offen
	ds_read_b64 v[8:9], v5
	v_add_u32_e32 v4, 1, v4
	v_cmp_lt_u32_e32 vcc, 20, v4
	v_add_u32_e32 v5, 8, v5
	v_add_u32_e32 v6, 8, v6
	s_or_b64 s[6:7], vcc, s[6:7]
	s_waitcnt vmcnt(1) lgkmcnt(0)
	v_mul_f32_e32 v62, v9, v60
	v_mul_f32_e32 v60, v8, v60
	s_waitcnt vmcnt(0)
	v_fma_f32 v8, v8, v61, -v62
	v_fmac_f32_e32 v60, v9, v61
	v_add_f32_e32 v7, v7, v8
	v_add_f32_e32 v3, v3, v60
	s_andn2_b64 exec, exec, s[6:7]
	s_cbranch_execnz .LBB88_101
; %bb.102:
	s_or_b64 exec, exec, s[6:7]
	v_mov_b32_e32 v4, 0
	ds_read_b64 v[4:5], v4 offset:176
	s_waitcnt lgkmcnt(0)
	v_mul_f32_e32 v6, v3, v5
	v_mul_f32_e32 v5, v7, v5
	v_fma_f32 v6, v7, v4, -v6
	v_fmac_f32_e32 v5, v3, v4
	buffer_store_dword v6, off, s[0:3], 0 offset:176
	buffer_store_dword v5, off, s[0:3], 0 offset:180
.LBB88_103:
	s_or_b64 exec, exec, s[4:5]
	s_waitcnt lgkmcnt(0)
	; wave barrier
	buffer_load_dword v4, off, s[0:3], 0 offset:184
	buffer_load_dword v5, off, s[0:3], 0 offset:188
	v_cmp_gt_u32_e32 vcc, 23, v0
	s_waitcnt vmcnt(0)
	ds_write_b64 v1, v[4:5]
	s_waitcnt lgkmcnt(0)
	; wave barrier
	s_waitcnt lgkmcnt(0)
	s_and_saveexec_b64 s[4:5], vcc
	s_cbranch_execz .LBB88_107
; %bb.104:
	v_add_u32_e32 v4, -1, v0
	v_add_u32_e32 v5, 0xd0, v70
	v_add_u32_e32 v6, 0, v70
	s_mov_b64 s[6:7], 0
	v_mov_b32_e32 v3, 0
	v_mov_b32_e32 v7, 0
.LBB88_105:                             ; =>This Inner Loop Header: Depth=1
	buffer_load_dword v60, v6, s[0:3], 0 offen offset:4
	buffer_load_dword v61, v6, s[0:3], 0 offen
	ds_read_b64 v[8:9], v5
	v_add_u32_e32 v4, 1, v4
	v_cmp_lt_u32_e32 vcc, 21, v4
	v_add_u32_e32 v5, 8, v5
	v_add_u32_e32 v6, 8, v6
	s_or_b64 s[6:7], vcc, s[6:7]
	s_waitcnt vmcnt(1) lgkmcnt(0)
	v_mul_f32_e32 v62, v9, v60
	v_mul_f32_e32 v60, v8, v60
	s_waitcnt vmcnt(0)
	v_fma_f32 v8, v8, v61, -v62
	v_fmac_f32_e32 v60, v9, v61
	v_add_f32_e32 v7, v7, v8
	v_add_f32_e32 v3, v3, v60
	s_andn2_b64 exec, exec, s[6:7]
	s_cbranch_execnz .LBB88_105
; %bb.106:
	s_or_b64 exec, exec, s[6:7]
	v_mov_b32_e32 v4, 0
	ds_read_b64 v[4:5], v4 offset:184
	s_waitcnt lgkmcnt(0)
	v_mul_f32_e32 v6, v3, v5
	v_mul_f32_e32 v5, v7, v5
	v_fma_f32 v6, v7, v4, -v6
	v_fmac_f32_e32 v5, v3, v4
	buffer_store_dword v6, off, s[0:3], 0 offset:184
	buffer_store_dword v5, off, s[0:3], 0 offset:188
.LBB88_107:
	s_or_b64 exec, exec, s[4:5]
	s_waitcnt lgkmcnt(0)
	; wave barrier
	buffer_load_dword v4, off, s[0:3], 0 offset:192
	buffer_load_dword v5, off, s[0:3], 0 offset:196
	v_cmp_ne_u32_e32 vcc, 24, v0
	s_waitcnt vmcnt(0)
	ds_write_b64 v1, v[4:5]
	s_waitcnt lgkmcnt(0)
	; wave barrier
	s_waitcnt lgkmcnt(0)
	s_and_saveexec_b64 s[4:5], vcc
	s_cbranch_execz .LBB88_111
; %bb.108:
	v_add_u32_e32 v3, 0xd0, v70
	v_add_u32_e32 v4, 0, v70
	s_mov_b64 s[6:7], 0
	v_mov_b32_e32 v1, 0
	v_mov_b32_e32 v5, 0
.LBB88_109:                             ; =>This Inner Loop Header: Depth=1
	buffer_load_dword v8, v4, s[0:3], 0 offen offset:4
	buffer_load_dword v9, v4, s[0:3], 0 offen
	ds_read_b64 v[6:7], v3
	v_add_u32_e32 v2, 1, v2
	v_cmp_lt_u32_e32 vcc, 22, v2
	v_add_u32_e32 v3, 8, v3
	v_add_u32_e32 v4, 8, v4
	s_or_b64 s[6:7], vcc, s[6:7]
	s_waitcnt vmcnt(1) lgkmcnt(0)
	v_mul_f32_e32 v60, v7, v8
	v_mul_f32_e32 v8, v6, v8
	s_waitcnt vmcnt(0)
	v_fma_f32 v6, v6, v9, -v60
	v_fmac_f32_e32 v8, v7, v9
	v_add_f32_e32 v5, v5, v6
	v_add_f32_e32 v1, v1, v8
	s_andn2_b64 exec, exec, s[6:7]
	s_cbranch_execnz .LBB88_109
; %bb.110:
	s_or_b64 exec, exec, s[6:7]
	v_mov_b32_e32 v2, 0
	ds_read_b64 v[2:3], v2 offset:192
	s_waitcnt lgkmcnt(0)
	v_mul_f32_e32 v4, v1, v3
	v_mul_f32_e32 v3, v5, v3
	v_fma_f32 v4, v5, v2, -v4
	v_fmac_f32_e32 v3, v1, v2
	buffer_store_dword v4, off, s[0:3], 0 offset:192
	buffer_store_dword v3, off, s[0:3], 0 offset:196
.LBB88_111:
	s_or_b64 exec, exec, s[4:5]
	s_mov_b64 s[6:7], -1
	s_waitcnt lgkmcnt(0)
	; wave barrier
.LBB88_112:
	s_and_b64 vcc, exec, s[6:7]
	s_cbranch_vccz .LBB88_114
; %bb.113:
	s_lshl_b64 s[4:5], s[8:9], 2
	s_add_u32 s4, s14, s4
	s_addc_u32 s5, s15, s5
	v_mov_b32_e32 v1, 0
	global_load_dword v1, v1, s[4:5]
	s_waitcnt vmcnt(0)
	v_cmp_ne_u32_e32 vcc, 0, v1
	s_cbranch_vccz .LBB88_115
.LBB88_114:
	s_endpgm
.LBB88_115:
	v_mov_b32_e32 v1, 0xd0
	v_lshl_add_u32 v1, v0, 3, v1
	v_cmp_eq_u32_e32 vcc, 24, v0
	s_and_saveexec_b64 s[4:5], vcc
	s_cbranch_execz .LBB88_117
; %bb.116:
	buffer_load_dword v2, off, s[0:3], 0 offset:184
	buffer_load_dword v3, off, s[0:3], 0 offset:188
	v_mov_b32_e32 v4, 0
	buffer_store_dword v4, off, s[0:3], 0 offset:184
	buffer_store_dword v4, off, s[0:3], 0 offset:188
	s_waitcnt vmcnt(2)
	ds_write_b64 v1, v[2:3]
.LBB88_117:
	s_or_b64 exec, exec, s[4:5]
	s_waitcnt lgkmcnt(0)
	; wave barrier
	s_waitcnt lgkmcnt(0)
	buffer_load_dword v5, off, s[0:3], 0 offset:196
	buffer_load_dword v4, off, s[0:3], 0 offset:192
	;; [unrolled: 1-line block ×4, first 2 shown]
	v_mov_b32_e32 v2, 0
	ds_read_b64 v[8:9], v2 offset:400
	v_cmp_lt_u32_e32 vcc, 22, v0
	s_waitcnt vmcnt(3)
	v_mov_b32_e32 v60, v5
	s_waitcnt lgkmcnt(0)
	v_pk_mul_f32 v[60:61], v[8:9], v[60:61] op_sel_hi:[1,0]
	s_waitcnt vmcnt(2)
	v_pk_fma_f32 v[62:63], v[8:9], v[4:5], v[60:61] op_sel:[0,0,1] op_sel_hi:[1,1,0] neg_lo:[0,0,1] neg_hi:[0,0,1]
	v_pk_fma_f32 v[4:5], v[8:9], v[4:5], v[60:61] op_sel:[0,0,1] op_sel_hi:[1,0,0]
	v_mov_b32_e32 v63, v5
	v_pk_add_f32 v[4:5], v[62:63], 0 op_sel_hi:[1,0]
	s_waitcnt vmcnt(0)
	v_pk_add_f32 v[4:5], v[6:7], v[4:5] neg_lo:[0,1] neg_hi:[0,1]
	buffer_store_dword v4, off, s[0:3], 0 offset:184
	buffer_store_dword v5, off, s[0:3], 0 offset:188
	s_and_saveexec_b64 s[4:5], vcc
	s_cbranch_execz .LBB88_119
; %bb.118:
	buffer_load_dword v4, off, s[0:3], 0 offset:176
	buffer_load_dword v5, off, s[0:3], 0 offset:180
	s_waitcnt vmcnt(0)
	ds_write_b64 v1, v[4:5]
	buffer_store_dword v2, off, s[0:3], 0 offset:176
	buffer_store_dword v2, off, s[0:3], 0 offset:180
.LBB88_119:
	s_or_b64 exec, exec, s[4:5]
	s_waitcnt lgkmcnt(0)
	; wave barrier
	s_waitcnt lgkmcnt(0)
	buffer_load_dword v7, off, s[0:3], 0 offset:188
	buffer_load_dword v9, off, s[0:3], 0 offset:196
	buffer_load_dword v6, off, s[0:3], 0 offset:184
	buffer_load_dword v8, off, s[0:3], 0 offset:192
	buffer_load_dword v60, off, s[0:3], 0 offset:176
	buffer_load_dword v61, off, s[0:3], 0 offset:180
	ds_read2_b64 v[2:5], v2 offset0:49 offset1:50
	v_cmp_lt_u32_e32 vcc, 21, v0
	s_waitcnt vmcnt(5)
	v_mov_b32_e32 v62, v7
	s_waitcnt vmcnt(4)
	v_mov_b32_e32 v64, v9
	s_waitcnt lgkmcnt(0)
	v_pk_mul_f32 v[62:63], v[2:3], v[62:63] op_sel_hi:[1,0]
	v_pk_mul_f32 v[64:65], v[4:5], v[64:65] op_sel_hi:[1,0]
	s_waitcnt vmcnt(3)
	v_pk_fma_f32 v[66:67], v[2:3], v[6:7], v[62:63] op_sel:[0,0,1] op_sel_hi:[1,1,0] neg_lo:[0,0,1] neg_hi:[0,0,1]
	v_pk_fma_f32 v[2:3], v[2:3], v[6:7], v[62:63] op_sel:[0,0,1] op_sel_hi:[1,0,0]
	s_waitcnt vmcnt(2)
	v_pk_fma_f32 v[6:7], v[4:5], v[8:9], v[64:65] op_sel:[0,0,1] op_sel_hi:[1,1,0] neg_lo:[0,0,1] neg_hi:[0,0,1]
	v_pk_fma_f32 v[4:5], v[4:5], v[8:9], v[64:65] op_sel:[0,0,1] op_sel_hi:[1,0,0]
	v_mov_b32_e32 v67, v3
	v_mov_b32_e32 v7, v5
	v_pk_add_f32 v[2:3], v[66:67], 0 op_sel_hi:[1,0]
	v_pk_add_f32 v[2:3], v[2:3], v[6:7]
	s_waitcnt vmcnt(0)
	v_pk_add_f32 v[2:3], v[60:61], v[2:3] neg_lo:[0,1] neg_hi:[0,1]
	buffer_store_dword v2, off, s[0:3], 0 offset:176
	buffer_store_dword v3, off, s[0:3], 0 offset:180
	s_and_saveexec_b64 s[4:5], vcc
	s_cbranch_execz .LBB88_121
; %bb.120:
	buffer_load_dword v2, off, s[0:3], 0 offset:168
	buffer_load_dword v3, off, s[0:3], 0 offset:172
	v_mov_b32_e32 v4, 0
	buffer_store_dword v4, off, s[0:3], 0 offset:168
	buffer_store_dword v4, off, s[0:3], 0 offset:172
	s_waitcnt vmcnt(2)
	ds_write_b64 v1, v[2:3]
.LBB88_121:
	s_or_b64 exec, exec, s[4:5]
	s_waitcnt lgkmcnt(0)
	; wave barrier
	s_waitcnt lgkmcnt(0)
	buffer_load_dword v9, off, s[0:3], 0 offset:180
	buffer_load_dword v61, off, s[0:3], 0 offset:188
	;; [unrolled: 1-line block ×8, first 2 shown]
	v_mov_b32_e32 v2, 0
	ds_read_b128 v[4:7], v2 offset:384
	ds_read_b64 v[66:67], v2 offset:400
	v_cmp_lt_u32_e32 vcc, 20, v0
	s_waitcnt vmcnt(7)
	v_mov_b32_e32 v68, v9
	s_waitcnt vmcnt(6)
	v_mov_b32_e32 v70, v61
	s_waitcnt lgkmcnt(1)
	v_pk_mul_f32 v[68:69], v[4:5], v[68:69] op_sel_hi:[1,0]
	s_waitcnt vmcnt(5)
	v_mov_b32_e32 v72, v63
	v_pk_mul_f32 v[70:71], v[6:7], v[70:71] op_sel_hi:[1,0]
	s_waitcnt vmcnt(4)
	v_pk_fma_f32 v[74:75], v[4:5], v[8:9], v[68:69] op_sel:[0,0,1] op_sel_hi:[1,1,0] neg_lo:[0,0,1] neg_hi:[0,0,1]
	v_pk_fma_f32 v[4:5], v[4:5], v[8:9], v[68:69] op_sel:[0,0,1] op_sel_hi:[1,0,0]
	s_waitcnt lgkmcnt(0)
	v_pk_mul_f32 v[72:73], v[66:67], v[72:73] op_sel_hi:[1,0]
	s_waitcnt vmcnt(3)
	v_pk_fma_f32 v[8:9], v[6:7], v[60:61], v[70:71] op_sel:[0,0,1] op_sel_hi:[1,1,0] neg_lo:[0,0,1] neg_hi:[0,0,1]
	v_pk_fma_f32 v[6:7], v[6:7], v[60:61], v[70:71] op_sel:[0,0,1] op_sel_hi:[1,0,0]
	v_mov_b32_e32 v75, v5
	s_waitcnt vmcnt(2)
	v_pk_fma_f32 v[60:61], v[66:67], v[62:63], v[72:73] op_sel:[0,0,1] op_sel_hi:[1,1,0] neg_lo:[0,0,1] neg_hi:[0,0,1]
	v_pk_fma_f32 v[62:63], v[66:67], v[62:63], v[72:73] op_sel:[0,0,1] op_sel_hi:[1,0,0]
	v_mov_b32_e32 v9, v7
	v_pk_add_f32 v[4:5], v[74:75], 0 op_sel_hi:[1,0]
	v_mov_b32_e32 v61, v63
	v_pk_add_f32 v[4:5], v[4:5], v[8:9]
	v_pk_add_f32 v[4:5], v[4:5], v[60:61]
	s_waitcnt vmcnt(0)
	v_pk_add_f32 v[4:5], v[64:65], v[4:5] neg_lo:[0,1] neg_hi:[0,1]
	buffer_store_dword v4, off, s[0:3], 0 offset:168
	buffer_store_dword v5, off, s[0:3], 0 offset:172
	s_and_saveexec_b64 s[4:5], vcc
	s_cbranch_execz .LBB88_123
; %bb.122:
	buffer_load_dword v4, off, s[0:3], 0 offset:160
	buffer_load_dword v5, off, s[0:3], 0 offset:164
	s_waitcnt vmcnt(0)
	ds_write_b64 v1, v[4:5]
	buffer_store_dword v2, off, s[0:3], 0 offset:160
	buffer_store_dword v2, off, s[0:3], 0 offset:164
.LBB88_123:
	s_or_b64 exec, exec, s[4:5]
	s_waitcnt lgkmcnt(0)
	; wave barrier
	s_waitcnt lgkmcnt(0)
	buffer_load_dword v9, off, s[0:3], 0 offset:172
	buffer_load_dword v65, off, s[0:3], 0 offset:180
	;; [unrolled: 1-line block ×10, first 2 shown]
	ds_read2_b64 v[4:7], v2 offset0:47 offset1:48
	ds_read2_b64 v[60:63], v2 offset0:49 offset1:50
	v_cmp_lt_u32_e32 vcc, 19, v0
	s_waitcnt vmcnt(9)
	v_mov_b32_e32 v2, v9
	s_waitcnt vmcnt(8)
	v_mov_b32_e32 v72, v65
	s_waitcnt lgkmcnt(1)
	v_pk_mul_f32 v[2:3], v[4:5], v[2:3] op_sel_hi:[1,0]
	s_waitcnt vmcnt(7)
	v_mov_b32_e32 v74, v67
	v_pk_mul_f32 v[72:73], v[6:7], v[72:73] op_sel_hi:[1,0]
	s_waitcnt vmcnt(5)
	v_pk_fma_f32 v[78:79], v[4:5], v[8:9], v[2:3] op_sel:[0,0,1] op_sel_hi:[1,1,0] neg_lo:[0,0,1] neg_hi:[0,0,1]
	v_pk_fma_f32 v[2:3], v[4:5], v[8:9], v[2:3] op_sel:[0,0,1] op_sel_hi:[1,0,0]
	v_mov_b32_e32 v76, v69
	s_waitcnt lgkmcnt(0)
	v_pk_mul_f32 v[74:75], v[60:61], v[74:75] op_sel_hi:[1,0]
	s_waitcnt vmcnt(4)
	v_pk_fma_f32 v[4:5], v[6:7], v[64:65], v[72:73] op_sel:[0,0,1] op_sel_hi:[1,1,0] neg_lo:[0,0,1] neg_hi:[0,0,1]
	v_pk_fma_f32 v[6:7], v[6:7], v[64:65], v[72:73] op_sel:[0,0,1] op_sel_hi:[1,0,0]
	v_mov_b32_e32 v79, v3
	v_pk_mul_f32 v[76:77], v[62:63], v[76:77] op_sel_hi:[1,0]
	s_waitcnt vmcnt(3)
	v_pk_fma_f32 v[8:9], v[60:61], v[66:67], v[74:75] op_sel:[0,0,1] op_sel_hi:[1,1,0] neg_lo:[0,0,1] neg_hi:[0,0,1]
	v_pk_fma_f32 v[60:61], v[60:61], v[66:67], v[74:75] op_sel:[0,0,1] op_sel_hi:[1,0,0]
	v_mov_b32_e32 v5, v7
	v_pk_add_f32 v[2:3], v[78:79], 0 op_sel_hi:[1,0]
	s_waitcnt vmcnt(2)
	v_pk_fma_f32 v[64:65], v[62:63], v[68:69], v[76:77] op_sel:[0,0,1] op_sel_hi:[1,1,0] neg_lo:[0,0,1] neg_hi:[0,0,1]
	v_pk_fma_f32 v[62:63], v[62:63], v[68:69], v[76:77] op_sel:[0,0,1] op_sel_hi:[1,0,0]
	v_mov_b32_e32 v9, v61
	v_pk_add_f32 v[2:3], v[2:3], v[4:5]
	v_mov_b32_e32 v65, v63
	v_pk_add_f32 v[2:3], v[2:3], v[8:9]
	v_pk_add_f32 v[2:3], v[2:3], v[64:65]
	s_waitcnt vmcnt(0)
	v_pk_add_f32 v[2:3], v[70:71], v[2:3] neg_lo:[0,1] neg_hi:[0,1]
	buffer_store_dword v2, off, s[0:3], 0 offset:160
	buffer_store_dword v3, off, s[0:3], 0 offset:164
	s_and_saveexec_b64 s[4:5], vcc
	s_cbranch_execz .LBB88_125
; %bb.124:
	buffer_load_dword v2, off, s[0:3], 0 offset:152
	buffer_load_dword v3, off, s[0:3], 0 offset:156
	v_mov_b32_e32 v4, 0
	buffer_store_dword v4, off, s[0:3], 0 offset:152
	buffer_store_dword v4, off, s[0:3], 0 offset:156
	s_waitcnt vmcnt(2)
	ds_write_b64 v1, v[2:3]
.LBB88_125:
	s_or_b64 exec, exec, s[4:5]
	s_waitcnt lgkmcnt(0)
	; wave barrier
	s_waitcnt lgkmcnt(0)
	buffer_load_dword v9, off, s[0:3], 0 offset:164
	buffer_load_dword v65, off, s[0:3], 0 offset:172
	buffer_load_dword v67, off, s[0:3], 0 offset:180
	buffer_load_dword v69, off, s[0:3], 0 offset:188
	buffer_load_dword v71, off, s[0:3], 0 offset:196
	buffer_load_dword v8, off, s[0:3], 0 offset:160
	buffer_load_dword v64, off, s[0:3], 0 offset:168
	buffer_load_dword v66, off, s[0:3], 0 offset:176
	buffer_load_dword v68, off, s[0:3], 0 offset:184
	buffer_load_dword v70, off, s[0:3], 0 offset:192
	buffer_load_dword v72, off, s[0:3], 0 offset:152
	buffer_load_dword v73, off, s[0:3], 0 offset:156
	v_mov_b32_e32 v2, 0
	ds_read_b128 v[4:7], v2 offset:368
	ds_read_b128 v[60:63], v2 offset:384
	ds_read_b64 v[74:75], v2 offset:400
	v_cmp_lt_u32_e32 vcc, 18, v0
	s_waitcnt vmcnt(11)
	v_mov_b32_e32 v76, v9
	s_waitcnt vmcnt(10)
	v_mov_b32_e32 v78, v65
	s_waitcnt lgkmcnt(2)
	v_pk_mul_f32 v[76:77], v[4:5], v[76:77] op_sel_hi:[1,0]
	s_waitcnt vmcnt(9)
	v_mov_b32_e32 v80, v67
	v_pk_mul_f32 v[78:79], v[6:7], v[78:79] op_sel_hi:[1,0]
	s_waitcnt vmcnt(6)
	v_pk_fma_f32 v[86:87], v[4:5], v[8:9], v[76:77] op_sel:[0,0,1] op_sel_hi:[1,1,0] neg_lo:[0,0,1] neg_hi:[0,0,1]
	v_pk_fma_f32 v[4:5], v[4:5], v[8:9], v[76:77] op_sel:[0,0,1] op_sel_hi:[1,0,0]
	v_mov_b32_e32 v82, v69
	s_waitcnt lgkmcnt(1)
	v_pk_mul_f32 v[80:81], v[60:61], v[80:81] op_sel_hi:[1,0]
	s_waitcnt vmcnt(5)
	v_pk_fma_f32 v[8:9], v[6:7], v[64:65], v[78:79] op_sel:[0,0,1] op_sel_hi:[1,1,0] neg_lo:[0,0,1] neg_hi:[0,0,1]
	v_pk_fma_f32 v[6:7], v[6:7], v[64:65], v[78:79] op_sel:[0,0,1] op_sel_hi:[1,0,0]
	v_mov_b32_e32 v87, v5
	v_mov_b32_e32 v84, v71
	v_pk_mul_f32 v[82:83], v[62:63], v[82:83] op_sel_hi:[1,0]
	s_waitcnt vmcnt(4)
	v_pk_fma_f32 v[64:65], v[60:61], v[66:67], v[80:81] op_sel:[0,0,1] op_sel_hi:[1,1,0] neg_lo:[0,0,1] neg_hi:[0,0,1]
	v_pk_fma_f32 v[60:61], v[60:61], v[66:67], v[80:81] op_sel:[0,0,1] op_sel_hi:[1,0,0]
	v_mov_b32_e32 v9, v7
	v_pk_add_f32 v[4:5], v[86:87], 0 op_sel_hi:[1,0]
	s_waitcnt lgkmcnt(0)
	v_pk_mul_f32 v[84:85], v[74:75], v[84:85] op_sel_hi:[1,0]
	s_waitcnt vmcnt(3)
	v_pk_fma_f32 v[66:67], v[62:63], v[68:69], v[82:83] op_sel:[0,0,1] op_sel_hi:[1,1,0] neg_lo:[0,0,1] neg_hi:[0,0,1]
	v_pk_fma_f32 v[62:63], v[62:63], v[68:69], v[82:83] op_sel:[0,0,1] op_sel_hi:[1,0,0]
	v_mov_b32_e32 v65, v61
	v_pk_add_f32 v[4:5], v[4:5], v[8:9]
	s_waitcnt vmcnt(2)
	v_pk_fma_f32 v[68:69], v[74:75], v[70:71], v[84:85] op_sel:[0,0,1] op_sel_hi:[1,1,0] neg_lo:[0,0,1] neg_hi:[0,0,1]
	v_pk_fma_f32 v[70:71], v[74:75], v[70:71], v[84:85] op_sel:[0,0,1] op_sel_hi:[1,0,0]
	v_mov_b32_e32 v67, v63
	v_pk_add_f32 v[4:5], v[4:5], v[64:65]
	v_mov_b32_e32 v69, v71
	v_pk_add_f32 v[4:5], v[4:5], v[66:67]
	v_pk_add_f32 v[4:5], v[4:5], v[68:69]
	s_waitcnt vmcnt(0)
	v_pk_add_f32 v[4:5], v[72:73], v[4:5] neg_lo:[0,1] neg_hi:[0,1]
	buffer_store_dword v4, off, s[0:3], 0 offset:152
	buffer_store_dword v5, off, s[0:3], 0 offset:156
	s_and_saveexec_b64 s[4:5], vcc
	s_cbranch_execz .LBB88_127
; %bb.126:
	buffer_load_dword v4, off, s[0:3], 0 offset:144
	buffer_load_dword v5, off, s[0:3], 0 offset:148
	s_waitcnt vmcnt(0)
	ds_write_b64 v1, v[4:5]
	buffer_store_dword v2, off, s[0:3], 0 offset:144
	buffer_store_dword v2, off, s[0:3], 0 offset:148
.LBB88_127:
	s_or_b64 exec, exec, s[4:5]
	s_waitcnt lgkmcnt(0)
	; wave barrier
	s_waitcnt lgkmcnt(0)
	buffer_load_dword v9, off, s[0:3], 0 offset:156
	buffer_load_dword v69, off, s[0:3], 0 offset:164
	buffer_load_dword v71, off, s[0:3], 0 offset:172
	buffer_load_dword v73, off, s[0:3], 0 offset:180
	buffer_load_dword v75, off, s[0:3], 0 offset:188
	buffer_load_dword v77, off, s[0:3], 0 offset:196
	buffer_load_dword v8, off, s[0:3], 0 offset:152
	buffer_load_dword v68, off, s[0:3], 0 offset:160
	buffer_load_dword v70, off, s[0:3], 0 offset:168
	buffer_load_dword v72, off, s[0:3], 0 offset:176
	buffer_load_dword v74, off, s[0:3], 0 offset:184
	buffer_load_dword v76, off, s[0:3], 0 offset:192
	buffer_load_dword v78, off, s[0:3], 0 offset:144
	buffer_load_dword v79, off, s[0:3], 0 offset:148
	ds_read2_b64 v[4:7], v2 offset0:45 offset1:46
	ds_read2_b64 v[60:63], v2 offset0:47 offset1:48
	;; [unrolled: 1-line block ×3, first 2 shown]
	v_cmp_lt_u32_e32 vcc, 17, v0
	s_waitcnt vmcnt(13)
	v_mov_b32_e32 v2, v9
	s_waitcnt vmcnt(12)
	v_mov_b32_e32 v80, v69
	s_waitcnt lgkmcnt(2)
	v_pk_mul_f32 v[2:3], v[4:5], v[2:3] op_sel_hi:[1,0]
	s_waitcnt vmcnt(11)
	v_mov_b32_e32 v82, v71
	v_pk_mul_f32 v[80:81], v[6:7], v[80:81] op_sel_hi:[1,0]
	s_waitcnt vmcnt(10)
	v_mov_b32_e32 v84, v73
	s_waitcnt vmcnt(7)
	v_pk_fma_f32 v[90:91], v[4:5], v[8:9], v[2:3] op_sel:[0,0,1] op_sel_hi:[1,1,0] neg_lo:[0,0,1] neg_hi:[0,0,1]
	v_pk_fma_f32 v[2:3], v[4:5], v[8:9], v[2:3] op_sel:[0,0,1] op_sel_hi:[1,0,0]
	s_waitcnt lgkmcnt(1)
	v_pk_mul_f32 v[82:83], v[60:61], v[82:83] op_sel_hi:[1,0]
	s_waitcnt vmcnt(6)
	v_pk_fma_f32 v[4:5], v[6:7], v[68:69], v[80:81] op_sel:[0,0,1] op_sel_hi:[1,1,0] neg_lo:[0,0,1] neg_hi:[0,0,1]
	v_pk_fma_f32 v[6:7], v[6:7], v[68:69], v[80:81] op_sel:[0,0,1] op_sel_hi:[1,0,0]
	v_mov_b32_e32 v91, v3
	v_mov_b32_e32 v86, v75
	v_pk_mul_f32 v[84:85], v[62:63], v[84:85] op_sel_hi:[1,0]
	s_waitcnt vmcnt(5)
	v_pk_fma_f32 v[8:9], v[60:61], v[70:71], v[82:83] op_sel:[0,0,1] op_sel_hi:[1,1,0] neg_lo:[0,0,1] neg_hi:[0,0,1]
	v_pk_fma_f32 v[60:61], v[60:61], v[70:71], v[82:83] op_sel:[0,0,1] op_sel_hi:[1,0,0]
	v_mov_b32_e32 v5, v7
	v_pk_add_f32 v[2:3], v[90:91], 0 op_sel_hi:[1,0]
	v_mov_b32_e32 v88, v77
	s_waitcnt lgkmcnt(0)
	v_pk_mul_f32 v[86:87], v[64:65], v[86:87] op_sel_hi:[1,0]
	s_waitcnt vmcnt(4)
	v_pk_fma_f32 v[68:69], v[62:63], v[72:73], v[84:85] op_sel:[0,0,1] op_sel_hi:[1,1,0] neg_lo:[0,0,1] neg_hi:[0,0,1]
	v_pk_fma_f32 v[62:63], v[62:63], v[72:73], v[84:85] op_sel:[0,0,1] op_sel_hi:[1,0,0]
	v_mov_b32_e32 v9, v61
	v_pk_add_f32 v[2:3], v[2:3], v[4:5]
	v_pk_mul_f32 v[88:89], v[66:67], v[88:89] op_sel_hi:[1,0]
	s_waitcnt vmcnt(3)
	v_pk_fma_f32 v[70:71], v[64:65], v[74:75], v[86:87] op_sel:[0,0,1] op_sel_hi:[1,1,0] neg_lo:[0,0,1] neg_hi:[0,0,1]
	v_pk_fma_f32 v[64:65], v[64:65], v[74:75], v[86:87] op_sel:[0,0,1] op_sel_hi:[1,0,0]
	v_mov_b32_e32 v69, v63
	v_pk_add_f32 v[2:3], v[2:3], v[8:9]
	s_waitcnt vmcnt(2)
	v_pk_fma_f32 v[72:73], v[66:67], v[76:77], v[88:89] op_sel:[0,0,1] op_sel_hi:[1,1,0] neg_lo:[0,0,1] neg_hi:[0,0,1]
	v_pk_fma_f32 v[66:67], v[66:67], v[76:77], v[88:89] op_sel:[0,0,1] op_sel_hi:[1,0,0]
	v_mov_b32_e32 v71, v65
	v_pk_add_f32 v[2:3], v[2:3], v[68:69]
	v_mov_b32_e32 v73, v67
	v_pk_add_f32 v[2:3], v[2:3], v[70:71]
	v_pk_add_f32 v[2:3], v[2:3], v[72:73]
	s_waitcnt vmcnt(0)
	v_pk_add_f32 v[2:3], v[78:79], v[2:3] neg_lo:[0,1] neg_hi:[0,1]
	buffer_store_dword v2, off, s[0:3], 0 offset:144
	buffer_store_dword v3, off, s[0:3], 0 offset:148
	s_and_saveexec_b64 s[4:5], vcc
	s_cbranch_execz .LBB88_129
; %bb.128:
	buffer_load_dword v2, off, s[0:3], 0 offset:136
	buffer_load_dword v3, off, s[0:3], 0 offset:140
	v_mov_b32_e32 v4, 0
	buffer_store_dword v4, off, s[0:3], 0 offset:136
	buffer_store_dword v4, off, s[0:3], 0 offset:140
	s_waitcnt vmcnt(2)
	ds_write_b64 v1, v[2:3]
.LBB88_129:
	s_or_b64 exec, exec, s[4:5]
	s_waitcnt lgkmcnt(0)
	; wave barrier
	s_waitcnt lgkmcnt(0)
	buffer_load_dword v9, off, s[0:3], 0 offset:148
	buffer_load_dword v69, off, s[0:3], 0 offset:156
	;; [unrolled: 1-line block ×16, first 2 shown]
	v_mov_b32_e32 v2, 0
	ds_read_b128 v[4:7], v2 offset:352
	ds_read_b128 v[60:63], v2 offset:368
	;; [unrolled: 1-line block ×3, first 2 shown]
	ds_read_b64 v[82:83], v2 offset:400
	v_cmp_lt_u32_e32 vcc, 16, v0
	s_waitcnt vmcnt(15)
	v_mov_b32_e32 v84, v9
	s_waitcnt vmcnt(14)
	v_mov_b32_e32 v86, v69
	s_waitcnt lgkmcnt(3)
	v_pk_mul_f32 v[84:85], v[4:5], v[84:85] op_sel_hi:[1,0]
	s_waitcnt vmcnt(13)
	v_mov_b32_e32 v88, v71
	v_pk_mul_f32 v[86:87], v[6:7], v[86:87] op_sel_hi:[1,0]
	s_waitcnt vmcnt(12)
	v_mov_b32_e32 v90, v73
	s_waitcnt lgkmcnt(2)
	v_pk_mul_f32 v[88:89], v[60:61], v[88:89] op_sel_hi:[1,0]
	s_waitcnt vmcnt(8)
	v_pk_fma_f32 v[98:99], v[4:5], v[8:9], v[84:85] op_sel:[0,0,1] op_sel_hi:[1,1,0] neg_lo:[0,0,1] neg_hi:[0,0,1]
	v_pk_fma_f32 v[4:5], v[4:5], v[8:9], v[84:85] op_sel:[0,0,1] op_sel_hi:[1,0,0]
	s_waitcnt vmcnt(7)
	v_pk_fma_f32 v[8:9], v[6:7], v[68:69], v[86:87] op_sel:[0,0,1] op_sel_hi:[1,1,0] neg_lo:[0,0,1] neg_hi:[0,0,1]
	v_pk_fma_f32 v[6:7], v[6:7], v[68:69], v[86:87] op_sel:[0,0,1] op_sel_hi:[1,0,0]
	v_mov_b32_e32 v99, v5
	v_mov_b32_e32 v92, v75
	v_pk_mul_f32 v[90:91], v[62:63], v[90:91] op_sel_hi:[1,0]
	s_waitcnt vmcnt(6)
	v_pk_fma_f32 v[68:69], v[60:61], v[70:71], v[88:89] op_sel:[0,0,1] op_sel_hi:[1,1,0] neg_lo:[0,0,1] neg_hi:[0,0,1]
	v_pk_fma_f32 v[60:61], v[60:61], v[70:71], v[88:89] op_sel:[0,0,1] op_sel_hi:[1,0,0]
	v_mov_b32_e32 v9, v7
	v_pk_add_f32 v[4:5], v[98:99], 0 op_sel_hi:[1,0]
	v_mov_b32_e32 v94, v77
	s_waitcnt lgkmcnt(1)
	v_pk_mul_f32 v[92:93], v[64:65], v[92:93] op_sel_hi:[1,0]
	s_waitcnt vmcnt(5)
	v_pk_fma_f32 v[70:71], v[62:63], v[72:73], v[90:91] op_sel:[0,0,1] op_sel_hi:[1,1,0] neg_lo:[0,0,1] neg_hi:[0,0,1]
	v_pk_fma_f32 v[62:63], v[62:63], v[72:73], v[90:91] op_sel:[0,0,1] op_sel_hi:[1,0,0]
	v_mov_b32_e32 v69, v61
	v_pk_add_f32 v[4:5], v[4:5], v[8:9]
	v_mov_b32_e32 v96, v79
	v_pk_mul_f32 v[94:95], v[66:67], v[94:95] op_sel_hi:[1,0]
	s_waitcnt vmcnt(4)
	v_pk_fma_f32 v[72:73], v[64:65], v[74:75], v[92:93] op_sel:[0,0,1] op_sel_hi:[1,1,0] neg_lo:[0,0,1] neg_hi:[0,0,1]
	v_pk_fma_f32 v[64:65], v[64:65], v[74:75], v[92:93] op_sel:[0,0,1] op_sel_hi:[1,0,0]
	v_mov_b32_e32 v71, v63
	v_pk_add_f32 v[4:5], v[4:5], v[68:69]
	s_waitcnt lgkmcnt(0)
	v_pk_mul_f32 v[96:97], v[82:83], v[96:97] op_sel_hi:[1,0]
	s_waitcnt vmcnt(3)
	v_pk_fma_f32 v[74:75], v[66:67], v[76:77], v[94:95] op_sel:[0,0,1] op_sel_hi:[1,1,0] neg_lo:[0,0,1] neg_hi:[0,0,1]
	v_pk_fma_f32 v[66:67], v[66:67], v[76:77], v[94:95] op_sel:[0,0,1] op_sel_hi:[1,0,0]
	v_mov_b32_e32 v73, v65
	v_pk_add_f32 v[4:5], v[4:5], v[70:71]
	s_waitcnt vmcnt(2)
	v_pk_fma_f32 v[76:77], v[82:83], v[78:79], v[96:97] op_sel:[0,0,1] op_sel_hi:[1,1,0] neg_lo:[0,0,1] neg_hi:[0,0,1]
	v_pk_fma_f32 v[78:79], v[82:83], v[78:79], v[96:97] op_sel:[0,0,1] op_sel_hi:[1,0,0]
	v_mov_b32_e32 v75, v67
	v_pk_add_f32 v[4:5], v[4:5], v[72:73]
	v_mov_b32_e32 v77, v79
	v_pk_add_f32 v[4:5], v[4:5], v[74:75]
	v_pk_add_f32 v[4:5], v[4:5], v[76:77]
	s_waitcnt vmcnt(0)
	v_pk_add_f32 v[4:5], v[80:81], v[4:5] neg_lo:[0,1] neg_hi:[0,1]
	buffer_store_dword v4, off, s[0:3], 0 offset:136
	buffer_store_dword v5, off, s[0:3], 0 offset:140
	s_and_saveexec_b64 s[4:5], vcc
	s_cbranch_execz .LBB88_131
; %bb.130:
	buffer_load_dword v4, off, s[0:3], 0 offset:128
	buffer_load_dword v5, off, s[0:3], 0 offset:132
	s_waitcnt vmcnt(0)
	ds_write_b64 v1, v[4:5]
	buffer_store_dword v2, off, s[0:3], 0 offset:128
	buffer_store_dword v2, off, s[0:3], 0 offset:132
.LBB88_131:
	s_or_b64 exec, exec, s[4:5]
	s_waitcnt lgkmcnt(0)
	; wave barrier
	s_waitcnt lgkmcnt(0)
	buffer_load_dword v9, off, s[0:3], 0 offset:140
	buffer_load_dword v73, off, s[0:3], 0 offset:148
	;; [unrolled: 1-line block ×18, first 2 shown]
	ds_read2_b64 v[4:7], v2 offset0:43 offset1:44
	ds_read2_b64 v[60:63], v2 offset0:45 offset1:46
	;; [unrolled: 1-line block ×4, first 2 shown]
	v_cmp_lt_u32_e32 vcc, 15, v0
	s_waitcnt vmcnt(17)
	v_mov_b32_e32 v2, v9
	s_waitcnt vmcnt(16)
	v_mov_b32_e32 v88, v73
	s_waitcnt lgkmcnt(3)
	v_pk_mul_f32 v[2:3], v[4:5], v[2:3] op_sel_hi:[1,0]
	s_waitcnt vmcnt(15)
	v_mov_b32_e32 v90, v75
	v_pk_mul_f32 v[88:89], v[6:7], v[88:89] op_sel_hi:[1,0]
	s_waitcnt vmcnt(14)
	v_mov_b32_e32 v92, v77
	s_waitcnt lgkmcnt(2)
	v_pk_mul_f32 v[90:91], v[60:61], v[90:91] op_sel_hi:[1,0]
	s_waitcnt vmcnt(13)
	v_mov_b32_e32 v94, v79
	s_waitcnt vmcnt(9)
	v_pk_fma_f32 v[102:103], v[4:5], v[8:9], v[2:3] op_sel:[0,0,1] op_sel_hi:[1,1,0] neg_lo:[0,0,1] neg_hi:[0,0,1]
	v_pk_fma_f32 v[2:3], v[4:5], v[8:9], v[2:3] op_sel:[0,0,1] op_sel_hi:[1,0,0]
	s_waitcnt vmcnt(8)
	v_pk_fma_f32 v[4:5], v[6:7], v[72:73], v[88:89] op_sel:[0,0,1] op_sel_hi:[1,1,0] neg_lo:[0,0,1] neg_hi:[0,0,1]
	v_pk_fma_f32 v[6:7], v[6:7], v[72:73], v[88:89] op_sel:[0,0,1] op_sel_hi:[1,0,0]
	v_mov_b32_e32 v103, v3
	v_pk_mul_f32 v[92:93], v[62:63], v[92:93] op_sel_hi:[1,0]
	s_waitcnt vmcnt(7)
	v_pk_fma_f32 v[8:9], v[60:61], v[74:75], v[90:91] op_sel:[0,0,1] op_sel_hi:[1,1,0] neg_lo:[0,0,1] neg_hi:[0,0,1]
	v_pk_fma_f32 v[60:61], v[60:61], v[74:75], v[90:91] op_sel:[0,0,1] op_sel_hi:[1,0,0]
	v_mov_b32_e32 v5, v7
	v_pk_add_f32 v[2:3], v[102:103], 0 op_sel_hi:[1,0]
	v_mov_b32_e32 v96, v81
	s_waitcnt lgkmcnt(1)
	v_pk_mul_f32 v[94:95], v[64:65], v[94:95] op_sel_hi:[1,0]
	s_waitcnt vmcnt(6)
	v_pk_fma_f32 v[72:73], v[62:63], v[76:77], v[92:93] op_sel:[0,0,1] op_sel_hi:[1,1,0] neg_lo:[0,0,1] neg_hi:[0,0,1]
	v_pk_fma_f32 v[62:63], v[62:63], v[76:77], v[92:93] op_sel:[0,0,1] op_sel_hi:[1,0,0]
	v_mov_b32_e32 v9, v61
	v_pk_add_f32 v[2:3], v[2:3], v[4:5]
	v_mov_b32_e32 v98, v83
	v_pk_mul_f32 v[96:97], v[66:67], v[96:97] op_sel_hi:[1,0]
	s_waitcnt vmcnt(5)
	v_pk_fma_f32 v[74:75], v[64:65], v[78:79], v[94:95] op_sel:[0,0,1] op_sel_hi:[1,1,0] neg_lo:[0,0,1] neg_hi:[0,0,1]
	v_pk_fma_f32 v[64:65], v[64:65], v[78:79], v[94:95] op_sel:[0,0,1] op_sel_hi:[1,0,0]
	v_mov_b32_e32 v73, v63
	v_pk_add_f32 v[2:3], v[2:3], v[8:9]
	v_mov_b32_e32 v100, v85
	s_waitcnt lgkmcnt(0)
	v_pk_mul_f32 v[98:99], v[68:69], v[98:99] op_sel_hi:[1,0]
	s_waitcnt vmcnt(4)
	v_pk_fma_f32 v[76:77], v[66:67], v[80:81], v[96:97] op_sel:[0,0,1] op_sel_hi:[1,1,0] neg_lo:[0,0,1] neg_hi:[0,0,1]
	v_pk_fma_f32 v[66:67], v[66:67], v[80:81], v[96:97] op_sel:[0,0,1] op_sel_hi:[1,0,0]
	v_mov_b32_e32 v75, v65
	v_pk_add_f32 v[2:3], v[2:3], v[72:73]
	v_pk_mul_f32 v[100:101], v[70:71], v[100:101] op_sel_hi:[1,0]
	s_waitcnt vmcnt(3)
	v_pk_fma_f32 v[78:79], v[68:69], v[82:83], v[98:99] op_sel:[0,0,1] op_sel_hi:[1,1,0] neg_lo:[0,0,1] neg_hi:[0,0,1]
	v_pk_fma_f32 v[68:69], v[68:69], v[82:83], v[98:99] op_sel:[0,0,1] op_sel_hi:[1,0,0]
	v_mov_b32_e32 v77, v67
	v_pk_add_f32 v[2:3], v[2:3], v[74:75]
	s_waitcnt vmcnt(2)
	v_pk_fma_f32 v[80:81], v[70:71], v[84:85], v[100:101] op_sel:[0,0,1] op_sel_hi:[1,1,0] neg_lo:[0,0,1] neg_hi:[0,0,1]
	v_pk_fma_f32 v[70:71], v[70:71], v[84:85], v[100:101] op_sel:[0,0,1] op_sel_hi:[1,0,0]
	v_mov_b32_e32 v79, v69
	v_pk_add_f32 v[2:3], v[2:3], v[76:77]
	v_mov_b32_e32 v81, v71
	v_pk_add_f32 v[2:3], v[2:3], v[78:79]
	v_pk_add_f32 v[2:3], v[2:3], v[80:81]
	s_waitcnt vmcnt(0)
	v_pk_add_f32 v[2:3], v[86:87], v[2:3] neg_lo:[0,1] neg_hi:[0,1]
	buffer_store_dword v2, off, s[0:3], 0 offset:128
	buffer_store_dword v3, off, s[0:3], 0 offset:132
	s_and_saveexec_b64 s[4:5], vcc
	s_cbranch_execz .LBB88_133
; %bb.132:
	buffer_load_dword v2, off, s[0:3], 0 offset:120
	buffer_load_dword v3, off, s[0:3], 0 offset:124
	v_mov_b32_e32 v4, 0
	buffer_store_dword v4, off, s[0:3], 0 offset:120
	buffer_store_dword v4, off, s[0:3], 0 offset:124
	s_waitcnt vmcnt(2)
	ds_write_b64 v1, v[2:3]
.LBB88_133:
	s_or_b64 exec, exec, s[4:5]
	s_waitcnt lgkmcnt(0)
	; wave barrier
	s_waitcnt lgkmcnt(0)
	buffer_load_dword v3, off, s[0:3], 0 offset:132
	buffer_load_dword v9, off, s[0:3], 0 offset:140
	;; [unrolled: 1-line block ×20, first 2 shown]
	v_mov_b32_e32 v2, 0
	ds_read_b128 v[4:7], v2 offset:336
	ds_read_b128 v[60:63], v2 offset:352
	;; [unrolled: 1-line block ×4, first 2 shown]
	ds_read_b64 v[88:89], v2 offset:400
	v_cmp_lt_u32_e32 vcc, 14, v0
	s_waitcnt vmcnt(19) lgkmcnt(4)
	v_mul_f32_e32 v91, v4, v3
	v_mul_f32_e32 v3, v5, v3
	s_waitcnt vmcnt(18)
	v_mov_b32_e32 v92, v9
	s_waitcnt vmcnt(17)
	v_mov_b32_e32 v94, v73
	;; [unrolled: 2-line block ×8, first 2 shown]
	s_waitcnt vmcnt(10)
	v_fmac_f32_e32 v91, v5, v90
	v_fma_f32 v90, v4, v90, -v3
	v_pk_mul_f32 v[4:5], v[6:7], v[92:93] op_sel_hi:[1,0]
	s_waitcnt lgkmcnt(3)
	v_pk_mul_f32 v[92:93], v[60:61], v[94:95] op_sel_hi:[1,0]
	v_pk_mul_f32 v[94:95], v[62:63], v[96:97] op_sel_hi:[1,0]
	s_waitcnt lgkmcnt(2)
	v_pk_mul_f32 v[96:97], v[64:65], v[98:99] op_sel_hi:[1,0]
	;; [unrolled: 3-line block ×4, first 2 shown]
	s_waitcnt vmcnt(9)
	v_pk_fma_f32 v[106:107], v[6:7], v[8:9], v[4:5] op_sel:[0,0,1] op_sel_hi:[1,1,0] neg_lo:[0,0,1] neg_hi:[0,0,1]
	v_pk_fma_f32 v[4:5], v[6:7], v[8:9], v[4:5] op_sel:[0,0,1] op_sel_hi:[1,0,0]
	v_pk_add_f32 v[90:91], v[90:91], 0 op_sel_hi:[1,0]
	s_waitcnt vmcnt(8)
	v_pk_fma_f32 v[6:7], v[60:61], v[72:73], v[92:93] op_sel:[0,0,1] op_sel_hi:[1,1,0] neg_lo:[0,0,1] neg_hi:[0,0,1]
	v_pk_fma_f32 v[8:9], v[60:61], v[72:73], v[92:93] op_sel:[0,0,1] op_sel_hi:[1,0,0]
	v_mov_b32_e32 v107, v5
	s_waitcnt vmcnt(7)
	v_pk_fma_f32 v[60:61], v[62:63], v[74:75], v[94:95] op_sel:[0,0,1] op_sel_hi:[1,1,0] neg_lo:[0,0,1] neg_hi:[0,0,1]
	v_pk_fma_f32 v[62:63], v[62:63], v[74:75], v[94:95] op_sel:[0,0,1] op_sel_hi:[1,0,0]
	v_mov_b32_e32 v7, v9
	v_pk_add_f32 v[4:5], v[90:91], v[106:107]
	s_waitcnt vmcnt(6)
	v_pk_fma_f32 v[72:73], v[64:65], v[76:77], v[96:97] op_sel:[0,0,1] op_sel_hi:[1,1,0] neg_lo:[0,0,1] neg_hi:[0,0,1]
	v_pk_fma_f32 v[64:65], v[64:65], v[76:77], v[96:97] op_sel:[0,0,1] op_sel_hi:[1,0,0]
	v_mov_b32_e32 v61, v63
	v_pk_add_f32 v[4:5], v[4:5], v[6:7]
	;; [unrolled: 5-line block ×5, first 2 shown]
	v_pk_fma_f32 v[80:81], v[88:89], v[84:85], v[104:105] op_sel:[0,0,1] op_sel_hi:[1,1,0] neg_lo:[0,0,1] neg_hi:[0,0,1]
	v_pk_fma_f32 v[82:83], v[88:89], v[84:85], v[104:105] op_sel:[0,0,1] op_sel_hi:[1,0,0]
	v_mov_b32_e32 v79, v71
	v_pk_add_f32 v[4:5], v[4:5], v[76:77]
	v_mov_b32_e32 v81, v83
	v_pk_add_f32 v[4:5], v[4:5], v[78:79]
	v_pk_add_f32 v[4:5], v[4:5], v[80:81]
	s_waitcnt vmcnt(0)
	v_pk_add_f32 v[4:5], v[86:87], v[4:5] neg_lo:[0,1] neg_hi:[0,1]
	buffer_store_dword v4, off, s[0:3], 0 offset:120
	buffer_store_dword v5, off, s[0:3], 0 offset:124
	s_and_saveexec_b64 s[4:5], vcc
	s_cbranch_execz .LBB88_135
; %bb.134:
	buffer_load_dword v4, off, s[0:3], 0 offset:112
	buffer_load_dword v5, off, s[0:3], 0 offset:116
	s_waitcnt vmcnt(0)
	ds_write_b64 v1, v[4:5]
	buffer_store_dword v2, off, s[0:3], 0 offset:112
	buffer_store_dword v2, off, s[0:3], 0 offset:116
.LBB88_135:
	s_or_b64 exec, exec, s[4:5]
	s_waitcnt lgkmcnt(0)
	; wave barrier
	s_waitcnt lgkmcnt(0)
	buffer_load_dword v92, off, s[0:3], 0 offset:124
	buffer_load_dword v94, off, s[0:3], 0 offset:132
	;; [unrolled: 1-line block ×22, first 2 shown]
	ds_read2_b64 v[4:7], v2 offset0:41 offset1:42
	ds_read2_b64 v[60:63], v2 offset0:43 offset1:44
	;; [unrolled: 1-line block ×5, first 2 shown]
	v_cmp_lt_u32_e32 vcc, 13, v0
	s_waitcnt vmcnt(21) lgkmcnt(4)
	v_mul_f32_e32 v3, v4, v92
	s_waitcnt vmcnt(20)
	v_mul_f32_e32 v93, v6, v94
	v_mul_f32_e32 v2, v5, v92
	;; [unrolled: 1-line block ×3, first 2 shown]
	s_waitcnt vmcnt(19)
	v_mov_b32_e32 v94, v9
	s_waitcnt vmcnt(18)
	v_mov_b32_e32 v96, v77
	;; [unrolled: 2-line block ×5, first 2 shown]
	v_mov_b32_e32 v100, v81
	s_waitcnt vmcnt(11)
	v_fmac_f32_e32 v3, v5, v95
	v_fma_f32 v2, v4, v95, -v2
	s_waitcnt lgkmcnt(3)
	v_pk_mul_f32 v[4:5], v[60:61], v[94:95] op_sel_hi:[1,0]
	s_waitcnt vmcnt(10)
	v_fmac_f32_e32 v93, v7, v97
	v_fma_f32 v92, v6, v97, -v92
	v_pk_mul_f32 v[6:7], v[62:63], v[96:97] op_sel_hi:[1,0]
	s_waitcnt lgkmcnt(2)
	v_pk_mul_f32 v[94:95], v[64:65], v[98:99] op_sel_hi:[1,0]
	s_waitcnt lgkmcnt(1)
	;; [unrolled: 2-line block ×3, first 2 shown]
	v_pk_mul_f32 v[102:103], v[72:73], v[106:107] op_sel_hi:[1,0]
	v_pk_add_f32 v[2:3], v[2:3], 0 op_sel_hi:[1,0]
	s_waitcnt vmcnt(9)
	v_pk_fma_f32 v[106:107], v[60:61], v[8:9], v[4:5] op_sel:[0,0,1] op_sel_hi:[1,1,0] neg_lo:[0,0,1] neg_hi:[0,0,1]
	v_pk_fma_f32 v[4:5], v[60:61], v[8:9], v[4:5] op_sel:[0,0,1] op_sel_hi:[1,0,0]
	s_waitcnt vmcnt(8)
	v_pk_fma_f32 v[8:9], v[62:63], v[76:77], v[6:7] op_sel:[0,0,1] op_sel_hi:[1,1,0] neg_lo:[0,0,1] neg_hi:[0,0,1]
	v_pk_fma_f32 v[6:7], v[62:63], v[76:77], v[6:7] op_sel:[0,0,1] op_sel_hi:[1,0,0]
	v_pk_add_f32 v[2:3], v[2:3], v[92:93]
	v_mov_b32_e32 v107, v5
	v_pk_mul_f32 v[96:97], v[66:67], v[100:101] op_sel_hi:[1,0]
	s_waitcnt vmcnt(7)
	v_pk_fma_f32 v[60:61], v[64:65], v[78:79], v[94:95] op_sel:[0,0,1] op_sel_hi:[1,1,0] neg_lo:[0,0,1] neg_hi:[0,0,1]
	v_pk_fma_f32 v[62:63], v[64:65], v[78:79], v[94:95] op_sel:[0,0,1] op_sel_hi:[1,0,0]
	v_mov_b32_e32 v9, v7
	v_pk_add_f32 v[2:3], v[2:3], v[106:107]
	v_mov_b32_e32 v104, v85
	s_waitcnt vmcnt(6)
	v_pk_fma_f32 v[64:65], v[66:67], v[80:81], v[96:97] op_sel:[0,0,1] op_sel_hi:[1,1,0] neg_lo:[0,0,1] neg_hi:[0,0,1]
	v_pk_fma_f32 v[66:67], v[66:67], v[80:81], v[96:97] op_sel:[0,0,1] op_sel_hi:[1,0,0]
	v_mov_b32_e32 v61, v63
	v_pk_add_f32 v[2:3], v[2:3], v[8:9]
	v_pk_mul_f32 v[100:101], v[70:71], v[104:105] op_sel_hi:[1,0]
	s_waitcnt vmcnt(5)
	v_pk_fma_f32 v[76:77], v[68:69], v[82:83], v[98:99] op_sel:[0,0,1] op_sel_hi:[1,1,0] neg_lo:[0,0,1] neg_hi:[0,0,1]
	v_pk_fma_f32 v[68:69], v[68:69], v[82:83], v[98:99] op_sel:[0,0,1] op_sel_hi:[1,0,0]
	v_mov_b32_e32 v65, v67
	v_pk_add_f32 v[2:3], v[2:3], v[60:61]
	v_mov_b32_e32 v108, v89
	s_waitcnt vmcnt(2)
	v_pk_fma_f32 v[78:79], v[70:71], v[84:85], v[100:101] op_sel:[0,0,1] op_sel_hi:[1,1,0] neg_lo:[0,0,1] neg_hi:[0,0,1]
	v_pk_fma_f32 v[70:71], v[70:71], v[84:85], v[100:101] op_sel:[0,0,1] op_sel_hi:[1,0,0]
	v_mov_b32_e32 v77, v69
	v_pk_add_f32 v[2:3], v[2:3], v[64:65]
	v_pk_mul_f32 v[104:105], v[74:75], v[108:109] op_sel_hi:[1,0]
	v_pk_fma_f32 v[80:81], v[72:73], v[86:87], v[102:103] op_sel:[0,0,1] op_sel_hi:[1,1,0] neg_lo:[0,0,1] neg_hi:[0,0,1]
	v_pk_fma_f32 v[72:73], v[72:73], v[86:87], v[102:103] op_sel:[0,0,1] op_sel_hi:[1,0,0]
	v_mov_b32_e32 v79, v71
	v_pk_add_f32 v[2:3], v[2:3], v[76:77]
	v_pk_fma_f32 v[82:83], v[74:75], v[88:89], v[104:105] op_sel:[0,0,1] op_sel_hi:[1,1,0] neg_lo:[0,0,1] neg_hi:[0,0,1]
	v_pk_fma_f32 v[74:75], v[74:75], v[88:89], v[104:105] op_sel:[0,0,1] op_sel_hi:[1,0,0]
	v_mov_b32_e32 v81, v73
	v_pk_add_f32 v[2:3], v[2:3], v[78:79]
	v_mov_b32_e32 v83, v75
	v_pk_add_f32 v[2:3], v[2:3], v[80:81]
	v_pk_add_f32 v[2:3], v[2:3], v[82:83]
	s_waitcnt vmcnt(0)
	v_pk_add_f32 v[2:3], v[90:91], v[2:3] neg_lo:[0,1] neg_hi:[0,1]
	buffer_store_dword v2, off, s[0:3], 0 offset:112
	buffer_store_dword v3, off, s[0:3], 0 offset:116
	s_and_saveexec_b64 s[4:5], vcc
	s_cbranch_execz .LBB88_137
; %bb.136:
	buffer_load_dword v2, off, s[0:3], 0 offset:104
	buffer_load_dword v3, off, s[0:3], 0 offset:108
	v_mov_b32_e32 v4, 0
	buffer_store_dword v4, off, s[0:3], 0 offset:104
	buffer_store_dword v4, off, s[0:3], 0 offset:108
	s_waitcnt vmcnt(2)
	ds_write_b64 v1, v[2:3]
.LBB88_137:
	s_or_b64 exec, exec, s[4:5]
	s_waitcnt lgkmcnt(0)
	; wave barrier
	s_waitcnt lgkmcnt(0)
	buffer_load_dword v3, off, s[0:3], 0 offset:116
	buffer_load_dword v94, off, s[0:3], 0 offset:124
	;; [unrolled: 1-line block ×24, first 2 shown]
	v_mov_b32_e32 v2, 0
	ds_read_b128 v[4:7], v2 offset:320
	ds_read_b128 v[60:63], v2 offset:336
	;; [unrolled: 1-line block ×5, first 2 shown]
	ds_read_b64 v[92:93], v2 offset:400
	v_cmp_lt_u32_e32 vcc, 12, v0
	s_waitcnt vmcnt(23) lgkmcnt(5)
	v_mul_f32_e32 v107, v4, v3
	v_mul_f32_e32 v3, v5, v3
	s_waitcnt vmcnt(22)
	v_mul_f32_e32 v95, v6, v94
	s_waitcnt vmcnt(21) lgkmcnt(4)
	v_mul_f32_e32 v97, v60, v96
	v_mul_f32_e32 v94, v7, v94
	;; [unrolled: 1-line block ×3, first 2 shown]
	s_waitcnt vmcnt(20)
	v_mov_b32_e32 v98, v9
	s_waitcnt vmcnt(19)
	v_mov_b32_e32 v100, v77
	;; [unrolled: 2-line block ×5, first 2 shown]
	s_waitcnt vmcnt(12)
	v_fmac_f32_e32 v107, v5, v99
	v_fma_f32 v3, v4, v99, -v3
	v_mov_b32_e32 v108, v85
	s_waitcnt vmcnt(11)
	v_fmac_f32_e32 v95, v7, v101
	s_waitcnt vmcnt(10)
	v_fmac_f32_e32 v97, v61, v103
	v_fma_f32 v94, v6, v101, -v94
	v_fma_f32 v96, v60, v103, -v96
	v_pk_mul_f32 v[4:5], v[62:63], v[98:99] op_sel_hi:[1,0]
	s_waitcnt lgkmcnt(3)
	v_pk_mul_f32 v[6:7], v[64:65], v[100:101] op_sel_hi:[1,0]
	v_pk_mul_f32 v[60:61], v[66:67], v[102:103] op_sel_hi:[1,0]
	s_waitcnt lgkmcnt(2)
	v_pk_mul_f32 v[98:99], v[68:69], v[104:105] op_sel_hi:[1,0]
	v_pk_mul_f32 v[100:101], v[70:71], v[106:107] op_sel_hi:[1,0]
	v_add_f32_e32 v107, 0, v107
	v_add_f32_e32 v106, 0, v3
	s_waitcnt lgkmcnt(1)
	v_pk_mul_f32 v[102:103], v[72:73], v[108:109] op_sel_hi:[1,0]
	s_waitcnt vmcnt(9)
	v_pk_fma_f32 v[108:109], v[62:63], v[8:9], v[4:5] op_sel:[0,0,1] op_sel_hi:[1,1,0] neg_lo:[0,0,1] neg_hi:[0,0,1]
	v_pk_fma_f32 v[4:5], v[62:63], v[8:9], v[4:5] op_sel:[0,0,1] op_sel_hi:[1,0,0]
	s_waitcnt vmcnt(8)
	v_pk_fma_f32 v[8:9], v[64:65], v[76:77], v[6:7] op_sel:[0,0,1] op_sel_hi:[1,1,0] neg_lo:[0,0,1] neg_hi:[0,0,1]
	v_pk_fma_f32 v[6:7], v[64:65], v[76:77], v[6:7] op_sel:[0,0,1] op_sel_hi:[1,0,0]
	;; [unrolled: 3-line block ×4, first 2 shown]
	v_pk_add_f32 v[80:81], v[106:107], v[94:95]
	v_mov_b32_e32 v109, v5
	v_pk_add_f32 v[4:5], v[80:81], v[96:97]
	v_mov_b32_e32 v9, v7
	;; [unrolled: 2-line block ×4, first 2 shown]
	s_waitcnt vmcnt(2)
	v_pk_fma_f32 v[68:69], v[70:71], v[82:83], v[100:101] op_sel:[0,0,1] op_sel_hi:[1,1,0] neg_lo:[0,0,1] neg_hi:[0,0,1]
	v_pk_fma_f32 v[70:71], v[70:71], v[82:83], v[100:101] op_sel:[0,0,1] op_sel_hi:[1,0,0]
	v_mov_b32_e32 v65, v67
	v_pk_add_f32 v[4:5], v[4:5], v[62:63]
	v_mov_b32_e32 v112, v89
	v_pk_mul_f32 v[104:105], v[74:75], v[110:111] op_sel_hi:[1,0]
	v_pk_fma_f32 v[76:77], v[72:73], v[84:85], v[102:103] op_sel:[0,0,1] op_sel_hi:[1,1,0] neg_lo:[0,0,1] neg_hi:[0,0,1]
	v_pk_fma_f32 v[72:73], v[72:73], v[84:85], v[102:103] op_sel:[0,0,1] op_sel_hi:[1,0,0]
	v_mov_b32_e32 v69, v71
	v_pk_add_f32 v[4:5], v[4:5], v[64:65]
	v_pk_fma_f32 v[78:79], v[74:75], v[86:87], v[104:105] op_sel:[0,0,1] op_sel_hi:[1,1,0] neg_lo:[0,0,1] neg_hi:[0,0,1]
	v_pk_fma_f32 v[74:75], v[74:75], v[86:87], v[104:105] op_sel:[0,0,1] op_sel_hi:[1,0,0]
	v_mov_b32_e32 v77, v73
	v_pk_add_f32 v[4:5], v[4:5], v[68:69]
	s_waitcnt lgkmcnt(0)
	v_pk_mul_f32 v[6:7], v[92:93], v[112:113] op_sel_hi:[1,0]
	v_mov_b32_e32 v79, v75
	v_pk_add_f32 v[4:5], v[4:5], v[76:77]
	v_pk_fma_f32 v[8:9], v[92:93], v[88:89], v[6:7] op_sel:[0,0,1] op_sel_hi:[1,1,0] neg_lo:[0,0,1] neg_hi:[0,0,1]
	v_pk_fma_f32 v[6:7], v[92:93], v[88:89], v[6:7] op_sel:[0,0,1] op_sel_hi:[1,0,0]
	v_pk_add_f32 v[4:5], v[4:5], v[78:79]
	v_mov_b32_e32 v9, v7
	v_pk_add_f32 v[4:5], v[4:5], v[8:9]
	s_waitcnt vmcnt(0)
	v_pk_add_f32 v[4:5], v[90:91], v[4:5] neg_lo:[0,1] neg_hi:[0,1]
	buffer_store_dword v5, off, s[0:3], 0 offset:108
	buffer_store_dword v4, off, s[0:3], 0 offset:104
	s_and_saveexec_b64 s[4:5], vcc
	s_cbranch_execz .LBB88_139
; %bb.138:
	buffer_load_dword v4, off, s[0:3], 0 offset:96
	buffer_load_dword v5, off, s[0:3], 0 offset:100
	s_waitcnt vmcnt(0)
	ds_write_b64 v1, v[4:5]
	buffer_store_dword v2, off, s[0:3], 0 offset:96
	buffer_store_dword v2, off, s[0:3], 0 offset:100
.LBB88_139:
	s_or_b64 exec, exec, s[4:5]
	s_waitcnt lgkmcnt(0)
	; wave barrier
	s_waitcnt lgkmcnt(0)
	buffer_load_dword v96, off, s[0:3], 0 offset:108
	buffer_load_dword v98, off, s[0:3], 0 offset:116
	;; [unrolled: 1-line block ×26, first 2 shown]
	ds_read2_b64 v[4:7], v2 offset0:39 offset1:40
	ds_read2_b64 v[60:63], v2 offset0:41 offset1:42
	;; [unrolled: 1-line block ×6, first 2 shown]
	v_cmp_lt_u32_e32 vcc, 11, v0
	s_waitcnt vmcnt(25) lgkmcnt(5)
	v_mul_f32_e32 v109, v4, v96
	v_mul_f32_e32 v2, v5, v96
	s_waitcnt vmcnt(24)
	v_mul_f32_e32 v110, v6, v98
	s_waitcnt vmcnt(23) lgkmcnt(4)
	v_mul_f32_e32 v3, v60, v99
	s_waitcnt vmcnt(22)
	v_mul_f32_e32 v97, v62, v100
	v_mul_f32_e32 v96, v7, v98
	;; [unrolled: 1-line block ×4, first 2 shown]
	s_waitcnt vmcnt(21)
	v_mov_b32_e32 v98, v9
	s_waitcnt vmcnt(20)
	v_mov_b32_e32 v100, v81
	;; [unrolled: 2-line block ×3, first 2 shown]
	s_waitcnt vmcnt(15)
	v_fmac_f32_e32 v109, v5, v101
	v_fma_f32 v112, v4, v101, -v2
	v_mov_b32_e32 v102, v83
	s_waitcnt vmcnt(14)
	v_fmac_f32_e32 v110, v7, v103
	s_waitcnt vmcnt(13)
	v_fmac_f32_e32 v3, v61, v105
	;; [unrolled: 2-line block ×3, first 2 shown]
	v_fma_f32 v113, v6, v103, -v96
	v_fma_f32 v2, v60, v105, -v99
	;; [unrolled: 1-line block ×3, first 2 shown]
	s_waitcnt lgkmcnt(3)
	v_pk_mul_f32 v[4:5], v[64:65], v[98:99] op_sel_hi:[1,0]
	v_pk_mul_f32 v[6:7], v[66:67], v[100:101] op_sel_hi:[1,0]
	s_waitcnt lgkmcnt(2)
	v_pk_mul_f32 v[62:63], v[70:71], v[104:105] op_sel_hi:[1,0]
	v_add_f32_e32 v104, 0, v109
	v_add_f32_e32 v105, 0, v112
	v_pk_mul_f32 v[60:61], v[68:69], v[102:103] op_sel_hi:[1,0]
	s_waitcnt vmcnt(11)
	v_pk_fma_f32 v[102:103], v[64:65], v[8:9], v[4:5] op_sel:[0,0,1] op_sel_hi:[1,1,0] neg_lo:[0,0,1] neg_hi:[0,0,1]
	v_pk_fma_f32 v[4:5], v[64:65], v[8:9], v[4:5] op_sel:[0,0,1] op_sel_hi:[1,0,0]
	s_waitcnt vmcnt(10)
	v_pk_fma_f32 v[8:9], v[66:67], v[80:81], v[6:7] op_sel:[0,0,1] op_sel_hi:[1,1,0] neg_lo:[0,0,1] neg_hi:[0,0,1]
	v_pk_fma_f32 v[6:7], v[66:67], v[80:81], v[6:7] op_sel:[0,0,1] op_sel_hi:[1,0,0]
	v_add_f32_e32 v81, v104, v110
	v_add_f32_e32 v80, v105, v113
	v_pk_add_f32 v[2:3], v[80:81], v[2:3]
	v_mov_b32_e32 v103, v5
	v_pk_add_f32 v[2:3], v[2:3], v[96:97]
	v_mov_b32_e32 v106, v87
	s_waitcnt vmcnt(9)
	v_pk_fma_f32 v[64:65], v[68:69], v[82:83], v[60:61] op_sel:[0,0,1] op_sel_hi:[1,1,0] neg_lo:[0,0,1] neg_hi:[0,0,1]
	v_pk_fma_f32 v[60:61], v[68:69], v[82:83], v[60:61] op_sel:[0,0,1] op_sel_hi:[1,0,0]
	v_mov_b32_e32 v9, v7
	v_pk_add_f32 v[2:3], v[2:3], v[102:103]
	v_mov_b32_e32 v108, v89
	s_waitcnt lgkmcnt(1)
	v_pk_mul_f32 v[98:99], v[72:73], v[106:107] op_sel_hi:[1,0]
	s_waitcnt vmcnt(5)
	v_pk_fma_f32 v[66:67], v[70:71], v[84:85], v[62:63] op_sel:[0,0,1] op_sel_hi:[1,1,0] neg_lo:[0,0,1] neg_hi:[0,0,1]
	v_pk_fma_f32 v[62:63], v[70:71], v[84:85], v[62:63] op_sel:[0,0,1] op_sel_hi:[1,0,0]
	v_mov_b32_e32 v65, v61
	v_pk_add_f32 v[2:3], v[2:3], v[8:9]
	s_waitcnt vmcnt(4)
	v_mov_b32_e32 v4, v91
	v_pk_mul_f32 v[100:101], v[74:75], v[108:109] op_sel_hi:[1,0]
	v_pk_fma_f32 v[68:69], v[72:73], v[86:87], v[98:99] op_sel:[0,0,1] op_sel_hi:[1,1,0] neg_lo:[0,0,1] neg_hi:[0,0,1]
	v_pk_fma_f32 v[70:71], v[72:73], v[86:87], v[98:99] op_sel:[0,0,1] op_sel_hi:[1,0,0]
	v_mov_b32_e32 v67, v63
	v_pk_add_f32 v[2:3], v[2:3], v[64:65]
	s_waitcnt lgkmcnt(0)
	v_pk_mul_f32 v[4:5], v[76:77], v[4:5] op_sel_hi:[1,0]
	v_pk_fma_f32 v[72:73], v[74:75], v[88:89], v[100:101] op_sel:[0,0,1] op_sel_hi:[1,1,0] neg_lo:[0,0,1] neg_hi:[0,0,1]
	v_pk_fma_f32 v[74:75], v[74:75], v[88:89], v[100:101] op_sel:[0,0,1] op_sel_hi:[1,0,0]
	v_mov_b32_e32 v69, v71
	v_pk_add_f32 v[2:3], v[2:3], v[66:67]
	v_pk_fma_f32 v[6:7], v[76:77], v[90:91], v[4:5] op_sel:[0,0,1] op_sel_hi:[1,1,0] neg_lo:[0,0,1] neg_hi:[0,0,1]
	v_pk_fma_f32 v[4:5], v[76:77], v[90:91], v[4:5] op_sel:[0,0,1] op_sel_hi:[1,0,0]
	v_mov_b32_e32 v73, v75
	v_pk_add_f32 v[2:3], v[2:3], v[68:69]
	s_waitcnt vmcnt(3)
	v_mov_b32_e32 v4, v93
	v_pk_add_f32 v[2:3], v[2:3], v[72:73]
	v_mov_b32_e32 v7, v5
	v_pk_mul_f32 v[4:5], v[78:79], v[4:5] op_sel_hi:[1,0]
	v_pk_add_f32 v[2:3], v[2:3], v[6:7]
	s_waitcnt vmcnt(2)
	v_pk_fma_f32 v[6:7], v[78:79], v[92:93], v[4:5] op_sel:[0,0,1] op_sel_hi:[1,1,0] neg_lo:[0,0,1] neg_hi:[0,0,1]
	v_pk_fma_f32 v[4:5], v[78:79], v[92:93], v[4:5] op_sel:[0,0,1] op_sel_hi:[1,0,0]
	v_mov_b32_e32 v7, v5
	v_pk_add_f32 v[2:3], v[2:3], v[6:7]
	s_waitcnt vmcnt(0)
	v_pk_add_f32 v[2:3], v[94:95], v[2:3] neg_lo:[0,1] neg_hi:[0,1]
	buffer_store_dword v3, off, s[0:3], 0 offset:100
	buffer_store_dword v2, off, s[0:3], 0 offset:96
	s_and_saveexec_b64 s[4:5], vcc
	s_cbranch_execz .LBB88_141
; %bb.140:
	buffer_load_dword v2, off, s[0:3], 0 offset:88
	buffer_load_dword v3, off, s[0:3], 0 offset:92
	v_mov_b32_e32 v4, 0
	buffer_store_dword v4, off, s[0:3], 0 offset:88
	buffer_store_dword v4, off, s[0:3], 0 offset:92
	s_waitcnt vmcnt(2)
	ds_write_b64 v1, v[2:3]
.LBB88_141:
	s_or_b64 exec, exec, s[4:5]
	s_waitcnt lgkmcnt(0)
	; wave barrier
	s_waitcnt lgkmcnt(0)
	buffer_load_dword v3, off, s[0:3], 0 offset:100
	buffer_load_dword v98, off, s[0:3], 0 offset:108
	;; [unrolled: 1-line block ×28, first 2 shown]
	v_mov_b32_e32 v2, 0
	ds_read_b128 v[4:7], v2 offset:304
	ds_read_b128 v[60:63], v2 offset:320
	;; [unrolled: 1-line block ×6, first 2 shown]
	ds_read_b64 v[96:97], v2 offset:400
	v_cmp_lt_u32_e32 vcc, 10, v0
	s_waitcnt vmcnt(27) lgkmcnt(6)
	v_mul_f32_e32 v113, v4, v3
	v_mul_f32_e32 v3, v5, v3
	s_waitcnt vmcnt(26)
	v_mul_f32_e32 v114, v6, v98
	s_waitcnt vmcnt(24) lgkmcnt(5)
	v_mul_f32_e32 v99, v62, v102
	s_waitcnt vmcnt(23) lgkmcnt(4)
	v_mul_f32_e32 v101, v64, v103
	v_mul_f32_e32 v116, v63, v102
	;; [unrolled: 1-line block ×3, first 2 shown]
	s_waitcnt vmcnt(22)
	v_mov_b32_e32 v102, v9
	v_mul_f32_e32 v115, v60, v100
	v_mul_f32_e32 v98, v7, v98
	;; [unrolled: 1-line block ×3, first 2 shown]
	s_waitcnt vmcnt(17)
	v_fmac_f32_e32 v113, v5, v105
	v_fma_f32 v3, v4, v105, -v3
	v_pk_mul_f32 v[4:5], v[66:67], v[102:103] op_sel_hi:[1,0]
	s_waitcnt vmcnt(16)
	v_fmac_f32_e32 v114, v7, v107
	s_waitcnt vmcnt(13)
	v_fmac_f32_e32 v101, v65, v112
	v_fma_f32 v105, v6, v107, -v98
	v_fma_f32 v107, v60, v109, -v100
	;; [unrolled: 1-line block ×3, first 2 shown]
	v_add_f32_e32 v102, 0, v113
	v_add_f32_e32 v3, 0, v3
	s_waitcnt vmcnt(12)
	v_pk_fma_f32 v[64:65], v[66:67], v[8:9], v[4:5] op_sel:[0,0,1] op_sel_hi:[1,1,0] neg_lo:[0,0,1] neg_hi:[0,0,1]
	v_pk_fma_f32 v[4:5], v[66:67], v[8:9], v[4:5] op_sel:[0,0,1] op_sel_hi:[1,0,0]
	v_fmac_f32_e32 v115, v61, v109
	v_add_f32_e32 v4, v102, v114
	v_add_f32_e32 v3, v3, v105
	v_mov_b32_e32 v104, v81
	v_fmac_f32_e32 v99, v63, v111
	v_fma_f32 v98, v62, v111, -v116
	v_mov_b32_e32 v65, v5
	v_add_f32_e32 v5, v4, v115
	v_add_f32_e32 v4, v3, v107
	v_mov_b32_e32 v106, v83
	s_waitcnt lgkmcnt(3)
	v_pk_mul_f32 v[6:7], v[68:69], v[104:105] op_sel_hi:[1,0]
	v_pk_add_f32 v[4:5], v[4:5], v[98:99]
	v_mov_b32_e32 v108, v85
	v_mov_b32_e32 v110, v87
	v_pk_mul_f32 v[60:61], v[70:71], v[106:107] op_sel_hi:[1,0]
	s_waitcnt vmcnt(11)
	v_pk_fma_f32 v[8:9], v[68:69], v[80:81], v[6:7] op_sel:[0,0,1] op_sel_hi:[1,1,0] neg_lo:[0,0,1] neg_hi:[0,0,1]
	v_pk_fma_f32 v[6:7], v[68:69], v[80:81], v[6:7] op_sel:[0,0,1] op_sel_hi:[1,0,0]
	v_pk_add_f32 v[4:5], v[4:5], v[100:101]
	s_waitcnt lgkmcnt(2)
	v_pk_mul_f32 v[62:63], v[72:73], v[108:109] op_sel_hi:[1,0]
	s_waitcnt vmcnt(7)
	v_pk_fma_f32 v[66:67], v[70:71], v[82:83], v[60:61] op_sel:[0,0,1] op_sel_hi:[1,1,0] neg_lo:[0,0,1] neg_hi:[0,0,1]
	v_pk_fma_f32 v[60:61], v[70:71], v[82:83], v[60:61] op_sel:[0,0,1] op_sel_hi:[1,0,0]
	v_mov_b32_e32 v9, v7
	v_pk_add_f32 v[4:5], v[4:5], v[64:65]
	v_pk_mul_f32 v[6:7], v[74:75], v[110:111] op_sel_hi:[1,0]
	v_pk_fma_f32 v[68:69], v[72:73], v[84:85], v[62:63] op_sel:[0,0,1] op_sel_hi:[1,1,0] neg_lo:[0,0,1] neg_hi:[0,0,1]
	v_pk_fma_f32 v[62:63], v[72:73], v[84:85], v[62:63] op_sel:[0,0,1] op_sel_hi:[1,0,0]
	v_mov_b32_e32 v67, v61
	v_pk_add_f32 v[4:5], v[4:5], v[8:9]
	v_pk_fma_f32 v[8:9], v[74:75], v[86:87], v[6:7] op_sel:[0,0,1] op_sel_hi:[1,1,0] neg_lo:[0,0,1] neg_hi:[0,0,1]
	v_pk_fma_f32 v[6:7], v[74:75], v[86:87], v[6:7] op_sel:[0,0,1] op_sel_hi:[1,0,0]
	v_mov_b32_e32 v69, v63
	v_pk_add_f32 v[4:5], v[4:5], v[66:67]
	s_waitcnt vmcnt(6)
	v_mov_b32_e32 v6, v89
	v_pk_add_f32 v[4:5], v[4:5], v[68:69]
	v_mov_b32_e32 v9, v7
	s_waitcnt lgkmcnt(1)
	v_pk_mul_f32 v[6:7], v[76:77], v[6:7] op_sel_hi:[1,0]
	v_pk_add_f32 v[4:5], v[4:5], v[8:9]
	v_pk_fma_f32 v[8:9], v[76:77], v[88:89], v[6:7] op_sel:[0,0,1] op_sel_hi:[1,1,0] neg_lo:[0,0,1] neg_hi:[0,0,1]
	v_pk_fma_f32 v[6:7], v[76:77], v[88:89], v[6:7] op_sel:[0,0,1] op_sel_hi:[1,0,0]
	s_waitcnt vmcnt(5)
	v_mov_b32_e32 v6, v91
	v_mov_b32_e32 v9, v7
	v_pk_mul_f32 v[6:7], v[78:79], v[6:7] op_sel_hi:[1,0]
	v_pk_add_f32 v[4:5], v[4:5], v[8:9]
	s_waitcnt vmcnt(3)
	v_pk_fma_f32 v[8:9], v[78:79], v[90:91], v[6:7] op_sel:[0,0,1] op_sel_hi:[1,1,0] neg_lo:[0,0,1] neg_hi:[0,0,1]
	v_pk_fma_f32 v[6:7], v[78:79], v[90:91], v[6:7] op_sel:[0,0,1] op_sel_hi:[1,0,0]
	s_waitcnt vmcnt(2)
	v_mov_b32_e32 v6, v93
	v_mov_b32_e32 v9, v7
	s_waitcnt lgkmcnt(0)
	v_pk_mul_f32 v[6:7], v[96:97], v[6:7] op_sel_hi:[1,0]
	v_pk_add_f32 v[4:5], v[4:5], v[8:9]
	v_pk_fma_f32 v[8:9], v[96:97], v[92:93], v[6:7] op_sel:[0,0,1] op_sel_hi:[1,1,0] neg_lo:[0,0,1] neg_hi:[0,0,1]
	v_pk_fma_f32 v[6:7], v[96:97], v[92:93], v[6:7] op_sel:[0,0,1] op_sel_hi:[1,0,0]
	v_mov_b32_e32 v9, v7
	v_pk_add_f32 v[4:5], v[4:5], v[8:9]
	s_waitcnt vmcnt(0)
	v_pk_add_f32 v[4:5], v[94:95], v[4:5] neg_lo:[0,1] neg_hi:[0,1]
	buffer_store_dword v5, off, s[0:3], 0 offset:92
	buffer_store_dword v4, off, s[0:3], 0 offset:88
	s_and_saveexec_b64 s[4:5], vcc
	s_cbranch_execz .LBB88_143
; %bb.142:
	buffer_load_dword v4, off, s[0:3], 0 offset:80
	buffer_load_dword v5, off, s[0:3], 0 offset:84
	s_waitcnt vmcnt(0)
	ds_write_b64 v1, v[4:5]
	buffer_store_dword v2, off, s[0:3], 0 offset:80
	buffer_store_dword v2, off, s[0:3], 0 offset:84
.LBB88_143:
	s_or_b64 exec, exec, s[4:5]
	s_waitcnt lgkmcnt(0)
	; wave barrier
	s_waitcnt lgkmcnt(0)
	buffer_load_dword v100, off, s[0:3], 0 offset:92
	buffer_load_dword v102, off, s[0:3], 0 offset:100
	;; [unrolled: 1-line block ×30, first 2 shown]
	ds_read2_b64 v[4:7], v2 offset0:37 offset1:38
	ds_read2_b64 v[60:63], v2 offset0:39 offset1:40
	ds_read2_b64 v[64:67], v2 offset0:41 offset1:42
	ds_read2_b64 v[68:71], v2 offset0:43 offset1:44
	ds_read2_b64 v[72:75], v2 offset0:45 offset1:46
	ds_read2_b64 v[76:79], v2 offset0:47 offset1:48
	ds_read2_b64 v[80:83], v2 offset0:49 offset1:50
	v_cmp_lt_u32_e32 vcc, 9, v0
	s_waitcnt vmcnt(29) lgkmcnt(6)
	v_mul_f32_e32 v113, v4, v100
	s_waitcnt vmcnt(28)
	v_mul_f32_e32 v114, v6, v102
	s_waitcnt vmcnt(27) lgkmcnt(5)
	v_mul_f32_e32 v115, v60, v103
	v_mul_f32_e32 v103, v61, v103
	s_waitcnt vmcnt(26)
	v_mul_f32_e32 v116, v62, v104
	s_waitcnt vmcnt(25) lgkmcnt(4)
	v_mul_f32_e32 v3, v64, v105
	s_waitcnt vmcnt(24)
	v_mul_f32_e32 v101, v66, v106
	v_mul_f32_e32 v2, v5, v100
	;; [unrolled: 1-line block ×5, first 2 shown]
	s_waitcnt vmcnt(23)
	v_mov_b32_e32 v102, v9
	s_waitcnt vmcnt(22)
	v_mov_b32_e32 v104, v85
	s_waitcnt vmcnt(18)
	v_fma_f32 v103, v60, v109, -v103
	v_mul_f32_e32 v118, v67, v106
	v_fmac_f32_e32 v113, v5, v107
	v_fmac_f32_e32 v114, v7, v108
	s_waitcnt vmcnt(17)
	v_fmac_f32_e32 v116, v63, v110
	s_waitcnt vmcnt(15)
	v_fmac_f32_e32 v101, v67, v112
	v_fma_f32 v63, v4, v107, -v2
	v_fma_f32 v67, v6, v108, -v100
	s_waitcnt lgkmcnt(3)
	v_pk_mul_f32 v[4:5], v[68:69], v[102:103] op_sel_hi:[1,0]
	v_pk_mul_f32 v[6:7], v[70:71], v[104:105] op_sel_hi:[1,0]
	v_fma_f32 v107, v62, v110, -v117
	v_fma_f32 v100, v66, v112, -v118
	v_add_f32_e32 v66, 0, v113
	v_add_f32_e32 v102, 0, v63
	s_waitcnt vmcnt(14)
	v_pk_fma_f32 v[62:63], v[68:69], v[8:9], v[4:5] op_sel:[0,0,1] op_sel_hi:[1,1,0] neg_lo:[0,0,1] neg_hi:[0,0,1]
	v_pk_fma_f32 v[4:5], v[68:69], v[8:9], v[4:5] op_sel:[0,0,1] op_sel_hi:[1,0,0]
	s_waitcnt vmcnt(10)
	v_pk_fma_f32 v[8:9], v[70:71], v[84:85], v[6:7] op_sel:[0,0,1] op_sel_hi:[1,1,0] neg_lo:[0,0,1] neg_hi:[0,0,1]
	v_pk_fma_f32 v[6:7], v[70:71], v[84:85], v[6:7] op_sel:[0,0,1] op_sel_hi:[1,0,0]
	v_fmac_f32_e32 v115, v61, v109
	v_add_f32_e32 v4, v66, v114
	v_add_f32_e32 v6, v102, v67
	;; [unrolled: 1-line block ×4, first 2 shown]
	v_fmac_f32_e32 v3, v65, v111
	v_fma_f32 v2, v64, v111, -v105
	v_mov_b32_e32 v63, v5
	v_add_f32_e32 v5, v4, v116
	v_add_f32_e32 v4, v6, v107
	v_mov_b32_e32 v106, v87
	v_pk_add_f32 v[2:3], v[4:5], v[2:3]
	s_waitcnt vmcnt(9)
	v_mov_b32_e32 v4, v91
	s_waitcnt lgkmcnt(2)
	v_pk_mul_f32 v[60:61], v[72:73], v[106:107] op_sel_hi:[1,0]
	v_pk_add_f32 v[2:3], v[2:3], v[100:101]
	v_pk_mul_f32 v[4:5], v[74:75], v[4:5] op_sel_hi:[1,0]
	v_pk_fma_f32 v[64:65], v[72:73], v[86:87], v[60:61] op_sel:[0,0,1] op_sel_hi:[1,1,0] neg_lo:[0,0,1] neg_hi:[0,0,1]
	v_pk_fma_f32 v[60:61], v[72:73], v[86:87], v[60:61] op_sel:[0,0,1] op_sel_hi:[1,0,0]
	v_mov_b32_e32 v9, v7
	v_pk_add_f32 v[2:3], v[2:3], v[62:63]
	v_pk_fma_f32 v[6:7], v[74:75], v[90:91], v[4:5] op_sel:[0,0,1] op_sel_hi:[1,1,0] neg_lo:[0,0,1] neg_hi:[0,0,1]
	v_pk_fma_f32 v[4:5], v[74:75], v[90:91], v[4:5] op_sel:[0,0,1] op_sel_hi:[1,0,0]
	v_mov_b32_e32 v65, v61
	v_pk_add_f32 v[2:3], v[2:3], v[8:9]
	s_waitcnt vmcnt(8)
	v_mov_b32_e32 v4, v89
	v_pk_add_f32 v[2:3], v[2:3], v[64:65]
	v_mov_b32_e32 v7, v5
	s_waitcnt lgkmcnt(1)
	v_pk_mul_f32 v[4:5], v[76:77], v[4:5] op_sel_hi:[1,0]
	v_pk_add_f32 v[2:3], v[2:3], v[6:7]
	v_pk_fma_f32 v[6:7], v[76:77], v[88:89], v[4:5] op_sel:[0,0,1] op_sel_hi:[1,1,0] neg_lo:[0,0,1] neg_hi:[0,0,1]
	v_pk_fma_f32 v[4:5], v[76:77], v[88:89], v[4:5] op_sel:[0,0,1] op_sel_hi:[1,0,0]
	s_waitcnt vmcnt(7)
	v_mov_b32_e32 v4, v93
	v_mov_b32_e32 v7, v5
	v_pk_mul_f32 v[4:5], v[78:79], v[4:5] op_sel_hi:[1,0]
	v_pk_add_f32 v[2:3], v[2:3], v[6:7]
	s_waitcnt vmcnt(4)
	v_pk_fma_f32 v[6:7], v[78:79], v[92:93], v[4:5] op_sel:[0,0,1] op_sel_hi:[1,1,0] neg_lo:[0,0,1] neg_hi:[0,0,1]
	v_pk_fma_f32 v[4:5], v[78:79], v[92:93], v[4:5] op_sel:[0,0,1] op_sel_hi:[1,0,0]
	s_waitcnt vmcnt(3)
	v_mov_b32_e32 v4, v97
	v_mov_b32_e32 v7, v5
	s_waitcnt lgkmcnt(0)
	v_pk_mul_f32 v[4:5], v[80:81], v[4:5] op_sel_hi:[1,0]
	v_pk_add_f32 v[2:3], v[2:3], v[6:7]
	v_pk_fma_f32 v[6:7], v[80:81], v[96:97], v[4:5] op_sel:[0,0,1] op_sel_hi:[1,1,0] neg_lo:[0,0,1] neg_hi:[0,0,1]
	v_pk_fma_f32 v[4:5], v[80:81], v[96:97], v[4:5] op_sel:[0,0,1] op_sel_hi:[1,0,0]
	s_waitcnt vmcnt(0)
	v_mov_b32_e32 v4, v95
	v_mov_b32_e32 v7, v5
	v_pk_mul_f32 v[4:5], v[82:83], v[4:5] op_sel_hi:[1,0]
	v_pk_add_f32 v[2:3], v[2:3], v[6:7]
	v_pk_fma_f32 v[6:7], v[82:83], v[94:95], v[4:5] op_sel:[0,0,1] op_sel_hi:[1,1,0] neg_lo:[0,0,1] neg_hi:[0,0,1]
	v_pk_fma_f32 v[4:5], v[82:83], v[94:95], v[4:5] op_sel:[0,0,1] op_sel_hi:[1,0,0]
	v_mov_b32_e32 v7, v5
	v_pk_add_f32 v[2:3], v[2:3], v[6:7]
	v_pk_add_f32 v[2:3], v[98:99], v[2:3] neg_lo:[0,1] neg_hi:[0,1]
	buffer_store_dword v3, off, s[0:3], 0 offset:84
	buffer_store_dword v2, off, s[0:3], 0 offset:80
	s_and_saveexec_b64 s[4:5], vcc
	s_cbranch_execz .LBB88_145
; %bb.144:
	buffer_load_dword v2, off, s[0:3], 0 offset:72
	buffer_load_dword v3, off, s[0:3], 0 offset:76
	v_mov_b32_e32 v4, 0
	buffer_store_dword v4, off, s[0:3], 0 offset:72
	buffer_store_dword v4, off, s[0:3], 0 offset:76
	s_waitcnt vmcnt(2)
	ds_write_b64 v1, v[2:3]
.LBB88_145:
	s_or_b64 exec, exec, s[4:5]
	s_waitcnt lgkmcnt(0)
	; wave barrier
	s_waitcnt lgkmcnt(0)
	buffer_load_dword v3, off, s[0:3], 0 offset:84
	buffer_load_dword v102, off, s[0:3], 0 offset:92
	;; [unrolled: 1-line block ×32, first 2 shown]
	v_mov_b32_e32 v2, 0
	ds_read_b128 v[4:7], v2 offset:288
	ds_read_b128 v[60:63], v2 offset:304
	;; [unrolled: 1-line block ×7, first 2 shown]
	ds_read_b64 v[100:101], v2 offset:400
	v_cmp_lt_u32_e32 vcc, 8, v0
	s_waitcnt vmcnt(31) lgkmcnt(7)
	v_mul_f32_e32 v117, v4, v3
	v_mul_f32_e32 v3, v5, v3
	s_waitcnt vmcnt(30)
	v_mul_f32_e32 v118, v6, v102
	s_waitcnt vmcnt(28) lgkmcnt(6)
	v_mul_f32_e32 v120, v62, v106
	s_waitcnt vmcnt(27) lgkmcnt(5)
	v_mul_f32_e32 v121, v64, v107
	v_mul_f32_e32 v122, v63, v106
	;; [unrolled: 1-line block ×3, first 2 shown]
	s_waitcnt vmcnt(24)
	v_mov_b32_e32 v106, v9
	v_mul_f32_e32 v119, v60, v104
	v_mul_f32_e32 v102, v7, v102
	s_waitcnt vmcnt(22)
	v_fmac_f32_e32 v117, v5, v110
	v_fma_f32 v3, v4, v110, -v3
	s_waitcnt lgkmcnt(4)
	v_pk_mul_f32 v[4:5], v[70:71], v[106:107] op_sel_hi:[1,0]
	v_mul_f32_e32 v104, v61, v104
	s_waitcnt vmcnt(21)
	v_fmac_f32_e32 v118, v7, v111
	s_waitcnt vmcnt(20)
	v_fmac_f32_e32 v119, v61, v112
	;; [unrolled: 2-line block ×3, first 2 shown]
	v_fma_f32 v61, v6, v111, -v102
	s_waitcnt vmcnt(18)
	v_fma_f32 v63, v64, v114, -v107
	v_add_f32_e32 v64, 0, v117
	v_add_f32_e32 v3, 0, v3
	s_waitcnt vmcnt(12)
	v_pk_fma_f32 v[6:7], v[70:71], v[8:9], v[4:5] op_sel:[0,0,1] op_sel_hi:[1,1,0] neg_lo:[0,0,1] neg_hi:[0,0,1]
	v_pk_fma_f32 v[4:5], v[70:71], v[8:9], v[4:5] op_sel:[0,0,1] op_sel_hi:[1,0,0]
	v_fma_f32 v60, v60, v112, -v104
	v_add_f32_e32 v4, v64, v118
	v_add_f32_e32 v3, v3, v61
	v_fma_f32 v62, v62, v113, -v122
	v_add_f32_e32 v4, v4, v119
	v_add_f32_e32 v3, v3, v60
	v_mul_f32_e32 v103, v66, v108
	v_mul_f32_e32 v123, v67, v108
	v_fmac_f32_e32 v121, v65, v114
	v_add_f32_e32 v4, v4, v120
	v_add_f32_e32 v3, v3, v62
	v_mul_f32_e32 v105, v68, v109
	v_mul_f32_e32 v109, v69, v109
	v_fmac_f32_e32 v103, v67, v115
	v_fma_f32 v102, v66, v115, -v123
	v_mov_b32_e32 v7, v5
	v_add_f32_e32 v5, v4, v121
	v_add_f32_e32 v4, v3, v63
	v_fmac_f32_e32 v105, v69, v116
	v_fma_f32 v104, v68, v116, -v109
	v_pk_add_f32 v[4:5], v[4:5], v[102:103]
	v_mov_b32_e32 v108, v85
	v_pk_add_f32 v[4:5], v[4:5], v[104:105]
	v_pk_add_f32 v[4:5], v[4:5], v[6:7]
	s_waitcnt lgkmcnt(3)
	v_pk_mul_f32 v[6:7], v[72:73], v[108:109] op_sel_hi:[1,0]
	v_pk_fma_f32 v[8:9], v[72:73], v[84:85], v[6:7] op_sel:[0,0,1] op_sel_hi:[1,1,0] neg_lo:[0,0,1] neg_hi:[0,0,1]
	v_pk_fma_f32 v[6:7], v[72:73], v[84:85], v[6:7] op_sel:[0,0,1] op_sel_hi:[1,0,0]
	s_waitcnt vmcnt(11)
	v_mov_b32_e32 v6, v89
	v_mov_b32_e32 v9, v7
	v_pk_mul_f32 v[6:7], v[74:75], v[6:7] op_sel_hi:[1,0]
	v_pk_add_f32 v[4:5], v[4:5], v[8:9]
	v_pk_fma_f32 v[8:9], v[74:75], v[88:89], v[6:7] op_sel:[0,0,1] op_sel_hi:[1,1,0] neg_lo:[0,0,1] neg_hi:[0,0,1]
	v_pk_fma_f32 v[6:7], v[74:75], v[88:89], v[6:7] op_sel:[0,0,1] op_sel_hi:[1,0,0]
	s_waitcnt vmcnt(10)
	v_mov_b32_e32 v6, v87
	v_mov_b32_e32 v9, v7
	s_waitcnt lgkmcnt(2)
	v_pk_mul_f32 v[6:7], v[76:77], v[6:7] op_sel_hi:[1,0]
	v_pk_add_f32 v[4:5], v[4:5], v[8:9]
	v_pk_fma_f32 v[8:9], v[76:77], v[86:87], v[6:7] op_sel:[0,0,1] op_sel_hi:[1,1,0] neg_lo:[0,0,1] neg_hi:[0,0,1]
	v_pk_fma_f32 v[6:7], v[76:77], v[86:87], v[6:7] op_sel:[0,0,1] op_sel_hi:[1,0,0]
	s_waitcnt vmcnt(9)
	v_mov_b32_e32 v6, v91
	v_mov_b32_e32 v9, v7
	v_pk_mul_f32 v[6:7], v[78:79], v[6:7] op_sel_hi:[1,0]
	v_pk_add_f32 v[4:5], v[4:5], v[8:9]
	s_waitcnt vmcnt(4)
	v_pk_fma_f32 v[8:9], v[78:79], v[90:91], v[6:7] op_sel:[0,0,1] op_sel_hi:[1,1,0] neg_lo:[0,0,1] neg_hi:[0,0,1]
	v_pk_fma_f32 v[6:7], v[78:79], v[90:91], v[6:7] op_sel:[0,0,1] op_sel_hi:[1,0,0]
	v_mov_b32_e32 v6, v97
	v_mov_b32_e32 v9, v7
	s_waitcnt lgkmcnt(1)
	v_pk_mul_f32 v[6:7], v[80:81], v[6:7] op_sel_hi:[1,0]
	v_pk_add_f32 v[4:5], v[4:5], v[8:9]
	v_pk_fma_f32 v[8:9], v[80:81], v[96:97], v[6:7] op_sel:[0,0,1] op_sel_hi:[1,1,0] neg_lo:[0,0,1] neg_hi:[0,0,1]
	v_pk_fma_f32 v[6:7], v[80:81], v[96:97], v[6:7] op_sel:[0,0,1] op_sel_hi:[1,0,0]
	s_waitcnt vmcnt(3)
	v_mov_b32_e32 v6, v95
	v_mov_b32_e32 v9, v7
	v_pk_mul_f32 v[6:7], v[82:83], v[6:7] op_sel_hi:[1,0]
	v_pk_add_f32 v[4:5], v[4:5], v[8:9]
	v_pk_fma_f32 v[8:9], v[82:83], v[94:95], v[6:7] op_sel:[0,0,1] op_sel_hi:[1,1,0] neg_lo:[0,0,1] neg_hi:[0,0,1]
	v_pk_fma_f32 v[6:7], v[82:83], v[94:95], v[6:7] op_sel:[0,0,1] op_sel_hi:[1,0,0]
	s_waitcnt vmcnt(0)
	v_mov_b32_e32 v6, v93
	v_mov_b32_e32 v9, v7
	s_waitcnt lgkmcnt(0)
	v_pk_mul_f32 v[6:7], v[100:101], v[6:7] op_sel_hi:[1,0]
	v_pk_add_f32 v[4:5], v[4:5], v[8:9]
	v_pk_fma_f32 v[8:9], v[100:101], v[92:93], v[6:7] op_sel:[0,0,1] op_sel_hi:[1,1,0] neg_lo:[0,0,1] neg_hi:[0,0,1]
	v_pk_fma_f32 v[6:7], v[100:101], v[92:93], v[6:7] op_sel:[0,0,1] op_sel_hi:[1,0,0]
	v_mov_b32_e32 v9, v7
	v_pk_add_f32 v[4:5], v[4:5], v[8:9]
	v_pk_add_f32 v[4:5], v[98:99], v[4:5] neg_lo:[0,1] neg_hi:[0,1]
	buffer_store_dword v5, off, s[0:3], 0 offset:76
	buffer_store_dword v4, off, s[0:3], 0 offset:72
	s_and_saveexec_b64 s[4:5], vcc
	s_cbranch_execz .LBB88_147
; %bb.146:
	buffer_load_dword v4, off, s[0:3], 0 offset:64
	buffer_load_dword v5, off, s[0:3], 0 offset:68
	s_waitcnt vmcnt(0)
	ds_write_b64 v1, v[4:5]
	buffer_store_dword v2, off, s[0:3], 0 offset:64
	buffer_store_dword v2, off, s[0:3], 0 offset:68
.LBB88_147:
	s_or_b64 exec, exec, s[4:5]
	s_waitcnt lgkmcnt(0)
	; wave barrier
	s_waitcnt lgkmcnt(0)
	buffer_load_dword v104, off, s[0:3], 0 offset:76
	buffer_load_dword v106, off, s[0:3], 0 offset:84
	;; [unrolled: 1-line block ×32, first 2 shown]
	ds_read2_b64 v[4:7], v2 offset0:35 offset1:36
	ds_read2_b64 v[60:63], v2 offset0:37 offset1:38
	;; [unrolled: 1-line block ×4, first 2 shown]
	buffer_load_dword v103, off, s[0:3], 0 offset:196
	buffer_load_dword v102, off, s[0:3], 0 offset:192
	ds_read2_b64 v[72:75], v2 offset0:43 offset1:44
	ds_read2_b64 v[76:79], v2 offset0:45 offset1:46
	;; [unrolled: 1-line block ×4, first 2 shown]
	v_cmp_lt_u32_e32 vcc, 7, v0
	s_waitcnt vmcnt(33) lgkmcnt(7)
	v_mul_f32_e32 v121, v4, v104
	v_mul_f32_e32 v2, v5, v104
	s_waitcnt vmcnt(32)
	v_mul_f32_e32 v122, v6, v106
	s_waitcnt vmcnt(31) lgkmcnt(6)
	v_mul_f32_e32 v123, v60, v107
	v_mul_f32_e32 v104, v7, v106
	;; [unrolled: 1-line block ×3, first 2 shown]
	s_waitcnt vmcnt(30)
	v_mul_f32_e32 v107, v63, v108
	v_mul_f32_e32 v124, v62, v108
	s_waitcnt vmcnt(25)
	v_fmac_f32_e32 v121, v5, v113
	v_fma_f32 v4, v4, v113, -v2
	s_waitcnt vmcnt(24)
	v_fmac_f32_e32 v122, v7, v114
	v_fma_f32 v5, v6, v114, -v104
	s_waitcnt vmcnt(22)
	v_fma_f32 v7, v62, v116, -v107
	v_add_f32_e32 v62, 0, v121
	v_add_f32_e32 v4, 0, v4
	v_fmac_f32_e32 v123, v61, v115
	v_fma_f32 v6, v60, v115, -v106
	v_add_f32_e32 v62, v62, v122
	v_add_f32_e32 v4, v4, v5
	s_waitcnt lgkmcnt(5)
	v_mul_f32_e32 v125, v64, v109
	v_mul_f32_e32 v108, v65, v109
	v_fmac_f32_e32 v124, v63, v116
	v_add_f32_e32 v5, v62, v123
	v_add_f32_e32 v4, v4, v6
	v_mul_f32_e32 v126, v66, v110
	v_mul_f32_e32 v109, v67, v110
	s_waitcnt vmcnt(21)
	v_fmac_f32_e32 v125, v65, v117
	v_fma_f32 v60, v64, v117, -v108
	v_add_f32_e32 v5, v5, v124
	v_add_f32_e32 v4, v4, v7
	s_waitcnt lgkmcnt(4)
	v_mul_f32_e32 v3, v68, v111
	v_mul_f32_e32 v110, v69, v111
	s_waitcnt vmcnt(20)
	v_fmac_f32_e32 v126, v67, v118
	v_fma_f32 v61, v66, v118, -v109
	v_add_f32_e32 v5, v5, v125
	v_add_f32_e32 v4, v4, v60
	s_waitcnt vmcnt(19)
	v_fmac_f32_e32 v3, v69, v119
	v_fma_f32 v2, v68, v119, -v110
	v_add_f32_e32 v5, v5, v126
	v_add_f32_e32 v4, v4, v61
	v_pk_add_f32 v[2:3], v[4:5], v[2:3]
	s_waitcnt vmcnt(17)
	v_mov_b32_e32 v4, v9
	s_waitcnt lgkmcnt(3)
	v_pk_mul_f32 v[4:5], v[72:73], v[4:5] op_sel_hi:[1,0]
	v_mul_f32_e32 v105, v70, v112
	v_mul_f32_e32 v111, v71, v112
	s_waitcnt vmcnt(14)
	v_pk_fma_f32 v[6:7], v[72:73], v[8:9], v[4:5] op_sel:[0,0,1] op_sel_hi:[1,1,0] neg_lo:[0,0,1] neg_hi:[0,0,1]
	v_pk_fma_f32 v[4:5], v[72:73], v[8:9], v[4:5] op_sel:[0,0,1] op_sel_hi:[1,0,0]
	v_fmac_f32_e32 v105, v71, v120
	v_fma_f32 v104, v70, v120, -v111
	s_waitcnt vmcnt(13)
	v_mov_b32_e32 v4, v91
	v_pk_add_f32 v[2:3], v[2:3], v[104:105]
	v_mov_b32_e32 v7, v5
	v_pk_mul_f32 v[4:5], v[74:75], v[4:5] op_sel_hi:[1,0]
	v_pk_add_f32 v[2:3], v[2:3], v[6:7]
	v_pk_fma_f32 v[6:7], v[74:75], v[90:91], v[4:5] op_sel:[0,0,1] op_sel_hi:[1,1,0] neg_lo:[0,0,1] neg_hi:[0,0,1]
	v_pk_fma_f32 v[4:5], v[74:75], v[90:91], v[4:5] op_sel:[0,0,1] op_sel_hi:[1,0,0]
	s_waitcnt vmcnt(12)
	v_mov_b32_e32 v4, v89
	v_mov_b32_e32 v7, v5
	s_waitcnt lgkmcnt(2)
	v_pk_mul_f32 v[4:5], v[76:77], v[4:5] op_sel_hi:[1,0]
	v_pk_add_f32 v[2:3], v[2:3], v[6:7]
	v_pk_fma_f32 v[6:7], v[76:77], v[88:89], v[4:5] op_sel:[0,0,1] op_sel_hi:[1,1,0] neg_lo:[0,0,1] neg_hi:[0,0,1]
	v_pk_fma_f32 v[4:5], v[76:77], v[88:89], v[4:5] op_sel:[0,0,1] op_sel_hi:[1,0,0]
	s_waitcnt vmcnt(11)
	v_mov_b32_e32 v4, v93
	v_mov_b32_e32 v7, v5
	v_pk_mul_f32 v[4:5], v[78:79], v[4:5] op_sel_hi:[1,0]
	v_pk_add_f32 v[2:3], v[2:3], v[6:7]
	s_waitcnt vmcnt(5)
	v_pk_fma_f32 v[6:7], v[78:79], v[92:93], v[4:5] op_sel:[0,0,1] op_sel_hi:[1,1,0] neg_lo:[0,0,1] neg_hi:[0,0,1]
	v_pk_fma_f32 v[4:5], v[78:79], v[92:93], v[4:5] op_sel:[0,0,1] op_sel_hi:[1,0,0]
	v_mov_b32_e32 v4, v99
	v_mov_b32_e32 v7, v5
	s_waitcnt lgkmcnt(1)
	v_pk_mul_f32 v[4:5], v[80:81], v[4:5] op_sel_hi:[1,0]
	v_pk_add_f32 v[2:3], v[2:3], v[6:7]
	v_pk_fma_f32 v[6:7], v[80:81], v[98:99], v[4:5] op_sel:[0,0,1] op_sel_hi:[1,1,0] neg_lo:[0,0,1] neg_hi:[0,0,1]
	v_pk_fma_f32 v[4:5], v[80:81], v[98:99], v[4:5] op_sel:[0,0,1] op_sel_hi:[1,0,0]
	v_mov_b32_e32 v4, v97
	v_mov_b32_e32 v7, v5
	v_pk_mul_f32 v[4:5], v[82:83], v[4:5] op_sel_hi:[1,0]
	v_pk_add_f32 v[2:3], v[2:3], v[6:7]
	v_pk_fma_f32 v[6:7], v[82:83], v[96:97], v[4:5] op_sel:[0,0,1] op_sel_hi:[1,1,0] neg_lo:[0,0,1] neg_hi:[0,0,1]
	v_pk_fma_f32 v[4:5], v[82:83], v[96:97], v[4:5] op_sel:[0,0,1] op_sel_hi:[1,0,0]
	s_waitcnt vmcnt(2)
	v_mov_b32_e32 v4, v95
	v_mov_b32_e32 v7, v5
	s_waitcnt lgkmcnt(0)
	v_pk_mul_f32 v[4:5], v[84:85], v[4:5] op_sel_hi:[1,0]
	v_pk_add_f32 v[2:3], v[2:3], v[6:7]
	v_pk_fma_f32 v[6:7], v[84:85], v[94:95], v[4:5] op_sel:[0,0,1] op_sel_hi:[1,1,0] neg_lo:[0,0,1] neg_hi:[0,0,1]
	v_pk_fma_f32 v[4:5], v[84:85], v[94:95], v[4:5] op_sel:[0,0,1] op_sel_hi:[1,0,0]
	s_waitcnt vmcnt(1)
	v_mov_b32_e32 v4, v103
	v_mov_b32_e32 v7, v5
	v_pk_mul_f32 v[4:5], v[86:87], v[4:5] op_sel_hi:[1,0]
	v_pk_add_f32 v[2:3], v[2:3], v[6:7]
	s_waitcnt vmcnt(0)
	v_pk_fma_f32 v[6:7], v[86:87], v[102:103], v[4:5] op_sel:[0,0,1] op_sel_hi:[1,1,0] neg_lo:[0,0,1] neg_hi:[0,0,1]
	v_pk_fma_f32 v[4:5], v[86:87], v[102:103], v[4:5] op_sel:[0,0,1] op_sel_hi:[1,0,0]
	v_mov_b32_e32 v7, v5
	v_pk_add_f32 v[2:3], v[2:3], v[6:7]
	v_pk_add_f32 v[2:3], v[100:101], v[2:3] neg_lo:[0,1] neg_hi:[0,1]
	buffer_store_dword v3, off, s[0:3], 0 offset:68
	buffer_store_dword v2, off, s[0:3], 0 offset:64
	s_and_saveexec_b64 s[4:5], vcc
	s_cbranch_execz .LBB88_149
; %bb.148:
	buffer_load_dword v2, off, s[0:3], 0 offset:56
	buffer_load_dword v3, off, s[0:3], 0 offset:60
	v_mov_b32_e32 v4, 0
	buffer_store_dword v4, off, s[0:3], 0 offset:56
	buffer_store_dword v4, off, s[0:3], 0 offset:60
	s_waitcnt vmcnt(2)
	ds_write_b64 v1, v[2:3]
.LBB88_149:
	s_or_b64 exec, exec, s[4:5]
	s_waitcnt lgkmcnt(0)
	; wave barrier
	s_waitcnt lgkmcnt(0)
	buffer_load_dword v3, off, s[0:3], 0 offset:68
	buffer_load_dword v96, off, s[0:3], 0 offset:76
	;; [unrolled: 1-line block ×36, first 2 shown]
	v_mov_b32_e32 v2, 0
	ds_read_b128 v[4:7], v2 offset:272
	ds_read_b128 v[60:63], v2 offset:288
	;; [unrolled: 1-line block ×6, first 2 shown]
	v_cmp_lt_u32_e32 vcc, 6, v0
	s_waitcnt vmcnt(35) lgkmcnt(5)
	v_mul_f32_e32 v115, v4, v3
	s_waitcnt vmcnt(34)
	v_mul_f32_e32 v116, v6, v96
	s_waitcnt vmcnt(33) lgkmcnt(4)
	v_mul_f32_e32 v117, v60, v98
	v_mul_f32_e32 v3, v5, v3
	;; [unrolled: 1-line block ×4, first 2 shown]
	s_waitcnt vmcnt(32)
	v_mul_f32_e32 v118, v62, v100
	s_waitcnt vmcnt(31) lgkmcnt(3)
	v_mul_f32_e32 v119, v64, v101
	v_mul_f32_e32 v100, v63, v100
	s_waitcnt vmcnt(26)
	v_fmac_f32_e32 v115, v5, v106
	s_waitcnt vmcnt(25)
	v_fmac_f32_e32 v116, v7, v107
	s_waitcnt vmcnt(24)
	v_fmac_f32_e32 v117, v61, v108
	v_fma_f32 v3, v4, v106, -v3
	v_add_f32_e32 v61, 0, v115
	v_fma_f32 v4, v6, v107, -v96
	v_add_f32_e32 v3, 0, v3
	v_add_f32_e32 v61, v61, v116
	s_waitcnt vmcnt(23)
	v_fmac_f32_e32 v118, v63, v109
	v_fma_f32 v5, v60, v108, -v98
	v_add_f32_e32 v3, v3, v4
	v_add_f32_e32 v4, v61, v117
	v_mul_f32_e32 v120, v66, v102
	v_mul_f32_e32 v101, v65, v101
	s_waitcnt vmcnt(22)
	v_fmac_f32_e32 v119, v65, v110
	v_fma_f32 v6, v62, v109, -v100
	v_add_f32_e32 v3, v3, v5
	v_add_f32_e32 v4, v4, v118
	s_waitcnt lgkmcnt(2)
	v_mul_f32_e32 v121, v68, v103
	v_mul_f32_e32 v102, v67, v102
	s_waitcnt vmcnt(21)
	v_fmac_f32_e32 v120, v67, v111
	v_fma_f32 v7, v64, v110, -v101
	v_add_f32_e32 v3, v3, v6
	v_add_f32_e32 v4, v4, v119
	v_mul_f32_e32 v103, v69, v103
	s_waitcnt vmcnt(20)
	v_fmac_f32_e32 v121, v69, v112
	v_fma_f32 v60, v66, v111, -v102
	v_add_f32_e32 v3, v3, v7
	v_add_f32_e32 v4, v4, v120
	;; [unrolled: 1-line block ×4, first 2 shown]
	v_fma_f32 v4, v68, v112, -v103
	v_mul_f32_e32 v97, v70, v104
	v_add_f32_e32 v64, v3, v4
	v_mul_f32_e32 v3, v71, v104
	s_waitcnt vmcnt(17)
	v_mov_b32_e32 v68, v9
	s_waitcnt lgkmcnt(1)
	v_mul_f32_e32 v99, v72, v105
	v_fmac_f32_e32 v97, v71, v113
	v_fma_f32 v96, v70, v113, -v3
	v_mul_f32_e32 v3, v73, v105
	v_pk_mul_f32 v[68:69], v[74:75], v[68:69] op_sel_hi:[1,0]
	v_fmac_f32_e32 v99, v73, v114
	v_fma_f32 v98, v72, v114, -v3
	v_pk_add_f32 v[64:65], v[64:65], v[96:97]
	s_waitcnt vmcnt(15)
	v_pk_fma_f32 v[70:71], v[74:75], v[8:9], v[68:69] op_sel:[0,0,1] op_sel_hi:[1,1,0] neg_lo:[0,0,1] neg_hi:[0,0,1]
	v_pk_fma_f32 v[8:9], v[74:75], v[8:9], v[68:69] op_sel:[0,0,1] op_sel_hi:[1,0,0]
	v_pk_add_f32 v[64:65], v[64:65], v[98:99]
	v_mov_b32_e32 v71, v9
	v_pk_add_f32 v[8:9], v[64:65], v[70:71]
	s_waitcnt vmcnt(12)
	v_mov_b32_e32 v64, v81
	s_waitcnt lgkmcnt(0)
	v_pk_mul_f32 v[64:65], v[76:77], v[64:65] op_sel_hi:[1,0]
	v_pk_fma_f32 v[68:69], v[76:77], v[80:81], v[64:65] op_sel:[0,0,1] op_sel_hi:[1,1,0] neg_lo:[0,0,1] neg_hi:[0,0,1]
	v_pk_fma_f32 v[64:65], v[76:77], v[80:81], v[64:65] op_sel:[0,0,1] op_sel_hi:[1,0,0]
	s_waitcnt vmcnt(11)
	v_mov_b32_e32 v64, v85
	ds_read_b128 v[4:7], v2 offset:368
	ds_read_b128 v[60:63], v2 offset:384
	ds_read_b64 v[66:67], v2 offset:400
	v_mov_b32_e32 v69, v65
	v_pk_mul_f32 v[64:65], v[78:79], v[64:65] op_sel_hi:[1,0]
	v_pk_add_f32 v[8:9], v[8:9], v[68:69]
	s_waitcnt vmcnt(4)
	v_pk_fma_f32 v[68:69], v[78:79], v[84:85], v[64:65] op_sel:[0,0,1] op_sel_hi:[1,1,0] neg_lo:[0,0,1] neg_hi:[0,0,1]
	v_pk_fma_f32 v[64:65], v[78:79], v[84:85], v[64:65] op_sel:[0,0,1] op_sel_hi:[1,0,0]
	v_mov_b32_e32 v64, v91
	v_mov_b32_e32 v69, v65
	s_waitcnt lgkmcnt(2)
	v_pk_mul_f32 v[64:65], v[4:5], v[64:65] op_sel_hi:[1,0]
	v_pk_add_f32 v[8:9], v[8:9], v[68:69]
	v_pk_fma_f32 v[68:69], v[4:5], v[90:91], v[64:65] op_sel:[0,0,1] op_sel_hi:[1,1,0] neg_lo:[0,0,1] neg_hi:[0,0,1]
	v_pk_fma_f32 v[4:5], v[4:5], v[90:91], v[64:65] op_sel:[0,0,1] op_sel_hi:[1,0,0]
	v_mov_b32_e32 v69, v5
	v_pk_add_f32 v[4:5], v[8:9], v[68:69]
	v_mov_b32_e32 v8, v89
	v_pk_mul_f32 v[8:9], v[6:7], v[8:9] op_sel_hi:[1,0]
	v_pk_fma_f32 v[64:65], v[6:7], v[88:89], v[8:9] op_sel:[0,0,1] op_sel_hi:[1,1,0] neg_lo:[0,0,1] neg_hi:[0,0,1]
	v_pk_fma_f32 v[6:7], v[6:7], v[88:89], v[8:9] op_sel:[0,0,1] op_sel_hi:[1,0,0]
	v_mov_b32_e32 v6, v87
	v_mov_b32_e32 v65, v7
	s_waitcnt lgkmcnt(1)
	v_pk_mul_f32 v[6:7], v[60:61], v[6:7] op_sel_hi:[1,0]
	v_pk_fma_f32 v[8:9], v[60:61], v[86:87], v[6:7] op_sel:[0,0,1] op_sel_hi:[1,1,0] neg_lo:[0,0,1] neg_hi:[0,0,1]
	v_pk_fma_f32 v[6:7], v[60:61], v[86:87], v[6:7] op_sel:[0,0,1] op_sel_hi:[1,0,0]
	s_waitcnt vmcnt(1)
	v_mov_b32_e32 v6, v95
	v_pk_add_f32 v[4:5], v[4:5], v[64:65]
	v_mov_b32_e32 v9, v7
	v_pk_mul_f32 v[6:7], v[62:63], v[6:7] op_sel_hi:[1,0]
	v_pk_add_f32 v[4:5], v[4:5], v[8:9]
	s_waitcnt vmcnt(0)
	v_pk_fma_f32 v[8:9], v[62:63], v[94:95], v[6:7] op_sel:[0,0,1] op_sel_hi:[1,1,0] neg_lo:[0,0,1] neg_hi:[0,0,1]
	v_pk_fma_f32 v[6:7], v[62:63], v[94:95], v[6:7] op_sel:[0,0,1] op_sel_hi:[1,0,0]
	v_mov_b32_e32 v6, v93
	v_mov_b32_e32 v9, v7
	s_waitcnt lgkmcnt(0)
	v_pk_mul_f32 v[6:7], v[66:67], v[6:7] op_sel_hi:[1,0]
	v_pk_add_f32 v[4:5], v[4:5], v[8:9]
	v_pk_fma_f32 v[8:9], v[66:67], v[92:93], v[6:7] op_sel:[0,0,1] op_sel_hi:[1,1,0] neg_lo:[0,0,1] neg_hi:[0,0,1]
	v_pk_fma_f32 v[6:7], v[66:67], v[92:93], v[6:7] op_sel:[0,0,1] op_sel_hi:[1,0,0]
	v_mov_b32_e32 v9, v7
	v_pk_add_f32 v[4:5], v[4:5], v[8:9]
	v_pk_add_f32 v[4:5], v[82:83], v[4:5] neg_lo:[0,1] neg_hi:[0,1]
	buffer_store_dword v5, off, s[0:3], 0 offset:60
	buffer_store_dword v4, off, s[0:3], 0 offset:56
	s_and_saveexec_b64 s[4:5], vcc
	s_cbranch_execz .LBB88_151
; %bb.150:
	buffer_load_dword v4, off, s[0:3], 0 offset:48
	buffer_load_dword v5, off, s[0:3], 0 offset:52
	s_waitcnt vmcnt(0)
	ds_write_b64 v1, v[4:5]
	buffer_store_dword v2, off, s[0:3], 0 offset:48
	buffer_store_dword v2, off, s[0:3], 0 offset:52
.LBB88_151:
	s_or_b64 exec, exec, s[4:5]
	s_waitcnt lgkmcnt(0)
	; wave barrier
	s_waitcnt lgkmcnt(0)
	buffer_load_dword v3, off, s[0:3], 0 offset:60
	buffer_load_dword v96, off, s[0:3], 0 offset:68
	buffer_load_dword v98, off, s[0:3], 0 offset:76
	buffer_load_dword v100, off, s[0:3], 0 offset:84
	buffer_load_dword v101, off, s[0:3], 0 offset:92
	buffer_load_dword v102, off, s[0:3], 0 offset:100
	buffer_load_dword v103, off, s[0:3], 0 offset:108
	buffer_load_dword v104, off, s[0:3], 0 offset:116
	buffer_load_dword v105, off, s[0:3], 0 offset:124
	buffer_load_dword v106, off, s[0:3], 0 offset:132
	buffer_load_dword v107, off, s[0:3], 0 offset:56
	buffer_load_dword v108, off, s[0:3], 0 offset:64
	buffer_load_dword v109, off, s[0:3], 0 offset:72
	buffer_load_dword v110, off, s[0:3], 0 offset:80
	buffer_load_dword v111, off, s[0:3], 0 offset:88
	buffer_load_dword v112, off, s[0:3], 0 offset:96
	buffer_load_dword v113, off, s[0:3], 0 offset:104
	buffer_load_dword v114, off, s[0:3], 0 offset:112
	buffer_load_dword v115, off, s[0:3], 0 offset:120
	buffer_load_dword v116, off, s[0:3], 0 offset:128
	buffer_load_dword v8, off, s[0:3], 0 offset:48
	buffer_load_dword v9, off, s[0:3], 0 offset:52
	ds_read2_b64 v[4:7], v2 offset0:33 offset1:34
	ds_read2_b64 v[60:63], v2 offset0:35 offset1:36
	buffer_load_dword v81, off, s[0:3], 0 offset:140
	buffer_load_dword v80, off, s[0:3], 0 offset:136
	buffer_load_dword v83, off, s[0:3], 0 offset:148
	buffer_load_dword v85, off, s[0:3], 0 offset:172
	buffer_load_dword v84, off, s[0:3], 0 offset:168
	buffer_load_dword v87, off, s[0:3], 0 offset:164
	buffer_load_dword v86, off, s[0:3], 0 offset:160
	buffer_load_dword v89, off, s[0:3], 0 offset:156
	buffer_load_dword v88, off, s[0:3], 0 offset:152
	buffer_load_dword v82, off, s[0:3], 0 offset:144
	ds_read2_b64 v[64:67], v2 offset0:37 offset1:38
	ds_read2_b64 v[68:71], v2 offset0:39 offset1:40
	;; [unrolled: 1-line block ×4, first 2 shown]
	buffer_load_dword v91, off, s[0:3], 0 offset:196
	buffer_load_dword v90, off, s[0:3], 0 offset:192
	;; [unrolled: 1-line block ×6, first 2 shown]
	v_cmp_lt_u32_e32 vcc, 5, v0
	s_waitcnt vmcnt(37) lgkmcnt(5)
	v_mul_f32_e32 v117, v4, v3
	s_waitcnt vmcnt(36)
	v_mul_f32_e32 v118, v6, v96
	s_waitcnt vmcnt(35) lgkmcnt(4)
	v_mul_f32_e32 v119, v60, v98
	v_mul_f32_e32 v3, v5, v3
	;; [unrolled: 1-line block ×4, first 2 shown]
	s_waitcnt vmcnt(34)
	v_mul_f32_e32 v120, v62, v100
	s_waitcnt vmcnt(33) lgkmcnt(3)
	v_mul_f32_e32 v121, v64, v101
	s_waitcnt vmcnt(32)
	v_mul_f32_e32 v122, v66, v102
	s_waitcnt vmcnt(31) lgkmcnt(2)
	v_mul_f32_e32 v123, v68, v103
	s_waitcnt vmcnt(27)
	v_fmac_f32_e32 v117, v5, v107
	s_waitcnt vmcnt(26)
	v_fmac_f32_e32 v118, v7, v108
	v_fma_f32 v3, v4, v107, -v3
	s_waitcnt vmcnt(25)
	v_fma_f32 v5, v60, v109, -v98
	v_add_f32_e32 v60, 0, v117
	v_fmac_f32_e32 v119, v61, v109
	v_fma_f32 v4, v6, v108, -v96
	v_add_f32_e32 v3, 0, v3
	v_add_f32_e32 v60, v60, v118
	s_waitcnt vmcnt(24)
	v_fmac_f32_e32 v120, v63, v110
	v_add_f32_e32 v3, v3, v4
	v_add_f32_e32 v4, v60, v119
	s_waitcnt vmcnt(23)
	v_fmac_f32_e32 v121, v65, v111
	v_add_f32_e32 v4, v4, v120
	v_mul_f32_e32 v100, v63, v100
	s_waitcnt vmcnt(22)
	v_fmac_f32_e32 v122, v67, v112
	v_add_f32_e32 v4, v4, v121
	v_mul_f32_e32 v124, v70, v104
	v_mul_f32_e32 v101, v65, v101
	s_waitcnt vmcnt(21)
	v_fmac_f32_e32 v123, v69, v113
	v_fma_f32 v6, v62, v110, -v100
	v_add_f32_e32 v3, v3, v5
	v_add_f32_e32 v4, v4, v122
	v_mul_f32_e32 v102, v67, v102
	s_waitcnt vmcnt(20)
	v_fmac_f32_e32 v124, v71, v114
	v_fma_f32 v7, v64, v111, -v101
	v_add_f32_e32 v3, v3, v6
	v_add_f32_e32 v4, v4, v123
	;; [unrolled: 1-line block ×4, first 2 shown]
	v_fma_f32 v4, v66, v112, -v102
	v_add_f32_e32 v3, v3, v4
	v_mul_f32_e32 v4, v69, v103
	v_fma_f32 v4, v68, v113, -v4
	v_add_f32_e32 v3, v3, v4
	v_mul_f32_e32 v4, v71, v104
	v_fma_f32 v4, v70, v114, -v4
	s_waitcnt vmcnt(15)
	v_mov_b32_e32 v68, v81
	s_waitcnt lgkmcnt(1)
	v_mul_f32_e32 v97, v72, v105
	v_add_f32_e32 v100, v3, v4
	v_mul_f32_e32 v3, v73, v105
	s_waitcnt lgkmcnt(0)
	v_pk_mul_f32 v[68:69], v[76:77], v[68:69] op_sel_hi:[1,0]
	v_mul_f32_e32 v99, v74, v106
	v_fmac_f32_e32 v97, v73, v115
	v_fma_f32 v96, v72, v115, -v3
	v_mul_f32_e32 v3, v75, v106
	s_waitcnt vmcnt(14)
	v_pk_fma_f32 v[70:71], v[76:77], v[80:81], v[68:69] op_sel:[0,0,1] op_sel_hi:[1,1,0] neg_lo:[0,0,1] neg_hi:[0,0,1]
	v_pk_fma_f32 v[68:69], v[76:77], v[80:81], v[68:69] op_sel:[0,0,1] op_sel_hi:[1,0,0]
	v_fmac_f32_e32 v99, v75, v116
	v_fma_f32 v98, v74, v116, -v3
	ds_read2_b64 v[4:7], v2 offset0:45 offset1:46
	ds_read2_b64 v[60:63], v2 offset0:47 offset1:48
	;; [unrolled: 1-line block ×3, first 2 shown]
	v_pk_add_f32 v[2:3], v[100:101], v[96:97]
	s_waitcnt vmcnt(13)
	v_mov_b32_e32 v68, v83
	v_pk_add_f32 v[2:3], v[2:3], v[98:99]
	v_mov_b32_e32 v71, v69
	v_pk_mul_f32 v[68:69], v[78:79], v[68:69] op_sel_hi:[1,0]
	v_pk_add_f32 v[2:3], v[2:3], v[70:71]
	s_waitcnt vmcnt(6)
	v_pk_fma_f32 v[70:71], v[78:79], v[82:83], v[68:69] op_sel:[0,0,1] op_sel_hi:[1,1,0] neg_lo:[0,0,1] neg_hi:[0,0,1]
	v_pk_fma_f32 v[68:69], v[78:79], v[82:83], v[68:69] op_sel:[0,0,1] op_sel_hi:[1,0,0]
	v_mov_b32_e32 v68, v89
	v_mov_b32_e32 v71, v69
	s_waitcnt lgkmcnt(2)
	v_pk_mul_f32 v[68:69], v[4:5], v[68:69] op_sel_hi:[1,0]
	v_pk_add_f32 v[2:3], v[2:3], v[70:71]
	v_pk_fma_f32 v[70:71], v[4:5], v[88:89], v[68:69] op_sel:[0,0,1] op_sel_hi:[1,1,0] neg_lo:[0,0,1] neg_hi:[0,0,1]
	v_pk_fma_f32 v[4:5], v[4:5], v[88:89], v[68:69] op_sel:[0,0,1] op_sel_hi:[1,0,0]
	v_mov_b32_e32 v4, v87
	v_mov_b32_e32 v71, v5
	v_pk_mul_f32 v[4:5], v[6:7], v[4:5] op_sel_hi:[1,0]
	v_pk_fma_f32 v[68:69], v[6:7], v[86:87], v[4:5] op_sel:[0,0,1] op_sel_hi:[1,1,0] neg_lo:[0,0,1] neg_hi:[0,0,1]
	v_pk_fma_f32 v[4:5], v[6:7], v[86:87], v[4:5] op_sel:[0,0,1] op_sel_hi:[1,0,0]
	v_mov_b32_e32 v4, v85
	v_mov_b32_e32 v69, v5
	s_waitcnt lgkmcnt(1)
	v_pk_mul_f32 v[4:5], v[60:61], v[4:5] op_sel_hi:[1,0]
	v_pk_fma_f32 v[6:7], v[60:61], v[84:85], v[4:5] op_sel:[0,0,1] op_sel_hi:[1,1,0] neg_lo:[0,0,1] neg_hi:[0,0,1]
	v_pk_fma_f32 v[4:5], v[60:61], v[84:85], v[4:5] op_sel:[0,0,1] op_sel_hi:[1,0,0]
	v_pk_add_f32 v[2:3], v[2:3], v[70:71]
	s_waitcnt vmcnt(1)
	v_mov_b32_e32 v4, v95
	v_pk_add_f32 v[2:3], v[2:3], v[68:69]
	v_mov_b32_e32 v7, v5
	v_pk_mul_f32 v[4:5], v[62:63], v[4:5] op_sel_hi:[1,0]
	v_pk_add_f32 v[2:3], v[2:3], v[6:7]
	s_waitcnt vmcnt(0)
	v_pk_fma_f32 v[6:7], v[62:63], v[94:95], v[4:5] op_sel:[0,0,1] op_sel_hi:[1,1,0] neg_lo:[0,0,1] neg_hi:[0,0,1]
	v_pk_fma_f32 v[4:5], v[62:63], v[94:95], v[4:5] op_sel:[0,0,1] op_sel_hi:[1,0,0]
	v_mov_b32_e32 v4, v93
	v_mov_b32_e32 v7, v5
	s_waitcnt lgkmcnt(0)
	v_pk_mul_f32 v[4:5], v[64:65], v[4:5] op_sel_hi:[1,0]
	v_pk_add_f32 v[2:3], v[2:3], v[6:7]
	v_pk_fma_f32 v[6:7], v[64:65], v[92:93], v[4:5] op_sel:[0,0,1] op_sel_hi:[1,1,0] neg_lo:[0,0,1] neg_hi:[0,0,1]
	v_pk_fma_f32 v[4:5], v[64:65], v[92:93], v[4:5] op_sel:[0,0,1] op_sel_hi:[1,0,0]
	v_mov_b32_e32 v4, v91
	v_mov_b32_e32 v7, v5
	v_pk_mul_f32 v[4:5], v[66:67], v[4:5] op_sel_hi:[1,0]
	v_pk_add_f32 v[2:3], v[2:3], v[6:7]
	v_pk_fma_f32 v[6:7], v[66:67], v[90:91], v[4:5] op_sel:[0,0,1] op_sel_hi:[1,1,0] neg_lo:[0,0,1] neg_hi:[0,0,1]
	v_pk_fma_f32 v[4:5], v[66:67], v[90:91], v[4:5] op_sel:[0,0,1] op_sel_hi:[1,0,0]
	v_mov_b32_e32 v7, v5
	v_pk_add_f32 v[2:3], v[2:3], v[6:7]
	v_pk_add_f32 v[2:3], v[8:9], v[2:3] neg_lo:[0,1] neg_hi:[0,1]
	buffer_store_dword v3, off, s[0:3], 0 offset:52
	buffer_store_dword v2, off, s[0:3], 0 offset:48
	s_and_saveexec_b64 s[4:5], vcc
	s_cbranch_execz .LBB88_153
; %bb.152:
	buffer_load_dword v2, off, s[0:3], 0 offset:40
	buffer_load_dword v3, off, s[0:3], 0 offset:44
	v_mov_b32_e32 v4, 0
	buffer_store_dword v4, off, s[0:3], 0 offset:40
	buffer_store_dword v4, off, s[0:3], 0 offset:44
	s_waitcnt vmcnt(2)
	ds_write_b64 v1, v[2:3]
.LBB88_153:
	s_or_b64 exec, exec, s[4:5]
	v_mov_b32_e32 v62, 0
	s_waitcnt lgkmcnt(0)
	; wave barrier
	s_waitcnt lgkmcnt(0)
	ds_read_b128 v[64:67], v62 offset:256
	ds_read_b128 v[68:71], v62 offset:272
	;; [unrolled: 1-line block ×4, first 2 shown]
	buffer_load_dword v60, off, s[0:3], 0 offset:40
	buffer_load_dword v61, off, s[0:3], 0 offset:44
	;; [unrolled: 1-line block ×18, first 2 shown]
	v_cmp_lt_u32_e32 vcc, 4, v0
	s_waitcnt vmcnt(14) lgkmcnt(3)
	v_mul_f32_e32 v72, v64, v80
	v_fmac_f32_e32 v72, v65, v63
	s_waitcnt vmcnt(12)
	v_mul_f32_e32 v73, v66, v84
	v_add_f32_e32 v72, 0, v72
	v_fmac_f32_e32 v73, v67, v82
	v_add_f32_e32 v72, v72, v73
	s_waitcnt vmcnt(10) lgkmcnt(2)
	v_mul_f32_e32 v73, v68, v103
	v_fmac_f32_e32 v73, v69, v102
	v_add_f32_e32 v72, v72, v73
	s_waitcnt vmcnt(8)
	v_mul_f32_e32 v73, v70, v105
	v_fmac_f32_e32 v73, v71, v104
	v_add_f32_e32 v72, v72, v73
	s_waitcnt vmcnt(6) lgkmcnt(1)
	v_mul_f32_e32 v73, v6, v107
	v_fmac_f32_e32 v73, v7, v106
	v_add_f32_e32 v72, v72, v73
	s_waitcnt vmcnt(4)
	v_mul_f32_e32 v73, v8, v109
	;; [unrolled: 8-line block ×3, first 2 shown]
	v_fmac_f32_e32 v73, v5, v112
	v_add_f32_e32 v76, v72, v73
	ds_read_b128 v[72:75], v62 offset:320
	buffer_load_dword v114, off, s[0:3], 0 offset:112
	buffer_load_dword v115, off, s[0:3], 0 offset:116
	;; [unrolled: 1-line block ×4, first 2 shown]
	v_mul_f32_e32 v65, v65, v80
	v_fma_f32 v63, v64, v63, -v65
	v_mul_f32_e32 v64, v67, v84
	v_add_f32_e32 v63, 0, v63
	v_fma_f32 v64, v66, v82, -v64
	v_add_f32_e32 v63, v63, v64
	v_mul_f32_e32 v64, v69, v103
	v_fma_f32 v64, v68, v102, -v64
	v_add_f32_e32 v63, v63, v64
	v_mul_f32_e32 v64, v71, v105
	v_fma_f32 v64, v70, v104, -v64
	v_mul_f32_e32 v7, v7, v107
	v_add_f32_e32 v63, v63, v64
	v_fma_f32 v6, v6, v106, -v7
	v_mul_f32_e32 v7, v9, v109
	v_add_f32_e32 v6, v63, v6
	;; [unrolled: 3-line block ×4, first 2 shown]
	v_fma_f32 v3, v4, v112, -v3
	v_add_f32_e32 v2, v2, v3
	s_waitcnt vmcnt(2) lgkmcnt(0)
	v_mul_f32_e32 v77, v72, v115
	v_fmac_f32_e32 v77, v73, v114
	v_add_f32_e32 v81, v76, v77
	ds_read_b128 v[76:79], v62 offset:336
	buffer_load_dword v118, off, s[0:3], 0 offset:128
	buffer_load_dword v119, off, s[0:3], 0 offset:132
	;; [unrolled: 1-line block ×18, first 2 shown]
	v_mul_f32_e32 v3, v73, v115
	v_fma_f32 v3, v72, v114, -v3
	v_add_f32_e32 v80, v2, v3
	s_waitcnt vmcnt(18)
	v_mul_f32_e32 v2, v75, v117
	v_mul_f32_e32 v83, v74, v117
	v_fma_f32 v82, v74, v116, -v2
	v_fmac_f32_e32 v83, v75, v116
	v_pk_add_f32 v[70:71], v[80:81], v[82:83]
	s_waitcnt vmcnt(15)
	v_mov_b32_e32 v72, v87
	s_waitcnt lgkmcnt(0)
	v_pk_mul_f32 v[72:73], v[78:79], v[72:73] op_sel_hi:[1,0]
	s_waitcnt vmcnt(14)
	v_pk_fma_f32 v[74:75], v[78:79], v[86:87], v[72:73] op_sel:[0,0,1] op_sel_hi:[1,1,0] neg_lo:[0,0,1] neg_hi:[0,0,1]
	v_pk_fma_f32 v[72:73], v[78:79], v[86:87], v[72:73] op_sel:[0,0,1] op_sel_hi:[1,0,0]
	s_waitcnt vmcnt(13)
	v_mov_b32_e32 v72, v89
	v_mov_b32_e32 v75, v73
	v_mul_f32_e32 v2, v77, v119
	v_mul_f32_e32 v85, v76, v119
	v_fma_f32 v84, v76, v118, -v2
	ds_read_b128 v[2:5], v62 offset:352
	ds_read_b128 v[6:9], v62 offset:368
	;; [unrolled: 1-line block ×3, first 2 shown]
	ds_read_b64 v[68:69], v62 offset:400
	v_fmac_f32_e32 v85, v77, v118
	v_pk_add_f32 v[70:71], v[70:71], v[84:85]
	s_waitcnt lgkmcnt(3)
	v_pk_mul_f32 v[72:73], v[2:3], v[72:73] op_sel_hi:[1,0]
	v_pk_add_f32 v[70:71], v[70:71], v[74:75]
	s_waitcnt vmcnt(12)
	v_pk_fma_f32 v[74:75], v[2:3], v[88:89], v[72:73] op_sel:[0,0,1] op_sel_hi:[1,1,0] neg_lo:[0,0,1] neg_hi:[0,0,1]
	v_pk_fma_f32 v[2:3], v[2:3], v[88:89], v[72:73] op_sel:[0,0,1] op_sel_hi:[1,0,0]
	v_mov_b32_e32 v75, v3
	v_pk_add_f32 v[2:3], v[70:71], v[74:75]
	s_waitcnt vmcnt(11)
	v_mov_b32_e32 v70, v91
	v_pk_mul_f32 v[70:71], v[4:5], v[70:71] op_sel_hi:[1,0]
	s_waitcnt vmcnt(10)
	v_pk_fma_f32 v[72:73], v[4:5], v[90:91], v[70:71] op_sel:[0,0,1] op_sel_hi:[1,1,0] neg_lo:[0,0,1] neg_hi:[0,0,1]
	v_pk_fma_f32 v[4:5], v[4:5], v[90:91], v[70:71] op_sel:[0,0,1] op_sel_hi:[1,0,0]
	s_waitcnt vmcnt(9)
	v_mov_b32_e32 v4, v93
	v_mov_b32_e32 v73, v5
	s_waitcnt lgkmcnt(2)
	v_pk_mul_f32 v[4:5], v[6:7], v[4:5] op_sel_hi:[1,0]
	s_waitcnt vmcnt(8)
	v_pk_fma_f32 v[70:71], v[6:7], v[92:93], v[4:5] op_sel:[0,0,1] op_sel_hi:[1,1,0] neg_lo:[0,0,1] neg_hi:[0,0,1]
	v_pk_fma_f32 v[4:5], v[6:7], v[92:93], v[4:5] op_sel:[0,0,1] op_sel_hi:[1,0,0]
	s_waitcnt vmcnt(7)
	v_mov_b32_e32 v4, v95
	v_mov_b32_e32 v71, v5
	v_pk_mul_f32 v[4:5], v[8:9], v[4:5] op_sel_hi:[1,0]
	s_waitcnt vmcnt(6)
	v_pk_fma_f32 v[6:7], v[8:9], v[94:95], v[4:5] op_sel:[0,0,1] op_sel_hi:[1,1,0] neg_lo:[0,0,1] neg_hi:[0,0,1]
	v_pk_fma_f32 v[4:5], v[8:9], v[94:95], v[4:5] op_sel:[0,0,1] op_sel_hi:[1,0,0]
	v_pk_add_f32 v[2:3], v[2:3], v[72:73]
	s_waitcnt vmcnt(5)
	v_mov_b32_e32 v4, v97
	v_pk_add_f32 v[2:3], v[2:3], v[70:71]
	v_mov_b32_e32 v7, v5
	s_waitcnt lgkmcnt(1)
	v_pk_mul_f32 v[4:5], v[64:65], v[4:5] op_sel_hi:[1,0]
	v_pk_add_f32 v[2:3], v[2:3], v[6:7]
	s_waitcnt vmcnt(4)
	v_pk_fma_f32 v[6:7], v[64:65], v[96:97], v[4:5] op_sel:[0,0,1] op_sel_hi:[1,1,0] neg_lo:[0,0,1] neg_hi:[0,0,1]
	v_pk_fma_f32 v[4:5], v[64:65], v[96:97], v[4:5] op_sel:[0,0,1] op_sel_hi:[1,0,0]
	s_waitcnt vmcnt(3)
	v_mov_b32_e32 v4, v99
	v_mov_b32_e32 v7, v5
	v_pk_mul_f32 v[4:5], v[66:67], v[4:5] op_sel_hi:[1,0]
	v_pk_add_f32 v[2:3], v[2:3], v[6:7]
	s_waitcnt vmcnt(2)
	v_pk_fma_f32 v[6:7], v[66:67], v[98:99], v[4:5] op_sel:[0,0,1] op_sel_hi:[1,1,0] neg_lo:[0,0,1] neg_hi:[0,0,1]
	v_pk_fma_f32 v[4:5], v[66:67], v[98:99], v[4:5] op_sel:[0,0,1] op_sel_hi:[1,0,0]
	s_waitcnt vmcnt(1)
	v_mov_b32_e32 v4, v101
	v_mov_b32_e32 v7, v5
	s_waitcnt lgkmcnt(0)
	v_pk_mul_f32 v[4:5], v[68:69], v[4:5] op_sel_hi:[1,0]
	v_pk_add_f32 v[2:3], v[2:3], v[6:7]
	s_waitcnt vmcnt(0)
	v_pk_fma_f32 v[6:7], v[68:69], v[100:101], v[4:5] op_sel:[0,0,1] op_sel_hi:[1,1,0] neg_lo:[0,0,1] neg_hi:[0,0,1]
	v_pk_fma_f32 v[4:5], v[68:69], v[100:101], v[4:5] op_sel:[0,0,1] op_sel_hi:[1,0,0]
	v_mov_b32_e32 v7, v5
	v_pk_add_f32 v[2:3], v[2:3], v[6:7]
	v_pk_add_f32 v[2:3], v[60:61], v[2:3] neg_lo:[0,1] neg_hi:[0,1]
	buffer_store_dword v3, off, s[0:3], 0 offset:44
	buffer_store_dword v2, off, s[0:3], 0 offset:40
	s_and_saveexec_b64 s[4:5], vcc
	s_cbranch_execz .LBB88_155
; %bb.154:
	buffer_load_dword v2, off, s[0:3], 0 offset:32
	buffer_load_dword v3, off, s[0:3], 0 offset:36
	s_waitcnt vmcnt(0)
	ds_write_b64 v1, v[2:3]
	buffer_store_dword v62, off, s[0:3], 0 offset:32
	buffer_store_dword v62, off, s[0:3], 0 offset:36
.LBB88_155:
	s_or_b64 exec, exec, s[4:5]
	s_waitcnt lgkmcnt(0)
	; wave barrier
	s_waitcnt lgkmcnt(0)
	ds_read2_b64 v[4:7], v62 offset0:31 offset1:32
	buffer_load_dword v2, off, s[0:3], 0 offset:32
	buffer_load_dword v3, off, s[0:3], 0 offset:36
	;; [unrolled: 1-line block ×16, first 2 shown]
	v_cmp_lt_u32_e32 vcc, 3, v0
	s_waitcnt vmcnt(12) lgkmcnt(0)
	v_mul_f32_e32 v9, v4, v60
	v_fmac_f32_e32 v9, v5, v8
	s_waitcnt vmcnt(10)
	v_mul_f32_e32 v64, v6, v63
	v_add_f32_e32 v9, 0, v9
	v_fmac_f32_e32 v64, v7, v61
	v_add_f32_e32 v9, v9, v64
	ds_read2_b64 v[64:67], v62 offset0:33 offset1:34
	v_mul_f32_e32 v5, v5, v60
	v_fma_f32 v4, v4, v8, -v5
	v_mul_f32_e32 v5, v7, v63
	v_add_f32_e32 v4, 0, v4
	s_waitcnt vmcnt(8) lgkmcnt(0)
	v_mul_f32_e32 v68, v64, v90
	v_fmac_f32_e32 v68, v65, v88
	v_add_f32_e32 v9, v9, v68
	s_waitcnt vmcnt(6)
	v_mul_f32_e32 v68, v66, v109
	v_fmac_f32_e32 v68, v67, v108
	v_add_f32_e32 v9, v9, v68
	ds_read2_b64 v[68:71], v62 offset0:35 offset1:36
	v_fma_f32 v5, v6, v61, -v5
	v_add_f32_e32 v4, v4, v5
	v_mul_f32_e32 v5, v65, v90
	v_fma_f32 v5, v64, v88, -v5
	s_waitcnt vmcnt(4) lgkmcnt(0)
	v_mul_f32_e32 v72, v68, v111
	v_fmac_f32_e32 v72, v69, v110
	v_add_f32_e32 v9, v9, v72
	s_waitcnt vmcnt(2)
	v_mul_f32_e32 v72, v70, v113
	v_fmac_f32_e32 v72, v71, v112
	v_add_f32_e32 v9, v9, v72
	ds_read2_b64 v[72:75], v62 offset0:37 offset1:38
	buffer_load_dword v116, off, s[0:3], 0 offset:96
	buffer_load_dword v117, off, s[0:3], 0 offset:100
	v_add_f32_e32 v4, v4, v5
	v_mul_f32_e32 v5, v67, v109
	v_fma_f32 v5, v66, v108, -v5
	s_waitcnt vmcnt(2) lgkmcnt(0)
	v_mul_f32_e32 v76, v72, v115
	v_fmac_f32_e32 v76, v73, v114
	v_add_f32_e32 v9, v9, v76
	v_add_f32_e32 v4, v4, v5
	v_mul_f32_e32 v5, v69, v111
	v_fma_f32 v5, v68, v110, -v5
	v_add_f32_e32 v4, v4, v5
	v_mul_f32_e32 v5, v71, v113
	v_fma_f32 v5, v70, v112, -v5
	;; [unrolled: 3-line block ×3, first 2 shown]
	v_add_f32_e32 v4, v4, v5
	s_waitcnt vmcnt(0)
	v_mul_f32_e32 v76, v74, v117
	v_fmac_f32_e32 v76, v75, v116
	v_add_f32_e32 v9, v9, v76
	ds_read2_b64 v[76:79], v62 offset0:39 offset1:40
	buffer_load_dword v118, off, s[0:3], 0 offset:104
	buffer_load_dword v119, off, s[0:3], 0 offset:108
	;; [unrolled: 1-line block ×4, first 2 shown]
	v_mul_f32_e32 v5, v75, v117
	v_fma_f32 v5, v74, v116, -v5
	v_add_f32_e32 v4, v4, v5
	s_waitcnt vmcnt(2) lgkmcnt(0)
	v_mul_f32_e32 v80, v76, v119
	v_fmac_f32_e32 v80, v77, v118
	v_add_f32_e32 v9, v9, v80
	s_waitcnt vmcnt(0)
	v_mul_f32_e32 v80, v78, v121
	v_fmac_f32_e32 v80, v79, v120
	v_add_f32_e32 v9, v9, v80
	ds_read2_b64 v[80:83], v62 offset0:41 offset1:42
	buffer_load_dword v122, off, s[0:3], 0 offset:120
	buffer_load_dword v123, off, s[0:3], 0 offset:124
	buffer_load_dword v124, off, s[0:3], 0 offset:128
	buffer_load_dword v125, off, s[0:3], 0 offset:132
	buffer_load_dword v93, off, s[0:3], 0 offset:140
	buffer_load_dword v92, off, s[0:3], 0 offset:136
	ds_read2_b64 v[84:87], v62 offset0:43 offset1:44
	buffer_load_dword v95, off, s[0:3], 0 offset:148
	buffer_load_dword v94, off, s[0:3], 0 offset:144
	;; [unrolled: 1-line block ×14, first 2 shown]
	v_mul_f32_e32 v5, v77, v119
	v_fma_f32 v5, v76, v118, -v5
	v_add_f32_e32 v4, v4, v5
	v_mul_f32_e32 v5, v79, v121
	v_fma_f32 v5, v78, v120, -v5
	v_add_f32_e32 v8, v4, v5
	s_waitcnt vmcnt(18) lgkmcnt(1)
	v_mul_f32_e32 v89, v80, v123
	s_waitcnt vmcnt(15)
	v_mov_b32_e32 v68, v93
	v_mul_f32_e32 v4, v81, v123
	s_waitcnt lgkmcnt(0)
	v_pk_mul_f32 v[68:69], v[84:85], v[68:69] op_sel_hi:[1,0]
	v_fmac_f32_e32 v89, v81, v122
	v_mul_f32_e32 v91, v82, v125
	v_fma_f32 v88, v80, v122, -v4
	v_mul_f32_e32 v4, v83, v125
	s_waitcnt vmcnt(14)
	v_pk_fma_f32 v[70:71], v[84:85], v[92:93], v[68:69] op_sel:[0,0,1] op_sel_hi:[1,1,0] neg_lo:[0,0,1] neg_hi:[0,0,1]
	v_pk_fma_f32 v[68:69], v[84:85], v[92:93], v[68:69] op_sel:[0,0,1] op_sel_hi:[1,0,0]
	v_fmac_f32_e32 v91, v83, v124
	v_fma_f32 v90, v82, v124, -v4
	v_pk_add_f32 v[8:9], v[8:9], v[88:89]
	s_waitcnt vmcnt(13)
	v_mov_b32_e32 v68, v95
	ds_read2_b64 v[4:7], v62 offset0:45 offset1:46
	ds_read2_b64 v[64:67], v62 offset0:47 offset1:48
	;; [unrolled: 1-line block ×3, first 2 shown]
	v_pk_add_f32 v[8:9], v[8:9], v[90:91]
	v_mov_b32_e32 v71, v69
	v_pk_mul_f32 v[68:69], v[86:87], v[68:69] op_sel_hi:[1,0]
	v_pk_add_f32 v[8:9], v[8:9], v[70:71]
	s_waitcnt vmcnt(12)
	v_pk_fma_f32 v[70:71], v[86:87], v[94:95], v[68:69] op_sel:[0,0,1] op_sel_hi:[1,1,0] neg_lo:[0,0,1] neg_hi:[0,0,1]
	v_pk_fma_f32 v[68:69], v[86:87], v[94:95], v[68:69] op_sel:[0,0,1] op_sel_hi:[1,0,0]
	s_waitcnt vmcnt(11)
	v_mov_b32_e32 v68, v97
	v_mov_b32_e32 v71, v69
	s_waitcnt lgkmcnt(2)
	v_pk_mul_f32 v[68:69], v[4:5], v[68:69] op_sel_hi:[1,0]
	v_pk_add_f32 v[8:9], v[8:9], v[70:71]
	s_waitcnt vmcnt(10)
	v_pk_fma_f32 v[70:71], v[4:5], v[96:97], v[68:69] op_sel:[0,0,1] op_sel_hi:[1,1,0] neg_lo:[0,0,1] neg_hi:[0,0,1]
	v_pk_fma_f32 v[4:5], v[4:5], v[96:97], v[68:69] op_sel:[0,0,1] op_sel_hi:[1,0,0]
	v_mov_b32_e32 v71, v5
	v_pk_add_f32 v[4:5], v[8:9], v[70:71]
	s_waitcnt vmcnt(9)
	v_mov_b32_e32 v8, v99
	v_pk_mul_f32 v[8:9], v[6:7], v[8:9] op_sel_hi:[1,0]
	s_waitcnt vmcnt(8)
	v_pk_fma_f32 v[68:69], v[6:7], v[98:99], v[8:9] op_sel:[0,0,1] op_sel_hi:[1,1,0] neg_lo:[0,0,1] neg_hi:[0,0,1]
	v_pk_fma_f32 v[6:7], v[6:7], v[98:99], v[8:9] op_sel:[0,0,1] op_sel_hi:[1,0,0]
	s_waitcnt vmcnt(7)
	v_mov_b32_e32 v6, v101
	v_mov_b32_e32 v69, v7
	s_waitcnt lgkmcnt(1)
	v_pk_mul_f32 v[6:7], v[64:65], v[6:7] op_sel_hi:[1,0]
	s_waitcnt vmcnt(6)
	v_pk_fma_f32 v[8:9], v[64:65], v[100:101], v[6:7] op_sel:[0,0,1] op_sel_hi:[1,1,0] neg_lo:[0,0,1] neg_hi:[0,0,1]
	v_pk_fma_f32 v[6:7], v[64:65], v[100:101], v[6:7] op_sel:[0,0,1] op_sel_hi:[1,0,0]
	s_waitcnt vmcnt(5)
	v_mov_b32_e32 v6, v103
	v_pk_add_f32 v[4:5], v[4:5], v[68:69]
	v_mov_b32_e32 v9, v7
	v_pk_mul_f32 v[6:7], v[66:67], v[6:7] op_sel_hi:[1,0]
	v_pk_add_f32 v[4:5], v[4:5], v[8:9]
	s_waitcnt vmcnt(4)
	v_pk_fma_f32 v[8:9], v[66:67], v[102:103], v[6:7] op_sel:[0,0,1] op_sel_hi:[1,1,0] neg_lo:[0,0,1] neg_hi:[0,0,1]
	v_pk_fma_f32 v[6:7], v[66:67], v[102:103], v[6:7] op_sel:[0,0,1] op_sel_hi:[1,0,0]
	s_waitcnt vmcnt(3)
	v_mov_b32_e32 v6, v105
	v_mov_b32_e32 v9, v7
	s_waitcnt lgkmcnt(0)
	v_pk_mul_f32 v[6:7], v[60:61], v[6:7] op_sel_hi:[1,0]
	v_pk_add_f32 v[4:5], v[4:5], v[8:9]
	s_waitcnt vmcnt(2)
	v_pk_fma_f32 v[8:9], v[60:61], v[104:105], v[6:7] op_sel:[0,0,1] op_sel_hi:[1,1,0] neg_lo:[0,0,1] neg_hi:[0,0,1]
	v_pk_fma_f32 v[6:7], v[60:61], v[104:105], v[6:7] op_sel:[0,0,1] op_sel_hi:[1,0,0]
	s_waitcnt vmcnt(1)
	v_mov_b32_e32 v6, v107
	v_mov_b32_e32 v9, v7
	v_pk_mul_f32 v[6:7], v[62:63], v[6:7] op_sel_hi:[1,0]
	v_pk_add_f32 v[4:5], v[4:5], v[8:9]
	s_waitcnt vmcnt(0)
	v_pk_fma_f32 v[8:9], v[62:63], v[106:107], v[6:7] op_sel:[0,0,1] op_sel_hi:[1,1,0] neg_lo:[0,0,1] neg_hi:[0,0,1]
	v_pk_fma_f32 v[6:7], v[62:63], v[106:107], v[6:7] op_sel:[0,0,1] op_sel_hi:[1,0,0]
	v_mov_b32_e32 v9, v7
	v_pk_add_f32 v[4:5], v[4:5], v[8:9]
	v_pk_add_f32 v[2:3], v[2:3], v[4:5] neg_lo:[0,1] neg_hi:[0,1]
	buffer_store_dword v3, off, s[0:3], 0 offset:36
	buffer_store_dword v2, off, s[0:3], 0 offset:32
	s_and_saveexec_b64 s[4:5], vcc
	s_cbranch_execz .LBB88_157
; %bb.156:
	buffer_load_dword v2, off, s[0:3], 0 offset:24
	buffer_load_dword v3, off, s[0:3], 0 offset:28
	v_mov_b32_e32 v4, 0
	buffer_store_dword v4, off, s[0:3], 0 offset:24
	buffer_store_dword v4, off, s[0:3], 0 offset:28
	s_waitcnt vmcnt(2)
	ds_write_b64 v1, v[2:3]
.LBB88_157:
	s_or_b64 exec, exec, s[4:5]
	s_waitcnt lgkmcnt(0)
	; wave barrier
	s_waitcnt lgkmcnt(0)
	buffer_load_dword v3, off, s[0:3], 0 offset:36
	buffer_load_dword v104, off, s[0:3], 0 offset:44
	;; [unrolled: 1-line block ×44, first 2 shown]
	v_mov_b32_e32 v2, 0
	ds_read_b128 v[4:7], v2 offset:240
	ds_read_b128 v[60:63], v2 offset:256
	;; [unrolled: 1-line block ×8, first 2 shown]
	v_cmp_lt_u32_e32 vcc, 2, v0
	s_waitcnt vmcnt(43) lgkmcnt(7)
	v_mul_f32_e32 v109, v4, v3
	v_mul_f32_e32 v3, v5, v3
	s_waitcnt vmcnt(42)
	v_mul_f32_e32 v132, v6, v104
	s_waitcnt vmcnt(41) lgkmcnt(6)
	v_mul_f32_e32 v133, v60, v106
	s_waitcnt vmcnt(40)
	v_mul_f32_e32 v134, v62, v108
	s_waitcnt vmcnt(39) lgkmcnt(5)
	;; [unrolled: 4-line block ×5, first 2 shown]
	v_mul_f32_e32 v141, v76, v116
	s_waitcnt vmcnt(32)
	v_mul_f32_e32 v105, v78, v117
	s_waitcnt vmcnt(30)
	v_fma_f32 v3, v4, v119, -v3
	v_mul_f32_e32 v4, v7, v104
	v_add_f32_e32 v3, 0, v3
	s_waitcnt vmcnt(29)
	v_fma_f32 v4, v6, v120, -v4
	v_add_f32_e32 v3, v3, v4
	v_mul_f32_e32 v4, v61, v106
	s_waitcnt vmcnt(28)
	v_fma_f32 v4, v60, v121, -v4
	v_add_f32_e32 v3, v3, v4
	v_mul_f32_e32 v4, v63, v108
	;; [unrolled: 4-line block ×4, first 2 shown]
	s_waitcnt vmcnt(25)
	v_fma_f32 v4, v66, v124, -v4
	v_fmac_f32_e32 v109, v5, v119
	v_add_f32_e32 v3, v3, v4
	v_mul_f32_e32 v4, v69, v112
	v_fmac_f32_e32 v132, v7, v120
	v_add_f32_e32 v5, 0, v109
	s_waitcnt vmcnt(24)
	v_fma_f32 v4, v68, v125, -v4
	v_fmac_f32_e32 v133, v61, v121
	v_add_f32_e32 v5, v5, v132
	v_add_f32_e32 v3, v3, v4
	v_mul_f32_e32 v4, v71, v113
	v_fmac_f32_e32 v134, v63, v122
	v_add_f32_e32 v5, v5, v133
	s_waitcnt vmcnt(23)
	v_fma_f32 v4, v70, v126, -v4
	v_fmac_f32_e32 v135, v65, v123
	v_add_f32_e32 v5, v5, v134
	;; [unrolled: 8-line block ×4, first 2 shown]
	v_add_f32_e32 v3, v3, v4
	v_mul_f32_e32 v4, v77, v116
	v_fmac_f32_e32 v140, v75, v128
	v_add_f32_e32 v5, v5, v139
	s_waitcnt vmcnt(20)
	v_fma_f32 v4, v76, v129, -v4
	s_waitcnt vmcnt(13)
	v_mov_b32_e32 v68, v91
	v_fmac_f32_e32 v141, v77, v129
	v_add_f32_e32 v5, v5, v140
	v_add_f32_e32 v108, v3, v4
	v_mul_f32_e32 v3, v79, v117
	s_waitcnt lgkmcnt(1)
	v_pk_mul_f32 v[68:69], v[82:83], v[68:69] op_sel_hi:[1,0]
	v_mul_f32_e32 v107, v80, v118
	v_fmac_f32_e32 v105, v79, v130
	v_add_f32_e32 v109, v5, v141
	v_fma_f32 v104, v78, v130, -v3
	v_mul_f32_e32 v3, v81, v118
	s_waitcnt vmcnt(12)
	v_pk_fma_f32 v[70:71], v[82:83], v[90:91], v[68:69] op_sel:[0,0,1] op_sel_hi:[1,1,0] neg_lo:[0,0,1] neg_hi:[0,0,1]
	v_pk_fma_f32 v[68:69], v[82:83], v[90:91], v[68:69] op_sel:[0,0,1] op_sel_hi:[1,0,0]
	v_fmac_f32_e32 v107, v81, v131
	v_fma_f32 v106, v80, v131, -v3
	v_pk_add_f32 v[66:67], v[108:109], v[104:105]
	v_mov_b32_e32 v68, v89
	v_pk_add_f32 v[66:67], v[66:67], v[106:107]
	v_mov_b32_e32 v71, v69
	s_waitcnt lgkmcnt(0)
	v_pk_mul_f32 v[68:69], v[84:85], v[68:69] op_sel_hi:[1,0]
	v_pk_add_f32 v[66:67], v[66:67], v[70:71]
	v_pk_fma_f32 v[70:71], v[84:85], v[88:89], v[68:69] op_sel:[0,0,1] op_sel_hi:[1,1,0] neg_lo:[0,0,1] neg_hi:[0,0,1]
	v_pk_fma_f32 v[68:69], v[84:85], v[88:89], v[68:69] op_sel:[0,0,1] op_sel_hi:[1,0,0]
	s_waitcnt vmcnt(5)
	v_mov_b32_e32 v68, v99
	ds_read_b128 v[4:7], v2 offset:368
	ds_read_b128 v[60:63], v2 offset:384
	ds_read_b64 v[64:65], v2 offset:400
	v_mov_b32_e32 v71, v69
	v_pk_mul_f32 v[68:69], v[86:87], v[68:69] op_sel_hi:[1,0]
	v_pk_add_f32 v[66:67], v[66:67], v[70:71]
	s_waitcnt vmcnt(4)
	v_pk_fma_f32 v[70:71], v[86:87], v[98:99], v[68:69] op_sel:[0,0,1] op_sel_hi:[1,1,0] neg_lo:[0,0,1] neg_hi:[0,0,1]
	v_pk_fma_f32 v[68:69], v[86:87], v[98:99], v[68:69] op_sel:[0,0,1] op_sel_hi:[1,0,0]
	v_mov_b32_e32 v68, v97
	v_mov_b32_e32 v71, v69
	s_waitcnt lgkmcnt(2)
	v_pk_mul_f32 v[68:69], v[4:5], v[68:69] op_sel_hi:[1,0]
	v_pk_add_f32 v[66:67], v[66:67], v[70:71]
	v_pk_fma_f32 v[70:71], v[4:5], v[96:97], v[68:69] op_sel:[0,0,1] op_sel_hi:[1,1,0] neg_lo:[0,0,1] neg_hi:[0,0,1]
	v_pk_fma_f32 v[4:5], v[4:5], v[96:97], v[68:69] op_sel:[0,0,1] op_sel_hi:[1,0,0]
	v_mov_b32_e32 v71, v5
	v_pk_add_f32 v[4:5], v[66:67], v[70:71]
	v_mov_b32_e32 v66, v95
	v_pk_mul_f32 v[66:67], v[6:7], v[66:67] op_sel_hi:[1,0]
	v_pk_fma_f32 v[68:69], v[6:7], v[94:95], v[66:67] op_sel:[0,0,1] op_sel_hi:[1,1,0] neg_lo:[0,0,1] neg_hi:[0,0,1]
	v_pk_fma_f32 v[6:7], v[6:7], v[94:95], v[66:67] op_sel:[0,0,1] op_sel_hi:[1,0,0]
	v_mov_b32_e32 v6, v93
	v_mov_b32_e32 v69, v7
	s_waitcnt lgkmcnt(1)
	v_pk_mul_f32 v[6:7], v[60:61], v[6:7] op_sel_hi:[1,0]
	v_pk_fma_f32 v[66:67], v[60:61], v[92:93], v[6:7] op_sel:[0,0,1] op_sel_hi:[1,1,0] neg_lo:[0,0,1] neg_hi:[0,0,1]
	v_pk_fma_f32 v[6:7], v[60:61], v[92:93], v[6:7] op_sel:[0,0,1] op_sel_hi:[1,0,0]
	s_waitcnt vmcnt(1)
	v_mov_b32_e32 v6, v103
	v_mov_b32_e32 v67, v7
	v_pk_mul_f32 v[6:7], v[62:63], v[6:7] op_sel_hi:[1,0]
	s_waitcnt vmcnt(0)
	v_pk_fma_f32 v[60:61], v[62:63], v[102:103], v[6:7] op_sel:[0,0,1] op_sel_hi:[1,1,0] neg_lo:[0,0,1] neg_hi:[0,0,1]
	v_pk_fma_f32 v[6:7], v[62:63], v[102:103], v[6:7] op_sel:[0,0,1] op_sel_hi:[1,0,0]
	v_pk_add_f32 v[4:5], v[4:5], v[68:69]
	v_mov_b32_e32 v6, v101
	v_pk_add_f32 v[4:5], v[4:5], v[66:67]
	v_mov_b32_e32 v61, v7
	s_waitcnt lgkmcnt(0)
	v_pk_mul_f32 v[6:7], v[64:65], v[6:7] op_sel_hi:[1,0]
	v_pk_add_f32 v[4:5], v[4:5], v[60:61]
	v_pk_fma_f32 v[60:61], v[64:65], v[100:101], v[6:7] op_sel:[0,0,1] op_sel_hi:[1,1,0] neg_lo:[0,0,1] neg_hi:[0,0,1]
	v_pk_fma_f32 v[6:7], v[64:65], v[100:101], v[6:7] op_sel:[0,0,1] op_sel_hi:[1,0,0]
	v_mov_b32_e32 v61, v7
	v_pk_add_f32 v[4:5], v[4:5], v[60:61]
	v_pk_add_f32 v[4:5], v[8:9], v[4:5] neg_lo:[0,1] neg_hi:[0,1]
	buffer_store_dword v5, off, s[0:3], 0 offset:28
	buffer_store_dword v4, off, s[0:3], 0 offset:24
	s_and_saveexec_b64 s[4:5], vcc
	s_cbranch_execz .LBB88_159
; %bb.158:
	buffer_load_dword v4, off, s[0:3], 0 offset:16
	buffer_load_dword v5, off, s[0:3], 0 offset:20
	s_waitcnt vmcnt(0)
	ds_write_b64 v1, v[4:5]
	buffer_store_dword v2, off, s[0:3], 0 offset:16
	buffer_store_dword v2, off, s[0:3], 0 offset:20
.LBB88_159:
	s_or_b64 exec, exec, s[4:5]
	s_waitcnt lgkmcnt(0)
	; wave barrier
	s_waitcnt lgkmcnt(0)
	buffer_load_dword v3, off, s[0:3], 0 offset:28
	buffer_load_dword v104, off, s[0:3], 0 offset:36
	;; [unrolled: 1-line block ×30, first 2 shown]
	ds_read2_b64 v[4:7], v2 offset0:29 offset1:30
	ds_read2_b64 v[60:63], v2 offset0:31 offset1:32
	;; [unrolled: 1-line block ×6, first 2 shown]
	buffer_load_dword v89, off, s[0:3], 0 offset:140
	buffer_load_dword v88, off, s[0:3], 0 offset:136
	ds_read2_b64 v[80:83], v2 offset0:41 offset1:42
	ds_read2_b64 v[84:87], v2 offset0:43 offset1:44
	buffer_load_dword v91, off, s[0:3], 0 offset:172
	buffer_load_dword v90, off, s[0:3], 0 offset:168
	buffer_load_dword v93, off, s[0:3], 0 offset:164
	buffer_load_dword v92, off, s[0:3], 0 offset:160
	buffer_load_dword v95, off, s[0:3], 0 offset:156
	buffer_load_dword v94, off, s[0:3], 0 offset:152
	buffer_load_dword v97, off, s[0:3], 0 offset:148
	buffer_load_dword v96, off, s[0:3], 0 offset:144
	buffer_load_dword v99, off, s[0:3], 0 offset:196
	buffer_load_dword v98, off, s[0:3], 0 offset:192
	buffer_load_dword v101, off, s[0:3], 0 offset:188
	buffer_load_dword v100, off, s[0:3], 0 offset:184
	buffer_load_dword v103, off, s[0:3], 0 offset:180
	buffer_load_dword v102, off, s[0:3], 0 offset:176
	v_cmp_lt_u32_e32 vcc, 1, v0
	s_waitcnt vmcnt(45) lgkmcnt(7)
	v_mul_f32_e32 v107, v4, v3
	v_mul_f32_e32 v3, v5, v3
	s_waitcnt vmcnt(44)
	v_mul_f32_e32 v109, v6, v104
	s_waitcnt vmcnt(43) lgkmcnt(6)
	v_mul_f32_e32 v134, v60, v106
	s_waitcnt vmcnt(42)
	v_mul_f32_e32 v135, v62, v108
	s_waitcnt vmcnt(41) lgkmcnt(5)
	;; [unrolled: 4-line block ×5, first 2 shown]
	v_mul_f32_e32 v142, v76, v116
	s_waitcnt vmcnt(34)
	v_mul_f32_e32 v143, v78, v117
	s_waitcnt vmcnt(32)
	v_fma_f32 v3, v4, v119, -v3
	v_mul_f32_e32 v4, v7, v104
	v_add_f32_e32 v3, 0, v3
	s_waitcnt vmcnt(31)
	v_fma_f32 v4, v6, v120, -v4
	v_add_f32_e32 v3, v3, v4
	v_mul_f32_e32 v4, v61, v106
	s_waitcnt vmcnt(30)
	v_fma_f32 v4, v60, v121, -v4
	v_add_f32_e32 v3, v3, v4
	v_mul_f32_e32 v4, v63, v108
	;; [unrolled: 4-line block ×5, first 2 shown]
	v_fmac_f32_e32 v107, v5, v119
	s_waitcnt vmcnt(26)
	v_fma_f32 v4, v68, v125, -v4
	v_fmac_f32_e32 v109, v7, v120
	v_add_f32_e32 v107, 0, v107
	v_add_f32_e32 v3, v3, v4
	v_mul_f32_e32 v4, v71, v113
	v_fmac_f32_e32 v134, v61, v121
	v_add_f32_e32 v107, v107, v109
	s_waitcnt vmcnt(25)
	v_fma_f32 v4, v70, v126, -v4
	v_fmac_f32_e32 v135, v63, v122
	v_add_f32_e32 v107, v107, v134
	v_add_f32_e32 v3, v3, v4
	v_mul_f32_e32 v4, v73, v114
	v_fmac_f32_e32 v136, v65, v123
	v_add_f32_e32 v107, v107, v135
	;; [unrolled: 8-line block ×5, first 2 shown]
	s_waitcnt vmcnt(21)
	v_fma_f32 v4, v78, v130, -v4
	s_waitcnt vmcnt(15)
	v_mov_b32_e32 v68, v89
	s_waitcnt lgkmcnt(1)
	v_mul_f32_e32 v105, v80, v118
	v_fmac_f32_e32 v143, v79, v130
	v_add_f32_e32 v107, v107, v142
	v_add_f32_e32 v106, v3, v4
	v_mul_f32_e32 v3, v81, v118
	s_waitcnt lgkmcnt(0)
	v_pk_mul_f32 v[68:69], v[84:85], v[68:69] op_sel_hi:[1,0]
	v_fmac_f32_e32 v105, v81, v131
	v_add_f32_e32 v107, v107, v143
	v_mul_f32_e32 v109, v82, v132
	v_fma_f32 v104, v80, v131, -v3
	v_mul_f32_e32 v3, v83, v132
	s_waitcnt vmcnt(14)
	v_pk_fma_f32 v[70:71], v[84:85], v[88:89], v[68:69] op_sel:[0,0,1] op_sel_hi:[1,1,0] neg_lo:[0,0,1] neg_hi:[0,0,1]
	v_pk_fma_f32 v[68:69], v[84:85], v[88:89], v[68:69] op_sel:[0,0,1] op_sel_hi:[1,0,0]
	v_fmac_f32_e32 v109, v83, v133
	v_fma_f32 v108, v82, v133, -v3
	ds_read2_b64 v[4:7], v2 offset0:45 offset1:46
	ds_read2_b64 v[60:63], v2 offset0:47 offset1:48
	;; [unrolled: 1-line block ×3, first 2 shown]
	v_pk_add_f32 v[2:3], v[106:107], v[104:105]
	s_waitcnt vmcnt(7)
	v_mov_b32_e32 v68, v97
	v_pk_add_f32 v[2:3], v[2:3], v[108:109]
	v_mov_b32_e32 v71, v69
	v_pk_mul_f32 v[68:69], v[86:87], v[68:69] op_sel_hi:[1,0]
	v_pk_add_f32 v[2:3], v[2:3], v[70:71]
	s_waitcnt vmcnt(6)
	v_pk_fma_f32 v[70:71], v[86:87], v[96:97], v[68:69] op_sel:[0,0,1] op_sel_hi:[1,1,0] neg_lo:[0,0,1] neg_hi:[0,0,1]
	v_pk_fma_f32 v[68:69], v[86:87], v[96:97], v[68:69] op_sel:[0,0,1] op_sel_hi:[1,0,0]
	v_mov_b32_e32 v68, v95
	v_mov_b32_e32 v71, v69
	s_waitcnt lgkmcnt(2)
	v_pk_mul_f32 v[68:69], v[4:5], v[68:69] op_sel_hi:[1,0]
	v_pk_add_f32 v[2:3], v[2:3], v[70:71]
	v_pk_fma_f32 v[70:71], v[4:5], v[94:95], v[68:69] op_sel:[0,0,1] op_sel_hi:[1,1,0] neg_lo:[0,0,1] neg_hi:[0,0,1]
	v_pk_fma_f32 v[4:5], v[4:5], v[94:95], v[68:69] op_sel:[0,0,1] op_sel_hi:[1,0,0]
	v_mov_b32_e32 v4, v93
	v_mov_b32_e32 v71, v5
	v_pk_mul_f32 v[4:5], v[6:7], v[4:5] op_sel_hi:[1,0]
	v_pk_fma_f32 v[68:69], v[6:7], v[92:93], v[4:5] op_sel:[0,0,1] op_sel_hi:[1,1,0] neg_lo:[0,0,1] neg_hi:[0,0,1]
	v_pk_fma_f32 v[4:5], v[6:7], v[92:93], v[4:5] op_sel:[0,0,1] op_sel_hi:[1,0,0]
	v_mov_b32_e32 v4, v91
	v_mov_b32_e32 v69, v5
	s_waitcnt lgkmcnt(1)
	v_pk_mul_f32 v[4:5], v[60:61], v[4:5] op_sel_hi:[1,0]
	v_pk_fma_f32 v[6:7], v[60:61], v[90:91], v[4:5] op_sel:[0,0,1] op_sel_hi:[1,1,0] neg_lo:[0,0,1] neg_hi:[0,0,1]
	v_pk_fma_f32 v[4:5], v[60:61], v[90:91], v[4:5] op_sel:[0,0,1] op_sel_hi:[1,0,0]
	v_pk_add_f32 v[2:3], v[2:3], v[70:71]
	s_waitcnt vmcnt(1)
	v_mov_b32_e32 v4, v103
	v_pk_add_f32 v[2:3], v[2:3], v[68:69]
	v_mov_b32_e32 v7, v5
	v_pk_mul_f32 v[4:5], v[62:63], v[4:5] op_sel_hi:[1,0]
	v_pk_add_f32 v[2:3], v[2:3], v[6:7]
	s_waitcnt vmcnt(0)
	v_pk_fma_f32 v[6:7], v[62:63], v[102:103], v[4:5] op_sel:[0,0,1] op_sel_hi:[1,1,0] neg_lo:[0,0,1] neg_hi:[0,0,1]
	v_pk_fma_f32 v[4:5], v[62:63], v[102:103], v[4:5] op_sel:[0,0,1] op_sel_hi:[1,0,0]
	v_mov_b32_e32 v4, v101
	v_mov_b32_e32 v7, v5
	s_waitcnt lgkmcnt(0)
	v_pk_mul_f32 v[4:5], v[64:65], v[4:5] op_sel_hi:[1,0]
	v_pk_add_f32 v[2:3], v[2:3], v[6:7]
	v_pk_fma_f32 v[6:7], v[64:65], v[100:101], v[4:5] op_sel:[0,0,1] op_sel_hi:[1,1,0] neg_lo:[0,0,1] neg_hi:[0,0,1]
	v_pk_fma_f32 v[4:5], v[64:65], v[100:101], v[4:5] op_sel:[0,0,1] op_sel_hi:[1,0,0]
	v_mov_b32_e32 v4, v99
	v_mov_b32_e32 v7, v5
	v_pk_mul_f32 v[4:5], v[66:67], v[4:5] op_sel_hi:[1,0]
	v_pk_add_f32 v[2:3], v[2:3], v[6:7]
	v_pk_fma_f32 v[6:7], v[66:67], v[98:99], v[4:5] op_sel:[0,0,1] op_sel_hi:[1,1,0] neg_lo:[0,0,1] neg_hi:[0,0,1]
	v_pk_fma_f32 v[4:5], v[66:67], v[98:99], v[4:5] op_sel:[0,0,1] op_sel_hi:[1,0,0]
	v_mov_b32_e32 v7, v5
	v_pk_add_f32 v[2:3], v[2:3], v[6:7]
	v_pk_add_f32 v[2:3], v[8:9], v[2:3] neg_lo:[0,1] neg_hi:[0,1]
	buffer_store_dword v3, off, s[0:3], 0 offset:20
	buffer_store_dword v2, off, s[0:3], 0 offset:16
	s_and_saveexec_b64 s[4:5], vcc
	s_cbranch_execz .LBB88_161
; %bb.160:
	buffer_load_dword v2, off, s[0:3], 0 offset:8
	buffer_load_dword v3, off, s[0:3], 0 offset:12
	v_mov_b32_e32 v4, 0
	buffer_store_dword v4, off, s[0:3], 0 offset:8
	buffer_store_dword v4, off, s[0:3], 0 offset:12
	s_waitcnt vmcnt(2)
	ds_write_b64 v1, v[2:3]
.LBB88_161:
	s_or_b64 exec, exec, s[4:5]
	s_waitcnt lgkmcnt(0)
	; wave barrier
	s_waitcnt lgkmcnt(0)
	buffer_load_dword v3, off, s[0:3], 0 offset:20
	buffer_load_dword v102, off, s[0:3], 0 offset:28
	;; [unrolled: 1-line block ×32, first 2 shown]
	v_mov_b32_e32 v2, 0
	buffer_load_dword v89, off, s[0:3], 0 offset:164
	buffer_load_dword v88, off, s[0:3], 0 offset:160
	;; [unrolled: 1-line block ×13, first 2 shown]
	ds_read_b128 v[4:7], v2 offset:224
	ds_read_b128 v[60:63], v2 offset:240
	;; [unrolled: 1-line block ×8, first 2 shown]
	v_cmp_ne_u32_e32 vcc, 0, v0
	s_waitcnt vmcnt(44) lgkmcnt(7)
	v_mul_f32_e32 v96, v4, v3
	s_waitcnt vmcnt(43)
	v_mul_f32_e32 v103, v6, v102
	s_waitcnt vmcnt(42) lgkmcnt(6)
	v_mul_f32_e32 v104, v60, v106
	s_waitcnt vmcnt(41)
	v_mul_f32_e32 v105, v62, v108
	;; [unrolled: 4-line block ×6, first 2 shown]
	s_waitcnt vmcnt(32) lgkmcnt(1)
	v_mul_f32_e32 v142, v80, v118
	s_waitcnt vmcnt(31)
	v_fmac_f32_e32 v96, v5, v119
	s_waitcnt vmcnt(30)
	v_fmac_f32_e32 v103, v7, v120
	v_add_f32_e32 v96, 0, v96
	s_waitcnt vmcnt(29)
	v_fmac_f32_e32 v104, v61, v121
	v_add_f32_e32 v96, v96, v103
	;; [unrolled: 3-line block ×12, first 2 shown]
	v_add_f32_e32 v103, v96, v142
	buffer_load_dword v105, off, s[0:3], 0 offset:180
	buffer_load_dword v104, off, s[0:3], 0 offset:176
	;; [unrolled: 1-line block ×3, first 2 shown]
	v_mul_f32_e32 v3, v5, v3
	v_fma_f32 v3, v4, v119, -v3
	v_mul_f32_e32 v4, v7, v102
	v_add_f32_e32 v3, 0, v3
	v_fma_f32 v4, v6, v120, -v4
	v_add_f32_e32 v3, v3, v4
	v_mul_f32_e32 v4, v61, v106
	v_fma_f32 v4, v60, v121, -v4
	v_add_f32_e32 v3, v3, v4
	v_mul_f32_e32 v4, v63, v108
	;; [unrolled: 3-line block ×11, first 2 shown]
	v_fma_f32 v4, v80, v131, -v4
	s_waitcnt vmcnt(9)
	v_mov_b32_e32 v72, v95
	v_mul_f32_e32 v107, v82, v132
	v_add_f32_e32 v102, v3, v4
	v_mul_f32_e32 v3, v83, v132
	s_waitcnt lgkmcnt(0)
	v_pk_mul_f32 v[72:73], v[86:87], v[72:73] op_sel_hi:[1,0]
	v_fmac_f32_e32 v107, v83, v133
	v_mul_f32_e32 v109, v84, v134
	v_fma_f32 v106, v82, v133, -v3
	v_mul_f32_e32 v3, v85, v134
	ds_read_b128 v[4:7], v2 offset:352
	ds_read_b128 v[60:63], v2 offset:368
	;; [unrolled: 1-line block ×3, first 2 shown]
	ds_read_b64 v[68:69], v2 offset:400
	s_waitcnt vmcnt(8)
	v_pk_fma_f32 v[74:75], v[86:87], v[94:95], v[72:73] op_sel:[0,0,1] op_sel_hi:[1,1,0] neg_lo:[0,0,1] neg_hi:[0,0,1]
	v_pk_fma_f32 v[72:73], v[86:87], v[94:95], v[72:73] op_sel:[0,0,1] op_sel_hi:[1,0,0]
	v_fmac_f32_e32 v109, v85, v135
	v_fma_f32 v108, v84, v135, -v3
	v_pk_add_f32 v[70:71], v[102:103], v[106:107]
	v_mov_b32_e32 v72, v93
	v_pk_add_f32 v[70:71], v[70:71], v[108:109]
	v_mov_b32_e32 v75, v73
	s_waitcnt lgkmcnt(3)
	v_pk_mul_f32 v[72:73], v[4:5], v[72:73] op_sel_hi:[1,0]
	v_pk_add_f32 v[70:71], v[70:71], v[74:75]
	v_pk_fma_f32 v[74:75], v[4:5], v[92:93], v[72:73] op_sel:[0,0,1] op_sel_hi:[1,1,0] neg_lo:[0,0,1] neg_hi:[0,0,1]
	v_pk_fma_f32 v[4:5], v[4:5], v[92:93], v[72:73] op_sel:[0,0,1] op_sel_hi:[1,0,0]
	v_mov_b32_e32 v75, v5
	v_pk_add_f32 v[4:5], v[70:71], v[74:75]
	v_mov_b32_e32 v70, v91
	v_pk_mul_f32 v[70:71], v[6:7], v[70:71] op_sel_hi:[1,0]
	v_pk_fma_f32 v[72:73], v[6:7], v[90:91], v[70:71] op_sel:[0,0,1] op_sel_hi:[1,1,0] neg_lo:[0,0,1] neg_hi:[0,0,1]
	v_pk_fma_f32 v[6:7], v[6:7], v[90:91], v[70:71] op_sel:[0,0,1] op_sel_hi:[1,0,0]
	v_mov_b32_e32 v6, v89
	v_mov_b32_e32 v73, v7
	s_waitcnt lgkmcnt(2)
	v_pk_mul_f32 v[6:7], v[60:61], v[6:7] op_sel_hi:[1,0]
	v_pk_fma_f32 v[70:71], v[60:61], v[88:89], v[6:7] op_sel:[0,0,1] op_sel_hi:[1,1,0] neg_lo:[0,0,1] neg_hi:[0,0,1]
	v_pk_fma_f32 v[6:7], v[60:61], v[88:89], v[6:7] op_sel:[0,0,1] op_sel_hi:[1,0,0]
	s_waitcnt vmcnt(7)
	v_mov_b32_e32 v6, v97
	v_mov_b32_e32 v71, v7
	v_pk_mul_f32 v[6:7], v[62:63], v[6:7] op_sel_hi:[1,0]
	v_pk_add_f32 v[4:5], v[4:5], v[72:73]
	v_pk_add_f32 v[4:5], v[4:5], v[70:71]
	s_waitcnt vmcnt(0)
	v_pk_fma_f32 v[60:61], v[62:63], v[96:97], v[6:7] op_sel:[0,0,1] op_sel_hi:[1,1,0] neg_lo:[0,0,1] neg_hi:[0,0,1]
	v_pk_fma_f32 v[6:7], v[62:63], v[96:97], v[6:7] op_sel:[0,0,1] op_sel_hi:[1,0,0]
	v_mov_b32_e32 v6, v105
	v_mov_b32_e32 v61, v7
	s_waitcnt lgkmcnt(1)
	v_pk_mul_f32 v[6:7], v[64:65], v[6:7] op_sel_hi:[1,0]
	v_pk_add_f32 v[4:5], v[4:5], v[60:61]
	v_pk_fma_f32 v[60:61], v[64:65], v[104:105], v[6:7] op_sel:[0,0,1] op_sel_hi:[1,1,0] neg_lo:[0,0,1] neg_hi:[0,0,1]
	v_pk_fma_f32 v[6:7], v[64:65], v[104:105], v[6:7] op_sel:[0,0,1] op_sel_hi:[1,0,0]
	v_mov_b32_e32 v6, v101
	v_mov_b32_e32 v61, v7
	v_pk_mul_f32 v[6:7], v[66:67], v[6:7] op_sel_hi:[1,0]
	v_pk_add_f32 v[4:5], v[4:5], v[60:61]
	v_pk_fma_f32 v[60:61], v[66:67], v[100:101], v[6:7] op_sel:[0,0,1] op_sel_hi:[1,1,0] neg_lo:[0,0,1] neg_hi:[0,0,1]
	v_pk_fma_f32 v[6:7], v[66:67], v[100:101], v[6:7] op_sel:[0,0,1] op_sel_hi:[1,0,0]
	v_mov_b32_e32 v6, v99
	v_mov_b32_e32 v61, v7
	s_waitcnt lgkmcnt(0)
	v_pk_mul_f32 v[6:7], v[68:69], v[6:7] op_sel_hi:[1,0]
	v_pk_add_f32 v[4:5], v[4:5], v[60:61]
	v_pk_fma_f32 v[60:61], v[68:69], v[98:99], v[6:7] op_sel:[0,0,1] op_sel_hi:[1,1,0] neg_lo:[0,0,1] neg_hi:[0,0,1]
	v_pk_fma_f32 v[6:7], v[68:69], v[98:99], v[6:7] op_sel:[0,0,1] op_sel_hi:[1,0,0]
	v_mov_b32_e32 v61, v7
	v_pk_add_f32 v[4:5], v[4:5], v[60:61]
	v_pk_add_f32 v[4:5], v[8:9], v[4:5] neg_lo:[0,1] neg_hi:[0,1]
	buffer_store_dword v5, off, s[0:3], 0 offset:12
	buffer_store_dword v4, off, s[0:3], 0 offset:8
	s_and_saveexec_b64 s[4:5], vcc
	s_cbranch_execz .LBB88_163
; %bb.162:
	buffer_load_dword v4, off, s[0:3], 0
	buffer_load_dword v5, off, s[0:3], 0 offset:4
	s_waitcnt vmcnt(0)
	ds_write_b64 v1, v[4:5]
	buffer_store_dword v2, off, s[0:3], 0
	buffer_store_dword v2, off, s[0:3], 0 offset:4
.LBB88_163:
	s_or_b64 exec, exec, s[4:5]
	s_waitcnt lgkmcnt(0)
	; wave barrier
	s_waitcnt lgkmcnt(0)
	buffer_load_dword v0, off, s[0:3], 0 offset:12
	buffer_load_dword v1, off, s[0:3], 0 offset:20
	;; [unrolled: 1-line block ×32, first 2 shown]
	buffer_load_dword v8, off, s[0:3], 0
	buffer_load_dword v9, off, s[0:3], 0 offset:4
	ds_read2_b64 v[4:7], v2 offset0:27 offset1:28
	ds_read2_b64 v[60:63], v2 offset0:29 offset1:30
	;; [unrolled: 1-line block ×8, first 2 shown]
	buffer_load_dword v89, off, s[0:3], 0 offset:156
	buffer_load_dword v88, off, s[0:3], 0 offset:152
	;; [unrolled: 1-line block ×9, first 2 shown]
	s_and_b64 vcc, exec, s[16:17]
	s_waitcnt vmcnt(42) lgkmcnt(7)
	v_mul_f32_e32 v94, v4, v0
	s_waitcnt vmcnt(41)
	v_mul_f32_e32 v98, v6, v1
	s_waitcnt vmcnt(40) lgkmcnt(6)
	v_mul_f32_e32 v99, v60, v3
	s_waitcnt vmcnt(39)
	v_mul_f32_e32 v100, v62, v102
	;; [unrolled: 4-line block ×6, first 2 shown]
	s_waitcnt vmcnt(30) lgkmcnt(1)
	v_mul_f32_e32 v138, v80, v116
	v_mul_f32_e32 v0, v5, v0
	s_waitcnt vmcnt(28)
	v_fmac_f32_e32 v94, v5, v118
	s_waitcnt vmcnt(27)
	v_fmac_f32_e32 v98, v7, v119
	v_add_f32_e32 v94, 0, v94
	s_waitcnt vmcnt(26)
	v_fmac_f32_e32 v99, v61, v120
	v_add_f32_e32 v94, v94, v98
	;; [unrolled: 3-line block ×12, first 2 shown]
	v_add_f32_e32 v103, v94, v138
	buffer_load_dword v99, off, s[0:3], 0 offset:180
	buffer_load_dword v98, off, s[0:3], 0 offset:176
	;; [unrolled: 1-line block ×7, first 2 shown]
	v_fma_f32 v0, v4, v118, -v0
	v_mul_f32_e32 v1, v7, v1
	v_add_f32_e32 v0, 0, v0
	v_fma_f32 v1, v6, v119, -v1
	v_add_f32_e32 v0, v0, v1
	v_mul_f32_e32 v1, v61, v3
	v_fma_f32 v1, v60, v120, -v1
	v_add_f32_e32 v0, v0, v1
	v_mul_f32_e32 v1, v63, v102
	;; [unrolled: 3-line block ×12, first 2 shown]
	s_waitcnt vmcnt(22)
	v_fma_f32 v1, v82, v131, -v1
	v_add_f32_e32 v102, v0, v1
	s_waitcnt vmcnt(21) lgkmcnt(0)
	v_mul_f32_e32 v0, v85, v132
	s_waitcnt vmcnt(20)
	v_fma_f32 v104, v84, v133, -v0
	s_waitcnt vmcnt(19)
	v_mul_f32_e32 v0, v87, v134
	v_mul_f32_e32 v139, v82, v117
	s_waitcnt vmcnt(18)
	v_fma_f32 v106, v86, v135, -v0
	ds_read2_b64 v[4:7], v2 offset0:43 offset1:44
	ds_read2_b64 v[60:63], v2 offset0:45 offset1:46
	;; [unrolled: 1-line block ×4, first 2 shown]
	v_fmac_f32_e32 v139, v83, v131
	v_mul_f32_e32 v105, v84, v132
	s_waitcnt vmcnt(11)
	v_mov_b32_e32 v70, v93
	v_add_f32_e32 v103, v103, v139
	v_fmac_f32_e32 v105, v85, v133
	v_mul_f32_e32 v107, v86, v134
	s_waitcnt lgkmcnt(3)
	v_pk_mul_f32 v[70:71], v[4:5], v[70:71] op_sel_hi:[1,0]
	v_fmac_f32_e32 v107, v87, v135
	v_pk_add_f32 v[68:69], v[102:103], v[104:105]
	s_waitcnt vmcnt(10)
	v_pk_fma_f32 v[72:73], v[4:5], v[92:93], v[70:71] op_sel:[0,0,1] op_sel_hi:[1,1,0] neg_lo:[0,0,1] neg_hi:[0,0,1]
	v_pk_fma_f32 v[4:5], v[4:5], v[92:93], v[70:71] op_sel:[0,0,1] op_sel_hi:[1,0,0]
	v_pk_add_f32 v[68:69], v[68:69], v[106:107]
	v_mov_b32_e32 v73, v5
	v_pk_add_f32 v[4:5], v[68:69], v[72:73]
	v_mov_b32_e32 v68, v91
	v_pk_mul_f32 v[68:69], v[6:7], v[68:69] op_sel_hi:[1,0]
	v_pk_fma_f32 v[70:71], v[6:7], v[90:91], v[68:69] op_sel:[0,0,1] op_sel_hi:[1,1,0] neg_lo:[0,0,1] neg_hi:[0,0,1]
	v_pk_fma_f32 v[6:7], v[6:7], v[90:91], v[68:69] op_sel:[0,0,1] op_sel_hi:[1,0,0]
	v_mov_b32_e32 v6, v89
	v_mov_b32_e32 v71, v7
	s_waitcnt lgkmcnt(2)
	v_pk_mul_f32 v[6:7], v[60:61], v[6:7] op_sel_hi:[1,0]
	v_pk_fma_f32 v[68:69], v[60:61], v[88:89], v[6:7] op_sel:[0,0,1] op_sel_hi:[1,1,0] neg_lo:[0,0,1] neg_hi:[0,0,1]
	v_pk_fma_f32 v[6:7], v[60:61], v[88:89], v[6:7] op_sel:[0,0,1] op_sel_hi:[1,0,0]
	s_waitcnt vmcnt(9)
	v_mov_b32_e32 v6, v95
	v_mov_b32_e32 v69, v7
	v_pk_mul_f32 v[6:7], v[62:63], v[6:7] op_sel_hi:[1,0]
	v_pk_add_f32 v[4:5], v[4:5], v[70:71]
	v_pk_add_f32 v[4:5], v[4:5], v[68:69]
	s_waitcnt vmcnt(2)
	v_pk_fma_f32 v[60:61], v[62:63], v[94:95], v[6:7] op_sel:[0,0,1] op_sel_hi:[1,1,0] neg_lo:[0,0,1] neg_hi:[0,0,1]
	v_pk_fma_f32 v[6:7], v[62:63], v[94:95], v[6:7] op_sel:[0,0,1] op_sel_hi:[1,0,0]
	v_mov_b32_e32 v6, v101
	v_mov_b32_e32 v61, v7
	s_waitcnt lgkmcnt(1)
	v_pk_mul_f32 v[6:7], v[64:65], v[6:7] op_sel_hi:[1,0]
	v_pk_add_f32 v[4:5], v[4:5], v[60:61]
	v_pk_fma_f32 v[60:61], v[64:65], v[100:101], v[6:7] op_sel:[0,0,1] op_sel_hi:[1,1,0] neg_lo:[0,0,1] neg_hi:[0,0,1]
	v_pk_fma_f32 v[6:7], v[64:65], v[100:101], v[6:7] op_sel:[0,0,1] op_sel_hi:[1,0,0]
	v_mov_b32_e32 v6, v99
	v_mov_b32_e32 v61, v7
	v_pk_mul_f32 v[6:7], v[66:67], v[6:7] op_sel_hi:[1,0]
	v_pk_add_f32 v[4:5], v[4:5], v[60:61]
	v_pk_fma_f32 v[60:61], v[66:67], v[98:99], v[6:7] op_sel:[0,0,1] op_sel_hi:[1,1,0] neg_lo:[0,0,1] neg_hi:[0,0,1]
	v_pk_fma_f32 v[6:7], v[66:67], v[98:99], v[6:7] op_sel:[0,0,1] op_sel_hi:[1,0,0]
	v_mov_b32_e32 v6, v97
	v_mov_b32_e32 v61, v7
	s_waitcnt lgkmcnt(0)
	v_pk_mul_f32 v[6:7], v[0:1], v[6:7] op_sel_hi:[1,0]
	v_pk_add_f32 v[4:5], v[4:5], v[60:61]
	v_pk_fma_f32 v[60:61], v[0:1], v[96:97], v[6:7] op_sel:[0,0,1] op_sel_hi:[1,1,0] neg_lo:[0,0,1] neg_hi:[0,0,1]
	v_pk_fma_f32 v[0:1], v[0:1], v[96:97], v[6:7] op_sel:[0,0,1] op_sel_hi:[1,0,0]
	v_mov_b32_e32 v61, v1
	v_pk_add_f32 v[0:1], v[4:5], v[60:61]
	s_waitcnt vmcnt(1)
	v_mov_b32_e32 v4, v109
	v_pk_mul_f32 v[4:5], v[2:3], v[4:5] op_sel_hi:[1,0]
	s_waitcnt vmcnt(0)
	v_pk_fma_f32 v[6:7], v[2:3], v[108:109], v[4:5] op_sel:[0,0,1] op_sel_hi:[1,1,0] neg_lo:[0,0,1] neg_hi:[0,0,1]
	v_pk_fma_f32 v[2:3], v[2:3], v[108:109], v[4:5] op_sel:[0,0,1] op_sel_hi:[1,0,0]
	v_mov_b32_e32 v7, v3
	v_pk_add_f32 v[0:1], v[0:1], v[6:7]
	v_pk_add_f32 v[0:1], v[8:9], v[0:1] neg_lo:[0,1] neg_hi:[0,1]
	buffer_store_dword v1, off, s[0:3], 0 offset:4
	buffer_store_dword v0, off, s[0:3], 0
	s_cbranch_vccz .LBB88_213
; %bb.164:
	v_pk_mov_b32 v[0:1], s[10:11], s[10:11] op_sel:[0,1]
	flat_load_dword v0, v[0:1] offset:92
	s_waitcnt vmcnt(0) lgkmcnt(0)
	v_add_u32_e32 v0, -1, v0
	v_cmp_ne_u32_e32 vcc, 23, v0
	s_and_saveexec_b64 s[4:5], vcc
	s_cbranch_execz .LBB88_166
; %bb.165:
	v_mov_b32_e32 v1, 0
	v_lshl_add_u32 v0, v0, 3, v1
	buffer_load_dword v1, v0, s[0:3], 0 offen
	buffer_load_dword v2, v0, s[0:3], 0 offen offset:4
	buffer_load_dword v3, off, s[0:3], 0 offset:184
	buffer_load_dword v4, off, s[0:3], 0 offset:188
	s_waitcnt vmcnt(3)
	buffer_store_dword v1, off, s[0:3], 0 offset:184
	s_waitcnt vmcnt(3)
	buffer_store_dword v2, off, s[0:3], 0 offset:188
	s_waitcnt vmcnt(3)
	buffer_store_dword v3, v0, s[0:3], 0 offen
	s_waitcnt vmcnt(3)
	buffer_store_dword v4, v0, s[0:3], 0 offen offset:4
.LBB88_166:
	s_or_b64 exec, exec, s[4:5]
	v_pk_mov_b32 v[0:1], s[10:11], s[10:11] op_sel:[0,1]
	flat_load_dword v0, v[0:1] offset:88
	s_waitcnt vmcnt(0) lgkmcnt(0)
	v_add_u32_e32 v0, -1, v0
	v_cmp_ne_u32_e32 vcc, 22, v0
	s_and_saveexec_b64 s[4:5], vcc
	s_cbranch_execz .LBB88_168
; %bb.167:
	v_mov_b32_e32 v1, 0
	v_lshl_add_u32 v0, v0, 3, v1
	buffer_load_dword v1, v0, s[0:3], 0 offen
	buffer_load_dword v2, v0, s[0:3], 0 offen offset:4
	buffer_load_dword v3, off, s[0:3], 0 offset:180
	buffer_load_dword v4, off, s[0:3], 0 offset:176
	s_waitcnt vmcnt(3)
	buffer_store_dword v1, off, s[0:3], 0 offset:176
	s_waitcnt vmcnt(3)
	buffer_store_dword v2, off, s[0:3], 0 offset:180
	s_waitcnt vmcnt(3)
	buffer_store_dword v3, v0, s[0:3], 0 offen offset:4
	s_waitcnt vmcnt(3)
	buffer_store_dword v4, v0, s[0:3], 0 offen
.LBB88_168:
	s_or_b64 exec, exec, s[4:5]
	v_pk_mov_b32 v[0:1], s[10:11], s[10:11] op_sel:[0,1]
	flat_load_dword v0, v[0:1] offset:84
	s_waitcnt vmcnt(0) lgkmcnt(0)
	v_add_u32_e32 v0, -1, v0
	v_cmp_ne_u32_e32 vcc, 21, v0
	s_and_saveexec_b64 s[4:5], vcc
	s_cbranch_execz .LBB88_170
; %bb.169:
	v_mov_b32_e32 v1, 0
	v_lshl_add_u32 v0, v0, 3, v1
	buffer_load_dword v1, v0, s[0:3], 0 offen
	buffer_load_dword v2, v0, s[0:3], 0 offen offset:4
	buffer_load_dword v3, off, s[0:3], 0 offset:168
	buffer_load_dword v4, off, s[0:3], 0 offset:172
	s_waitcnt vmcnt(3)
	buffer_store_dword v1, off, s[0:3], 0 offset:168
	s_waitcnt vmcnt(3)
	buffer_store_dword v2, off, s[0:3], 0 offset:172
	s_waitcnt vmcnt(3)
	buffer_store_dword v3, v0, s[0:3], 0 offen
	s_waitcnt vmcnt(3)
	buffer_store_dword v4, v0, s[0:3], 0 offen offset:4
.LBB88_170:
	s_or_b64 exec, exec, s[4:5]
	v_pk_mov_b32 v[0:1], s[10:11], s[10:11] op_sel:[0,1]
	flat_load_dword v0, v[0:1] offset:80
	s_waitcnt vmcnt(0) lgkmcnt(0)
	v_add_u32_e32 v0, -1, v0
	v_cmp_ne_u32_e32 vcc, 20, v0
	s_and_saveexec_b64 s[4:5], vcc
	s_cbranch_execz .LBB88_172
; %bb.171:
	v_mov_b32_e32 v1, 0
	v_lshl_add_u32 v0, v0, 3, v1
	buffer_load_dword v1, v0, s[0:3], 0 offen
	buffer_load_dword v2, v0, s[0:3], 0 offen offset:4
	buffer_load_dword v3, off, s[0:3], 0 offset:164
	buffer_load_dword v4, off, s[0:3], 0 offset:160
	s_waitcnt vmcnt(3)
	buffer_store_dword v1, off, s[0:3], 0 offset:160
	s_waitcnt vmcnt(3)
	buffer_store_dword v2, off, s[0:3], 0 offset:164
	s_waitcnt vmcnt(3)
	buffer_store_dword v3, v0, s[0:3], 0 offen offset:4
	s_waitcnt vmcnt(3)
	buffer_store_dword v4, v0, s[0:3], 0 offen
.LBB88_172:
	s_or_b64 exec, exec, s[4:5]
	;; [unrolled: 48-line block ×11, first 2 shown]
	v_pk_mov_b32 v[0:1], s[10:11], s[10:11] op_sel:[0,1]
	flat_load_dword v0, v[0:1] offset:4
	s_waitcnt vmcnt(0) lgkmcnt(0)
	v_add_u32_e32 v0, -1, v0
	v_cmp_ne_u32_e32 vcc, 1, v0
	s_and_saveexec_b64 s[4:5], vcc
	s_cbranch_execz .LBB88_210
; %bb.209:
	v_mov_b32_e32 v1, 0
	v_lshl_add_u32 v0, v0, 3, v1
	buffer_load_dword v1, v0, s[0:3], 0 offen
	buffer_load_dword v2, v0, s[0:3], 0 offen offset:4
	buffer_load_dword v3, off, s[0:3], 0 offset:8
	buffer_load_dword v4, off, s[0:3], 0 offset:12
	s_waitcnt vmcnt(3)
	buffer_store_dword v1, off, s[0:3], 0 offset:8
	s_waitcnt vmcnt(3)
	buffer_store_dword v2, off, s[0:3], 0 offset:12
	s_waitcnt vmcnt(3)
	buffer_store_dword v3, v0, s[0:3], 0 offen
	s_waitcnt vmcnt(3)
	buffer_store_dword v4, v0, s[0:3], 0 offen offset:4
.LBB88_210:
	s_or_b64 exec, exec, s[4:5]
	v_pk_mov_b32 v[0:1], s[10:11], s[10:11] op_sel:[0,1]
	flat_load_dword v2, v[0:1]
	s_nop 0
	buffer_load_dword v0, off, s[0:3], 0
	buffer_load_dword v1, off, s[0:3], 0 offset:4
	s_waitcnt vmcnt(0) lgkmcnt(0)
	v_add_u32_e32 v2, -1, v2
	v_cmp_ne_u32_e32 vcc, 0, v2
	s_and_saveexec_b64 s[4:5], vcc
	s_cbranch_execz .LBB88_212
; %bb.211:
	v_mov_b32_e32 v3, 0
	v_lshl_add_u32 v2, v2, 3, v3
	buffer_load_dword v3, v2, s[0:3], 0 offen offset:4
	buffer_load_dword v4, v2, s[0:3], 0 offen
	s_waitcnt vmcnt(1)
	buffer_store_dword v3, off, s[0:3], 0 offset:4
	s_waitcnt vmcnt(1)
	buffer_store_dword v4, off, s[0:3], 0
	buffer_store_dword v1, v2, s[0:3], 0 offen offset:4
	buffer_store_dword v0, v2, s[0:3], 0 offen
	buffer_load_dword v0, off, s[0:3], 0
	s_nop 0
	buffer_load_dword v1, off, s[0:3], 0 offset:4
.LBB88_212:
	s_or_b64 exec, exec, s[4:5]
.LBB88_213:
	buffer_load_dword v2, off, s[0:3], 0 offset:8
	buffer_load_dword v3, off, s[0:3], 0 offset:12
	;; [unrolled: 1-line block ×48, first 2 shown]
	s_waitcnt vmcnt(48)
	global_store_dwordx2 v[10:11], v[0:1], off
	s_waitcnt vmcnt(47)
	global_store_dwordx2 v[12:13], v[2:3], off
	;; [unrolled: 2-line block ×25, first 2 shown]
	s_endpgm
	.section	.rodata,"a",@progbits
	.p2align	6, 0x0
	.amdhsa_kernel _ZN9rocsolver6v33100L18getri_kernel_smallILi25E19rocblas_complex_numIfEPKPS3_EEvT1_iilPiilS8_bb
		.amdhsa_group_segment_fixed_size 408
		.amdhsa_private_segment_fixed_size 208
		.amdhsa_kernarg_size 60
		.amdhsa_user_sgpr_count 8
		.amdhsa_user_sgpr_private_segment_buffer 1
		.amdhsa_user_sgpr_dispatch_ptr 0
		.amdhsa_user_sgpr_queue_ptr 0
		.amdhsa_user_sgpr_kernarg_segment_ptr 1
		.amdhsa_user_sgpr_dispatch_id 0
		.amdhsa_user_sgpr_flat_scratch_init 1
		.amdhsa_user_sgpr_kernarg_preload_length 0
		.amdhsa_user_sgpr_kernarg_preload_offset 0
		.amdhsa_user_sgpr_private_segment_size 0
		.amdhsa_uses_dynamic_stack 0
		.amdhsa_system_sgpr_private_segment_wavefront_offset 1
		.amdhsa_system_sgpr_workgroup_id_x 1
		.amdhsa_system_sgpr_workgroup_id_y 0
		.amdhsa_system_sgpr_workgroup_id_z 0
		.amdhsa_system_sgpr_workgroup_info 0
		.amdhsa_system_vgpr_workitem_id 0
		.amdhsa_next_free_vgpr 144
		.amdhsa_next_free_sgpr 22
		.amdhsa_accum_offset 144
		.amdhsa_reserve_vcc 1
		.amdhsa_reserve_flat_scratch 1
		.amdhsa_float_round_mode_32 0
		.amdhsa_float_round_mode_16_64 0
		.amdhsa_float_denorm_mode_32 3
		.amdhsa_float_denorm_mode_16_64 3
		.amdhsa_dx10_clamp 1
		.amdhsa_ieee_mode 1
		.amdhsa_fp16_overflow 0
		.amdhsa_tg_split 0
		.amdhsa_exception_fp_ieee_invalid_op 0
		.amdhsa_exception_fp_denorm_src 0
		.amdhsa_exception_fp_ieee_div_zero 0
		.amdhsa_exception_fp_ieee_overflow 0
		.amdhsa_exception_fp_ieee_underflow 0
		.amdhsa_exception_fp_ieee_inexact 0
		.amdhsa_exception_int_div_zero 0
	.end_amdhsa_kernel
	.section	.text._ZN9rocsolver6v33100L18getri_kernel_smallILi25E19rocblas_complex_numIfEPKPS3_EEvT1_iilPiilS8_bb,"axG",@progbits,_ZN9rocsolver6v33100L18getri_kernel_smallILi25E19rocblas_complex_numIfEPKPS3_EEvT1_iilPiilS8_bb,comdat
.Lfunc_end88:
	.size	_ZN9rocsolver6v33100L18getri_kernel_smallILi25E19rocblas_complex_numIfEPKPS3_EEvT1_iilPiilS8_bb, .Lfunc_end88-_ZN9rocsolver6v33100L18getri_kernel_smallILi25E19rocblas_complex_numIfEPKPS3_EEvT1_iilPiilS8_bb
                                        ; -- End function
	.section	.AMDGPU.csdata,"",@progbits
; Kernel info:
; codeLenInByte = 32796
; NumSgprs: 28
; NumVgprs: 144
; NumAgprs: 0
; TotalNumVgprs: 144
; ScratchSize: 208
; MemoryBound: 0
; FloatMode: 240
; IeeeMode: 1
; LDSByteSize: 408 bytes/workgroup (compile time only)
; SGPRBlocks: 3
; VGPRBlocks: 17
; NumSGPRsForWavesPerEU: 28
; NumVGPRsForWavesPerEU: 144
; AccumOffset: 144
; Occupancy: 3
; WaveLimiterHint : 1
; COMPUTE_PGM_RSRC2:SCRATCH_EN: 1
; COMPUTE_PGM_RSRC2:USER_SGPR: 8
; COMPUTE_PGM_RSRC2:TRAP_HANDLER: 0
; COMPUTE_PGM_RSRC2:TGID_X_EN: 1
; COMPUTE_PGM_RSRC2:TGID_Y_EN: 0
; COMPUTE_PGM_RSRC2:TGID_Z_EN: 0
; COMPUTE_PGM_RSRC2:TIDIG_COMP_CNT: 0
; COMPUTE_PGM_RSRC3_GFX90A:ACCUM_OFFSET: 35
; COMPUTE_PGM_RSRC3_GFX90A:TG_SPLIT: 0
	.section	.text._ZN9rocsolver6v33100L18getri_kernel_smallILi26E19rocblas_complex_numIfEPKPS3_EEvT1_iilPiilS8_bb,"axG",@progbits,_ZN9rocsolver6v33100L18getri_kernel_smallILi26E19rocblas_complex_numIfEPKPS3_EEvT1_iilPiilS8_bb,comdat
	.globl	_ZN9rocsolver6v33100L18getri_kernel_smallILi26E19rocblas_complex_numIfEPKPS3_EEvT1_iilPiilS8_bb ; -- Begin function _ZN9rocsolver6v33100L18getri_kernel_smallILi26E19rocblas_complex_numIfEPKPS3_EEvT1_iilPiilS8_bb
	.p2align	8
	.type	_ZN9rocsolver6v33100L18getri_kernel_smallILi26E19rocblas_complex_numIfEPKPS3_EEvT1_iilPiilS8_bb,@function
_ZN9rocsolver6v33100L18getri_kernel_smallILi26E19rocblas_complex_numIfEPKPS3_EEvT1_iilPiilS8_bb: ; @_ZN9rocsolver6v33100L18getri_kernel_smallILi26E19rocblas_complex_numIfEPKPS3_EEvT1_iilPiilS8_bb
; %bb.0:
	s_add_u32 flat_scratch_lo, s6, s9
	s_addc_u32 flat_scratch_hi, s7, 0
	s_add_u32 s0, s0, s9
	s_addc_u32 s1, s1, 0
	v_cmp_gt_u32_e32 vcc, 26, v0
	s_and_saveexec_b64 s[6:7], vcc
	s_cbranch_execz .LBB89_118
; %bb.1:
	s_load_dword s18, s[4:5], 0x38
	s_load_dwordx2 s[6:7], s[4:5], 0x0
	s_load_dwordx4 s[12:15], s[4:5], 0x28
	s_waitcnt lgkmcnt(0)
	s_bitcmp1_b32 s18, 8
	s_cselect_b64 s[16:17], -1, 0
	s_ashr_i32 s9, s8, 31
	s_lshl_b64 s[10:11], s[8:9], 3
	s_add_u32 s6, s6, s10
	s_addc_u32 s7, s7, s11
	s_load_dwordx2 s[6:7], s[6:7], 0x0
	s_bfe_u32 s10, s18, 0x10008
	s_cmp_eq_u32 s10, 0
                                        ; implicit-def: $sgpr10_sgpr11
	s_cbranch_scc1 .LBB89_3
; %bb.2:
	s_load_dword s10, s[4:5], 0x20
	s_load_dwordx2 s[20:21], s[4:5], 0x18
	s_mul_i32 s11, s8, s13
	s_mul_hi_u32 s13, s8, s12
	s_add_i32 s13, s13, s11
	s_mul_i32 s19, s9, s12
	s_add_i32 s13, s13, s19
	s_mul_i32 s12, s8, s12
	s_waitcnt lgkmcnt(0)
	s_ashr_i32 s11, s10, 31
	s_lshl_b64 s[12:13], s[12:13], 2
	s_add_u32 s12, s20, s12
	s_addc_u32 s13, s21, s13
	s_lshl_b64 s[10:11], s[10:11], 2
	s_add_u32 s10, s12, s10
	s_addc_u32 s11, s13, s11
.LBB89_3:
	s_load_dwordx2 s[12:13], s[4:5], 0x8
	v_lshlrev_b32_e32 v58, 3, v0
	s_waitcnt lgkmcnt(0)
	s_ashr_i32 s5, s12, 31
	s_mov_b32 s4, s12
	s_lshl_b64 s[4:5], s[4:5], 3
	s_add_u32 s4, s6, s4
	s_addc_u32 s5, s7, s5
	s_add_i32 s12, s13, s13
	v_add_u32_e32 v4, s12, v0
	v_mov_b32_e32 v1, s5
	v_add_co_u32_e32 v2, vcc, s4, v58
	v_ashrrev_i32_e32 v5, 31, v4
	v_addc_co_u32_e32 v3, vcc, 0, v1, vcc
	v_add_u32_e32 v6, s13, v4
	v_lshlrev_b64 v[4:5], 3, v[4:5]
	v_mov_b32_e32 v9, s5
	v_ashrrev_i32_e32 v7, 31, v6
	v_add_co_u32_e32 v4, vcc, s4, v4
	v_add_u32_e32 v8, s13, v6
	v_addc_co_u32_e32 v5, vcc, v9, v5, vcc
	v_lshlrev_b64 v[6:7], 3, v[6:7]
	v_mov_b32_e32 v11, s5
	v_ashrrev_i32_e32 v9, 31, v8
	v_add_co_u32_e32 v6, vcc, s4, v6
	v_add_u32_e32 v10, s13, v8
	v_addc_co_u32_e32 v7, vcc, v11, v7, vcc
	;; [unrolled: 6-line block ×5, first 2 shown]
	v_lshlrev_b64 v[14:15], 3, v[14:15]
	v_mov_b32_e32 v19, s5
	v_add_co_u32_e32 v14, vcc, s4, v14
	v_ashrrev_i32_e32 v17, 31, v16
	v_add_u32_e32 v18, s13, v16
	v_addc_co_u32_e32 v15, vcc, v19, v15, vcc
	v_lshlrev_b64 v[16:17], 3, v[16:17]
	v_add_co_u32_e32 v16, vcc, s4, v16
	v_addc_co_u32_e32 v17, vcc, v19, v17, vcc
	v_ashrrev_i32_e32 v19, 31, v18
	v_add_u32_e32 v20, s13, v18
	v_lshlrev_b64 v[18:19], 3, v[18:19]
	v_mov_b32_e32 v21, s5
	v_add_co_u32_e32 v18, vcc, s4, v18
	v_addc_co_u32_e32 v19, vcc, v21, v19, vcc
	v_ashrrev_i32_e32 v21, 31, v20
	v_add_u32_e32 v22, s13, v20
	v_lshlrev_b64 v[20:21], 3, v[20:21]
	v_mov_b32_e32 v23, s5
	;; [unrolled: 6-line block ×11, first 2 shown]
	v_add_co_u32_e32 v38, vcc, s4, v38
	v_addc_co_u32_e32 v39, vcc, v41, v39, vcc
	v_ashrrev_i32_e32 v41, 31, v40
	v_add_u32_e32 v42, s13, v40
	v_lshlrev_b64 v[40:41], 3, v[40:41]
	v_add_u32_e32 v44, s13, v42
	v_mov_b32_e32 v43, s5
	v_add_co_u32_e32 v40, vcc, s4, v40
	v_add_u32_e32 v48, s13, v44
	v_addc_co_u32_e32 v41, vcc, v43, v41, vcc
	v_ashrrev_i32_e32 v43, 31, v42
	v_add_u32_e32 v50, s13, v48
	v_lshlrev_b64 v[42:43], 3, v[42:43]
	s_mov_b32 s20, s13
	s_ashr_i32 s21, s13, 31
	v_add_u32_e32 v46, s13, v50
	v_mov_b32_e32 v45, s5
	v_add_co_u32_e32 v42, vcc, s4, v42
	s_lshl_b64 s[6:7], s[20:21], 3
	v_ashrrev_i32_e32 v47, 31, v46
	v_addc_co_u32_e32 v43, vcc, v45, v43, vcc
	v_mov_b32_e32 v1, s7
	v_lshlrev_b64 v[52:53], 3, v[46:47]
	v_ashrrev_i32_e32 v45, 31, v44
	v_add_co_u32_e32 v46, vcc, s6, v2
	v_addc_co_u32_e32 v47, vcc, v3, v1, vcc
	v_lshlrev_b64 v[44:45], 3, v[44:45]
	v_mov_b32_e32 v1, s5
	v_add_co_u32_e32 v44, vcc, s4, v44
	v_ashrrev_i32_e32 v49, 31, v48
	v_addc_co_u32_e32 v45, vcc, v1, v45, vcc
	v_lshlrev_b64 v[48:49], 3, v[48:49]
	v_add_co_u32_e32 v48, vcc, s4, v48
	v_ashrrev_i32_e32 v51, 31, v50
	v_addc_co_u32_e32 v49, vcc, v1, v49, vcc
	v_lshlrev_b64 v[50:51], 3, v[50:51]
	v_add_co_u32_e32 v50, vcc, s4, v50
	global_load_dwordx2 v[54:55], v58, s[4:5]
	global_load_dwordx2 v[60:61], v[4:5], off
	global_load_dwordx2 v[56:57], v[46:47], off
	;; [unrolled: 1-line block ×20, first 2 shown]
	v_addc_co_u32_e32 v51, vcc, v1, v51, vcc
	global_load_dwordx2 v[98:99], v[42:43], off
	global_load_dwordx2 v[100:101], v[44:45], off
	;; [unrolled: 1-line block ×4, first 2 shown]
	v_mov_b32_e32 v59, s5
	v_add_co_u32_e32 v52, vcc, s4, v52
	v_addc_co_u32_e32 v53, vcc, v59, v53, vcc
	global_load_dwordx2 v[106:107], v[52:53], off
	s_bitcmp0_b32 s18, 0
	s_mov_b64 s[6:7], -1
	s_waitcnt vmcnt(25)
	buffer_store_dword v55, off, s[0:3], 0 offset:4
	buffer_store_dword v54, off, s[0:3], 0
	s_waitcnt vmcnt(25)
	buffer_store_dword v57, off, s[0:3], 0 offset:12
	buffer_store_dword v56, off, s[0:3], 0 offset:8
	;; [unrolled: 1-line block ×4, first 2 shown]
	s_waitcnt vmcnt(28)
	buffer_store_dword v63, off, s[0:3], 0 offset:28
	buffer_store_dword v62, off, s[0:3], 0 offset:24
	s_waitcnt vmcnt(29)
	buffer_store_dword v65, off, s[0:3], 0 offset:36
	buffer_store_dword v64, off, s[0:3], 0 offset:32
	;; [unrolled: 3-line block ×23, first 2 shown]
	s_cbranch_scc1 .LBB89_116
; %bb.4:
	v_cmp_eq_u32_e64 s[4:5], 0, v0
	s_and_saveexec_b64 s[6:7], s[4:5]
	s_cbranch_execz .LBB89_6
; %bb.5:
	v_mov_b32_e32 v1, 0
	ds_write_b32 v1, v1 offset:416
.LBB89_6:
	s_or_b64 exec, exec, s[6:7]
	v_mov_b32_e32 v1, 0
	v_lshl_add_u32 v59, v0, 3, v1
	s_waitcnt lgkmcnt(0)
	; wave barrier
	s_waitcnt lgkmcnt(0)
	buffer_load_dword v1, v59, s[0:3], 0 offen
	buffer_load_dword v54, v59, s[0:3], 0 offen offset:4
	s_waitcnt vmcnt(1)
	v_cmp_eq_f32_e32 vcc, 0, v1
	s_waitcnt vmcnt(0)
	v_cmp_eq_f32_e64 s[6:7], 0, v54
	s_and_b64 s[6:7], vcc, s[6:7]
	s_and_saveexec_b64 s[12:13], s[6:7]
	s_cbranch_execz .LBB89_10
; %bb.7:
	v_mov_b32_e32 v1, 0
	ds_read_b32 v55, v1 offset:416
	v_add_u32_e32 v54, 1, v0
	s_waitcnt lgkmcnt(0)
	v_readfirstlane_b32 s6, v55
	s_cmp_eq_u32 s6, 0
	s_cselect_b64 s[18:19], -1, 0
	v_cmp_gt_i32_e32 vcc, s6, v54
	s_or_b64 s[18:19], s[18:19], vcc
	s_and_b64 exec, exec, s[18:19]
	s_cbranch_execz .LBB89_10
; %bb.8:
	s_mov_b64 s[18:19], 0
	v_mov_b32_e32 v55, s6
.LBB89_9:                               ; =>This Inner Loop Header: Depth=1
	ds_cmpst_rtn_b32 v55, v1, v55, v54 offset:416
	s_waitcnt lgkmcnt(0)
	v_cmp_ne_u32_e32 vcc, 0, v55
	v_cmp_le_i32_e64 s[6:7], v55, v54
	s_and_b64 s[6:7], vcc, s[6:7]
	s_and_b64 s[6:7], exec, s[6:7]
	s_or_b64 s[18:19], s[6:7], s[18:19]
	s_andn2_b64 exec, exec, s[18:19]
	s_cbranch_execnz .LBB89_9
.LBB89_10:
	s_or_b64 exec, exec, s[12:13]
	v_mov_b32_e32 v54, 0
	s_waitcnt lgkmcnt(0)
	; wave barrier
	ds_read_b32 v1, v54 offset:416
	s_and_saveexec_b64 s[6:7], s[4:5]
	s_cbranch_execz .LBB89_12
; %bb.11:
	s_lshl_b64 s[12:13], s[8:9], 2
	s_add_u32 s12, s14, s12
	s_addc_u32 s13, s15, s13
	s_waitcnt lgkmcnt(0)
	global_store_dword v54, v1, s[12:13]
.LBB89_12:
	s_or_b64 exec, exec, s[6:7]
	s_waitcnt lgkmcnt(0)
	v_cmp_ne_u32_e32 vcc, 0, v1
	s_mov_b64 s[6:7], 0
	s_cbranch_vccnz .LBB89_116
; %bb.13:
	buffer_load_dword v60, v59, s[0:3], 0 offen offset:4
	buffer_load_dword v55, v59, s[0:3], 0 offen
	s_waitcnt vmcnt(1)
	v_cmp_gt_f32_e32 vcc, 0, v60
	v_cndmask_b32_e64 v1, v60, -v60, vcc
	s_waitcnt vmcnt(0)
	v_cmp_gt_f32_e32 vcc, 0, v55
	v_cndmask_b32_e64 v54, v55, -v55, vcc
	v_cmp_ngt_f32_e32 vcc, v54, v1
                                        ; implicit-def: $vgpr1
                                        ; implicit-def: $vgpr54
	s_and_saveexec_b64 s[6:7], vcc
	s_xor_b64 s[6:7], exec, s[6:7]
                                        ; implicit-def: $vgpr56_vgpr57
	s_cbranch_execz .LBB89_15
; %bb.14:
	v_div_scale_f32 v1, s[12:13], v60, v60, v55
	v_rcp_f32_e32 v54, v1
	v_div_scale_f32 v56, vcc, v55, v60, v55
	v_fma_f32 v57, -v1, v54, 1.0
	v_fmac_f32_e32 v54, v57, v54
	v_mul_f32_e32 v57, v56, v54
	v_fma_f32 v61, -v1, v57, v56
	v_fmac_f32_e32 v57, v61, v54
	v_fma_f32 v1, -v1, v57, v56
	v_div_fmas_f32 v1, v1, v54, v57
	v_div_fixup_f32 v54, v1, v60, v55
	v_fmac_f32_e32 v60, v55, v54
	v_div_scale_f32 v1, s[12:13], v60, v60, -1.0
	v_rcp_f32_e32 v55, v1
	v_fma_f32 v56, -v1, v55, 1.0
	v_fmac_f32_e32 v55, v56, v55
	v_div_scale_f32 v56, vcc, -1.0, v60, -1.0
	v_mul_f32_e32 v57, v56, v55
	v_fma_f32 v61, -v1, v57, v56
	v_fmac_f32_e32 v57, v61, v55
	v_fma_f32 v1, -v1, v57, v56
	v_div_fmas_f32 v1, v1, v55, v57
	v_div_fixup_f32 v1, v1, v60, -1.0
	v_mul_f32_e32 v54, v54, v1
	v_xor_b32_e32 v56, 0x80000000, v54
                                        ; implicit-def: $vgpr55
                                        ; implicit-def: $vgpr60
.LBB89_15:
	s_andn2_saveexec_b64 s[6:7], s[6:7]
	s_cbranch_execz .LBB89_17
; %bb.16:
	v_div_scale_f32 v1, s[12:13], v55, v55, v60
	v_rcp_f32_e32 v54, v1
	v_div_scale_f32 v56, vcc, v60, v55, v60
	v_fma_f32 v57, -v1, v54, 1.0
	v_fmac_f32_e32 v54, v57, v54
	v_mul_f32_e32 v57, v56, v54
	v_fma_f32 v61, -v1, v57, v56
	v_fmac_f32_e32 v57, v61, v54
	v_fma_f32 v1, -v1, v57, v56
	v_div_fmas_f32 v1, v1, v54, v57
	v_div_fixup_f32 v1, v1, v55, v60
	v_fmac_f32_e32 v55, v60, v1
	v_div_scale_f32 v54, s[12:13], v55, v55, 1.0
	v_rcp_f32_e32 v56, v54
	v_fma_f32 v57, -v54, v56, 1.0
	v_fmac_f32_e32 v56, v57, v56
	v_div_scale_f32 v57, vcc, 1.0, v55, 1.0
	v_mul_f32_e32 v60, v57, v56
	v_fma_f32 v61, -v54, v60, v57
	v_fmac_f32_e32 v60, v61, v56
	v_fma_f32 v54, -v54, v60, v57
	v_div_fmas_f32 v54, v54, v56, v60
	v_div_fixup_f32 v56, v54, v55, 1.0
	v_xor_b32_e32 v54, 0x80000000, v56
	v_mul_f32_e64 v1, v1, -v56
.LBB89_17:
	s_or_b64 exec, exec, s[6:7]
	buffer_store_dword v1, v59, s[0:3], 0 offen offset:4
	buffer_store_dword v56, v59, s[0:3], 0 offen
	buffer_load_dword v57, off, s[0:3], 0 offset:12
	s_nop 0
	buffer_load_dword v56, off, s[0:3], 0 offset:8
	v_xor_b32_e32 v55, 0x80000000, v1
	v_add_u32_e32 v1, 0xd0, v58
	s_waitcnt vmcnt(0)
	ds_write2_b64 v58, v[54:55], v[56:57] offset1:26
	s_waitcnt lgkmcnt(0)
	; wave barrier
	s_waitcnt lgkmcnt(0)
	s_and_saveexec_b64 s[6:7], s[4:5]
	s_cbranch_execz .LBB89_19
; %bb.18:
	buffer_load_dword v60, v59, s[0:3], 0 offen offset:4
	buffer_load_dword v61, v59, s[0:3], 0 offen
	ds_read_b64 v[54:55], v1
	v_mov_b32_e32 v56, 0
	ds_read_b64 v[56:57], v56 offset:8
	s_waitcnt vmcnt(1) lgkmcnt(1)
	v_mul_f32_e32 v62, v55, v60
	v_mul_f32_e32 v60, v54, v60
	s_waitcnt vmcnt(0)
	v_fmac_f32_e32 v60, v55, v61
	v_fma_f32 v54, v54, v61, -v62
	v_add_f32_e32 v55, 0, v60
	v_add_f32_e32 v54, 0, v54
	s_waitcnt lgkmcnt(0)
	v_mul_f32_e32 v60, v55, v57
	v_mul_f32_e32 v57, v54, v57
	v_fma_f32 v54, v54, v56, -v60
	v_fmac_f32_e32 v57, v55, v56
	buffer_store_dword v54, off, s[0:3], 0 offset:8
	buffer_store_dword v57, off, s[0:3], 0 offset:12
.LBB89_19:
	s_or_b64 exec, exec, s[6:7]
	s_waitcnt lgkmcnt(0)
	; wave barrier
	buffer_load_dword v54, off, s[0:3], 0 offset:16
	buffer_load_dword v55, off, s[0:3], 0 offset:20
	v_cmp_gt_u32_e32 vcc, 2, v0
	s_waitcnt vmcnt(0)
	ds_write_b64 v1, v[54:55]
	s_waitcnt lgkmcnt(0)
	; wave barrier
	s_waitcnt lgkmcnt(0)
	s_and_saveexec_b64 s[6:7], vcc
	s_cbranch_execz .LBB89_23
; %bb.20:
	buffer_load_dword v56, v59, s[0:3], 0 offen offset:4
	buffer_load_dword v57, v59, s[0:3], 0 offen
	ds_read_b64 v[54:55], v1
	s_waitcnt vmcnt(1) lgkmcnt(0)
	v_mul_f32_e32 v59, v55, v56
	v_mul_f32_e32 v56, v54, v56
	s_waitcnt vmcnt(0)
	v_fma_f32 v54, v54, v57, -v59
	v_fmac_f32_e32 v56, v55, v57
	v_add_f32_e32 v55, 0, v54
	v_add_f32_e32 v54, 0, v56
	s_and_saveexec_b64 s[12:13], s[4:5]
	s_cbranch_execz .LBB89_22
; %bb.21:
	buffer_load_dword v59, off, s[0:3], 0 offset:12
	buffer_load_dword v60, off, s[0:3], 0 offset:8
	v_mov_b32_e32 v56, 0
	ds_read_b64 v[56:57], v56 offset:216
	s_waitcnt vmcnt(1) lgkmcnt(0)
	v_mul_f32_e32 v61, v56, v59
	v_mul_f32_e32 v59, v57, v59
	s_waitcnt vmcnt(0)
	v_fmac_f32_e32 v61, v57, v60
	v_fma_f32 v56, v56, v60, -v59
	v_add_f32_e32 v54, v54, v61
	v_add_f32_e32 v55, v55, v56
.LBB89_22:
	s_or_b64 exec, exec, s[12:13]
	v_mov_b32_e32 v56, 0
	ds_read_b64 v[56:57], v56 offset:16
	s_waitcnt lgkmcnt(0)
	v_mul_f32_e32 v59, v54, v57
	v_mul_f32_e32 v57, v55, v57
	v_fma_f32 v55, v55, v56, -v59
	v_fmac_f32_e32 v57, v54, v56
	buffer_store_dword v55, off, s[0:3], 0 offset:16
	buffer_store_dword v57, off, s[0:3], 0 offset:20
.LBB89_23:
	s_or_b64 exec, exec, s[6:7]
	s_waitcnt lgkmcnt(0)
	; wave barrier
	buffer_load_dword v54, off, s[0:3], 0 offset:24
	buffer_load_dword v55, off, s[0:3], 0 offset:28
	v_cmp_gt_u32_e32 vcc, 3, v0
	s_waitcnt vmcnt(0)
	ds_write_b64 v1, v[54:55]
	v_add_u32_e32 v54, -1, v0
	s_waitcnt lgkmcnt(0)
	; wave barrier
	s_waitcnt lgkmcnt(0)
	s_and_saveexec_b64 s[4:5], vcc
	s_cbranch_execz .LBB89_27
; %bb.24:
	v_add_u32_e32 v56, -1, v0
	v_add_u32_e32 v57, 0xd0, v58
	v_add_u32_e32 v59, 0, v58
	s_mov_b64 s[6:7], 0
	v_mov_b32_e32 v55, 0
	v_mov_b32_e32 v60, 0
.LBB89_25:                              ; =>This Inner Loop Header: Depth=1
	buffer_load_dword v61, v59, s[0:3], 0 offen offset:4
	buffer_load_dword v64, v59, s[0:3], 0 offen
	ds_read_b64 v[62:63], v57
	v_add_u32_e32 v56, 1, v56
	v_cmp_lt_u32_e32 vcc, 1, v56
	v_add_u32_e32 v57, 8, v57
	v_add_u32_e32 v59, 8, v59
	s_or_b64 s[6:7], vcc, s[6:7]
	s_waitcnt vmcnt(1) lgkmcnt(0)
	v_mul_f32_e32 v65, v63, v61
	v_mul_f32_e32 v61, v62, v61
	s_waitcnt vmcnt(0)
	v_fma_f32 v62, v62, v64, -v65
	v_fmac_f32_e32 v61, v63, v64
	v_add_f32_e32 v60, v60, v62
	v_add_f32_e32 v55, v55, v61
	s_andn2_b64 exec, exec, s[6:7]
	s_cbranch_execnz .LBB89_25
; %bb.26:
	s_or_b64 exec, exec, s[6:7]
	v_mov_b32_e32 v56, 0
	ds_read_b64 v[56:57], v56 offset:24
	s_waitcnt lgkmcnt(0)
	v_mul_f32_e32 v59, v55, v57
	v_mul_f32_e32 v57, v60, v57
	v_fma_f32 v59, v60, v56, -v59
	v_fmac_f32_e32 v57, v55, v56
	buffer_store_dword v59, off, s[0:3], 0 offset:24
	buffer_store_dword v57, off, s[0:3], 0 offset:28
.LBB89_27:
	s_or_b64 exec, exec, s[4:5]
	s_waitcnt lgkmcnt(0)
	; wave barrier
	buffer_load_dword v56, off, s[0:3], 0 offset:32
	buffer_load_dword v57, off, s[0:3], 0 offset:36
	v_cmp_gt_u32_e32 vcc, 4, v0
	s_waitcnt vmcnt(0)
	ds_write_b64 v1, v[56:57]
	s_waitcnt lgkmcnt(0)
	; wave barrier
	s_waitcnt lgkmcnt(0)
	s_and_saveexec_b64 s[4:5], vcc
	s_cbranch_execz .LBB89_31
; %bb.28:
	v_add_u32_e32 v56, -1, v0
	v_add_u32_e32 v57, 0xd0, v58
	v_add_u32_e32 v59, 0, v58
	s_mov_b64 s[6:7], 0
	v_mov_b32_e32 v55, 0
	v_mov_b32_e32 v60, 0
.LBB89_29:                              ; =>This Inner Loop Header: Depth=1
	buffer_load_dword v61, v59, s[0:3], 0 offen offset:4
	buffer_load_dword v64, v59, s[0:3], 0 offen
	ds_read_b64 v[62:63], v57
	v_add_u32_e32 v56, 1, v56
	v_cmp_lt_u32_e32 vcc, 2, v56
	v_add_u32_e32 v57, 8, v57
	v_add_u32_e32 v59, 8, v59
	s_or_b64 s[6:7], vcc, s[6:7]
	s_waitcnt vmcnt(1) lgkmcnt(0)
	v_mul_f32_e32 v65, v63, v61
	v_mul_f32_e32 v61, v62, v61
	s_waitcnt vmcnt(0)
	v_fma_f32 v62, v62, v64, -v65
	v_fmac_f32_e32 v61, v63, v64
	v_add_f32_e32 v60, v60, v62
	v_add_f32_e32 v55, v55, v61
	s_andn2_b64 exec, exec, s[6:7]
	s_cbranch_execnz .LBB89_29
; %bb.30:
	s_or_b64 exec, exec, s[6:7]
	v_mov_b32_e32 v56, 0
	ds_read_b64 v[56:57], v56 offset:32
	s_waitcnt lgkmcnt(0)
	v_mul_f32_e32 v59, v55, v57
	v_mul_f32_e32 v57, v60, v57
	v_fma_f32 v59, v60, v56, -v59
	v_fmac_f32_e32 v57, v55, v56
	buffer_store_dword v59, off, s[0:3], 0 offset:32
	buffer_store_dword v57, off, s[0:3], 0 offset:36
.LBB89_31:
	s_or_b64 exec, exec, s[4:5]
	s_waitcnt lgkmcnt(0)
	; wave barrier
	buffer_load_dword v56, off, s[0:3], 0 offset:40
	buffer_load_dword v57, off, s[0:3], 0 offset:44
	v_cmp_gt_u32_e32 vcc, 5, v0
	s_waitcnt vmcnt(0)
	ds_write_b64 v1, v[56:57]
	;; [unrolled: 51-line block ×19, first 2 shown]
	s_waitcnt lgkmcnt(0)
	; wave barrier
	s_waitcnt lgkmcnt(0)
	s_and_saveexec_b64 s[4:5], vcc
	s_cbranch_execz .LBB89_103
; %bb.100:
	v_add_u32_e32 v56, -1, v0
	v_add_u32_e32 v57, 0xd0, v58
	v_add_u32_e32 v59, 0, v58
	s_mov_b64 s[6:7], 0
	v_mov_b32_e32 v55, 0
	v_mov_b32_e32 v60, 0
.LBB89_101:                             ; =>This Inner Loop Header: Depth=1
	buffer_load_dword v61, v59, s[0:3], 0 offen offset:4
	buffer_load_dword v64, v59, s[0:3], 0 offen
	ds_read_b64 v[62:63], v57
	v_add_u32_e32 v56, 1, v56
	v_cmp_lt_u32_e32 vcc, 20, v56
	v_add_u32_e32 v57, 8, v57
	v_add_u32_e32 v59, 8, v59
	s_or_b64 s[6:7], vcc, s[6:7]
	s_waitcnt vmcnt(1) lgkmcnt(0)
	v_mul_f32_e32 v65, v63, v61
	v_mul_f32_e32 v61, v62, v61
	s_waitcnt vmcnt(0)
	v_fma_f32 v62, v62, v64, -v65
	v_fmac_f32_e32 v61, v63, v64
	v_add_f32_e32 v60, v60, v62
	v_add_f32_e32 v55, v55, v61
	s_andn2_b64 exec, exec, s[6:7]
	s_cbranch_execnz .LBB89_101
; %bb.102:
	s_or_b64 exec, exec, s[6:7]
	v_mov_b32_e32 v56, 0
	ds_read_b64 v[56:57], v56 offset:176
	s_waitcnt lgkmcnt(0)
	v_mul_f32_e32 v59, v55, v57
	v_mul_f32_e32 v57, v60, v57
	v_fma_f32 v59, v60, v56, -v59
	v_fmac_f32_e32 v57, v55, v56
	buffer_store_dword v59, off, s[0:3], 0 offset:176
	buffer_store_dword v57, off, s[0:3], 0 offset:180
.LBB89_103:
	s_or_b64 exec, exec, s[4:5]
	s_waitcnt lgkmcnt(0)
	; wave barrier
	buffer_load_dword v56, off, s[0:3], 0 offset:184
	buffer_load_dword v57, off, s[0:3], 0 offset:188
	v_cmp_gt_u32_e32 vcc, 23, v0
	s_waitcnt vmcnt(0)
	ds_write_b64 v1, v[56:57]
	s_waitcnt lgkmcnt(0)
	; wave barrier
	s_waitcnt lgkmcnt(0)
	s_and_saveexec_b64 s[4:5], vcc
	s_cbranch_execz .LBB89_107
; %bb.104:
	v_add_u32_e32 v56, -1, v0
	v_add_u32_e32 v57, 0xd0, v58
	v_add_u32_e32 v59, 0, v58
	s_mov_b64 s[6:7], 0
	v_mov_b32_e32 v55, 0
	v_mov_b32_e32 v60, 0
.LBB89_105:                             ; =>This Inner Loop Header: Depth=1
	buffer_load_dword v61, v59, s[0:3], 0 offen offset:4
	buffer_load_dword v64, v59, s[0:3], 0 offen
	ds_read_b64 v[62:63], v57
	v_add_u32_e32 v56, 1, v56
	v_cmp_lt_u32_e32 vcc, 21, v56
	v_add_u32_e32 v57, 8, v57
	v_add_u32_e32 v59, 8, v59
	s_or_b64 s[6:7], vcc, s[6:7]
	s_waitcnt vmcnt(1) lgkmcnt(0)
	v_mul_f32_e32 v65, v63, v61
	v_mul_f32_e32 v61, v62, v61
	s_waitcnt vmcnt(0)
	v_fma_f32 v62, v62, v64, -v65
	v_fmac_f32_e32 v61, v63, v64
	v_add_f32_e32 v60, v60, v62
	v_add_f32_e32 v55, v55, v61
	s_andn2_b64 exec, exec, s[6:7]
	s_cbranch_execnz .LBB89_105
; %bb.106:
	s_or_b64 exec, exec, s[6:7]
	v_mov_b32_e32 v56, 0
	ds_read_b64 v[56:57], v56 offset:184
	s_waitcnt lgkmcnt(0)
	v_mul_f32_e32 v59, v55, v57
	v_mul_f32_e32 v57, v60, v57
	v_fma_f32 v59, v60, v56, -v59
	v_fmac_f32_e32 v57, v55, v56
	buffer_store_dword v59, off, s[0:3], 0 offset:184
	buffer_store_dword v57, off, s[0:3], 0 offset:188
.LBB89_107:
	s_or_b64 exec, exec, s[4:5]
	s_waitcnt lgkmcnt(0)
	; wave barrier
	buffer_load_dword v56, off, s[0:3], 0 offset:192
	buffer_load_dword v57, off, s[0:3], 0 offset:196
	v_cmp_gt_u32_e32 vcc, 24, v0
	s_waitcnt vmcnt(0)
	ds_write_b64 v1, v[56:57]
	s_waitcnt lgkmcnt(0)
	; wave barrier
	s_waitcnt lgkmcnt(0)
	s_and_saveexec_b64 s[4:5], vcc
	s_cbranch_execz .LBB89_111
; %bb.108:
	v_add_u32_e32 v56, -1, v0
	v_add_u32_e32 v57, 0xd0, v58
	v_add_u32_e32 v59, 0, v58
	s_mov_b64 s[6:7], 0
	v_mov_b32_e32 v55, 0
	v_mov_b32_e32 v60, 0
.LBB89_109:                             ; =>This Inner Loop Header: Depth=1
	buffer_load_dword v61, v59, s[0:3], 0 offen offset:4
	buffer_load_dword v64, v59, s[0:3], 0 offen
	ds_read_b64 v[62:63], v57
	v_add_u32_e32 v56, 1, v56
	v_cmp_lt_u32_e32 vcc, 22, v56
	v_add_u32_e32 v57, 8, v57
	v_add_u32_e32 v59, 8, v59
	s_or_b64 s[6:7], vcc, s[6:7]
	s_waitcnt vmcnt(1) lgkmcnt(0)
	v_mul_f32_e32 v65, v63, v61
	v_mul_f32_e32 v61, v62, v61
	s_waitcnt vmcnt(0)
	v_fma_f32 v62, v62, v64, -v65
	v_fmac_f32_e32 v61, v63, v64
	v_add_f32_e32 v60, v60, v62
	v_add_f32_e32 v55, v55, v61
	s_andn2_b64 exec, exec, s[6:7]
	s_cbranch_execnz .LBB89_109
; %bb.110:
	s_or_b64 exec, exec, s[6:7]
	v_mov_b32_e32 v56, 0
	ds_read_b64 v[56:57], v56 offset:192
	s_waitcnt lgkmcnt(0)
	v_mul_f32_e32 v59, v55, v57
	v_mul_f32_e32 v57, v60, v57
	v_fma_f32 v59, v60, v56, -v59
	v_fmac_f32_e32 v57, v55, v56
	buffer_store_dword v59, off, s[0:3], 0 offset:192
	buffer_store_dword v57, off, s[0:3], 0 offset:196
.LBB89_111:
	s_or_b64 exec, exec, s[4:5]
	s_waitcnt lgkmcnt(0)
	; wave barrier
	buffer_load_dword v56, off, s[0:3], 0 offset:200
	buffer_load_dword v57, off, s[0:3], 0 offset:204
	v_cmp_ne_u32_e32 vcc, 25, v0
	s_waitcnt vmcnt(0)
	ds_write_b64 v1, v[56:57]
	s_waitcnt lgkmcnt(0)
	; wave barrier
	s_waitcnt lgkmcnt(0)
	s_and_saveexec_b64 s[4:5], vcc
	s_cbranch_execz .LBB89_115
; %bb.112:
	v_add_u32_e32 v55, 0xd0, v58
	v_add_u32_e32 v56, 0, v58
	s_mov_b64 s[6:7], 0
	v_mov_b32_e32 v1, 0
	v_mov_b32_e32 v57, 0
.LBB89_113:                             ; =>This Inner Loop Header: Depth=1
	buffer_load_dword v60, v56, s[0:3], 0 offen offset:4
	buffer_load_dword v61, v56, s[0:3], 0 offen
	ds_read_b64 v[58:59], v55
	v_add_u32_e32 v54, 1, v54
	v_cmp_lt_u32_e32 vcc, 23, v54
	v_add_u32_e32 v55, 8, v55
	v_add_u32_e32 v56, 8, v56
	s_or_b64 s[6:7], vcc, s[6:7]
	s_waitcnt vmcnt(1) lgkmcnt(0)
	v_mul_f32_e32 v62, v59, v60
	v_mul_f32_e32 v60, v58, v60
	s_waitcnt vmcnt(0)
	v_fma_f32 v58, v58, v61, -v62
	v_fmac_f32_e32 v60, v59, v61
	v_add_f32_e32 v57, v57, v58
	v_add_f32_e32 v1, v1, v60
	s_andn2_b64 exec, exec, s[6:7]
	s_cbranch_execnz .LBB89_113
; %bb.114:
	s_or_b64 exec, exec, s[6:7]
	v_mov_b32_e32 v54, 0
	ds_read_b64 v[54:55], v54 offset:200
	s_waitcnt lgkmcnt(0)
	v_mul_f32_e32 v56, v1, v55
	v_mul_f32_e32 v55, v57, v55
	v_fma_f32 v56, v57, v54, -v56
	v_fmac_f32_e32 v55, v1, v54
	buffer_store_dword v56, off, s[0:3], 0 offset:200
	buffer_store_dword v55, off, s[0:3], 0 offset:204
.LBB89_115:
	s_or_b64 exec, exec, s[4:5]
	s_mov_b64 s[6:7], -1
	s_waitcnt lgkmcnt(0)
	; wave barrier
.LBB89_116:
	s_and_b64 vcc, exec, s[6:7]
	s_cbranch_vccz .LBB89_118
; %bb.117:
	s_lshl_b64 s[4:5], s[8:9], 2
	s_add_u32 s4, s14, s4
	s_addc_u32 s5, s15, s5
	v_mov_b32_e32 v1, 0
	global_load_dword v1, v1, s[4:5]
	s_waitcnt vmcnt(0)
	v_cmp_ne_u32_e32 vcc, 0, v1
	s_cbranch_vccz .LBB89_119
.LBB89_118:
	s_endpgm
.LBB89_119:
	v_mov_b32_e32 v1, 0xd0
	v_lshl_add_u32 v1, v0, 3, v1
	v_cmp_eq_u32_e32 vcc, 25, v0
	s_and_saveexec_b64 s[4:5], vcc
	s_cbranch_execz .LBB89_121
; %bb.120:
	buffer_load_dword v54, off, s[0:3], 0 offset:192
	buffer_load_dword v55, off, s[0:3], 0 offset:196
	v_mov_b32_e32 v56, 0
	buffer_store_dword v56, off, s[0:3], 0 offset:192
	buffer_store_dword v56, off, s[0:3], 0 offset:196
	s_waitcnt vmcnt(2)
	ds_write_b64 v1, v[54:55]
.LBB89_121:
	s_or_b64 exec, exec, s[4:5]
	s_waitcnt lgkmcnt(0)
	; wave barrier
	s_waitcnt lgkmcnt(0)
	buffer_load_dword v57, off, s[0:3], 0 offset:204
	buffer_load_dword v56, off, s[0:3], 0 offset:200
	;; [unrolled: 1-line block ×4, first 2 shown]
	v_mov_b32_e32 v54, 0
	ds_read_b64 v[60:61], v54 offset:408
	v_cmp_lt_u32_e32 vcc, 23, v0
	s_waitcnt vmcnt(3)
	v_mov_b32_e32 v62, v57
	s_waitcnt lgkmcnt(0)
	v_pk_mul_f32 v[62:63], v[60:61], v[62:63] op_sel_hi:[1,0]
	s_waitcnt vmcnt(2)
	v_pk_fma_f32 v[64:65], v[60:61], v[56:57], v[62:63] op_sel:[0,0,1] op_sel_hi:[1,1,0] neg_lo:[0,0,1] neg_hi:[0,0,1]
	v_pk_fma_f32 v[56:57], v[60:61], v[56:57], v[62:63] op_sel:[0,0,1] op_sel_hi:[1,0,0]
	v_mov_b32_e32 v65, v57
	v_pk_add_f32 v[56:57], v[64:65], 0 op_sel_hi:[1,0]
	s_waitcnt vmcnt(0)
	v_pk_add_f32 v[56:57], v[58:59], v[56:57] neg_lo:[0,1] neg_hi:[0,1]
	buffer_store_dword v56, off, s[0:3], 0 offset:192
	buffer_store_dword v57, off, s[0:3], 0 offset:196
	s_and_saveexec_b64 s[4:5], vcc
	s_cbranch_execz .LBB89_123
; %bb.122:
	buffer_load_dword v56, off, s[0:3], 0 offset:184
	buffer_load_dword v57, off, s[0:3], 0 offset:188
	s_waitcnt vmcnt(0)
	ds_write_b64 v1, v[56:57]
	buffer_store_dword v54, off, s[0:3], 0 offset:184
	buffer_store_dword v54, off, s[0:3], 0 offset:188
.LBB89_123:
	s_or_b64 exec, exec, s[4:5]
	s_waitcnt lgkmcnt(0)
	; wave barrier
	s_waitcnt lgkmcnt(0)
	buffer_load_dword v59, off, s[0:3], 0 offset:196
	buffer_load_dword v61, off, s[0:3], 0 offset:204
	;; [unrolled: 1-line block ×6, first 2 shown]
	ds_read_b128 v[54:57], v54 offset:400
	v_cmp_lt_u32_e32 vcc, 22, v0
	s_waitcnt vmcnt(5)
	v_mov_b32_e32 v64, v59
	s_waitcnt vmcnt(4)
	v_mov_b32_e32 v66, v61
	s_waitcnt lgkmcnt(0)
	v_pk_mul_f32 v[64:65], v[54:55], v[64:65] op_sel_hi:[1,0]
	v_pk_mul_f32 v[66:67], v[56:57], v[66:67] op_sel_hi:[1,0]
	s_waitcnt vmcnt(3)
	v_pk_fma_f32 v[68:69], v[54:55], v[58:59], v[64:65] op_sel:[0,0,1] op_sel_hi:[1,1,0] neg_lo:[0,0,1] neg_hi:[0,0,1]
	v_pk_fma_f32 v[54:55], v[54:55], v[58:59], v[64:65] op_sel:[0,0,1] op_sel_hi:[1,0,0]
	s_waitcnt vmcnt(2)
	v_pk_fma_f32 v[58:59], v[56:57], v[60:61], v[66:67] op_sel:[0,0,1] op_sel_hi:[1,1,0] neg_lo:[0,0,1] neg_hi:[0,0,1]
	v_pk_fma_f32 v[56:57], v[56:57], v[60:61], v[66:67] op_sel:[0,0,1] op_sel_hi:[1,0,0]
	v_mov_b32_e32 v69, v55
	v_mov_b32_e32 v59, v57
	v_pk_add_f32 v[54:55], v[68:69], 0 op_sel_hi:[1,0]
	v_pk_add_f32 v[54:55], v[54:55], v[58:59]
	s_waitcnt vmcnt(0)
	v_pk_add_f32 v[54:55], v[62:63], v[54:55] neg_lo:[0,1] neg_hi:[0,1]
	buffer_store_dword v54, off, s[0:3], 0 offset:184
	buffer_store_dword v55, off, s[0:3], 0 offset:188
	s_and_saveexec_b64 s[4:5], vcc
	s_cbranch_execz .LBB89_125
; %bb.124:
	buffer_load_dword v54, off, s[0:3], 0 offset:176
	buffer_load_dword v55, off, s[0:3], 0 offset:180
	v_mov_b32_e32 v56, 0
	buffer_store_dword v56, off, s[0:3], 0 offset:176
	buffer_store_dword v56, off, s[0:3], 0 offset:180
	s_waitcnt vmcnt(2)
	ds_write_b64 v1, v[54:55]
.LBB89_125:
	s_or_b64 exec, exec, s[4:5]
	s_waitcnt lgkmcnt(0)
	; wave barrier
	s_waitcnt lgkmcnt(0)
	buffer_load_dword v61, off, s[0:3], 0 offset:188
	buffer_load_dword v63, off, s[0:3], 0 offset:196
	;; [unrolled: 1-line block ×8, first 2 shown]
	v_mov_b32_e32 v54, 0
	ds_read2_b64 v[56:59], v54 offset0:49 offset1:50
	ds_read_b64 v[68:69], v54 offset:408
	v_cmp_lt_u32_e32 vcc, 21, v0
	s_waitcnt vmcnt(7)
	v_mov_b32_e32 v70, v61
	s_waitcnt vmcnt(6)
	v_mov_b32_e32 v72, v63
	s_waitcnt lgkmcnt(1)
	v_pk_mul_f32 v[70:71], v[56:57], v[70:71] op_sel_hi:[1,0]
	s_waitcnt vmcnt(5)
	v_mov_b32_e32 v74, v65
	v_pk_mul_f32 v[72:73], v[58:59], v[72:73] op_sel_hi:[1,0]
	s_waitcnt vmcnt(4)
	v_pk_fma_f32 v[76:77], v[56:57], v[60:61], v[70:71] op_sel:[0,0,1] op_sel_hi:[1,1,0] neg_lo:[0,0,1] neg_hi:[0,0,1]
	v_pk_fma_f32 v[56:57], v[56:57], v[60:61], v[70:71] op_sel:[0,0,1] op_sel_hi:[1,0,0]
	s_waitcnt lgkmcnt(0)
	v_pk_mul_f32 v[74:75], v[68:69], v[74:75] op_sel_hi:[1,0]
	s_waitcnt vmcnt(3)
	v_pk_fma_f32 v[60:61], v[58:59], v[62:63], v[72:73] op_sel:[0,0,1] op_sel_hi:[1,1,0] neg_lo:[0,0,1] neg_hi:[0,0,1]
	v_pk_fma_f32 v[58:59], v[58:59], v[62:63], v[72:73] op_sel:[0,0,1] op_sel_hi:[1,0,0]
	v_mov_b32_e32 v77, v57
	s_waitcnt vmcnt(2)
	v_pk_fma_f32 v[62:63], v[68:69], v[64:65], v[74:75] op_sel:[0,0,1] op_sel_hi:[1,1,0] neg_lo:[0,0,1] neg_hi:[0,0,1]
	v_pk_fma_f32 v[64:65], v[68:69], v[64:65], v[74:75] op_sel:[0,0,1] op_sel_hi:[1,0,0]
	v_mov_b32_e32 v61, v59
	v_pk_add_f32 v[56:57], v[76:77], 0 op_sel_hi:[1,0]
	v_mov_b32_e32 v63, v65
	v_pk_add_f32 v[56:57], v[56:57], v[60:61]
	v_pk_add_f32 v[56:57], v[56:57], v[62:63]
	s_waitcnt vmcnt(0)
	v_pk_add_f32 v[56:57], v[66:67], v[56:57] neg_lo:[0,1] neg_hi:[0,1]
	buffer_store_dword v56, off, s[0:3], 0 offset:176
	buffer_store_dword v57, off, s[0:3], 0 offset:180
	s_and_saveexec_b64 s[4:5], vcc
	s_cbranch_execz .LBB89_127
; %bb.126:
	buffer_load_dword v56, off, s[0:3], 0 offset:168
	buffer_load_dword v57, off, s[0:3], 0 offset:172
	s_waitcnt vmcnt(0)
	ds_write_b64 v1, v[56:57]
	buffer_store_dword v54, off, s[0:3], 0 offset:168
	buffer_store_dword v54, off, s[0:3], 0 offset:172
.LBB89_127:
	s_or_b64 exec, exec, s[4:5]
	s_waitcnt lgkmcnt(0)
	; wave barrier
	s_waitcnt lgkmcnt(0)
	buffer_load_dword v65, off, s[0:3], 0 offset:180
	buffer_load_dword v67, off, s[0:3], 0 offset:188
	;; [unrolled: 1-line block ×10, first 2 shown]
	ds_read_b128 v[56:59], v54 offset:384
	ds_read_b128 v[60:63], v54 offset:400
	v_cmp_lt_u32_e32 vcc, 20, v0
	s_waitcnt vmcnt(9)
	v_mov_b32_e32 v54, v65
	s_waitcnt vmcnt(8)
	v_mov_b32_e32 v74, v67
	s_waitcnt lgkmcnt(1)
	v_pk_mul_f32 v[54:55], v[56:57], v[54:55] op_sel_hi:[1,0]
	s_waitcnt vmcnt(7)
	v_mov_b32_e32 v76, v69
	v_pk_mul_f32 v[74:75], v[58:59], v[74:75] op_sel_hi:[1,0]
	s_waitcnt vmcnt(5)
	v_pk_fma_f32 v[80:81], v[56:57], v[64:65], v[54:55] op_sel:[0,0,1] op_sel_hi:[1,1,0] neg_lo:[0,0,1] neg_hi:[0,0,1]
	v_pk_fma_f32 v[54:55], v[56:57], v[64:65], v[54:55] op_sel:[0,0,1] op_sel_hi:[1,0,0]
	v_mov_b32_e32 v78, v71
	s_waitcnt lgkmcnt(0)
	v_pk_mul_f32 v[76:77], v[60:61], v[76:77] op_sel_hi:[1,0]
	s_waitcnt vmcnt(4)
	v_pk_fma_f32 v[56:57], v[58:59], v[66:67], v[74:75] op_sel:[0,0,1] op_sel_hi:[1,1,0] neg_lo:[0,0,1] neg_hi:[0,0,1]
	v_pk_fma_f32 v[58:59], v[58:59], v[66:67], v[74:75] op_sel:[0,0,1] op_sel_hi:[1,0,0]
	v_mov_b32_e32 v81, v55
	v_pk_mul_f32 v[78:79], v[62:63], v[78:79] op_sel_hi:[1,0]
	s_waitcnt vmcnt(3)
	v_pk_fma_f32 v[64:65], v[60:61], v[68:69], v[76:77] op_sel:[0,0,1] op_sel_hi:[1,1,0] neg_lo:[0,0,1] neg_hi:[0,0,1]
	v_pk_fma_f32 v[60:61], v[60:61], v[68:69], v[76:77] op_sel:[0,0,1] op_sel_hi:[1,0,0]
	v_mov_b32_e32 v57, v59
	v_pk_add_f32 v[54:55], v[80:81], 0 op_sel_hi:[1,0]
	s_waitcnt vmcnt(2)
	v_pk_fma_f32 v[66:67], v[62:63], v[70:71], v[78:79] op_sel:[0,0,1] op_sel_hi:[1,1,0] neg_lo:[0,0,1] neg_hi:[0,0,1]
	v_pk_fma_f32 v[62:63], v[62:63], v[70:71], v[78:79] op_sel:[0,0,1] op_sel_hi:[1,0,0]
	v_mov_b32_e32 v65, v61
	v_pk_add_f32 v[54:55], v[54:55], v[56:57]
	v_mov_b32_e32 v67, v63
	v_pk_add_f32 v[54:55], v[54:55], v[64:65]
	v_pk_add_f32 v[54:55], v[54:55], v[66:67]
	s_waitcnt vmcnt(0)
	v_pk_add_f32 v[54:55], v[72:73], v[54:55] neg_lo:[0,1] neg_hi:[0,1]
	buffer_store_dword v54, off, s[0:3], 0 offset:168
	buffer_store_dword v55, off, s[0:3], 0 offset:172
	s_and_saveexec_b64 s[4:5], vcc
	s_cbranch_execz .LBB89_129
; %bb.128:
	buffer_load_dword v54, off, s[0:3], 0 offset:160
	buffer_load_dword v55, off, s[0:3], 0 offset:164
	v_mov_b32_e32 v56, 0
	buffer_store_dword v56, off, s[0:3], 0 offset:160
	buffer_store_dword v56, off, s[0:3], 0 offset:164
	s_waitcnt vmcnt(2)
	ds_write_b64 v1, v[54:55]
.LBB89_129:
	s_or_b64 exec, exec, s[4:5]
	s_waitcnt lgkmcnt(0)
	; wave barrier
	s_waitcnt lgkmcnt(0)
	buffer_load_dword v65, off, s[0:3], 0 offset:172
	buffer_load_dword v67, off, s[0:3], 0 offset:180
	;; [unrolled: 1-line block ×12, first 2 shown]
	v_mov_b32_e32 v54, 0
	ds_read2_b64 v[56:59], v54 offset0:47 offset1:48
	ds_read2_b64 v[60:63], v54 offset0:49 offset1:50
	ds_read_b64 v[76:77], v54 offset:408
	v_cmp_lt_u32_e32 vcc, 19, v0
	s_waitcnt vmcnt(11)
	v_mov_b32_e32 v78, v65
	s_waitcnt vmcnt(10)
	v_mov_b32_e32 v80, v67
	s_waitcnt lgkmcnt(2)
	v_pk_mul_f32 v[78:79], v[56:57], v[78:79] op_sel_hi:[1,0]
	s_waitcnt vmcnt(9)
	v_mov_b32_e32 v82, v69
	v_pk_mul_f32 v[80:81], v[58:59], v[80:81] op_sel_hi:[1,0]
	s_waitcnt vmcnt(6)
	v_pk_fma_f32 v[88:89], v[56:57], v[64:65], v[78:79] op_sel:[0,0,1] op_sel_hi:[1,1,0] neg_lo:[0,0,1] neg_hi:[0,0,1]
	v_pk_fma_f32 v[56:57], v[56:57], v[64:65], v[78:79] op_sel:[0,0,1] op_sel_hi:[1,0,0]
	v_mov_b32_e32 v84, v71
	s_waitcnt lgkmcnt(1)
	v_pk_mul_f32 v[82:83], v[60:61], v[82:83] op_sel_hi:[1,0]
	s_waitcnt vmcnt(5)
	v_pk_fma_f32 v[64:65], v[58:59], v[66:67], v[80:81] op_sel:[0,0,1] op_sel_hi:[1,1,0] neg_lo:[0,0,1] neg_hi:[0,0,1]
	v_pk_fma_f32 v[58:59], v[58:59], v[66:67], v[80:81] op_sel:[0,0,1] op_sel_hi:[1,0,0]
	v_mov_b32_e32 v89, v57
	v_mov_b32_e32 v86, v73
	v_pk_mul_f32 v[84:85], v[62:63], v[84:85] op_sel_hi:[1,0]
	s_waitcnt vmcnt(4)
	v_pk_fma_f32 v[66:67], v[60:61], v[68:69], v[82:83] op_sel:[0,0,1] op_sel_hi:[1,1,0] neg_lo:[0,0,1] neg_hi:[0,0,1]
	v_pk_fma_f32 v[60:61], v[60:61], v[68:69], v[82:83] op_sel:[0,0,1] op_sel_hi:[1,0,0]
	v_mov_b32_e32 v65, v59
	v_pk_add_f32 v[56:57], v[88:89], 0 op_sel_hi:[1,0]
	s_waitcnt lgkmcnt(0)
	v_pk_mul_f32 v[86:87], v[76:77], v[86:87] op_sel_hi:[1,0]
	s_waitcnt vmcnt(3)
	v_pk_fma_f32 v[68:69], v[62:63], v[70:71], v[84:85] op_sel:[0,0,1] op_sel_hi:[1,1,0] neg_lo:[0,0,1] neg_hi:[0,0,1]
	v_pk_fma_f32 v[62:63], v[62:63], v[70:71], v[84:85] op_sel:[0,0,1] op_sel_hi:[1,0,0]
	v_mov_b32_e32 v67, v61
	v_pk_add_f32 v[56:57], v[56:57], v[64:65]
	s_waitcnt vmcnt(2)
	v_pk_fma_f32 v[70:71], v[76:77], v[72:73], v[86:87] op_sel:[0,0,1] op_sel_hi:[1,1,0] neg_lo:[0,0,1] neg_hi:[0,0,1]
	v_pk_fma_f32 v[72:73], v[76:77], v[72:73], v[86:87] op_sel:[0,0,1] op_sel_hi:[1,0,0]
	v_mov_b32_e32 v69, v63
	v_pk_add_f32 v[56:57], v[56:57], v[66:67]
	v_mov_b32_e32 v71, v73
	v_pk_add_f32 v[56:57], v[56:57], v[68:69]
	v_pk_add_f32 v[56:57], v[56:57], v[70:71]
	s_waitcnt vmcnt(0)
	v_pk_add_f32 v[56:57], v[74:75], v[56:57] neg_lo:[0,1] neg_hi:[0,1]
	buffer_store_dword v56, off, s[0:3], 0 offset:160
	buffer_store_dword v57, off, s[0:3], 0 offset:164
	s_and_saveexec_b64 s[4:5], vcc
	s_cbranch_execz .LBB89_131
; %bb.130:
	buffer_load_dword v56, off, s[0:3], 0 offset:152
	buffer_load_dword v57, off, s[0:3], 0 offset:156
	s_waitcnt vmcnt(0)
	ds_write_b64 v1, v[56:57]
	buffer_store_dword v54, off, s[0:3], 0 offset:152
	buffer_store_dword v54, off, s[0:3], 0 offset:156
.LBB89_131:
	s_or_b64 exec, exec, s[4:5]
	s_waitcnt lgkmcnt(0)
	; wave barrier
	s_waitcnt lgkmcnt(0)
	buffer_load_dword v69, off, s[0:3], 0 offset:164
	buffer_load_dword v71, off, s[0:3], 0 offset:172
	;; [unrolled: 1-line block ×14, first 2 shown]
	ds_read_b128 v[56:59], v54 offset:368
	ds_read_b128 v[60:63], v54 offset:384
	;; [unrolled: 1-line block ×3, first 2 shown]
	v_cmp_lt_u32_e32 vcc, 18, v0
	s_waitcnt vmcnt(13)
	v_mov_b32_e32 v54, v69
	s_waitcnt vmcnt(12)
	v_mov_b32_e32 v82, v71
	s_waitcnt lgkmcnt(2)
	v_pk_mul_f32 v[54:55], v[56:57], v[54:55] op_sel_hi:[1,0]
	s_waitcnt vmcnt(11)
	v_mov_b32_e32 v84, v73
	v_pk_mul_f32 v[82:83], v[58:59], v[82:83] op_sel_hi:[1,0]
	s_waitcnt vmcnt(10)
	v_mov_b32_e32 v86, v75
	s_waitcnt vmcnt(7)
	v_pk_fma_f32 v[92:93], v[56:57], v[68:69], v[54:55] op_sel:[0,0,1] op_sel_hi:[1,1,0] neg_lo:[0,0,1] neg_hi:[0,0,1]
	v_pk_fma_f32 v[54:55], v[56:57], v[68:69], v[54:55] op_sel:[0,0,1] op_sel_hi:[1,0,0]
	s_waitcnt lgkmcnt(1)
	v_pk_mul_f32 v[84:85], v[60:61], v[84:85] op_sel_hi:[1,0]
	s_waitcnt vmcnt(6)
	v_pk_fma_f32 v[56:57], v[58:59], v[70:71], v[82:83] op_sel:[0,0,1] op_sel_hi:[1,1,0] neg_lo:[0,0,1] neg_hi:[0,0,1]
	v_pk_fma_f32 v[58:59], v[58:59], v[70:71], v[82:83] op_sel:[0,0,1] op_sel_hi:[1,0,0]
	v_mov_b32_e32 v93, v55
	v_mov_b32_e32 v88, v77
	v_pk_mul_f32 v[86:87], v[62:63], v[86:87] op_sel_hi:[1,0]
	s_waitcnt vmcnt(5)
	v_pk_fma_f32 v[68:69], v[60:61], v[72:73], v[84:85] op_sel:[0,0,1] op_sel_hi:[1,1,0] neg_lo:[0,0,1] neg_hi:[0,0,1]
	v_pk_fma_f32 v[60:61], v[60:61], v[72:73], v[84:85] op_sel:[0,0,1] op_sel_hi:[1,0,0]
	v_mov_b32_e32 v57, v59
	v_pk_add_f32 v[54:55], v[92:93], 0 op_sel_hi:[1,0]
	v_mov_b32_e32 v90, v79
	s_waitcnt lgkmcnt(0)
	v_pk_mul_f32 v[88:89], v[64:65], v[88:89] op_sel_hi:[1,0]
	s_waitcnt vmcnt(4)
	v_pk_fma_f32 v[70:71], v[62:63], v[74:75], v[86:87] op_sel:[0,0,1] op_sel_hi:[1,1,0] neg_lo:[0,0,1] neg_hi:[0,0,1]
	v_pk_fma_f32 v[62:63], v[62:63], v[74:75], v[86:87] op_sel:[0,0,1] op_sel_hi:[1,0,0]
	v_mov_b32_e32 v69, v61
	v_pk_add_f32 v[54:55], v[54:55], v[56:57]
	v_pk_mul_f32 v[90:91], v[66:67], v[90:91] op_sel_hi:[1,0]
	s_waitcnt vmcnt(3)
	v_pk_fma_f32 v[72:73], v[64:65], v[76:77], v[88:89] op_sel:[0,0,1] op_sel_hi:[1,1,0] neg_lo:[0,0,1] neg_hi:[0,0,1]
	v_pk_fma_f32 v[64:65], v[64:65], v[76:77], v[88:89] op_sel:[0,0,1] op_sel_hi:[1,0,0]
	v_mov_b32_e32 v71, v63
	v_pk_add_f32 v[54:55], v[54:55], v[68:69]
	s_waitcnt vmcnt(2)
	v_pk_fma_f32 v[74:75], v[66:67], v[78:79], v[90:91] op_sel:[0,0,1] op_sel_hi:[1,1,0] neg_lo:[0,0,1] neg_hi:[0,0,1]
	v_pk_fma_f32 v[66:67], v[66:67], v[78:79], v[90:91] op_sel:[0,0,1] op_sel_hi:[1,0,0]
	v_mov_b32_e32 v73, v65
	v_pk_add_f32 v[54:55], v[54:55], v[70:71]
	v_mov_b32_e32 v75, v67
	v_pk_add_f32 v[54:55], v[54:55], v[72:73]
	v_pk_add_f32 v[54:55], v[54:55], v[74:75]
	s_waitcnt vmcnt(0)
	v_pk_add_f32 v[54:55], v[80:81], v[54:55] neg_lo:[0,1] neg_hi:[0,1]
	buffer_store_dword v54, off, s[0:3], 0 offset:152
	buffer_store_dword v55, off, s[0:3], 0 offset:156
	s_and_saveexec_b64 s[4:5], vcc
	s_cbranch_execz .LBB89_133
; %bb.132:
	buffer_load_dword v54, off, s[0:3], 0 offset:144
	buffer_load_dword v55, off, s[0:3], 0 offset:148
	v_mov_b32_e32 v56, 0
	buffer_store_dword v56, off, s[0:3], 0 offset:144
	buffer_store_dword v56, off, s[0:3], 0 offset:148
	s_waitcnt vmcnt(2)
	ds_write_b64 v1, v[54:55]
.LBB89_133:
	s_or_b64 exec, exec, s[4:5]
	s_waitcnt lgkmcnt(0)
	; wave barrier
	s_waitcnt lgkmcnt(0)
	buffer_load_dword v69, off, s[0:3], 0 offset:156
	buffer_load_dword v71, off, s[0:3], 0 offset:164
	;; [unrolled: 1-line block ×16, first 2 shown]
	v_mov_b32_e32 v54, 0
	ds_read2_b64 v[56:59], v54 offset0:45 offset1:46
	ds_read2_b64 v[60:63], v54 offset0:47 offset1:48
	;; [unrolled: 1-line block ×3, first 2 shown]
	ds_read_b64 v[84:85], v54 offset:408
	v_cmp_lt_u32_e32 vcc, 17, v0
	s_waitcnt vmcnt(15)
	v_mov_b32_e32 v86, v69
	s_waitcnt vmcnt(14)
	v_mov_b32_e32 v88, v71
	s_waitcnt lgkmcnt(3)
	v_pk_mul_f32 v[86:87], v[56:57], v[86:87] op_sel_hi:[1,0]
	s_waitcnt vmcnt(13)
	v_mov_b32_e32 v90, v73
	v_pk_mul_f32 v[88:89], v[58:59], v[88:89] op_sel_hi:[1,0]
	s_waitcnt vmcnt(12)
	v_mov_b32_e32 v92, v75
	s_waitcnt lgkmcnt(2)
	v_pk_mul_f32 v[90:91], v[60:61], v[90:91] op_sel_hi:[1,0]
	s_waitcnt vmcnt(8)
	v_pk_fma_f32 v[100:101], v[56:57], v[68:69], v[86:87] op_sel:[0,0,1] op_sel_hi:[1,1,0] neg_lo:[0,0,1] neg_hi:[0,0,1]
	v_pk_fma_f32 v[56:57], v[56:57], v[68:69], v[86:87] op_sel:[0,0,1] op_sel_hi:[1,0,0]
	s_waitcnt vmcnt(7)
	v_pk_fma_f32 v[68:69], v[58:59], v[70:71], v[88:89] op_sel:[0,0,1] op_sel_hi:[1,1,0] neg_lo:[0,0,1] neg_hi:[0,0,1]
	v_pk_fma_f32 v[58:59], v[58:59], v[70:71], v[88:89] op_sel:[0,0,1] op_sel_hi:[1,0,0]
	v_mov_b32_e32 v101, v57
	v_mov_b32_e32 v94, v77
	v_pk_mul_f32 v[92:93], v[62:63], v[92:93] op_sel_hi:[1,0]
	s_waitcnt vmcnt(6)
	v_pk_fma_f32 v[70:71], v[60:61], v[72:73], v[90:91] op_sel:[0,0,1] op_sel_hi:[1,1,0] neg_lo:[0,0,1] neg_hi:[0,0,1]
	v_pk_fma_f32 v[60:61], v[60:61], v[72:73], v[90:91] op_sel:[0,0,1] op_sel_hi:[1,0,0]
	v_mov_b32_e32 v69, v59
	v_pk_add_f32 v[56:57], v[100:101], 0 op_sel_hi:[1,0]
	v_mov_b32_e32 v96, v79
	s_waitcnt lgkmcnt(1)
	v_pk_mul_f32 v[94:95], v[64:65], v[94:95] op_sel_hi:[1,0]
	s_waitcnt vmcnt(5)
	v_pk_fma_f32 v[72:73], v[62:63], v[74:75], v[92:93] op_sel:[0,0,1] op_sel_hi:[1,1,0] neg_lo:[0,0,1] neg_hi:[0,0,1]
	v_pk_fma_f32 v[62:63], v[62:63], v[74:75], v[92:93] op_sel:[0,0,1] op_sel_hi:[1,0,0]
	v_mov_b32_e32 v71, v61
	v_pk_add_f32 v[56:57], v[56:57], v[68:69]
	v_mov_b32_e32 v98, v81
	v_pk_mul_f32 v[96:97], v[66:67], v[96:97] op_sel_hi:[1,0]
	s_waitcnt vmcnt(4)
	v_pk_fma_f32 v[74:75], v[64:65], v[76:77], v[94:95] op_sel:[0,0,1] op_sel_hi:[1,1,0] neg_lo:[0,0,1] neg_hi:[0,0,1]
	v_pk_fma_f32 v[64:65], v[64:65], v[76:77], v[94:95] op_sel:[0,0,1] op_sel_hi:[1,0,0]
	v_mov_b32_e32 v73, v63
	v_pk_add_f32 v[56:57], v[56:57], v[70:71]
	s_waitcnt lgkmcnt(0)
	v_pk_mul_f32 v[98:99], v[84:85], v[98:99] op_sel_hi:[1,0]
	s_waitcnt vmcnt(3)
	v_pk_fma_f32 v[76:77], v[66:67], v[78:79], v[96:97] op_sel:[0,0,1] op_sel_hi:[1,1,0] neg_lo:[0,0,1] neg_hi:[0,0,1]
	v_pk_fma_f32 v[66:67], v[66:67], v[78:79], v[96:97] op_sel:[0,0,1] op_sel_hi:[1,0,0]
	v_mov_b32_e32 v75, v65
	v_pk_add_f32 v[56:57], v[56:57], v[72:73]
	s_waitcnt vmcnt(2)
	v_pk_fma_f32 v[78:79], v[84:85], v[80:81], v[98:99] op_sel:[0,0,1] op_sel_hi:[1,1,0] neg_lo:[0,0,1] neg_hi:[0,0,1]
	v_pk_fma_f32 v[80:81], v[84:85], v[80:81], v[98:99] op_sel:[0,0,1] op_sel_hi:[1,0,0]
	v_mov_b32_e32 v77, v67
	v_pk_add_f32 v[56:57], v[56:57], v[74:75]
	v_mov_b32_e32 v79, v81
	v_pk_add_f32 v[56:57], v[56:57], v[76:77]
	v_pk_add_f32 v[56:57], v[56:57], v[78:79]
	s_waitcnt vmcnt(0)
	v_pk_add_f32 v[56:57], v[82:83], v[56:57] neg_lo:[0,1] neg_hi:[0,1]
	buffer_store_dword v56, off, s[0:3], 0 offset:144
	buffer_store_dword v57, off, s[0:3], 0 offset:148
	s_and_saveexec_b64 s[4:5], vcc
	s_cbranch_execz .LBB89_135
; %bb.134:
	buffer_load_dword v56, off, s[0:3], 0 offset:136
	buffer_load_dword v57, off, s[0:3], 0 offset:140
	s_waitcnt vmcnt(0)
	ds_write_b64 v1, v[56:57]
	buffer_store_dword v54, off, s[0:3], 0 offset:136
	buffer_store_dword v54, off, s[0:3], 0 offset:140
.LBB89_135:
	s_or_b64 exec, exec, s[4:5]
	s_waitcnt lgkmcnt(0)
	; wave barrier
	s_waitcnt lgkmcnt(0)
	buffer_load_dword v73, off, s[0:3], 0 offset:148
	buffer_load_dword v75, off, s[0:3], 0 offset:156
	buffer_load_dword v77, off, s[0:3], 0 offset:164
	buffer_load_dword v79, off, s[0:3], 0 offset:172
	buffer_load_dword v81, off, s[0:3], 0 offset:180
	buffer_load_dword v83, off, s[0:3], 0 offset:188
	buffer_load_dword v85, off, s[0:3], 0 offset:196
	buffer_load_dword v87, off, s[0:3], 0 offset:204
	buffer_load_dword v72, off, s[0:3], 0 offset:144
	buffer_load_dword v74, off, s[0:3], 0 offset:152
	buffer_load_dword v76, off, s[0:3], 0 offset:160
	buffer_load_dword v78, off, s[0:3], 0 offset:168
	buffer_load_dword v80, off, s[0:3], 0 offset:176
	buffer_load_dword v82, off, s[0:3], 0 offset:184
	buffer_load_dword v84, off, s[0:3], 0 offset:192
	buffer_load_dword v86, off, s[0:3], 0 offset:200
	buffer_load_dword v88, off, s[0:3], 0 offset:136
	buffer_load_dword v89, off, s[0:3], 0 offset:140
	ds_read_b128 v[56:59], v54 offset:352
	ds_read_b128 v[60:63], v54 offset:368
	ds_read_b128 v[64:67], v54 offset:384
	ds_read_b128 v[68:71], v54 offset:400
	v_cmp_lt_u32_e32 vcc, 16, v0
	s_waitcnt vmcnt(17)
	v_mov_b32_e32 v54, v73
	s_waitcnt vmcnt(16)
	v_mov_b32_e32 v90, v75
	s_waitcnt lgkmcnt(3)
	v_pk_mul_f32 v[54:55], v[56:57], v[54:55] op_sel_hi:[1,0]
	s_waitcnt vmcnt(15)
	v_mov_b32_e32 v92, v77
	v_pk_mul_f32 v[90:91], v[58:59], v[90:91] op_sel_hi:[1,0]
	s_waitcnt vmcnt(14)
	v_mov_b32_e32 v94, v79
	s_waitcnt lgkmcnt(2)
	v_pk_mul_f32 v[92:93], v[60:61], v[92:93] op_sel_hi:[1,0]
	s_waitcnt vmcnt(13)
	v_mov_b32_e32 v96, v81
	s_waitcnt vmcnt(9)
	v_pk_fma_f32 v[104:105], v[56:57], v[72:73], v[54:55] op_sel:[0,0,1] op_sel_hi:[1,1,0] neg_lo:[0,0,1] neg_hi:[0,0,1]
	v_pk_fma_f32 v[54:55], v[56:57], v[72:73], v[54:55] op_sel:[0,0,1] op_sel_hi:[1,0,0]
	s_waitcnt vmcnt(8)
	v_pk_fma_f32 v[56:57], v[58:59], v[74:75], v[90:91] op_sel:[0,0,1] op_sel_hi:[1,1,0] neg_lo:[0,0,1] neg_hi:[0,0,1]
	v_pk_fma_f32 v[58:59], v[58:59], v[74:75], v[90:91] op_sel:[0,0,1] op_sel_hi:[1,0,0]
	v_mov_b32_e32 v105, v55
	v_pk_mul_f32 v[94:95], v[62:63], v[94:95] op_sel_hi:[1,0]
	s_waitcnt vmcnt(7)
	v_pk_fma_f32 v[72:73], v[60:61], v[76:77], v[92:93] op_sel:[0,0,1] op_sel_hi:[1,1,0] neg_lo:[0,0,1] neg_hi:[0,0,1]
	v_pk_fma_f32 v[60:61], v[60:61], v[76:77], v[92:93] op_sel:[0,0,1] op_sel_hi:[1,0,0]
	v_mov_b32_e32 v57, v59
	v_pk_add_f32 v[54:55], v[104:105], 0 op_sel_hi:[1,0]
	v_mov_b32_e32 v98, v83
	s_waitcnt lgkmcnt(1)
	v_pk_mul_f32 v[96:97], v[64:65], v[96:97] op_sel_hi:[1,0]
	s_waitcnt vmcnt(6)
	v_pk_fma_f32 v[74:75], v[62:63], v[78:79], v[94:95] op_sel:[0,0,1] op_sel_hi:[1,1,0] neg_lo:[0,0,1] neg_hi:[0,0,1]
	v_pk_fma_f32 v[62:63], v[62:63], v[78:79], v[94:95] op_sel:[0,0,1] op_sel_hi:[1,0,0]
	v_mov_b32_e32 v73, v61
	v_pk_add_f32 v[54:55], v[54:55], v[56:57]
	v_mov_b32_e32 v100, v85
	v_pk_mul_f32 v[98:99], v[66:67], v[98:99] op_sel_hi:[1,0]
	s_waitcnt vmcnt(5)
	v_pk_fma_f32 v[76:77], v[64:65], v[80:81], v[96:97] op_sel:[0,0,1] op_sel_hi:[1,1,0] neg_lo:[0,0,1] neg_hi:[0,0,1]
	v_pk_fma_f32 v[64:65], v[64:65], v[80:81], v[96:97] op_sel:[0,0,1] op_sel_hi:[1,0,0]
	v_mov_b32_e32 v75, v63
	v_pk_add_f32 v[54:55], v[54:55], v[72:73]
	v_mov_b32_e32 v102, v87
	s_waitcnt lgkmcnt(0)
	v_pk_mul_f32 v[100:101], v[68:69], v[100:101] op_sel_hi:[1,0]
	s_waitcnt vmcnt(4)
	v_pk_fma_f32 v[78:79], v[66:67], v[82:83], v[98:99] op_sel:[0,0,1] op_sel_hi:[1,1,0] neg_lo:[0,0,1] neg_hi:[0,0,1]
	v_pk_fma_f32 v[66:67], v[66:67], v[82:83], v[98:99] op_sel:[0,0,1] op_sel_hi:[1,0,0]
	v_mov_b32_e32 v77, v65
	v_pk_add_f32 v[54:55], v[54:55], v[74:75]
	v_pk_mul_f32 v[102:103], v[70:71], v[102:103] op_sel_hi:[1,0]
	s_waitcnt vmcnt(3)
	v_pk_fma_f32 v[80:81], v[68:69], v[84:85], v[100:101] op_sel:[0,0,1] op_sel_hi:[1,1,0] neg_lo:[0,0,1] neg_hi:[0,0,1]
	v_pk_fma_f32 v[68:69], v[68:69], v[84:85], v[100:101] op_sel:[0,0,1] op_sel_hi:[1,0,0]
	v_mov_b32_e32 v79, v67
	v_pk_add_f32 v[54:55], v[54:55], v[76:77]
	s_waitcnt vmcnt(2)
	v_pk_fma_f32 v[82:83], v[70:71], v[86:87], v[102:103] op_sel:[0,0,1] op_sel_hi:[1,1,0] neg_lo:[0,0,1] neg_hi:[0,0,1]
	v_pk_fma_f32 v[70:71], v[70:71], v[86:87], v[102:103] op_sel:[0,0,1] op_sel_hi:[1,0,0]
	v_mov_b32_e32 v81, v69
	v_pk_add_f32 v[54:55], v[54:55], v[78:79]
	v_mov_b32_e32 v83, v71
	v_pk_add_f32 v[54:55], v[54:55], v[80:81]
	v_pk_add_f32 v[54:55], v[54:55], v[82:83]
	s_waitcnt vmcnt(0)
	v_pk_add_f32 v[54:55], v[88:89], v[54:55] neg_lo:[0,1] neg_hi:[0,1]
	buffer_store_dword v54, off, s[0:3], 0 offset:136
	buffer_store_dword v55, off, s[0:3], 0 offset:140
	s_and_saveexec_b64 s[4:5], vcc
	s_cbranch_execz .LBB89_137
; %bb.136:
	buffer_load_dword v54, off, s[0:3], 0 offset:128
	buffer_load_dword v55, off, s[0:3], 0 offset:132
	v_mov_b32_e32 v56, 0
	buffer_store_dword v56, off, s[0:3], 0 offset:128
	buffer_store_dword v56, off, s[0:3], 0 offset:132
	s_waitcnt vmcnt(2)
	ds_write_b64 v1, v[54:55]
.LBB89_137:
	s_or_b64 exec, exec, s[4:5]
	s_waitcnt lgkmcnt(0)
	; wave barrier
	s_waitcnt lgkmcnt(0)
	buffer_load_dword v55, off, s[0:3], 0 offset:140
	buffer_load_dword v73, off, s[0:3], 0 offset:148
	buffer_load_dword v75, off, s[0:3], 0 offset:156
	buffer_load_dword v77, off, s[0:3], 0 offset:164
	buffer_load_dword v79, off, s[0:3], 0 offset:172
	buffer_load_dword v81, off, s[0:3], 0 offset:180
	buffer_load_dword v83, off, s[0:3], 0 offset:188
	buffer_load_dword v85, off, s[0:3], 0 offset:196
	buffer_load_dword v87, off, s[0:3], 0 offset:204
	buffer_load_dword v92, off, s[0:3], 0 offset:136
	buffer_load_dword v72, off, s[0:3], 0 offset:144
	buffer_load_dword v74, off, s[0:3], 0 offset:152
	buffer_load_dword v76, off, s[0:3], 0 offset:160
	buffer_load_dword v78, off, s[0:3], 0 offset:168
	buffer_load_dword v80, off, s[0:3], 0 offset:176
	buffer_load_dword v82, off, s[0:3], 0 offset:184
	buffer_load_dword v86, off, s[0:3], 0 offset:200
	buffer_load_dword v84, off, s[0:3], 0 offset:192
	buffer_load_dword v88, off, s[0:3], 0 offset:128
	buffer_load_dword v89, off, s[0:3], 0 offset:132
	v_mov_b32_e32 v54, 0
	ds_read2_b64 v[56:59], v54 offset0:43 offset1:44
	ds_read2_b64 v[60:63], v54 offset0:45 offset1:46
	;; [unrolled: 1-line block ×4, first 2 shown]
	ds_read_b64 v[90:91], v54 offset:408
	v_cmp_lt_u32_e32 vcc, 15, v0
	s_waitcnt vmcnt(19) lgkmcnt(4)
	v_mul_f32_e32 v93, v56, v55
	v_mul_f32_e32 v55, v57, v55
	s_waitcnt vmcnt(18)
	v_mov_b32_e32 v94, v73
	s_waitcnt vmcnt(17)
	v_mov_b32_e32 v96, v75
	;; [unrolled: 2-line block ×8, first 2 shown]
	s_waitcnt vmcnt(10)
	v_fmac_f32_e32 v93, v57, v92
	v_fma_f32 v92, v56, v92, -v55
	v_pk_mul_f32 v[56:57], v[58:59], v[94:95] op_sel_hi:[1,0]
	s_waitcnt lgkmcnt(3)
	v_pk_mul_f32 v[94:95], v[60:61], v[96:97] op_sel_hi:[1,0]
	v_pk_mul_f32 v[96:97], v[62:63], v[98:99] op_sel_hi:[1,0]
	s_waitcnt lgkmcnt(2)
	v_pk_mul_f32 v[98:99], v[64:65], v[100:101] op_sel_hi:[1,0]
	;; [unrolled: 3-line block ×4, first 2 shown]
	s_waitcnt vmcnt(9)
	v_pk_fma_f32 v[108:109], v[58:59], v[72:73], v[56:57] op_sel:[0,0,1] op_sel_hi:[1,1,0] neg_lo:[0,0,1] neg_hi:[0,0,1]
	v_pk_fma_f32 v[56:57], v[58:59], v[72:73], v[56:57] op_sel:[0,0,1] op_sel_hi:[1,0,0]
	v_pk_add_f32 v[92:93], v[92:93], 0 op_sel_hi:[1,0]
	s_waitcnt vmcnt(8)
	v_pk_fma_f32 v[58:59], v[60:61], v[74:75], v[94:95] op_sel:[0,0,1] op_sel_hi:[1,1,0] neg_lo:[0,0,1] neg_hi:[0,0,1]
	v_pk_fma_f32 v[60:61], v[60:61], v[74:75], v[94:95] op_sel:[0,0,1] op_sel_hi:[1,0,0]
	v_mov_b32_e32 v109, v57
	s_waitcnt vmcnt(7)
	v_pk_fma_f32 v[72:73], v[62:63], v[76:77], v[96:97] op_sel:[0,0,1] op_sel_hi:[1,1,0] neg_lo:[0,0,1] neg_hi:[0,0,1]
	v_pk_fma_f32 v[62:63], v[62:63], v[76:77], v[96:97] op_sel:[0,0,1] op_sel_hi:[1,0,0]
	v_mov_b32_e32 v59, v61
	v_pk_add_f32 v[56:57], v[92:93], v[108:109]
	s_waitcnt vmcnt(6)
	v_pk_fma_f32 v[74:75], v[64:65], v[78:79], v[98:99] op_sel:[0,0,1] op_sel_hi:[1,1,0] neg_lo:[0,0,1] neg_hi:[0,0,1]
	v_pk_fma_f32 v[64:65], v[64:65], v[78:79], v[98:99] op_sel:[0,0,1] op_sel_hi:[1,0,0]
	v_mov_b32_e32 v73, v63
	v_pk_add_f32 v[56:57], v[56:57], v[58:59]
	;; [unrolled: 5-line block ×5, first 2 shown]
	v_pk_fma_f32 v[82:83], v[90:91], v[86:87], v[106:107] op_sel:[0,0,1] op_sel_hi:[1,1,0] neg_lo:[0,0,1] neg_hi:[0,0,1]
	v_pk_fma_f32 v[84:85], v[90:91], v[86:87], v[106:107] op_sel:[0,0,1] op_sel_hi:[1,0,0]
	v_mov_b32_e32 v81, v71
	v_pk_add_f32 v[56:57], v[56:57], v[78:79]
	v_mov_b32_e32 v83, v85
	v_pk_add_f32 v[56:57], v[56:57], v[80:81]
	v_pk_add_f32 v[56:57], v[56:57], v[82:83]
	s_waitcnt vmcnt(0)
	v_pk_add_f32 v[56:57], v[88:89], v[56:57] neg_lo:[0,1] neg_hi:[0,1]
	buffer_store_dword v56, off, s[0:3], 0 offset:128
	buffer_store_dword v57, off, s[0:3], 0 offset:132
	s_and_saveexec_b64 s[4:5], vcc
	s_cbranch_execz .LBB89_139
; %bb.138:
	buffer_load_dword v56, off, s[0:3], 0 offset:120
	buffer_load_dword v57, off, s[0:3], 0 offset:124
	s_waitcnt vmcnt(0)
	ds_write_b64 v1, v[56:57]
	buffer_store_dword v54, off, s[0:3], 0 offset:120
	buffer_store_dword v54, off, s[0:3], 0 offset:124
.LBB89_139:
	s_or_b64 exec, exec, s[4:5]
	s_waitcnt lgkmcnt(0)
	; wave barrier
	s_waitcnt lgkmcnt(0)
	buffer_load_dword v94, off, s[0:3], 0 offset:132
	buffer_load_dword v96, off, s[0:3], 0 offset:140
	;; [unrolled: 1-line block ×22, first 2 shown]
	ds_read_b128 v[56:59], v54 offset:336
	ds_read_b128 v[60:63], v54 offset:352
	;; [unrolled: 1-line block ×5, first 2 shown]
	v_cmp_lt_u32_e32 vcc, 14, v0
	s_waitcnt vmcnt(21) lgkmcnt(4)
	v_mul_f32_e32 v55, v56, v94
	s_waitcnt vmcnt(20)
	v_mul_f32_e32 v95, v58, v96
	v_mul_f32_e32 v54, v57, v94
	;; [unrolled: 1-line block ×3, first 2 shown]
	s_waitcnt vmcnt(19)
	v_mov_b32_e32 v96, v77
	s_waitcnt vmcnt(18)
	v_mov_b32_e32 v98, v79
	;; [unrolled: 2-line block ×5, first 2 shown]
	v_mov_b32_e32 v102, v83
	s_waitcnt vmcnt(11)
	v_fmac_f32_e32 v55, v57, v97
	v_fma_f32 v54, v56, v97, -v54
	s_waitcnt lgkmcnt(3)
	v_pk_mul_f32 v[56:57], v[60:61], v[96:97] op_sel_hi:[1,0]
	s_waitcnt vmcnt(10)
	v_fmac_f32_e32 v95, v59, v99
	v_fma_f32 v94, v58, v99, -v94
	v_pk_mul_f32 v[58:59], v[62:63], v[98:99] op_sel_hi:[1,0]
	s_waitcnt lgkmcnt(2)
	v_pk_mul_f32 v[96:97], v[64:65], v[100:101] op_sel_hi:[1,0]
	s_waitcnt lgkmcnt(1)
	;; [unrolled: 2-line block ×3, first 2 shown]
	v_pk_mul_f32 v[104:105], v[72:73], v[108:109] op_sel_hi:[1,0]
	v_pk_add_f32 v[54:55], v[54:55], 0 op_sel_hi:[1,0]
	s_waitcnt vmcnt(9)
	v_pk_fma_f32 v[108:109], v[60:61], v[76:77], v[56:57] op_sel:[0,0,1] op_sel_hi:[1,1,0] neg_lo:[0,0,1] neg_hi:[0,0,1]
	v_pk_fma_f32 v[56:57], v[60:61], v[76:77], v[56:57] op_sel:[0,0,1] op_sel_hi:[1,0,0]
	s_waitcnt vmcnt(8)
	v_pk_fma_f32 v[60:61], v[62:63], v[78:79], v[58:59] op_sel:[0,0,1] op_sel_hi:[1,1,0] neg_lo:[0,0,1] neg_hi:[0,0,1]
	v_pk_fma_f32 v[58:59], v[62:63], v[78:79], v[58:59] op_sel:[0,0,1] op_sel_hi:[1,0,0]
	v_pk_add_f32 v[54:55], v[54:55], v[94:95]
	v_mov_b32_e32 v109, v57
	v_pk_mul_f32 v[98:99], v[66:67], v[102:103] op_sel_hi:[1,0]
	s_waitcnt vmcnt(7)
	v_pk_fma_f32 v[62:63], v[64:65], v[80:81], v[96:97] op_sel:[0,0,1] op_sel_hi:[1,1,0] neg_lo:[0,0,1] neg_hi:[0,0,1]
	v_pk_fma_f32 v[64:65], v[64:65], v[80:81], v[96:97] op_sel:[0,0,1] op_sel_hi:[1,0,0]
	v_mov_b32_e32 v61, v59
	v_pk_add_f32 v[54:55], v[54:55], v[108:109]
	v_mov_b32_e32 v106, v87
	s_waitcnt vmcnt(6)
	v_pk_fma_f32 v[76:77], v[66:67], v[82:83], v[98:99] op_sel:[0,0,1] op_sel_hi:[1,1,0] neg_lo:[0,0,1] neg_hi:[0,0,1]
	v_pk_fma_f32 v[66:67], v[66:67], v[82:83], v[98:99] op_sel:[0,0,1] op_sel_hi:[1,0,0]
	v_mov_b32_e32 v63, v65
	v_pk_add_f32 v[54:55], v[54:55], v[60:61]
	v_pk_mul_f32 v[102:103], v[70:71], v[106:107] op_sel_hi:[1,0]
	s_waitcnt vmcnt(5)
	v_pk_fma_f32 v[78:79], v[68:69], v[84:85], v[100:101] op_sel:[0,0,1] op_sel_hi:[1,1,0] neg_lo:[0,0,1] neg_hi:[0,0,1]
	v_pk_fma_f32 v[68:69], v[68:69], v[84:85], v[100:101] op_sel:[0,0,1] op_sel_hi:[1,0,0]
	v_mov_b32_e32 v77, v67
	v_pk_add_f32 v[54:55], v[54:55], v[62:63]
	v_mov_b32_e32 v110, v91
	s_waitcnt vmcnt(2)
	v_pk_fma_f32 v[80:81], v[70:71], v[86:87], v[102:103] op_sel:[0,0,1] op_sel_hi:[1,1,0] neg_lo:[0,0,1] neg_hi:[0,0,1]
	v_pk_fma_f32 v[70:71], v[70:71], v[86:87], v[102:103] op_sel:[0,0,1] op_sel_hi:[1,0,0]
	v_mov_b32_e32 v79, v69
	v_pk_add_f32 v[54:55], v[54:55], v[76:77]
	v_pk_mul_f32 v[106:107], v[74:75], v[110:111] op_sel_hi:[1,0]
	v_pk_fma_f32 v[82:83], v[72:73], v[88:89], v[104:105] op_sel:[0,0,1] op_sel_hi:[1,1,0] neg_lo:[0,0,1] neg_hi:[0,0,1]
	v_pk_fma_f32 v[72:73], v[72:73], v[88:89], v[104:105] op_sel:[0,0,1] op_sel_hi:[1,0,0]
	v_mov_b32_e32 v81, v71
	v_pk_add_f32 v[54:55], v[54:55], v[78:79]
	v_pk_fma_f32 v[84:85], v[74:75], v[90:91], v[106:107] op_sel:[0,0,1] op_sel_hi:[1,1,0] neg_lo:[0,0,1] neg_hi:[0,0,1]
	v_pk_fma_f32 v[74:75], v[74:75], v[90:91], v[106:107] op_sel:[0,0,1] op_sel_hi:[1,0,0]
	v_mov_b32_e32 v83, v73
	v_pk_add_f32 v[54:55], v[54:55], v[80:81]
	v_mov_b32_e32 v85, v75
	v_pk_add_f32 v[54:55], v[54:55], v[82:83]
	v_pk_add_f32 v[54:55], v[54:55], v[84:85]
	s_waitcnt vmcnt(0)
	v_pk_add_f32 v[54:55], v[92:93], v[54:55] neg_lo:[0,1] neg_hi:[0,1]
	buffer_store_dword v54, off, s[0:3], 0 offset:120
	buffer_store_dword v55, off, s[0:3], 0 offset:124
	s_and_saveexec_b64 s[4:5], vcc
	s_cbranch_execz .LBB89_141
; %bb.140:
	buffer_load_dword v54, off, s[0:3], 0 offset:112
	buffer_load_dword v55, off, s[0:3], 0 offset:116
	v_mov_b32_e32 v56, 0
	buffer_store_dword v56, off, s[0:3], 0 offset:112
	buffer_store_dword v56, off, s[0:3], 0 offset:116
	s_waitcnt vmcnt(2)
	ds_write_b64 v1, v[54:55]
.LBB89_141:
	s_or_b64 exec, exec, s[4:5]
	s_waitcnt lgkmcnt(0)
	; wave barrier
	s_waitcnt lgkmcnt(0)
	buffer_load_dword v55, off, s[0:3], 0 offset:124
	buffer_load_dword v96, off, s[0:3], 0 offset:132
	;; [unrolled: 1-line block ×24, first 2 shown]
	v_mov_b32_e32 v54, 0
	ds_read2_b64 v[56:59], v54 offset0:41 offset1:42
	ds_read2_b64 v[60:63], v54 offset0:43 offset1:44
	;; [unrolled: 1-line block ×5, first 2 shown]
	ds_read_b64 v[94:95], v54 offset:408
	v_cmp_lt_u32_e32 vcc, 13, v0
	s_waitcnt vmcnt(23) lgkmcnt(5)
	v_mul_f32_e32 v109, v56, v55
	v_mul_f32_e32 v55, v57, v55
	s_waitcnt vmcnt(22)
	v_mul_f32_e32 v97, v58, v96
	s_waitcnt vmcnt(21) lgkmcnt(4)
	v_mul_f32_e32 v99, v60, v98
	v_mul_f32_e32 v96, v59, v96
	;; [unrolled: 1-line block ×3, first 2 shown]
	s_waitcnt vmcnt(20)
	v_mov_b32_e32 v100, v77
	s_waitcnt vmcnt(19)
	v_mov_b32_e32 v102, v79
	;; [unrolled: 2-line block ×5, first 2 shown]
	s_waitcnt vmcnt(12)
	v_fmac_f32_e32 v109, v57, v101
	v_fma_f32 v55, v56, v101, -v55
	v_mov_b32_e32 v110, v87
	s_waitcnt vmcnt(11)
	v_fmac_f32_e32 v97, v59, v103
	s_waitcnt vmcnt(10)
	v_fmac_f32_e32 v99, v61, v105
	v_fma_f32 v96, v58, v103, -v96
	v_fma_f32 v98, v60, v105, -v98
	v_pk_mul_f32 v[56:57], v[62:63], v[100:101] op_sel_hi:[1,0]
	s_waitcnt lgkmcnt(3)
	v_pk_mul_f32 v[58:59], v[64:65], v[102:103] op_sel_hi:[1,0]
	v_pk_mul_f32 v[60:61], v[66:67], v[104:105] op_sel_hi:[1,0]
	s_waitcnt lgkmcnt(2)
	v_pk_mul_f32 v[100:101], v[68:69], v[106:107] op_sel_hi:[1,0]
	v_pk_mul_f32 v[102:103], v[70:71], v[108:109] op_sel_hi:[1,0]
	v_add_f32_e32 v109, 0, v109
	v_add_f32_e32 v108, 0, v55
	s_waitcnt lgkmcnt(1)
	v_pk_mul_f32 v[104:105], v[72:73], v[110:111] op_sel_hi:[1,0]
	s_waitcnt vmcnt(9)
	v_pk_fma_f32 v[110:111], v[62:63], v[76:77], v[56:57] op_sel:[0,0,1] op_sel_hi:[1,1,0] neg_lo:[0,0,1] neg_hi:[0,0,1]
	v_pk_fma_f32 v[56:57], v[62:63], v[76:77], v[56:57] op_sel:[0,0,1] op_sel_hi:[1,0,0]
	s_waitcnt vmcnt(8)
	v_pk_fma_f32 v[62:63], v[64:65], v[78:79], v[58:59] op_sel:[0,0,1] op_sel_hi:[1,1,0] neg_lo:[0,0,1] neg_hi:[0,0,1]
	v_pk_fma_f32 v[58:59], v[64:65], v[78:79], v[58:59] op_sel:[0,0,1] op_sel_hi:[1,0,0]
	;; [unrolled: 3-line block ×4, first 2 shown]
	v_pk_add_f32 v[82:83], v[108:109], v[96:97]
	v_mov_b32_e32 v111, v57
	v_pk_add_f32 v[56:57], v[82:83], v[98:99]
	v_mov_b32_e32 v63, v59
	;; [unrolled: 2-line block ×4, first 2 shown]
	s_waitcnt vmcnt(2)
	v_pk_fma_f32 v[76:77], v[70:71], v[84:85], v[102:103] op_sel:[0,0,1] op_sel_hi:[1,1,0] neg_lo:[0,0,1] neg_hi:[0,0,1]
	v_pk_fma_f32 v[70:71], v[70:71], v[84:85], v[102:103] op_sel:[0,0,1] op_sel_hi:[1,0,0]
	v_mov_b32_e32 v67, v69
	v_pk_add_f32 v[56:57], v[56:57], v[64:65]
	v_mov_b32_e32 v114, v91
	v_pk_mul_f32 v[106:107], v[74:75], v[112:113] op_sel_hi:[1,0]
	v_pk_fma_f32 v[78:79], v[72:73], v[86:87], v[104:105] op_sel:[0,0,1] op_sel_hi:[1,1,0] neg_lo:[0,0,1] neg_hi:[0,0,1]
	v_pk_fma_f32 v[72:73], v[72:73], v[86:87], v[104:105] op_sel:[0,0,1] op_sel_hi:[1,0,0]
	v_mov_b32_e32 v77, v71
	v_pk_add_f32 v[56:57], v[56:57], v[66:67]
	v_pk_fma_f32 v[80:81], v[74:75], v[88:89], v[106:107] op_sel:[0,0,1] op_sel_hi:[1,1,0] neg_lo:[0,0,1] neg_hi:[0,0,1]
	v_pk_fma_f32 v[74:75], v[74:75], v[88:89], v[106:107] op_sel:[0,0,1] op_sel_hi:[1,0,0]
	v_mov_b32_e32 v79, v73
	v_pk_add_f32 v[56:57], v[56:57], v[76:77]
	s_waitcnt lgkmcnt(0)
	v_pk_mul_f32 v[58:59], v[94:95], v[114:115] op_sel_hi:[1,0]
	v_mov_b32_e32 v81, v75
	v_pk_add_f32 v[56:57], v[56:57], v[78:79]
	v_pk_fma_f32 v[60:61], v[94:95], v[90:91], v[58:59] op_sel:[0,0,1] op_sel_hi:[1,1,0] neg_lo:[0,0,1] neg_hi:[0,0,1]
	v_pk_fma_f32 v[58:59], v[94:95], v[90:91], v[58:59] op_sel:[0,0,1] op_sel_hi:[1,0,0]
	v_pk_add_f32 v[56:57], v[56:57], v[80:81]
	v_mov_b32_e32 v61, v59
	v_pk_add_f32 v[56:57], v[56:57], v[60:61]
	s_waitcnt vmcnt(0)
	v_pk_add_f32 v[56:57], v[92:93], v[56:57] neg_lo:[0,1] neg_hi:[0,1]
	buffer_store_dword v57, off, s[0:3], 0 offset:116
	buffer_store_dword v56, off, s[0:3], 0 offset:112
	s_and_saveexec_b64 s[4:5], vcc
	s_cbranch_execz .LBB89_143
; %bb.142:
	buffer_load_dword v56, off, s[0:3], 0 offset:104
	buffer_load_dword v57, off, s[0:3], 0 offset:108
	s_waitcnt vmcnt(0)
	ds_write_b64 v1, v[56:57]
	buffer_store_dword v54, off, s[0:3], 0 offset:104
	buffer_store_dword v54, off, s[0:3], 0 offset:108
.LBB89_143:
	s_or_b64 exec, exec, s[4:5]
	s_waitcnt lgkmcnt(0)
	; wave barrier
	s_waitcnt lgkmcnt(0)
	buffer_load_dword v98, off, s[0:3], 0 offset:116
	buffer_load_dword v100, off, s[0:3], 0 offset:124
	;; [unrolled: 1-line block ×26, first 2 shown]
	ds_read_b128 v[56:59], v54 offset:320
	ds_read_b128 v[60:63], v54 offset:336
	;; [unrolled: 1-line block ×6, first 2 shown]
	v_cmp_lt_u32_e32 vcc, 12, v0
	s_waitcnt vmcnt(25) lgkmcnt(5)
	v_mul_f32_e32 v111, v56, v98
	v_mul_f32_e32 v54, v57, v98
	s_waitcnt vmcnt(24)
	v_mul_f32_e32 v112, v58, v100
	s_waitcnt vmcnt(23) lgkmcnt(4)
	v_mul_f32_e32 v55, v60, v101
	s_waitcnt vmcnt(22)
	v_mul_f32_e32 v99, v62, v102
	v_mul_f32_e32 v98, v59, v100
	;; [unrolled: 1-line block ×4, first 2 shown]
	s_waitcnt vmcnt(21)
	v_mov_b32_e32 v100, v81
	s_waitcnt vmcnt(20)
	v_mov_b32_e32 v102, v83
	;; [unrolled: 2-line block ×3, first 2 shown]
	s_waitcnt vmcnt(15)
	v_fmac_f32_e32 v111, v57, v103
	v_fma_f32 v114, v56, v103, -v54
	v_mov_b32_e32 v104, v85
	s_waitcnt vmcnt(14)
	v_fmac_f32_e32 v112, v59, v105
	s_waitcnt vmcnt(13)
	v_fmac_f32_e32 v55, v61, v107
	;; [unrolled: 2-line block ×3, first 2 shown]
	v_fma_f32 v115, v58, v105, -v98
	v_fma_f32 v54, v60, v107, -v101
	;; [unrolled: 1-line block ×3, first 2 shown]
	s_waitcnt lgkmcnt(3)
	v_pk_mul_f32 v[56:57], v[64:65], v[100:101] op_sel_hi:[1,0]
	v_pk_mul_f32 v[58:59], v[66:67], v[102:103] op_sel_hi:[1,0]
	s_waitcnt lgkmcnt(2)
	v_pk_mul_f32 v[62:63], v[70:71], v[106:107] op_sel_hi:[1,0]
	v_add_f32_e32 v106, 0, v111
	v_add_f32_e32 v107, 0, v114
	v_pk_mul_f32 v[60:61], v[68:69], v[104:105] op_sel_hi:[1,0]
	s_waitcnt vmcnt(11)
	v_pk_fma_f32 v[104:105], v[64:65], v[80:81], v[56:57] op_sel:[0,0,1] op_sel_hi:[1,1,0] neg_lo:[0,0,1] neg_hi:[0,0,1]
	v_pk_fma_f32 v[56:57], v[64:65], v[80:81], v[56:57] op_sel:[0,0,1] op_sel_hi:[1,0,0]
	s_waitcnt vmcnt(10)
	v_pk_fma_f32 v[64:65], v[66:67], v[82:83], v[58:59] op_sel:[0,0,1] op_sel_hi:[1,1,0] neg_lo:[0,0,1] neg_hi:[0,0,1]
	v_pk_fma_f32 v[58:59], v[66:67], v[82:83], v[58:59] op_sel:[0,0,1] op_sel_hi:[1,0,0]
	v_add_f32_e32 v83, v106, v112
	v_add_f32_e32 v82, v107, v115
	v_pk_add_f32 v[54:55], v[82:83], v[54:55]
	v_mov_b32_e32 v105, v57
	v_pk_add_f32 v[54:55], v[54:55], v[98:99]
	v_mov_b32_e32 v108, v89
	s_waitcnt vmcnt(9)
	v_pk_fma_f32 v[66:67], v[68:69], v[84:85], v[60:61] op_sel:[0,0,1] op_sel_hi:[1,1,0] neg_lo:[0,0,1] neg_hi:[0,0,1]
	v_pk_fma_f32 v[60:61], v[68:69], v[84:85], v[60:61] op_sel:[0,0,1] op_sel_hi:[1,0,0]
	v_mov_b32_e32 v65, v59
	v_pk_add_f32 v[54:55], v[54:55], v[104:105]
	v_mov_b32_e32 v110, v91
	s_waitcnt lgkmcnt(1)
	v_pk_mul_f32 v[100:101], v[72:73], v[108:109] op_sel_hi:[1,0]
	s_waitcnt vmcnt(5)
	v_pk_fma_f32 v[68:69], v[70:71], v[86:87], v[62:63] op_sel:[0,0,1] op_sel_hi:[1,1,0] neg_lo:[0,0,1] neg_hi:[0,0,1]
	v_pk_fma_f32 v[62:63], v[70:71], v[86:87], v[62:63] op_sel:[0,0,1] op_sel_hi:[1,0,0]
	v_mov_b32_e32 v67, v61
	v_pk_add_f32 v[54:55], v[54:55], v[64:65]
	s_waitcnt vmcnt(4)
	v_mov_b32_e32 v56, v93
	v_pk_mul_f32 v[102:103], v[74:75], v[110:111] op_sel_hi:[1,0]
	v_pk_fma_f32 v[70:71], v[72:73], v[88:89], v[100:101] op_sel:[0,0,1] op_sel_hi:[1,1,0] neg_lo:[0,0,1] neg_hi:[0,0,1]
	v_pk_fma_f32 v[72:73], v[72:73], v[88:89], v[100:101] op_sel:[0,0,1] op_sel_hi:[1,0,0]
	v_mov_b32_e32 v69, v63
	v_pk_add_f32 v[54:55], v[54:55], v[66:67]
	s_waitcnt lgkmcnt(0)
	v_pk_mul_f32 v[56:57], v[76:77], v[56:57] op_sel_hi:[1,0]
	v_pk_fma_f32 v[80:81], v[74:75], v[90:91], v[102:103] op_sel:[0,0,1] op_sel_hi:[1,1,0] neg_lo:[0,0,1] neg_hi:[0,0,1]
	v_pk_fma_f32 v[74:75], v[74:75], v[90:91], v[102:103] op_sel:[0,0,1] op_sel_hi:[1,0,0]
	v_mov_b32_e32 v71, v73
	v_pk_add_f32 v[54:55], v[54:55], v[68:69]
	v_pk_fma_f32 v[58:59], v[76:77], v[92:93], v[56:57] op_sel:[0,0,1] op_sel_hi:[1,1,0] neg_lo:[0,0,1] neg_hi:[0,0,1]
	v_pk_fma_f32 v[56:57], v[76:77], v[92:93], v[56:57] op_sel:[0,0,1] op_sel_hi:[1,0,0]
	v_mov_b32_e32 v81, v75
	v_pk_add_f32 v[54:55], v[54:55], v[70:71]
	s_waitcnt vmcnt(3)
	v_mov_b32_e32 v56, v95
	v_pk_add_f32 v[54:55], v[54:55], v[80:81]
	v_mov_b32_e32 v59, v57
	v_pk_mul_f32 v[56:57], v[78:79], v[56:57] op_sel_hi:[1,0]
	v_pk_add_f32 v[54:55], v[54:55], v[58:59]
	s_waitcnt vmcnt(2)
	v_pk_fma_f32 v[58:59], v[78:79], v[94:95], v[56:57] op_sel:[0,0,1] op_sel_hi:[1,1,0] neg_lo:[0,0,1] neg_hi:[0,0,1]
	v_pk_fma_f32 v[56:57], v[78:79], v[94:95], v[56:57] op_sel:[0,0,1] op_sel_hi:[1,0,0]
	v_mov_b32_e32 v59, v57
	v_pk_add_f32 v[54:55], v[54:55], v[58:59]
	s_waitcnt vmcnt(0)
	v_pk_add_f32 v[54:55], v[96:97], v[54:55] neg_lo:[0,1] neg_hi:[0,1]
	buffer_store_dword v55, off, s[0:3], 0 offset:108
	buffer_store_dword v54, off, s[0:3], 0 offset:104
	s_and_saveexec_b64 s[4:5], vcc
	s_cbranch_execz .LBB89_145
; %bb.144:
	buffer_load_dword v54, off, s[0:3], 0 offset:96
	buffer_load_dword v55, off, s[0:3], 0 offset:100
	v_mov_b32_e32 v56, 0
	buffer_store_dword v56, off, s[0:3], 0 offset:96
	buffer_store_dword v56, off, s[0:3], 0 offset:100
	s_waitcnt vmcnt(2)
	ds_write_b64 v1, v[54:55]
.LBB89_145:
	s_or_b64 exec, exec, s[4:5]
	s_waitcnt lgkmcnt(0)
	; wave barrier
	s_waitcnt lgkmcnt(0)
	buffer_load_dword v55, off, s[0:3], 0 offset:108
	buffer_load_dword v100, off, s[0:3], 0 offset:116
	;; [unrolled: 1-line block ×28, first 2 shown]
	v_mov_b32_e32 v54, 0
	ds_read2_b64 v[56:59], v54 offset0:39 offset1:40
	ds_read2_b64 v[60:63], v54 offset0:41 offset1:42
	;; [unrolled: 1-line block ×6, first 2 shown]
	ds_read_b64 v[98:99], v54 offset:408
	v_cmp_lt_u32_e32 vcc, 11, v0
	s_waitcnt vmcnt(27) lgkmcnt(6)
	v_mul_f32_e32 v115, v56, v55
	v_mul_f32_e32 v55, v57, v55
	s_waitcnt vmcnt(26)
	v_mul_f32_e32 v116, v58, v100
	s_waitcnt vmcnt(24) lgkmcnt(5)
	v_mul_f32_e32 v101, v62, v104
	s_waitcnt vmcnt(23) lgkmcnt(4)
	v_mul_f32_e32 v103, v64, v105
	v_mul_f32_e32 v118, v63, v104
	;; [unrolled: 1-line block ×3, first 2 shown]
	s_waitcnt vmcnt(22)
	v_mov_b32_e32 v104, v81
	v_mul_f32_e32 v117, v60, v102
	v_mul_f32_e32 v100, v59, v100
	;; [unrolled: 1-line block ×3, first 2 shown]
	s_waitcnt vmcnt(17)
	v_fmac_f32_e32 v115, v57, v107
	v_fma_f32 v55, v56, v107, -v55
	v_pk_mul_f32 v[56:57], v[66:67], v[104:105] op_sel_hi:[1,0]
	s_waitcnt vmcnt(16)
	v_fmac_f32_e32 v116, v59, v109
	s_waitcnt vmcnt(13)
	v_fmac_f32_e32 v103, v65, v114
	v_fma_f32 v107, v58, v109, -v100
	v_fma_f32 v109, v60, v111, -v102
	;; [unrolled: 1-line block ×3, first 2 shown]
	v_add_f32_e32 v104, 0, v115
	v_add_f32_e32 v55, 0, v55
	s_waitcnt vmcnt(12)
	v_pk_fma_f32 v[64:65], v[66:67], v[80:81], v[56:57] op_sel:[0,0,1] op_sel_hi:[1,1,0] neg_lo:[0,0,1] neg_hi:[0,0,1]
	v_pk_fma_f32 v[56:57], v[66:67], v[80:81], v[56:57] op_sel:[0,0,1] op_sel_hi:[1,0,0]
	v_fmac_f32_e32 v117, v61, v111
	v_add_f32_e32 v56, v104, v116
	v_add_f32_e32 v55, v55, v107
	v_mov_b32_e32 v106, v83
	v_fmac_f32_e32 v101, v63, v113
	v_fma_f32 v100, v62, v113, -v118
	v_mov_b32_e32 v65, v57
	v_add_f32_e32 v57, v56, v117
	v_add_f32_e32 v56, v55, v109
	v_mov_b32_e32 v108, v85
	s_waitcnt lgkmcnt(3)
	v_pk_mul_f32 v[58:59], v[68:69], v[106:107] op_sel_hi:[1,0]
	v_pk_add_f32 v[56:57], v[56:57], v[100:101]
	v_mov_b32_e32 v110, v87
	v_mov_b32_e32 v112, v89
	v_pk_mul_f32 v[60:61], v[70:71], v[108:109] op_sel_hi:[1,0]
	s_waitcnt vmcnt(11)
	v_pk_fma_f32 v[66:67], v[68:69], v[82:83], v[58:59] op_sel:[0,0,1] op_sel_hi:[1,1,0] neg_lo:[0,0,1] neg_hi:[0,0,1]
	v_pk_fma_f32 v[58:59], v[68:69], v[82:83], v[58:59] op_sel:[0,0,1] op_sel_hi:[1,0,0]
	v_pk_add_f32 v[56:57], v[56:57], v[102:103]
	s_waitcnt lgkmcnt(2)
	v_pk_mul_f32 v[62:63], v[72:73], v[110:111] op_sel_hi:[1,0]
	s_waitcnt vmcnt(7)
	v_pk_fma_f32 v[68:69], v[70:71], v[84:85], v[60:61] op_sel:[0,0,1] op_sel_hi:[1,1,0] neg_lo:[0,0,1] neg_hi:[0,0,1]
	v_pk_fma_f32 v[60:61], v[70:71], v[84:85], v[60:61] op_sel:[0,0,1] op_sel_hi:[1,0,0]
	v_mov_b32_e32 v67, v59
	v_pk_add_f32 v[56:57], v[56:57], v[64:65]
	v_pk_mul_f32 v[58:59], v[74:75], v[112:113] op_sel_hi:[1,0]
	v_pk_fma_f32 v[70:71], v[72:73], v[86:87], v[62:63] op_sel:[0,0,1] op_sel_hi:[1,1,0] neg_lo:[0,0,1] neg_hi:[0,0,1]
	v_pk_fma_f32 v[62:63], v[72:73], v[86:87], v[62:63] op_sel:[0,0,1] op_sel_hi:[1,0,0]
	v_mov_b32_e32 v69, v61
	v_pk_add_f32 v[56:57], v[56:57], v[66:67]
	v_pk_fma_f32 v[60:61], v[74:75], v[88:89], v[58:59] op_sel:[0,0,1] op_sel_hi:[1,1,0] neg_lo:[0,0,1] neg_hi:[0,0,1]
	v_pk_fma_f32 v[58:59], v[74:75], v[88:89], v[58:59] op_sel:[0,0,1] op_sel_hi:[1,0,0]
	v_mov_b32_e32 v71, v63
	v_pk_add_f32 v[56:57], v[56:57], v[68:69]
	s_waitcnt vmcnt(6)
	v_mov_b32_e32 v58, v91
	v_pk_add_f32 v[56:57], v[56:57], v[70:71]
	v_mov_b32_e32 v61, v59
	s_waitcnt lgkmcnt(1)
	v_pk_mul_f32 v[58:59], v[76:77], v[58:59] op_sel_hi:[1,0]
	v_pk_add_f32 v[56:57], v[56:57], v[60:61]
	v_pk_fma_f32 v[60:61], v[76:77], v[90:91], v[58:59] op_sel:[0,0,1] op_sel_hi:[1,1,0] neg_lo:[0,0,1] neg_hi:[0,0,1]
	v_pk_fma_f32 v[58:59], v[76:77], v[90:91], v[58:59] op_sel:[0,0,1] op_sel_hi:[1,0,0]
	s_waitcnt vmcnt(5)
	v_mov_b32_e32 v58, v93
	v_mov_b32_e32 v61, v59
	v_pk_mul_f32 v[58:59], v[78:79], v[58:59] op_sel_hi:[1,0]
	v_pk_add_f32 v[56:57], v[56:57], v[60:61]
	s_waitcnt vmcnt(3)
	v_pk_fma_f32 v[60:61], v[78:79], v[92:93], v[58:59] op_sel:[0,0,1] op_sel_hi:[1,1,0] neg_lo:[0,0,1] neg_hi:[0,0,1]
	v_pk_fma_f32 v[58:59], v[78:79], v[92:93], v[58:59] op_sel:[0,0,1] op_sel_hi:[1,0,0]
	s_waitcnt vmcnt(2)
	v_mov_b32_e32 v58, v95
	v_mov_b32_e32 v61, v59
	s_waitcnt lgkmcnt(0)
	v_pk_mul_f32 v[58:59], v[98:99], v[58:59] op_sel_hi:[1,0]
	v_pk_add_f32 v[56:57], v[56:57], v[60:61]
	v_pk_fma_f32 v[60:61], v[98:99], v[94:95], v[58:59] op_sel:[0,0,1] op_sel_hi:[1,1,0] neg_lo:[0,0,1] neg_hi:[0,0,1]
	v_pk_fma_f32 v[58:59], v[98:99], v[94:95], v[58:59] op_sel:[0,0,1] op_sel_hi:[1,0,0]
	v_mov_b32_e32 v61, v59
	v_pk_add_f32 v[56:57], v[56:57], v[60:61]
	s_waitcnt vmcnt(0)
	v_pk_add_f32 v[56:57], v[96:97], v[56:57] neg_lo:[0,1] neg_hi:[0,1]
	buffer_store_dword v57, off, s[0:3], 0 offset:100
	buffer_store_dword v56, off, s[0:3], 0 offset:96
	s_and_saveexec_b64 s[4:5], vcc
	s_cbranch_execz .LBB89_147
; %bb.146:
	buffer_load_dword v56, off, s[0:3], 0 offset:88
	buffer_load_dword v57, off, s[0:3], 0 offset:92
	s_waitcnt vmcnt(0)
	ds_write_b64 v1, v[56:57]
	buffer_store_dword v54, off, s[0:3], 0 offset:88
	buffer_store_dword v54, off, s[0:3], 0 offset:92
.LBB89_147:
	s_or_b64 exec, exec, s[4:5]
	s_waitcnt lgkmcnt(0)
	; wave barrier
	s_waitcnt lgkmcnt(0)
	buffer_load_dword v102, off, s[0:3], 0 offset:100
	buffer_load_dword v104, off, s[0:3], 0 offset:108
	;; [unrolled: 1-line block ×30, first 2 shown]
	ds_read_b128 v[56:59], v54 offset:304
	ds_read_b128 v[60:63], v54 offset:320
	ds_read_b128 v[64:67], v54 offset:336
	ds_read_b128 v[68:71], v54 offset:352
	ds_read_b128 v[72:75], v54 offset:368
	ds_read_b128 v[76:79], v54 offset:384
	ds_read_b128 v[80:83], v54 offset:400
	v_cmp_lt_u32_e32 vcc, 10, v0
	s_waitcnt vmcnt(29) lgkmcnt(6)
	v_mul_f32_e32 v115, v56, v102
	s_waitcnt vmcnt(28)
	v_mul_f32_e32 v116, v58, v104
	s_waitcnt vmcnt(27) lgkmcnt(5)
	v_mul_f32_e32 v117, v60, v105
	v_mul_f32_e32 v105, v61, v105
	s_waitcnt vmcnt(26)
	v_mul_f32_e32 v118, v62, v106
	s_waitcnt vmcnt(25) lgkmcnt(4)
	v_mul_f32_e32 v55, v64, v107
	v_mul_f32_e32 v54, v57, v102
	;; [unrolled: 1-line block ×5, first 2 shown]
	s_waitcnt vmcnt(23)
	v_mov_b32_e32 v104, v85
	s_waitcnt vmcnt(22)
	v_mov_b32_e32 v106, v87
	s_waitcnt vmcnt(18)
	v_fma_f32 v105, v60, v111, -v105
	v_fmac_f32_e32 v115, v57, v109
	v_fmac_f32_e32 v116, v59, v110
	s_waitcnt vmcnt(17)
	v_fmac_f32_e32 v118, v63, v112
	v_fma_f32 v63, v56, v109, -v54
	v_fma_f32 v109, v58, v110, -v102
	s_waitcnt lgkmcnt(3)
	v_pk_mul_f32 v[56:57], v[68:69], v[104:105] op_sel_hi:[1,0]
	v_pk_mul_f32 v[58:59], v[70:71], v[106:107] op_sel_hi:[1,0]
	s_waitcnt vmcnt(16)
	v_fmac_f32_e32 v55, v65, v113
	v_fma_f32 v110, v62, v112, -v119
	v_fma_f32 v54, v64, v113, -v107
	v_add_f32_e32 v104, 0, v115
	v_add_f32_e32 v106, 0, v63
	s_waitcnt vmcnt(14)
	v_pk_fma_f32 v[62:63], v[68:69], v[84:85], v[56:57] op_sel:[0,0,1] op_sel_hi:[1,1,0] neg_lo:[0,0,1] neg_hi:[0,0,1]
	v_pk_fma_f32 v[56:57], v[68:69], v[84:85], v[56:57] op_sel:[0,0,1] op_sel_hi:[1,0,0]
	s_waitcnt vmcnt(10)
	v_pk_fma_f32 v[64:65], v[70:71], v[86:87], v[58:59] op_sel:[0,0,1] op_sel_hi:[1,1,0] neg_lo:[0,0,1] neg_hi:[0,0,1]
	v_pk_fma_f32 v[58:59], v[70:71], v[86:87], v[58:59] op_sel:[0,0,1] op_sel_hi:[1,0,0]
	v_fmac_f32_e32 v117, v61, v111
	v_add_f32_e32 v56, v104, v116
	v_add_f32_e32 v58, v106, v109
	;; [unrolled: 1-line block ×4, first 2 shown]
	v_mul_f32_e32 v103, v66, v108
	v_mul_f32_e32 v120, v67, v108
	v_mov_b32_e32 v63, v57
	v_add_f32_e32 v57, v56, v118
	v_add_f32_e32 v56, v58, v110
	v_mov_b32_e32 v108, v89
	v_fmac_f32_e32 v103, v67, v114
	v_fma_f32 v102, v66, v114, -v120
	v_pk_add_f32 v[54:55], v[56:57], v[54:55]
	s_waitcnt vmcnt(9)
	v_mov_b32_e32 v56, v93
	s_waitcnt lgkmcnt(2)
	v_pk_mul_f32 v[60:61], v[72:73], v[108:109] op_sel_hi:[1,0]
	v_pk_add_f32 v[54:55], v[54:55], v[102:103]
	v_pk_mul_f32 v[56:57], v[74:75], v[56:57] op_sel_hi:[1,0]
	v_pk_fma_f32 v[66:67], v[72:73], v[88:89], v[60:61] op_sel:[0,0,1] op_sel_hi:[1,1,0] neg_lo:[0,0,1] neg_hi:[0,0,1]
	v_pk_fma_f32 v[60:61], v[72:73], v[88:89], v[60:61] op_sel:[0,0,1] op_sel_hi:[1,0,0]
	v_mov_b32_e32 v65, v59
	v_pk_add_f32 v[54:55], v[54:55], v[62:63]
	v_pk_fma_f32 v[58:59], v[74:75], v[92:93], v[56:57] op_sel:[0,0,1] op_sel_hi:[1,1,0] neg_lo:[0,0,1] neg_hi:[0,0,1]
	v_pk_fma_f32 v[56:57], v[74:75], v[92:93], v[56:57] op_sel:[0,0,1] op_sel_hi:[1,0,0]
	v_mov_b32_e32 v67, v61
	v_pk_add_f32 v[54:55], v[54:55], v[64:65]
	s_waitcnt vmcnt(8)
	v_mov_b32_e32 v56, v91
	v_pk_add_f32 v[54:55], v[54:55], v[66:67]
	v_mov_b32_e32 v59, v57
	s_waitcnt lgkmcnt(1)
	v_pk_mul_f32 v[56:57], v[76:77], v[56:57] op_sel_hi:[1,0]
	v_pk_add_f32 v[54:55], v[54:55], v[58:59]
	v_pk_fma_f32 v[58:59], v[76:77], v[90:91], v[56:57] op_sel:[0,0,1] op_sel_hi:[1,1,0] neg_lo:[0,0,1] neg_hi:[0,0,1]
	v_pk_fma_f32 v[56:57], v[76:77], v[90:91], v[56:57] op_sel:[0,0,1] op_sel_hi:[1,0,0]
	s_waitcnt vmcnt(7)
	v_mov_b32_e32 v56, v95
	v_mov_b32_e32 v59, v57
	v_pk_mul_f32 v[56:57], v[78:79], v[56:57] op_sel_hi:[1,0]
	v_pk_add_f32 v[54:55], v[54:55], v[58:59]
	s_waitcnt vmcnt(4)
	v_pk_fma_f32 v[58:59], v[78:79], v[94:95], v[56:57] op_sel:[0,0,1] op_sel_hi:[1,1,0] neg_lo:[0,0,1] neg_hi:[0,0,1]
	v_pk_fma_f32 v[56:57], v[78:79], v[94:95], v[56:57] op_sel:[0,0,1] op_sel_hi:[1,0,0]
	s_waitcnt vmcnt(3)
	v_mov_b32_e32 v56, v99
	v_mov_b32_e32 v59, v57
	s_waitcnt lgkmcnt(0)
	v_pk_mul_f32 v[56:57], v[80:81], v[56:57] op_sel_hi:[1,0]
	v_pk_add_f32 v[54:55], v[54:55], v[58:59]
	v_pk_fma_f32 v[58:59], v[80:81], v[98:99], v[56:57] op_sel:[0,0,1] op_sel_hi:[1,1,0] neg_lo:[0,0,1] neg_hi:[0,0,1]
	v_pk_fma_f32 v[56:57], v[80:81], v[98:99], v[56:57] op_sel:[0,0,1] op_sel_hi:[1,0,0]
	s_waitcnt vmcnt(0)
	v_mov_b32_e32 v56, v97
	v_mov_b32_e32 v59, v57
	v_pk_mul_f32 v[56:57], v[82:83], v[56:57] op_sel_hi:[1,0]
	v_pk_add_f32 v[54:55], v[54:55], v[58:59]
	v_pk_fma_f32 v[58:59], v[82:83], v[96:97], v[56:57] op_sel:[0,0,1] op_sel_hi:[1,1,0] neg_lo:[0,0,1] neg_hi:[0,0,1]
	v_pk_fma_f32 v[56:57], v[82:83], v[96:97], v[56:57] op_sel:[0,0,1] op_sel_hi:[1,0,0]
	v_mov_b32_e32 v59, v57
	v_pk_add_f32 v[54:55], v[54:55], v[58:59]
	v_pk_add_f32 v[54:55], v[100:101], v[54:55] neg_lo:[0,1] neg_hi:[0,1]
	buffer_store_dword v55, off, s[0:3], 0 offset:92
	buffer_store_dword v54, off, s[0:3], 0 offset:88
	s_and_saveexec_b64 s[4:5], vcc
	s_cbranch_execz .LBB89_149
; %bb.148:
	buffer_load_dword v54, off, s[0:3], 0 offset:80
	buffer_load_dword v55, off, s[0:3], 0 offset:84
	v_mov_b32_e32 v56, 0
	buffer_store_dword v56, off, s[0:3], 0 offset:80
	buffer_store_dword v56, off, s[0:3], 0 offset:84
	s_waitcnt vmcnt(2)
	ds_write_b64 v1, v[54:55]
.LBB89_149:
	s_or_b64 exec, exec, s[4:5]
	s_waitcnt lgkmcnt(0)
	; wave barrier
	s_waitcnt lgkmcnt(0)
	buffer_load_dword v57, off, s[0:3], 0 offset:92
	buffer_load_dword v104, off, s[0:3], 0 offset:100
	;; [unrolled: 1-line block ×32, first 2 shown]
	v_mov_b32_e32 v56, 0
	ds_read2_b64 v[58:61], v56 offset0:37 offset1:38
	ds_read2_b64 v[62:65], v56 offset0:39 offset1:40
	;; [unrolled: 1-line block ×7, first 2 shown]
	ds_read_b64 v[102:103], v56 offset:408
	v_cmp_lt_u32_e32 vcc, 9, v0
	s_waitcnt vmcnt(31) lgkmcnt(7)
	v_mul_f32_e32 v119, v58, v57
	v_mul_f32_e32 v57, v59, v57
	s_waitcnt vmcnt(30)
	v_mul_f32_e32 v120, v60, v104
	s_waitcnt vmcnt(28) lgkmcnt(6)
	v_mul_f32_e32 v122, v64, v108
	s_waitcnt vmcnt(27) lgkmcnt(5)
	v_mul_f32_e32 v123, v66, v109
	v_mul_f32_e32 v124, v65, v108
	;; [unrolled: 1-line block ×3, first 2 shown]
	s_waitcnt vmcnt(24)
	v_mov_b32_e32 v108, v55
	v_mul_f32_e32 v121, v62, v106
	v_mul_f32_e32 v104, v61, v104
	s_waitcnt vmcnt(22)
	v_fmac_f32_e32 v119, v59, v112
	v_fma_f32 v57, v58, v112, -v57
	s_waitcnt lgkmcnt(4)
	v_pk_mul_f32 v[58:59], v[72:73], v[108:109] op_sel_hi:[1,0]
	v_mul_f32_e32 v106, v63, v106
	s_waitcnt vmcnt(21)
	v_fmac_f32_e32 v120, v61, v113
	s_waitcnt vmcnt(20)
	v_fmac_f32_e32 v121, v63, v114
	;; [unrolled: 2-line block ×3, first 2 shown]
	v_fma_f32 v63, v60, v113, -v104
	s_waitcnt vmcnt(18)
	v_fma_f32 v65, v66, v116, -v109
	v_add_f32_e32 v66, 0, v119
	v_add_f32_e32 v57, 0, v57
	s_waitcnt vmcnt(12)
	v_pk_fma_f32 v[60:61], v[72:73], v[54:55], v[58:59] op_sel:[0,0,1] op_sel_hi:[1,1,0] neg_lo:[0,0,1] neg_hi:[0,0,1]
	v_pk_fma_f32 v[54:55], v[72:73], v[54:55], v[58:59] op_sel:[0,0,1] op_sel_hi:[1,0,0]
	v_fma_f32 v62, v62, v114, -v106
	v_add_f32_e32 v54, v66, v120
	v_add_f32_e32 v57, v57, v63
	v_fma_f32 v64, v64, v115, -v124
	v_mov_b32_e32 v61, v55
	v_add_f32_e32 v54, v54, v121
	v_add_f32_e32 v55, v57, v62
	v_mul_f32_e32 v105, v68, v110
	v_mul_f32_e32 v125, v69, v110
	v_fmac_f32_e32 v123, v67, v116
	v_add_f32_e32 v54, v54, v122
	v_add_f32_e32 v57, v55, v64
	v_mul_f32_e32 v107, v70, v111
	v_mul_f32_e32 v111, v71, v111
	v_fmac_f32_e32 v105, v69, v117
	v_fma_f32 v104, v68, v117, -v125
	v_add_f32_e32 v55, v54, v123
	v_add_f32_e32 v54, v57, v65
	v_mov_b32_e32 v110, v87
	v_fmac_f32_e32 v107, v71, v118
	v_fma_f32 v106, v70, v118, -v111
	v_pk_add_f32 v[54:55], v[54:55], v[104:105]
	v_pk_add_f32 v[54:55], v[54:55], v[106:107]
	s_waitcnt lgkmcnt(3)
	v_pk_mul_f32 v[58:59], v[74:75], v[110:111] op_sel_hi:[1,0]
	v_pk_add_f32 v[54:55], v[54:55], v[60:61]
	v_pk_fma_f32 v[60:61], v[74:75], v[86:87], v[58:59] op_sel:[0,0,1] op_sel_hi:[1,1,0] neg_lo:[0,0,1] neg_hi:[0,0,1]
	v_pk_fma_f32 v[58:59], v[74:75], v[86:87], v[58:59] op_sel:[0,0,1] op_sel_hi:[1,0,0]
	s_waitcnt vmcnt(11)
	v_mov_b32_e32 v58, v91
	v_mov_b32_e32 v61, v59
	v_pk_mul_f32 v[58:59], v[76:77], v[58:59] op_sel_hi:[1,0]
	v_pk_add_f32 v[54:55], v[54:55], v[60:61]
	v_pk_fma_f32 v[60:61], v[76:77], v[90:91], v[58:59] op_sel:[0,0,1] op_sel_hi:[1,1,0] neg_lo:[0,0,1] neg_hi:[0,0,1]
	v_pk_fma_f32 v[58:59], v[76:77], v[90:91], v[58:59] op_sel:[0,0,1] op_sel_hi:[1,0,0]
	s_waitcnt vmcnt(10)
	v_mov_b32_e32 v58, v89
	v_mov_b32_e32 v61, v59
	s_waitcnt lgkmcnt(2)
	v_pk_mul_f32 v[58:59], v[78:79], v[58:59] op_sel_hi:[1,0]
	v_pk_add_f32 v[54:55], v[54:55], v[60:61]
	v_pk_fma_f32 v[60:61], v[78:79], v[88:89], v[58:59] op_sel:[0,0,1] op_sel_hi:[1,1,0] neg_lo:[0,0,1] neg_hi:[0,0,1]
	v_pk_fma_f32 v[58:59], v[78:79], v[88:89], v[58:59] op_sel:[0,0,1] op_sel_hi:[1,0,0]
	s_waitcnt vmcnt(9)
	v_mov_b32_e32 v58, v93
	v_mov_b32_e32 v61, v59
	v_pk_mul_f32 v[58:59], v[80:81], v[58:59] op_sel_hi:[1,0]
	v_pk_add_f32 v[54:55], v[54:55], v[60:61]
	s_waitcnt vmcnt(4)
	v_pk_fma_f32 v[60:61], v[80:81], v[92:93], v[58:59] op_sel:[0,0,1] op_sel_hi:[1,1,0] neg_lo:[0,0,1] neg_hi:[0,0,1]
	v_pk_fma_f32 v[58:59], v[80:81], v[92:93], v[58:59] op_sel:[0,0,1] op_sel_hi:[1,0,0]
	v_mov_b32_e32 v58, v99
	v_mov_b32_e32 v61, v59
	s_waitcnt lgkmcnt(1)
	v_pk_mul_f32 v[58:59], v[82:83], v[58:59] op_sel_hi:[1,0]
	v_pk_add_f32 v[54:55], v[54:55], v[60:61]
	v_pk_fma_f32 v[60:61], v[82:83], v[98:99], v[58:59] op_sel:[0,0,1] op_sel_hi:[1,1,0] neg_lo:[0,0,1] neg_hi:[0,0,1]
	v_pk_fma_f32 v[58:59], v[82:83], v[98:99], v[58:59] op_sel:[0,0,1] op_sel_hi:[1,0,0]
	s_waitcnt vmcnt(3)
	v_mov_b32_e32 v58, v97
	v_mov_b32_e32 v61, v59
	v_pk_mul_f32 v[58:59], v[84:85], v[58:59] op_sel_hi:[1,0]
	v_pk_add_f32 v[54:55], v[54:55], v[60:61]
	v_pk_fma_f32 v[60:61], v[84:85], v[96:97], v[58:59] op_sel:[0,0,1] op_sel_hi:[1,1,0] neg_lo:[0,0,1] neg_hi:[0,0,1]
	v_pk_fma_f32 v[58:59], v[84:85], v[96:97], v[58:59] op_sel:[0,0,1] op_sel_hi:[1,0,0]
	s_waitcnt vmcnt(0)
	v_mov_b32_e32 v58, v95
	v_mov_b32_e32 v61, v59
	s_waitcnt lgkmcnt(0)
	v_pk_mul_f32 v[58:59], v[102:103], v[58:59] op_sel_hi:[1,0]
	v_pk_add_f32 v[54:55], v[54:55], v[60:61]
	v_pk_fma_f32 v[60:61], v[102:103], v[94:95], v[58:59] op_sel:[0,0,1] op_sel_hi:[1,1,0] neg_lo:[0,0,1] neg_hi:[0,0,1]
	v_pk_fma_f32 v[58:59], v[102:103], v[94:95], v[58:59] op_sel:[0,0,1] op_sel_hi:[1,0,0]
	v_mov_b32_e32 v61, v59
	v_pk_add_f32 v[54:55], v[54:55], v[60:61]
	v_pk_add_f32 v[54:55], v[100:101], v[54:55] neg_lo:[0,1] neg_hi:[0,1]
	buffer_store_dword v55, off, s[0:3], 0 offset:84
	buffer_store_dword v54, off, s[0:3], 0 offset:80
	s_and_saveexec_b64 s[4:5], vcc
	s_cbranch_execz .LBB89_151
; %bb.150:
	buffer_load_dword v54, off, s[0:3], 0 offset:72
	buffer_load_dword v55, off, s[0:3], 0 offset:76
	s_waitcnt vmcnt(0)
	ds_write_b64 v1, v[54:55]
	buffer_store_dword v56, off, s[0:3], 0 offset:72
	buffer_store_dword v56, off, s[0:3], 0 offset:76
.LBB89_151:
	s_or_b64 exec, exec, s[4:5]
	s_waitcnt lgkmcnt(0)
	; wave barrier
	s_waitcnt lgkmcnt(0)
	ds_read_b128 v[58:61], v56 offset:288
	ds_read_b128 v[62:65], v56 offset:304
	;; [unrolled: 1-line block ×4, first 2 shown]
	buffer_load_dword v54, off, s[0:3], 0 offset:72
	buffer_load_dword v55, off, s[0:3], 0 offset:76
	;; [unrolled: 1-line block ×20, first 2 shown]
	v_cmp_lt_u32_e32 vcc, 8, v0
	s_waitcnt vmcnt(16) lgkmcnt(3)
	v_mul_f32_e32 v74, v58, v78
	v_fmac_f32_e32 v74, v59, v57
	s_waitcnt vmcnt(14)
	v_mul_f32_e32 v75, v60, v82
	v_add_f32_e32 v74, 0, v74
	v_fmac_f32_e32 v75, v61, v80
	v_add_f32_e32 v74, v74, v75
	s_waitcnt vmcnt(12) lgkmcnt(2)
	v_mul_f32_e32 v75, v62, v101
	v_fmac_f32_e32 v75, v63, v100
	v_add_f32_e32 v74, v74, v75
	s_waitcnt vmcnt(10)
	v_mul_f32_e32 v75, v64, v103
	v_fmac_f32_e32 v75, v65, v102
	v_add_f32_e32 v74, v74, v75
	s_waitcnt vmcnt(8) lgkmcnt(1)
	v_mul_f32_e32 v75, v66, v105
	v_fmac_f32_e32 v75, v67, v104
	v_add_f32_e32 v74, v74, v75
	s_waitcnt vmcnt(6)
	v_mul_f32_e32 v75, v68, v107
	v_fmac_f32_e32 v75, v69, v106
	v_add_f32_e32 v79, v74, v75
	ds_read_b128 v[74:77], v56 offset:352
	buffer_load_dword v87, off, s[0:3], 0 offset:156
	buffer_load_dword v86, off, s[0:3], 0 offset:152
	;; [unrolled: 1-line block ×14, first 2 shown]
	v_mul_f32_e32 v59, v59, v78
	v_fma_f32 v57, v58, v57, -v59
	v_mul_f32_e32 v58, v61, v82
	v_add_f32_e32 v57, 0, v57
	v_fma_f32 v58, v60, v80, -v58
	v_add_f32_e32 v57, v57, v58
	v_mul_f32_e32 v58, v63, v101
	v_fma_f32 v58, v62, v100, -v58
	v_add_f32_e32 v57, v57, v58
	v_mul_f32_e32 v58, v65, v103
	;; [unrolled: 3-line block ×4, first 2 shown]
	v_fma_f32 v58, v68, v106, -v58
	v_add_f32_e32 v78, v57, v58
	s_waitcnt vmcnt(18) lgkmcnt(1)
	v_mul_f32_e32 v57, v71, v109
	v_mul_f32_e32 v81, v70, v109
	v_fma_f32 v80, v70, v108, -v57
	s_waitcnt vmcnt(15)
	v_mov_b32_e32 v70, v85
	v_fmac_f32_e32 v81, v71, v108
	v_mul_f32_e32 v83, v72, v111
	v_mul_f32_e32 v57, v73, v111
	s_waitcnt lgkmcnt(0)
	v_pk_mul_f32 v[70:71], v[74:75], v[70:71] op_sel_hi:[1,0]
	v_fmac_f32_e32 v83, v73, v110
	v_fma_f32 v82, v72, v110, -v57
	s_waitcnt vmcnt(14)
	v_pk_fma_f32 v[72:73], v[74:75], v[84:85], v[70:71] op_sel:[0,0,1] op_sel_hi:[1,1,0] neg_lo:[0,0,1] neg_hi:[0,0,1]
	v_pk_fma_f32 v[70:71], v[74:75], v[84:85], v[70:71] op_sel:[0,0,1] op_sel_hi:[1,0,0]
	ds_read_b128 v[58:61], v56 offset:368
	ds_read_b128 v[62:65], v56 offset:384
	ds_read_b128 v[66:69], v56 offset:400
	v_pk_add_f32 v[56:57], v[78:79], v[80:81]
	v_pk_add_f32 v[56:57], v[56:57], v[82:83]
	v_mov_b32_e32 v73, v71
	v_pk_add_f32 v[56:57], v[56:57], v[72:73]
	s_waitcnt vmcnt(13)
	v_mov_b32_e32 v70, v87
	v_pk_mul_f32 v[70:71], v[76:77], v[70:71] op_sel_hi:[1,0]
	s_waitcnt vmcnt(12)
	v_pk_fma_f32 v[72:73], v[76:77], v[86:87], v[70:71] op_sel:[0,0,1] op_sel_hi:[1,1,0] neg_lo:[0,0,1] neg_hi:[0,0,1]
	v_pk_fma_f32 v[70:71], v[76:77], v[86:87], v[70:71] op_sel:[0,0,1] op_sel_hi:[1,0,0]
	s_waitcnt vmcnt(11)
	v_mov_b32_e32 v70, v89
	v_mov_b32_e32 v73, v71
	s_waitcnt lgkmcnt(2)
	v_pk_mul_f32 v[70:71], v[58:59], v[70:71] op_sel_hi:[1,0]
	v_pk_add_f32 v[56:57], v[56:57], v[72:73]
	s_waitcnt vmcnt(10)
	v_pk_fma_f32 v[72:73], v[58:59], v[88:89], v[70:71] op_sel:[0,0,1] op_sel_hi:[1,1,0] neg_lo:[0,0,1] neg_hi:[0,0,1]
	v_pk_fma_f32 v[58:59], v[58:59], v[88:89], v[70:71] op_sel:[0,0,1] op_sel_hi:[1,0,0]
	s_waitcnt vmcnt(9)
	v_mov_b32_e32 v58, v91
	v_mov_b32_e32 v73, v59
	v_pk_mul_f32 v[58:59], v[60:61], v[58:59] op_sel_hi:[1,0]
	s_waitcnt vmcnt(8)
	v_pk_fma_f32 v[70:71], v[60:61], v[90:91], v[58:59] op_sel:[0,0,1] op_sel_hi:[1,1,0] neg_lo:[0,0,1] neg_hi:[0,0,1]
	v_pk_fma_f32 v[58:59], v[60:61], v[90:91], v[58:59] op_sel:[0,0,1] op_sel_hi:[1,0,0]
	s_waitcnt vmcnt(7)
	v_mov_b32_e32 v58, v93
	v_mov_b32_e32 v71, v59
	s_waitcnt lgkmcnt(1)
	v_pk_mul_f32 v[58:59], v[62:63], v[58:59] op_sel_hi:[1,0]
	s_waitcnt vmcnt(6)
	v_pk_fma_f32 v[60:61], v[62:63], v[92:93], v[58:59] op_sel:[0,0,1] op_sel_hi:[1,1,0] neg_lo:[0,0,1] neg_hi:[0,0,1]
	v_pk_fma_f32 v[58:59], v[62:63], v[92:93], v[58:59] op_sel:[0,0,1] op_sel_hi:[1,0,0]
	v_pk_add_f32 v[56:57], v[56:57], v[72:73]
	s_waitcnt vmcnt(5)
	v_mov_b32_e32 v58, v95
	v_pk_add_f32 v[56:57], v[56:57], v[70:71]
	v_mov_b32_e32 v61, v59
	v_pk_mul_f32 v[58:59], v[64:65], v[58:59] op_sel_hi:[1,0]
	v_pk_add_f32 v[56:57], v[56:57], v[60:61]
	s_waitcnt vmcnt(4)
	v_pk_fma_f32 v[60:61], v[64:65], v[94:95], v[58:59] op_sel:[0,0,1] op_sel_hi:[1,1,0] neg_lo:[0,0,1] neg_hi:[0,0,1]
	v_pk_fma_f32 v[58:59], v[64:65], v[94:95], v[58:59] op_sel:[0,0,1] op_sel_hi:[1,0,0]
	s_waitcnt vmcnt(3)
	v_mov_b32_e32 v58, v97
	v_mov_b32_e32 v61, v59
	s_waitcnt lgkmcnt(0)
	v_pk_mul_f32 v[58:59], v[66:67], v[58:59] op_sel_hi:[1,0]
	v_pk_add_f32 v[56:57], v[56:57], v[60:61]
	s_waitcnt vmcnt(2)
	v_pk_fma_f32 v[60:61], v[66:67], v[96:97], v[58:59] op_sel:[0,0,1] op_sel_hi:[1,1,0] neg_lo:[0,0,1] neg_hi:[0,0,1]
	v_pk_fma_f32 v[58:59], v[66:67], v[96:97], v[58:59] op_sel:[0,0,1] op_sel_hi:[1,0,0]
	s_waitcnt vmcnt(1)
	v_mov_b32_e32 v58, v99
	v_mov_b32_e32 v61, v59
	v_pk_mul_f32 v[58:59], v[68:69], v[58:59] op_sel_hi:[1,0]
	v_pk_add_f32 v[56:57], v[56:57], v[60:61]
	s_waitcnt vmcnt(0)
	v_pk_fma_f32 v[60:61], v[68:69], v[98:99], v[58:59] op_sel:[0,0,1] op_sel_hi:[1,1,0] neg_lo:[0,0,1] neg_hi:[0,0,1]
	v_pk_fma_f32 v[58:59], v[68:69], v[98:99], v[58:59] op_sel:[0,0,1] op_sel_hi:[1,0,0]
	v_mov_b32_e32 v61, v59
	v_pk_add_f32 v[56:57], v[56:57], v[60:61]
	v_pk_add_f32 v[54:55], v[54:55], v[56:57] neg_lo:[0,1] neg_hi:[0,1]
	buffer_store_dword v55, off, s[0:3], 0 offset:76
	buffer_store_dword v54, off, s[0:3], 0 offset:72
	s_and_saveexec_b64 s[4:5], vcc
	s_cbranch_execz .LBB89_153
; %bb.152:
	buffer_load_dword v54, off, s[0:3], 0 offset:64
	buffer_load_dword v55, off, s[0:3], 0 offset:68
	v_mov_b32_e32 v56, 0
	buffer_store_dword v56, off, s[0:3], 0 offset:64
	buffer_store_dword v56, off, s[0:3], 0 offset:68
	s_waitcnt vmcnt(2)
	ds_write_b64 v1, v[54:55]
.LBB89_153:
	s_or_b64 exec, exec, s[4:5]
	s_waitcnt lgkmcnt(0)
	; wave barrier
	s_waitcnt lgkmcnt(0)
	buffer_load_dword v55, off, s[0:3], 0 offset:76
	buffer_load_dword v98, off, s[0:3], 0 offset:84
	;; [unrolled: 1-line block ×36, first 2 shown]
	v_mov_b32_e32 v54, 0
	ds_read2_b64 v[56:59], v54 offset0:35 offset1:36
	ds_read2_b64 v[60:63], v54 offset0:37 offset1:38
	;; [unrolled: 1-line block ×6, first 2 shown]
	v_cmp_lt_u32_e32 vcc, 7, v0
	s_waitcnt vmcnt(35) lgkmcnt(5)
	v_mul_f32_e32 v117, v56, v55
	s_waitcnt vmcnt(34)
	v_mul_f32_e32 v118, v58, v98
	s_waitcnt vmcnt(33) lgkmcnt(4)
	v_mul_f32_e32 v119, v60, v100
	v_mul_f32_e32 v55, v57, v55
	;; [unrolled: 1-line block ×4, first 2 shown]
	s_waitcnt vmcnt(32)
	v_mul_f32_e32 v120, v62, v102
	s_waitcnt vmcnt(31) lgkmcnt(3)
	v_mul_f32_e32 v121, v64, v103
	v_mul_f32_e32 v102, v63, v102
	s_waitcnt vmcnt(26)
	v_fmac_f32_e32 v117, v57, v108
	s_waitcnt vmcnt(25)
	v_fmac_f32_e32 v118, v59, v109
	;; [unrolled: 2-line block ×3, first 2 shown]
	v_fma_f32 v55, v56, v108, -v55
	v_add_f32_e32 v61, 0, v117
	v_fma_f32 v56, v58, v109, -v98
	v_add_f32_e32 v55, 0, v55
	v_add_f32_e32 v61, v61, v118
	s_waitcnt vmcnt(23)
	v_fmac_f32_e32 v120, v63, v111
	v_fma_f32 v57, v60, v110, -v100
	v_add_f32_e32 v55, v55, v56
	v_add_f32_e32 v56, v61, v119
	v_mul_f32_e32 v122, v66, v104
	v_mul_f32_e32 v103, v65, v103
	s_waitcnt vmcnt(22)
	v_fmac_f32_e32 v121, v65, v112
	v_fma_f32 v58, v62, v111, -v102
	v_add_f32_e32 v55, v55, v57
	v_add_f32_e32 v56, v56, v120
	s_waitcnt lgkmcnt(2)
	v_mul_f32_e32 v123, v68, v105
	v_mul_f32_e32 v104, v67, v104
	s_waitcnt vmcnt(21)
	v_fmac_f32_e32 v122, v67, v113
	v_fma_f32 v59, v64, v112, -v103
	v_add_f32_e32 v55, v55, v58
	v_add_f32_e32 v56, v56, v121
	v_mul_f32_e32 v105, v69, v105
	s_waitcnt vmcnt(20)
	v_fmac_f32_e32 v123, v69, v114
	v_fma_f32 v60, v66, v113, -v104
	v_add_f32_e32 v55, v55, v59
	v_add_f32_e32 v56, v56, v122
	;; [unrolled: 1-line block ×4, first 2 shown]
	v_fma_f32 v56, v68, v114, -v105
	s_waitcnt vmcnt(17)
	v_mov_b32_e32 v68, v81
	v_mul_f32_e32 v99, v70, v106
	v_add_f32_e32 v64, v55, v56
	v_mul_f32_e32 v55, v71, v106
	s_waitcnt lgkmcnt(1)
	v_pk_mul_f32 v[68:69], v[74:75], v[68:69] op_sel_hi:[1,0]
	v_mul_f32_e32 v101, v72, v107
	v_fmac_f32_e32 v99, v71, v115
	v_fma_f32 v98, v70, v115, -v55
	v_mul_f32_e32 v55, v73, v107
	s_waitcnt vmcnt(15)
	v_pk_fma_f32 v[70:71], v[74:75], v[80:81], v[68:69] op_sel:[0,0,1] op_sel_hi:[1,1,0] neg_lo:[0,0,1] neg_hi:[0,0,1]
	v_pk_fma_f32 v[68:69], v[74:75], v[80:81], v[68:69] op_sel:[0,0,1] op_sel_hi:[1,0,0]
	v_fmac_f32_e32 v101, v73, v116
	v_fma_f32 v100, v72, v116, -v55
	v_pk_add_f32 v[64:65], v[64:65], v[98:99]
	s_waitcnt vmcnt(12)
	v_mov_b32_e32 v68, v83
	v_pk_add_f32 v[64:65], v[64:65], v[100:101]
	v_mov_b32_e32 v71, v69
	s_waitcnt lgkmcnt(0)
	v_pk_mul_f32 v[68:69], v[76:77], v[68:69] op_sel_hi:[1,0]
	v_pk_add_f32 v[64:65], v[64:65], v[70:71]
	v_pk_fma_f32 v[70:71], v[76:77], v[82:83], v[68:69] op_sel:[0,0,1] op_sel_hi:[1,1,0] neg_lo:[0,0,1] neg_hi:[0,0,1]
	v_pk_fma_f32 v[68:69], v[76:77], v[82:83], v[68:69] op_sel:[0,0,1] op_sel_hi:[1,0,0]
	s_waitcnt vmcnt(11)
	v_mov_b32_e32 v68, v87
	ds_read2_b64 v[56:59], v54 offset0:47 offset1:48
	ds_read2_b64 v[60:63], v54 offset0:49 offset1:50
	ds_read_b64 v[66:67], v54 offset:408
	v_mov_b32_e32 v71, v69
	v_pk_mul_f32 v[68:69], v[78:79], v[68:69] op_sel_hi:[1,0]
	v_pk_add_f32 v[64:65], v[64:65], v[70:71]
	s_waitcnt vmcnt(4)
	v_pk_fma_f32 v[70:71], v[78:79], v[86:87], v[68:69] op_sel:[0,0,1] op_sel_hi:[1,1,0] neg_lo:[0,0,1] neg_hi:[0,0,1]
	v_pk_fma_f32 v[68:69], v[78:79], v[86:87], v[68:69] op_sel:[0,0,1] op_sel_hi:[1,0,0]
	v_mov_b32_e32 v68, v93
	v_mov_b32_e32 v71, v69
	s_waitcnt lgkmcnt(2)
	v_pk_mul_f32 v[68:69], v[56:57], v[68:69] op_sel_hi:[1,0]
	v_pk_add_f32 v[64:65], v[64:65], v[70:71]
	v_pk_fma_f32 v[70:71], v[56:57], v[92:93], v[68:69] op_sel:[0,0,1] op_sel_hi:[1,1,0] neg_lo:[0,0,1] neg_hi:[0,0,1]
	v_pk_fma_f32 v[56:57], v[56:57], v[92:93], v[68:69] op_sel:[0,0,1] op_sel_hi:[1,0,0]
	v_mov_b32_e32 v71, v57
	v_pk_add_f32 v[56:57], v[64:65], v[70:71]
	v_mov_b32_e32 v64, v91
	v_pk_mul_f32 v[64:65], v[58:59], v[64:65] op_sel_hi:[1,0]
	v_pk_fma_f32 v[68:69], v[58:59], v[90:91], v[64:65] op_sel:[0,0,1] op_sel_hi:[1,1,0] neg_lo:[0,0,1] neg_hi:[0,0,1]
	v_pk_fma_f32 v[58:59], v[58:59], v[90:91], v[64:65] op_sel:[0,0,1] op_sel_hi:[1,0,0]
	v_mov_b32_e32 v58, v89
	v_mov_b32_e32 v69, v59
	s_waitcnt lgkmcnt(1)
	v_pk_mul_f32 v[58:59], v[60:61], v[58:59] op_sel_hi:[1,0]
	v_pk_fma_f32 v[64:65], v[60:61], v[88:89], v[58:59] op_sel:[0,0,1] op_sel_hi:[1,1,0] neg_lo:[0,0,1] neg_hi:[0,0,1]
	v_pk_fma_f32 v[58:59], v[60:61], v[88:89], v[58:59] op_sel:[0,0,1] op_sel_hi:[1,0,0]
	s_waitcnt vmcnt(1)
	v_mov_b32_e32 v58, v97
	v_mov_b32_e32 v65, v59
	v_pk_mul_f32 v[58:59], v[62:63], v[58:59] op_sel_hi:[1,0]
	s_waitcnt vmcnt(0)
	v_pk_fma_f32 v[60:61], v[62:63], v[96:97], v[58:59] op_sel:[0,0,1] op_sel_hi:[1,1,0] neg_lo:[0,0,1] neg_hi:[0,0,1]
	v_pk_fma_f32 v[58:59], v[62:63], v[96:97], v[58:59] op_sel:[0,0,1] op_sel_hi:[1,0,0]
	v_pk_add_f32 v[56:57], v[56:57], v[68:69]
	v_mov_b32_e32 v58, v95
	v_pk_add_f32 v[56:57], v[56:57], v[64:65]
	v_mov_b32_e32 v61, v59
	s_waitcnt lgkmcnt(0)
	v_pk_mul_f32 v[58:59], v[66:67], v[58:59] op_sel_hi:[1,0]
	v_pk_add_f32 v[56:57], v[56:57], v[60:61]
	v_pk_fma_f32 v[60:61], v[66:67], v[94:95], v[58:59] op_sel:[0,0,1] op_sel_hi:[1,1,0] neg_lo:[0,0,1] neg_hi:[0,0,1]
	v_pk_fma_f32 v[58:59], v[66:67], v[94:95], v[58:59] op_sel:[0,0,1] op_sel_hi:[1,0,0]
	v_mov_b32_e32 v61, v59
	v_pk_add_f32 v[56:57], v[56:57], v[60:61]
	v_pk_add_f32 v[56:57], v[84:85], v[56:57] neg_lo:[0,1] neg_hi:[0,1]
	buffer_store_dword v57, off, s[0:3], 0 offset:68
	buffer_store_dword v56, off, s[0:3], 0 offset:64
	s_and_saveexec_b64 s[4:5], vcc
	s_cbranch_execz .LBB89_155
; %bb.154:
	buffer_load_dword v56, off, s[0:3], 0 offset:56
	buffer_load_dword v57, off, s[0:3], 0 offset:60
	s_waitcnt vmcnt(0)
	ds_write_b64 v1, v[56:57]
	buffer_store_dword v54, off, s[0:3], 0 offset:56
	buffer_store_dword v54, off, s[0:3], 0 offset:60
.LBB89_155:
	s_or_b64 exec, exec, s[4:5]
	s_waitcnt lgkmcnt(0)
	; wave barrier
	s_waitcnt lgkmcnt(0)
	buffer_load_dword v55, off, s[0:3], 0 offset:68
	buffer_load_dword v98, off, s[0:3], 0 offset:76
	;; [unrolled: 1-line block ×22, first 2 shown]
	ds_read_b128 v[56:59], v54 offset:272
	ds_read_b128 v[60:63], v54 offset:288
	buffer_load_dword v83, off, s[0:3], 0 offset:148
	buffer_load_dword v82, off, s[0:3], 0 offset:144
	;; [unrolled: 1-line block ×10, first 2 shown]
	ds_read_b128 v[64:67], v54 offset:304
	ds_read_b128 v[68:71], v54 offset:320
	;; [unrolled: 1-line block ×4, first 2 shown]
	buffer_load_dword v93, off, s[0:3], 0 offset:204
	buffer_load_dword v92, off, s[0:3], 0 offset:200
	;; [unrolled: 1-line block ×6, first 2 shown]
	v_cmp_lt_u32_e32 vcc, 6, v0
	s_waitcnt vmcnt(37) lgkmcnt(5)
	v_mul_f32_e32 v119, v56, v55
	s_waitcnt vmcnt(36)
	v_mul_f32_e32 v120, v58, v98
	s_waitcnt vmcnt(35) lgkmcnt(4)
	v_mul_f32_e32 v121, v60, v100
	v_mul_f32_e32 v55, v57, v55
	;; [unrolled: 1-line block ×4, first 2 shown]
	s_waitcnt vmcnt(34)
	v_mul_f32_e32 v122, v62, v102
	s_waitcnt vmcnt(33) lgkmcnt(3)
	v_mul_f32_e32 v123, v64, v103
	s_waitcnt vmcnt(32)
	v_mul_f32_e32 v124, v66, v104
	s_waitcnt vmcnt(31) lgkmcnt(2)
	v_mul_f32_e32 v125, v68, v105
	s_waitcnt vmcnt(27)
	v_fmac_f32_e32 v119, v57, v109
	s_waitcnt vmcnt(26)
	v_fmac_f32_e32 v120, v59, v110
	v_fma_f32 v55, v56, v109, -v55
	s_waitcnt vmcnt(25)
	v_fma_f32 v57, v60, v111, -v100
	v_add_f32_e32 v60, 0, v119
	v_fmac_f32_e32 v121, v61, v111
	v_fma_f32 v56, v58, v110, -v98
	v_add_f32_e32 v55, 0, v55
	v_add_f32_e32 v60, v60, v120
	s_waitcnt vmcnt(24)
	v_fmac_f32_e32 v122, v63, v112
	v_add_f32_e32 v55, v55, v56
	v_add_f32_e32 v56, v60, v121
	s_waitcnt vmcnt(23)
	v_fmac_f32_e32 v123, v65, v113
	v_add_f32_e32 v56, v56, v122
	v_mul_f32_e32 v102, v63, v102
	s_waitcnt vmcnt(22)
	v_fmac_f32_e32 v124, v67, v114
	v_add_f32_e32 v56, v56, v123
	v_mul_f32_e32 v126, v70, v106
	v_mul_f32_e32 v103, v65, v103
	s_waitcnt vmcnt(21)
	v_fmac_f32_e32 v125, v69, v115
	v_fma_f32 v58, v62, v112, -v102
	v_add_f32_e32 v55, v55, v57
	v_add_f32_e32 v56, v56, v124
	v_mul_f32_e32 v104, v67, v104
	s_waitcnt vmcnt(20)
	v_fmac_f32_e32 v126, v71, v116
	v_fma_f32 v59, v64, v113, -v103
	v_add_f32_e32 v55, v55, v58
	v_add_f32_e32 v56, v56, v125
	v_add_f32_e32 v55, v55, v59
	v_add_f32_e32 v103, v56, v126
	v_fma_f32 v56, v66, v114, -v104
	v_add_f32_e32 v55, v55, v56
	v_mul_f32_e32 v56, v69, v105
	v_fma_f32 v56, v68, v115, -v56
	v_add_f32_e32 v55, v55, v56
	v_mul_f32_e32 v56, v71, v106
	v_fma_f32 v56, v70, v116, -v56
	s_waitcnt vmcnt(15)
	v_mov_b32_e32 v68, v83
	s_waitcnt lgkmcnt(1)
	v_mul_f32_e32 v99, v72, v107
	v_add_f32_e32 v102, v55, v56
	v_mul_f32_e32 v55, v73, v107
	s_waitcnt lgkmcnt(0)
	v_pk_mul_f32 v[68:69], v[76:77], v[68:69] op_sel_hi:[1,0]
	v_mul_f32_e32 v101, v74, v108
	v_fmac_f32_e32 v99, v73, v117
	v_fma_f32 v98, v72, v117, -v55
	v_mul_f32_e32 v55, v75, v108
	s_waitcnt vmcnt(14)
	v_pk_fma_f32 v[70:71], v[76:77], v[82:83], v[68:69] op_sel:[0,0,1] op_sel_hi:[1,1,0] neg_lo:[0,0,1] neg_hi:[0,0,1]
	v_pk_fma_f32 v[68:69], v[76:77], v[82:83], v[68:69] op_sel:[0,0,1] op_sel_hi:[1,0,0]
	v_fmac_f32_e32 v101, v75, v118
	v_fma_f32 v100, v74, v118, -v55
	ds_read_b128 v[56:59], v54 offset:368
	ds_read_b128 v[60:63], v54 offset:384
	;; [unrolled: 1-line block ×3, first 2 shown]
	v_pk_add_f32 v[54:55], v[102:103], v[98:99]
	s_waitcnt vmcnt(13)
	v_mov_b32_e32 v68, v85
	v_pk_add_f32 v[54:55], v[54:55], v[100:101]
	v_mov_b32_e32 v71, v69
	v_pk_mul_f32 v[68:69], v[78:79], v[68:69] op_sel_hi:[1,0]
	v_pk_add_f32 v[54:55], v[54:55], v[70:71]
	s_waitcnt vmcnt(6)
	v_pk_fma_f32 v[70:71], v[78:79], v[84:85], v[68:69] op_sel:[0,0,1] op_sel_hi:[1,1,0] neg_lo:[0,0,1] neg_hi:[0,0,1]
	v_pk_fma_f32 v[68:69], v[78:79], v[84:85], v[68:69] op_sel:[0,0,1] op_sel_hi:[1,0,0]
	v_mov_b32_e32 v68, v91
	v_mov_b32_e32 v71, v69
	s_waitcnt lgkmcnt(2)
	v_pk_mul_f32 v[68:69], v[56:57], v[68:69] op_sel_hi:[1,0]
	v_pk_add_f32 v[54:55], v[54:55], v[70:71]
	v_pk_fma_f32 v[70:71], v[56:57], v[90:91], v[68:69] op_sel:[0,0,1] op_sel_hi:[1,1,0] neg_lo:[0,0,1] neg_hi:[0,0,1]
	v_pk_fma_f32 v[56:57], v[56:57], v[90:91], v[68:69] op_sel:[0,0,1] op_sel_hi:[1,0,0]
	v_mov_b32_e32 v56, v89
	v_mov_b32_e32 v71, v57
	v_pk_mul_f32 v[56:57], v[58:59], v[56:57] op_sel_hi:[1,0]
	v_pk_fma_f32 v[68:69], v[58:59], v[88:89], v[56:57] op_sel:[0,0,1] op_sel_hi:[1,1,0] neg_lo:[0,0,1] neg_hi:[0,0,1]
	v_pk_fma_f32 v[56:57], v[58:59], v[88:89], v[56:57] op_sel:[0,0,1] op_sel_hi:[1,0,0]
	v_mov_b32_e32 v56, v87
	v_mov_b32_e32 v69, v57
	s_waitcnt lgkmcnt(1)
	v_pk_mul_f32 v[56:57], v[60:61], v[56:57] op_sel_hi:[1,0]
	v_pk_fma_f32 v[58:59], v[60:61], v[86:87], v[56:57] op_sel:[0,0,1] op_sel_hi:[1,1,0] neg_lo:[0,0,1] neg_hi:[0,0,1]
	v_pk_fma_f32 v[56:57], v[60:61], v[86:87], v[56:57] op_sel:[0,0,1] op_sel_hi:[1,0,0]
	v_pk_add_f32 v[54:55], v[54:55], v[70:71]
	s_waitcnt vmcnt(1)
	v_mov_b32_e32 v56, v97
	v_pk_add_f32 v[54:55], v[54:55], v[68:69]
	v_mov_b32_e32 v59, v57
	v_pk_mul_f32 v[56:57], v[62:63], v[56:57] op_sel_hi:[1,0]
	v_pk_add_f32 v[54:55], v[54:55], v[58:59]
	s_waitcnt vmcnt(0)
	v_pk_fma_f32 v[58:59], v[62:63], v[96:97], v[56:57] op_sel:[0,0,1] op_sel_hi:[1,1,0] neg_lo:[0,0,1] neg_hi:[0,0,1]
	v_pk_fma_f32 v[56:57], v[62:63], v[96:97], v[56:57] op_sel:[0,0,1] op_sel_hi:[1,0,0]
	v_mov_b32_e32 v56, v95
	v_mov_b32_e32 v59, v57
	s_waitcnt lgkmcnt(0)
	v_pk_mul_f32 v[56:57], v[64:65], v[56:57] op_sel_hi:[1,0]
	v_pk_add_f32 v[54:55], v[54:55], v[58:59]
	v_pk_fma_f32 v[58:59], v[64:65], v[94:95], v[56:57] op_sel:[0,0,1] op_sel_hi:[1,1,0] neg_lo:[0,0,1] neg_hi:[0,0,1]
	v_pk_fma_f32 v[56:57], v[64:65], v[94:95], v[56:57] op_sel:[0,0,1] op_sel_hi:[1,0,0]
	v_mov_b32_e32 v56, v93
	v_mov_b32_e32 v59, v57
	v_pk_mul_f32 v[56:57], v[66:67], v[56:57] op_sel_hi:[1,0]
	v_pk_add_f32 v[54:55], v[54:55], v[58:59]
	v_pk_fma_f32 v[58:59], v[66:67], v[92:93], v[56:57] op_sel:[0,0,1] op_sel_hi:[1,1,0] neg_lo:[0,0,1] neg_hi:[0,0,1]
	v_pk_fma_f32 v[56:57], v[66:67], v[92:93], v[56:57] op_sel:[0,0,1] op_sel_hi:[1,0,0]
	v_mov_b32_e32 v59, v57
	v_pk_add_f32 v[54:55], v[54:55], v[58:59]
	v_pk_add_f32 v[54:55], v[80:81], v[54:55] neg_lo:[0,1] neg_hi:[0,1]
	buffer_store_dword v55, off, s[0:3], 0 offset:60
	buffer_store_dword v54, off, s[0:3], 0 offset:56
	s_and_saveexec_b64 s[4:5], vcc
	s_cbranch_execz .LBB89_157
; %bb.156:
	buffer_load_dword v54, off, s[0:3], 0 offset:48
	buffer_load_dword v55, off, s[0:3], 0 offset:52
	v_mov_b32_e32 v56, 0
	buffer_store_dword v56, off, s[0:3], 0 offset:48
	buffer_store_dword v56, off, s[0:3], 0 offset:52
	s_waitcnt vmcnt(2)
	ds_write_b64 v1, v[54:55]
.LBB89_157:
	s_or_b64 exec, exec, s[4:5]
	v_mov_b32_e32 v56, 0
	s_waitcnt lgkmcnt(0)
	; wave barrier
	s_waitcnt lgkmcnt(0)
	ds_read2_b64 v[58:61], v56 offset0:33 offset1:34
	buffer_load_dword v54, off, s[0:3], 0 offset:48
	buffer_load_dword v55, off, s[0:3], 0 offset:52
	buffer_load_dword v57, off, s[0:3], 0 offset:56
	buffer_load_dword v82, off, s[0:3], 0 offset:60
	buffer_load_dword v84, off, s[0:3], 0 offset:64
	buffer_load_dword v86, off, s[0:3], 0 offset:68
	buffer_load_dword v104, off, s[0:3], 0 offset:72
	buffer_load_dword v105, off, s[0:3], 0 offset:76
	buffer_load_dword v106, off, s[0:3], 0 offset:80
	buffer_load_dword v107, off, s[0:3], 0 offset:84
	buffer_load_dword v108, off, s[0:3], 0 offset:88
	buffer_load_dword v109, off, s[0:3], 0 offset:92
	buffer_load_dword v110, off, s[0:3], 0 offset:96
	buffer_load_dword v111, off, s[0:3], 0 offset:100
	buffer_load_dword v112, off, s[0:3], 0 offset:104
	buffer_load_dword v113, off, s[0:3], 0 offset:108
	v_cmp_lt_u32_e32 vcc, 5, v0
	s_waitcnt vmcnt(12) lgkmcnt(0)
	v_mul_f32_e32 v62, v58, v82
	v_fmac_f32_e32 v62, v59, v57
	s_waitcnt vmcnt(10)
	v_mul_f32_e32 v63, v60, v86
	v_add_f32_e32 v62, 0, v62
	v_fmac_f32_e32 v63, v61, v84
	v_add_f32_e32 v66, v62, v63
	ds_read2_b64 v[62:65], v56 offset0:35 offset1:36
	v_mul_f32_e32 v59, v59, v82
	v_fma_f32 v57, v58, v57, -v59
	v_mul_f32_e32 v58, v61, v86
	v_add_f32_e32 v57, 0, v57
	s_waitcnt vmcnt(8) lgkmcnt(0)
	v_mul_f32_e32 v67, v62, v105
	v_fmac_f32_e32 v67, v63, v104
	v_add_f32_e32 v66, v66, v67
	s_waitcnt vmcnt(6)
	v_mul_f32_e32 v67, v64, v107
	v_fmac_f32_e32 v67, v65, v106
	v_add_f32_e32 v70, v66, v67
	ds_read2_b64 v[66:69], v56 offset0:37 offset1:38
	v_fma_f32 v58, v60, v84, -v58
	v_add_f32_e32 v57, v57, v58
	v_mul_f32_e32 v58, v63, v105
	v_fma_f32 v58, v62, v104, -v58
	s_waitcnt vmcnt(4) lgkmcnt(0)
	v_mul_f32_e32 v71, v66, v109
	v_fmac_f32_e32 v71, v67, v108
	v_add_f32_e32 v70, v70, v71
	s_waitcnt vmcnt(2)
	v_mul_f32_e32 v71, v68, v111
	v_fmac_f32_e32 v71, v69, v110
	v_add_f32_e32 v74, v70, v71
	ds_read2_b64 v[70:73], v56 offset0:39 offset1:40
	buffer_load_dword v114, off, s[0:3], 0 offset:112
	buffer_load_dword v115, off, s[0:3], 0 offset:116
	v_add_f32_e32 v57, v57, v58
	v_mul_f32_e32 v58, v65, v107
	v_fma_f32 v58, v64, v106, -v58
	s_waitcnt vmcnt(2) lgkmcnt(0)
	v_mul_f32_e32 v75, v70, v113
	v_fmac_f32_e32 v75, v71, v112
	v_add_f32_e32 v74, v74, v75
	v_add_f32_e32 v57, v57, v58
	v_mul_f32_e32 v58, v67, v109
	v_fma_f32 v58, v66, v108, -v58
	v_add_f32_e32 v57, v57, v58
	v_mul_f32_e32 v58, v69, v111
	v_fma_f32 v58, v68, v110, -v58
	;; [unrolled: 3-line block ×3, first 2 shown]
	v_add_f32_e32 v57, v57, v58
	s_waitcnt vmcnt(0)
	v_mul_f32_e32 v75, v72, v115
	v_fmac_f32_e32 v75, v73, v114
	v_add_f32_e32 v78, v74, v75
	ds_read2_b64 v[74:77], v56 offset0:41 offset1:42
	buffer_load_dword v116, off, s[0:3], 0 offset:120
	buffer_load_dword v117, off, s[0:3], 0 offset:124
	;; [unrolled: 1-line block ×4, first 2 shown]
	v_mul_f32_e32 v58, v73, v115
	v_fma_f32 v58, v72, v114, -v58
	v_add_f32_e32 v57, v57, v58
	s_waitcnt vmcnt(2) lgkmcnt(0)
	v_mul_f32_e32 v79, v74, v117
	v_fmac_f32_e32 v79, v75, v116
	v_add_f32_e32 v83, v78, v79
	ds_read2_b64 v[78:81], v56 offset0:43 offset1:44
	buffer_load_dword v120, off, s[0:3], 0 offset:136
	buffer_load_dword v121, off, s[0:3], 0 offset:140
	;; [unrolled: 1-line block ×18, first 2 shown]
	v_mul_f32_e32 v58, v75, v117
	v_fma_f32 v58, v74, v116, -v58
	s_waitcnt vmcnt(18)
	v_mul_f32_e32 v85, v76, v119
	v_add_f32_e32 v82, v57, v58
	v_mul_f32_e32 v57, v77, v119
	v_fmac_f32_e32 v85, v77, v118
	v_fma_f32 v84, v76, v118, -v57
	ds_read2_b64 v[58:61], v56 offset0:45 offset1:46
	ds_read2_b64 v[62:65], v56 offset0:47 offset1:48
	;; [unrolled: 1-line block ×3, first 2 shown]
	ds_read_b64 v[70:71], v56 offset:408
	v_pk_add_f32 v[72:73], v[82:83], v[84:85]
	s_waitcnt vmcnt(15)
	v_mov_b32_e32 v74, v89
	s_waitcnt lgkmcnt(4)
	v_pk_mul_f32 v[74:75], v[80:81], v[74:75] op_sel_hi:[1,0]
	s_waitcnt vmcnt(14)
	v_pk_fma_f32 v[76:77], v[80:81], v[88:89], v[74:75] op_sel:[0,0,1] op_sel_hi:[1,1,0] neg_lo:[0,0,1] neg_hi:[0,0,1]
	v_pk_fma_f32 v[74:75], v[80:81], v[88:89], v[74:75] op_sel:[0,0,1] op_sel_hi:[1,0,0]
	s_waitcnt vmcnt(13)
	v_mov_b32_e32 v74, v91
	v_mov_b32_e32 v77, v75
	s_waitcnt lgkmcnt(3)
	v_pk_mul_f32 v[74:75], v[58:59], v[74:75] op_sel_hi:[1,0]
	v_mul_f32_e32 v87, v78, v121
	v_mul_f32_e32 v57, v79, v121
	v_fmac_f32_e32 v87, v79, v120
	v_fma_f32 v86, v78, v120, -v57
	v_pk_add_f32 v[72:73], v[72:73], v[86:87]
	v_pk_add_f32 v[72:73], v[72:73], v[76:77]
	s_waitcnt vmcnt(12)
	v_pk_fma_f32 v[76:77], v[58:59], v[90:91], v[74:75] op_sel:[0,0,1] op_sel_hi:[1,1,0] neg_lo:[0,0,1] neg_hi:[0,0,1]
	v_pk_fma_f32 v[58:59], v[58:59], v[90:91], v[74:75] op_sel:[0,0,1] op_sel_hi:[1,0,0]
	v_mov_b32_e32 v77, v59
	v_pk_add_f32 v[58:59], v[72:73], v[76:77]
	s_waitcnt vmcnt(11)
	v_mov_b32_e32 v72, v93
	v_pk_mul_f32 v[72:73], v[60:61], v[72:73] op_sel_hi:[1,0]
	s_waitcnt vmcnt(10)
	v_pk_fma_f32 v[74:75], v[60:61], v[92:93], v[72:73] op_sel:[0,0,1] op_sel_hi:[1,1,0] neg_lo:[0,0,1] neg_hi:[0,0,1]
	v_pk_fma_f32 v[60:61], v[60:61], v[92:93], v[72:73] op_sel:[0,0,1] op_sel_hi:[1,0,0]
	s_waitcnt vmcnt(9)
	v_mov_b32_e32 v60, v95
	v_mov_b32_e32 v75, v61
	s_waitcnt lgkmcnt(2)
	v_pk_mul_f32 v[60:61], v[62:63], v[60:61] op_sel_hi:[1,0]
	s_waitcnt vmcnt(8)
	v_pk_fma_f32 v[72:73], v[62:63], v[94:95], v[60:61] op_sel:[0,0,1] op_sel_hi:[1,1,0] neg_lo:[0,0,1] neg_hi:[0,0,1]
	v_pk_fma_f32 v[60:61], v[62:63], v[94:95], v[60:61] op_sel:[0,0,1] op_sel_hi:[1,0,0]
	s_waitcnt vmcnt(7)
	v_mov_b32_e32 v60, v97
	v_mov_b32_e32 v73, v61
	v_pk_mul_f32 v[60:61], v[64:65], v[60:61] op_sel_hi:[1,0]
	s_waitcnt vmcnt(6)
	v_pk_fma_f32 v[62:63], v[64:65], v[96:97], v[60:61] op_sel:[0,0,1] op_sel_hi:[1,1,0] neg_lo:[0,0,1] neg_hi:[0,0,1]
	v_pk_fma_f32 v[60:61], v[64:65], v[96:97], v[60:61] op_sel:[0,0,1] op_sel_hi:[1,0,0]
	v_pk_add_f32 v[58:59], v[58:59], v[74:75]
	s_waitcnt vmcnt(5)
	v_mov_b32_e32 v60, v99
	v_pk_add_f32 v[58:59], v[58:59], v[72:73]
	v_mov_b32_e32 v63, v61
	s_waitcnt lgkmcnt(1)
	v_pk_mul_f32 v[60:61], v[66:67], v[60:61] op_sel_hi:[1,0]
	v_pk_add_f32 v[58:59], v[58:59], v[62:63]
	s_waitcnt vmcnt(4)
	v_pk_fma_f32 v[62:63], v[66:67], v[98:99], v[60:61] op_sel:[0,0,1] op_sel_hi:[1,1,0] neg_lo:[0,0,1] neg_hi:[0,0,1]
	v_pk_fma_f32 v[60:61], v[66:67], v[98:99], v[60:61] op_sel:[0,0,1] op_sel_hi:[1,0,0]
	s_waitcnt vmcnt(3)
	v_mov_b32_e32 v60, v101
	v_mov_b32_e32 v63, v61
	v_pk_mul_f32 v[60:61], v[68:69], v[60:61] op_sel_hi:[1,0]
	v_pk_add_f32 v[58:59], v[58:59], v[62:63]
	s_waitcnt vmcnt(2)
	v_pk_fma_f32 v[62:63], v[68:69], v[100:101], v[60:61] op_sel:[0,0,1] op_sel_hi:[1,1,0] neg_lo:[0,0,1] neg_hi:[0,0,1]
	v_pk_fma_f32 v[60:61], v[68:69], v[100:101], v[60:61] op_sel:[0,0,1] op_sel_hi:[1,0,0]
	s_waitcnt vmcnt(1)
	v_mov_b32_e32 v60, v103
	v_mov_b32_e32 v63, v61
	s_waitcnt lgkmcnt(0)
	v_pk_mul_f32 v[60:61], v[70:71], v[60:61] op_sel_hi:[1,0]
	v_pk_add_f32 v[58:59], v[58:59], v[62:63]
	s_waitcnt vmcnt(0)
	v_pk_fma_f32 v[62:63], v[70:71], v[102:103], v[60:61] op_sel:[0,0,1] op_sel_hi:[1,1,0] neg_lo:[0,0,1] neg_hi:[0,0,1]
	v_pk_fma_f32 v[60:61], v[70:71], v[102:103], v[60:61] op_sel:[0,0,1] op_sel_hi:[1,0,0]
	v_mov_b32_e32 v63, v61
	v_pk_add_f32 v[58:59], v[58:59], v[62:63]
	v_pk_add_f32 v[54:55], v[54:55], v[58:59] neg_lo:[0,1] neg_hi:[0,1]
	buffer_store_dword v55, off, s[0:3], 0 offset:52
	buffer_store_dword v54, off, s[0:3], 0 offset:48
	s_and_saveexec_b64 s[4:5], vcc
	s_cbranch_execz .LBB89_159
; %bb.158:
	buffer_load_dword v54, off, s[0:3], 0 offset:40
	buffer_load_dword v55, off, s[0:3], 0 offset:44
	s_waitcnt vmcnt(0)
	ds_write_b64 v1, v[54:55]
	buffer_store_dword v56, off, s[0:3], 0 offset:40
	buffer_store_dword v56, off, s[0:3], 0 offset:44
.LBB89_159:
	s_or_b64 exec, exec, s[4:5]
	s_waitcnt lgkmcnt(0)
	; wave barrier
	s_waitcnt lgkmcnt(0)
	buffer_load_dword v54, off, s[0:3], 0 offset:52
	buffer_load_dword v55, off, s[0:3], 0 offset:60
	;; [unrolled: 1-line block ×26, first 2 shown]
	ds_read_b128 v[58:61], v56 offset:256
	ds_read_b128 v[62:65], v56 offset:272
	;; [unrolled: 1-line block ×6, first 2 shown]
	buffer_load_dword v85, off, s[0:3], 0 offset:164
	buffer_load_dword v84, off, s[0:3], 0 offset:160
	;; [unrolled: 1-line block ×16, first 2 shown]
	v_cmp_lt_u32_e32 vcc, 4, v0
	s_waitcnt vmcnt(41) lgkmcnt(5)
	v_mul_f32_e32 v123, v58, v54
	s_waitcnt vmcnt(40)
	v_mul_f32_e32 v124, v60, v55
	v_mul_f32_e32 v54, v59, v54
	s_waitcnt vmcnt(39) lgkmcnt(4)
	v_mul_f32_e32 v125, v62, v57
	v_mul_f32_e32 v55, v61, v55
	s_waitcnt vmcnt(38)
	v_mul_f32_e32 v126, v64, v100
	s_waitcnt vmcnt(37) lgkmcnt(3)
	v_mul_f32_e32 v127, v66, v102
	s_waitcnt vmcnt(36)
	v_mul_f32_e32 v128, v68, v104
	s_waitcnt vmcnt(35) lgkmcnt(2)
	;; [unrolled: 4-line block ×3, first 2 shown]
	v_mul_f32_e32 v131, v74, v108
	s_waitcnt vmcnt(32)
	v_mul_f32_e32 v132, v76, v109
	s_waitcnt vmcnt(29)
	v_fmac_f32_e32 v123, v59, v105
	s_waitcnt vmcnt(28)
	v_fmac_f32_e32 v124, v61, v112
	v_fma_f32 v54, v58, v105, -v54
	v_add_f32_e32 v58, 0, v123
	s_waitcnt vmcnt(27)
	v_fmac_f32_e32 v125, v63, v113
	v_fma_f32 v55, v60, v112, -v55
	v_add_f32_e32 v54, 0, v54
	v_add_f32_e32 v58, v58, v124
	s_waitcnt vmcnt(26)
	v_fmac_f32_e32 v126, v65, v114
	v_add_f32_e32 v54, v54, v55
	v_add_f32_e32 v55, v58, v125
	s_waitcnt vmcnt(25)
	v_fmac_f32_e32 v127, v67, v115
	v_add_f32_e32 v55, v55, v126
	s_waitcnt vmcnt(24)
	v_fmac_f32_e32 v128, v69, v116
	;; [unrolled: 3-line block ×5, first 2 shown]
	v_add_f32_e32 v55, v55, v130
	v_mul_f32_e32 v57, v63, v57
	s_waitcnt vmcnt(20)
	v_fmac_f32_e32 v132, v77, v120
	v_add_f32_e32 v55, v55, v131
	v_fma_f32 v57, v62, v113, -v57
	v_add_f32_e32 v105, v55, v132
	v_mul_f32_e32 v55, v65, v100
	v_add_f32_e32 v54, v54, v57
	v_fma_f32 v55, v64, v114, -v55
	v_add_f32_e32 v54, v54, v55
	v_mul_f32_e32 v55, v67, v102
	v_fma_f32 v55, v66, v115, -v55
	v_add_f32_e32 v54, v54, v55
	v_mul_f32_e32 v55, v69, v104
	;; [unrolled: 3-line block ×6, first 2 shown]
	v_fma_f32 v55, v76, v120, -v55
	v_add_f32_e32 v104, v54, v55
	s_waitcnt lgkmcnt(0)
	v_mul_f32_e32 v54, v79, v110
	s_waitcnt vmcnt(19)
	v_fma_f32 v100, v78, v121, -v54
	v_mul_f32_e32 v54, v81, v111
	s_waitcnt vmcnt(18)
	v_fma_f32 v102, v80, v122, -v54
	ds_read_b128 v[58:61], v56 offset:352
	ds_read_b128 v[62:65], v56 offset:368
	;; [unrolled: 1-line block ×4, first 2 shown]
	v_mul_f32_e32 v101, v78, v110
	s_waitcnt vmcnt(11)
	v_mov_b32_e32 v72, v89
	v_mul_f32_e32 v103, v80, v111
	v_fmac_f32_e32 v101, v79, v121
	s_waitcnt lgkmcnt(3)
	v_pk_mul_f32 v[72:73], v[58:59], v[72:73] op_sel_hi:[1,0]
	v_fmac_f32_e32 v103, v81, v122
	v_pk_add_f32 v[70:71], v[104:105], v[100:101]
	s_waitcnt vmcnt(10)
	v_pk_fma_f32 v[74:75], v[58:59], v[88:89], v[72:73] op_sel:[0,0,1] op_sel_hi:[1,1,0] neg_lo:[0,0,1] neg_hi:[0,0,1]
	v_pk_fma_f32 v[58:59], v[58:59], v[88:89], v[72:73] op_sel:[0,0,1] op_sel_hi:[1,0,0]
	v_pk_add_f32 v[70:71], v[70:71], v[102:103]
	v_mov_b32_e32 v75, v59
	v_pk_add_f32 v[58:59], v[70:71], v[74:75]
	v_mov_b32_e32 v70, v87
	v_pk_mul_f32 v[70:71], v[60:61], v[70:71] op_sel_hi:[1,0]
	v_pk_fma_f32 v[72:73], v[60:61], v[86:87], v[70:71] op_sel:[0,0,1] op_sel_hi:[1,1,0] neg_lo:[0,0,1] neg_hi:[0,0,1]
	v_pk_fma_f32 v[60:61], v[60:61], v[86:87], v[70:71] op_sel:[0,0,1] op_sel_hi:[1,0,0]
	v_mov_b32_e32 v60, v85
	v_mov_b32_e32 v73, v61
	s_waitcnt lgkmcnt(2)
	v_pk_mul_f32 v[60:61], v[62:63], v[60:61] op_sel_hi:[1,0]
	v_pk_fma_f32 v[70:71], v[62:63], v[84:85], v[60:61] op_sel:[0,0,1] op_sel_hi:[1,1,0] neg_lo:[0,0,1] neg_hi:[0,0,1]
	v_pk_fma_f32 v[60:61], v[62:63], v[84:85], v[60:61] op_sel:[0,0,1] op_sel_hi:[1,0,0]
	s_waitcnt vmcnt(3)
	v_mov_b32_e32 v60, v97
	v_mov_b32_e32 v71, v61
	v_pk_mul_f32 v[60:61], v[64:65], v[60:61] op_sel_hi:[1,0]
	s_waitcnt vmcnt(2)
	v_pk_fma_f32 v[62:63], v[64:65], v[96:97], v[60:61] op_sel:[0,0,1] op_sel_hi:[1,1,0] neg_lo:[0,0,1] neg_hi:[0,0,1]
	v_pk_fma_f32 v[60:61], v[64:65], v[96:97], v[60:61] op_sel:[0,0,1] op_sel_hi:[1,0,0]
	v_pk_add_f32 v[58:59], v[58:59], v[72:73]
	v_mov_b32_e32 v60, v95
	v_pk_add_f32 v[58:59], v[58:59], v[70:71]
	v_mov_b32_e32 v63, v61
	s_waitcnt lgkmcnt(1)
	v_pk_mul_f32 v[60:61], v[66:67], v[60:61] op_sel_hi:[1,0]
	v_pk_add_f32 v[58:59], v[58:59], v[62:63]
	v_pk_fma_f32 v[62:63], v[66:67], v[94:95], v[60:61] op_sel:[0,0,1] op_sel_hi:[1,1,0] neg_lo:[0,0,1] neg_hi:[0,0,1]
	v_pk_fma_f32 v[60:61], v[66:67], v[94:95], v[60:61] op_sel:[0,0,1] op_sel_hi:[1,0,0]
	v_mov_b32_e32 v60, v93
	v_mov_b32_e32 v63, v61
	v_pk_mul_f32 v[60:61], v[68:69], v[60:61] op_sel_hi:[1,0]
	v_pk_add_f32 v[58:59], v[58:59], v[62:63]
	v_pk_fma_f32 v[62:63], v[68:69], v[92:93], v[60:61] op_sel:[0,0,1] op_sel_hi:[1,1,0] neg_lo:[0,0,1] neg_hi:[0,0,1]
	v_pk_fma_f32 v[60:61], v[68:69], v[92:93], v[60:61] op_sel:[0,0,1] op_sel_hi:[1,0,0]
	v_mov_b32_e32 v60, v91
	v_mov_b32_e32 v63, v61
	s_waitcnt lgkmcnt(0)
	v_pk_mul_f32 v[60:61], v[54:55], v[60:61] op_sel_hi:[1,0]
	v_pk_add_f32 v[58:59], v[58:59], v[62:63]
	v_pk_fma_f32 v[62:63], v[54:55], v[90:91], v[60:61] op_sel:[0,0,1] op_sel_hi:[1,1,0] neg_lo:[0,0,1] neg_hi:[0,0,1]
	v_pk_fma_f32 v[54:55], v[54:55], v[90:91], v[60:61] op_sel:[0,0,1] op_sel_hi:[1,0,0]
	v_mov_b32_e32 v63, v55
	v_pk_add_f32 v[54:55], v[58:59], v[62:63]
	s_waitcnt vmcnt(1)
	v_mov_b32_e32 v58, v99
	v_pk_mul_f32 v[58:59], v[56:57], v[58:59] op_sel_hi:[1,0]
	s_waitcnt vmcnt(0)
	v_pk_fma_f32 v[60:61], v[56:57], v[98:99], v[58:59] op_sel:[0,0,1] op_sel_hi:[1,1,0] neg_lo:[0,0,1] neg_hi:[0,0,1]
	v_pk_fma_f32 v[56:57], v[56:57], v[98:99], v[58:59] op_sel:[0,0,1] op_sel_hi:[1,0,0]
	v_mov_b32_e32 v61, v57
	v_pk_add_f32 v[54:55], v[54:55], v[60:61]
	v_pk_add_f32 v[54:55], v[82:83], v[54:55] neg_lo:[0,1] neg_hi:[0,1]
	buffer_store_dword v55, off, s[0:3], 0 offset:44
	buffer_store_dword v54, off, s[0:3], 0 offset:40
	s_and_saveexec_b64 s[4:5], vcc
	s_cbranch_execz .LBB89_161
; %bb.160:
	buffer_load_dword v54, off, s[0:3], 0 offset:32
	buffer_load_dword v55, off, s[0:3], 0 offset:36
	v_mov_b32_e32 v56, 0
	buffer_store_dword v56, off, s[0:3], 0 offset:32
	buffer_store_dword v56, off, s[0:3], 0 offset:36
	s_waitcnt vmcnt(2)
	ds_write_b64 v1, v[54:55]
.LBB89_161:
	s_or_b64 exec, exec, s[4:5]
	s_waitcnt lgkmcnt(0)
	; wave barrier
	s_waitcnt lgkmcnt(0)
	buffer_load_dword v55, off, s[0:3], 0 offset:44
	buffer_load_dword v106, off, s[0:3], 0 offset:52
	;; [unrolled: 1-line block ×44, first 2 shown]
	v_mov_b32_e32 v54, 0
	ds_read2_b64 v[56:59], v54 offset0:31 offset1:32
	ds_read2_b64 v[60:63], v54 offset0:33 offset1:34
	;; [unrolled: 1-line block ×8, first 2 shown]
	v_cmp_lt_u32_e32 vcc, 3, v0
	s_waitcnt vmcnt(43) lgkmcnt(7)
	v_mul_f32_e32 v111, v56, v55
	v_mul_f32_e32 v55, v57, v55
	s_waitcnt vmcnt(42)
	v_mul_f32_e32 v134, v58, v106
	s_waitcnt vmcnt(41) lgkmcnt(6)
	v_mul_f32_e32 v135, v60, v108
	s_waitcnt vmcnt(40)
	v_mul_f32_e32 v136, v62, v110
	s_waitcnt vmcnt(39) lgkmcnt(5)
	;; [unrolled: 4-line block ×5, first 2 shown]
	v_mul_f32_e32 v143, v76, v118
	s_waitcnt vmcnt(32)
	v_mul_f32_e32 v107, v78, v119
	s_waitcnt vmcnt(30)
	v_fma_f32 v55, v56, v121, -v55
	v_mul_f32_e32 v56, v59, v106
	v_add_f32_e32 v55, 0, v55
	s_waitcnt vmcnt(29)
	v_fma_f32 v56, v58, v122, -v56
	v_add_f32_e32 v55, v55, v56
	v_mul_f32_e32 v56, v61, v108
	s_waitcnt vmcnt(28)
	v_fma_f32 v56, v60, v123, -v56
	v_add_f32_e32 v55, v55, v56
	v_mul_f32_e32 v56, v63, v110
	;; [unrolled: 4-line block ×4, first 2 shown]
	s_waitcnt vmcnt(25)
	v_fma_f32 v56, v66, v126, -v56
	v_fmac_f32_e32 v111, v57, v121
	v_add_f32_e32 v55, v55, v56
	v_mul_f32_e32 v56, v69, v114
	v_fmac_f32_e32 v134, v59, v122
	v_add_f32_e32 v57, 0, v111
	s_waitcnt vmcnt(24)
	v_fma_f32 v56, v68, v127, -v56
	v_fmac_f32_e32 v135, v61, v123
	v_add_f32_e32 v57, v57, v134
	v_add_f32_e32 v55, v55, v56
	v_mul_f32_e32 v56, v71, v115
	v_fmac_f32_e32 v136, v63, v124
	v_add_f32_e32 v57, v57, v135
	s_waitcnt vmcnt(23)
	v_fma_f32 v56, v70, v128, -v56
	v_fmac_f32_e32 v137, v65, v125
	v_add_f32_e32 v57, v57, v136
	;; [unrolled: 8-line block ×4, first 2 shown]
	v_add_f32_e32 v55, v55, v56
	v_mul_f32_e32 v56, v77, v118
	v_fmac_f32_e32 v142, v75, v130
	v_add_f32_e32 v57, v57, v141
	s_waitcnt vmcnt(20)
	v_fma_f32 v56, v76, v131, -v56
	s_waitcnt vmcnt(13)
	v_mov_b32_e32 v68, v93
	v_fmac_f32_e32 v143, v77, v131
	v_add_f32_e32 v57, v57, v142
	v_add_f32_e32 v110, v55, v56
	v_mul_f32_e32 v55, v79, v119
	s_waitcnt lgkmcnt(1)
	v_pk_mul_f32 v[68:69], v[82:83], v[68:69] op_sel_hi:[1,0]
	v_mul_f32_e32 v109, v80, v120
	v_fmac_f32_e32 v107, v79, v132
	v_add_f32_e32 v111, v57, v143
	v_fma_f32 v106, v78, v132, -v55
	v_mul_f32_e32 v55, v81, v120
	s_waitcnt vmcnt(12)
	v_pk_fma_f32 v[70:71], v[82:83], v[92:93], v[68:69] op_sel:[0,0,1] op_sel_hi:[1,1,0] neg_lo:[0,0,1] neg_hi:[0,0,1]
	v_pk_fma_f32 v[68:69], v[82:83], v[92:93], v[68:69] op_sel:[0,0,1] op_sel_hi:[1,0,0]
	v_fmac_f32_e32 v109, v81, v133
	v_fma_f32 v108, v80, v133, -v55
	v_pk_add_f32 v[66:67], v[110:111], v[106:107]
	v_mov_b32_e32 v68, v91
	v_pk_add_f32 v[66:67], v[66:67], v[108:109]
	v_mov_b32_e32 v71, v69
	s_waitcnt lgkmcnt(0)
	v_pk_mul_f32 v[68:69], v[84:85], v[68:69] op_sel_hi:[1,0]
	v_pk_add_f32 v[66:67], v[66:67], v[70:71]
	v_pk_fma_f32 v[70:71], v[84:85], v[90:91], v[68:69] op_sel:[0,0,1] op_sel_hi:[1,1,0] neg_lo:[0,0,1] neg_hi:[0,0,1]
	v_pk_fma_f32 v[68:69], v[84:85], v[90:91], v[68:69] op_sel:[0,0,1] op_sel_hi:[1,0,0]
	s_waitcnt vmcnt(5)
	v_mov_b32_e32 v68, v101
	ds_read2_b64 v[56:59], v54 offset0:47 offset1:48
	ds_read2_b64 v[60:63], v54 offset0:49 offset1:50
	ds_read_b64 v[64:65], v54 offset:408
	v_mov_b32_e32 v71, v69
	v_pk_mul_f32 v[68:69], v[86:87], v[68:69] op_sel_hi:[1,0]
	v_pk_add_f32 v[66:67], v[66:67], v[70:71]
	s_waitcnt vmcnt(4)
	v_pk_fma_f32 v[70:71], v[86:87], v[100:101], v[68:69] op_sel:[0,0,1] op_sel_hi:[1,1,0] neg_lo:[0,0,1] neg_hi:[0,0,1]
	v_pk_fma_f32 v[68:69], v[86:87], v[100:101], v[68:69] op_sel:[0,0,1] op_sel_hi:[1,0,0]
	v_mov_b32_e32 v68, v99
	v_mov_b32_e32 v71, v69
	s_waitcnt lgkmcnt(2)
	v_pk_mul_f32 v[68:69], v[56:57], v[68:69] op_sel_hi:[1,0]
	v_pk_add_f32 v[66:67], v[66:67], v[70:71]
	v_pk_fma_f32 v[70:71], v[56:57], v[98:99], v[68:69] op_sel:[0,0,1] op_sel_hi:[1,1,0] neg_lo:[0,0,1] neg_hi:[0,0,1]
	v_pk_fma_f32 v[56:57], v[56:57], v[98:99], v[68:69] op_sel:[0,0,1] op_sel_hi:[1,0,0]
	v_mov_b32_e32 v71, v57
	v_pk_add_f32 v[56:57], v[66:67], v[70:71]
	v_mov_b32_e32 v66, v97
	v_pk_mul_f32 v[66:67], v[58:59], v[66:67] op_sel_hi:[1,0]
	v_pk_fma_f32 v[68:69], v[58:59], v[96:97], v[66:67] op_sel:[0,0,1] op_sel_hi:[1,1,0] neg_lo:[0,0,1] neg_hi:[0,0,1]
	v_pk_fma_f32 v[58:59], v[58:59], v[96:97], v[66:67] op_sel:[0,0,1] op_sel_hi:[1,0,0]
	v_mov_b32_e32 v58, v95
	v_mov_b32_e32 v69, v59
	s_waitcnt lgkmcnt(1)
	v_pk_mul_f32 v[58:59], v[60:61], v[58:59] op_sel_hi:[1,0]
	v_pk_fma_f32 v[66:67], v[60:61], v[94:95], v[58:59] op_sel:[0,0,1] op_sel_hi:[1,1,0] neg_lo:[0,0,1] neg_hi:[0,0,1]
	v_pk_fma_f32 v[58:59], v[60:61], v[94:95], v[58:59] op_sel:[0,0,1] op_sel_hi:[1,0,0]
	s_waitcnt vmcnt(1)
	v_mov_b32_e32 v58, v105
	v_mov_b32_e32 v67, v59
	v_pk_mul_f32 v[58:59], v[62:63], v[58:59] op_sel_hi:[1,0]
	s_waitcnt vmcnt(0)
	v_pk_fma_f32 v[60:61], v[62:63], v[104:105], v[58:59] op_sel:[0,0,1] op_sel_hi:[1,1,0] neg_lo:[0,0,1] neg_hi:[0,0,1]
	v_pk_fma_f32 v[58:59], v[62:63], v[104:105], v[58:59] op_sel:[0,0,1] op_sel_hi:[1,0,0]
	v_pk_add_f32 v[56:57], v[56:57], v[68:69]
	v_mov_b32_e32 v58, v103
	v_pk_add_f32 v[56:57], v[56:57], v[66:67]
	v_mov_b32_e32 v61, v59
	s_waitcnt lgkmcnt(0)
	v_pk_mul_f32 v[58:59], v[64:65], v[58:59] op_sel_hi:[1,0]
	v_pk_add_f32 v[56:57], v[56:57], v[60:61]
	v_pk_fma_f32 v[60:61], v[64:65], v[102:103], v[58:59] op_sel:[0,0,1] op_sel_hi:[1,1,0] neg_lo:[0,0,1] neg_hi:[0,0,1]
	v_pk_fma_f32 v[58:59], v[64:65], v[102:103], v[58:59] op_sel:[0,0,1] op_sel_hi:[1,0,0]
	v_mov_b32_e32 v61, v59
	v_pk_add_f32 v[56:57], v[56:57], v[60:61]
	v_pk_add_f32 v[56:57], v[88:89], v[56:57] neg_lo:[0,1] neg_hi:[0,1]
	buffer_store_dword v57, off, s[0:3], 0 offset:36
	buffer_store_dword v56, off, s[0:3], 0 offset:32
	s_and_saveexec_b64 s[4:5], vcc
	s_cbranch_execz .LBB89_163
; %bb.162:
	buffer_load_dword v56, off, s[0:3], 0 offset:24
	buffer_load_dword v57, off, s[0:3], 0 offset:28
	s_waitcnt vmcnt(0)
	ds_write_b64 v1, v[56:57]
	buffer_store_dword v54, off, s[0:3], 0 offset:24
	buffer_store_dword v54, off, s[0:3], 0 offset:28
.LBB89_163:
	s_or_b64 exec, exec, s[4:5]
	s_waitcnt lgkmcnt(0)
	; wave barrier
	s_waitcnt lgkmcnt(0)
	buffer_load_dword v55, off, s[0:3], 0 offset:36
	buffer_load_dword v106, off, s[0:3], 0 offset:44
	buffer_load_dword v108, off, s[0:3], 0 offset:52
	buffer_load_dword v110, off, s[0:3], 0 offset:60
	buffer_load_dword v112, off, s[0:3], 0 offset:68
	buffer_load_dword v113, off, s[0:3], 0 offset:76
	buffer_load_dword v114, off, s[0:3], 0 offset:84
	buffer_load_dword v115, off, s[0:3], 0 offset:92
	buffer_load_dword v116, off, s[0:3], 0 offset:100
	buffer_load_dword v117, off, s[0:3], 0 offset:108
	buffer_load_dword v118, off, s[0:3], 0 offset:116
	buffer_load_dword v119, off, s[0:3], 0 offset:124
	buffer_load_dword v120, off, s[0:3], 0 offset:132
	buffer_load_dword v121, off, s[0:3], 0 offset:32
	buffer_load_dword v122, off, s[0:3], 0 offset:40
	buffer_load_dword v123, off, s[0:3], 0 offset:48
	buffer_load_dword v124, off, s[0:3], 0 offset:56
	buffer_load_dword v125, off, s[0:3], 0 offset:64
	buffer_load_dword v126, off, s[0:3], 0 offset:72
	buffer_load_dword v127, off, s[0:3], 0 offset:80
	buffer_load_dword v128, off, s[0:3], 0 offset:88
	buffer_load_dword v129, off, s[0:3], 0 offset:96
	buffer_load_dword v130, off, s[0:3], 0 offset:104
	buffer_load_dword v131, off, s[0:3], 0 offset:112
	buffer_load_dword v132, off, s[0:3], 0 offset:120
	buffer_load_dword v133, off, s[0:3], 0 offset:128
	buffer_load_dword v134, off, s[0:3], 0 offset:140
	buffer_load_dword v135, off, s[0:3], 0 offset:136
	buffer_load_dword v88, off, s[0:3], 0 offset:24
	buffer_load_dword v89, off, s[0:3], 0 offset:28
	ds_read_b128 v[56:59], v54 offset:240
	ds_read_b128 v[60:63], v54 offset:256
	ds_read_b128 v[64:67], v54 offset:272
	ds_read_b128 v[68:71], v54 offset:288
	ds_read_b128 v[72:75], v54 offset:304
	ds_read_b128 v[76:79], v54 offset:320
	buffer_load_dword v91, off, s[0:3], 0 offset:148
	buffer_load_dword v90, off, s[0:3], 0 offset:144
	ds_read_b128 v[80:83], v54 offset:336
	ds_read_b128 v[84:87], v54 offset:352
	buffer_load_dword v93, off, s[0:3], 0 offset:180
	buffer_load_dword v92, off, s[0:3], 0 offset:176
	;; [unrolled: 1-line block ×14, first 2 shown]
	v_cmp_lt_u32_e32 vcc, 2, v0
	s_waitcnt vmcnt(45) lgkmcnt(7)
	v_mul_f32_e32 v109, v56, v55
	v_mul_f32_e32 v55, v57, v55
	s_waitcnt vmcnt(44)
	v_mul_f32_e32 v111, v58, v106
	s_waitcnt vmcnt(43) lgkmcnt(6)
	v_mul_f32_e32 v136, v60, v108
	s_waitcnt vmcnt(42)
	v_mul_f32_e32 v137, v62, v110
	s_waitcnt vmcnt(41) lgkmcnt(5)
	;; [unrolled: 4-line block ×5, first 2 shown]
	v_mul_f32_e32 v144, v76, v118
	s_waitcnt vmcnt(34)
	v_mul_f32_e32 v145, v78, v119
	s_waitcnt vmcnt(32)
	v_fma_f32 v55, v56, v121, -v55
	v_mul_f32_e32 v56, v59, v106
	v_add_f32_e32 v55, 0, v55
	s_waitcnt vmcnt(31)
	v_fma_f32 v56, v58, v122, -v56
	v_add_f32_e32 v55, v55, v56
	v_mul_f32_e32 v56, v61, v108
	s_waitcnt vmcnt(30)
	v_fma_f32 v56, v60, v123, -v56
	v_add_f32_e32 v55, v55, v56
	v_mul_f32_e32 v56, v63, v110
	;; [unrolled: 4-line block ×5, first 2 shown]
	v_fmac_f32_e32 v109, v57, v121
	s_waitcnt vmcnt(26)
	v_fma_f32 v56, v68, v127, -v56
	v_fmac_f32_e32 v111, v59, v122
	v_add_f32_e32 v109, 0, v109
	v_add_f32_e32 v55, v55, v56
	v_mul_f32_e32 v56, v71, v115
	v_fmac_f32_e32 v136, v61, v123
	v_add_f32_e32 v109, v109, v111
	s_waitcnt vmcnt(25)
	v_fma_f32 v56, v70, v128, -v56
	v_fmac_f32_e32 v137, v63, v124
	v_add_f32_e32 v109, v109, v136
	v_add_f32_e32 v55, v55, v56
	v_mul_f32_e32 v56, v73, v116
	v_fmac_f32_e32 v138, v65, v125
	v_add_f32_e32 v109, v109, v137
	;; [unrolled: 8-line block ×5, first 2 shown]
	s_waitcnt vmcnt(21)
	v_fma_f32 v56, v78, v132, -v56
	s_waitcnt vmcnt(15)
	v_mov_b32_e32 v68, v91
	s_waitcnt lgkmcnt(1)
	v_mul_f32_e32 v107, v80, v120
	v_fmac_f32_e32 v145, v79, v132
	v_add_f32_e32 v109, v109, v144
	v_add_f32_e32 v108, v55, v56
	v_mul_f32_e32 v55, v81, v120
	s_waitcnt lgkmcnt(0)
	v_pk_mul_f32 v[68:69], v[84:85], v[68:69] op_sel_hi:[1,0]
	v_fmac_f32_e32 v107, v81, v133
	v_add_f32_e32 v109, v109, v145
	v_mul_f32_e32 v111, v82, v134
	v_fma_f32 v106, v80, v133, -v55
	v_mul_f32_e32 v55, v83, v134
	s_waitcnt vmcnt(14)
	v_pk_fma_f32 v[70:71], v[84:85], v[90:91], v[68:69] op_sel:[0,0,1] op_sel_hi:[1,1,0] neg_lo:[0,0,1] neg_hi:[0,0,1]
	v_pk_fma_f32 v[68:69], v[84:85], v[90:91], v[68:69] op_sel:[0,0,1] op_sel_hi:[1,0,0]
	v_fmac_f32_e32 v111, v83, v135
	v_fma_f32 v110, v82, v135, -v55
	ds_read_b128 v[56:59], v54 offset:368
	ds_read_b128 v[60:63], v54 offset:384
	ds_read_b128 v[64:67], v54 offset:400
	v_pk_add_f32 v[54:55], v[108:109], v[106:107]
	s_waitcnt vmcnt(7)
	v_mov_b32_e32 v68, v99
	v_pk_add_f32 v[54:55], v[54:55], v[110:111]
	v_mov_b32_e32 v71, v69
	v_pk_mul_f32 v[68:69], v[86:87], v[68:69] op_sel_hi:[1,0]
	v_pk_add_f32 v[54:55], v[54:55], v[70:71]
	s_waitcnt vmcnt(6)
	v_pk_fma_f32 v[70:71], v[86:87], v[98:99], v[68:69] op_sel:[0,0,1] op_sel_hi:[1,1,0] neg_lo:[0,0,1] neg_hi:[0,0,1]
	v_pk_fma_f32 v[68:69], v[86:87], v[98:99], v[68:69] op_sel:[0,0,1] op_sel_hi:[1,0,0]
	v_mov_b32_e32 v68, v97
	v_mov_b32_e32 v71, v69
	s_waitcnt lgkmcnt(2)
	v_pk_mul_f32 v[68:69], v[56:57], v[68:69] op_sel_hi:[1,0]
	v_pk_add_f32 v[54:55], v[54:55], v[70:71]
	v_pk_fma_f32 v[70:71], v[56:57], v[96:97], v[68:69] op_sel:[0,0,1] op_sel_hi:[1,1,0] neg_lo:[0,0,1] neg_hi:[0,0,1]
	v_pk_fma_f32 v[56:57], v[56:57], v[96:97], v[68:69] op_sel:[0,0,1] op_sel_hi:[1,0,0]
	v_mov_b32_e32 v56, v95
	v_mov_b32_e32 v71, v57
	v_pk_mul_f32 v[56:57], v[58:59], v[56:57] op_sel_hi:[1,0]
	v_pk_fma_f32 v[68:69], v[58:59], v[94:95], v[56:57] op_sel:[0,0,1] op_sel_hi:[1,1,0] neg_lo:[0,0,1] neg_hi:[0,0,1]
	v_pk_fma_f32 v[56:57], v[58:59], v[94:95], v[56:57] op_sel:[0,0,1] op_sel_hi:[1,0,0]
	v_mov_b32_e32 v56, v93
	v_mov_b32_e32 v69, v57
	s_waitcnt lgkmcnt(1)
	v_pk_mul_f32 v[56:57], v[60:61], v[56:57] op_sel_hi:[1,0]
	v_pk_fma_f32 v[58:59], v[60:61], v[92:93], v[56:57] op_sel:[0,0,1] op_sel_hi:[1,1,0] neg_lo:[0,0,1] neg_hi:[0,0,1]
	v_pk_fma_f32 v[56:57], v[60:61], v[92:93], v[56:57] op_sel:[0,0,1] op_sel_hi:[1,0,0]
	v_pk_add_f32 v[54:55], v[54:55], v[70:71]
	s_waitcnt vmcnt(1)
	v_mov_b32_e32 v56, v105
	v_pk_add_f32 v[54:55], v[54:55], v[68:69]
	v_mov_b32_e32 v59, v57
	v_pk_mul_f32 v[56:57], v[62:63], v[56:57] op_sel_hi:[1,0]
	v_pk_add_f32 v[54:55], v[54:55], v[58:59]
	s_waitcnt vmcnt(0)
	v_pk_fma_f32 v[58:59], v[62:63], v[104:105], v[56:57] op_sel:[0,0,1] op_sel_hi:[1,1,0] neg_lo:[0,0,1] neg_hi:[0,0,1]
	v_pk_fma_f32 v[56:57], v[62:63], v[104:105], v[56:57] op_sel:[0,0,1] op_sel_hi:[1,0,0]
	v_mov_b32_e32 v56, v103
	v_mov_b32_e32 v59, v57
	s_waitcnt lgkmcnt(0)
	v_pk_mul_f32 v[56:57], v[64:65], v[56:57] op_sel_hi:[1,0]
	v_pk_add_f32 v[54:55], v[54:55], v[58:59]
	v_pk_fma_f32 v[58:59], v[64:65], v[102:103], v[56:57] op_sel:[0,0,1] op_sel_hi:[1,1,0] neg_lo:[0,0,1] neg_hi:[0,0,1]
	v_pk_fma_f32 v[56:57], v[64:65], v[102:103], v[56:57] op_sel:[0,0,1] op_sel_hi:[1,0,0]
	v_mov_b32_e32 v56, v101
	v_mov_b32_e32 v59, v57
	v_pk_mul_f32 v[56:57], v[66:67], v[56:57] op_sel_hi:[1,0]
	v_pk_add_f32 v[54:55], v[54:55], v[58:59]
	v_pk_fma_f32 v[58:59], v[66:67], v[100:101], v[56:57] op_sel:[0,0,1] op_sel_hi:[1,1,0] neg_lo:[0,0,1] neg_hi:[0,0,1]
	v_pk_fma_f32 v[56:57], v[66:67], v[100:101], v[56:57] op_sel:[0,0,1] op_sel_hi:[1,0,0]
	v_mov_b32_e32 v59, v57
	v_pk_add_f32 v[54:55], v[54:55], v[58:59]
	v_pk_add_f32 v[54:55], v[88:89], v[54:55] neg_lo:[0,1] neg_hi:[0,1]
	buffer_store_dword v55, off, s[0:3], 0 offset:28
	buffer_store_dword v54, off, s[0:3], 0 offset:24
	s_and_saveexec_b64 s[4:5], vcc
	s_cbranch_execz .LBB89_165
; %bb.164:
	buffer_load_dword v54, off, s[0:3], 0 offset:16
	buffer_load_dword v55, off, s[0:3], 0 offset:20
	v_mov_b32_e32 v56, 0
	buffer_store_dword v56, off, s[0:3], 0 offset:16
	buffer_store_dword v56, off, s[0:3], 0 offset:20
	s_waitcnt vmcnt(2)
	ds_write_b64 v1, v[54:55]
.LBB89_165:
	s_or_b64 exec, exec, s[4:5]
	s_waitcnt lgkmcnt(0)
	; wave barrier
	s_waitcnt lgkmcnt(0)
	buffer_load_dword v55, off, s[0:3], 0 offset:28
	buffer_load_dword v104, off, s[0:3], 0 offset:36
	;; [unrolled: 1-line block ×32, first 2 shown]
	v_mov_b32_e32 v54, 0
	buffer_load_dword v91, off, s[0:3], 0 offset:172
	buffer_load_dword v90, off, s[0:3], 0 offset:168
	;; [unrolled: 1-line block ×13, first 2 shown]
	ds_read2_b64 v[56:59], v54 offset0:29 offset1:30
	ds_read2_b64 v[60:63], v54 offset0:31 offset1:32
	;; [unrolled: 1-line block ×8, first 2 shown]
	v_cmp_lt_u32_e32 vcc, 1, v0
	s_waitcnt vmcnt(44) lgkmcnt(7)
	v_mul_f32_e32 v98, v56, v55
	s_waitcnt vmcnt(43)
	v_mul_f32_e32 v105, v58, v104
	s_waitcnt vmcnt(42) lgkmcnt(6)
	v_mul_f32_e32 v106, v60, v108
	s_waitcnt vmcnt(41)
	v_mul_f32_e32 v107, v62, v110
	;; [unrolled: 4-line block ×6, first 2 shown]
	s_waitcnt vmcnt(32) lgkmcnt(1)
	v_mul_f32_e32 v144, v80, v120
	s_waitcnt vmcnt(31)
	v_fmac_f32_e32 v98, v57, v121
	s_waitcnt vmcnt(30)
	v_fmac_f32_e32 v105, v59, v122
	v_add_f32_e32 v98, 0, v98
	s_waitcnt vmcnt(29)
	v_fmac_f32_e32 v106, v61, v123
	v_add_f32_e32 v98, v98, v105
	s_waitcnt vmcnt(28)
	v_fmac_f32_e32 v107, v63, v124
	v_add_f32_e32 v98, v98, v106
	s_waitcnt vmcnt(27)
	v_fmac_f32_e32 v109, v65, v125
	v_add_f32_e32 v98, v98, v107
	s_waitcnt vmcnt(26)
	v_fmac_f32_e32 v111, v67, v126
	v_add_f32_e32 v98, v98, v109
	s_waitcnt vmcnt(25)
	v_fmac_f32_e32 v138, v69, v127
	v_add_f32_e32 v98, v98, v111
	s_waitcnt vmcnt(24)
	v_fmac_f32_e32 v139, v71, v128
	v_add_f32_e32 v98, v98, v138
	s_waitcnt vmcnt(23)
	v_fmac_f32_e32 v140, v73, v129
	v_add_f32_e32 v98, v98, v139
	s_waitcnt vmcnt(22)
	v_fmac_f32_e32 v141, v75, v130
	v_add_f32_e32 v98, v98, v140
	s_waitcnt vmcnt(21)
	v_fmac_f32_e32 v142, v77, v131
	v_add_f32_e32 v98, v98, v141
	s_waitcnt vmcnt(20)
	v_fmac_f32_e32 v143, v79, v132
	v_add_f32_e32 v98, v98, v142
	s_waitcnt vmcnt(19)
	v_fmac_f32_e32 v144, v81, v133
	v_add_f32_e32 v98, v98, v143
	v_add_f32_e32 v105, v98, v144
	buffer_load_dword v107, off, s[0:3], 0 offset:188
	buffer_load_dword v106, off, s[0:3], 0 offset:184
	;; [unrolled: 1-line block ×3, first 2 shown]
	v_mul_f32_e32 v55, v57, v55
	v_fma_f32 v55, v56, v121, -v55
	v_mul_f32_e32 v56, v59, v104
	v_add_f32_e32 v55, 0, v55
	v_fma_f32 v56, v58, v122, -v56
	v_add_f32_e32 v55, v55, v56
	v_mul_f32_e32 v56, v61, v108
	v_fma_f32 v56, v60, v123, -v56
	v_add_f32_e32 v55, v55, v56
	v_mul_f32_e32 v56, v63, v110
	;; [unrolled: 3-line block ×11, first 2 shown]
	v_fma_f32 v56, v80, v133, -v56
	s_waitcnt vmcnt(9)
	v_mov_b32_e32 v72, v97
	v_mul_f32_e32 v109, v82, v134
	v_add_f32_e32 v104, v55, v56
	v_mul_f32_e32 v55, v83, v134
	s_waitcnt lgkmcnt(0)
	v_pk_mul_f32 v[72:73], v[86:87], v[72:73] op_sel_hi:[1,0]
	v_fmac_f32_e32 v109, v83, v135
	v_mul_f32_e32 v111, v84, v136
	v_fma_f32 v108, v82, v135, -v55
	v_mul_f32_e32 v55, v85, v136
	ds_read2_b64 v[56:59], v54 offset0:45 offset1:46
	ds_read2_b64 v[60:63], v54 offset0:47 offset1:48
	;; [unrolled: 1-line block ×3, first 2 shown]
	ds_read_b64 v[68:69], v54 offset:408
	s_waitcnt vmcnt(8)
	v_pk_fma_f32 v[74:75], v[86:87], v[96:97], v[72:73] op_sel:[0,0,1] op_sel_hi:[1,1,0] neg_lo:[0,0,1] neg_hi:[0,0,1]
	v_pk_fma_f32 v[72:73], v[86:87], v[96:97], v[72:73] op_sel:[0,0,1] op_sel_hi:[1,0,0]
	v_fmac_f32_e32 v111, v85, v137
	v_fma_f32 v110, v84, v137, -v55
	v_pk_add_f32 v[70:71], v[104:105], v[108:109]
	v_mov_b32_e32 v72, v95
	v_pk_add_f32 v[70:71], v[70:71], v[110:111]
	v_mov_b32_e32 v75, v73
	s_waitcnt lgkmcnt(3)
	v_pk_mul_f32 v[72:73], v[56:57], v[72:73] op_sel_hi:[1,0]
	v_pk_add_f32 v[70:71], v[70:71], v[74:75]
	v_pk_fma_f32 v[74:75], v[56:57], v[94:95], v[72:73] op_sel:[0,0,1] op_sel_hi:[1,1,0] neg_lo:[0,0,1] neg_hi:[0,0,1]
	v_pk_fma_f32 v[56:57], v[56:57], v[94:95], v[72:73] op_sel:[0,0,1] op_sel_hi:[1,0,0]
	v_mov_b32_e32 v75, v57
	v_pk_add_f32 v[56:57], v[70:71], v[74:75]
	v_mov_b32_e32 v70, v93
	v_pk_mul_f32 v[70:71], v[58:59], v[70:71] op_sel_hi:[1,0]
	v_pk_fma_f32 v[72:73], v[58:59], v[92:93], v[70:71] op_sel:[0,0,1] op_sel_hi:[1,1,0] neg_lo:[0,0,1] neg_hi:[0,0,1]
	v_pk_fma_f32 v[58:59], v[58:59], v[92:93], v[70:71] op_sel:[0,0,1] op_sel_hi:[1,0,0]
	v_mov_b32_e32 v58, v91
	v_mov_b32_e32 v73, v59
	s_waitcnt lgkmcnt(2)
	v_pk_mul_f32 v[58:59], v[60:61], v[58:59] op_sel_hi:[1,0]
	v_pk_fma_f32 v[70:71], v[60:61], v[90:91], v[58:59] op_sel:[0,0,1] op_sel_hi:[1,1,0] neg_lo:[0,0,1] neg_hi:[0,0,1]
	v_pk_fma_f32 v[58:59], v[60:61], v[90:91], v[58:59] op_sel:[0,0,1] op_sel_hi:[1,0,0]
	s_waitcnt vmcnt(7)
	v_mov_b32_e32 v58, v99
	v_mov_b32_e32 v71, v59
	v_pk_mul_f32 v[58:59], v[62:63], v[58:59] op_sel_hi:[1,0]
	v_pk_add_f32 v[56:57], v[56:57], v[72:73]
	v_pk_add_f32 v[56:57], v[56:57], v[70:71]
	s_waitcnt vmcnt(0)
	v_pk_fma_f32 v[60:61], v[62:63], v[98:99], v[58:59] op_sel:[0,0,1] op_sel_hi:[1,1,0] neg_lo:[0,0,1] neg_hi:[0,0,1]
	v_pk_fma_f32 v[58:59], v[62:63], v[98:99], v[58:59] op_sel:[0,0,1] op_sel_hi:[1,0,0]
	v_mov_b32_e32 v58, v107
	v_mov_b32_e32 v61, v59
	s_waitcnt lgkmcnt(1)
	v_pk_mul_f32 v[58:59], v[64:65], v[58:59] op_sel_hi:[1,0]
	v_pk_add_f32 v[56:57], v[56:57], v[60:61]
	v_pk_fma_f32 v[60:61], v[64:65], v[106:107], v[58:59] op_sel:[0,0,1] op_sel_hi:[1,1,0] neg_lo:[0,0,1] neg_hi:[0,0,1]
	v_pk_fma_f32 v[58:59], v[64:65], v[106:107], v[58:59] op_sel:[0,0,1] op_sel_hi:[1,0,0]
	v_mov_b32_e32 v58, v103
	v_mov_b32_e32 v61, v59
	v_pk_mul_f32 v[58:59], v[66:67], v[58:59] op_sel_hi:[1,0]
	v_pk_add_f32 v[56:57], v[56:57], v[60:61]
	v_pk_fma_f32 v[60:61], v[66:67], v[102:103], v[58:59] op_sel:[0,0,1] op_sel_hi:[1,1,0] neg_lo:[0,0,1] neg_hi:[0,0,1]
	v_pk_fma_f32 v[58:59], v[66:67], v[102:103], v[58:59] op_sel:[0,0,1] op_sel_hi:[1,0,0]
	v_mov_b32_e32 v58, v101
	v_mov_b32_e32 v61, v59
	s_waitcnt lgkmcnt(0)
	v_pk_mul_f32 v[58:59], v[68:69], v[58:59] op_sel_hi:[1,0]
	v_pk_add_f32 v[56:57], v[56:57], v[60:61]
	v_pk_fma_f32 v[60:61], v[68:69], v[100:101], v[58:59] op_sel:[0,0,1] op_sel_hi:[1,1,0] neg_lo:[0,0,1] neg_hi:[0,0,1]
	v_pk_fma_f32 v[58:59], v[68:69], v[100:101], v[58:59] op_sel:[0,0,1] op_sel_hi:[1,0,0]
	v_mov_b32_e32 v61, v59
	v_pk_add_f32 v[56:57], v[56:57], v[60:61]
	v_pk_add_f32 v[56:57], v[88:89], v[56:57] neg_lo:[0,1] neg_hi:[0,1]
	buffer_store_dword v57, off, s[0:3], 0 offset:20
	buffer_store_dword v56, off, s[0:3], 0 offset:16
	s_and_saveexec_b64 s[4:5], vcc
	s_cbranch_execz .LBB89_167
; %bb.166:
	buffer_load_dword v56, off, s[0:3], 0 offset:8
	buffer_load_dword v57, off, s[0:3], 0 offset:12
	s_waitcnt vmcnt(0)
	ds_write_b64 v1, v[56:57]
	buffer_store_dword v54, off, s[0:3], 0 offset:8
	buffer_store_dword v54, off, s[0:3], 0 offset:12
.LBB89_167:
	s_or_b64 exec, exec, s[4:5]
	s_waitcnt lgkmcnt(0)
	; wave barrier
	s_waitcnt lgkmcnt(0)
	buffer_load_dword v55, off, s[0:3], 0 offset:20
	buffer_load_dword v104, off, s[0:3], 0 offset:28
	;; [unrolled: 1-line block ×34, first 2 shown]
	ds_read_b128 v[56:59], v54 offset:224
	ds_read_b128 v[60:63], v54 offset:240
	;; [unrolled: 1-line block ×8, first 2 shown]
	buffer_load_dword v91, off, s[0:3], 0 offset:164
	buffer_load_dword v90, off, s[0:3], 0 offset:160
	;; [unrolled: 1-line block ×9, first 2 shown]
	v_cmp_ne_u32_e32 vcc, 0, v0
	s_waitcnt vmcnt(42) lgkmcnt(7)
	v_mul_f32_e32 v96, v56, v55
	s_waitcnt vmcnt(41)
	v_mul_f32_e32 v100, v58, v104
	s_waitcnt vmcnt(40) lgkmcnt(6)
	v_mul_f32_e32 v101, v60, v106
	s_waitcnt vmcnt(39)
	v_mul_f32_e32 v102, v62, v108
	;; [unrolled: 4-line block ×6, first 2 shown]
	s_waitcnt vmcnt(30) lgkmcnt(1)
	v_mul_f32_e32 v142, v80, v120
	v_mul_f32_e32 v55, v57, v55
	s_waitcnt vmcnt(28)
	v_fmac_f32_e32 v96, v57, v122
	s_waitcnt vmcnt(27)
	v_fmac_f32_e32 v100, v59, v123
	v_add_f32_e32 v96, 0, v96
	s_waitcnt vmcnt(26)
	v_fmac_f32_e32 v101, v61, v124
	v_add_f32_e32 v96, v96, v100
	;; [unrolled: 3-line block ×12, first 2 shown]
	v_add_f32_e32 v105, v96, v142
	buffer_load_dword v101, off, s[0:3], 0 offset:188
	buffer_load_dword v100, off, s[0:3], 0 offset:184
	;; [unrolled: 1-line block ×7, first 2 shown]
	v_fma_f32 v55, v56, v122, -v55
	v_mul_f32_e32 v56, v59, v104
	v_add_f32_e32 v55, 0, v55
	v_fma_f32 v56, v58, v123, -v56
	v_add_f32_e32 v55, v55, v56
	v_mul_f32_e32 v56, v61, v106
	v_fma_f32 v56, v60, v124, -v56
	v_add_f32_e32 v55, v55, v56
	v_mul_f32_e32 v56, v63, v108
	;; [unrolled: 3-line block ×12, first 2 shown]
	s_waitcnt vmcnt(22)
	v_fma_f32 v56, v82, v135, -v56
	v_add_f32_e32 v104, v55, v56
	ds_read_b128 v[56:59], v54 offset:352
	ds_read_b128 v[60:63], v54 offset:368
	ds_read_b128 v[64:67], v54 offset:384
	ds_read_b128 v[68:71], v54 offset:400
	s_waitcnt vmcnt(11)
	v_mov_b32_e32 v72, v95
	s_waitcnt lgkmcnt(3)
	v_pk_mul_f32 v[72:73], v[56:57], v[72:73] op_sel_hi:[1,0]
	s_waitcnt vmcnt(10)
	v_pk_fma_f32 v[74:75], v[56:57], v[94:95], v[72:73] op_sel:[0,0,1] op_sel_hi:[1,1,0] neg_lo:[0,0,1] neg_hi:[0,0,1]
	v_pk_fma_f32 v[56:57], v[56:57], v[94:95], v[72:73] op_sel:[0,0,1] op_sel_hi:[1,0,0]
	v_mov_b32_e32 v56, v93
	v_mul_f32_e32 v143, v82, v121
	v_mov_b32_e32 v75, v57
	v_pk_mul_f32 v[56:57], v[58:59], v[56:57] op_sel_hi:[1,0]
	v_fmac_f32_e32 v143, v83, v135
	v_mul_f32_e32 v107, v84, v136
	v_mul_f32_e32 v55, v85, v136
	v_pk_fma_f32 v[72:73], v[58:59], v[92:93], v[56:57] op_sel:[0,0,1] op_sel_hi:[1,1,0] neg_lo:[0,0,1] neg_hi:[0,0,1]
	v_pk_fma_f32 v[56:57], v[58:59], v[92:93], v[56:57] op_sel:[0,0,1] op_sel_hi:[1,0,0]
	v_add_f32_e32 v105, v105, v143
	v_fmac_f32_e32 v107, v85, v137
	v_mul_f32_e32 v109, v86, v138
	v_fma_f32 v106, v84, v137, -v55
	v_mul_f32_e32 v55, v87, v138
	v_mov_b32_e32 v56, v91
	v_fmac_f32_e32 v109, v87, v139
	v_fma_f32 v108, v86, v139, -v55
	v_pk_add_f32 v[54:55], v[104:105], v[106:107]
	v_mov_b32_e32 v73, v57
	s_waitcnt lgkmcnt(2)
	v_pk_mul_f32 v[56:57], v[60:61], v[56:57] op_sel_hi:[1,0]
	v_pk_add_f32 v[54:55], v[54:55], v[108:109]
	v_pk_fma_f32 v[58:59], v[60:61], v[90:91], v[56:57] op_sel:[0,0,1] op_sel_hi:[1,1,0] neg_lo:[0,0,1] neg_hi:[0,0,1]
	v_pk_fma_f32 v[56:57], v[60:61], v[90:91], v[56:57] op_sel:[0,0,1] op_sel_hi:[1,0,0]
	v_pk_add_f32 v[54:55], v[54:55], v[74:75]
	s_waitcnt vmcnt(9)
	v_mov_b32_e32 v56, v97
	v_pk_add_f32 v[54:55], v[54:55], v[72:73]
	v_mov_b32_e32 v59, v57
	v_pk_mul_f32 v[56:57], v[62:63], v[56:57] op_sel_hi:[1,0]
	v_pk_add_f32 v[54:55], v[54:55], v[58:59]
	s_waitcnt vmcnt(2)
	v_pk_fma_f32 v[58:59], v[62:63], v[96:97], v[56:57] op_sel:[0,0,1] op_sel_hi:[1,1,0] neg_lo:[0,0,1] neg_hi:[0,0,1]
	v_pk_fma_f32 v[56:57], v[62:63], v[96:97], v[56:57] op_sel:[0,0,1] op_sel_hi:[1,0,0]
	v_mov_b32_e32 v56, v103
	v_mov_b32_e32 v59, v57
	s_waitcnt lgkmcnt(1)
	v_pk_mul_f32 v[56:57], v[64:65], v[56:57] op_sel_hi:[1,0]
	v_pk_add_f32 v[54:55], v[54:55], v[58:59]
	v_pk_fma_f32 v[58:59], v[64:65], v[102:103], v[56:57] op_sel:[0,0,1] op_sel_hi:[1,1,0] neg_lo:[0,0,1] neg_hi:[0,0,1]
	v_pk_fma_f32 v[56:57], v[64:65], v[102:103], v[56:57] op_sel:[0,0,1] op_sel_hi:[1,0,0]
	v_mov_b32_e32 v56, v101
	v_mov_b32_e32 v59, v57
	v_pk_mul_f32 v[56:57], v[66:67], v[56:57] op_sel_hi:[1,0]
	v_pk_add_f32 v[54:55], v[54:55], v[58:59]
	v_pk_fma_f32 v[58:59], v[66:67], v[100:101], v[56:57] op_sel:[0,0,1] op_sel_hi:[1,1,0] neg_lo:[0,0,1] neg_hi:[0,0,1]
	v_pk_fma_f32 v[56:57], v[66:67], v[100:101], v[56:57] op_sel:[0,0,1] op_sel_hi:[1,0,0]
	v_mov_b32_e32 v56, v99
	v_mov_b32_e32 v59, v57
	s_waitcnt lgkmcnt(0)
	v_pk_mul_f32 v[56:57], v[68:69], v[56:57] op_sel_hi:[1,0]
	v_pk_add_f32 v[54:55], v[54:55], v[58:59]
	v_pk_fma_f32 v[58:59], v[68:69], v[98:99], v[56:57] op_sel:[0,0,1] op_sel_hi:[1,1,0] neg_lo:[0,0,1] neg_hi:[0,0,1]
	v_pk_fma_f32 v[56:57], v[68:69], v[98:99], v[56:57] op_sel:[0,0,1] op_sel_hi:[1,0,0]
	s_waitcnt vmcnt(1)
	v_mov_b32_e32 v56, v111
	v_mov_b32_e32 v59, v57
	v_pk_mul_f32 v[56:57], v[70:71], v[56:57] op_sel_hi:[1,0]
	v_pk_add_f32 v[54:55], v[54:55], v[58:59]
	s_waitcnt vmcnt(0)
	v_pk_fma_f32 v[58:59], v[70:71], v[110:111], v[56:57] op_sel:[0,0,1] op_sel_hi:[1,1,0] neg_lo:[0,0,1] neg_hi:[0,0,1]
	v_pk_fma_f32 v[56:57], v[70:71], v[110:111], v[56:57] op_sel:[0,0,1] op_sel_hi:[1,0,0]
	v_mov_b32_e32 v59, v57
	v_pk_add_f32 v[54:55], v[54:55], v[58:59]
	v_pk_add_f32 v[54:55], v[88:89], v[54:55] neg_lo:[0,1] neg_hi:[0,1]
	buffer_store_dword v55, off, s[0:3], 0 offset:12
	buffer_store_dword v54, off, s[0:3], 0 offset:8
	s_and_saveexec_b64 s[4:5], vcc
	s_cbranch_execz .LBB89_169
; %bb.168:
	buffer_load_dword v54, off, s[0:3], 0
	buffer_load_dword v55, off, s[0:3], 0 offset:4
	v_mov_b32_e32 v0, 0
	buffer_store_dword v0, off, s[0:3], 0
	buffer_store_dword v0, off, s[0:3], 0 offset:4
	s_waitcnt vmcnt(2)
	ds_write_b64 v1, v[54:55]
.LBB89_169:
	s_or_b64 exec, exec, s[4:5]
	s_waitcnt lgkmcnt(0)
	; wave barrier
	s_waitcnt lgkmcnt(0)
	buffer_load_dword v106, off, s[0:3], 0 offset:12
	buffer_load_dword v108, off, s[0:3], 0 offset:20
	;; [unrolled: 1-line block ×34, first 2 shown]
	buffer_load_dword v0, off, s[0:3], 0
	buffer_load_dword v1, off, s[0:3], 0 offset:4
	v_mov_b32_e32 v147, 0
	buffer_load_dword v95, off, s[0:3], 0 offset:156
	buffer_load_dword v94, off, s[0:3], 0 offset:152
	buffer_load_dword v97, off, s[0:3], 0 offset:148
	buffer_load_dword v96, off, s[0:3], 0 offset:144
	buffer_load_dword v99, off, s[0:3], 0 offset:164
	ds_read2_b64 v[54:57], v147 offset0:27 offset1:28
	ds_read2_b64 v[58:61], v147 offset0:29 offset1:30
	;; [unrolled: 1-line block ×8, first 2 shown]
	s_and_b64 vcc, exec, s[16:17]
	s_waitcnt vmcnt(40) lgkmcnt(7)
	v_mul_f32_e32 v86, v54, v106
	s_waitcnt vmcnt(39)
	v_mul_f32_e32 v87, v56, v108
	s_waitcnt vmcnt(38) lgkmcnt(6)
	v_mul_f32_e32 v88, v58, v110
	s_waitcnt vmcnt(37)
	v_mul_f32_e32 v89, v60, v116
	;; [unrolled: 4-line block ×7, first 2 shown]
	s_waitcnt vmcnt(26) lgkmcnt(0)
	v_mul_f32_e32 v107, v82, v127
	s_waitcnt vmcnt(25)
	v_fmac_f32_e32 v86, v55, v128
	s_waitcnt vmcnt(24)
	v_fmac_f32_e32 v87, v57, v129
	v_add_f32_e32 v86, 0, v86
	s_waitcnt vmcnt(23)
	v_fmac_f32_e32 v88, v59, v130
	v_add_f32_e32 v86, v86, v87
	;; [unrolled: 3-line block ×13, first 2 shown]
	v_add_f32_e32 v90, v86, v104
	buffer_load_dword v101, off, s[0:3], 0 offset:188
	buffer_load_dword v100, off, s[0:3], 0 offset:184
	buffer_load_dword v103, off, s[0:3], 0 offset:180
	buffer_load_dword v102, off, s[0:3], 0 offset:176
	buffer_load_dword v105, off, s[0:3], 0 offset:172
	buffer_load_dword v104, off, s[0:3], 0 offset:168
	buffer_load_dword v98, off, s[0:3], 0 offset:160
	s_waitcnt vmcnt(18)
	v_fmac_f32_e32 v107, v83, v142
	ds_read2_b64 v[86:89], v147 offset0:43 offset1:44
	v_add_f32_e32 v107, v90, v107
	ds_read2_b64 v[90:93], v147 offset0:45 offset1:46
	buffer_load_dword v113, off, s[0:3], 0 offset:204
	buffer_load_dword v112, off, s[0:3], 0 offset:200
	;; [unrolled: 1-line block ×4, first 2 shown]
	v_mul_f32_e32 v55, v55, v106
	v_fma_f32 v54, v54, v128, -v55
	v_mul_f32_e32 v55, v57, v108
	v_add_f32_e32 v54, 0, v54
	v_fma_f32 v55, v56, v129, -v55
	v_add_f32_e32 v54, v54, v55
	v_mul_f32_e32 v55, v59, v110
	v_fma_f32 v55, v58, v130, -v55
	v_add_f32_e32 v54, v54, v55
	v_mul_f32_e32 v55, v61, v116
	;; [unrolled: 3-line block ×13, first 2 shown]
	v_fma_f32 v55, v82, v142, -v55
	s_waitcnt vmcnt(13)
	v_mov_b32_e32 v66, v97
	v_mul_f32_e32 v109, v84, v143
	v_add_f32_e32 v106, v54, v55
	v_mul_f32_e32 v54, v85, v143
	s_waitcnt lgkmcnt(1)
	v_pk_mul_f32 v[66:67], v[88:89], v[66:67] op_sel_hi:[1,0]
	v_fmac_f32_e32 v109, v85, v144
	v_mul_f32_e32 v111, v86, v145
	v_fma_f32 v108, v84, v144, -v54
	v_mul_f32_e32 v54, v87, v145
	s_waitcnt vmcnt(12)
	v_pk_fma_f32 v[68:69], v[88:89], v[96:97], v[66:67] op_sel:[0,0,1] op_sel_hi:[1,1,0] neg_lo:[0,0,1] neg_hi:[0,0,1]
	v_pk_fma_f32 v[66:67], v[88:89], v[96:97], v[66:67] op_sel:[0,0,1] op_sel_hi:[1,0,0]
	v_fmac_f32_e32 v111, v87, v146
	v_fma_f32 v110, v86, v146, -v54
	v_pk_add_f32 v[64:65], v[106:107], v[108:109]
	v_mov_b32_e32 v66, v95
	v_pk_add_f32 v[64:65], v[64:65], v[110:111]
	v_mov_b32_e32 v69, v67
	s_waitcnt lgkmcnt(0)
	v_pk_mul_f32 v[66:67], v[90:91], v[66:67] op_sel_hi:[1,0]
	v_pk_add_f32 v[64:65], v[64:65], v[68:69]
	v_pk_fma_f32 v[68:69], v[90:91], v[94:95], v[66:67] op_sel:[0,0,1] op_sel_hi:[1,1,0] neg_lo:[0,0,1] neg_hi:[0,0,1]
	v_pk_fma_f32 v[66:67], v[90:91], v[94:95], v[66:67] op_sel:[0,0,1] op_sel_hi:[1,0,0]
	s_waitcnt vmcnt(11)
	v_mov_b32_e32 v66, v99
	ds_read2_b64 v[54:57], v147 offset0:47 offset1:48
	ds_read2_b64 v[58:61], v147 offset0:49 offset1:50
	ds_read_b64 v[62:63], v147 offset:408
	v_mov_b32_e32 v69, v67
	v_pk_mul_f32 v[66:67], v[92:93], v[66:67] op_sel_hi:[1,0]
	v_pk_add_f32 v[64:65], v[64:65], v[68:69]
	s_waitcnt vmcnt(4)
	v_pk_fma_f32 v[68:69], v[92:93], v[98:99], v[66:67] op_sel:[0,0,1] op_sel_hi:[1,1,0] neg_lo:[0,0,1] neg_hi:[0,0,1]
	v_pk_fma_f32 v[66:67], v[92:93], v[98:99], v[66:67] op_sel:[0,0,1] op_sel_hi:[1,0,0]
	v_mov_b32_e32 v66, v105
	v_mov_b32_e32 v69, v67
	s_waitcnt lgkmcnt(2)
	v_pk_mul_f32 v[66:67], v[54:55], v[66:67] op_sel_hi:[1,0]
	v_pk_add_f32 v[64:65], v[64:65], v[68:69]
	v_pk_fma_f32 v[68:69], v[54:55], v[104:105], v[66:67] op_sel:[0,0,1] op_sel_hi:[1,1,0] neg_lo:[0,0,1] neg_hi:[0,0,1]
	v_pk_fma_f32 v[54:55], v[54:55], v[104:105], v[66:67] op_sel:[0,0,1] op_sel_hi:[1,0,0]
	v_mov_b32_e32 v69, v55
	v_pk_add_f32 v[54:55], v[64:65], v[68:69]
	v_mov_b32_e32 v64, v103
	v_pk_mul_f32 v[64:65], v[56:57], v[64:65] op_sel_hi:[1,0]
	v_pk_fma_f32 v[66:67], v[56:57], v[102:103], v[64:65] op_sel:[0,0,1] op_sel_hi:[1,1,0] neg_lo:[0,0,1] neg_hi:[0,0,1]
	v_pk_fma_f32 v[56:57], v[56:57], v[102:103], v[64:65] op_sel:[0,0,1] op_sel_hi:[1,0,0]
	v_mov_b32_e32 v56, v101
	v_mov_b32_e32 v67, v57
	s_waitcnt lgkmcnt(1)
	v_pk_mul_f32 v[56:57], v[58:59], v[56:57] op_sel_hi:[1,0]
	v_pk_fma_f32 v[64:65], v[58:59], v[100:101], v[56:57] op_sel:[0,0,1] op_sel_hi:[1,1,0] neg_lo:[0,0,1] neg_hi:[0,0,1]
	v_pk_fma_f32 v[56:57], v[58:59], v[100:101], v[56:57] op_sel:[0,0,1] op_sel_hi:[1,0,0]
	s_waitcnt vmcnt(1)
	v_mov_b32_e32 v56, v115
	v_mov_b32_e32 v65, v57
	v_pk_mul_f32 v[56:57], v[60:61], v[56:57] op_sel_hi:[1,0]
	s_waitcnt vmcnt(0)
	v_pk_fma_f32 v[58:59], v[60:61], v[114:115], v[56:57] op_sel:[0,0,1] op_sel_hi:[1,1,0] neg_lo:[0,0,1] neg_hi:[0,0,1]
	v_pk_fma_f32 v[56:57], v[60:61], v[114:115], v[56:57] op_sel:[0,0,1] op_sel_hi:[1,0,0]
	v_pk_add_f32 v[54:55], v[54:55], v[66:67]
	v_mov_b32_e32 v56, v113
	v_pk_add_f32 v[54:55], v[54:55], v[64:65]
	v_mov_b32_e32 v59, v57
	s_waitcnt lgkmcnt(0)
	v_pk_mul_f32 v[56:57], v[62:63], v[56:57] op_sel_hi:[1,0]
	v_pk_add_f32 v[54:55], v[54:55], v[58:59]
	v_pk_fma_f32 v[58:59], v[62:63], v[112:113], v[56:57] op_sel:[0,0,1] op_sel_hi:[1,1,0] neg_lo:[0,0,1] neg_hi:[0,0,1]
	v_pk_fma_f32 v[56:57], v[62:63], v[112:113], v[56:57] op_sel:[0,0,1] op_sel_hi:[1,0,0]
	v_mov_b32_e32 v59, v57
	v_pk_add_f32 v[54:55], v[54:55], v[58:59]
	v_pk_add_f32 v[0:1], v[0:1], v[54:55] neg_lo:[0,1] neg_hi:[0,1]
	buffer_store_dword v1, off, s[0:3], 0 offset:4
	buffer_store_dword v0, off, s[0:3], 0
	s_cbranch_vccz .LBB89_221
; %bb.170:
	v_pk_mov_b32 v[0:1], s[10:11], s[10:11] op_sel:[0,1]
	flat_load_dword v0, v[0:1] offset:96
	s_waitcnt vmcnt(0) lgkmcnt(0)
	v_add_u32_e32 v0, -1, v0
	v_cmp_ne_u32_e32 vcc, 24, v0
	s_and_saveexec_b64 s[4:5], vcc
	s_cbranch_execz .LBB89_172
; %bb.171:
	v_mov_b32_e32 v1, 0
	v_lshl_add_u32 v0, v0, 3, v1
	buffer_load_dword v1, v0, s[0:3], 0 offen
	buffer_load_dword v54, v0, s[0:3], 0 offen offset:4
	buffer_load_dword v55, off, s[0:3], 0 offset:196
	buffer_load_dword v56, off, s[0:3], 0 offset:192
	s_waitcnt vmcnt(3)
	buffer_store_dword v1, off, s[0:3], 0 offset:192
	s_waitcnt vmcnt(3)
	buffer_store_dword v54, off, s[0:3], 0 offset:196
	s_waitcnt vmcnt(3)
	buffer_store_dword v55, v0, s[0:3], 0 offen offset:4
	s_waitcnt vmcnt(3)
	buffer_store_dword v56, v0, s[0:3], 0 offen
.LBB89_172:
	s_or_b64 exec, exec, s[4:5]
	v_pk_mov_b32 v[0:1], s[10:11], s[10:11] op_sel:[0,1]
	flat_load_dword v0, v[0:1] offset:92
	s_waitcnt vmcnt(0) lgkmcnt(0)
	v_add_u32_e32 v0, -1, v0
	v_cmp_ne_u32_e32 vcc, 23, v0
	s_and_saveexec_b64 s[4:5], vcc
	s_cbranch_execz .LBB89_174
; %bb.173:
	v_mov_b32_e32 v1, 0
	v_lshl_add_u32 v0, v0, 3, v1
	buffer_load_dword v1, v0, s[0:3], 0 offen
	buffer_load_dword v54, v0, s[0:3], 0 offen offset:4
	buffer_load_dword v55, off, s[0:3], 0 offset:184
	buffer_load_dword v56, off, s[0:3], 0 offset:188
	s_waitcnt vmcnt(3)
	buffer_store_dword v1, off, s[0:3], 0 offset:184
	s_waitcnt vmcnt(3)
	buffer_store_dword v54, off, s[0:3], 0 offset:188
	s_waitcnt vmcnt(3)
	buffer_store_dword v55, v0, s[0:3], 0 offen
	s_waitcnt vmcnt(3)
	buffer_store_dword v56, v0, s[0:3], 0 offen offset:4
.LBB89_174:
	s_or_b64 exec, exec, s[4:5]
	v_pk_mov_b32 v[0:1], s[10:11], s[10:11] op_sel:[0,1]
	flat_load_dword v0, v[0:1] offset:88
	s_waitcnt vmcnt(0) lgkmcnt(0)
	v_add_u32_e32 v0, -1, v0
	v_cmp_ne_u32_e32 vcc, 22, v0
	s_and_saveexec_b64 s[4:5], vcc
	s_cbranch_execz .LBB89_176
; %bb.175:
	v_mov_b32_e32 v1, 0
	v_lshl_add_u32 v0, v0, 3, v1
	buffer_load_dword v1, v0, s[0:3], 0 offen
	buffer_load_dword v54, v0, s[0:3], 0 offen offset:4
	buffer_load_dword v55, off, s[0:3], 0 offset:180
	buffer_load_dword v56, off, s[0:3], 0 offset:176
	s_waitcnt vmcnt(3)
	buffer_store_dword v1, off, s[0:3], 0 offset:176
	s_waitcnt vmcnt(3)
	buffer_store_dword v54, off, s[0:3], 0 offset:180
	s_waitcnt vmcnt(3)
	buffer_store_dword v55, v0, s[0:3], 0 offen offset:4
	s_waitcnt vmcnt(3)
	buffer_store_dword v56, v0, s[0:3], 0 offen
.LBB89_176:
	s_or_b64 exec, exec, s[4:5]
	v_pk_mov_b32 v[0:1], s[10:11], s[10:11] op_sel:[0,1]
	flat_load_dword v0, v[0:1] offset:84
	s_waitcnt vmcnt(0) lgkmcnt(0)
	v_add_u32_e32 v0, -1, v0
	v_cmp_ne_u32_e32 vcc, 21, v0
	s_and_saveexec_b64 s[4:5], vcc
	s_cbranch_execz .LBB89_178
; %bb.177:
	v_mov_b32_e32 v1, 0
	v_lshl_add_u32 v0, v0, 3, v1
	buffer_load_dword v1, v0, s[0:3], 0 offen
	buffer_load_dword v54, v0, s[0:3], 0 offen offset:4
	buffer_load_dword v55, off, s[0:3], 0 offset:168
	buffer_load_dword v56, off, s[0:3], 0 offset:172
	s_waitcnt vmcnt(3)
	buffer_store_dword v1, off, s[0:3], 0 offset:168
	s_waitcnt vmcnt(3)
	buffer_store_dword v54, off, s[0:3], 0 offset:172
	s_waitcnt vmcnt(3)
	buffer_store_dword v55, v0, s[0:3], 0 offen
	s_waitcnt vmcnt(3)
	buffer_store_dword v56, v0, s[0:3], 0 offen offset:4
.LBB89_178:
	s_or_b64 exec, exec, s[4:5]
	;; [unrolled: 48-line block ×12, first 2 shown]
	v_pk_mov_b32 v[0:1], s[10:11], s[10:11] op_sel:[0,1]
	flat_load_dword v54, v[0:1]
	s_nop 0
	buffer_load_dword v0, off, s[0:3], 0
	buffer_load_dword v1, off, s[0:3], 0 offset:4
	s_waitcnt vmcnt(0) lgkmcnt(0)
	v_add_u32_e32 v54, -1, v54
	v_cmp_ne_u32_e32 vcc, 0, v54
	s_and_saveexec_b64 s[4:5], vcc
	s_cbranch_execz .LBB89_220
; %bb.219:
	v_mov_b32_e32 v55, 0
	v_lshl_add_u32 v54, v54, 3, v55
	buffer_load_dword v55, v54, s[0:3], 0 offen offset:4
	buffer_load_dword v56, v54, s[0:3], 0 offen
	s_waitcnt vmcnt(1)
	buffer_store_dword v55, off, s[0:3], 0 offset:4
	s_waitcnt vmcnt(1)
	buffer_store_dword v56, off, s[0:3], 0
	buffer_store_dword v1, v54, s[0:3], 0 offen offset:4
	buffer_store_dword v0, v54, s[0:3], 0 offen
	buffer_load_dword v0, off, s[0:3], 0
	s_nop 0
	buffer_load_dword v1, off, s[0:3], 0 offset:4
.LBB89_220:
	s_or_b64 exec, exec, s[4:5]
.LBB89_221:
	buffer_load_dword v54, off, s[0:3], 0 offset:8
	buffer_load_dword v55, off, s[0:3], 0 offset:12
	buffer_load_dword v56, off, s[0:3], 0 offset:16
	buffer_load_dword v57, off, s[0:3], 0 offset:20
	buffer_load_dword v58, off, s[0:3], 0 offset:24
	buffer_load_dword v59, off, s[0:3], 0 offset:28
	buffer_load_dword v60, off, s[0:3], 0 offset:32
	buffer_load_dword v61, off, s[0:3], 0 offset:36
	buffer_load_dword v62, off, s[0:3], 0 offset:40
	buffer_load_dword v63, off, s[0:3], 0 offset:44
	buffer_load_dword v64, off, s[0:3], 0 offset:48
	buffer_load_dword v65, off, s[0:3], 0 offset:52
	buffer_load_dword v66, off, s[0:3], 0 offset:56
	buffer_load_dword v67, off, s[0:3], 0 offset:60
	buffer_load_dword v68, off, s[0:3], 0 offset:64
	buffer_load_dword v69, off, s[0:3], 0 offset:68
	buffer_load_dword v70, off, s[0:3], 0 offset:72
	buffer_load_dword v71, off, s[0:3], 0 offset:76
	buffer_load_dword v72, off, s[0:3], 0 offset:80
	buffer_load_dword v73, off, s[0:3], 0 offset:84
	buffer_load_dword v74, off, s[0:3], 0 offset:88
	buffer_load_dword v75, off, s[0:3], 0 offset:92
	buffer_load_dword v76, off, s[0:3], 0 offset:96
	buffer_load_dword v77, off, s[0:3], 0 offset:100
	buffer_load_dword v78, off, s[0:3], 0 offset:104
	buffer_load_dword v79, off, s[0:3], 0 offset:108
	buffer_load_dword v80, off, s[0:3], 0 offset:112
	buffer_load_dword v81, off, s[0:3], 0 offset:116
	buffer_load_dword v82, off, s[0:3], 0 offset:120
	buffer_load_dword v83, off, s[0:3], 0 offset:124
	buffer_load_dword v84, off, s[0:3], 0 offset:128
	buffer_load_dword v85, off, s[0:3], 0 offset:132
	buffer_load_dword v86, off, s[0:3], 0 offset:136
	buffer_load_dword v87, off, s[0:3], 0 offset:140
	buffer_load_dword v88, off, s[0:3], 0 offset:144
	buffer_load_dword v89, off, s[0:3], 0 offset:148
	buffer_load_dword v90, off, s[0:3], 0 offset:152
	buffer_load_dword v91, off, s[0:3], 0 offset:156
	buffer_load_dword v92, off, s[0:3], 0 offset:160
	buffer_load_dword v93, off, s[0:3], 0 offset:164
	buffer_load_dword v94, off, s[0:3], 0 offset:168
	buffer_load_dword v95, off, s[0:3], 0 offset:172
	buffer_load_dword v96, off, s[0:3], 0 offset:176
	buffer_load_dword v97, off, s[0:3], 0 offset:180
	buffer_load_dword v98, off, s[0:3], 0 offset:184
	buffer_load_dword v99, off, s[0:3], 0 offset:188
	buffer_load_dword v100, off, s[0:3], 0 offset:192
	buffer_load_dword v101, off, s[0:3], 0 offset:196
	buffer_load_dword v102, off, s[0:3], 0 offset:200
	buffer_load_dword v103, off, s[0:3], 0 offset:204
	s_waitcnt vmcnt(50)
	global_store_dwordx2 v[2:3], v[0:1], off
	s_waitcnt vmcnt(49)
	global_store_dwordx2 v[46:47], v[54:55], off
	;; [unrolled: 2-line block ×26, first 2 shown]
	s_endpgm
	.section	.rodata,"a",@progbits
	.p2align	6, 0x0
	.amdhsa_kernel _ZN9rocsolver6v33100L18getri_kernel_smallILi26E19rocblas_complex_numIfEPKPS3_EEvT1_iilPiilS8_bb
		.amdhsa_group_segment_fixed_size 420
		.amdhsa_private_segment_fixed_size 224
		.amdhsa_kernarg_size 60
		.amdhsa_user_sgpr_count 8
		.amdhsa_user_sgpr_private_segment_buffer 1
		.amdhsa_user_sgpr_dispatch_ptr 0
		.amdhsa_user_sgpr_queue_ptr 0
		.amdhsa_user_sgpr_kernarg_segment_ptr 1
		.amdhsa_user_sgpr_dispatch_id 0
		.amdhsa_user_sgpr_flat_scratch_init 1
		.amdhsa_user_sgpr_kernarg_preload_length 0
		.amdhsa_user_sgpr_kernarg_preload_offset 0
		.amdhsa_user_sgpr_private_segment_size 0
		.amdhsa_uses_dynamic_stack 0
		.amdhsa_system_sgpr_private_segment_wavefront_offset 1
		.amdhsa_system_sgpr_workgroup_id_x 1
		.amdhsa_system_sgpr_workgroup_id_y 0
		.amdhsa_system_sgpr_workgroup_id_z 0
		.amdhsa_system_sgpr_workgroup_info 0
		.amdhsa_system_vgpr_workitem_id 0
		.amdhsa_next_free_vgpr 148
		.amdhsa_next_free_sgpr 22
		.amdhsa_accum_offset 148
		.amdhsa_reserve_vcc 1
		.amdhsa_reserve_flat_scratch 1
		.amdhsa_float_round_mode_32 0
		.amdhsa_float_round_mode_16_64 0
		.amdhsa_float_denorm_mode_32 3
		.amdhsa_float_denorm_mode_16_64 3
		.amdhsa_dx10_clamp 1
		.amdhsa_ieee_mode 1
		.amdhsa_fp16_overflow 0
		.amdhsa_tg_split 0
		.amdhsa_exception_fp_ieee_invalid_op 0
		.amdhsa_exception_fp_denorm_src 0
		.amdhsa_exception_fp_ieee_div_zero 0
		.amdhsa_exception_fp_ieee_overflow 0
		.amdhsa_exception_fp_ieee_underflow 0
		.amdhsa_exception_fp_ieee_inexact 0
		.amdhsa_exception_int_div_zero 0
	.end_amdhsa_kernel
	.section	.text._ZN9rocsolver6v33100L18getri_kernel_smallILi26E19rocblas_complex_numIfEPKPS3_EEvT1_iilPiilS8_bb,"axG",@progbits,_ZN9rocsolver6v33100L18getri_kernel_smallILi26E19rocblas_complex_numIfEPKPS3_EEvT1_iilPiilS8_bb,comdat
.Lfunc_end89:
	.size	_ZN9rocsolver6v33100L18getri_kernel_smallILi26E19rocblas_complex_numIfEPKPS3_EEvT1_iilPiilS8_bb, .Lfunc_end89-_ZN9rocsolver6v33100L18getri_kernel_smallILi26E19rocblas_complex_numIfEPKPS3_EEvT1_iilPiilS8_bb
                                        ; -- End function
	.section	.AMDGPU.csdata,"",@progbits
; Kernel info:
; codeLenInByte = 34888
; NumSgprs: 28
; NumVgprs: 148
; NumAgprs: 0
; TotalNumVgprs: 148
; ScratchSize: 224
; MemoryBound: 0
; FloatMode: 240
; IeeeMode: 1
; LDSByteSize: 420 bytes/workgroup (compile time only)
; SGPRBlocks: 3
; VGPRBlocks: 18
; NumSGPRsForWavesPerEU: 28
; NumVGPRsForWavesPerEU: 148
; AccumOffset: 148
; Occupancy: 3
; WaveLimiterHint : 1
; COMPUTE_PGM_RSRC2:SCRATCH_EN: 1
; COMPUTE_PGM_RSRC2:USER_SGPR: 8
; COMPUTE_PGM_RSRC2:TRAP_HANDLER: 0
; COMPUTE_PGM_RSRC2:TGID_X_EN: 1
; COMPUTE_PGM_RSRC2:TGID_Y_EN: 0
; COMPUTE_PGM_RSRC2:TGID_Z_EN: 0
; COMPUTE_PGM_RSRC2:TIDIG_COMP_CNT: 0
; COMPUTE_PGM_RSRC3_GFX90A:ACCUM_OFFSET: 36
; COMPUTE_PGM_RSRC3_GFX90A:TG_SPLIT: 0
	.section	.text._ZN9rocsolver6v33100L18getri_kernel_smallILi27E19rocblas_complex_numIfEPKPS3_EEvT1_iilPiilS8_bb,"axG",@progbits,_ZN9rocsolver6v33100L18getri_kernel_smallILi27E19rocblas_complex_numIfEPKPS3_EEvT1_iilPiilS8_bb,comdat
	.globl	_ZN9rocsolver6v33100L18getri_kernel_smallILi27E19rocblas_complex_numIfEPKPS3_EEvT1_iilPiilS8_bb ; -- Begin function _ZN9rocsolver6v33100L18getri_kernel_smallILi27E19rocblas_complex_numIfEPKPS3_EEvT1_iilPiilS8_bb
	.p2align	8
	.type	_ZN9rocsolver6v33100L18getri_kernel_smallILi27E19rocblas_complex_numIfEPKPS3_EEvT1_iilPiilS8_bb,@function
_ZN9rocsolver6v33100L18getri_kernel_smallILi27E19rocblas_complex_numIfEPKPS3_EEvT1_iilPiilS8_bb: ; @_ZN9rocsolver6v33100L18getri_kernel_smallILi27E19rocblas_complex_numIfEPKPS3_EEvT1_iilPiilS8_bb
; %bb.0:
	s_add_u32 flat_scratch_lo, s6, s9
	s_addc_u32 flat_scratch_hi, s7, 0
	s_add_u32 s0, s0, s9
	s_addc_u32 s1, s1, 0
	v_cmp_gt_u32_e32 vcc, 27, v0
	s_and_saveexec_b64 s[6:7], vcc
	s_cbranch_execz .LBB90_122
; %bb.1:
	s_load_dword s18, s[4:5], 0x38
	s_load_dwordx2 s[6:7], s[4:5], 0x0
	s_load_dwordx4 s[12:15], s[4:5], 0x28
	s_waitcnt lgkmcnt(0)
	s_bitcmp1_b32 s18, 8
	s_cselect_b64 s[16:17], -1, 0
	s_ashr_i32 s9, s8, 31
	s_lshl_b64 s[10:11], s[8:9], 3
	s_add_u32 s6, s6, s10
	s_addc_u32 s7, s7, s11
	s_load_dwordx2 s[6:7], s[6:7], 0x0
	s_bfe_u32 s10, s18, 0x10008
	s_cmp_eq_u32 s10, 0
                                        ; implicit-def: $sgpr10_sgpr11
	s_cbranch_scc1 .LBB90_3
; %bb.2:
	s_load_dword s10, s[4:5], 0x20
	s_load_dwordx2 s[20:21], s[4:5], 0x18
	s_mul_i32 s11, s8, s13
	s_mul_hi_u32 s13, s8, s12
	s_add_i32 s13, s13, s11
	s_mul_i32 s19, s9, s12
	s_add_i32 s13, s13, s19
	s_mul_i32 s12, s8, s12
	s_waitcnt lgkmcnt(0)
	s_ashr_i32 s11, s10, 31
	s_lshl_b64 s[12:13], s[12:13], 2
	s_add_u32 s12, s20, s12
	s_addc_u32 s13, s21, s13
	s_lshl_b64 s[10:11], s[10:11], 2
	s_add_u32 s10, s12, s10
	s_addc_u32 s11, s13, s11
.LBB90_3:
	s_load_dwordx2 s[12:13], s[4:5], 0x8
	v_lshlrev_b32_e32 v6, 3, v0
	s_waitcnt lgkmcnt(0)
	s_ashr_i32 s5, s12, 31
	s_mov_b32 s4, s12
	s_lshl_b64 s[4:5], s[4:5], 3
	s_add_u32 s4, s6, s4
	s_addc_u32 s5, s7, s5
	s_add_i32 s12, s13, s13
	v_add_u32_e32 v4, s12, v0
	v_mov_b32_e32 v1, s5
	v_add_co_u32_e32 v10, vcc, s4, v6
	v_ashrrev_i32_e32 v5, 31, v4
	v_addc_co_u32_e32 v11, vcc, 0, v1, vcc
	v_add_u32_e32 v8, s13, v4
	v_lshlrev_b64 v[4:5], 3, v[4:5]
	v_mov_b32_e32 v7, s5
	v_ashrrev_i32_e32 v9, 31, v8
	v_add_co_u32_e32 v12, vcc, s4, v4
	v_add_u32_e32 v16, s13, v8
	v_addc_co_u32_e32 v13, vcc, v7, v5, vcc
	v_lshlrev_b64 v[4:5], 3, v[8:9]
	v_mov_b32_e32 v15, s5
	v_ashrrev_i32_e32 v17, 31, v16
	v_add_co_u32_e32 v14, vcc, s4, v4
	v_add_u32_e32 v8, s13, v16
	v_addc_co_u32_e32 v15, vcc, v15, v5, vcc
	;; [unrolled: 6-line block ×4, first 2 shown]
	v_lshlrev_b64 v[4:5], 3, v[20:21]
	v_mov_b32_e32 v22, s5
	v_ashrrev_i32_e32 v9, 31, v8
	v_add_u32_e32 v24, s13, v8
	v_add_co_u32_e32 v20, vcc, s4, v4
	v_addc_co_u32_e32 v21, vcc, v22, v5, vcc
	v_lshlrev_b64 v[4:5], 3, v[8:9]
	v_add_u32_e32 v8, s13, v24
	v_add_u32_e32 v28, s13, v8
	;; [unrolled: 1-line block ×18, first 2 shown]
	v_ashrrev_i32_e32 v23, 31, v22
	v_lshlrev_b64 v[62:63], 3, v[22:23]
	v_add_co_u32_e32 v22, vcc, s4, v4
	v_ashrrev_i32_e32 v25, 31, v24
	v_addc_co_u32_e32 v23, vcc, v7, v5, vcc
	v_lshlrev_b64 v[4:5], 3, v[24:25]
	v_add_co_u32_e32 v24, vcc, s4, v4
	v_ashrrev_i32_e32 v9, 31, v8
	v_addc_co_u32_e32 v25, vcc, v7, v5, vcc
	;; [unrolled: 4-line block ×15, first 2 shown]
	v_lshlrev_b64 v[4:5], 3, v[52:53]
	s_mov_b32 s20, s13
	s_ashr_i32 s21, s13, 31
	v_add_co_u32_e32 v52, vcc, s4, v4
	s_lshl_b64 s[6:7], s[20:21], 3
	v_addc_co_u32_e32 v53, vcc, v7, v5, vcc
	v_mov_b32_e32 v1, s7
	v_add_co_u32_e32 v56, vcc, s6, v10
	v_ashrrev_i32_e32 v55, 31, v54
	v_addc_co_u32_e32 v57, vcc, v11, v1, vcc
	v_lshlrev_b64 v[54:55], 3, v[54:55]
	v_mov_b32_e32 v1, s5
	v_add_co_u32_e32 v54, vcc, s4, v54
	v_ashrrev_i32_e32 v59, 31, v58
	v_addc_co_u32_e32 v55, vcc, v1, v55, vcc
	v_lshlrev_b64 v[58:59], 3, v[58:59]
	v_add_co_u32_e32 v58, vcc, s4, v58
	v_ashrrev_i32_e32 v61, 31, v60
	v_addc_co_u32_e32 v59, vcc, v1, v59, vcc
	v_lshlrev_b64 v[60:61], 3, v[60:61]
	v_add_co_u32_e32 v60, vcc, s4, v60
	global_load_dwordx2 v[2:3], v6, s[4:5]
	global_load_dwordx2 v[8:9], v[12:13], off
	global_load_dwordx2 v[64:65], v[14:15], off
	;; [unrolled: 1-line block ×21, first 2 shown]
	v_addc_co_u32_e32 v61, vcc, v1, v61, vcc
	global_load_dwordx2 v[102:103], v[52:53], off
	global_load_dwordx2 v[104:105], v[54:55], off
	;; [unrolled: 1-line block ×4, first 2 shown]
	v_mov_b32_e32 v110, s5
	v_add_co_u32_e32 v62, vcc, s4, v62
	v_addc_co_u32_e32 v63, vcc, v110, v63, vcc
	global_load_dwordx2 v[110:111], v[62:63], off
	s_bitcmp0_b32 s18, 0
	s_mov_b64 s[6:7], -1
	s_waitcnt vmcnt(26)
	buffer_store_dword v3, off, s[0:3], 0 offset:4
	buffer_store_dword v2, off, s[0:3], 0
	s_waitcnt vmcnt(25)
	buffer_store_dword v5, off, s[0:3], 0 offset:12
	buffer_store_dword v4, off, s[0:3], 0 offset:8
	;; [unrolled: 1-line block ×6, first 2 shown]
	s_waitcnt vmcnt(30)
	buffer_store_dword v67, off, s[0:3], 0 offset:36
	buffer_store_dword v66, off, s[0:3], 0 offset:32
	s_waitcnt vmcnt(31)
	buffer_store_dword v69, off, s[0:3], 0 offset:44
	buffer_store_dword v68, off, s[0:3], 0 offset:40
	;; [unrolled: 3-line block ×23, first 2 shown]
	s_cbranch_scc1 .LBB90_120
; %bb.4:
	v_cmp_eq_u32_e64 s[4:5], 0, v0
	s_and_saveexec_b64 s[6:7], s[4:5]
	s_cbranch_execz .LBB90_6
; %bb.5:
	v_mov_b32_e32 v1, 0
	ds_write_b32 v1, v1 offset:216
.LBB90_6:
	s_or_b64 exec, exec, s[6:7]
	v_mov_b32_e32 v1, 0
	v_lshl_add_u32 v7, v0, 3, v1
	s_waitcnt lgkmcnt(0)
	; wave barrier
	s_waitcnt lgkmcnt(0)
	buffer_load_dword v1, v7, s[0:3], 0 offen
	buffer_load_dword v2, v7, s[0:3], 0 offen offset:4
	s_waitcnt vmcnt(1)
	v_cmp_eq_f32_e32 vcc, 0, v1
	s_waitcnt vmcnt(0)
	v_cmp_eq_f32_e64 s[6:7], 0, v2
	s_and_b64 s[6:7], vcc, s[6:7]
	s_and_saveexec_b64 s[12:13], s[6:7]
	s_cbranch_execz .LBB90_10
; %bb.7:
	v_mov_b32_e32 v1, 0
	ds_read_b32 v3, v1 offset:216
	v_add_u32_e32 v2, 1, v0
	s_waitcnt lgkmcnt(0)
	v_readfirstlane_b32 s6, v3
	s_cmp_eq_u32 s6, 0
	s_cselect_b64 s[18:19], -1, 0
	v_cmp_gt_i32_e32 vcc, s6, v2
	s_or_b64 s[18:19], s[18:19], vcc
	s_and_b64 exec, exec, s[18:19]
	s_cbranch_execz .LBB90_10
; %bb.8:
	s_mov_b64 s[18:19], 0
	v_mov_b32_e32 v3, s6
.LBB90_9:                               ; =>This Inner Loop Header: Depth=1
	ds_cmpst_rtn_b32 v3, v1, v3, v2 offset:216
	s_waitcnt lgkmcnt(0)
	v_cmp_ne_u32_e32 vcc, 0, v3
	v_cmp_le_i32_e64 s[6:7], v3, v2
	s_and_b64 s[6:7], vcc, s[6:7]
	s_and_b64 s[6:7], exec, s[6:7]
	s_or_b64 s[18:19], s[6:7], s[18:19]
	s_andn2_b64 exec, exec, s[18:19]
	s_cbranch_execnz .LBB90_9
.LBB90_10:
	s_or_b64 exec, exec, s[12:13]
	v_mov_b32_e32 v2, 0
	s_waitcnt lgkmcnt(0)
	; wave barrier
	ds_read_b32 v1, v2 offset:216
	s_and_saveexec_b64 s[6:7], s[4:5]
	s_cbranch_execz .LBB90_12
; %bb.11:
	s_lshl_b64 s[12:13], s[8:9], 2
	s_add_u32 s12, s14, s12
	s_addc_u32 s13, s15, s13
	s_waitcnt lgkmcnt(0)
	global_store_dword v2, v1, s[12:13]
.LBB90_12:
	s_or_b64 exec, exec, s[6:7]
	s_waitcnt lgkmcnt(0)
	v_cmp_ne_u32_e32 vcc, 0, v1
	s_mov_b64 s[6:7], 0
	s_cbranch_vccnz .LBB90_120
; %bb.13:
	buffer_load_dword v8, v7, s[0:3], 0 offen offset:4
	buffer_load_dword v3, v7, s[0:3], 0 offen
	s_waitcnt vmcnt(1)
	v_cmp_gt_f32_e32 vcc, 0, v8
	v_cndmask_b32_e64 v1, v8, -v8, vcc
	s_waitcnt vmcnt(0)
	v_cmp_gt_f32_e32 vcc, 0, v3
	v_cndmask_b32_e64 v2, v3, -v3, vcc
	v_cmp_ngt_f32_e32 vcc, v2, v1
                                        ; implicit-def: $vgpr1
                                        ; implicit-def: $vgpr2
	s_and_saveexec_b64 s[6:7], vcc
	s_xor_b64 s[6:7], exec, s[6:7]
                                        ; implicit-def: $vgpr4_vgpr5
	s_cbranch_execz .LBB90_15
; %bb.14:
	v_div_scale_f32 v1, s[12:13], v8, v8, v3
	v_rcp_f32_e32 v2, v1
	v_div_scale_f32 v4, vcc, v3, v8, v3
	v_fma_f32 v5, -v1, v2, 1.0
	v_fmac_f32_e32 v2, v5, v2
	v_mul_f32_e32 v5, v4, v2
	v_fma_f32 v9, -v1, v5, v4
	v_fmac_f32_e32 v5, v9, v2
	v_fma_f32 v1, -v1, v5, v4
	v_div_fmas_f32 v1, v1, v2, v5
	v_div_fixup_f32 v2, v1, v8, v3
	v_fmac_f32_e32 v8, v3, v2
	v_div_scale_f32 v1, s[12:13], v8, v8, -1.0
	v_rcp_f32_e32 v3, v1
	v_fma_f32 v4, -v1, v3, 1.0
	v_fmac_f32_e32 v3, v4, v3
	v_div_scale_f32 v4, vcc, -1.0, v8, -1.0
	v_mul_f32_e32 v5, v4, v3
	v_fma_f32 v9, -v1, v5, v4
	v_fmac_f32_e32 v5, v9, v3
	v_fma_f32 v1, -v1, v5, v4
	v_div_fmas_f32 v1, v1, v3, v5
	v_div_fixup_f32 v1, v1, v8, -1.0
	v_mul_f32_e32 v2, v2, v1
	v_xor_b32_e32 v4, 0x80000000, v2
                                        ; implicit-def: $vgpr3
                                        ; implicit-def: $vgpr8
.LBB90_15:
	s_andn2_saveexec_b64 s[6:7], s[6:7]
	s_cbranch_execz .LBB90_17
; %bb.16:
	v_div_scale_f32 v1, s[12:13], v3, v3, v8
	v_rcp_f32_e32 v2, v1
	v_div_scale_f32 v4, vcc, v8, v3, v8
	v_fma_f32 v5, -v1, v2, 1.0
	v_fmac_f32_e32 v2, v5, v2
	v_mul_f32_e32 v5, v4, v2
	v_fma_f32 v9, -v1, v5, v4
	v_fmac_f32_e32 v5, v9, v2
	v_fma_f32 v1, -v1, v5, v4
	v_div_fmas_f32 v1, v1, v2, v5
	v_div_fixup_f32 v1, v1, v3, v8
	v_fmac_f32_e32 v3, v8, v1
	v_div_scale_f32 v2, s[12:13], v3, v3, 1.0
	v_rcp_f32_e32 v4, v2
	v_fma_f32 v5, -v2, v4, 1.0
	v_fmac_f32_e32 v4, v5, v4
	v_div_scale_f32 v5, vcc, 1.0, v3, 1.0
	v_mul_f32_e32 v8, v5, v4
	v_fma_f32 v9, -v2, v8, v5
	v_fmac_f32_e32 v8, v9, v4
	v_fma_f32 v2, -v2, v8, v5
	v_div_fmas_f32 v2, v2, v4, v8
	v_div_fixup_f32 v4, v2, v3, 1.0
	v_xor_b32_e32 v2, 0x80000000, v4
	v_mul_f32_e64 v1, v1, -v4
.LBB90_17:
	s_or_b64 exec, exec, s[6:7]
	buffer_store_dword v1, v7, s[0:3], 0 offen offset:4
	buffer_store_dword v4, v7, s[0:3], 0 offen
	buffer_load_dword v5, off, s[0:3], 0 offset:12
	s_nop 0
	buffer_load_dword v4, off, s[0:3], 0 offset:8
	v_xor_b32_e32 v3, 0x80000000, v1
	v_add_u32_e32 v1, 0xe0, v6
	s_waitcnt vmcnt(0)
	ds_write2_b64 v6, v[2:3], v[4:5] offset1:28
	s_waitcnt lgkmcnt(0)
	; wave barrier
	s_waitcnt lgkmcnt(0)
	s_and_saveexec_b64 s[6:7], s[4:5]
	s_cbranch_execz .LBB90_19
; %bb.18:
	buffer_load_dword v8, v7, s[0:3], 0 offen offset:4
	buffer_load_dword v9, v7, s[0:3], 0 offen
	ds_read_b64 v[2:3], v1
	v_mov_b32_e32 v4, 0
	ds_read_b64 v[4:5], v4 offset:8
	s_waitcnt vmcnt(1) lgkmcnt(1)
	v_mul_f32_e32 v64, v3, v8
	v_mul_f32_e32 v8, v2, v8
	s_waitcnt vmcnt(0)
	v_fmac_f32_e32 v8, v3, v9
	v_fma_f32 v2, v2, v9, -v64
	v_add_f32_e32 v3, 0, v8
	v_add_f32_e32 v2, 0, v2
	s_waitcnt lgkmcnt(0)
	v_mul_f32_e32 v8, v3, v5
	v_mul_f32_e32 v5, v2, v5
	v_fma_f32 v2, v2, v4, -v8
	v_fmac_f32_e32 v5, v3, v4
	buffer_store_dword v2, off, s[0:3], 0 offset:8
	buffer_store_dword v5, off, s[0:3], 0 offset:12
.LBB90_19:
	s_or_b64 exec, exec, s[6:7]
	s_waitcnt lgkmcnt(0)
	; wave barrier
	buffer_load_dword v2, off, s[0:3], 0 offset:16
	buffer_load_dword v3, off, s[0:3], 0 offset:20
	v_cmp_gt_u32_e32 vcc, 2, v0
	s_waitcnt vmcnt(0)
	ds_write_b64 v1, v[2:3]
	s_waitcnt lgkmcnt(0)
	; wave barrier
	s_waitcnt lgkmcnt(0)
	s_and_saveexec_b64 s[6:7], vcc
	s_cbranch_execz .LBB90_23
; %bb.20:
	buffer_load_dword v4, v7, s[0:3], 0 offen offset:4
	buffer_load_dword v5, v7, s[0:3], 0 offen
	ds_read_b64 v[2:3], v1
	s_waitcnt vmcnt(1) lgkmcnt(0)
	v_mul_f32_e32 v7, v3, v4
	v_mul_f32_e32 v4, v2, v4
	s_waitcnt vmcnt(0)
	v_fma_f32 v2, v2, v5, -v7
	v_fmac_f32_e32 v4, v3, v5
	v_add_f32_e32 v3, 0, v2
	v_add_f32_e32 v2, 0, v4
	s_and_saveexec_b64 s[12:13], s[4:5]
	s_cbranch_execz .LBB90_22
; %bb.21:
	buffer_load_dword v7, off, s[0:3], 0 offset:12
	buffer_load_dword v8, off, s[0:3], 0 offset:8
	v_mov_b32_e32 v4, 0
	ds_read_b64 v[4:5], v4 offset:232
	s_waitcnt vmcnt(1) lgkmcnt(0)
	v_mul_f32_e32 v9, v4, v7
	v_mul_f32_e32 v7, v5, v7
	s_waitcnt vmcnt(0)
	v_fmac_f32_e32 v9, v5, v8
	v_fma_f32 v4, v4, v8, -v7
	v_add_f32_e32 v2, v2, v9
	v_add_f32_e32 v3, v3, v4
.LBB90_22:
	s_or_b64 exec, exec, s[12:13]
	v_mov_b32_e32 v4, 0
	ds_read_b64 v[4:5], v4 offset:16
	s_waitcnt lgkmcnt(0)
	v_mul_f32_e32 v7, v2, v5
	v_mul_f32_e32 v5, v3, v5
	v_fma_f32 v3, v3, v4, -v7
	v_fmac_f32_e32 v5, v2, v4
	buffer_store_dword v3, off, s[0:3], 0 offset:16
	buffer_store_dword v5, off, s[0:3], 0 offset:20
.LBB90_23:
	s_or_b64 exec, exec, s[6:7]
	s_waitcnt lgkmcnt(0)
	; wave barrier
	buffer_load_dword v2, off, s[0:3], 0 offset:24
	buffer_load_dword v3, off, s[0:3], 0 offset:28
	v_cmp_gt_u32_e32 vcc, 3, v0
	s_waitcnt vmcnt(0)
	ds_write_b64 v1, v[2:3]
	v_add_u32_e32 v2, -1, v0
	s_waitcnt lgkmcnt(0)
	; wave barrier
	s_waitcnt lgkmcnt(0)
	s_and_saveexec_b64 s[4:5], vcc
	s_cbranch_execz .LBB90_27
; %bb.24:
	v_add_u32_e32 v4, -1, v0
	v_add_u32_e32 v5, 0xe0, v6
	v_add_u32_e32 v7, 0, v6
	s_mov_b64 s[6:7], 0
	v_mov_b32_e32 v3, 0
	v_mov_b32_e32 v8, 0
.LBB90_25:                              ; =>This Inner Loop Header: Depth=1
	buffer_load_dword v9, v7, s[0:3], 0 offen offset:4
	buffer_load_dword v66, v7, s[0:3], 0 offen
	ds_read_b64 v[64:65], v5
	v_add_u32_e32 v4, 1, v4
	v_cmp_lt_u32_e32 vcc, 1, v4
	v_add_u32_e32 v5, 8, v5
	v_add_u32_e32 v7, 8, v7
	s_or_b64 s[6:7], vcc, s[6:7]
	s_waitcnt vmcnt(1) lgkmcnt(0)
	v_mul_f32_e32 v67, v65, v9
	v_mul_f32_e32 v9, v64, v9
	s_waitcnt vmcnt(0)
	v_fma_f32 v64, v64, v66, -v67
	v_fmac_f32_e32 v9, v65, v66
	v_add_f32_e32 v8, v8, v64
	v_add_f32_e32 v3, v3, v9
	s_andn2_b64 exec, exec, s[6:7]
	s_cbranch_execnz .LBB90_25
; %bb.26:
	s_or_b64 exec, exec, s[6:7]
	v_mov_b32_e32 v4, 0
	ds_read_b64 v[4:5], v4 offset:24
	s_waitcnt lgkmcnt(0)
	v_mul_f32_e32 v7, v3, v5
	v_mul_f32_e32 v5, v8, v5
	v_fma_f32 v7, v8, v4, -v7
	v_fmac_f32_e32 v5, v3, v4
	buffer_store_dword v7, off, s[0:3], 0 offset:24
	buffer_store_dword v5, off, s[0:3], 0 offset:28
.LBB90_27:
	s_or_b64 exec, exec, s[4:5]
	s_waitcnt lgkmcnt(0)
	; wave barrier
	buffer_load_dword v4, off, s[0:3], 0 offset:32
	buffer_load_dword v5, off, s[0:3], 0 offset:36
	v_cmp_gt_u32_e32 vcc, 4, v0
	s_waitcnt vmcnt(0)
	ds_write_b64 v1, v[4:5]
	s_waitcnt lgkmcnt(0)
	; wave barrier
	s_waitcnt lgkmcnt(0)
	s_and_saveexec_b64 s[4:5], vcc
	s_cbranch_execz .LBB90_31
; %bb.28:
	v_add_u32_e32 v4, -1, v0
	v_add_u32_e32 v5, 0xe0, v6
	v_add_u32_e32 v7, 0, v6
	s_mov_b64 s[6:7], 0
	v_mov_b32_e32 v3, 0
	v_mov_b32_e32 v8, 0
.LBB90_29:                              ; =>This Inner Loop Header: Depth=1
	buffer_load_dword v9, v7, s[0:3], 0 offen offset:4
	buffer_load_dword v66, v7, s[0:3], 0 offen
	ds_read_b64 v[64:65], v5
	v_add_u32_e32 v4, 1, v4
	v_cmp_lt_u32_e32 vcc, 2, v4
	v_add_u32_e32 v5, 8, v5
	v_add_u32_e32 v7, 8, v7
	s_or_b64 s[6:7], vcc, s[6:7]
	s_waitcnt vmcnt(1) lgkmcnt(0)
	v_mul_f32_e32 v67, v65, v9
	v_mul_f32_e32 v9, v64, v9
	s_waitcnt vmcnt(0)
	v_fma_f32 v64, v64, v66, -v67
	v_fmac_f32_e32 v9, v65, v66
	v_add_f32_e32 v8, v8, v64
	v_add_f32_e32 v3, v3, v9
	s_andn2_b64 exec, exec, s[6:7]
	s_cbranch_execnz .LBB90_29
; %bb.30:
	s_or_b64 exec, exec, s[6:7]
	v_mov_b32_e32 v4, 0
	ds_read_b64 v[4:5], v4 offset:32
	s_waitcnt lgkmcnt(0)
	v_mul_f32_e32 v7, v3, v5
	v_mul_f32_e32 v5, v8, v5
	v_fma_f32 v7, v8, v4, -v7
	v_fmac_f32_e32 v5, v3, v4
	buffer_store_dword v7, off, s[0:3], 0 offset:32
	buffer_store_dword v5, off, s[0:3], 0 offset:36
.LBB90_31:
	s_or_b64 exec, exec, s[4:5]
	s_waitcnt lgkmcnt(0)
	; wave barrier
	buffer_load_dword v4, off, s[0:3], 0 offset:40
	buffer_load_dword v5, off, s[0:3], 0 offset:44
	v_cmp_gt_u32_e32 vcc, 5, v0
	s_waitcnt vmcnt(0)
	ds_write_b64 v1, v[4:5]
	;; [unrolled: 51-line block ×19, first 2 shown]
	s_waitcnt lgkmcnt(0)
	; wave barrier
	s_waitcnt lgkmcnt(0)
	s_and_saveexec_b64 s[4:5], vcc
	s_cbranch_execz .LBB90_103
; %bb.100:
	v_add_u32_e32 v4, -1, v0
	v_add_u32_e32 v5, 0xe0, v6
	v_add_u32_e32 v7, 0, v6
	s_mov_b64 s[6:7], 0
	v_mov_b32_e32 v3, 0
	v_mov_b32_e32 v8, 0
.LBB90_101:                             ; =>This Inner Loop Header: Depth=1
	buffer_load_dword v9, v7, s[0:3], 0 offen offset:4
	buffer_load_dword v66, v7, s[0:3], 0 offen
	ds_read_b64 v[64:65], v5
	v_add_u32_e32 v4, 1, v4
	v_cmp_lt_u32_e32 vcc, 20, v4
	v_add_u32_e32 v5, 8, v5
	v_add_u32_e32 v7, 8, v7
	s_or_b64 s[6:7], vcc, s[6:7]
	s_waitcnt vmcnt(1) lgkmcnt(0)
	v_mul_f32_e32 v67, v65, v9
	v_mul_f32_e32 v9, v64, v9
	s_waitcnt vmcnt(0)
	v_fma_f32 v64, v64, v66, -v67
	v_fmac_f32_e32 v9, v65, v66
	v_add_f32_e32 v8, v8, v64
	v_add_f32_e32 v3, v3, v9
	s_andn2_b64 exec, exec, s[6:7]
	s_cbranch_execnz .LBB90_101
; %bb.102:
	s_or_b64 exec, exec, s[6:7]
	v_mov_b32_e32 v4, 0
	ds_read_b64 v[4:5], v4 offset:176
	s_waitcnt lgkmcnt(0)
	v_mul_f32_e32 v7, v3, v5
	v_mul_f32_e32 v5, v8, v5
	v_fma_f32 v7, v8, v4, -v7
	v_fmac_f32_e32 v5, v3, v4
	buffer_store_dword v7, off, s[0:3], 0 offset:176
	buffer_store_dword v5, off, s[0:3], 0 offset:180
.LBB90_103:
	s_or_b64 exec, exec, s[4:5]
	s_waitcnt lgkmcnt(0)
	; wave barrier
	buffer_load_dword v4, off, s[0:3], 0 offset:184
	buffer_load_dword v5, off, s[0:3], 0 offset:188
	v_cmp_gt_u32_e32 vcc, 23, v0
	s_waitcnt vmcnt(0)
	ds_write_b64 v1, v[4:5]
	s_waitcnt lgkmcnt(0)
	; wave barrier
	s_waitcnt lgkmcnt(0)
	s_and_saveexec_b64 s[4:5], vcc
	s_cbranch_execz .LBB90_107
; %bb.104:
	v_add_u32_e32 v4, -1, v0
	v_add_u32_e32 v5, 0xe0, v6
	v_add_u32_e32 v7, 0, v6
	s_mov_b64 s[6:7], 0
	v_mov_b32_e32 v3, 0
	v_mov_b32_e32 v8, 0
.LBB90_105:                             ; =>This Inner Loop Header: Depth=1
	buffer_load_dword v9, v7, s[0:3], 0 offen offset:4
	buffer_load_dword v66, v7, s[0:3], 0 offen
	ds_read_b64 v[64:65], v5
	v_add_u32_e32 v4, 1, v4
	v_cmp_lt_u32_e32 vcc, 21, v4
	v_add_u32_e32 v5, 8, v5
	v_add_u32_e32 v7, 8, v7
	s_or_b64 s[6:7], vcc, s[6:7]
	s_waitcnt vmcnt(1) lgkmcnt(0)
	v_mul_f32_e32 v67, v65, v9
	v_mul_f32_e32 v9, v64, v9
	s_waitcnt vmcnt(0)
	v_fma_f32 v64, v64, v66, -v67
	v_fmac_f32_e32 v9, v65, v66
	v_add_f32_e32 v8, v8, v64
	v_add_f32_e32 v3, v3, v9
	s_andn2_b64 exec, exec, s[6:7]
	s_cbranch_execnz .LBB90_105
; %bb.106:
	s_or_b64 exec, exec, s[6:7]
	v_mov_b32_e32 v4, 0
	ds_read_b64 v[4:5], v4 offset:184
	s_waitcnt lgkmcnt(0)
	v_mul_f32_e32 v7, v3, v5
	v_mul_f32_e32 v5, v8, v5
	v_fma_f32 v7, v8, v4, -v7
	v_fmac_f32_e32 v5, v3, v4
	buffer_store_dword v7, off, s[0:3], 0 offset:184
	buffer_store_dword v5, off, s[0:3], 0 offset:188
.LBB90_107:
	s_or_b64 exec, exec, s[4:5]
	s_waitcnt lgkmcnt(0)
	; wave barrier
	buffer_load_dword v4, off, s[0:3], 0 offset:192
	buffer_load_dword v5, off, s[0:3], 0 offset:196
	v_cmp_gt_u32_e32 vcc, 24, v0
	s_waitcnt vmcnt(0)
	ds_write_b64 v1, v[4:5]
	;; [unrolled: 51-line block ×3, first 2 shown]
	s_waitcnt lgkmcnt(0)
	; wave barrier
	s_waitcnt lgkmcnt(0)
	s_and_saveexec_b64 s[4:5], vcc
	s_cbranch_execz .LBB90_115
; %bb.112:
	v_add_u32_e32 v4, -1, v0
	v_add_u32_e32 v5, 0xe0, v6
	v_add_u32_e32 v7, 0, v6
	s_mov_b64 s[6:7], 0
	v_mov_b32_e32 v3, 0
	v_mov_b32_e32 v8, 0
.LBB90_113:                             ; =>This Inner Loop Header: Depth=1
	buffer_load_dword v9, v7, s[0:3], 0 offen offset:4
	buffer_load_dword v66, v7, s[0:3], 0 offen
	ds_read_b64 v[64:65], v5
	v_add_u32_e32 v4, 1, v4
	v_cmp_lt_u32_e32 vcc, 23, v4
	v_add_u32_e32 v5, 8, v5
	v_add_u32_e32 v7, 8, v7
	s_or_b64 s[6:7], vcc, s[6:7]
	s_waitcnt vmcnt(1) lgkmcnt(0)
	v_mul_f32_e32 v67, v65, v9
	v_mul_f32_e32 v9, v64, v9
	s_waitcnt vmcnt(0)
	v_fma_f32 v64, v64, v66, -v67
	v_fmac_f32_e32 v9, v65, v66
	v_add_f32_e32 v8, v8, v64
	v_add_f32_e32 v3, v3, v9
	s_andn2_b64 exec, exec, s[6:7]
	s_cbranch_execnz .LBB90_113
; %bb.114:
	s_or_b64 exec, exec, s[6:7]
	v_mov_b32_e32 v4, 0
	ds_read_b64 v[4:5], v4 offset:200
	s_waitcnt lgkmcnt(0)
	v_mul_f32_e32 v7, v3, v5
	v_mul_f32_e32 v5, v8, v5
	v_fma_f32 v7, v8, v4, -v7
	v_fmac_f32_e32 v5, v3, v4
	buffer_store_dword v7, off, s[0:3], 0 offset:200
	buffer_store_dword v5, off, s[0:3], 0 offset:204
.LBB90_115:
	s_or_b64 exec, exec, s[4:5]
	s_waitcnt lgkmcnt(0)
	; wave barrier
	buffer_load_dword v4, off, s[0:3], 0 offset:208
	buffer_load_dword v5, off, s[0:3], 0 offset:212
	v_cmp_ne_u32_e32 vcc, 26, v0
	s_waitcnt vmcnt(0)
	ds_write_b64 v1, v[4:5]
	s_waitcnt lgkmcnt(0)
	; wave barrier
	s_waitcnt lgkmcnt(0)
	s_and_saveexec_b64 s[4:5], vcc
	s_cbranch_execz .LBB90_119
; %bb.116:
	v_add_u32_e32 v3, 0xe0, v6
	v_add_u32_e32 v4, 0, v6
	s_mov_b64 s[6:7], 0
	v_mov_b32_e32 v1, 0
	v_mov_b32_e32 v5, 0
.LBB90_117:                             ; =>This Inner Loop Header: Depth=1
	buffer_load_dword v8, v4, s[0:3], 0 offen offset:4
	buffer_load_dword v9, v4, s[0:3], 0 offen
	ds_read_b64 v[6:7], v3
	v_add_u32_e32 v2, 1, v2
	v_cmp_lt_u32_e32 vcc, 24, v2
	v_add_u32_e32 v3, 8, v3
	v_add_u32_e32 v4, 8, v4
	s_or_b64 s[6:7], vcc, s[6:7]
	s_waitcnt vmcnt(1) lgkmcnt(0)
	v_mul_f32_e32 v64, v7, v8
	v_mul_f32_e32 v8, v6, v8
	s_waitcnt vmcnt(0)
	v_fma_f32 v6, v6, v9, -v64
	v_fmac_f32_e32 v8, v7, v9
	v_add_f32_e32 v5, v5, v6
	v_add_f32_e32 v1, v1, v8
	s_andn2_b64 exec, exec, s[6:7]
	s_cbranch_execnz .LBB90_117
; %bb.118:
	s_or_b64 exec, exec, s[6:7]
	v_mov_b32_e32 v2, 0
	ds_read_b64 v[2:3], v2 offset:208
	s_waitcnt lgkmcnt(0)
	v_mul_f32_e32 v4, v1, v3
	v_mul_f32_e32 v3, v5, v3
	v_fma_f32 v4, v5, v2, -v4
	v_fmac_f32_e32 v3, v1, v2
	buffer_store_dword v4, off, s[0:3], 0 offset:208
	buffer_store_dword v3, off, s[0:3], 0 offset:212
.LBB90_119:
	s_or_b64 exec, exec, s[4:5]
	s_mov_b64 s[6:7], -1
	s_waitcnt lgkmcnt(0)
	; wave barrier
.LBB90_120:
	s_and_b64 vcc, exec, s[6:7]
	s_cbranch_vccz .LBB90_122
; %bb.121:
	s_lshl_b64 s[4:5], s[8:9], 2
	s_add_u32 s4, s14, s4
	s_addc_u32 s5, s15, s5
	v_mov_b32_e32 v1, 0
	global_load_dword v1, v1, s[4:5]
	s_waitcnt vmcnt(0)
	v_cmp_ne_u32_e32 vcc, 0, v1
	s_cbranch_vccz .LBB90_123
.LBB90_122:
	s_endpgm
.LBB90_123:
	v_mov_b32_e32 v1, 0xe0
	v_lshl_add_u32 v1, v0, 3, v1
	v_cmp_eq_u32_e32 vcc, 26, v0
	s_and_saveexec_b64 s[4:5], vcc
	s_cbranch_execz .LBB90_125
; %bb.124:
	buffer_load_dword v2, off, s[0:3], 0 offset:200
	buffer_load_dword v3, off, s[0:3], 0 offset:204
	v_mov_b32_e32 v4, 0
	buffer_store_dword v4, off, s[0:3], 0 offset:200
	buffer_store_dword v4, off, s[0:3], 0 offset:204
	s_waitcnt vmcnt(2)
	ds_write_b64 v1, v[2:3]
.LBB90_125:
	s_or_b64 exec, exec, s[4:5]
	s_waitcnt lgkmcnt(0)
	; wave barrier
	s_waitcnt lgkmcnt(0)
	buffer_load_dword v5, off, s[0:3], 0 offset:212
	buffer_load_dword v4, off, s[0:3], 0 offset:208
	buffer_load_dword v6, off, s[0:3], 0 offset:200
	buffer_load_dword v7, off, s[0:3], 0 offset:204
	v_mov_b32_e32 v2, 0
	ds_read_b64 v[8:9], v2 offset:432
	v_cmp_lt_u32_e32 vcc, 24, v0
	s_waitcnt vmcnt(3)
	v_mov_b32_e32 v64, v5
	s_waitcnt lgkmcnt(0)
	v_pk_mul_f32 v[64:65], v[8:9], v[64:65] op_sel_hi:[1,0]
	s_waitcnt vmcnt(2)
	v_pk_fma_f32 v[66:67], v[8:9], v[4:5], v[64:65] op_sel:[0,0,1] op_sel_hi:[1,1,0] neg_lo:[0,0,1] neg_hi:[0,0,1]
	v_pk_fma_f32 v[4:5], v[8:9], v[4:5], v[64:65] op_sel:[0,0,1] op_sel_hi:[1,0,0]
	v_mov_b32_e32 v67, v5
	v_pk_add_f32 v[4:5], v[66:67], 0 op_sel_hi:[1,0]
	s_waitcnt vmcnt(0)
	v_pk_add_f32 v[4:5], v[6:7], v[4:5] neg_lo:[0,1] neg_hi:[0,1]
	buffer_store_dword v4, off, s[0:3], 0 offset:200
	buffer_store_dword v5, off, s[0:3], 0 offset:204
	s_and_saveexec_b64 s[4:5], vcc
	s_cbranch_execz .LBB90_127
; %bb.126:
	buffer_load_dword v4, off, s[0:3], 0 offset:192
	buffer_load_dword v5, off, s[0:3], 0 offset:196
	s_waitcnt vmcnt(0)
	ds_write_b64 v1, v[4:5]
	buffer_store_dword v2, off, s[0:3], 0 offset:192
	buffer_store_dword v2, off, s[0:3], 0 offset:196
.LBB90_127:
	s_or_b64 exec, exec, s[4:5]
	s_waitcnt lgkmcnt(0)
	; wave barrier
	s_waitcnt lgkmcnt(0)
	buffer_load_dword v7, off, s[0:3], 0 offset:204
	buffer_load_dword v9, off, s[0:3], 0 offset:212
	;; [unrolled: 1-line block ×6, first 2 shown]
	ds_read2_b64 v[2:5], v2 offset0:53 offset1:54
	v_cmp_lt_u32_e32 vcc, 23, v0
	s_waitcnt vmcnt(5)
	v_mov_b32_e32 v66, v7
	s_waitcnt vmcnt(4)
	v_mov_b32_e32 v68, v9
	s_waitcnt lgkmcnt(0)
	v_pk_mul_f32 v[66:67], v[2:3], v[66:67] op_sel_hi:[1,0]
	v_pk_mul_f32 v[68:69], v[4:5], v[68:69] op_sel_hi:[1,0]
	s_waitcnt vmcnt(3)
	v_pk_fma_f32 v[70:71], v[2:3], v[6:7], v[66:67] op_sel:[0,0,1] op_sel_hi:[1,1,0] neg_lo:[0,0,1] neg_hi:[0,0,1]
	v_pk_fma_f32 v[2:3], v[2:3], v[6:7], v[66:67] op_sel:[0,0,1] op_sel_hi:[1,0,0]
	s_waitcnt vmcnt(2)
	v_pk_fma_f32 v[6:7], v[4:5], v[8:9], v[68:69] op_sel:[0,0,1] op_sel_hi:[1,1,0] neg_lo:[0,0,1] neg_hi:[0,0,1]
	v_pk_fma_f32 v[4:5], v[4:5], v[8:9], v[68:69] op_sel:[0,0,1] op_sel_hi:[1,0,0]
	v_mov_b32_e32 v71, v3
	v_mov_b32_e32 v7, v5
	v_pk_add_f32 v[2:3], v[70:71], 0 op_sel_hi:[1,0]
	v_pk_add_f32 v[2:3], v[2:3], v[6:7]
	s_waitcnt vmcnt(0)
	v_pk_add_f32 v[2:3], v[64:65], v[2:3] neg_lo:[0,1] neg_hi:[0,1]
	buffer_store_dword v2, off, s[0:3], 0 offset:192
	buffer_store_dword v3, off, s[0:3], 0 offset:196
	s_and_saveexec_b64 s[4:5], vcc
	s_cbranch_execz .LBB90_129
; %bb.128:
	buffer_load_dword v2, off, s[0:3], 0 offset:184
	buffer_load_dword v3, off, s[0:3], 0 offset:188
	v_mov_b32_e32 v4, 0
	buffer_store_dword v4, off, s[0:3], 0 offset:184
	buffer_store_dword v4, off, s[0:3], 0 offset:188
	s_waitcnt vmcnt(2)
	ds_write_b64 v1, v[2:3]
.LBB90_129:
	s_or_b64 exec, exec, s[4:5]
	s_waitcnt lgkmcnt(0)
	; wave barrier
	s_waitcnt lgkmcnt(0)
	buffer_load_dword v9, off, s[0:3], 0 offset:196
	buffer_load_dword v65, off, s[0:3], 0 offset:204
	;; [unrolled: 1-line block ×8, first 2 shown]
	v_mov_b32_e32 v2, 0
	ds_read_b128 v[4:7], v2 offset:416
	ds_read_b64 v[70:71], v2 offset:432
	v_cmp_lt_u32_e32 vcc, 22, v0
	s_waitcnt vmcnt(7)
	v_mov_b32_e32 v72, v9
	s_waitcnt vmcnt(6)
	v_mov_b32_e32 v74, v65
	s_waitcnt lgkmcnt(1)
	v_pk_mul_f32 v[72:73], v[4:5], v[72:73] op_sel_hi:[1,0]
	s_waitcnt vmcnt(5)
	v_mov_b32_e32 v76, v67
	v_pk_mul_f32 v[74:75], v[6:7], v[74:75] op_sel_hi:[1,0]
	s_waitcnt vmcnt(4)
	v_pk_fma_f32 v[78:79], v[4:5], v[8:9], v[72:73] op_sel:[0,0,1] op_sel_hi:[1,1,0] neg_lo:[0,0,1] neg_hi:[0,0,1]
	v_pk_fma_f32 v[4:5], v[4:5], v[8:9], v[72:73] op_sel:[0,0,1] op_sel_hi:[1,0,0]
	s_waitcnt lgkmcnt(0)
	v_pk_mul_f32 v[76:77], v[70:71], v[76:77] op_sel_hi:[1,0]
	s_waitcnt vmcnt(3)
	v_pk_fma_f32 v[8:9], v[6:7], v[64:65], v[74:75] op_sel:[0,0,1] op_sel_hi:[1,1,0] neg_lo:[0,0,1] neg_hi:[0,0,1]
	v_pk_fma_f32 v[6:7], v[6:7], v[64:65], v[74:75] op_sel:[0,0,1] op_sel_hi:[1,0,0]
	v_mov_b32_e32 v79, v5
	s_waitcnt vmcnt(2)
	v_pk_fma_f32 v[64:65], v[70:71], v[66:67], v[76:77] op_sel:[0,0,1] op_sel_hi:[1,1,0] neg_lo:[0,0,1] neg_hi:[0,0,1]
	v_pk_fma_f32 v[66:67], v[70:71], v[66:67], v[76:77] op_sel:[0,0,1] op_sel_hi:[1,0,0]
	v_mov_b32_e32 v9, v7
	v_pk_add_f32 v[4:5], v[78:79], 0 op_sel_hi:[1,0]
	v_mov_b32_e32 v65, v67
	v_pk_add_f32 v[4:5], v[4:5], v[8:9]
	v_pk_add_f32 v[4:5], v[4:5], v[64:65]
	s_waitcnt vmcnt(0)
	v_pk_add_f32 v[4:5], v[68:69], v[4:5] neg_lo:[0,1] neg_hi:[0,1]
	buffer_store_dword v4, off, s[0:3], 0 offset:184
	buffer_store_dword v5, off, s[0:3], 0 offset:188
	s_and_saveexec_b64 s[4:5], vcc
	s_cbranch_execz .LBB90_131
; %bb.130:
	buffer_load_dword v4, off, s[0:3], 0 offset:176
	buffer_load_dword v5, off, s[0:3], 0 offset:180
	s_waitcnt vmcnt(0)
	ds_write_b64 v1, v[4:5]
	buffer_store_dword v2, off, s[0:3], 0 offset:176
	buffer_store_dword v2, off, s[0:3], 0 offset:180
.LBB90_131:
	s_or_b64 exec, exec, s[4:5]
	s_waitcnt lgkmcnt(0)
	; wave barrier
	s_waitcnt lgkmcnt(0)
	buffer_load_dword v9, off, s[0:3], 0 offset:188
	buffer_load_dword v69, off, s[0:3], 0 offset:196
	buffer_load_dword v71, off, s[0:3], 0 offset:204
	buffer_load_dword v73, off, s[0:3], 0 offset:212
	buffer_load_dword v8, off, s[0:3], 0 offset:184
	buffer_load_dword v68, off, s[0:3], 0 offset:192
	buffer_load_dword v70, off, s[0:3], 0 offset:200
	buffer_load_dword v72, off, s[0:3], 0 offset:208
	buffer_load_dword v74, off, s[0:3], 0 offset:176
	buffer_load_dword v75, off, s[0:3], 0 offset:180
	ds_read2_b64 v[4:7], v2 offset0:51 offset1:52
	ds_read2_b64 v[64:67], v2 offset0:53 offset1:54
	v_cmp_lt_u32_e32 vcc, 21, v0
	s_waitcnt vmcnt(9)
	v_mov_b32_e32 v2, v9
	s_waitcnt vmcnt(8)
	v_mov_b32_e32 v76, v69
	s_waitcnt lgkmcnt(1)
	v_pk_mul_f32 v[2:3], v[4:5], v[2:3] op_sel_hi:[1,0]
	s_waitcnt vmcnt(7)
	v_mov_b32_e32 v78, v71
	v_pk_mul_f32 v[76:77], v[6:7], v[76:77] op_sel_hi:[1,0]
	s_waitcnt vmcnt(5)
	v_pk_fma_f32 v[82:83], v[4:5], v[8:9], v[2:3] op_sel:[0,0,1] op_sel_hi:[1,1,0] neg_lo:[0,0,1] neg_hi:[0,0,1]
	v_pk_fma_f32 v[2:3], v[4:5], v[8:9], v[2:3] op_sel:[0,0,1] op_sel_hi:[1,0,0]
	v_mov_b32_e32 v80, v73
	s_waitcnt lgkmcnt(0)
	v_pk_mul_f32 v[78:79], v[64:65], v[78:79] op_sel_hi:[1,0]
	s_waitcnt vmcnt(4)
	v_pk_fma_f32 v[4:5], v[6:7], v[68:69], v[76:77] op_sel:[0,0,1] op_sel_hi:[1,1,0] neg_lo:[0,0,1] neg_hi:[0,0,1]
	v_pk_fma_f32 v[6:7], v[6:7], v[68:69], v[76:77] op_sel:[0,0,1] op_sel_hi:[1,0,0]
	v_mov_b32_e32 v83, v3
	v_pk_mul_f32 v[80:81], v[66:67], v[80:81] op_sel_hi:[1,0]
	s_waitcnt vmcnt(3)
	v_pk_fma_f32 v[8:9], v[64:65], v[70:71], v[78:79] op_sel:[0,0,1] op_sel_hi:[1,1,0] neg_lo:[0,0,1] neg_hi:[0,0,1]
	v_pk_fma_f32 v[64:65], v[64:65], v[70:71], v[78:79] op_sel:[0,0,1] op_sel_hi:[1,0,0]
	v_mov_b32_e32 v5, v7
	v_pk_add_f32 v[2:3], v[82:83], 0 op_sel_hi:[1,0]
	s_waitcnt vmcnt(2)
	v_pk_fma_f32 v[68:69], v[66:67], v[72:73], v[80:81] op_sel:[0,0,1] op_sel_hi:[1,1,0] neg_lo:[0,0,1] neg_hi:[0,0,1]
	v_pk_fma_f32 v[66:67], v[66:67], v[72:73], v[80:81] op_sel:[0,0,1] op_sel_hi:[1,0,0]
	v_mov_b32_e32 v9, v65
	v_pk_add_f32 v[2:3], v[2:3], v[4:5]
	v_mov_b32_e32 v69, v67
	v_pk_add_f32 v[2:3], v[2:3], v[8:9]
	v_pk_add_f32 v[2:3], v[2:3], v[68:69]
	s_waitcnt vmcnt(0)
	v_pk_add_f32 v[2:3], v[74:75], v[2:3] neg_lo:[0,1] neg_hi:[0,1]
	buffer_store_dword v2, off, s[0:3], 0 offset:176
	buffer_store_dword v3, off, s[0:3], 0 offset:180
	s_and_saveexec_b64 s[4:5], vcc
	s_cbranch_execz .LBB90_133
; %bb.132:
	buffer_load_dword v2, off, s[0:3], 0 offset:168
	buffer_load_dword v3, off, s[0:3], 0 offset:172
	v_mov_b32_e32 v4, 0
	buffer_store_dword v4, off, s[0:3], 0 offset:168
	buffer_store_dword v4, off, s[0:3], 0 offset:172
	s_waitcnt vmcnt(2)
	ds_write_b64 v1, v[2:3]
.LBB90_133:
	s_or_b64 exec, exec, s[4:5]
	s_waitcnt lgkmcnt(0)
	; wave barrier
	s_waitcnt lgkmcnt(0)
	buffer_load_dword v9, off, s[0:3], 0 offset:180
	buffer_load_dword v69, off, s[0:3], 0 offset:188
	;; [unrolled: 1-line block ×12, first 2 shown]
	v_mov_b32_e32 v2, 0
	ds_read_b128 v[4:7], v2 offset:400
	ds_read_b128 v[64:67], v2 offset:416
	ds_read_b64 v[78:79], v2 offset:432
	v_cmp_lt_u32_e32 vcc, 20, v0
	s_waitcnt vmcnt(11)
	v_mov_b32_e32 v80, v9
	s_waitcnt vmcnt(10)
	v_mov_b32_e32 v82, v69
	s_waitcnt lgkmcnt(2)
	v_pk_mul_f32 v[80:81], v[4:5], v[80:81] op_sel_hi:[1,0]
	s_waitcnt vmcnt(9)
	v_mov_b32_e32 v84, v71
	v_pk_mul_f32 v[82:83], v[6:7], v[82:83] op_sel_hi:[1,0]
	s_waitcnt vmcnt(6)
	v_pk_fma_f32 v[90:91], v[4:5], v[8:9], v[80:81] op_sel:[0,0,1] op_sel_hi:[1,1,0] neg_lo:[0,0,1] neg_hi:[0,0,1]
	v_pk_fma_f32 v[4:5], v[4:5], v[8:9], v[80:81] op_sel:[0,0,1] op_sel_hi:[1,0,0]
	v_mov_b32_e32 v86, v73
	s_waitcnt lgkmcnt(1)
	v_pk_mul_f32 v[84:85], v[64:65], v[84:85] op_sel_hi:[1,0]
	s_waitcnt vmcnt(5)
	v_pk_fma_f32 v[8:9], v[6:7], v[68:69], v[82:83] op_sel:[0,0,1] op_sel_hi:[1,1,0] neg_lo:[0,0,1] neg_hi:[0,0,1]
	v_pk_fma_f32 v[6:7], v[6:7], v[68:69], v[82:83] op_sel:[0,0,1] op_sel_hi:[1,0,0]
	v_mov_b32_e32 v91, v5
	v_mov_b32_e32 v88, v75
	v_pk_mul_f32 v[86:87], v[66:67], v[86:87] op_sel_hi:[1,0]
	s_waitcnt vmcnt(4)
	v_pk_fma_f32 v[68:69], v[64:65], v[70:71], v[84:85] op_sel:[0,0,1] op_sel_hi:[1,1,0] neg_lo:[0,0,1] neg_hi:[0,0,1]
	v_pk_fma_f32 v[64:65], v[64:65], v[70:71], v[84:85] op_sel:[0,0,1] op_sel_hi:[1,0,0]
	v_mov_b32_e32 v9, v7
	v_pk_add_f32 v[4:5], v[90:91], 0 op_sel_hi:[1,0]
	s_waitcnt lgkmcnt(0)
	v_pk_mul_f32 v[88:89], v[78:79], v[88:89] op_sel_hi:[1,0]
	s_waitcnt vmcnt(3)
	v_pk_fma_f32 v[70:71], v[66:67], v[72:73], v[86:87] op_sel:[0,0,1] op_sel_hi:[1,1,0] neg_lo:[0,0,1] neg_hi:[0,0,1]
	v_pk_fma_f32 v[66:67], v[66:67], v[72:73], v[86:87] op_sel:[0,0,1] op_sel_hi:[1,0,0]
	v_mov_b32_e32 v69, v65
	v_pk_add_f32 v[4:5], v[4:5], v[8:9]
	s_waitcnt vmcnt(2)
	v_pk_fma_f32 v[72:73], v[78:79], v[74:75], v[88:89] op_sel:[0,0,1] op_sel_hi:[1,1,0] neg_lo:[0,0,1] neg_hi:[0,0,1]
	v_pk_fma_f32 v[74:75], v[78:79], v[74:75], v[88:89] op_sel:[0,0,1] op_sel_hi:[1,0,0]
	v_mov_b32_e32 v71, v67
	v_pk_add_f32 v[4:5], v[4:5], v[68:69]
	v_mov_b32_e32 v73, v75
	v_pk_add_f32 v[4:5], v[4:5], v[70:71]
	v_pk_add_f32 v[4:5], v[4:5], v[72:73]
	s_waitcnt vmcnt(0)
	v_pk_add_f32 v[4:5], v[76:77], v[4:5] neg_lo:[0,1] neg_hi:[0,1]
	buffer_store_dword v4, off, s[0:3], 0 offset:168
	buffer_store_dword v5, off, s[0:3], 0 offset:172
	s_and_saveexec_b64 s[4:5], vcc
	s_cbranch_execz .LBB90_135
; %bb.134:
	buffer_load_dword v4, off, s[0:3], 0 offset:160
	buffer_load_dword v5, off, s[0:3], 0 offset:164
	s_waitcnt vmcnt(0)
	ds_write_b64 v1, v[4:5]
	buffer_store_dword v2, off, s[0:3], 0 offset:160
	buffer_store_dword v2, off, s[0:3], 0 offset:164
.LBB90_135:
	s_or_b64 exec, exec, s[4:5]
	s_waitcnt lgkmcnt(0)
	; wave barrier
	s_waitcnt lgkmcnt(0)
	buffer_load_dword v9, off, s[0:3], 0 offset:172
	buffer_load_dword v73, off, s[0:3], 0 offset:180
	;; [unrolled: 1-line block ×14, first 2 shown]
	ds_read2_b64 v[4:7], v2 offset0:49 offset1:50
	ds_read2_b64 v[64:67], v2 offset0:51 offset1:52
	;; [unrolled: 1-line block ×3, first 2 shown]
	v_cmp_lt_u32_e32 vcc, 19, v0
	s_waitcnt vmcnt(13)
	v_mov_b32_e32 v2, v9
	s_waitcnt vmcnt(12)
	v_mov_b32_e32 v84, v73
	s_waitcnt lgkmcnt(2)
	v_pk_mul_f32 v[2:3], v[4:5], v[2:3] op_sel_hi:[1,0]
	s_waitcnt vmcnt(11)
	v_mov_b32_e32 v86, v75
	v_pk_mul_f32 v[84:85], v[6:7], v[84:85] op_sel_hi:[1,0]
	s_waitcnt vmcnt(10)
	v_mov_b32_e32 v88, v77
	s_waitcnt vmcnt(7)
	v_pk_fma_f32 v[94:95], v[4:5], v[8:9], v[2:3] op_sel:[0,0,1] op_sel_hi:[1,1,0] neg_lo:[0,0,1] neg_hi:[0,0,1]
	v_pk_fma_f32 v[2:3], v[4:5], v[8:9], v[2:3] op_sel:[0,0,1] op_sel_hi:[1,0,0]
	s_waitcnt lgkmcnt(1)
	v_pk_mul_f32 v[86:87], v[64:65], v[86:87] op_sel_hi:[1,0]
	s_waitcnt vmcnt(6)
	v_pk_fma_f32 v[4:5], v[6:7], v[72:73], v[84:85] op_sel:[0,0,1] op_sel_hi:[1,1,0] neg_lo:[0,0,1] neg_hi:[0,0,1]
	v_pk_fma_f32 v[6:7], v[6:7], v[72:73], v[84:85] op_sel:[0,0,1] op_sel_hi:[1,0,0]
	v_mov_b32_e32 v95, v3
	v_mov_b32_e32 v90, v79
	v_pk_mul_f32 v[88:89], v[66:67], v[88:89] op_sel_hi:[1,0]
	s_waitcnt vmcnt(5)
	v_pk_fma_f32 v[8:9], v[64:65], v[74:75], v[86:87] op_sel:[0,0,1] op_sel_hi:[1,1,0] neg_lo:[0,0,1] neg_hi:[0,0,1]
	v_pk_fma_f32 v[64:65], v[64:65], v[74:75], v[86:87] op_sel:[0,0,1] op_sel_hi:[1,0,0]
	v_mov_b32_e32 v5, v7
	v_pk_add_f32 v[2:3], v[94:95], 0 op_sel_hi:[1,0]
	v_mov_b32_e32 v92, v81
	s_waitcnt lgkmcnt(0)
	v_pk_mul_f32 v[90:91], v[68:69], v[90:91] op_sel_hi:[1,0]
	s_waitcnt vmcnt(4)
	v_pk_fma_f32 v[72:73], v[66:67], v[76:77], v[88:89] op_sel:[0,0,1] op_sel_hi:[1,1,0] neg_lo:[0,0,1] neg_hi:[0,0,1]
	v_pk_fma_f32 v[66:67], v[66:67], v[76:77], v[88:89] op_sel:[0,0,1] op_sel_hi:[1,0,0]
	v_mov_b32_e32 v9, v65
	v_pk_add_f32 v[2:3], v[2:3], v[4:5]
	v_pk_mul_f32 v[92:93], v[70:71], v[92:93] op_sel_hi:[1,0]
	s_waitcnt vmcnt(3)
	v_pk_fma_f32 v[74:75], v[68:69], v[78:79], v[90:91] op_sel:[0,0,1] op_sel_hi:[1,1,0] neg_lo:[0,0,1] neg_hi:[0,0,1]
	v_pk_fma_f32 v[68:69], v[68:69], v[78:79], v[90:91] op_sel:[0,0,1] op_sel_hi:[1,0,0]
	v_mov_b32_e32 v73, v67
	v_pk_add_f32 v[2:3], v[2:3], v[8:9]
	s_waitcnt vmcnt(2)
	v_pk_fma_f32 v[76:77], v[70:71], v[80:81], v[92:93] op_sel:[0,0,1] op_sel_hi:[1,1,0] neg_lo:[0,0,1] neg_hi:[0,0,1]
	v_pk_fma_f32 v[70:71], v[70:71], v[80:81], v[92:93] op_sel:[0,0,1] op_sel_hi:[1,0,0]
	v_mov_b32_e32 v75, v69
	v_pk_add_f32 v[2:3], v[2:3], v[72:73]
	v_mov_b32_e32 v77, v71
	v_pk_add_f32 v[2:3], v[2:3], v[74:75]
	v_pk_add_f32 v[2:3], v[2:3], v[76:77]
	s_waitcnt vmcnt(0)
	v_pk_add_f32 v[2:3], v[82:83], v[2:3] neg_lo:[0,1] neg_hi:[0,1]
	buffer_store_dword v2, off, s[0:3], 0 offset:160
	buffer_store_dword v3, off, s[0:3], 0 offset:164
	s_and_saveexec_b64 s[4:5], vcc
	s_cbranch_execz .LBB90_137
; %bb.136:
	buffer_load_dword v2, off, s[0:3], 0 offset:152
	buffer_load_dword v3, off, s[0:3], 0 offset:156
	v_mov_b32_e32 v4, 0
	buffer_store_dword v4, off, s[0:3], 0 offset:152
	buffer_store_dword v4, off, s[0:3], 0 offset:156
	s_waitcnt vmcnt(2)
	ds_write_b64 v1, v[2:3]
.LBB90_137:
	s_or_b64 exec, exec, s[4:5]
	s_waitcnt lgkmcnt(0)
	; wave barrier
	s_waitcnt lgkmcnt(0)
	buffer_load_dword v9, off, s[0:3], 0 offset:164
	buffer_load_dword v73, off, s[0:3], 0 offset:172
	;; [unrolled: 1-line block ×16, first 2 shown]
	v_mov_b32_e32 v2, 0
	ds_read_b128 v[4:7], v2 offset:384
	ds_read_b128 v[64:67], v2 offset:400
	;; [unrolled: 1-line block ×3, first 2 shown]
	ds_read_b64 v[86:87], v2 offset:432
	v_cmp_lt_u32_e32 vcc, 18, v0
	s_waitcnt vmcnt(15)
	v_mov_b32_e32 v88, v9
	s_waitcnt vmcnt(14)
	v_mov_b32_e32 v90, v73
	s_waitcnt lgkmcnt(3)
	v_pk_mul_f32 v[88:89], v[4:5], v[88:89] op_sel_hi:[1,0]
	s_waitcnt vmcnt(13)
	v_mov_b32_e32 v92, v75
	v_pk_mul_f32 v[90:91], v[6:7], v[90:91] op_sel_hi:[1,0]
	s_waitcnt vmcnt(12)
	v_mov_b32_e32 v94, v77
	s_waitcnt lgkmcnt(2)
	v_pk_mul_f32 v[92:93], v[64:65], v[92:93] op_sel_hi:[1,0]
	s_waitcnt vmcnt(8)
	v_pk_fma_f32 v[102:103], v[4:5], v[8:9], v[88:89] op_sel:[0,0,1] op_sel_hi:[1,1,0] neg_lo:[0,0,1] neg_hi:[0,0,1]
	v_pk_fma_f32 v[4:5], v[4:5], v[8:9], v[88:89] op_sel:[0,0,1] op_sel_hi:[1,0,0]
	s_waitcnt vmcnt(7)
	v_pk_fma_f32 v[8:9], v[6:7], v[72:73], v[90:91] op_sel:[0,0,1] op_sel_hi:[1,1,0] neg_lo:[0,0,1] neg_hi:[0,0,1]
	v_pk_fma_f32 v[6:7], v[6:7], v[72:73], v[90:91] op_sel:[0,0,1] op_sel_hi:[1,0,0]
	v_mov_b32_e32 v103, v5
	v_mov_b32_e32 v96, v79
	v_pk_mul_f32 v[94:95], v[66:67], v[94:95] op_sel_hi:[1,0]
	s_waitcnt vmcnt(6)
	v_pk_fma_f32 v[72:73], v[64:65], v[74:75], v[92:93] op_sel:[0,0,1] op_sel_hi:[1,1,0] neg_lo:[0,0,1] neg_hi:[0,0,1]
	v_pk_fma_f32 v[64:65], v[64:65], v[74:75], v[92:93] op_sel:[0,0,1] op_sel_hi:[1,0,0]
	v_mov_b32_e32 v9, v7
	v_pk_add_f32 v[4:5], v[102:103], 0 op_sel_hi:[1,0]
	v_mov_b32_e32 v98, v81
	s_waitcnt lgkmcnt(1)
	v_pk_mul_f32 v[96:97], v[68:69], v[96:97] op_sel_hi:[1,0]
	s_waitcnt vmcnt(5)
	v_pk_fma_f32 v[74:75], v[66:67], v[76:77], v[94:95] op_sel:[0,0,1] op_sel_hi:[1,1,0] neg_lo:[0,0,1] neg_hi:[0,0,1]
	v_pk_fma_f32 v[66:67], v[66:67], v[76:77], v[94:95] op_sel:[0,0,1] op_sel_hi:[1,0,0]
	v_mov_b32_e32 v73, v65
	v_pk_add_f32 v[4:5], v[4:5], v[8:9]
	v_mov_b32_e32 v100, v83
	v_pk_mul_f32 v[98:99], v[70:71], v[98:99] op_sel_hi:[1,0]
	s_waitcnt vmcnt(4)
	v_pk_fma_f32 v[76:77], v[68:69], v[78:79], v[96:97] op_sel:[0,0,1] op_sel_hi:[1,1,0] neg_lo:[0,0,1] neg_hi:[0,0,1]
	v_pk_fma_f32 v[68:69], v[68:69], v[78:79], v[96:97] op_sel:[0,0,1] op_sel_hi:[1,0,0]
	v_mov_b32_e32 v75, v67
	v_pk_add_f32 v[4:5], v[4:5], v[72:73]
	s_waitcnt lgkmcnt(0)
	v_pk_mul_f32 v[100:101], v[86:87], v[100:101] op_sel_hi:[1,0]
	s_waitcnt vmcnt(3)
	v_pk_fma_f32 v[78:79], v[70:71], v[80:81], v[98:99] op_sel:[0,0,1] op_sel_hi:[1,1,0] neg_lo:[0,0,1] neg_hi:[0,0,1]
	v_pk_fma_f32 v[70:71], v[70:71], v[80:81], v[98:99] op_sel:[0,0,1] op_sel_hi:[1,0,0]
	v_mov_b32_e32 v77, v69
	v_pk_add_f32 v[4:5], v[4:5], v[74:75]
	s_waitcnt vmcnt(2)
	v_pk_fma_f32 v[80:81], v[86:87], v[82:83], v[100:101] op_sel:[0,0,1] op_sel_hi:[1,1,0] neg_lo:[0,0,1] neg_hi:[0,0,1]
	v_pk_fma_f32 v[82:83], v[86:87], v[82:83], v[100:101] op_sel:[0,0,1] op_sel_hi:[1,0,0]
	v_mov_b32_e32 v79, v71
	v_pk_add_f32 v[4:5], v[4:5], v[76:77]
	v_mov_b32_e32 v81, v83
	v_pk_add_f32 v[4:5], v[4:5], v[78:79]
	v_pk_add_f32 v[4:5], v[4:5], v[80:81]
	s_waitcnt vmcnt(0)
	v_pk_add_f32 v[4:5], v[84:85], v[4:5] neg_lo:[0,1] neg_hi:[0,1]
	buffer_store_dword v4, off, s[0:3], 0 offset:152
	buffer_store_dword v5, off, s[0:3], 0 offset:156
	s_and_saveexec_b64 s[4:5], vcc
	s_cbranch_execz .LBB90_139
; %bb.138:
	buffer_load_dword v4, off, s[0:3], 0 offset:144
	buffer_load_dword v5, off, s[0:3], 0 offset:148
	s_waitcnt vmcnt(0)
	ds_write_b64 v1, v[4:5]
	buffer_store_dword v2, off, s[0:3], 0 offset:144
	buffer_store_dword v2, off, s[0:3], 0 offset:148
.LBB90_139:
	s_or_b64 exec, exec, s[4:5]
	s_waitcnt lgkmcnt(0)
	; wave barrier
	s_waitcnt lgkmcnt(0)
	buffer_load_dword v9, off, s[0:3], 0 offset:156
	buffer_load_dword v77, off, s[0:3], 0 offset:164
	;; [unrolled: 1-line block ×18, first 2 shown]
	ds_read2_b64 v[4:7], v2 offset0:47 offset1:48
	ds_read2_b64 v[64:67], v2 offset0:49 offset1:50
	;; [unrolled: 1-line block ×4, first 2 shown]
	v_cmp_lt_u32_e32 vcc, 17, v0
	s_waitcnt vmcnt(17)
	v_mov_b32_e32 v2, v9
	s_waitcnt vmcnt(16)
	v_mov_b32_e32 v92, v77
	s_waitcnt lgkmcnt(3)
	v_pk_mul_f32 v[2:3], v[4:5], v[2:3] op_sel_hi:[1,0]
	s_waitcnt vmcnt(15)
	v_mov_b32_e32 v94, v79
	v_pk_mul_f32 v[92:93], v[6:7], v[92:93] op_sel_hi:[1,0]
	s_waitcnt vmcnt(14)
	v_mov_b32_e32 v96, v81
	s_waitcnt lgkmcnt(2)
	v_pk_mul_f32 v[94:95], v[64:65], v[94:95] op_sel_hi:[1,0]
	s_waitcnt vmcnt(13)
	v_mov_b32_e32 v98, v83
	s_waitcnt vmcnt(9)
	v_pk_fma_f32 v[106:107], v[4:5], v[8:9], v[2:3] op_sel:[0,0,1] op_sel_hi:[1,1,0] neg_lo:[0,0,1] neg_hi:[0,0,1]
	v_pk_fma_f32 v[2:3], v[4:5], v[8:9], v[2:3] op_sel:[0,0,1] op_sel_hi:[1,0,0]
	s_waitcnt vmcnt(8)
	v_pk_fma_f32 v[4:5], v[6:7], v[76:77], v[92:93] op_sel:[0,0,1] op_sel_hi:[1,1,0] neg_lo:[0,0,1] neg_hi:[0,0,1]
	v_pk_fma_f32 v[6:7], v[6:7], v[76:77], v[92:93] op_sel:[0,0,1] op_sel_hi:[1,0,0]
	v_mov_b32_e32 v107, v3
	v_pk_mul_f32 v[96:97], v[66:67], v[96:97] op_sel_hi:[1,0]
	s_waitcnt vmcnt(7)
	v_pk_fma_f32 v[8:9], v[64:65], v[78:79], v[94:95] op_sel:[0,0,1] op_sel_hi:[1,1,0] neg_lo:[0,0,1] neg_hi:[0,0,1]
	v_pk_fma_f32 v[64:65], v[64:65], v[78:79], v[94:95] op_sel:[0,0,1] op_sel_hi:[1,0,0]
	v_mov_b32_e32 v5, v7
	v_pk_add_f32 v[2:3], v[106:107], 0 op_sel_hi:[1,0]
	v_mov_b32_e32 v100, v85
	s_waitcnt lgkmcnt(1)
	v_pk_mul_f32 v[98:99], v[68:69], v[98:99] op_sel_hi:[1,0]
	s_waitcnt vmcnt(6)
	v_pk_fma_f32 v[76:77], v[66:67], v[80:81], v[96:97] op_sel:[0,0,1] op_sel_hi:[1,1,0] neg_lo:[0,0,1] neg_hi:[0,0,1]
	v_pk_fma_f32 v[66:67], v[66:67], v[80:81], v[96:97] op_sel:[0,0,1] op_sel_hi:[1,0,0]
	v_mov_b32_e32 v9, v65
	v_pk_add_f32 v[2:3], v[2:3], v[4:5]
	v_mov_b32_e32 v102, v87
	v_pk_mul_f32 v[100:101], v[70:71], v[100:101] op_sel_hi:[1,0]
	s_waitcnt vmcnt(5)
	v_pk_fma_f32 v[78:79], v[68:69], v[82:83], v[98:99] op_sel:[0,0,1] op_sel_hi:[1,1,0] neg_lo:[0,0,1] neg_hi:[0,0,1]
	v_pk_fma_f32 v[68:69], v[68:69], v[82:83], v[98:99] op_sel:[0,0,1] op_sel_hi:[1,0,0]
	v_mov_b32_e32 v77, v67
	v_pk_add_f32 v[2:3], v[2:3], v[8:9]
	v_mov_b32_e32 v104, v89
	s_waitcnt lgkmcnt(0)
	v_pk_mul_f32 v[102:103], v[72:73], v[102:103] op_sel_hi:[1,0]
	s_waitcnt vmcnt(4)
	v_pk_fma_f32 v[80:81], v[70:71], v[84:85], v[100:101] op_sel:[0,0,1] op_sel_hi:[1,1,0] neg_lo:[0,0,1] neg_hi:[0,0,1]
	v_pk_fma_f32 v[70:71], v[70:71], v[84:85], v[100:101] op_sel:[0,0,1] op_sel_hi:[1,0,0]
	v_mov_b32_e32 v79, v69
	v_pk_add_f32 v[2:3], v[2:3], v[76:77]
	v_pk_mul_f32 v[104:105], v[74:75], v[104:105] op_sel_hi:[1,0]
	s_waitcnt vmcnt(3)
	v_pk_fma_f32 v[82:83], v[72:73], v[86:87], v[102:103] op_sel:[0,0,1] op_sel_hi:[1,1,0] neg_lo:[0,0,1] neg_hi:[0,0,1]
	v_pk_fma_f32 v[72:73], v[72:73], v[86:87], v[102:103] op_sel:[0,0,1] op_sel_hi:[1,0,0]
	v_mov_b32_e32 v81, v71
	v_pk_add_f32 v[2:3], v[2:3], v[78:79]
	s_waitcnt vmcnt(2)
	v_pk_fma_f32 v[84:85], v[74:75], v[88:89], v[104:105] op_sel:[0,0,1] op_sel_hi:[1,1,0] neg_lo:[0,0,1] neg_hi:[0,0,1]
	v_pk_fma_f32 v[74:75], v[74:75], v[88:89], v[104:105] op_sel:[0,0,1] op_sel_hi:[1,0,0]
	v_mov_b32_e32 v83, v73
	v_pk_add_f32 v[2:3], v[2:3], v[80:81]
	v_mov_b32_e32 v85, v75
	v_pk_add_f32 v[2:3], v[2:3], v[82:83]
	v_pk_add_f32 v[2:3], v[2:3], v[84:85]
	s_waitcnt vmcnt(0)
	v_pk_add_f32 v[2:3], v[90:91], v[2:3] neg_lo:[0,1] neg_hi:[0,1]
	buffer_store_dword v2, off, s[0:3], 0 offset:144
	buffer_store_dword v3, off, s[0:3], 0 offset:148
	s_and_saveexec_b64 s[4:5], vcc
	s_cbranch_execz .LBB90_141
; %bb.140:
	buffer_load_dword v2, off, s[0:3], 0 offset:136
	buffer_load_dword v3, off, s[0:3], 0 offset:140
	v_mov_b32_e32 v4, 0
	buffer_store_dword v4, off, s[0:3], 0 offset:136
	buffer_store_dword v4, off, s[0:3], 0 offset:140
	s_waitcnt vmcnt(2)
	ds_write_b64 v1, v[2:3]
.LBB90_141:
	s_or_b64 exec, exec, s[4:5]
	s_waitcnt lgkmcnt(0)
	; wave barrier
	s_waitcnt lgkmcnt(0)
	buffer_load_dword v3, off, s[0:3], 0 offset:148
	buffer_load_dword v9, off, s[0:3], 0 offset:156
	;; [unrolled: 1-line block ×20, first 2 shown]
	v_mov_b32_e32 v2, 0
	ds_read_b128 v[4:7], v2 offset:368
	ds_read_b128 v[64:67], v2 offset:384
	;; [unrolled: 1-line block ×4, first 2 shown]
	ds_read_b64 v[92:93], v2 offset:432
	v_cmp_lt_u32_e32 vcc, 16, v0
	s_waitcnt vmcnt(19) lgkmcnt(4)
	v_mul_f32_e32 v95, v4, v3
	v_mul_f32_e32 v3, v5, v3
	s_waitcnt vmcnt(18)
	v_mov_b32_e32 v96, v9
	s_waitcnt vmcnt(17)
	v_mov_b32_e32 v98, v77
	s_waitcnt vmcnt(16)
	v_mov_b32_e32 v100, v79
	s_waitcnt vmcnt(15)
	v_mov_b32_e32 v102, v81
	s_waitcnt vmcnt(14)
	v_mov_b32_e32 v104, v83
	s_waitcnt vmcnt(13)
	v_mov_b32_e32 v106, v85
	s_waitcnt vmcnt(12)
	v_mov_b32_e32 v108, v87
	s_waitcnt vmcnt(11)
	v_mov_b32_e32 v110, v89
	s_waitcnt vmcnt(10)
	v_fmac_f32_e32 v95, v5, v94
	v_fma_f32 v94, v4, v94, -v3
	v_pk_mul_f32 v[4:5], v[6:7], v[96:97] op_sel_hi:[1,0]
	s_waitcnt lgkmcnt(3)
	v_pk_mul_f32 v[96:97], v[64:65], v[98:99] op_sel_hi:[1,0]
	v_pk_mul_f32 v[98:99], v[66:67], v[100:101] op_sel_hi:[1,0]
	s_waitcnt lgkmcnt(2)
	v_pk_mul_f32 v[100:101], v[68:69], v[102:103] op_sel_hi:[1,0]
	;; [unrolled: 3-line block ×4, first 2 shown]
	s_waitcnt vmcnt(9)
	v_pk_fma_f32 v[110:111], v[6:7], v[8:9], v[4:5] op_sel:[0,0,1] op_sel_hi:[1,1,0] neg_lo:[0,0,1] neg_hi:[0,0,1]
	v_pk_fma_f32 v[4:5], v[6:7], v[8:9], v[4:5] op_sel:[0,0,1] op_sel_hi:[1,0,0]
	v_pk_add_f32 v[94:95], v[94:95], 0 op_sel_hi:[1,0]
	s_waitcnt vmcnt(8)
	v_pk_fma_f32 v[6:7], v[64:65], v[76:77], v[96:97] op_sel:[0,0,1] op_sel_hi:[1,1,0] neg_lo:[0,0,1] neg_hi:[0,0,1]
	v_pk_fma_f32 v[8:9], v[64:65], v[76:77], v[96:97] op_sel:[0,0,1] op_sel_hi:[1,0,0]
	v_mov_b32_e32 v111, v5
	s_waitcnt vmcnt(7)
	v_pk_fma_f32 v[64:65], v[66:67], v[78:79], v[98:99] op_sel:[0,0,1] op_sel_hi:[1,1,0] neg_lo:[0,0,1] neg_hi:[0,0,1]
	v_pk_fma_f32 v[66:67], v[66:67], v[78:79], v[98:99] op_sel:[0,0,1] op_sel_hi:[1,0,0]
	v_mov_b32_e32 v7, v9
	v_pk_add_f32 v[4:5], v[94:95], v[110:111]
	s_waitcnt vmcnt(6)
	v_pk_fma_f32 v[76:77], v[68:69], v[80:81], v[100:101] op_sel:[0,0,1] op_sel_hi:[1,1,0] neg_lo:[0,0,1] neg_hi:[0,0,1]
	v_pk_fma_f32 v[68:69], v[68:69], v[80:81], v[100:101] op_sel:[0,0,1] op_sel_hi:[1,0,0]
	v_mov_b32_e32 v65, v67
	v_pk_add_f32 v[4:5], v[4:5], v[6:7]
	;; [unrolled: 5-line block ×5, first 2 shown]
	v_pk_fma_f32 v[84:85], v[92:93], v[88:89], v[108:109] op_sel:[0,0,1] op_sel_hi:[1,1,0] neg_lo:[0,0,1] neg_hi:[0,0,1]
	v_pk_fma_f32 v[86:87], v[92:93], v[88:89], v[108:109] op_sel:[0,0,1] op_sel_hi:[1,0,0]
	v_mov_b32_e32 v83, v75
	v_pk_add_f32 v[4:5], v[4:5], v[80:81]
	v_mov_b32_e32 v85, v87
	v_pk_add_f32 v[4:5], v[4:5], v[82:83]
	v_pk_add_f32 v[4:5], v[4:5], v[84:85]
	s_waitcnt vmcnt(0)
	v_pk_add_f32 v[4:5], v[90:91], v[4:5] neg_lo:[0,1] neg_hi:[0,1]
	buffer_store_dword v4, off, s[0:3], 0 offset:136
	buffer_store_dword v5, off, s[0:3], 0 offset:140
	s_and_saveexec_b64 s[4:5], vcc
	s_cbranch_execz .LBB90_143
; %bb.142:
	buffer_load_dword v4, off, s[0:3], 0 offset:128
	buffer_load_dword v5, off, s[0:3], 0 offset:132
	s_waitcnt vmcnt(0)
	ds_write_b64 v1, v[4:5]
	buffer_store_dword v2, off, s[0:3], 0 offset:128
	buffer_store_dword v2, off, s[0:3], 0 offset:132
.LBB90_143:
	s_or_b64 exec, exec, s[4:5]
	s_waitcnt lgkmcnt(0)
	; wave barrier
	s_waitcnt lgkmcnt(0)
	buffer_load_dword v96, off, s[0:3], 0 offset:140
	buffer_load_dword v98, off, s[0:3], 0 offset:148
	;; [unrolled: 1-line block ×22, first 2 shown]
	ds_read2_b64 v[4:7], v2 offset0:45 offset1:46
	ds_read2_b64 v[64:67], v2 offset0:47 offset1:48
	;; [unrolled: 1-line block ×5, first 2 shown]
	v_cmp_lt_u32_e32 vcc, 15, v0
	s_waitcnt vmcnt(21) lgkmcnt(4)
	v_mul_f32_e32 v3, v4, v96
	s_waitcnt vmcnt(20)
	v_mul_f32_e32 v97, v6, v98
	v_mul_f32_e32 v2, v5, v96
	;; [unrolled: 1-line block ×3, first 2 shown]
	s_waitcnt vmcnt(19)
	v_mov_b32_e32 v98, v9
	s_waitcnt vmcnt(18)
	v_mov_b32_e32 v100, v81
	;; [unrolled: 2-line block ×5, first 2 shown]
	v_mov_b32_e32 v104, v85
	s_waitcnt vmcnt(11)
	v_fmac_f32_e32 v3, v5, v99
	v_fma_f32 v2, v4, v99, -v2
	s_waitcnt lgkmcnt(3)
	v_pk_mul_f32 v[4:5], v[64:65], v[98:99] op_sel_hi:[1,0]
	s_waitcnt vmcnt(10)
	v_fmac_f32_e32 v97, v7, v101
	v_fma_f32 v96, v6, v101, -v96
	v_pk_mul_f32 v[6:7], v[66:67], v[100:101] op_sel_hi:[1,0]
	s_waitcnt lgkmcnt(2)
	v_pk_mul_f32 v[98:99], v[68:69], v[102:103] op_sel_hi:[1,0]
	s_waitcnt lgkmcnt(1)
	;; [unrolled: 2-line block ×3, first 2 shown]
	v_pk_mul_f32 v[106:107], v[76:77], v[110:111] op_sel_hi:[1,0]
	v_pk_add_f32 v[2:3], v[2:3], 0 op_sel_hi:[1,0]
	s_waitcnt vmcnt(9)
	v_pk_fma_f32 v[110:111], v[64:65], v[8:9], v[4:5] op_sel:[0,0,1] op_sel_hi:[1,1,0] neg_lo:[0,0,1] neg_hi:[0,0,1]
	v_pk_fma_f32 v[4:5], v[64:65], v[8:9], v[4:5] op_sel:[0,0,1] op_sel_hi:[1,0,0]
	s_waitcnt vmcnt(8)
	v_pk_fma_f32 v[8:9], v[66:67], v[80:81], v[6:7] op_sel:[0,0,1] op_sel_hi:[1,1,0] neg_lo:[0,0,1] neg_hi:[0,0,1]
	v_pk_fma_f32 v[6:7], v[66:67], v[80:81], v[6:7] op_sel:[0,0,1] op_sel_hi:[1,0,0]
	v_pk_add_f32 v[2:3], v[2:3], v[96:97]
	v_mov_b32_e32 v111, v5
	v_pk_mul_f32 v[100:101], v[70:71], v[104:105] op_sel_hi:[1,0]
	s_waitcnt vmcnt(7)
	v_pk_fma_f32 v[64:65], v[68:69], v[82:83], v[98:99] op_sel:[0,0,1] op_sel_hi:[1,1,0] neg_lo:[0,0,1] neg_hi:[0,0,1]
	v_pk_fma_f32 v[66:67], v[68:69], v[82:83], v[98:99] op_sel:[0,0,1] op_sel_hi:[1,0,0]
	v_mov_b32_e32 v9, v7
	v_pk_add_f32 v[2:3], v[2:3], v[110:111]
	v_mov_b32_e32 v108, v89
	s_waitcnt vmcnt(6)
	v_pk_fma_f32 v[68:69], v[70:71], v[84:85], v[100:101] op_sel:[0,0,1] op_sel_hi:[1,1,0] neg_lo:[0,0,1] neg_hi:[0,0,1]
	v_pk_fma_f32 v[70:71], v[70:71], v[84:85], v[100:101] op_sel:[0,0,1] op_sel_hi:[1,0,0]
	v_mov_b32_e32 v65, v67
	v_pk_add_f32 v[2:3], v[2:3], v[8:9]
	v_pk_mul_f32 v[104:105], v[74:75], v[108:109] op_sel_hi:[1,0]
	s_waitcnt vmcnt(5)
	v_pk_fma_f32 v[80:81], v[72:73], v[86:87], v[102:103] op_sel:[0,0,1] op_sel_hi:[1,1,0] neg_lo:[0,0,1] neg_hi:[0,0,1]
	v_pk_fma_f32 v[72:73], v[72:73], v[86:87], v[102:103] op_sel:[0,0,1] op_sel_hi:[1,0,0]
	v_mov_b32_e32 v69, v71
	v_pk_add_f32 v[2:3], v[2:3], v[64:65]
	v_mov_b32_e32 v112, v93
	s_waitcnt vmcnt(2)
	v_pk_fma_f32 v[82:83], v[74:75], v[88:89], v[104:105] op_sel:[0,0,1] op_sel_hi:[1,1,0] neg_lo:[0,0,1] neg_hi:[0,0,1]
	v_pk_fma_f32 v[74:75], v[74:75], v[88:89], v[104:105] op_sel:[0,0,1] op_sel_hi:[1,0,0]
	v_mov_b32_e32 v81, v73
	v_pk_add_f32 v[2:3], v[2:3], v[68:69]
	v_pk_mul_f32 v[108:109], v[78:79], v[112:113] op_sel_hi:[1,0]
	v_pk_fma_f32 v[84:85], v[76:77], v[90:91], v[106:107] op_sel:[0,0,1] op_sel_hi:[1,1,0] neg_lo:[0,0,1] neg_hi:[0,0,1]
	v_pk_fma_f32 v[76:77], v[76:77], v[90:91], v[106:107] op_sel:[0,0,1] op_sel_hi:[1,0,0]
	v_mov_b32_e32 v83, v75
	v_pk_add_f32 v[2:3], v[2:3], v[80:81]
	v_pk_fma_f32 v[86:87], v[78:79], v[92:93], v[108:109] op_sel:[0,0,1] op_sel_hi:[1,1,0] neg_lo:[0,0,1] neg_hi:[0,0,1]
	v_pk_fma_f32 v[78:79], v[78:79], v[92:93], v[108:109] op_sel:[0,0,1] op_sel_hi:[1,0,0]
	v_mov_b32_e32 v85, v77
	v_pk_add_f32 v[2:3], v[2:3], v[82:83]
	v_mov_b32_e32 v87, v79
	v_pk_add_f32 v[2:3], v[2:3], v[84:85]
	v_pk_add_f32 v[2:3], v[2:3], v[86:87]
	s_waitcnt vmcnt(0)
	v_pk_add_f32 v[2:3], v[94:95], v[2:3] neg_lo:[0,1] neg_hi:[0,1]
	buffer_store_dword v2, off, s[0:3], 0 offset:128
	buffer_store_dword v3, off, s[0:3], 0 offset:132
	s_and_saveexec_b64 s[4:5], vcc
	s_cbranch_execz .LBB90_145
; %bb.144:
	buffer_load_dword v2, off, s[0:3], 0 offset:120
	buffer_load_dword v3, off, s[0:3], 0 offset:124
	v_mov_b32_e32 v4, 0
	buffer_store_dword v4, off, s[0:3], 0 offset:120
	buffer_store_dword v4, off, s[0:3], 0 offset:124
	s_waitcnt vmcnt(2)
	ds_write_b64 v1, v[2:3]
.LBB90_145:
	s_or_b64 exec, exec, s[4:5]
	s_waitcnt lgkmcnt(0)
	; wave barrier
	s_waitcnt lgkmcnt(0)
	buffer_load_dword v3, off, s[0:3], 0 offset:132
	buffer_load_dword v98, off, s[0:3], 0 offset:140
	;; [unrolled: 1-line block ×24, first 2 shown]
	v_mov_b32_e32 v2, 0
	ds_read_b128 v[4:7], v2 offset:352
	ds_read_b128 v[64:67], v2 offset:368
	ds_read_b128 v[68:71], v2 offset:384
	ds_read_b128 v[72:75], v2 offset:400
	ds_read_b128 v[76:79], v2 offset:416
	ds_read_b64 v[96:97], v2 offset:432
	v_cmp_lt_u32_e32 vcc, 14, v0
	s_waitcnt vmcnt(23) lgkmcnt(5)
	v_mul_f32_e32 v111, v4, v3
	v_mul_f32_e32 v3, v5, v3
	s_waitcnt vmcnt(22)
	v_mul_f32_e32 v99, v6, v98
	s_waitcnt vmcnt(21) lgkmcnt(4)
	v_mul_f32_e32 v101, v64, v100
	v_mul_f32_e32 v98, v7, v98
	;; [unrolled: 1-line block ×3, first 2 shown]
	s_waitcnt vmcnt(20)
	v_mov_b32_e32 v102, v9
	s_waitcnt vmcnt(19)
	v_mov_b32_e32 v104, v81
	;; [unrolled: 2-line block ×5, first 2 shown]
	s_waitcnt vmcnt(12)
	v_fmac_f32_e32 v111, v5, v103
	v_fma_f32 v3, v4, v103, -v3
	v_mov_b32_e32 v112, v89
	s_waitcnt vmcnt(11)
	v_fmac_f32_e32 v99, v7, v105
	s_waitcnt vmcnt(10)
	v_fmac_f32_e32 v101, v65, v107
	v_fma_f32 v98, v6, v105, -v98
	v_fma_f32 v100, v64, v107, -v100
	v_pk_mul_f32 v[4:5], v[66:67], v[102:103] op_sel_hi:[1,0]
	s_waitcnt lgkmcnt(3)
	v_pk_mul_f32 v[6:7], v[68:69], v[104:105] op_sel_hi:[1,0]
	v_pk_mul_f32 v[64:65], v[70:71], v[106:107] op_sel_hi:[1,0]
	s_waitcnt lgkmcnt(2)
	v_pk_mul_f32 v[102:103], v[72:73], v[108:109] op_sel_hi:[1,0]
	v_pk_mul_f32 v[104:105], v[74:75], v[110:111] op_sel_hi:[1,0]
	v_add_f32_e32 v111, 0, v111
	v_add_f32_e32 v110, 0, v3
	s_waitcnt lgkmcnt(1)
	v_pk_mul_f32 v[106:107], v[76:77], v[112:113] op_sel_hi:[1,0]
	s_waitcnt vmcnt(9)
	v_pk_fma_f32 v[112:113], v[66:67], v[8:9], v[4:5] op_sel:[0,0,1] op_sel_hi:[1,1,0] neg_lo:[0,0,1] neg_hi:[0,0,1]
	v_pk_fma_f32 v[4:5], v[66:67], v[8:9], v[4:5] op_sel:[0,0,1] op_sel_hi:[1,0,0]
	s_waitcnt vmcnt(8)
	v_pk_fma_f32 v[8:9], v[68:69], v[80:81], v[6:7] op_sel:[0,0,1] op_sel_hi:[1,1,0] neg_lo:[0,0,1] neg_hi:[0,0,1]
	v_pk_fma_f32 v[6:7], v[68:69], v[80:81], v[6:7] op_sel:[0,0,1] op_sel_hi:[1,0,0]
	;; [unrolled: 3-line block ×4, first 2 shown]
	v_pk_add_f32 v[84:85], v[110:111], v[98:99]
	v_mov_b32_e32 v113, v5
	v_pk_add_f32 v[4:5], v[84:85], v[100:101]
	v_mov_b32_e32 v9, v7
	;; [unrolled: 2-line block ×4, first 2 shown]
	s_waitcnt vmcnt(2)
	v_pk_fma_f32 v[72:73], v[74:75], v[86:87], v[104:105] op_sel:[0,0,1] op_sel_hi:[1,1,0] neg_lo:[0,0,1] neg_hi:[0,0,1]
	v_pk_fma_f32 v[74:75], v[74:75], v[86:87], v[104:105] op_sel:[0,0,1] op_sel_hi:[1,0,0]
	v_mov_b32_e32 v69, v71
	v_pk_add_f32 v[4:5], v[4:5], v[66:67]
	v_mov_b32_e32 v116, v93
	v_pk_mul_f32 v[108:109], v[78:79], v[114:115] op_sel_hi:[1,0]
	v_pk_fma_f32 v[80:81], v[76:77], v[88:89], v[106:107] op_sel:[0,0,1] op_sel_hi:[1,1,0] neg_lo:[0,0,1] neg_hi:[0,0,1]
	v_pk_fma_f32 v[76:77], v[76:77], v[88:89], v[106:107] op_sel:[0,0,1] op_sel_hi:[1,0,0]
	v_mov_b32_e32 v73, v75
	v_pk_add_f32 v[4:5], v[4:5], v[68:69]
	v_pk_fma_f32 v[82:83], v[78:79], v[90:91], v[108:109] op_sel:[0,0,1] op_sel_hi:[1,1,0] neg_lo:[0,0,1] neg_hi:[0,0,1]
	v_pk_fma_f32 v[78:79], v[78:79], v[90:91], v[108:109] op_sel:[0,0,1] op_sel_hi:[1,0,0]
	v_mov_b32_e32 v81, v77
	v_pk_add_f32 v[4:5], v[4:5], v[72:73]
	s_waitcnt lgkmcnt(0)
	v_pk_mul_f32 v[6:7], v[96:97], v[116:117] op_sel_hi:[1,0]
	v_mov_b32_e32 v83, v79
	v_pk_add_f32 v[4:5], v[4:5], v[80:81]
	v_pk_fma_f32 v[8:9], v[96:97], v[92:93], v[6:7] op_sel:[0,0,1] op_sel_hi:[1,1,0] neg_lo:[0,0,1] neg_hi:[0,0,1]
	v_pk_fma_f32 v[6:7], v[96:97], v[92:93], v[6:7] op_sel:[0,0,1] op_sel_hi:[1,0,0]
	v_pk_add_f32 v[4:5], v[4:5], v[82:83]
	v_mov_b32_e32 v9, v7
	v_pk_add_f32 v[4:5], v[4:5], v[8:9]
	s_waitcnt vmcnt(0)
	v_pk_add_f32 v[4:5], v[94:95], v[4:5] neg_lo:[0,1] neg_hi:[0,1]
	buffer_store_dword v5, off, s[0:3], 0 offset:124
	buffer_store_dword v4, off, s[0:3], 0 offset:120
	s_and_saveexec_b64 s[4:5], vcc
	s_cbranch_execz .LBB90_147
; %bb.146:
	buffer_load_dword v4, off, s[0:3], 0 offset:112
	buffer_load_dword v5, off, s[0:3], 0 offset:116
	s_waitcnt vmcnt(0)
	ds_write_b64 v1, v[4:5]
	buffer_store_dword v2, off, s[0:3], 0 offset:112
	buffer_store_dword v2, off, s[0:3], 0 offset:116
.LBB90_147:
	s_or_b64 exec, exec, s[4:5]
	s_waitcnt lgkmcnt(0)
	; wave barrier
	s_waitcnt lgkmcnt(0)
	buffer_load_dword v100, off, s[0:3], 0 offset:124
	buffer_load_dword v102, off, s[0:3], 0 offset:132
	;; [unrolled: 1-line block ×26, first 2 shown]
	ds_read2_b64 v[4:7], v2 offset0:43 offset1:44
	ds_read2_b64 v[64:67], v2 offset0:45 offset1:46
	;; [unrolled: 1-line block ×6, first 2 shown]
	v_cmp_lt_u32_e32 vcc, 13, v0
	s_waitcnt vmcnt(25) lgkmcnt(5)
	v_mul_f32_e32 v113, v4, v100
	v_mul_f32_e32 v2, v5, v100
	s_waitcnt vmcnt(24)
	v_mul_f32_e32 v114, v6, v102
	s_waitcnt vmcnt(23) lgkmcnt(4)
	v_mul_f32_e32 v3, v64, v103
	s_waitcnt vmcnt(22)
	v_mul_f32_e32 v101, v66, v104
	v_mul_f32_e32 v100, v7, v102
	;; [unrolled: 1-line block ×4, first 2 shown]
	s_waitcnt vmcnt(21)
	v_mov_b32_e32 v102, v9
	s_waitcnt vmcnt(20)
	v_mov_b32_e32 v104, v85
	;; [unrolled: 2-line block ×3, first 2 shown]
	s_waitcnt vmcnt(15)
	v_fmac_f32_e32 v113, v5, v105
	v_fma_f32 v116, v4, v105, -v2
	v_mov_b32_e32 v106, v87
	s_waitcnt vmcnt(14)
	v_fmac_f32_e32 v114, v7, v107
	s_waitcnt vmcnt(13)
	v_fmac_f32_e32 v3, v65, v109
	;; [unrolled: 2-line block ×3, first 2 shown]
	v_fma_f32 v117, v6, v107, -v100
	v_fma_f32 v2, v64, v109, -v103
	;; [unrolled: 1-line block ×3, first 2 shown]
	s_waitcnt lgkmcnt(3)
	v_pk_mul_f32 v[4:5], v[68:69], v[102:103] op_sel_hi:[1,0]
	v_pk_mul_f32 v[6:7], v[70:71], v[104:105] op_sel_hi:[1,0]
	s_waitcnt lgkmcnt(2)
	v_pk_mul_f32 v[66:67], v[74:75], v[108:109] op_sel_hi:[1,0]
	v_add_f32_e32 v108, 0, v113
	v_add_f32_e32 v109, 0, v116
	v_pk_mul_f32 v[64:65], v[72:73], v[106:107] op_sel_hi:[1,0]
	s_waitcnt vmcnt(11)
	v_pk_fma_f32 v[106:107], v[68:69], v[8:9], v[4:5] op_sel:[0,0,1] op_sel_hi:[1,1,0] neg_lo:[0,0,1] neg_hi:[0,0,1]
	v_pk_fma_f32 v[4:5], v[68:69], v[8:9], v[4:5] op_sel:[0,0,1] op_sel_hi:[1,0,0]
	s_waitcnt vmcnt(10)
	v_pk_fma_f32 v[8:9], v[70:71], v[84:85], v[6:7] op_sel:[0,0,1] op_sel_hi:[1,1,0] neg_lo:[0,0,1] neg_hi:[0,0,1]
	v_pk_fma_f32 v[6:7], v[70:71], v[84:85], v[6:7] op_sel:[0,0,1] op_sel_hi:[1,0,0]
	v_add_f32_e32 v85, v108, v114
	v_add_f32_e32 v84, v109, v117
	v_pk_add_f32 v[2:3], v[84:85], v[2:3]
	v_mov_b32_e32 v107, v5
	v_pk_add_f32 v[2:3], v[2:3], v[100:101]
	v_mov_b32_e32 v110, v91
	s_waitcnt vmcnt(9)
	v_pk_fma_f32 v[68:69], v[72:73], v[86:87], v[64:65] op_sel:[0,0,1] op_sel_hi:[1,1,0] neg_lo:[0,0,1] neg_hi:[0,0,1]
	v_pk_fma_f32 v[64:65], v[72:73], v[86:87], v[64:65] op_sel:[0,0,1] op_sel_hi:[1,0,0]
	v_mov_b32_e32 v9, v7
	v_pk_add_f32 v[2:3], v[2:3], v[106:107]
	v_mov_b32_e32 v112, v93
	s_waitcnt lgkmcnt(1)
	v_pk_mul_f32 v[102:103], v[76:77], v[110:111] op_sel_hi:[1,0]
	s_waitcnt vmcnt(5)
	v_pk_fma_f32 v[70:71], v[74:75], v[88:89], v[66:67] op_sel:[0,0,1] op_sel_hi:[1,1,0] neg_lo:[0,0,1] neg_hi:[0,0,1]
	v_pk_fma_f32 v[66:67], v[74:75], v[88:89], v[66:67] op_sel:[0,0,1] op_sel_hi:[1,0,0]
	v_mov_b32_e32 v69, v65
	v_pk_add_f32 v[2:3], v[2:3], v[8:9]
	s_waitcnt vmcnt(4)
	v_mov_b32_e32 v4, v95
	v_pk_mul_f32 v[104:105], v[78:79], v[112:113] op_sel_hi:[1,0]
	v_pk_fma_f32 v[72:73], v[76:77], v[90:91], v[102:103] op_sel:[0,0,1] op_sel_hi:[1,1,0] neg_lo:[0,0,1] neg_hi:[0,0,1]
	v_pk_fma_f32 v[74:75], v[76:77], v[90:91], v[102:103] op_sel:[0,0,1] op_sel_hi:[1,0,0]
	v_mov_b32_e32 v71, v67
	v_pk_add_f32 v[2:3], v[2:3], v[68:69]
	s_waitcnt lgkmcnt(0)
	v_pk_mul_f32 v[4:5], v[80:81], v[4:5] op_sel_hi:[1,0]
	v_pk_fma_f32 v[76:77], v[78:79], v[92:93], v[104:105] op_sel:[0,0,1] op_sel_hi:[1,1,0] neg_lo:[0,0,1] neg_hi:[0,0,1]
	v_pk_fma_f32 v[78:79], v[78:79], v[92:93], v[104:105] op_sel:[0,0,1] op_sel_hi:[1,0,0]
	v_mov_b32_e32 v73, v75
	v_pk_add_f32 v[2:3], v[2:3], v[70:71]
	v_pk_fma_f32 v[6:7], v[80:81], v[94:95], v[4:5] op_sel:[0,0,1] op_sel_hi:[1,1,0] neg_lo:[0,0,1] neg_hi:[0,0,1]
	v_pk_fma_f32 v[4:5], v[80:81], v[94:95], v[4:5] op_sel:[0,0,1] op_sel_hi:[1,0,0]
	v_mov_b32_e32 v77, v79
	v_pk_add_f32 v[2:3], v[2:3], v[72:73]
	s_waitcnt vmcnt(3)
	v_mov_b32_e32 v4, v97
	v_pk_add_f32 v[2:3], v[2:3], v[76:77]
	v_mov_b32_e32 v7, v5
	v_pk_mul_f32 v[4:5], v[82:83], v[4:5] op_sel_hi:[1,0]
	v_pk_add_f32 v[2:3], v[2:3], v[6:7]
	s_waitcnt vmcnt(2)
	v_pk_fma_f32 v[6:7], v[82:83], v[96:97], v[4:5] op_sel:[0,0,1] op_sel_hi:[1,1,0] neg_lo:[0,0,1] neg_hi:[0,0,1]
	v_pk_fma_f32 v[4:5], v[82:83], v[96:97], v[4:5] op_sel:[0,0,1] op_sel_hi:[1,0,0]
	v_mov_b32_e32 v7, v5
	v_pk_add_f32 v[2:3], v[2:3], v[6:7]
	s_waitcnt vmcnt(0)
	v_pk_add_f32 v[2:3], v[98:99], v[2:3] neg_lo:[0,1] neg_hi:[0,1]
	buffer_store_dword v3, off, s[0:3], 0 offset:116
	buffer_store_dword v2, off, s[0:3], 0 offset:112
	s_and_saveexec_b64 s[4:5], vcc
	s_cbranch_execz .LBB90_149
; %bb.148:
	buffer_load_dword v2, off, s[0:3], 0 offset:104
	buffer_load_dword v3, off, s[0:3], 0 offset:108
	v_mov_b32_e32 v4, 0
	buffer_store_dword v4, off, s[0:3], 0 offset:104
	buffer_store_dword v4, off, s[0:3], 0 offset:108
	s_waitcnt vmcnt(2)
	ds_write_b64 v1, v[2:3]
.LBB90_149:
	s_or_b64 exec, exec, s[4:5]
	s_waitcnt lgkmcnt(0)
	; wave barrier
	s_waitcnt lgkmcnt(0)
	buffer_load_dword v3, off, s[0:3], 0 offset:116
	buffer_load_dword v102, off, s[0:3], 0 offset:124
	;; [unrolled: 1-line block ×28, first 2 shown]
	v_mov_b32_e32 v2, 0
	ds_read_b128 v[4:7], v2 offset:336
	ds_read_b128 v[64:67], v2 offset:352
	;; [unrolled: 1-line block ×6, first 2 shown]
	ds_read_b64 v[100:101], v2 offset:432
	v_cmp_lt_u32_e32 vcc, 12, v0
	s_waitcnt vmcnt(27) lgkmcnt(6)
	v_mul_f32_e32 v117, v4, v3
	v_mul_f32_e32 v3, v5, v3
	s_waitcnt vmcnt(26)
	v_mul_f32_e32 v118, v6, v102
	s_waitcnt vmcnt(24) lgkmcnt(5)
	v_mul_f32_e32 v103, v66, v106
	s_waitcnt vmcnt(23) lgkmcnt(4)
	v_mul_f32_e32 v105, v68, v107
	v_mul_f32_e32 v120, v67, v106
	;; [unrolled: 1-line block ×3, first 2 shown]
	s_waitcnt vmcnt(22)
	v_mov_b32_e32 v106, v9
	v_mul_f32_e32 v119, v64, v104
	v_mul_f32_e32 v102, v7, v102
	;; [unrolled: 1-line block ×3, first 2 shown]
	s_waitcnt vmcnt(17)
	v_fmac_f32_e32 v117, v5, v109
	v_fma_f32 v3, v4, v109, -v3
	v_pk_mul_f32 v[4:5], v[70:71], v[106:107] op_sel_hi:[1,0]
	s_waitcnt vmcnt(16)
	v_fmac_f32_e32 v118, v7, v111
	s_waitcnt vmcnt(13)
	v_fmac_f32_e32 v105, v69, v116
	v_fma_f32 v109, v6, v111, -v102
	v_fma_f32 v111, v64, v113, -v104
	;; [unrolled: 1-line block ×3, first 2 shown]
	v_add_f32_e32 v106, 0, v117
	v_add_f32_e32 v3, 0, v3
	s_waitcnt vmcnt(12)
	v_pk_fma_f32 v[68:69], v[70:71], v[8:9], v[4:5] op_sel:[0,0,1] op_sel_hi:[1,1,0] neg_lo:[0,0,1] neg_hi:[0,0,1]
	v_pk_fma_f32 v[4:5], v[70:71], v[8:9], v[4:5] op_sel:[0,0,1] op_sel_hi:[1,0,0]
	v_fmac_f32_e32 v119, v65, v113
	v_add_f32_e32 v4, v106, v118
	v_add_f32_e32 v3, v3, v109
	v_mov_b32_e32 v108, v85
	v_fmac_f32_e32 v103, v67, v115
	v_fma_f32 v102, v66, v115, -v120
	v_mov_b32_e32 v69, v5
	v_add_f32_e32 v5, v4, v119
	v_add_f32_e32 v4, v3, v111
	v_mov_b32_e32 v110, v87
	s_waitcnt lgkmcnt(3)
	v_pk_mul_f32 v[6:7], v[72:73], v[108:109] op_sel_hi:[1,0]
	v_pk_add_f32 v[4:5], v[4:5], v[102:103]
	v_mov_b32_e32 v112, v89
	v_mov_b32_e32 v114, v91
	v_pk_mul_f32 v[64:65], v[74:75], v[110:111] op_sel_hi:[1,0]
	s_waitcnt vmcnt(11)
	v_pk_fma_f32 v[8:9], v[72:73], v[84:85], v[6:7] op_sel:[0,0,1] op_sel_hi:[1,1,0] neg_lo:[0,0,1] neg_hi:[0,0,1]
	v_pk_fma_f32 v[6:7], v[72:73], v[84:85], v[6:7] op_sel:[0,0,1] op_sel_hi:[1,0,0]
	v_pk_add_f32 v[4:5], v[4:5], v[104:105]
	s_waitcnt lgkmcnt(2)
	v_pk_mul_f32 v[66:67], v[76:77], v[112:113] op_sel_hi:[1,0]
	s_waitcnt vmcnt(7)
	v_pk_fma_f32 v[70:71], v[74:75], v[86:87], v[64:65] op_sel:[0,0,1] op_sel_hi:[1,1,0] neg_lo:[0,0,1] neg_hi:[0,0,1]
	v_pk_fma_f32 v[64:65], v[74:75], v[86:87], v[64:65] op_sel:[0,0,1] op_sel_hi:[1,0,0]
	v_mov_b32_e32 v9, v7
	v_pk_add_f32 v[4:5], v[4:5], v[68:69]
	v_pk_mul_f32 v[6:7], v[78:79], v[114:115] op_sel_hi:[1,0]
	v_pk_fma_f32 v[72:73], v[76:77], v[88:89], v[66:67] op_sel:[0,0,1] op_sel_hi:[1,1,0] neg_lo:[0,0,1] neg_hi:[0,0,1]
	v_pk_fma_f32 v[66:67], v[76:77], v[88:89], v[66:67] op_sel:[0,0,1] op_sel_hi:[1,0,0]
	v_mov_b32_e32 v71, v65
	v_pk_add_f32 v[4:5], v[4:5], v[8:9]
	v_pk_fma_f32 v[8:9], v[78:79], v[90:91], v[6:7] op_sel:[0,0,1] op_sel_hi:[1,1,0] neg_lo:[0,0,1] neg_hi:[0,0,1]
	v_pk_fma_f32 v[6:7], v[78:79], v[90:91], v[6:7] op_sel:[0,0,1] op_sel_hi:[1,0,0]
	v_mov_b32_e32 v73, v67
	v_pk_add_f32 v[4:5], v[4:5], v[70:71]
	s_waitcnt vmcnt(6)
	v_mov_b32_e32 v6, v93
	v_pk_add_f32 v[4:5], v[4:5], v[72:73]
	v_mov_b32_e32 v9, v7
	s_waitcnt lgkmcnt(1)
	v_pk_mul_f32 v[6:7], v[80:81], v[6:7] op_sel_hi:[1,0]
	v_pk_add_f32 v[4:5], v[4:5], v[8:9]
	v_pk_fma_f32 v[8:9], v[80:81], v[92:93], v[6:7] op_sel:[0,0,1] op_sel_hi:[1,1,0] neg_lo:[0,0,1] neg_hi:[0,0,1]
	v_pk_fma_f32 v[6:7], v[80:81], v[92:93], v[6:7] op_sel:[0,0,1] op_sel_hi:[1,0,0]
	s_waitcnt vmcnt(5)
	v_mov_b32_e32 v6, v95
	v_mov_b32_e32 v9, v7
	v_pk_mul_f32 v[6:7], v[82:83], v[6:7] op_sel_hi:[1,0]
	v_pk_add_f32 v[4:5], v[4:5], v[8:9]
	s_waitcnt vmcnt(3)
	v_pk_fma_f32 v[8:9], v[82:83], v[94:95], v[6:7] op_sel:[0,0,1] op_sel_hi:[1,1,0] neg_lo:[0,0,1] neg_hi:[0,0,1]
	v_pk_fma_f32 v[6:7], v[82:83], v[94:95], v[6:7] op_sel:[0,0,1] op_sel_hi:[1,0,0]
	s_waitcnt vmcnt(2)
	v_mov_b32_e32 v6, v97
	v_mov_b32_e32 v9, v7
	s_waitcnt lgkmcnt(0)
	v_pk_mul_f32 v[6:7], v[100:101], v[6:7] op_sel_hi:[1,0]
	v_pk_add_f32 v[4:5], v[4:5], v[8:9]
	v_pk_fma_f32 v[8:9], v[100:101], v[96:97], v[6:7] op_sel:[0,0,1] op_sel_hi:[1,1,0] neg_lo:[0,0,1] neg_hi:[0,0,1]
	v_pk_fma_f32 v[6:7], v[100:101], v[96:97], v[6:7] op_sel:[0,0,1] op_sel_hi:[1,0,0]
	v_mov_b32_e32 v9, v7
	v_pk_add_f32 v[4:5], v[4:5], v[8:9]
	s_waitcnt vmcnt(0)
	v_pk_add_f32 v[4:5], v[98:99], v[4:5] neg_lo:[0,1] neg_hi:[0,1]
	buffer_store_dword v5, off, s[0:3], 0 offset:108
	buffer_store_dword v4, off, s[0:3], 0 offset:104
	s_and_saveexec_b64 s[4:5], vcc
	s_cbranch_execz .LBB90_151
; %bb.150:
	buffer_load_dword v4, off, s[0:3], 0 offset:96
	buffer_load_dword v5, off, s[0:3], 0 offset:100
	s_waitcnt vmcnt(0)
	ds_write_b64 v1, v[4:5]
	buffer_store_dword v2, off, s[0:3], 0 offset:96
	buffer_store_dword v2, off, s[0:3], 0 offset:100
.LBB90_151:
	s_or_b64 exec, exec, s[4:5]
	s_waitcnt lgkmcnt(0)
	; wave barrier
	s_waitcnt lgkmcnt(0)
	buffer_load_dword v104, off, s[0:3], 0 offset:108
	buffer_load_dword v106, off, s[0:3], 0 offset:116
	;; [unrolled: 1-line block ×30, first 2 shown]
	ds_read2_b64 v[4:7], v2 offset0:41 offset1:42
	ds_read2_b64 v[64:67], v2 offset0:43 offset1:44
	ds_read2_b64 v[68:71], v2 offset0:45 offset1:46
	ds_read2_b64 v[72:75], v2 offset0:47 offset1:48
	ds_read2_b64 v[76:79], v2 offset0:49 offset1:50
	ds_read2_b64 v[80:83], v2 offset0:51 offset1:52
	ds_read2_b64 v[84:87], v2 offset0:53 offset1:54
	v_cmp_lt_u32_e32 vcc, 11, v0
	s_waitcnt vmcnt(29) lgkmcnt(6)
	v_mul_f32_e32 v117, v4, v104
	s_waitcnt vmcnt(28)
	v_mul_f32_e32 v118, v6, v106
	s_waitcnt vmcnt(27) lgkmcnt(5)
	v_mul_f32_e32 v119, v64, v107
	v_mul_f32_e32 v107, v65, v107
	s_waitcnt vmcnt(26)
	v_mul_f32_e32 v120, v66, v108
	s_waitcnt vmcnt(25) lgkmcnt(4)
	v_mul_f32_e32 v3, v68, v109
	s_waitcnt vmcnt(24)
	v_mul_f32_e32 v105, v70, v110
	v_mul_f32_e32 v2, v5, v104
	;; [unrolled: 1-line block ×5, first 2 shown]
	s_waitcnt vmcnt(23)
	v_mov_b32_e32 v106, v9
	s_waitcnt vmcnt(22)
	v_mov_b32_e32 v108, v89
	s_waitcnt vmcnt(18)
	v_fma_f32 v107, v64, v113, -v107
	v_mul_f32_e32 v122, v71, v110
	v_fmac_f32_e32 v117, v5, v111
	v_fmac_f32_e32 v118, v7, v112
	s_waitcnt vmcnt(17)
	v_fmac_f32_e32 v120, v67, v114
	s_waitcnt vmcnt(15)
	v_fmac_f32_e32 v105, v71, v116
	v_fma_f32 v67, v4, v111, -v2
	v_fma_f32 v71, v6, v112, -v104
	s_waitcnt lgkmcnt(3)
	v_pk_mul_f32 v[4:5], v[72:73], v[106:107] op_sel_hi:[1,0]
	v_pk_mul_f32 v[6:7], v[74:75], v[108:109] op_sel_hi:[1,0]
	v_fma_f32 v111, v66, v114, -v121
	v_fma_f32 v104, v70, v116, -v122
	v_add_f32_e32 v70, 0, v117
	v_add_f32_e32 v106, 0, v67
	s_waitcnt vmcnt(14)
	v_pk_fma_f32 v[66:67], v[72:73], v[8:9], v[4:5] op_sel:[0,0,1] op_sel_hi:[1,1,0] neg_lo:[0,0,1] neg_hi:[0,0,1]
	v_pk_fma_f32 v[4:5], v[72:73], v[8:9], v[4:5] op_sel:[0,0,1] op_sel_hi:[1,0,0]
	s_waitcnt vmcnt(10)
	v_pk_fma_f32 v[8:9], v[74:75], v[88:89], v[6:7] op_sel:[0,0,1] op_sel_hi:[1,1,0] neg_lo:[0,0,1] neg_hi:[0,0,1]
	v_pk_fma_f32 v[6:7], v[74:75], v[88:89], v[6:7] op_sel:[0,0,1] op_sel_hi:[1,0,0]
	v_fmac_f32_e32 v119, v65, v113
	v_add_f32_e32 v4, v70, v118
	v_add_f32_e32 v6, v106, v71
	;; [unrolled: 1-line block ×4, first 2 shown]
	v_fmac_f32_e32 v3, v69, v115
	v_fma_f32 v2, v68, v115, -v109
	v_mov_b32_e32 v67, v5
	v_add_f32_e32 v5, v4, v120
	v_add_f32_e32 v4, v6, v111
	v_mov_b32_e32 v110, v91
	v_pk_add_f32 v[2:3], v[4:5], v[2:3]
	s_waitcnt vmcnt(9)
	v_mov_b32_e32 v4, v95
	s_waitcnt lgkmcnt(2)
	v_pk_mul_f32 v[64:65], v[76:77], v[110:111] op_sel_hi:[1,0]
	v_pk_add_f32 v[2:3], v[2:3], v[104:105]
	v_pk_mul_f32 v[4:5], v[78:79], v[4:5] op_sel_hi:[1,0]
	v_pk_fma_f32 v[68:69], v[76:77], v[90:91], v[64:65] op_sel:[0,0,1] op_sel_hi:[1,1,0] neg_lo:[0,0,1] neg_hi:[0,0,1]
	v_pk_fma_f32 v[64:65], v[76:77], v[90:91], v[64:65] op_sel:[0,0,1] op_sel_hi:[1,0,0]
	v_mov_b32_e32 v9, v7
	v_pk_add_f32 v[2:3], v[2:3], v[66:67]
	v_pk_fma_f32 v[6:7], v[78:79], v[94:95], v[4:5] op_sel:[0,0,1] op_sel_hi:[1,1,0] neg_lo:[0,0,1] neg_hi:[0,0,1]
	v_pk_fma_f32 v[4:5], v[78:79], v[94:95], v[4:5] op_sel:[0,0,1] op_sel_hi:[1,0,0]
	v_mov_b32_e32 v69, v65
	v_pk_add_f32 v[2:3], v[2:3], v[8:9]
	s_waitcnt vmcnt(8)
	v_mov_b32_e32 v4, v93
	v_pk_add_f32 v[2:3], v[2:3], v[68:69]
	v_mov_b32_e32 v7, v5
	s_waitcnt lgkmcnt(1)
	v_pk_mul_f32 v[4:5], v[80:81], v[4:5] op_sel_hi:[1,0]
	v_pk_add_f32 v[2:3], v[2:3], v[6:7]
	v_pk_fma_f32 v[6:7], v[80:81], v[92:93], v[4:5] op_sel:[0,0,1] op_sel_hi:[1,1,0] neg_lo:[0,0,1] neg_hi:[0,0,1]
	v_pk_fma_f32 v[4:5], v[80:81], v[92:93], v[4:5] op_sel:[0,0,1] op_sel_hi:[1,0,0]
	s_waitcnt vmcnt(7)
	v_mov_b32_e32 v4, v97
	v_mov_b32_e32 v7, v5
	v_pk_mul_f32 v[4:5], v[82:83], v[4:5] op_sel_hi:[1,0]
	v_pk_add_f32 v[2:3], v[2:3], v[6:7]
	s_waitcnt vmcnt(4)
	v_pk_fma_f32 v[6:7], v[82:83], v[96:97], v[4:5] op_sel:[0,0,1] op_sel_hi:[1,1,0] neg_lo:[0,0,1] neg_hi:[0,0,1]
	v_pk_fma_f32 v[4:5], v[82:83], v[96:97], v[4:5] op_sel:[0,0,1] op_sel_hi:[1,0,0]
	s_waitcnt vmcnt(3)
	v_mov_b32_e32 v4, v101
	v_mov_b32_e32 v7, v5
	s_waitcnt lgkmcnt(0)
	v_pk_mul_f32 v[4:5], v[84:85], v[4:5] op_sel_hi:[1,0]
	v_pk_add_f32 v[2:3], v[2:3], v[6:7]
	v_pk_fma_f32 v[6:7], v[84:85], v[100:101], v[4:5] op_sel:[0,0,1] op_sel_hi:[1,1,0] neg_lo:[0,0,1] neg_hi:[0,0,1]
	v_pk_fma_f32 v[4:5], v[84:85], v[100:101], v[4:5] op_sel:[0,0,1] op_sel_hi:[1,0,0]
	s_waitcnt vmcnt(0)
	v_mov_b32_e32 v4, v99
	v_mov_b32_e32 v7, v5
	v_pk_mul_f32 v[4:5], v[86:87], v[4:5] op_sel_hi:[1,0]
	v_pk_add_f32 v[2:3], v[2:3], v[6:7]
	v_pk_fma_f32 v[6:7], v[86:87], v[98:99], v[4:5] op_sel:[0,0,1] op_sel_hi:[1,1,0] neg_lo:[0,0,1] neg_hi:[0,0,1]
	v_pk_fma_f32 v[4:5], v[86:87], v[98:99], v[4:5] op_sel:[0,0,1] op_sel_hi:[1,0,0]
	v_mov_b32_e32 v7, v5
	v_pk_add_f32 v[2:3], v[2:3], v[6:7]
	v_pk_add_f32 v[2:3], v[102:103], v[2:3] neg_lo:[0,1] neg_hi:[0,1]
	buffer_store_dword v3, off, s[0:3], 0 offset:100
	buffer_store_dword v2, off, s[0:3], 0 offset:96
	s_and_saveexec_b64 s[4:5], vcc
	s_cbranch_execz .LBB90_153
; %bb.152:
	buffer_load_dword v2, off, s[0:3], 0 offset:88
	buffer_load_dword v3, off, s[0:3], 0 offset:92
	v_mov_b32_e32 v4, 0
	buffer_store_dword v4, off, s[0:3], 0 offset:88
	buffer_store_dword v4, off, s[0:3], 0 offset:92
	s_waitcnt vmcnt(2)
	ds_write_b64 v1, v[2:3]
.LBB90_153:
	s_or_b64 exec, exec, s[4:5]
	s_waitcnt lgkmcnt(0)
	; wave barrier
	s_waitcnt lgkmcnt(0)
	buffer_load_dword v5, off, s[0:3], 0 offset:100
	buffer_load_dword v106, off, s[0:3], 0 offset:108
	;; [unrolled: 1-line block ×32, first 2 shown]
	v_mov_b32_e32 v4, 0
	ds_read_b128 v[6:9], v4 offset:320
	ds_read_b128 v[64:67], v4 offset:336
	;; [unrolled: 1-line block ×7, first 2 shown]
	ds_read_b64 v[104:105], v4 offset:432
	v_cmp_lt_u32_e32 vcc, 10, v0
	s_waitcnt vmcnt(31) lgkmcnt(7)
	v_mul_f32_e32 v121, v6, v5
	v_mul_f32_e32 v5, v7, v5
	s_waitcnt vmcnt(30)
	v_mul_f32_e32 v122, v8, v106
	s_waitcnt vmcnt(28) lgkmcnt(6)
	v_mul_f32_e32 v124, v66, v110
	s_waitcnt vmcnt(27) lgkmcnt(5)
	v_mul_f32_e32 v125, v68, v111
	v_mul_f32_e32 v126, v67, v110
	;; [unrolled: 1-line block ×3, first 2 shown]
	s_waitcnt vmcnt(24)
	v_mov_b32_e32 v110, v3
	v_mul_f32_e32 v123, v64, v108
	v_mul_f32_e32 v106, v9, v106
	s_waitcnt vmcnt(22)
	v_fmac_f32_e32 v121, v7, v114
	v_fma_f32 v5, v6, v114, -v5
	s_waitcnt lgkmcnt(4)
	v_pk_mul_f32 v[6:7], v[74:75], v[110:111] op_sel_hi:[1,0]
	v_mul_f32_e32 v108, v65, v108
	s_waitcnt vmcnt(21)
	v_fmac_f32_e32 v122, v9, v115
	s_waitcnt vmcnt(20)
	v_fmac_f32_e32 v123, v65, v116
	;; [unrolled: 2-line block ×3, first 2 shown]
	v_fma_f32 v65, v8, v115, -v106
	s_waitcnt vmcnt(18)
	v_fma_f32 v67, v68, v118, -v111
	v_add_f32_e32 v68, 0, v121
	v_add_f32_e32 v5, 0, v5
	s_waitcnt vmcnt(12)
	v_pk_fma_f32 v[8:9], v[74:75], v[2:3], v[6:7] op_sel:[0,0,1] op_sel_hi:[1,1,0] neg_lo:[0,0,1] neg_hi:[0,0,1]
	v_pk_fma_f32 v[2:3], v[74:75], v[2:3], v[6:7] op_sel:[0,0,1] op_sel_hi:[1,0,0]
	v_fma_f32 v64, v64, v116, -v108
	v_add_f32_e32 v2, v68, v122
	v_add_f32_e32 v5, v5, v65
	v_fma_f32 v66, v66, v117, -v126
	v_mov_b32_e32 v9, v3
	v_add_f32_e32 v2, v2, v123
	v_add_f32_e32 v3, v5, v64
	v_mul_f32_e32 v107, v70, v112
	v_mul_f32_e32 v127, v71, v112
	v_fmac_f32_e32 v125, v69, v118
	v_add_f32_e32 v2, v2, v124
	v_add_f32_e32 v5, v3, v66
	v_mul_f32_e32 v109, v72, v113
	v_mul_f32_e32 v113, v73, v113
	v_fmac_f32_e32 v107, v71, v119
	v_fma_f32 v106, v70, v119, -v127
	v_add_f32_e32 v3, v2, v125
	v_add_f32_e32 v2, v5, v67
	v_mov_b32_e32 v112, v89
	v_fmac_f32_e32 v109, v73, v120
	v_fma_f32 v108, v72, v120, -v113
	v_pk_add_f32 v[2:3], v[2:3], v[106:107]
	v_pk_add_f32 v[2:3], v[2:3], v[108:109]
	s_waitcnt lgkmcnt(3)
	v_pk_mul_f32 v[6:7], v[76:77], v[112:113] op_sel_hi:[1,0]
	v_pk_add_f32 v[2:3], v[2:3], v[8:9]
	v_pk_fma_f32 v[8:9], v[76:77], v[88:89], v[6:7] op_sel:[0,0,1] op_sel_hi:[1,1,0] neg_lo:[0,0,1] neg_hi:[0,0,1]
	v_pk_fma_f32 v[6:7], v[76:77], v[88:89], v[6:7] op_sel:[0,0,1] op_sel_hi:[1,0,0]
	s_waitcnt vmcnt(11)
	v_mov_b32_e32 v6, v93
	v_mov_b32_e32 v9, v7
	v_pk_mul_f32 v[6:7], v[78:79], v[6:7] op_sel_hi:[1,0]
	v_pk_add_f32 v[2:3], v[2:3], v[8:9]
	v_pk_fma_f32 v[8:9], v[78:79], v[92:93], v[6:7] op_sel:[0,0,1] op_sel_hi:[1,1,0] neg_lo:[0,0,1] neg_hi:[0,0,1]
	v_pk_fma_f32 v[6:7], v[78:79], v[92:93], v[6:7] op_sel:[0,0,1] op_sel_hi:[1,0,0]
	s_waitcnt vmcnt(10)
	v_mov_b32_e32 v6, v91
	v_mov_b32_e32 v9, v7
	s_waitcnt lgkmcnt(2)
	v_pk_mul_f32 v[6:7], v[80:81], v[6:7] op_sel_hi:[1,0]
	v_pk_add_f32 v[2:3], v[2:3], v[8:9]
	v_pk_fma_f32 v[8:9], v[80:81], v[90:91], v[6:7] op_sel:[0,0,1] op_sel_hi:[1,1,0] neg_lo:[0,0,1] neg_hi:[0,0,1]
	v_pk_fma_f32 v[6:7], v[80:81], v[90:91], v[6:7] op_sel:[0,0,1] op_sel_hi:[1,0,0]
	s_waitcnt vmcnt(9)
	v_mov_b32_e32 v6, v95
	v_mov_b32_e32 v9, v7
	v_pk_mul_f32 v[6:7], v[82:83], v[6:7] op_sel_hi:[1,0]
	v_pk_add_f32 v[2:3], v[2:3], v[8:9]
	s_waitcnt vmcnt(4)
	v_pk_fma_f32 v[8:9], v[82:83], v[94:95], v[6:7] op_sel:[0,0,1] op_sel_hi:[1,1,0] neg_lo:[0,0,1] neg_hi:[0,0,1]
	v_pk_fma_f32 v[6:7], v[82:83], v[94:95], v[6:7] op_sel:[0,0,1] op_sel_hi:[1,0,0]
	v_mov_b32_e32 v6, v101
	v_mov_b32_e32 v9, v7
	s_waitcnt lgkmcnt(1)
	v_pk_mul_f32 v[6:7], v[84:85], v[6:7] op_sel_hi:[1,0]
	v_pk_add_f32 v[2:3], v[2:3], v[8:9]
	v_pk_fma_f32 v[8:9], v[84:85], v[100:101], v[6:7] op_sel:[0,0,1] op_sel_hi:[1,1,0] neg_lo:[0,0,1] neg_hi:[0,0,1]
	v_pk_fma_f32 v[6:7], v[84:85], v[100:101], v[6:7] op_sel:[0,0,1] op_sel_hi:[1,0,0]
	s_waitcnt vmcnt(3)
	v_mov_b32_e32 v6, v99
	v_mov_b32_e32 v9, v7
	v_pk_mul_f32 v[6:7], v[86:87], v[6:7] op_sel_hi:[1,0]
	v_pk_add_f32 v[2:3], v[2:3], v[8:9]
	v_pk_fma_f32 v[8:9], v[86:87], v[98:99], v[6:7] op_sel:[0,0,1] op_sel_hi:[1,1,0] neg_lo:[0,0,1] neg_hi:[0,0,1]
	v_pk_fma_f32 v[6:7], v[86:87], v[98:99], v[6:7] op_sel:[0,0,1] op_sel_hi:[1,0,0]
	s_waitcnt vmcnt(0)
	v_mov_b32_e32 v6, v97
	v_mov_b32_e32 v9, v7
	s_waitcnt lgkmcnt(0)
	v_pk_mul_f32 v[6:7], v[104:105], v[6:7] op_sel_hi:[1,0]
	v_pk_add_f32 v[2:3], v[2:3], v[8:9]
	v_pk_fma_f32 v[8:9], v[104:105], v[96:97], v[6:7] op_sel:[0,0,1] op_sel_hi:[1,1,0] neg_lo:[0,0,1] neg_hi:[0,0,1]
	v_pk_fma_f32 v[6:7], v[104:105], v[96:97], v[6:7] op_sel:[0,0,1] op_sel_hi:[1,0,0]
	v_mov_b32_e32 v9, v7
	v_pk_add_f32 v[2:3], v[2:3], v[8:9]
	v_pk_add_f32 v[2:3], v[102:103], v[2:3] neg_lo:[0,1] neg_hi:[0,1]
	buffer_store_dword v3, off, s[0:3], 0 offset:92
	buffer_store_dword v2, off, s[0:3], 0 offset:88
	s_and_saveexec_b64 s[4:5], vcc
	s_cbranch_execz .LBB90_155
; %bb.154:
	buffer_load_dword v2, off, s[0:3], 0 offset:80
	buffer_load_dword v3, off, s[0:3], 0 offset:84
	s_waitcnt vmcnt(0)
	ds_write_b64 v1, v[2:3]
	buffer_store_dword v4, off, s[0:3], 0 offset:80
	buffer_store_dword v4, off, s[0:3], 0 offset:84
.LBB90_155:
	s_or_b64 exec, exec, s[4:5]
	s_waitcnt lgkmcnt(0)
	; wave barrier
	s_waitcnt lgkmcnt(0)
	ds_read2_b64 v[6:9], v4 offset0:39 offset1:40
	buffer_load_dword v2, off, s[0:3], 0 offset:80
	buffer_load_dword v3, off, s[0:3], 0 offset:84
	;; [unrolled: 1-line block ×16, first 2 shown]
	v_cmp_lt_u32_e32 vcc, 9, v0
	s_waitcnt vmcnt(12) lgkmcnt(0)
	v_mul_f32_e32 v64, v6, v80
	v_fmac_f32_e32 v64, v7, v5
	s_waitcnt vmcnt(10)
	v_mul_f32_e32 v65, v8, v84
	v_add_f32_e32 v64, 0, v64
	v_fmac_f32_e32 v65, v9, v82
	v_add_f32_e32 v68, v64, v65
	ds_read2_b64 v[64:67], v4 offset0:41 offset1:42
	v_mul_f32_e32 v7, v7, v80
	v_fma_f32 v5, v6, v5, -v7
	v_mul_f32_e32 v6, v9, v84
	v_add_f32_e32 v5, 0, v5
	s_waitcnt vmcnt(8) lgkmcnt(0)
	v_mul_f32_e32 v69, v64, v103
	v_fmac_f32_e32 v69, v65, v102
	v_add_f32_e32 v68, v68, v69
	s_waitcnt vmcnt(6)
	v_mul_f32_e32 v69, v66, v105
	v_fmac_f32_e32 v69, v67, v104
	v_add_f32_e32 v72, v68, v69
	ds_read2_b64 v[68:71], v4 offset0:43 offset1:44
	v_fma_f32 v6, v8, v82, -v6
	v_add_f32_e32 v5, v5, v6
	v_mul_f32_e32 v6, v65, v103
	v_fma_f32 v6, v64, v102, -v6
	s_waitcnt vmcnt(4) lgkmcnt(0)
	v_mul_f32_e32 v73, v68, v107
	v_fmac_f32_e32 v73, v69, v106
	v_add_f32_e32 v72, v72, v73
	s_waitcnt vmcnt(2)
	v_mul_f32_e32 v73, v70, v109
	v_fmac_f32_e32 v73, v71, v108
	v_add_f32_e32 v81, v72, v73
	ds_read2_b64 v[72:75], v4 offset0:45 offset1:46
	buffer_load_dword v112, off, s[0:3], 0 offset:144
	buffer_load_dword v113, off, s[0:3], 0 offset:148
	;; [unrolled: 1-line block ×4, first 2 shown]
	ds_read2_b64 v[76:79], v4 offset0:47 offset1:48
	buffer_load_dword v89, off, s[0:3], 0 offset:164
	buffer_load_dword v88, off, s[0:3], 0 offset:160
	;; [unrolled: 1-line block ×14, first 2 shown]
	v_add_f32_e32 v5, v5, v6
	v_mul_f32_e32 v6, v67, v105
	v_fma_f32 v6, v66, v104, -v6
	v_add_f32_e32 v5, v5, v6
	v_mul_f32_e32 v6, v69, v107
	v_fma_f32 v6, v68, v106, -v6
	;; [unrolled: 3-line block ×3, first 2 shown]
	v_add_f32_e32 v80, v5, v6
	s_waitcnt vmcnt(18) lgkmcnt(1)
	v_mul_f32_e32 v5, v73, v111
	v_mul_f32_e32 v83, v72, v111
	v_fma_f32 v82, v72, v110, -v5
	v_fmac_f32_e32 v83, v73, v110
	ds_read2_b64 v[6:9], v4 offset0:49 offset1:50
	ds_read2_b64 v[64:67], v4 offset0:51 offset1:52
	;; [unrolled: 1-line block ×3, first 2 shown]
	s_waitcnt vmcnt(15)
	v_mov_b32_e32 v72, v87
	v_mul_f32_e32 v85, v74, v113
	v_mul_f32_e32 v5, v75, v113
	s_waitcnt lgkmcnt(3)
	v_pk_mul_f32 v[72:73], v[76:77], v[72:73] op_sel_hi:[1,0]
	v_fmac_f32_e32 v85, v75, v112
	v_fma_f32 v84, v74, v112, -v5
	s_waitcnt vmcnt(14)
	v_pk_fma_f32 v[74:75], v[76:77], v[86:87], v[72:73] op_sel:[0,0,1] op_sel_hi:[1,1,0] neg_lo:[0,0,1] neg_hi:[0,0,1]
	v_pk_fma_f32 v[72:73], v[76:77], v[86:87], v[72:73] op_sel:[0,0,1] op_sel_hi:[1,0,0]
	v_pk_add_f32 v[4:5], v[80:81], v[82:83]
	s_waitcnt vmcnt(13)
	v_mov_b32_e32 v72, v89
	v_pk_add_f32 v[4:5], v[4:5], v[84:85]
	v_mov_b32_e32 v75, v73
	v_pk_mul_f32 v[72:73], v[78:79], v[72:73] op_sel_hi:[1,0]
	v_pk_add_f32 v[4:5], v[4:5], v[74:75]
	s_waitcnt vmcnt(12)
	v_pk_fma_f32 v[74:75], v[78:79], v[88:89], v[72:73] op_sel:[0,0,1] op_sel_hi:[1,1,0] neg_lo:[0,0,1] neg_hi:[0,0,1]
	v_pk_fma_f32 v[72:73], v[78:79], v[88:89], v[72:73] op_sel:[0,0,1] op_sel_hi:[1,0,0]
	s_waitcnt vmcnt(11)
	v_mov_b32_e32 v72, v91
	v_mov_b32_e32 v75, v73
	s_waitcnt lgkmcnt(2)
	v_pk_mul_f32 v[72:73], v[6:7], v[72:73] op_sel_hi:[1,0]
	v_pk_add_f32 v[4:5], v[4:5], v[74:75]
	s_waitcnt vmcnt(10)
	v_pk_fma_f32 v[74:75], v[6:7], v[90:91], v[72:73] op_sel:[0,0,1] op_sel_hi:[1,1,0] neg_lo:[0,0,1] neg_hi:[0,0,1]
	v_pk_fma_f32 v[6:7], v[6:7], v[90:91], v[72:73] op_sel:[0,0,1] op_sel_hi:[1,0,0]
	s_waitcnt vmcnt(9)
	v_mov_b32_e32 v6, v93
	v_mov_b32_e32 v75, v7
	v_pk_mul_f32 v[6:7], v[8:9], v[6:7] op_sel_hi:[1,0]
	s_waitcnt vmcnt(8)
	v_pk_fma_f32 v[72:73], v[8:9], v[92:93], v[6:7] op_sel:[0,0,1] op_sel_hi:[1,1,0] neg_lo:[0,0,1] neg_hi:[0,0,1]
	v_pk_fma_f32 v[6:7], v[8:9], v[92:93], v[6:7] op_sel:[0,0,1] op_sel_hi:[1,0,0]
	s_waitcnt vmcnt(7)
	v_mov_b32_e32 v6, v95
	v_mov_b32_e32 v73, v7
	s_waitcnt lgkmcnt(1)
	v_pk_mul_f32 v[6:7], v[64:65], v[6:7] op_sel_hi:[1,0]
	s_waitcnt vmcnt(6)
	v_pk_fma_f32 v[8:9], v[64:65], v[94:95], v[6:7] op_sel:[0,0,1] op_sel_hi:[1,1,0] neg_lo:[0,0,1] neg_hi:[0,0,1]
	v_pk_fma_f32 v[6:7], v[64:65], v[94:95], v[6:7] op_sel:[0,0,1] op_sel_hi:[1,0,0]
	v_pk_add_f32 v[4:5], v[4:5], v[74:75]
	s_waitcnt vmcnt(5)
	v_mov_b32_e32 v6, v97
	v_pk_add_f32 v[4:5], v[4:5], v[72:73]
	v_mov_b32_e32 v9, v7
	v_pk_mul_f32 v[6:7], v[66:67], v[6:7] op_sel_hi:[1,0]
	v_pk_add_f32 v[4:5], v[4:5], v[8:9]
	s_waitcnt vmcnt(4)
	v_pk_fma_f32 v[8:9], v[66:67], v[96:97], v[6:7] op_sel:[0,0,1] op_sel_hi:[1,1,0] neg_lo:[0,0,1] neg_hi:[0,0,1]
	v_pk_fma_f32 v[6:7], v[66:67], v[96:97], v[6:7] op_sel:[0,0,1] op_sel_hi:[1,0,0]
	s_waitcnt vmcnt(3)
	v_mov_b32_e32 v6, v99
	v_mov_b32_e32 v9, v7
	s_waitcnt lgkmcnt(0)
	v_pk_mul_f32 v[6:7], v[68:69], v[6:7] op_sel_hi:[1,0]
	v_pk_add_f32 v[4:5], v[4:5], v[8:9]
	s_waitcnt vmcnt(2)
	v_pk_fma_f32 v[8:9], v[68:69], v[98:99], v[6:7] op_sel:[0,0,1] op_sel_hi:[1,1,0] neg_lo:[0,0,1] neg_hi:[0,0,1]
	v_pk_fma_f32 v[6:7], v[68:69], v[98:99], v[6:7] op_sel:[0,0,1] op_sel_hi:[1,0,0]
	s_waitcnt vmcnt(1)
	v_mov_b32_e32 v6, v101
	v_mov_b32_e32 v9, v7
	v_pk_mul_f32 v[6:7], v[70:71], v[6:7] op_sel_hi:[1,0]
	v_pk_add_f32 v[4:5], v[4:5], v[8:9]
	s_waitcnt vmcnt(0)
	v_pk_fma_f32 v[8:9], v[70:71], v[100:101], v[6:7] op_sel:[0,0,1] op_sel_hi:[1,1,0] neg_lo:[0,0,1] neg_hi:[0,0,1]
	v_pk_fma_f32 v[6:7], v[70:71], v[100:101], v[6:7] op_sel:[0,0,1] op_sel_hi:[1,0,0]
	v_mov_b32_e32 v9, v7
	v_pk_add_f32 v[4:5], v[4:5], v[8:9]
	v_pk_add_f32 v[2:3], v[2:3], v[4:5] neg_lo:[0,1] neg_hi:[0,1]
	buffer_store_dword v3, off, s[0:3], 0 offset:84
	buffer_store_dword v2, off, s[0:3], 0 offset:80
	s_and_saveexec_b64 s[4:5], vcc
	s_cbranch_execz .LBB90_157
; %bb.156:
	buffer_load_dword v2, off, s[0:3], 0 offset:72
	buffer_load_dword v3, off, s[0:3], 0 offset:76
	v_mov_b32_e32 v4, 0
	buffer_store_dword v4, off, s[0:3], 0 offset:72
	buffer_store_dword v4, off, s[0:3], 0 offset:76
	s_waitcnt vmcnt(2)
	ds_write_b64 v1, v[2:3]
.LBB90_157:
	s_or_b64 exec, exec, s[4:5]
	s_waitcnt lgkmcnt(0)
	; wave barrier
	s_waitcnt lgkmcnt(0)
	buffer_load_dword v5, off, s[0:3], 0 offset:84
	buffer_load_dword v100, off, s[0:3], 0 offset:92
	;; [unrolled: 1-line block ×36, first 2 shown]
	v_mov_b32_e32 v4, 0
	ds_read_b128 v[6:9], v4 offset:304
	ds_read_b128 v[64:67], v4 offset:320
	;; [unrolled: 1-line block ×6, first 2 shown]
	v_cmp_lt_u32_e32 vcc, 8, v0
	s_waitcnt vmcnt(35) lgkmcnt(5)
	v_mul_f32_e32 v119, v6, v5
	s_waitcnt vmcnt(34)
	v_mul_f32_e32 v120, v8, v100
	s_waitcnt vmcnt(33) lgkmcnt(4)
	v_mul_f32_e32 v121, v64, v102
	v_mul_f32_e32 v5, v7, v5
	;; [unrolled: 1-line block ×4, first 2 shown]
	s_waitcnt vmcnt(32)
	v_mul_f32_e32 v122, v66, v104
	s_waitcnt vmcnt(31) lgkmcnt(3)
	v_mul_f32_e32 v123, v68, v105
	v_mul_f32_e32 v104, v67, v104
	s_waitcnt vmcnt(26)
	v_fmac_f32_e32 v119, v7, v110
	s_waitcnt vmcnt(25)
	v_fmac_f32_e32 v120, v9, v111
	;; [unrolled: 2-line block ×3, first 2 shown]
	v_fma_f32 v5, v6, v110, -v5
	v_add_f32_e32 v65, 0, v119
	v_fma_f32 v6, v8, v111, -v100
	v_add_f32_e32 v5, 0, v5
	v_add_f32_e32 v65, v65, v120
	s_waitcnt vmcnt(23)
	v_fmac_f32_e32 v122, v67, v113
	v_fma_f32 v7, v64, v112, -v102
	v_add_f32_e32 v5, v5, v6
	v_add_f32_e32 v6, v65, v121
	v_mul_f32_e32 v124, v70, v106
	v_mul_f32_e32 v105, v69, v105
	s_waitcnt vmcnt(22)
	v_fmac_f32_e32 v123, v69, v114
	v_fma_f32 v8, v66, v113, -v104
	v_add_f32_e32 v5, v5, v7
	v_add_f32_e32 v6, v6, v122
	s_waitcnt lgkmcnt(2)
	v_mul_f32_e32 v125, v72, v107
	v_mul_f32_e32 v106, v71, v106
	s_waitcnt vmcnt(21)
	v_fmac_f32_e32 v124, v71, v115
	v_fma_f32 v9, v68, v114, -v105
	v_add_f32_e32 v5, v5, v8
	v_add_f32_e32 v6, v6, v123
	v_mul_f32_e32 v107, v73, v107
	s_waitcnt vmcnt(20)
	v_fmac_f32_e32 v125, v73, v116
	v_fma_f32 v64, v70, v115, -v106
	v_add_f32_e32 v5, v5, v9
	v_add_f32_e32 v6, v6, v124
	;; [unrolled: 1-line block ×4, first 2 shown]
	v_fma_f32 v6, v72, v116, -v107
	v_mul_f32_e32 v101, v74, v108
	v_add_f32_e32 v68, v5, v6
	v_mul_f32_e32 v5, v75, v108
	s_waitcnt vmcnt(17)
	v_mov_b32_e32 v72, v3
	s_waitcnt lgkmcnt(1)
	v_mul_f32_e32 v103, v76, v109
	v_fmac_f32_e32 v101, v75, v117
	v_fma_f32 v100, v74, v117, -v5
	v_mul_f32_e32 v5, v77, v109
	v_pk_mul_f32 v[72:73], v[78:79], v[72:73] op_sel_hi:[1,0]
	v_fmac_f32_e32 v103, v77, v118
	v_fma_f32 v102, v76, v118, -v5
	v_pk_add_f32 v[68:69], v[68:69], v[100:101]
	s_waitcnt vmcnt(15)
	v_pk_fma_f32 v[74:75], v[78:79], v[2:3], v[72:73] op_sel:[0,0,1] op_sel_hi:[1,1,0] neg_lo:[0,0,1] neg_hi:[0,0,1]
	v_pk_fma_f32 v[2:3], v[78:79], v[2:3], v[72:73] op_sel:[0,0,1] op_sel_hi:[1,0,0]
	v_pk_add_f32 v[68:69], v[68:69], v[102:103]
	v_mov_b32_e32 v75, v3
	v_pk_add_f32 v[2:3], v[68:69], v[74:75]
	s_waitcnt vmcnt(12)
	v_mov_b32_e32 v68, v85
	s_waitcnt lgkmcnt(0)
	v_pk_mul_f32 v[68:69], v[80:81], v[68:69] op_sel_hi:[1,0]
	v_pk_fma_f32 v[72:73], v[80:81], v[84:85], v[68:69] op_sel:[0,0,1] op_sel_hi:[1,1,0] neg_lo:[0,0,1] neg_hi:[0,0,1]
	v_pk_fma_f32 v[68:69], v[80:81], v[84:85], v[68:69] op_sel:[0,0,1] op_sel_hi:[1,0,0]
	s_waitcnt vmcnt(11)
	v_mov_b32_e32 v68, v89
	ds_read_b128 v[6:9], v4 offset:400
	ds_read_b128 v[64:67], v4 offset:416
	ds_read_b64 v[70:71], v4 offset:432
	v_mov_b32_e32 v73, v69
	v_pk_mul_f32 v[68:69], v[82:83], v[68:69] op_sel_hi:[1,0]
	v_pk_add_f32 v[2:3], v[2:3], v[72:73]
	s_waitcnt vmcnt(4)
	v_pk_fma_f32 v[72:73], v[82:83], v[88:89], v[68:69] op_sel:[0,0,1] op_sel_hi:[1,1,0] neg_lo:[0,0,1] neg_hi:[0,0,1]
	v_pk_fma_f32 v[68:69], v[82:83], v[88:89], v[68:69] op_sel:[0,0,1] op_sel_hi:[1,0,0]
	v_mov_b32_e32 v68, v95
	v_mov_b32_e32 v73, v69
	s_waitcnt lgkmcnt(2)
	v_pk_mul_f32 v[68:69], v[6:7], v[68:69] op_sel_hi:[1,0]
	v_pk_add_f32 v[2:3], v[2:3], v[72:73]
	v_pk_fma_f32 v[72:73], v[6:7], v[94:95], v[68:69] op_sel:[0,0,1] op_sel_hi:[1,1,0] neg_lo:[0,0,1] neg_hi:[0,0,1]
	v_pk_fma_f32 v[6:7], v[6:7], v[94:95], v[68:69] op_sel:[0,0,1] op_sel_hi:[1,0,0]
	v_mov_b32_e32 v6, v93
	v_mov_b32_e32 v73, v7
	v_pk_mul_f32 v[6:7], v[8:9], v[6:7] op_sel_hi:[1,0]
	v_pk_fma_f32 v[68:69], v[8:9], v[92:93], v[6:7] op_sel:[0,0,1] op_sel_hi:[1,1,0] neg_lo:[0,0,1] neg_hi:[0,0,1]
	v_pk_fma_f32 v[6:7], v[8:9], v[92:93], v[6:7] op_sel:[0,0,1] op_sel_hi:[1,0,0]
	v_mov_b32_e32 v6, v91
	v_mov_b32_e32 v69, v7
	s_waitcnt lgkmcnt(1)
	v_pk_mul_f32 v[6:7], v[64:65], v[6:7] op_sel_hi:[1,0]
	v_pk_fma_f32 v[8:9], v[64:65], v[90:91], v[6:7] op_sel:[0,0,1] op_sel_hi:[1,1,0] neg_lo:[0,0,1] neg_hi:[0,0,1]
	v_pk_fma_f32 v[6:7], v[64:65], v[90:91], v[6:7] op_sel:[0,0,1] op_sel_hi:[1,0,0]
	v_pk_add_f32 v[2:3], v[2:3], v[72:73]
	s_waitcnt vmcnt(1)
	v_mov_b32_e32 v6, v99
	v_pk_add_f32 v[2:3], v[2:3], v[68:69]
	v_mov_b32_e32 v9, v7
	v_pk_mul_f32 v[6:7], v[66:67], v[6:7] op_sel_hi:[1,0]
	v_pk_add_f32 v[2:3], v[2:3], v[8:9]
	s_waitcnt vmcnt(0)
	v_pk_fma_f32 v[8:9], v[66:67], v[98:99], v[6:7] op_sel:[0,0,1] op_sel_hi:[1,1,0] neg_lo:[0,0,1] neg_hi:[0,0,1]
	v_pk_fma_f32 v[6:7], v[66:67], v[98:99], v[6:7] op_sel:[0,0,1] op_sel_hi:[1,0,0]
	v_mov_b32_e32 v6, v97
	v_mov_b32_e32 v9, v7
	s_waitcnt lgkmcnt(0)
	v_pk_mul_f32 v[6:7], v[70:71], v[6:7] op_sel_hi:[1,0]
	v_pk_add_f32 v[2:3], v[2:3], v[8:9]
	v_pk_fma_f32 v[8:9], v[70:71], v[96:97], v[6:7] op_sel:[0,0,1] op_sel_hi:[1,1,0] neg_lo:[0,0,1] neg_hi:[0,0,1]
	v_pk_fma_f32 v[6:7], v[70:71], v[96:97], v[6:7] op_sel:[0,0,1] op_sel_hi:[1,0,0]
	v_mov_b32_e32 v9, v7
	v_pk_add_f32 v[2:3], v[2:3], v[8:9]
	v_pk_add_f32 v[2:3], v[86:87], v[2:3] neg_lo:[0,1] neg_hi:[0,1]
	buffer_store_dword v3, off, s[0:3], 0 offset:76
	buffer_store_dword v2, off, s[0:3], 0 offset:72
	s_and_saveexec_b64 s[4:5], vcc
	s_cbranch_execz .LBB90_159
; %bb.158:
	buffer_load_dword v2, off, s[0:3], 0 offset:64
	buffer_load_dword v3, off, s[0:3], 0 offset:68
	s_waitcnt vmcnt(0)
	ds_write_b64 v1, v[2:3]
	buffer_store_dword v4, off, s[0:3], 0 offset:64
	buffer_store_dword v4, off, s[0:3], 0 offset:68
.LBB90_159:
	s_or_b64 exec, exec, s[4:5]
	s_waitcnt lgkmcnt(0)
	; wave barrier
	s_waitcnt lgkmcnt(0)
	ds_read2_b64 v[6:9], v4 offset0:37 offset1:38
	buffer_load_dword v2, off, s[0:3], 0 offset:64
	buffer_load_dword v3, off, s[0:3], 0 offset:68
	;; [unrolled: 1-line block ×16, first 2 shown]
	v_cmp_lt_u32_e32 vcc, 7, v0
	s_waitcnt vmcnt(12) lgkmcnt(0)
	v_mul_f32_e32 v64, v6, v84
	v_fmac_f32_e32 v64, v7, v5
	s_waitcnt vmcnt(10)
	v_mul_f32_e32 v65, v8, v88
	v_add_f32_e32 v64, 0, v64
	v_fmac_f32_e32 v65, v9, v86
	v_add_f32_e32 v68, v64, v65
	ds_read2_b64 v[64:67], v4 offset0:39 offset1:40
	v_mul_f32_e32 v7, v7, v84
	v_fma_f32 v5, v6, v5, -v7
	v_mul_f32_e32 v6, v9, v88
	v_add_f32_e32 v5, 0, v5
	s_waitcnt vmcnt(8) lgkmcnt(0)
	v_mul_f32_e32 v69, v64, v107
	v_fmac_f32_e32 v69, v65, v106
	v_add_f32_e32 v68, v68, v69
	s_waitcnt vmcnt(6)
	v_mul_f32_e32 v69, v66, v109
	v_fmac_f32_e32 v69, v67, v108
	v_add_f32_e32 v72, v68, v69
	ds_read2_b64 v[68:71], v4 offset0:41 offset1:42
	v_fma_f32 v6, v8, v86, -v6
	v_add_f32_e32 v5, v5, v6
	v_mul_f32_e32 v6, v65, v107
	v_fma_f32 v6, v64, v106, -v6
	s_waitcnt vmcnt(4) lgkmcnt(0)
	v_mul_f32_e32 v73, v68, v111
	v_fmac_f32_e32 v73, v69, v110
	v_add_f32_e32 v72, v72, v73
	s_waitcnt vmcnt(2)
	v_mul_f32_e32 v73, v70, v113
	v_fmac_f32_e32 v73, v71, v112
	v_add_f32_e32 v76, v72, v73
	ds_read2_b64 v[72:75], v4 offset0:43 offset1:44
	buffer_load_dword v116, off, s[0:3], 0 offset:128
	buffer_load_dword v117, off, s[0:3], 0 offset:132
	v_add_f32_e32 v5, v5, v6
	v_mul_f32_e32 v6, v67, v109
	v_fma_f32 v6, v66, v108, -v6
	s_waitcnt vmcnt(2) lgkmcnt(0)
	v_mul_f32_e32 v77, v72, v115
	v_fmac_f32_e32 v77, v73, v114
	v_add_f32_e32 v76, v76, v77
	v_add_f32_e32 v5, v5, v6
	v_mul_f32_e32 v6, v69, v111
	v_fma_f32 v6, v68, v110, -v6
	v_add_f32_e32 v5, v5, v6
	v_mul_f32_e32 v6, v71, v113
	v_fma_f32 v6, v70, v112, -v6
	;; [unrolled: 3-line block ×3, first 2 shown]
	v_add_f32_e32 v5, v5, v6
	s_waitcnt vmcnt(0)
	v_mul_f32_e32 v77, v74, v117
	v_fmac_f32_e32 v77, v75, v116
	v_add_f32_e32 v85, v76, v77
	ds_read2_b64 v[76:79], v4 offset0:45 offset1:46
	buffer_load_dword v118, off, s[0:3], 0 offset:136
	buffer_load_dword v119, off, s[0:3], 0 offset:140
	;; [unrolled: 1-line block ×6, first 2 shown]
	ds_read2_b64 v[80:83], v4 offset0:47 offset1:48
	buffer_load_dword v93, off, s[0:3], 0 offset:164
	buffer_load_dword v92, off, s[0:3], 0 offset:160
	;; [unrolled: 1-line block ×14, first 2 shown]
	v_mul_f32_e32 v6, v75, v117
	v_fma_f32 v6, v74, v116, -v6
	v_add_f32_e32 v84, v5, v6
	ds_read2_b64 v[6:9], v4 offset0:49 offset1:50
	ds_read2_b64 v[64:67], v4 offset0:51 offset1:52
	ds_read2_b64 v[68:71], v4 offset0:53 offset1:54
	s_waitcnt vmcnt(18) lgkmcnt(4)
	v_mul_f32_e32 v87, v76, v119
	s_waitcnt vmcnt(15)
	v_mov_b32_e32 v72, v91
	v_mul_f32_e32 v5, v77, v119
	s_waitcnt lgkmcnt(3)
	v_pk_mul_f32 v[72:73], v[80:81], v[72:73] op_sel_hi:[1,0]
	v_fmac_f32_e32 v87, v77, v118
	v_mul_f32_e32 v89, v78, v121
	v_fma_f32 v86, v76, v118, -v5
	v_mul_f32_e32 v5, v79, v121
	s_waitcnt vmcnt(14)
	v_pk_fma_f32 v[74:75], v[80:81], v[90:91], v[72:73] op_sel:[0,0,1] op_sel_hi:[1,1,0] neg_lo:[0,0,1] neg_hi:[0,0,1]
	v_pk_fma_f32 v[72:73], v[80:81], v[90:91], v[72:73] op_sel:[0,0,1] op_sel_hi:[1,0,0]
	v_fmac_f32_e32 v89, v79, v120
	v_fma_f32 v88, v78, v120, -v5
	v_pk_add_f32 v[4:5], v[84:85], v[86:87]
	s_waitcnt vmcnt(13)
	v_mov_b32_e32 v72, v93
	v_pk_add_f32 v[4:5], v[4:5], v[88:89]
	v_mov_b32_e32 v75, v73
	v_pk_mul_f32 v[72:73], v[82:83], v[72:73] op_sel_hi:[1,0]
	v_pk_add_f32 v[4:5], v[4:5], v[74:75]
	s_waitcnt vmcnt(12)
	v_pk_fma_f32 v[74:75], v[82:83], v[92:93], v[72:73] op_sel:[0,0,1] op_sel_hi:[1,1,0] neg_lo:[0,0,1] neg_hi:[0,0,1]
	v_pk_fma_f32 v[72:73], v[82:83], v[92:93], v[72:73] op_sel:[0,0,1] op_sel_hi:[1,0,0]
	s_waitcnt vmcnt(11)
	v_mov_b32_e32 v72, v95
	v_mov_b32_e32 v75, v73
	s_waitcnt lgkmcnt(2)
	v_pk_mul_f32 v[72:73], v[6:7], v[72:73] op_sel_hi:[1,0]
	v_pk_add_f32 v[4:5], v[4:5], v[74:75]
	s_waitcnt vmcnt(10)
	v_pk_fma_f32 v[74:75], v[6:7], v[94:95], v[72:73] op_sel:[0,0,1] op_sel_hi:[1,1,0] neg_lo:[0,0,1] neg_hi:[0,0,1]
	v_pk_fma_f32 v[6:7], v[6:7], v[94:95], v[72:73] op_sel:[0,0,1] op_sel_hi:[1,0,0]
	s_waitcnt vmcnt(9)
	v_mov_b32_e32 v6, v97
	v_mov_b32_e32 v75, v7
	v_pk_mul_f32 v[6:7], v[8:9], v[6:7] op_sel_hi:[1,0]
	s_waitcnt vmcnt(8)
	v_pk_fma_f32 v[72:73], v[8:9], v[96:97], v[6:7] op_sel:[0,0,1] op_sel_hi:[1,1,0] neg_lo:[0,0,1] neg_hi:[0,0,1]
	v_pk_fma_f32 v[6:7], v[8:9], v[96:97], v[6:7] op_sel:[0,0,1] op_sel_hi:[1,0,0]
	s_waitcnt vmcnt(7)
	v_mov_b32_e32 v6, v99
	v_mov_b32_e32 v73, v7
	s_waitcnt lgkmcnt(1)
	v_pk_mul_f32 v[6:7], v[64:65], v[6:7] op_sel_hi:[1,0]
	s_waitcnt vmcnt(6)
	v_pk_fma_f32 v[8:9], v[64:65], v[98:99], v[6:7] op_sel:[0,0,1] op_sel_hi:[1,1,0] neg_lo:[0,0,1] neg_hi:[0,0,1]
	v_pk_fma_f32 v[6:7], v[64:65], v[98:99], v[6:7] op_sel:[0,0,1] op_sel_hi:[1,0,0]
	v_pk_add_f32 v[4:5], v[4:5], v[74:75]
	s_waitcnt vmcnt(5)
	v_mov_b32_e32 v6, v101
	v_pk_add_f32 v[4:5], v[4:5], v[72:73]
	v_mov_b32_e32 v9, v7
	v_pk_mul_f32 v[6:7], v[66:67], v[6:7] op_sel_hi:[1,0]
	v_pk_add_f32 v[4:5], v[4:5], v[8:9]
	s_waitcnt vmcnt(4)
	v_pk_fma_f32 v[8:9], v[66:67], v[100:101], v[6:7] op_sel:[0,0,1] op_sel_hi:[1,1,0] neg_lo:[0,0,1] neg_hi:[0,0,1]
	v_pk_fma_f32 v[6:7], v[66:67], v[100:101], v[6:7] op_sel:[0,0,1] op_sel_hi:[1,0,0]
	s_waitcnt vmcnt(3)
	v_mov_b32_e32 v6, v103
	v_mov_b32_e32 v9, v7
	s_waitcnt lgkmcnt(0)
	v_pk_mul_f32 v[6:7], v[68:69], v[6:7] op_sel_hi:[1,0]
	v_pk_add_f32 v[4:5], v[4:5], v[8:9]
	s_waitcnt vmcnt(2)
	v_pk_fma_f32 v[8:9], v[68:69], v[102:103], v[6:7] op_sel:[0,0,1] op_sel_hi:[1,1,0] neg_lo:[0,0,1] neg_hi:[0,0,1]
	v_pk_fma_f32 v[6:7], v[68:69], v[102:103], v[6:7] op_sel:[0,0,1] op_sel_hi:[1,0,0]
	s_waitcnt vmcnt(1)
	v_mov_b32_e32 v6, v105
	v_mov_b32_e32 v9, v7
	v_pk_mul_f32 v[6:7], v[70:71], v[6:7] op_sel_hi:[1,0]
	v_pk_add_f32 v[4:5], v[4:5], v[8:9]
	s_waitcnt vmcnt(0)
	v_pk_fma_f32 v[8:9], v[70:71], v[104:105], v[6:7] op_sel:[0,0,1] op_sel_hi:[1,1,0] neg_lo:[0,0,1] neg_hi:[0,0,1]
	v_pk_fma_f32 v[6:7], v[70:71], v[104:105], v[6:7] op_sel:[0,0,1] op_sel_hi:[1,0,0]
	v_mov_b32_e32 v9, v7
	v_pk_add_f32 v[4:5], v[4:5], v[8:9]
	v_pk_add_f32 v[2:3], v[2:3], v[4:5] neg_lo:[0,1] neg_hi:[0,1]
	buffer_store_dword v3, off, s[0:3], 0 offset:68
	buffer_store_dword v2, off, s[0:3], 0 offset:64
	s_and_saveexec_b64 s[4:5], vcc
	s_cbranch_execz .LBB90_161
; %bb.160:
	buffer_load_dword v2, off, s[0:3], 0 offset:56
	buffer_load_dword v3, off, s[0:3], 0 offset:60
	v_mov_b32_e32 v4, 0
	buffer_store_dword v4, off, s[0:3], 0 offset:56
	buffer_store_dword v4, off, s[0:3], 0 offset:60
	s_waitcnt vmcnt(2)
	ds_write_b64 v1, v[2:3]
.LBB90_161:
	s_or_b64 exec, exec, s[4:5]
	v_mov_b32_e32 v66, 0
	s_waitcnt lgkmcnt(0)
	; wave barrier
	s_waitcnt lgkmcnt(0)
	ds_read_b128 v[68:71], v66 offset:288
	ds_read_b128 v[72:75], v66 offset:304
	;; [unrolled: 1-line block ×4, first 2 shown]
	buffer_load_dword v64, off, s[0:3], 0 offset:56
	buffer_load_dword v65, off, s[0:3], 0 offset:60
	;; [unrolled: 1-line block ×18, first 2 shown]
	v_cmp_lt_u32_e32 vcc, 6, v0
	s_waitcnt vmcnt(14) lgkmcnt(3)
	v_mul_f32_e32 v76, v68, v84
	v_fmac_f32_e32 v76, v69, v67
	s_waitcnt vmcnt(12)
	v_mul_f32_e32 v77, v70, v88
	v_add_f32_e32 v76, 0, v76
	v_fmac_f32_e32 v77, v71, v86
	v_add_f32_e32 v76, v76, v77
	s_waitcnt vmcnt(10) lgkmcnt(2)
	v_mul_f32_e32 v77, v72, v107
	v_fmac_f32_e32 v77, v73, v106
	v_add_f32_e32 v76, v76, v77
	s_waitcnt vmcnt(8)
	v_mul_f32_e32 v77, v74, v109
	v_fmac_f32_e32 v77, v75, v108
	v_add_f32_e32 v76, v76, v77
	s_waitcnt vmcnt(6) lgkmcnt(1)
	v_mul_f32_e32 v77, v6, v111
	v_fmac_f32_e32 v77, v7, v110
	v_add_f32_e32 v76, v76, v77
	s_waitcnt vmcnt(4)
	v_mul_f32_e32 v77, v8, v113
	;; [unrolled: 8-line block ×3, first 2 shown]
	v_fmac_f32_e32 v77, v5, v116
	v_add_f32_e32 v80, v76, v77
	ds_read_b128 v[76:79], v66 offset:352
	buffer_load_dword v118, off, s[0:3], 0 offset:128
	buffer_load_dword v119, off, s[0:3], 0 offset:132
	;; [unrolled: 1-line block ×4, first 2 shown]
	v_mul_f32_e32 v69, v69, v84
	v_fma_f32 v67, v68, v67, -v69
	v_mul_f32_e32 v68, v71, v88
	v_add_f32_e32 v67, 0, v67
	v_fma_f32 v68, v70, v86, -v68
	v_add_f32_e32 v67, v67, v68
	v_mul_f32_e32 v68, v73, v107
	v_fma_f32 v68, v72, v106, -v68
	v_add_f32_e32 v67, v67, v68
	v_mul_f32_e32 v68, v75, v109
	v_fma_f32 v68, v74, v108, -v68
	v_mul_f32_e32 v7, v7, v111
	v_add_f32_e32 v67, v67, v68
	v_fma_f32 v6, v6, v110, -v7
	v_mul_f32_e32 v7, v9, v113
	v_add_f32_e32 v6, v67, v6
	;; [unrolled: 3-line block ×4, first 2 shown]
	v_fma_f32 v3, v4, v116, -v3
	v_add_f32_e32 v2, v2, v3
	s_waitcnt vmcnt(2) lgkmcnt(0)
	v_mul_f32_e32 v81, v76, v119
	v_fmac_f32_e32 v81, v77, v118
	v_add_f32_e32 v85, v80, v81
	ds_read_b128 v[80:83], v66 offset:368
	buffer_load_dword v122, off, s[0:3], 0 offset:144
	buffer_load_dword v123, off, s[0:3], 0 offset:148
	;; [unrolled: 1-line block ×18, first 2 shown]
	v_mul_f32_e32 v3, v77, v119
	v_fma_f32 v3, v76, v118, -v3
	v_add_f32_e32 v84, v2, v3
	s_waitcnt vmcnt(18)
	v_mul_f32_e32 v2, v79, v121
	v_mul_f32_e32 v87, v78, v121
	v_fma_f32 v86, v78, v120, -v2
	v_fmac_f32_e32 v87, v79, v120
	v_pk_add_f32 v[74:75], v[84:85], v[86:87]
	s_waitcnt vmcnt(15)
	v_mov_b32_e32 v76, v91
	s_waitcnt lgkmcnt(0)
	v_pk_mul_f32 v[76:77], v[82:83], v[76:77] op_sel_hi:[1,0]
	s_waitcnt vmcnt(14)
	v_pk_fma_f32 v[78:79], v[82:83], v[90:91], v[76:77] op_sel:[0,0,1] op_sel_hi:[1,1,0] neg_lo:[0,0,1] neg_hi:[0,0,1]
	v_pk_fma_f32 v[76:77], v[82:83], v[90:91], v[76:77] op_sel:[0,0,1] op_sel_hi:[1,0,0]
	s_waitcnt vmcnt(13)
	v_mov_b32_e32 v76, v93
	v_mov_b32_e32 v79, v77
	v_mul_f32_e32 v2, v81, v123
	v_mul_f32_e32 v89, v80, v123
	v_fma_f32 v88, v80, v122, -v2
	ds_read_b128 v[2:5], v66 offset:384
	ds_read_b128 v[6:9], v66 offset:400
	;; [unrolled: 1-line block ×3, first 2 shown]
	ds_read_b64 v[72:73], v66 offset:432
	v_fmac_f32_e32 v89, v81, v122
	v_pk_add_f32 v[74:75], v[74:75], v[88:89]
	s_waitcnt lgkmcnt(3)
	v_pk_mul_f32 v[76:77], v[2:3], v[76:77] op_sel_hi:[1,0]
	v_pk_add_f32 v[74:75], v[74:75], v[78:79]
	s_waitcnt vmcnt(12)
	v_pk_fma_f32 v[78:79], v[2:3], v[92:93], v[76:77] op_sel:[0,0,1] op_sel_hi:[1,1,0] neg_lo:[0,0,1] neg_hi:[0,0,1]
	v_pk_fma_f32 v[2:3], v[2:3], v[92:93], v[76:77] op_sel:[0,0,1] op_sel_hi:[1,0,0]
	v_mov_b32_e32 v79, v3
	v_pk_add_f32 v[2:3], v[74:75], v[78:79]
	s_waitcnt vmcnt(11)
	v_mov_b32_e32 v74, v95
	v_pk_mul_f32 v[74:75], v[4:5], v[74:75] op_sel_hi:[1,0]
	s_waitcnt vmcnt(10)
	v_pk_fma_f32 v[76:77], v[4:5], v[94:95], v[74:75] op_sel:[0,0,1] op_sel_hi:[1,1,0] neg_lo:[0,0,1] neg_hi:[0,0,1]
	v_pk_fma_f32 v[4:5], v[4:5], v[94:95], v[74:75] op_sel:[0,0,1] op_sel_hi:[1,0,0]
	s_waitcnt vmcnt(9)
	v_mov_b32_e32 v4, v97
	v_mov_b32_e32 v77, v5
	s_waitcnt lgkmcnt(2)
	v_pk_mul_f32 v[4:5], v[6:7], v[4:5] op_sel_hi:[1,0]
	s_waitcnt vmcnt(8)
	v_pk_fma_f32 v[74:75], v[6:7], v[96:97], v[4:5] op_sel:[0,0,1] op_sel_hi:[1,1,0] neg_lo:[0,0,1] neg_hi:[0,0,1]
	v_pk_fma_f32 v[4:5], v[6:7], v[96:97], v[4:5] op_sel:[0,0,1] op_sel_hi:[1,0,0]
	s_waitcnt vmcnt(7)
	v_mov_b32_e32 v4, v99
	v_mov_b32_e32 v75, v5
	v_pk_mul_f32 v[4:5], v[8:9], v[4:5] op_sel_hi:[1,0]
	s_waitcnt vmcnt(6)
	v_pk_fma_f32 v[6:7], v[8:9], v[98:99], v[4:5] op_sel:[0,0,1] op_sel_hi:[1,1,0] neg_lo:[0,0,1] neg_hi:[0,0,1]
	v_pk_fma_f32 v[4:5], v[8:9], v[98:99], v[4:5] op_sel:[0,0,1] op_sel_hi:[1,0,0]
	v_pk_add_f32 v[2:3], v[2:3], v[76:77]
	s_waitcnt vmcnt(5)
	v_mov_b32_e32 v4, v101
	v_pk_add_f32 v[2:3], v[2:3], v[74:75]
	v_mov_b32_e32 v7, v5
	s_waitcnt lgkmcnt(1)
	v_pk_mul_f32 v[4:5], v[68:69], v[4:5] op_sel_hi:[1,0]
	v_pk_add_f32 v[2:3], v[2:3], v[6:7]
	s_waitcnt vmcnt(4)
	v_pk_fma_f32 v[6:7], v[68:69], v[100:101], v[4:5] op_sel:[0,0,1] op_sel_hi:[1,1,0] neg_lo:[0,0,1] neg_hi:[0,0,1]
	v_pk_fma_f32 v[4:5], v[68:69], v[100:101], v[4:5] op_sel:[0,0,1] op_sel_hi:[1,0,0]
	s_waitcnt vmcnt(3)
	v_mov_b32_e32 v4, v103
	v_mov_b32_e32 v7, v5
	v_pk_mul_f32 v[4:5], v[70:71], v[4:5] op_sel_hi:[1,0]
	v_pk_add_f32 v[2:3], v[2:3], v[6:7]
	s_waitcnt vmcnt(2)
	v_pk_fma_f32 v[6:7], v[70:71], v[102:103], v[4:5] op_sel:[0,0,1] op_sel_hi:[1,1,0] neg_lo:[0,0,1] neg_hi:[0,0,1]
	v_pk_fma_f32 v[4:5], v[70:71], v[102:103], v[4:5] op_sel:[0,0,1] op_sel_hi:[1,0,0]
	s_waitcnt vmcnt(1)
	v_mov_b32_e32 v4, v105
	v_mov_b32_e32 v7, v5
	s_waitcnt lgkmcnt(0)
	v_pk_mul_f32 v[4:5], v[72:73], v[4:5] op_sel_hi:[1,0]
	v_pk_add_f32 v[2:3], v[2:3], v[6:7]
	s_waitcnt vmcnt(0)
	v_pk_fma_f32 v[6:7], v[72:73], v[104:105], v[4:5] op_sel:[0,0,1] op_sel_hi:[1,1,0] neg_lo:[0,0,1] neg_hi:[0,0,1]
	v_pk_fma_f32 v[4:5], v[72:73], v[104:105], v[4:5] op_sel:[0,0,1] op_sel_hi:[1,0,0]
	v_mov_b32_e32 v7, v5
	v_pk_add_f32 v[2:3], v[2:3], v[6:7]
	v_pk_add_f32 v[2:3], v[64:65], v[2:3] neg_lo:[0,1] neg_hi:[0,1]
	buffer_store_dword v3, off, s[0:3], 0 offset:60
	buffer_store_dword v2, off, s[0:3], 0 offset:56
	s_and_saveexec_b64 s[4:5], vcc
	s_cbranch_execz .LBB90_163
; %bb.162:
	buffer_load_dword v2, off, s[0:3], 0 offset:48
	buffer_load_dword v3, off, s[0:3], 0 offset:52
	s_waitcnt vmcnt(0)
	ds_write_b64 v1, v[2:3]
	buffer_store_dword v66, off, s[0:3], 0 offset:48
	buffer_store_dword v66, off, s[0:3], 0 offset:52
.LBB90_163:
	s_or_b64 exec, exec, s[4:5]
	s_waitcnt lgkmcnt(0)
	; wave barrier
	s_waitcnt lgkmcnt(0)
	buffer_load_dword v64, off, s[0:3], 0 offset:60
	buffer_load_dword v65, off, s[0:3], 0 offset:68
	;; [unrolled: 1-line block ×26, first 2 shown]
	ds_read2_b64 v[2:5], v66 offset0:35 offset1:36
	ds_read2_b64 v[6:9], v66 offset0:37 offset1:38
	;; [unrolled: 1-line block ×6, first 2 shown]
	buffer_load_dword v87, off, s[0:3], 0 offset:172
	buffer_load_dword v86, off, s[0:3], 0 offset:168
	;; [unrolled: 1-line block ×16, first 2 shown]
	v_cmp_lt_u32_e32 vcc, 5, v0
	s_waitcnt vmcnt(41) lgkmcnt(5)
	v_mul_f32_e32 v125, v2, v64
	s_waitcnt vmcnt(40)
	v_mul_f32_e32 v126, v4, v65
	v_mul_f32_e32 v64, v3, v64
	s_waitcnt vmcnt(39) lgkmcnt(4)
	v_mul_f32_e32 v127, v6, v67
	v_mul_f32_e32 v65, v5, v65
	s_waitcnt vmcnt(38)
	v_mul_f32_e32 v128, v8, v102
	s_waitcnt vmcnt(37) lgkmcnt(3)
	v_mul_f32_e32 v129, v68, v104
	s_waitcnt vmcnt(36)
	v_mul_f32_e32 v130, v70, v106
	s_waitcnt vmcnt(35) lgkmcnt(2)
	v_mul_f32_e32 v131, v72, v108
	s_waitcnt vmcnt(34)
	v_mul_f32_e32 v132, v74, v109
	s_waitcnt vmcnt(33) lgkmcnt(1)
	v_mul_f32_e32 v133, v76, v110
	s_waitcnt vmcnt(32)
	v_mul_f32_e32 v134, v78, v111
	s_waitcnt vmcnt(29)
	v_fmac_f32_e32 v125, v3, v107
	s_waitcnt vmcnt(28)
	v_fmac_f32_e32 v126, v5, v114
	v_fma_f32 v2, v2, v107, -v64
	v_add_f32_e32 v5, 0, v125
	s_waitcnt vmcnt(27)
	v_fmac_f32_e32 v127, v7, v115
	v_fma_f32 v3, v4, v114, -v65
	v_add_f32_e32 v2, 0, v2
	v_add_f32_e32 v5, v5, v126
	s_waitcnt vmcnt(26)
	v_fmac_f32_e32 v128, v9, v116
	v_add_f32_e32 v2, v2, v3
	v_add_f32_e32 v3, v5, v127
	s_waitcnt vmcnt(25)
	v_fmac_f32_e32 v129, v69, v117
	v_add_f32_e32 v3, v3, v128
	s_waitcnt vmcnt(24)
	v_fmac_f32_e32 v130, v71, v118
	;; [unrolled: 3-line block ×5, first 2 shown]
	v_add_f32_e32 v3, v3, v132
	v_mul_f32_e32 v67, v7, v67
	s_waitcnt vmcnt(20)
	v_fmac_f32_e32 v134, v79, v122
	v_add_f32_e32 v3, v3, v133
	v_fma_f32 v4, v6, v115, -v67
	v_add_f32_e32 v107, v3, v134
	v_mul_f32_e32 v3, v9, v102
	v_add_f32_e32 v2, v2, v4
	v_fma_f32 v3, v8, v116, -v3
	v_add_f32_e32 v2, v2, v3
	v_mul_f32_e32 v3, v69, v104
	v_fma_f32 v3, v68, v117, -v3
	v_add_f32_e32 v2, v2, v3
	v_mul_f32_e32 v3, v71, v106
	;; [unrolled: 3-line block ×6, first 2 shown]
	v_fma_f32 v3, v78, v122, -v3
	v_add_f32_e32 v106, v2, v3
	s_waitcnt lgkmcnt(0)
	v_mul_f32_e32 v2, v81, v112
	s_waitcnt vmcnt(19)
	v_fma_f32 v102, v80, v123, -v2
	v_mul_f32_e32 v2, v83, v113
	s_waitcnt vmcnt(18)
	v_fma_f32 v104, v82, v124, -v2
	ds_read2_b64 v[2:5], v66 offset0:47 offset1:48
	ds_read2_b64 v[6:9], v66 offset0:49 offset1:50
	;; [unrolled: 1-line block ×4, first 2 shown]
	v_mul_f32_e32 v103, v80, v112
	s_waitcnt vmcnt(11)
	v_mov_b32_e32 v74, v91
	v_mul_f32_e32 v105, v82, v113
	v_fmac_f32_e32 v103, v81, v123
	s_waitcnt lgkmcnt(3)
	v_pk_mul_f32 v[74:75], v[2:3], v[74:75] op_sel_hi:[1,0]
	v_fmac_f32_e32 v105, v83, v124
	v_pk_add_f32 v[72:73], v[106:107], v[102:103]
	s_waitcnt vmcnt(10)
	v_pk_fma_f32 v[76:77], v[2:3], v[90:91], v[74:75] op_sel:[0,0,1] op_sel_hi:[1,1,0] neg_lo:[0,0,1] neg_hi:[0,0,1]
	v_pk_fma_f32 v[2:3], v[2:3], v[90:91], v[74:75] op_sel:[0,0,1] op_sel_hi:[1,0,0]
	v_pk_add_f32 v[72:73], v[72:73], v[104:105]
	v_mov_b32_e32 v77, v3
	v_pk_add_f32 v[2:3], v[72:73], v[76:77]
	v_mov_b32_e32 v72, v89
	v_pk_mul_f32 v[72:73], v[4:5], v[72:73] op_sel_hi:[1,0]
	v_pk_fma_f32 v[74:75], v[4:5], v[88:89], v[72:73] op_sel:[0,0,1] op_sel_hi:[1,1,0] neg_lo:[0,0,1] neg_hi:[0,0,1]
	v_pk_fma_f32 v[4:5], v[4:5], v[88:89], v[72:73] op_sel:[0,0,1] op_sel_hi:[1,0,0]
	v_mov_b32_e32 v4, v87
	v_mov_b32_e32 v75, v5
	s_waitcnt lgkmcnt(2)
	v_pk_mul_f32 v[4:5], v[6:7], v[4:5] op_sel_hi:[1,0]
	v_pk_fma_f32 v[72:73], v[6:7], v[86:87], v[4:5] op_sel:[0,0,1] op_sel_hi:[1,1,0] neg_lo:[0,0,1] neg_hi:[0,0,1]
	v_pk_fma_f32 v[4:5], v[6:7], v[86:87], v[4:5] op_sel:[0,0,1] op_sel_hi:[1,0,0]
	s_waitcnt vmcnt(3)
	v_mov_b32_e32 v4, v99
	v_mov_b32_e32 v73, v5
	v_pk_mul_f32 v[4:5], v[8:9], v[4:5] op_sel_hi:[1,0]
	s_waitcnt vmcnt(2)
	v_pk_fma_f32 v[6:7], v[8:9], v[98:99], v[4:5] op_sel:[0,0,1] op_sel_hi:[1,1,0] neg_lo:[0,0,1] neg_hi:[0,0,1]
	v_pk_fma_f32 v[4:5], v[8:9], v[98:99], v[4:5] op_sel:[0,0,1] op_sel_hi:[1,0,0]
	v_pk_add_f32 v[2:3], v[2:3], v[74:75]
	v_mov_b32_e32 v4, v97
	v_pk_add_f32 v[2:3], v[2:3], v[72:73]
	v_mov_b32_e32 v7, v5
	s_waitcnt lgkmcnt(1)
	v_pk_mul_f32 v[4:5], v[68:69], v[4:5] op_sel_hi:[1,0]
	v_pk_add_f32 v[2:3], v[2:3], v[6:7]
	v_pk_fma_f32 v[6:7], v[68:69], v[96:97], v[4:5] op_sel:[0,0,1] op_sel_hi:[1,1,0] neg_lo:[0,0,1] neg_hi:[0,0,1]
	v_pk_fma_f32 v[4:5], v[68:69], v[96:97], v[4:5] op_sel:[0,0,1] op_sel_hi:[1,0,0]
	v_mov_b32_e32 v4, v95
	v_mov_b32_e32 v7, v5
	v_pk_mul_f32 v[4:5], v[70:71], v[4:5] op_sel_hi:[1,0]
	v_pk_add_f32 v[2:3], v[2:3], v[6:7]
	v_pk_fma_f32 v[6:7], v[70:71], v[94:95], v[4:5] op_sel:[0,0,1] op_sel_hi:[1,1,0] neg_lo:[0,0,1] neg_hi:[0,0,1]
	v_pk_fma_f32 v[4:5], v[70:71], v[94:95], v[4:5] op_sel:[0,0,1] op_sel_hi:[1,0,0]
	v_mov_b32_e32 v4, v93
	v_mov_b32_e32 v7, v5
	s_waitcnt lgkmcnt(0)
	v_pk_mul_f32 v[4:5], v[64:65], v[4:5] op_sel_hi:[1,0]
	v_pk_add_f32 v[2:3], v[2:3], v[6:7]
	v_pk_fma_f32 v[6:7], v[64:65], v[92:93], v[4:5] op_sel:[0,0,1] op_sel_hi:[1,1,0] neg_lo:[0,0,1] neg_hi:[0,0,1]
	v_pk_fma_f32 v[4:5], v[64:65], v[92:93], v[4:5] op_sel:[0,0,1] op_sel_hi:[1,0,0]
	s_waitcnt vmcnt(1)
	v_mov_b32_e32 v4, v101
	v_mov_b32_e32 v7, v5
	v_pk_mul_f32 v[4:5], v[66:67], v[4:5] op_sel_hi:[1,0]
	v_pk_add_f32 v[2:3], v[2:3], v[6:7]
	s_waitcnt vmcnt(0)
	v_pk_fma_f32 v[6:7], v[66:67], v[100:101], v[4:5] op_sel:[0,0,1] op_sel_hi:[1,1,0] neg_lo:[0,0,1] neg_hi:[0,0,1]
	v_pk_fma_f32 v[4:5], v[66:67], v[100:101], v[4:5] op_sel:[0,0,1] op_sel_hi:[1,0,0]
	v_mov_b32_e32 v7, v5
	v_pk_add_f32 v[2:3], v[2:3], v[6:7]
	v_pk_add_f32 v[2:3], v[84:85], v[2:3] neg_lo:[0,1] neg_hi:[0,1]
	buffer_store_dword v3, off, s[0:3], 0 offset:52
	buffer_store_dword v2, off, s[0:3], 0 offset:48
	s_and_saveexec_b64 s[4:5], vcc
	s_cbranch_execz .LBB90_165
; %bb.164:
	buffer_load_dword v2, off, s[0:3], 0 offset:40
	buffer_load_dword v3, off, s[0:3], 0 offset:44
	v_mov_b32_e32 v4, 0
	buffer_store_dword v4, off, s[0:3], 0 offset:40
	buffer_store_dword v4, off, s[0:3], 0 offset:44
	s_waitcnt vmcnt(2)
	ds_write_b64 v1, v[2:3]
.LBB90_165:
	s_or_b64 exec, exec, s[4:5]
	s_waitcnt lgkmcnt(0)
	; wave barrier
	s_waitcnt lgkmcnt(0)
	buffer_load_dword v3, off, s[0:3], 0 offset:52
	buffer_load_dword v108, off, s[0:3], 0 offset:60
	;; [unrolled: 1-line block ×44, first 2 shown]
	v_mov_b32_e32 v2, 0
	ds_read_b128 v[4:7], v2 offset:272
	ds_read_b128 v[64:67], v2 offset:288
	;; [unrolled: 1-line block ×8, first 2 shown]
	v_cmp_lt_u32_e32 vcc, 4, v0
	s_waitcnt vmcnt(43) lgkmcnt(7)
	v_mul_f32_e32 v113, v4, v3
	v_mul_f32_e32 v3, v5, v3
	s_waitcnt vmcnt(42)
	v_mul_f32_e32 v136, v6, v108
	s_waitcnt vmcnt(41) lgkmcnt(6)
	v_mul_f32_e32 v137, v64, v110
	s_waitcnt vmcnt(40)
	v_mul_f32_e32 v138, v66, v112
	s_waitcnt vmcnt(39) lgkmcnt(5)
	;; [unrolled: 4-line block ×5, first 2 shown]
	v_mul_f32_e32 v145, v80, v120
	s_waitcnt vmcnt(32)
	v_mul_f32_e32 v109, v82, v121
	s_waitcnt vmcnt(30)
	v_fma_f32 v3, v4, v123, -v3
	v_mul_f32_e32 v4, v7, v108
	v_add_f32_e32 v3, 0, v3
	s_waitcnt vmcnt(29)
	v_fma_f32 v4, v6, v124, -v4
	v_add_f32_e32 v3, v3, v4
	v_mul_f32_e32 v4, v65, v110
	s_waitcnt vmcnt(28)
	v_fma_f32 v4, v64, v125, -v4
	v_add_f32_e32 v3, v3, v4
	v_mul_f32_e32 v4, v67, v112
	;; [unrolled: 4-line block ×4, first 2 shown]
	s_waitcnt vmcnt(25)
	v_fma_f32 v4, v70, v128, -v4
	v_fmac_f32_e32 v113, v5, v123
	v_add_f32_e32 v3, v3, v4
	v_mul_f32_e32 v4, v73, v116
	v_fmac_f32_e32 v136, v7, v124
	v_add_f32_e32 v5, 0, v113
	s_waitcnt vmcnt(24)
	v_fma_f32 v4, v72, v129, -v4
	v_fmac_f32_e32 v137, v65, v125
	v_add_f32_e32 v5, v5, v136
	v_add_f32_e32 v3, v3, v4
	v_mul_f32_e32 v4, v75, v117
	v_fmac_f32_e32 v138, v67, v126
	v_add_f32_e32 v5, v5, v137
	s_waitcnt vmcnt(23)
	v_fma_f32 v4, v74, v130, -v4
	v_fmac_f32_e32 v139, v69, v127
	v_add_f32_e32 v5, v5, v138
	;; [unrolled: 8-line block ×4, first 2 shown]
	v_add_f32_e32 v3, v3, v4
	v_mul_f32_e32 v4, v81, v120
	v_fmac_f32_e32 v144, v79, v132
	v_add_f32_e32 v5, v5, v143
	s_waitcnt vmcnt(20)
	v_fma_f32 v4, v80, v133, -v4
	s_waitcnt vmcnt(13)
	v_mov_b32_e32 v72, v95
	v_fmac_f32_e32 v145, v81, v133
	v_add_f32_e32 v5, v5, v144
	v_add_f32_e32 v112, v3, v4
	v_mul_f32_e32 v3, v83, v121
	s_waitcnt lgkmcnt(1)
	v_pk_mul_f32 v[72:73], v[86:87], v[72:73] op_sel_hi:[1,0]
	v_mul_f32_e32 v111, v84, v122
	v_fmac_f32_e32 v109, v83, v134
	v_add_f32_e32 v113, v5, v145
	v_fma_f32 v108, v82, v134, -v3
	v_mul_f32_e32 v3, v85, v122
	s_waitcnt vmcnt(12)
	v_pk_fma_f32 v[74:75], v[86:87], v[94:95], v[72:73] op_sel:[0,0,1] op_sel_hi:[1,1,0] neg_lo:[0,0,1] neg_hi:[0,0,1]
	v_pk_fma_f32 v[72:73], v[86:87], v[94:95], v[72:73] op_sel:[0,0,1] op_sel_hi:[1,0,0]
	v_fmac_f32_e32 v111, v85, v135
	v_fma_f32 v110, v84, v135, -v3
	v_pk_add_f32 v[70:71], v[112:113], v[108:109]
	v_mov_b32_e32 v72, v93
	v_pk_add_f32 v[70:71], v[70:71], v[110:111]
	v_mov_b32_e32 v75, v73
	s_waitcnt lgkmcnt(0)
	v_pk_mul_f32 v[72:73], v[88:89], v[72:73] op_sel_hi:[1,0]
	v_pk_add_f32 v[70:71], v[70:71], v[74:75]
	v_pk_fma_f32 v[74:75], v[88:89], v[92:93], v[72:73] op_sel:[0,0,1] op_sel_hi:[1,1,0] neg_lo:[0,0,1] neg_hi:[0,0,1]
	v_pk_fma_f32 v[72:73], v[88:89], v[92:93], v[72:73] op_sel:[0,0,1] op_sel_hi:[1,0,0]
	s_waitcnt vmcnt(5)
	v_mov_b32_e32 v72, v103
	ds_read_b128 v[4:7], v2 offset:400
	ds_read_b128 v[64:67], v2 offset:416
	ds_read_b64 v[68:69], v2 offset:432
	v_mov_b32_e32 v75, v73
	v_pk_mul_f32 v[72:73], v[90:91], v[72:73] op_sel_hi:[1,0]
	v_pk_add_f32 v[70:71], v[70:71], v[74:75]
	s_waitcnt vmcnt(4)
	v_pk_fma_f32 v[74:75], v[90:91], v[102:103], v[72:73] op_sel:[0,0,1] op_sel_hi:[1,1,0] neg_lo:[0,0,1] neg_hi:[0,0,1]
	v_pk_fma_f32 v[72:73], v[90:91], v[102:103], v[72:73] op_sel:[0,0,1] op_sel_hi:[1,0,0]
	v_mov_b32_e32 v72, v101
	v_mov_b32_e32 v75, v73
	s_waitcnt lgkmcnt(2)
	v_pk_mul_f32 v[72:73], v[4:5], v[72:73] op_sel_hi:[1,0]
	v_pk_add_f32 v[70:71], v[70:71], v[74:75]
	v_pk_fma_f32 v[74:75], v[4:5], v[100:101], v[72:73] op_sel:[0,0,1] op_sel_hi:[1,1,0] neg_lo:[0,0,1] neg_hi:[0,0,1]
	v_pk_fma_f32 v[4:5], v[4:5], v[100:101], v[72:73] op_sel:[0,0,1] op_sel_hi:[1,0,0]
	v_mov_b32_e32 v75, v5
	v_pk_add_f32 v[4:5], v[70:71], v[74:75]
	v_mov_b32_e32 v70, v99
	v_pk_mul_f32 v[70:71], v[6:7], v[70:71] op_sel_hi:[1,0]
	v_pk_fma_f32 v[72:73], v[6:7], v[98:99], v[70:71] op_sel:[0,0,1] op_sel_hi:[1,1,0] neg_lo:[0,0,1] neg_hi:[0,0,1]
	v_pk_fma_f32 v[6:7], v[6:7], v[98:99], v[70:71] op_sel:[0,0,1] op_sel_hi:[1,0,0]
	v_mov_b32_e32 v6, v97
	v_mov_b32_e32 v73, v7
	s_waitcnt lgkmcnt(1)
	v_pk_mul_f32 v[6:7], v[64:65], v[6:7] op_sel_hi:[1,0]
	v_pk_fma_f32 v[70:71], v[64:65], v[96:97], v[6:7] op_sel:[0,0,1] op_sel_hi:[1,1,0] neg_lo:[0,0,1] neg_hi:[0,0,1]
	v_pk_fma_f32 v[6:7], v[64:65], v[96:97], v[6:7] op_sel:[0,0,1] op_sel_hi:[1,0,0]
	s_waitcnt vmcnt(1)
	v_mov_b32_e32 v6, v107
	v_mov_b32_e32 v71, v7
	v_pk_mul_f32 v[6:7], v[66:67], v[6:7] op_sel_hi:[1,0]
	s_waitcnt vmcnt(0)
	v_pk_fma_f32 v[64:65], v[66:67], v[106:107], v[6:7] op_sel:[0,0,1] op_sel_hi:[1,1,0] neg_lo:[0,0,1] neg_hi:[0,0,1]
	v_pk_fma_f32 v[6:7], v[66:67], v[106:107], v[6:7] op_sel:[0,0,1] op_sel_hi:[1,0,0]
	v_pk_add_f32 v[4:5], v[4:5], v[72:73]
	v_mov_b32_e32 v6, v105
	v_pk_add_f32 v[4:5], v[4:5], v[70:71]
	v_mov_b32_e32 v65, v7
	s_waitcnt lgkmcnt(0)
	v_pk_mul_f32 v[6:7], v[68:69], v[6:7] op_sel_hi:[1,0]
	v_pk_add_f32 v[4:5], v[4:5], v[64:65]
	v_pk_fma_f32 v[64:65], v[68:69], v[104:105], v[6:7] op_sel:[0,0,1] op_sel_hi:[1,1,0] neg_lo:[0,0,1] neg_hi:[0,0,1]
	v_pk_fma_f32 v[6:7], v[68:69], v[104:105], v[6:7] op_sel:[0,0,1] op_sel_hi:[1,0,0]
	v_mov_b32_e32 v65, v7
	v_pk_add_f32 v[4:5], v[4:5], v[64:65]
	v_pk_add_f32 v[4:5], v[8:9], v[4:5] neg_lo:[0,1] neg_hi:[0,1]
	buffer_store_dword v5, off, s[0:3], 0 offset:44
	buffer_store_dword v4, off, s[0:3], 0 offset:40
	s_and_saveexec_b64 s[4:5], vcc
	s_cbranch_execz .LBB90_167
; %bb.166:
	buffer_load_dword v4, off, s[0:3], 0 offset:32
	buffer_load_dword v5, off, s[0:3], 0 offset:36
	s_waitcnt vmcnt(0)
	ds_write_b64 v1, v[4:5]
	buffer_store_dword v2, off, s[0:3], 0 offset:32
	buffer_store_dword v2, off, s[0:3], 0 offset:36
.LBB90_167:
	s_or_b64 exec, exec, s[4:5]
	s_waitcnt lgkmcnt(0)
	; wave barrier
	s_waitcnt lgkmcnt(0)
	buffer_load_dword v3, off, s[0:3], 0 offset:44
	buffer_load_dword v108, off, s[0:3], 0 offset:52
	;; [unrolled: 1-line block ×30, first 2 shown]
	ds_read2_b64 v[4:7], v2 offset0:33 offset1:34
	ds_read2_b64 v[64:67], v2 offset0:35 offset1:36
	ds_read2_b64 v[68:71], v2 offset0:37 offset1:38
	ds_read2_b64 v[72:75], v2 offset0:39 offset1:40
	ds_read2_b64 v[76:79], v2 offset0:41 offset1:42
	ds_read2_b64 v[80:83], v2 offset0:43 offset1:44
	buffer_load_dword v93, off, s[0:3], 0 offset:156
	buffer_load_dword v92, off, s[0:3], 0 offset:152
	ds_read2_b64 v[84:87], v2 offset0:45 offset1:46
	ds_read2_b64 v[88:91], v2 offset0:47 offset1:48
	buffer_load_dword v95, off, s[0:3], 0 offset:188
	buffer_load_dword v94, off, s[0:3], 0 offset:184
	;; [unrolled: 1-line block ×14, first 2 shown]
	v_cmp_lt_u32_e32 vcc, 3, v0
	s_waitcnt vmcnt(45) lgkmcnt(7)
	v_mul_f32_e32 v111, v4, v3
	v_mul_f32_e32 v3, v5, v3
	s_waitcnt vmcnt(44)
	v_mul_f32_e32 v113, v6, v108
	s_waitcnt vmcnt(43) lgkmcnt(6)
	v_mul_f32_e32 v138, v64, v110
	s_waitcnt vmcnt(42)
	v_mul_f32_e32 v139, v66, v112
	s_waitcnt vmcnt(41) lgkmcnt(5)
	;; [unrolled: 4-line block ×5, first 2 shown]
	v_mul_f32_e32 v146, v80, v120
	s_waitcnt vmcnt(34)
	v_mul_f32_e32 v147, v82, v121
	s_waitcnt vmcnt(32)
	v_fma_f32 v3, v4, v123, -v3
	v_mul_f32_e32 v4, v7, v108
	v_add_f32_e32 v3, 0, v3
	s_waitcnt vmcnt(31)
	v_fma_f32 v4, v6, v124, -v4
	v_add_f32_e32 v3, v3, v4
	v_mul_f32_e32 v4, v65, v110
	s_waitcnt vmcnt(30)
	v_fma_f32 v4, v64, v125, -v4
	v_add_f32_e32 v3, v3, v4
	v_mul_f32_e32 v4, v67, v112
	;; [unrolled: 4-line block ×5, first 2 shown]
	v_fmac_f32_e32 v111, v5, v123
	s_waitcnt vmcnt(26)
	v_fma_f32 v4, v72, v129, -v4
	v_fmac_f32_e32 v113, v7, v124
	v_add_f32_e32 v111, 0, v111
	v_add_f32_e32 v3, v3, v4
	v_mul_f32_e32 v4, v75, v117
	v_fmac_f32_e32 v138, v65, v125
	v_add_f32_e32 v111, v111, v113
	s_waitcnt vmcnt(25)
	v_fma_f32 v4, v74, v130, -v4
	v_fmac_f32_e32 v139, v67, v126
	v_add_f32_e32 v111, v111, v138
	v_add_f32_e32 v3, v3, v4
	v_mul_f32_e32 v4, v77, v118
	v_fmac_f32_e32 v140, v69, v127
	v_add_f32_e32 v111, v111, v139
	;; [unrolled: 8-line block ×5, first 2 shown]
	s_waitcnt vmcnt(21)
	v_fma_f32 v4, v82, v134, -v4
	s_waitcnt vmcnt(15)
	v_mov_b32_e32 v72, v93
	s_waitcnt lgkmcnt(1)
	v_mul_f32_e32 v109, v84, v122
	v_fmac_f32_e32 v147, v83, v134
	v_add_f32_e32 v111, v111, v146
	v_add_f32_e32 v110, v3, v4
	v_mul_f32_e32 v3, v85, v122
	s_waitcnt lgkmcnt(0)
	v_pk_mul_f32 v[72:73], v[88:89], v[72:73] op_sel_hi:[1,0]
	v_fmac_f32_e32 v109, v85, v135
	v_add_f32_e32 v111, v111, v147
	v_mul_f32_e32 v113, v86, v136
	v_fma_f32 v108, v84, v135, -v3
	v_mul_f32_e32 v3, v87, v136
	s_waitcnt vmcnt(14)
	v_pk_fma_f32 v[74:75], v[88:89], v[92:93], v[72:73] op_sel:[0,0,1] op_sel_hi:[1,1,0] neg_lo:[0,0,1] neg_hi:[0,0,1]
	v_pk_fma_f32 v[72:73], v[88:89], v[92:93], v[72:73] op_sel:[0,0,1] op_sel_hi:[1,0,0]
	v_fmac_f32_e32 v113, v87, v137
	v_fma_f32 v112, v86, v137, -v3
	ds_read2_b64 v[4:7], v2 offset0:49 offset1:50
	ds_read2_b64 v[64:67], v2 offset0:51 offset1:52
	;; [unrolled: 1-line block ×3, first 2 shown]
	v_pk_add_f32 v[2:3], v[110:111], v[108:109]
	s_waitcnt vmcnt(7)
	v_mov_b32_e32 v72, v101
	v_pk_add_f32 v[2:3], v[2:3], v[112:113]
	v_mov_b32_e32 v75, v73
	v_pk_mul_f32 v[72:73], v[90:91], v[72:73] op_sel_hi:[1,0]
	v_pk_add_f32 v[2:3], v[2:3], v[74:75]
	s_waitcnt vmcnt(6)
	v_pk_fma_f32 v[74:75], v[90:91], v[100:101], v[72:73] op_sel:[0,0,1] op_sel_hi:[1,1,0] neg_lo:[0,0,1] neg_hi:[0,0,1]
	v_pk_fma_f32 v[72:73], v[90:91], v[100:101], v[72:73] op_sel:[0,0,1] op_sel_hi:[1,0,0]
	v_mov_b32_e32 v72, v99
	v_mov_b32_e32 v75, v73
	s_waitcnt lgkmcnt(2)
	v_pk_mul_f32 v[72:73], v[4:5], v[72:73] op_sel_hi:[1,0]
	v_pk_add_f32 v[2:3], v[2:3], v[74:75]
	v_pk_fma_f32 v[74:75], v[4:5], v[98:99], v[72:73] op_sel:[0,0,1] op_sel_hi:[1,1,0] neg_lo:[0,0,1] neg_hi:[0,0,1]
	v_pk_fma_f32 v[4:5], v[4:5], v[98:99], v[72:73] op_sel:[0,0,1] op_sel_hi:[1,0,0]
	v_mov_b32_e32 v4, v97
	v_mov_b32_e32 v75, v5
	v_pk_mul_f32 v[4:5], v[6:7], v[4:5] op_sel_hi:[1,0]
	v_pk_fma_f32 v[72:73], v[6:7], v[96:97], v[4:5] op_sel:[0,0,1] op_sel_hi:[1,1,0] neg_lo:[0,0,1] neg_hi:[0,0,1]
	v_pk_fma_f32 v[4:5], v[6:7], v[96:97], v[4:5] op_sel:[0,0,1] op_sel_hi:[1,0,0]
	v_mov_b32_e32 v4, v95
	v_mov_b32_e32 v73, v5
	s_waitcnt lgkmcnt(1)
	v_pk_mul_f32 v[4:5], v[64:65], v[4:5] op_sel_hi:[1,0]
	v_pk_fma_f32 v[6:7], v[64:65], v[94:95], v[4:5] op_sel:[0,0,1] op_sel_hi:[1,1,0] neg_lo:[0,0,1] neg_hi:[0,0,1]
	v_pk_fma_f32 v[4:5], v[64:65], v[94:95], v[4:5] op_sel:[0,0,1] op_sel_hi:[1,0,0]
	v_pk_add_f32 v[2:3], v[2:3], v[74:75]
	s_waitcnt vmcnt(1)
	v_mov_b32_e32 v4, v107
	v_pk_add_f32 v[2:3], v[2:3], v[72:73]
	v_mov_b32_e32 v7, v5
	v_pk_mul_f32 v[4:5], v[66:67], v[4:5] op_sel_hi:[1,0]
	v_pk_add_f32 v[2:3], v[2:3], v[6:7]
	s_waitcnt vmcnt(0)
	v_pk_fma_f32 v[6:7], v[66:67], v[106:107], v[4:5] op_sel:[0,0,1] op_sel_hi:[1,1,0] neg_lo:[0,0,1] neg_hi:[0,0,1]
	v_pk_fma_f32 v[4:5], v[66:67], v[106:107], v[4:5] op_sel:[0,0,1] op_sel_hi:[1,0,0]
	v_mov_b32_e32 v4, v105
	v_mov_b32_e32 v7, v5
	s_waitcnt lgkmcnt(0)
	v_pk_mul_f32 v[4:5], v[68:69], v[4:5] op_sel_hi:[1,0]
	v_pk_add_f32 v[2:3], v[2:3], v[6:7]
	v_pk_fma_f32 v[6:7], v[68:69], v[104:105], v[4:5] op_sel:[0,0,1] op_sel_hi:[1,1,0] neg_lo:[0,0,1] neg_hi:[0,0,1]
	v_pk_fma_f32 v[4:5], v[68:69], v[104:105], v[4:5] op_sel:[0,0,1] op_sel_hi:[1,0,0]
	v_mov_b32_e32 v4, v103
	v_mov_b32_e32 v7, v5
	v_pk_mul_f32 v[4:5], v[70:71], v[4:5] op_sel_hi:[1,0]
	v_pk_add_f32 v[2:3], v[2:3], v[6:7]
	v_pk_fma_f32 v[6:7], v[70:71], v[102:103], v[4:5] op_sel:[0,0,1] op_sel_hi:[1,1,0] neg_lo:[0,0,1] neg_hi:[0,0,1]
	v_pk_fma_f32 v[4:5], v[70:71], v[102:103], v[4:5] op_sel:[0,0,1] op_sel_hi:[1,0,0]
	v_mov_b32_e32 v7, v5
	v_pk_add_f32 v[2:3], v[2:3], v[6:7]
	v_pk_add_f32 v[2:3], v[8:9], v[2:3] neg_lo:[0,1] neg_hi:[0,1]
	buffer_store_dword v3, off, s[0:3], 0 offset:36
	buffer_store_dword v2, off, s[0:3], 0 offset:32
	s_and_saveexec_b64 s[4:5], vcc
	s_cbranch_execz .LBB90_169
; %bb.168:
	buffer_load_dword v2, off, s[0:3], 0 offset:24
	buffer_load_dword v3, off, s[0:3], 0 offset:28
	v_mov_b32_e32 v4, 0
	buffer_store_dword v4, off, s[0:3], 0 offset:24
	buffer_store_dword v4, off, s[0:3], 0 offset:28
	s_waitcnt vmcnt(2)
	ds_write_b64 v1, v[2:3]
.LBB90_169:
	s_or_b64 exec, exec, s[4:5]
	s_waitcnt lgkmcnt(0)
	; wave barrier
	s_waitcnt lgkmcnt(0)
	buffer_load_dword v3, off, s[0:3], 0 offset:36
	buffer_load_dword v106, off, s[0:3], 0 offset:44
	;; [unrolled: 1-line block ×32, first 2 shown]
	v_mov_b32_e32 v2, 0
	buffer_load_dword v93, off, s[0:3], 0 offset:180
	buffer_load_dword v92, off, s[0:3], 0 offset:176
	;; [unrolled: 1-line block ×13, first 2 shown]
	ds_read_b128 v[4:7], v2 offset:256
	ds_read_b128 v[64:67], v2 offset:272
	;; [unrolled: 1-line block ×8, first 2 shown]
	v_cmp_lt_u32_e32 vcc, 2, v0
	s_waitcnt vmcnt(44) lgkmcnt(7)
	v_mul_f32_e32 v100, v4, v3
	s_waitcnt vmcnt(43)
	v_mul_f32_e32 v107, v6, v106
	s_waitcnt vmcnt(42) lgkmcnt(6)
	v_mul_f32_e32 v108, v64, v110
	s_waitcnt vmcnt(41)
	v_mul_f32_e32 v109, v66, v112
	;; [unrolled: 4-line block ×6, first 2 shown]
	s_waitcnt vmcnt(32) lgkmcnt(1)
	v_mul_f32_e32 v146, v84, v122
	s_waitcnt vmcnt(31)
	v_fmac_f32_e32 v100, v5, v123
	s_waitcnt vmcnt(30)
	v_fmac_f32_e32 v107, v7, v124
	v_add_f32_e32 v100, 0, v100
	s_waitcnt vmcnt(29)
	v_fmac_f32_e32 v108, v65, v125
	v_add_f32_e32 v100, v100, v107
	;; [unrolled: 3-line block ×12, first 2 shown]
	v_add_f32_e32 v107, v100, v146
	buffer_load_dword v109, off, s[0:3], 0 offset:196
	buffer_load_dword v108, off, s[0:3], 0 offset:192
	;; [unrolled: 1-line block ×3, first 2 shown]
	v_mul_f32_e32 v3, v5, v3
	v_fma_f32 v3, v4, v123, -v3
	v_mul_f32_e32 v4, v7, v106
	v_add_f32_e32 v3, 0, v3
	v_fma_f32 v4, v6, v124, -v4
	v_add_f32_e32 v3, v3, v4
	v_mul_f32_e32 v4, v65, v110
	v_fma_f32 v4, v64, v125, -v4
	v_add_f32_e32 v3, v3, v4
	v_mul_f32_e32 v4, v67, v112
	;; [unrolled: 3-line block ×11, first 2 shown]
	v_fma_f32 v4, v84, v135, -v4
	s_waitcnt vmcnt(9)
	v_mov_b32_e32 v76, v99
	v_mul_f32_e32 v111, v86, v136
	v_add_f32_e32 v106, v3, v4
	v_mul_f32_e32 v3, v87, v136
	s_waitcnt lgkmcnt(0)
	v_pk_mul_f32 v[76:77], v[90:91], v[76:77] op_sel_hi:[1,0]
	v_fmac_f32_e32 v111, v87, v137
	v_mul_f32_e32 v113, v88, v138
	v_fma_f32 v110, v86, v137, -v3
	v_mul_f32_e32 v3, v89, v138
	ds_read_b128 v[4:7], v2 offset:384
	ds_read_b128 v[64:67], v2 offset:400
	;; [unrolled: 1-line block ×3, first 2 shown]
	ds_read_b64 v[72:73], v2 offset:432
	s_waitcnt vmcnt(8)
	v_pk_fma_f32 v[78:79], v[90:91], v[98:99], v[76:77] op_sel:[0,0,1] op_sel_hi:[1,1,0] neg_lo:[0,0,1] neg_hi:[0,0,1]
	v_pk_fma_f32 v[76:77], v[90:91], v[98:99], v[76:77] op_sel:[0,0,1] op_sel_hi:[1,0,0]
	v_fmac_f32_e32 v113, v89, v139
	v_fma_f32 v112, v88, v139, -v3
	v_pk_add_f32 v[74:75], v[106:107], v[110:111]
	v_mov_b32_e32 v76, v97
	v_pk_add_f32 v[74:75], v[74:75], v[112:113]
	v_mov_b32_e32 v79, v77
	s_waitcnt lgkmcnt(3)
	v_pk_mul_f32 v[76:77], v[4:5], v[76:77] op_sel_hi:[1,0]
	v_pk_add_f32 v[74:75], v[74:75], v[78:79]
	v_pk_fma_f32 v[78:79], v[4:5], v[96:97], v[76:77] op_sel:[0,0,1] op_sel_hi:[1,1,0] neg_lo:[0,0,1] neg_hi:[0,0,1]
	v_pk_fma_f32 v[4:5], v[4:5], v[96:97], v[76:77] op_sel:[0,0,1] op_sel_hi:[1,0,0]
	v_mov_b32_e32 v79, v5
	v_pk_add_f32 v[4:5], v[74:75], v[78:79]
	v_mov_b32_e32 v74, v95
	v_pk_mul_f32 v[74:75], v[6:7], v[74:75] op_sel_hi:[1,0]
	v_pk_fma_f32 v[76:77], v[6:7], v[94:95], v[74:75] op_sel:[0,0,1] op_sel_hi:[1,1,0] neg_lo:[0,0,1] neg_hi:[0,0,1]
	v_pk_fma_f32 v[6:7], v[6:7], v[94:95], v[74:75] op_sel:[0,0,1] op_sel_hi:[1,0,0]
	v_mov_b32_e32 v6, v93
	v_mov_b32_e32 v77, v7
	s_waitcnt lgkmcnt(2)
	v_pk_mul_f32 v[6:7], v[64:65], v[6:7] op_sel_hi:[1,0]
	v_pk_fma_f32 v[74:75], v[64:65], v[92:93], v[6:7] op_sel:[0,0,1] op_sel_hi:[1,1,0] neg_lo:[0,0,1] neg_hi:[0,0,1]
	v_pk_fma_f32 v[6:7], v[64:65], v[92:93], v[6:7] op_sel:[0,0,1] op_sel_hi:[1,0,0]
	s_waitcnt vmcnt(7)
	v_mov_b32_e32 v6, v101
	v_mov_b32_e32 v75, v7
	v_pk_mul_f32 v[6:7], v[66:67], v[6:7] op_sel_hi:[1,0]
	v_pk_add_f32 v[4:5], v[4:5], v[76:77]
	v_pk_add_f32 v[4:5], v[4:5], v[74:75]
	s_waitcnt vmcnt(0)
	v_pk_fma_f32 v[64:65], v[66:67], v[100:101], v[6:7] op_sel:[0,0,1] op_sel_hi:[1,1,0] neg_lo:[0,0,1] neg_hi:[0,0,1]
	v_pk_fma_f32 v[6:7], v[66:67], v[100:101], v[6:7] op_sel:[0,0,1] op_sel_hi:[1,0,0]
	v_mov_b32_e32 v6, v109
	v_mov_b32_e32 v65, v7
	s_waitcnt lgkmcnt(1)
	v_pk_mul_f32 v[6:7], v[68:69], v[6:7] op_sel_hi:[1,0]
	v_pk_add_f32 v[4:5], v[4:5], v[64:65]
	v_pk_fma_f32 v[64:65], v[68:69], v[108:109], v[6:7] op_sel:[0,0,1] op_sel_hi:[1,1,0] neg_lo:[0,0,1] neg_hi:[0,0,1]
	v_pk_fma_f32 v[6:7], v[68:69], v[108:109], v[6:7] op_sel:[0,0,1] op_sel_hi:[1,0,0]
	v_mov_b32_e32 v6, v105
	v_mov_b32_e32 v65, v7
	v_pk_mul_f32 v[6:7], v[70:71], v[6:7] op_sel_hi:[1,0]
	v_pk_add_f32 v[4:5], v[4:5], v[64:65]
	v_pk_fma_f32 v[64:65], v[70:71], v[104:105], v[6:7] op_sel:[0,0,1] op_sel_hi:[1,1,0] neg_lo:[0,0,1] neg_hi:[0,0,1]
	v_pk_fma_f32 v[6:7], v[70:71], v[104:105], v[6:7] op_sel:[0,0,1] op_sel_hi:[1,0,0]
	v_mov_b32_e32 v6, v103
	v_mov_b32_e32 v65, v7
	s_waitcnt lgkmcnt(0)
	v_pk_mul_f32 v[6:7], v[72:73], v[6:7] op_sel_hi:[1,0]
	v_pk_add_f32 v[4:5], v[4:5], v[64:65]
	v_pk_fma_f32 v[64:65], v[72:73], v[102:103], v[6:7] op_sel:[0,0,1] op_sel_hi:[1,1,0] neg_lo:[0,0,1] neg_hi:[0,0,1]
	v_pk_fma_f32 v[6:7], v[72:73], v[102:103], v[6:7] op_sel:[0,0,1] op_sel_hi:[1,0,0]
	v_mov_b32_e32 v65, v7
	v_pk_add_f32 v[4:5], v[4:5], v[64:65]
	v_pk_add_f32 v[4:5], v[8:9], v[4:5] neg_lo:[0,1] neg_hi:[0,1]
	buffer_store_dword v5, off, s[0:3], 0 offset:28
	buffer_store_dword v4, off, s[0:3], 0 offset:24
	s_and_saveexec_b64 s[4:5], vcc
	s_cbranch_execz .LBB90_171
; %bb.170:
	buffer_load_dword v4, off, s[0:3], 0 offset:16
	buffer_load_dword v5, off, s[0:3], 0 offset:20
	s_waitcnt vmcnt(0)
	ds_write_b64 v1, v[4:5]
	buffer_store_dword v2, off, s[0:3], 0 offset:16
	buffer_store_dword v2, off, s[0:3], 0 offset:20
.LBB90_171:
	s_or_b64 exec, exec, s[4:5]
	s_waitcnt lgkmcnt(0)
	; wave barrier
	s_waitcnt lgkmcnt(0)
	buffer_load_dword v3, off, s[0:3], 0 offset:28
	buffer_load_dword v106, off, s[0:3], 0 offset:36
	;; [unrolled: 1-line block ×34, first 2 shown]
	ds_read2_b64 v[4:7], v2 offset0:31 offset1:32
	ds_read2_b64 v[64:67], v2 offset0:33 offset1:34
	;; [unrolled: 1-line block ×8, first 2 shown]
	buffer_load_dword v93, off, s[0:3], 0 offset:172
	buffer_load_dword v92, off, s[0:3], 0 offset:168
	buffer_load_dword v95, off, s[0:3], 0 offset:164
	buffer_load_dword v94, off, s[0:3], 0 offset:160
	buffer_load_dword v97, off, s[0:3], 0 offset:156
	buffer_load_dword v96, off, s[0:3], 0 offset:152
	buffer_load_dword v99, off, s[0:3], 0 offset:180
	buffer_load_dword v101, off, s[0:3], 0 offset:204
	buffer_load_dword v100, off, s[0:3], 0 offset:200
	v_cmp_lt_u32_e32 vcc, 1, v0
	s_waitcnt vmcnt(42) lgkmcnt(7)
	v_mul_f32_e32 v98, v4, v3
	s_waitcnt vmcnt(41)
	v_mul_f32_e32 v102, v6, v106
	s_waitcnt vmcnt(40) lgkmcnt(6)
	v_mul_f32_e32 v103, v64, v108
	s_waitcnt vmcnt(39)
	v_mul_f32_e32 v104, v66, v110
	;; [unrolled: 4-line block ×6, first 2 shown]
	s_waitcnt vmcnt(30) lgkmcnt(1)
	v_mul_f32_e32 v144, v84, v122
	v_mul_f32_e32 v3, v5, v3
	s_waitcnt vmcnt(28)
	v_fmac_f32_e32 v98, v5, v124
	s_waitcnt vmcnt(27)
	v_fmac_f32_e32 v102, v7, v125
	v_add_f32_e32 v98, 0, v98
	s_waitcnt vmcnt(26)
	v_fmac_f32_e32 v103, v65, v126
	v_add_f32_e32 v98, v98, v102
	;; [unrolled: 3-line block ×12, first 2 shown]
	v_add_f32_e32 v107, v98, v144
	buffer_load_dword v103, off, s[0:3], 0 offset:196
	buffer_load_dword v102, off, s[0:3], 0 offset:192
	;; [unrolled: 1-line block ×7, first 2 shown]
	v_fma_f32 v3, v4, v124, -v3
	v_mul_f32_e32 v4, v7, v106
	v_add_f32_e32 v3, 0, v3
	v_fma_f32 v4, v6, v125, -v4
	v_add_f32_e32 v3, v3, v4
	v_mul_f32_e32 v4, v65, v108
	v_fma_f32 v4, v64, v126, -v4
	v_add_f32_e32 v3, v3, v4
	v_mul_f32_e32 v4, v67, v110
	;; [unrolled: 3-line block ×12, first 2 shown]
	s_waitcnt vmcnt(22)
	v_fma_f32 v4, v86, v137, -v4
	v_add_f32_e32 v106, v3, v4
	ds_read2_b64 v[4:7], v2 offset0:47 offset1:48
	ds_read2_b64 v[64:67], v2 offset0:49 offset1:50
	;; [unrolled: 1-line block ×4, first 2 shown]
	s_waitcnt vmcnt(11)
	v_mov_b32_e32 v76, v97
	s_waitcnt lgkmcnt(3)
	v_pk_mul_f32 v[76:77], v[4:5], v[76:77] op_sel_hi:[1,0]
	s_waitcnt vmcnt(10)
	v_pk_fma_f32 v[78:79], v[4:5], v[96:97], v[76:77] op_sel:[0,0,1] op_sel_hi:[1,1,0] neg_lo:[0,0,1] neg_hi:[0,0,1]
	v_pk_fma_f32 v[4:5], v[4:5], v[96:97], v[76:77] op_sel:[0,0,1] op_sel_hi:[1,0,0]
	v_mov_b32_e32 v4, v95
	v_mul_f32_e32 v145, v86, v123
	v_mov_b32_e32 v79, v5
	v_pk_mul_f32 v[4:5], v[6:7], v[4:5] op_sel_hi:[1,0]
	v_fmac_f32_e32 v145, v87, v137
	v_mul_f32_e32 v109, v88, v138
	v_mul_f32_e32 v3, v89, v138
	v_pk_fma_f32 v[76:77], v[6:7], v[94:95], v[4:5] op_sel:[0,0,1] op_sel_hi:[1,1,0] neg_lo:[0,0,1] neg_hi:[0,0,1]
	v_pk_fma_f32 v[4:5], v[6:7], v[94:95], v[4:5] op_sel:[0,0,1] op_sel_hi:[1,0,0]
	v_add_f32_e32 v107, v107, v145
	v_fmac_f32_e32 v109, v89, v139
	v_mul_f32_e32 v111, v90, v140
	v_fma_f32 v108, v88, v139, -v3
	v_mul_f32_e32 v3, v91, v140
	v_mov_b32_e32 v4, v93
	v_fmac_f32_e32 v111, v91, v141
	v_fma_f32 v110, v90, v141, -v3
	v_pk_add_f32 v[2:3], v[106:107], v[108:109]
	v_mov_b32_e32 v77, v5
	s_waitcnt lgkmcnt(2)
	v_pk_mul_f32 v[4:5], v[64:65], v[4:5] op_sel_hi:[1,0]
	v_pk_add_f32 v[2:3], v[2:3], v[110:111]
	v_pk_fma_f32 v[6:7], v[64:65], v[92:93], v[4:5] op_sel:[0,0,1] op_sel_hi:[1,1,0] neg_lo:[0,0,1] neg_hi:[0,0,1]
	v_pk_fma_f32 v[4:5], v[64:65], v[92:93], v[4:5] op_sel:[0,0,1] op_sel_hi:[1,0,0]
	v_pk_add_f32 v[2:3], v[2:3], v[78:79]
	s_waitcnt vmcnt(9)
	v_mov_b32_e32 v4, v99
	v_pk_add_f32 v[2:3], v[2:3], v[76:77]
	v_mov_b32_e32 v7, v5
	v_pk_mul_f32 v[4:5], v[66:67], v[4:5] op_sel_hi:[1,0]
	v_pk_add_f32 v[2:3], v[2:3], v[6:7]
	s_waitcnt vmcnt(2)
	v_pk_fma_f32 v[6:7], v[66:67], v[98:99], v[4:5] op_sel:[0,0,1] op_sel_hi:[1,1,0] neg_lo:[0,0,1] neg_hi:[0,0,1]
	v_pk_fma_f32 v[4:5], v[66:67], v[98:99], v[4:5] op_sel:[0,0,1] op_sel_hi:[1,0,0]
	v_mov_b32_e32 v4, v105
	v_mov_b32_e32 v7, v5
	s_waitcnt lgkmcnt(1)
	v_pk_mul_f32 v[4:5], v[68:69], v[4:5] op_sel_hi:[1,0]
	v_pk_add_f32 v[2:3], v[2:3], v[6:7]
	v_pk_fma_f32 v[6:7], v[68:69], v[104:105], v[4:5] op_sel:[0,0,1] op_sel_hi:[1,1,0] neg_lo:[0,0,1] neg_hi:[0,0,1]
	v_pk_fma_f32 v[4:5], v[68:69], v[104:105], v[4:5] op_sel:[0,0,1] op_sel_hi:[1,0,0]
	v_mov_b32_e32 v4, v103
	v_mov_b32_e32 v7, v5
	v_pk_mul_f32 v[4:5], v[70:71], v[4:5] op_sel_hi:[1,0]
	v_pk_add_f32 v[2:3], v[2:3], v[6:7]
	v_pk_fma_f32 v[6:7], v[70:71], v[102:103], v[4:5] op_sel:[0,0,1] op_sel_hi:[1,1,0] neg_lo:[0,0,1] neg_hi:[0,0,1]
	v_pk_fma_f32 v[4:5], v[70:71], v[102:103], v[4:5] op_sel:[0,0,1] op_sel_hi:[1,0,0]
	v_mov_b32_e32 v4, v101
	v_mov_b32_e32 v7, v5
	s_waitcnt lgkmcnt(0)
	v_pk_mul_f32 v[4:5], v[72:73], v[4:5] op_sel_hi:[1,0]
	v_pk_add_f32 v[2:3], v[2:3], v[6:7]
	v_pk_fma_f32 v[6:7], v[72:73], v[100:101], v[4:5] op_sel:[0,0,1] op_sel_hi:[1,1,0] neg_lo:[0,0,1] neg_hi:[0,0,1]
	v_pk_fma_f32 v[4:5], v[72:73], v[100:101], v[4:5] op_sel:[0,0,1] op_sel_hi:[1,0,0]
	s_waitcnt vmcnt(1)
	v_mov_b32_e32 v4, v113
	v_mov_b32_e32 v7, v5
	v_pk_mul_f32 v[4:5], v[74:75], v[4:5] op_sel_hi:[1,0]
	v_pk_add_f32 v[2:3], v[2:3], v[6:7]
	s_waitcnt vmcnt(0)
	v_pk_fma_f32 v[6:7], v[74:75], v[112:113], v[4:5] op_sel:[0,0,1] op_sel_hi:[1,1,0] neg_lo:[0,0,1] neg_hi:[0,0,1]
	v_pk_fma_f32 v[4:5], v[74:75], v[112:113], v[4:5] op_sel:[0,0,1] op_sel_hi:[1,0,0]
	v_mov_b32_e32 v7, v5
	v_pk_add_f32 v[2:3], v[2:3], v[6:7]
	v_pk_add_f32 v[2:3], v[8:9], v[2:3] neg_lo:[0,1] neg_hi:[0,1]
	buffer_store_dword v3, off, s[0:3], 0 offset:20
	buffer_store_dword v2, off, s[0:3], 0 offset:16
	s_and_saveexec_b64 s[4:5], vcc
	s_cbranch_execz .LBB90_173
; %bb.172:
	buffer_load_dword v2, off, s[0:3], 0 offset:8
	buffer_load_dword v3, off, s[0:3], 0 offset:12
	v_mov_b32_e32 v4, 0
	buffer_store_dword v4, off, s[0:3], 0 offset:8
	buffer_store_dword v4, off, s[0:3], 0 offset:12
	s_waitcnt vmcnt(2)
	ds_write_b64 v1, v[2:3]
.LBB90_173:
	s_or_b64 exec, exec, s[4:5]
	s_waitcnt lgkmcnt(0)
	; wave barrier
	s_waitcnt lgkmcnt(0)
	buffer_load_dword v5, off, s[0:3], 0 offset:20
	buffer_load_dword v112, off, s[0:3], 0 offset:28
	;; [unrolled: 1-line block ×36, first 2 shown]
	v_mov_b32_e32 v4, 0
	buffer_load_dword v101, off, s[0:3], 0 offset:164
	buffer_load_dword v100, off, s[0:3], 0 offset:160
	buffer_load_dword v103, off, s[0:3], 0 offset:156
	buffer_load_dword v102, off, s[0:3], 0 offset:152
	buffer_load_dword v105, off, s[0:3], 0 offset:172
	ds_read_b128 v[6:9], v4 offset:240
	ds_read_b128 v[64:67], v4 offset:256
	;; [unrolled: 1-line block ×8, first 2 shown]
	v_cmp_ne_u32_e32 vcc, 0, v0
	s_waitcnt vmcnt(40) lgkmcnt(7)
	v_mul_f32_e32 v92, v6, v5
	s_waitcnt vmcnt(39)
	v_mul_f32_e32 v93, v8, v112
	s_waitcnt vmcnt(38) lgkmcnt(6)
	v_mul_f32_e32 v94, v64, v114
	s_waitcnt vmcnt(37)
	v_mul_f32_e32 v95, v66, v116
	;; [unrolled: 4-line block ×7, first 2 shown]
	s_waitcnt vmcnt(26) lgkmcnt(0)
	v_mul_f32_e32 v113, v88, v132
	s_waitcnt vmcnt(25)
	v_fmac_f32_e32 v92, v7, v133
	s_waitcnt vmcnt(24)
	v_fmac_f32_e32 v93, v9, v134
	v_add_f32_e32 v92, 0, v92
	s_waitcnt vmcnt(23)
	v_fmac_f32_e32 v94, v65, v135
	v_add_f32_e32 v92, v92, v93
	;; [unrolled: 3-line block ×13, first 2 shown]
	v_add_f32_e32 v96, v92, v110
	buffer_load_dword v107, off, s[0:3], 0 offset:196
	buffer_load_dword v106, off, s[0:3], 0 offset:192
	;; [unrolled: 1-line block ×7, first 2 shown]
	s_waitcnt vmcnt(18)
	v_fmac_f32_e32 v113, v89, v147
	ds_read_b128 v[92:95], v4 offset:368
	v_add_f32_e32 v113, v96, v113
	ds_read_b128 v[96:99], v4 offset:384
	buffer_load_dword v119, off, s[0:3], 0 offset:212
	buffer_load_dword v118, off, s[0:3], 0 offset:208
	;; [unrolled: 1-line block ×4, first 2 shown]
	v_mul_f32_e32 v5, v7, v5
	v_fma_f32 v5, v6, v133, -v5
	v_mul_f32_e32 v6, v9, v112
	v_add_f32_e32 v5, 0, v5
	v_fma_f32 v6, v8, v134, -v6
	v_add_f32_e32 v5, v5, v6
	v_mul_f32_e32 v6, v65, v114
	v_fma_f32 v6, v64, v135, -v6
	v_add_f32_e32 v5, v5, v6
	v_mul_f32_e32 v6, v67, v116
	v_fma_f32 v6, v66, v136, -v6
	v_add_f32_e32 v5, v5, v6
	v_mul_f32_e32 v6, v69, v122
	v_fma_f32 v6, v68, v137, -v6
	v_add_f32_e32 v5, v5, v6
	v_mul_f32_e32 v6, v71, v123
	v_fma_f32 v6, v70, v138, -v6
	v_add_f32_e32 v5, v5, v6
	v_mul_f32_e32 v6, v73, v124
	v_fma_f32 v6, v72, v139, -v6
	v_add_f32_e32 v5, v5, v6
	v_mul_f32_e32 v6, v75, v125
	v_fma_f32 v6, v74, v140, -v6
	v_add_f32_e32 v5, v5, v6
	v_mul_f32_e32 v6, v77, v126
	v_fma_f32 v6, v76, v141, -v6
	v_add_f32_e32 v5, v5, v6
	v_mul_f32_e32 v6, v79, v127
	v_fma_f32 v6, v78, v142, -v6
	v_add_f32_e32 v5, v5, v6
	v_mul_f32_e32 v6, v81, v128
	v_fma_f32 v6, v80, v143, -v6
	v_add_f32_e32 v5, v5, v6
	v_mul_f32_e32 v6, v83, v129
	v_fma_f32 v6, v82, v144, -v6
	v_add_f32_e32 v5, v5, v6
	v_mul_f32_e32 v6, v85, v130
	v_fma_f32 v6, v84, v145, -v6
	v_add_f32_e32 v5, v5, v6
	v_mul_f32_e32 v6, v87, v131
	v_fma_f32 v6, v86, v146, -v6
	v_add_f32_e32 v5, v5, v6
	v_mul_f32_e32 v6, v89, v132
	v_fma_f32 v6, v88, v147, -v6
	s_waitcnt vmcnt(13)
	v_mov_b32_e32 v72, v103
	v_mul_f32_e32 v115, v90, v148
	v_add_f32_e32 v112, v5, v6
	v_mul_f32_e32 v5, v91, v148
	s_waitcnt lgkmcnt(1)
	v_pk_mul_f32 v[72:73], v[94:95], v[72:73] op_sel_hi:[1,0]
	v_fmac_f32_e32 v115, v91, v149
	v_mul_f32_e32 v117, v92, v150
	v_fma_f32 v114, v90, v149, -v5
	v_mul_f32_e32 v5, v93, v150
	s_waitcnt vmcnt(12)
	v_pk_fma_f32 v[74:75], v[94:95], v[102:103], v[72:73] op_sel:[0,0,1] op_sel_hi:[1,1,0] neg_lo:[0,0,1] neg_hi:[0,0,1]
	v_pk_fma_f32 v[72:73], v[94:95], v[102:103], v[72:73] op_sel:[0,0,1] op_sel_hi:[1,0,0]
	v_fmac_f32_e32 v117, v93, v151
	v_fma_f32 v116, v92, v151, -v5
	v_pk_add_f32 v[70:71], v[112:113], v[114:115]
	v_mov_b32_e32 v72, v101
	v_pk_add_f32 v[70:71], v[70:71], v[116:117]
	v_mov_b32_e32 v75, v73
	s_waitcnt lgkmcnt(0)
	v_pk_mul_f32 v[72:73], v[96:97], v[72:73] op_sel_hi:[1,0]
	v_pk_add_f32 v[70:71], v[70:71], v[74:75]
	v_pk_fma_f32 v[74:75], v[96:97], v[100:101], v[72:73] op_sel:[0,0,1] op_sel_hi:[1,1,0] neg_lo:[0,0,1] neg_hi:[0,0,1]
	v_pk_fma_f32 v[72:73], v[96:97], v[100:101], v[72:73] op_sel:[0,0,1] op_sel_hi:[1,0,0]
	s_waitcnt vmcnt(11)
	v_mov_b32_e32 v72, v105
	ds_read_b128 v[6:9], v4 offset:400
	ds_read_b128 v[64:67], v4 offset:416
	ds_read_b64 v[68:69], v4 offset:432
	v_mov_b32_e32 v75, v73
	v_pk_mul_f32 v[72:73], v[98:99], v[72:73] op_sel_hi:[1,0]
	v_pk_add_f32 v[70:71], v[70:71], v[74:75]
	s_waitcnt vmcnt(4)
	v_pk_fma_f32 v[74:75], v[98:99], v[104:105], v[72:73] op_sel:[0,0,1] op_sel_hi:[1,1,0] neg_lo:[0,0,1] neg_hi:[0,0,1]
	v_pk_fma_f32 v[72:73], v[98:99], v[104:105], v[72:73] op_sel:[0,0,1] op_sel_hi:[1,0,0]
	v_mov_b32_e32 v72, v111
	v_mov_b32_e32 v75, v73
	s_waitcnt lgkmcnt(2)
	v_pk_mul_f32 v[72:73], v[6:7], v[72:73] op_sel_hi:[1,0]
	v_pk_add_f32 v[70:71], v[70:71], v[74:75]
	v_pk_fma_f32 v[74:75], v[6:7], v[110:111], v[72:73] op_sel:[0,0,1] op_sel_hi:[1,1,0] neg_lo:[0,0,1] neg_hi:[0,0,1]
	v_pk_fma_f32 v[6:7], v[6:7], v[110:111], v[72:73] op_sel:[0,0,1] op_sel_hi:[1,0,0]
	v_mov_b32_e32 v75, v7
	v_pk_add_f32 v[6:7], v[70:71], v[74:75]
	v_mov_b32_e32 v70, v109
	v_pk_mul_f32 v[70:71], v[8:9], v[70:71] op_sel_hi:[1,0]
	v_pk_fma_f32 v[72:73], v[8:9], v[108:109], v[70:71] op_sel:[0,0,1] op_sel_hi:[1,1,0] neg_lo:[0,0,1] neg_hi:[0,0,1]
	v_pk_fma_f32 v[8:9], v[8:9], v[108:109], v[70:71] op_sel:[0,0,1] op_sel_hi:[1,0,0]
	v_mov_b32_e32 v8, v107
	v_mov_b32_e32 v73, v9
	s_waitcnt lgkmcnt(1)
	v_pk_mul_f32 v[8:9], v[64:65], v[8:9] op_sel_hi:[1,0]
	v_pk_fma_f32 v[70:71], v[64:65], v[106:107], v[8:9] op_sel:[0,0,1] op_sel_hi:[1,1,0] neg_lo:[0,0,1] neg_hi:[0,0,1]
	v_pk_fma_f32 v[8:9], v[64:65], v[106:107], v[8:9] op_sel:[0,0,1] op_sel_hi:[1,0,0]
	s_waitcnt vmcnt(1)
	v_mov_b32_e32 v8, v121
	v_mov_b32_e32 v71, v9
	v_pk_mul_f32 v[8:9], v[66:67], v[8:9] op_sel_hi:[1,0]
	s_waitcnt vmcnt(0)
	v_pk_fma_f32 v[64:65], v[66:67], v[120:121], v[8:9] op_sel:[0,0,1] op_sel_hi:[1,1,0] neg_lo:[0,0,1] neg_hi:[0,0,1]
	v_pk_fma_f32 v[8:9], v[66:67], v[120:121], v[8:9] op_sel:[0,0,1] op_sel_hi:[1,0,0]
	v_pk_add_f32 v[6:7], v[6:7], v[72:73]
	v_mov_b32_e32 v8, v119
	v_pk_add_f32 v[6:7], v[6:7], v[70:71]
	v_mov_b32_e32 v65, v9
	s_waitcnt lgkmcnt(0)
	v_pk_mul_f32 v[8:9], v[68:69], v[8:9] op_sel_hi:[1,0]
	v_pk_add_f32 v[6:7], v[6:7], v[64:65]
	v_pk_fma_f32 v[64:65], v[68:69], v[118:119], v[8:9] op_sel:[0,0,1] op_sel_hi:[1,1,0] neg_lo:[0,0,1] neg_hi:[0,0,1]
	v_pk_fma_f32 v[8:9], v[68:69], v[118:119], v[8:9] op_sel:[0,0,1] op_sel_hi:[1,0,0]
	v_mov_b32_e32 v65, v9
	v_pk_add_f32 v[6:7], v[6:7], v[64:65]
	v_pk_add_f32 v[2:3], v[2:3], v[6:7] neg_lo:[0,1] neg_hi:[0,1]
	buffer_store_dword v3, off, s[0:3], 0 offset:12
	buffer_store_dword v2, off, s[0:3], 0 offset:8
	s_and_saveexec_b64 s[4:5], vcc
	s_cbranch_execz .LBB90_175
; %bb.174:
	buffer_load_dword v2, off, s[0:3], 0
	buffer_load_dword v3, off, s[0:3], 0 offset:4
	s_waitcnt vmcnt(0)
	ds_write_b64 v1, v[2:3]
	buffer_store_dword v4, off, s[0:3], 0
	buffer_store_dword v4, off, s[0:3], 0 offset:4
.LBB90_175:
	s_or_b64 exec, exec, s[4:5]
	s_waitcnt lgkmcnt(0)
	; wave barrier
	s_waitcnt lgkmcnt(0)
	buffer_load_dword v5, off, s[0:3], 0 offset:12
	buffer_load_dword v108, off, s[0:3], 0 offset:20
	;; [unrolled: 1-line block ×36, first 2 shown]
	buffer_load_dword v96, off, s[0:3], 0
	buffer_load_dword v97, off, s[0:3], 0 offset:4
	ds_read2_b64 v[0:3], v4 offset0:29 offset1:30
	ds_read2_b64 v[6:9], v4 offset0:31 offset1:32
	;; [unrolled: 1-line block ×8, first 2 shown]
	buffer_load_dword v99, off, s[0:3], 0 offset:156
	buffer_load_dword v98, off, s[0:3], 0 offset:152
	;; [unrolled: 1-line block ×4, first 2 shown]
	s_and_b64 vcc, exec, s[16:17]
	s_waitcnt vmcnt(41) lgkmcnt(7)
	v_mul_f32_e32 v88, v0, v5
	s_waitcnt vmcnt(40)
	v_mul_f32_e32 v89, v2, v108
	s_waitcnt vmcnt(39) lgkmcnt(6)
	v_mul_f32_e32 v90, v6, v110
	s_waitcnt vmcnt(38)
	v_mul_f32_e32 v91, v8, v112
	;; [unrolled: 4-line block ×7, first 2 shown]
	s_waitcnt vmcnt(27) lgkmcnt(0)
	v_mul_f32_e32 v109, v84, v130
	s_waitcnt vmcnt(26)
	v_fmac_f32_e32 v88, v1, v131
	s_waitcnt vmcnt(25)
	v_fmac_f32_e32 v89, v3, v132
	v_add_f32_e32 v88, 0, v88
	s_waitcnt vmcnt(24)
	v_fmac_f32_e32 v90, v7, v133
	v_add_f32_e32 v88, v88, v89
	;; [unrolled: 3-line block ×13, first 2 shown]
	v_add_f32_e32 v88, v88, v107
	buffer_load_dword v103, off, s[0:3], 0 offset:180
	buffer_load_dword v102, off, s[0:3], 0 offset:176
	;; [unrolled: 1-line block ×6, first 2 shown]
	s_waitcnt vmcnt(18)
	v_fmac_f32_e32 v109, v85, v145
	s_waitcnt vmcnt(17)
	v_mul_f32_e32 v93, v86, v146
	v_add_f32_e32 v92, v88, v109
	s_waitcnt vmcnt(16)
	v_fmac_f32_e32 v93, v87, v147
	ds_read2_b64 v[88:91], v4 offset0:45 offset1:46
	v_add_f32_e32 v109, v92, v93
	ds_read2_b64 v[92:95], v4 offset0:47 offset1:48
	buffer_load_dword v115, off, s[0:3], 0 offset:212
	buffer_load_dword v114, off, s[0:3], 0 offset:208
	;; [unrolled: 1-line block ×6, first 2 shown]
	v_mul_f32_e32 v1, v1, v5
	v_fma_f32 v0, v0, v131, -v1
	v_mul_f32_e32 v1, v3, v108
	v_add_f32_e32 v0, 0, v0
	v_fma_f32 v1, v2, v132, -v1
	v_add_f32_e32 v0, v0, v1
	v_mul_f32_e32 v1, v7, v110
	v_fma_f32 v1, v6, v133, -v1
	v_add_f32_e32 v0, v0, v1
	v_mul_f32_e32 v1, v9, v112
	v_fma_f32 v1, v8, v134, -v1
	v_add_f32_e32 v0, v0, v1
	v_mul_f32_e32 v1, v65, v120
	v_fma_f32 v1, v64, v135, -v1
	v_add_f32_e32 v0, v0, v1
	v_mul_f32_e32 v1, v67, v121
	v_fma_f32 v1, v66, v136, -v1
	v_add_f32_e32 v0, v0, v1
	v_mul_f32_e32 v1, v69, v122
	v_fma_f32 v1, v68, v137, -v1
	v_add_f32_e32 v0, v0, v1
	v_mul_f32_e32 v1, v71, v123
	v_fma_f32 v1, v70, v138, -v1
	v_add_f32_e32 v0, v0, v1
	v_mul_f32_e32 v1, v73, v124
	v_fma_f32 v1, v72, v139, -v1
	v_add_f32_e32 v0, v0, v1
	v_mul_f32_e32 v1, v75, v125
	v_fma_f32 v1, v74, v140, -v1
	v_add_f32_e32 v0, v0, v1
	v_mul_f32_e32 v1, v77, v126
	v_fma_f32 v1, v76, v141, -v1
	v_add_f32_e32 v0, v0, v1
	v_mul_f32_e32 v1, v79, v127
	v_fma_f32 v1, v78, v142, -v1
	v_add_f32_e32 v0, v0, v1
	v_mul_f32_e32 v1, v81, v128
	v_fma_f32 v1, v80, v143, -v1
	v_add_f32_e32 v0, v0, v1
	v_mul_f32_e32 v1, v83, v129
	v_fma_f32 v1, v82, v144, -v1
	v_add_f32_e32 v0, v0, v1
	v_mul_f32_e32 v1, v85, v130
	v_fma_f32 v1, v84, v145, -v1
	v_add_f32_e32 v0, v0, v1
	v_mul_f32_e32 v1, v87, v146
	v_fma_f32 v1, v86, v147, -v1
	s_waitcnt vmcnt(15)
	v_mov_b32_e32 v68, v99
	s_waitcnt lgkmcnt(1)
	v_mul_f32_e32 v111, v88, v148
	v_add_f32_e32 v108, v0, v1
	v_mul_f32_e32 v0, v89, v148
	s_waitcnt lgkmcnt(0)
	v_pk_mul_f32 v[68:69], v[92:93], v[68:69] op_sel_hi:[1,0]
	v_fmac_f32_e32 v111, v89, v149
	v_mul_f32_e32 v113, v90, v150
	v_fma_f32 v110, v88, v149, -v0
	v_mul_f32_e32 v0, v91, v150
	s_waitcnt vmcnt(14)
	v_pk_fma_f32 v[70:71], v[92:93], v[98:99], v[68:69] op_sel:[0,0,1] op_sel_hi:[1,1,0] neg_lo:[0,0,1] neg_hi:[0,0,1]
	v_pk_fma_f32 v[68:69], v[92:93], v[98:99], v[68:69] op_sel:[0,0,1] op_sel_hi:[1,0,0]
	v_fmac_f32_e32 v113, v91, v151
	v_fma_f32 v112, v90, v151, -v0
	ds_read2_b64 v[0:3], v4 offset0:49 offset1:50
	ds_read2_b64 v[6:9], v4 offset0:51 offset1:52
	;; [unrolled: 1-line block ×3, first 2 shown]
	v_pk_add_f32 v[4:5], v[108:109], v[110:111]
	v_pk_add_f32 v[4:5], v[4:5], v[112:113]
	v_mov_b32_e32 v71, v69
	v_pk_add_f32 v[4:5], v[4:5], v[70:71]
	s_waitcnt vmcnt(7)
	v_mov_b32_e32 v68, v107
	v_pk_mul_f32 v[68:69], v[94:95], v[68:69] op_sel_hi:[1,0]
	s_waitcnt vmcnt(6)
	v_pk_fma_f32 v[70:71], v[94:95], v[106:107], v[68:69] op_sel:[0,0,1] op_sel_hi:[1,1,0] neg_lo:[0,0,1] neg_hi:[0,0,1]
	v_pk_fma_f32 v[68:69], v[94:95], v[106:107], v[68:69] op_sel:[0,0,1] op_sel_hi:[1,0,0]
	v_mov_b32_e32 v68, v105
	v_mov_b32_e32 v71, v69
	s_waitcnt lgkmcnt(2)
	v_pk_mul_f32 v[68:69], v[0:1], v[68:69] op_sel_hi:[1,0]
	v_pk_add_f32 v[4:5], v[4:5], v[70:71]
	v_pk_fma_f32 v[70:71], v[0:1], v[104:105], v[68:69] op_sel:[0,0,1] op_sel_hi:[1,1,0] neg_lo:[0,0,1] neg_hi:[0,0,1]
	v_pk_fma_f32 v[0:1], v[0:1], v[104:105], v[68:69] op_sel:[0,0,1] op_sel_hi:[1,0,0]
	v_mov_b32_e32 v71, v1
	v_pk_add_f32 v[0:1], v[4:5], v[70:71]
	v_mov_b32_e32 v4, v103
	v_pk_mul_f32 v[4:5], v[2:3], v[4:5] op_sel_hi:[1,0]
	v_pk_fma_f32 v[68:69], v[2:3], v[102:103], v[4:5] op_sel:[0,0,1] op_sel_hi:[1,1,0] neg_lo:[0,0,1] neg_hi:[0,0,1]
	v_pk_fma_f32 v[2:3], v[2:3], v[102:103], v[4:5] op_sel:[0,0,1] op_sel_hi:[1,0,0]
	v_mov_b32_e32 v2, v101
	v_mov_b32_e32 v69, v3
	s_waitcnt lgkmcnt(1)
	v_pk_mul_f32 v[2:3], v[6:7], v[2:3] op_sel_hi:[1,0]
	v_pk_fma_f32 v[4:5], v[6:7], v[100:101], v[2:3] op_sel:[0,0,1] op_sel_hi:[1,1,0] neg_lo:[0,0,1] neg_hi:[0,0,1]
	v_pk_fma_f32 v[2:3], v[6:7], v[100:101], v[2:3] op_sel:[0,0,1] op_sel_hi:[1,0,0]
	s_waitcnt vmcnt(1)
	v_mov_b32_e32 v2, v119
	v_pk_add_f32 v[0:1], v[0:1], v[68:69]
	v_mov_b32_e32 v5, v3
	v_pk_mul_f32 v[2:3], v[8:9], v[2:3] op_sel_hi:[1,0]
	v_pk_add_f32 v[0:1], v[0:1], v[4:5]
	s_waitcnt vmcnt(0)
	v_pk_fma_f32 v[4:5], v[8:9], v[118:119], v[2:3] op_sel:[0,0,1] op_sel_hi:[1,1,0] neg_lo:[0,0,1] neg_hi:[0,0,1]
	v_pk_fma_f32 v[2:3], v[8:9], v[118:119], v[2:3] op_sel:[0,0,1] op_sel_hi:[1,0,0]
	v_mov_b32_e32 v2, v117
	v_mov_b32_e32 v5, v3
	s_waitcnt lgkmcnt(0)
	v_pk_mul_f32 v[2:3], v[64:65], v[2:3] op_sel_hi:[1,0]
	v_pk_add_f32 v[0:1], v[0:1], v[4:5]
	v_pk_fma_f32 v[4:5], v[64:65], v[116:117], v[2:3] op_sel:[0,0,1] op_sel_hi:[1,1,0] neg_lo:[0,0,1] neg_hi:[0,0,1]
	v_pk_fma_f32 v[2:3], v[64:65], v[116:117], v[2:3] op_sel:[0,0,1] op_sel_hi:[1,0,0]
	v_mov_b32_e32 v2, v115
	v_mov_b32_e32 v5, v3
	v_pk_mul_f32 v[2:3], v[66:67], v[2:3] op_sel_hi:[1,0]
	v_pk_add_f32 v[0:1], v[0:1], v[4:5]
	v_pk_fma_f32 v[4:5], v[66:67], v[114:115], v[2:3] op_sel:[0,0,1] op_sel_hi:[1,1,0] neg_lo:[0,0,1] neg_hi:[0,0,1]
	v_pk_fma_f32 v[2:3], v[66:67], v[114:115], v[2:3] op_sel:[0,0,1] op_sel_hi:[1,0,0]
	v_mov_b32_e32 v5, v3
	v_pk_add_f32 v[0:1], v[0:1], v[4:5]
	v_pk_add_f32 v[0:1], v[96:97], v[0:1] neg_lo:[0,1] neg_hi:[0,1]
	buffer_store_dword v1, off, s[0:3], 0 offset:4
	buffer_store_dword v0, off, s[0:3], 0
	s_cbranch_vccz .LBB90_229
; %bb.176:
	v_pk_mov_b32 v[0:1], s[10:11], s[10:11] op_sel:[0,1]
	flat_load_dword v0, v[0:1] offset:100
	s_waitcnt vmcnt(0) lgkmcnt(0)
	v_add_u32_e32 v0, -1, v0
	v_cmp_ne_u32_e32 vcc, 25, v0
	s_and_saveexec_b64 s[4:5], vcc
	s_cbranch_execz .LBB90_178
; %bb.177:
	v_mov_b32_e32 v1, 0
	v_lshl_add_u32 v0, v0, 3, v1
	buffer_load_dword v1, v0, s[0:3], 0 offen
	buffer_load_dword v2, v0, s[0:3], 0 offen offset:4
	buffer_load_dword v3, off, s[0:3], 0 offset:200
	buffer_load_dword v4, off, s[0:3], 0 offset:204
	s_waitcnt vmcnt(3)
	buffer_store_dword v1, off, s[0:3], 0 offset:200
	s_waitcnt vmcnt(3)
	buffer_store_dword v2, off, s[0:3], 0 offset:204
	s_waitcnt vmcnt(3)
	buffer_store_dword v3, v0, s[0:3], 0 offen
	s_waitcnt vmcnt(3)
	buffer_store_dword v4, v0, s[0:3], 0 offen offset:4
.LBB90_178:
	s_or_b64 exec, exec, s[4:5]
	v_pk_mov_b32 v[0:1], s[10:11], s[10:11] op_sel:[0,1]
	flat_load_dword v0, v[0:1] offset:96
	s_waitcnt vmcnt(0) lgkmcnt(0)
	v_add_u32_e32 v0, -1, v0
	v_cmp_ne_u32_e32 vcc, 24, v0
	s_and_saveexec_b64 s[4:5], vcc
	s_cbranch_execz .LBB90_180
; %bb.179:
	v_mov_b32_e32 v1, 0
	v_lshl_add_u32 v0, v0, 3, v1
	buffer_load_dword v1, v0, s[0:3], 0 offen
	buffer_load_dword v2, v0, s[0:3], 0 offen offset:4
	buffer_load_dword v3, off, s[0:3], 0 offset:196
	buffer_load_dword v4, off, s[0:3], 0 offset:192
	s_waitcnt vmcnt(3)
	buffer_store_dword v1, off, s[0:3], 0 offset:192
	s_waitcnt vmcnt(3)
	buffer_store_dword v2, off, s[0:3], 0 offset:196
	s_waitcnt vmcnt(3)
	buffer_store_dword v3, v0, s[0:3], 0 offen offset:4
	s_waitcnt vmcnt(3)
	buffer_store_dword v4, v0, s[0:3], 0 offen
.LBB90_180:
	s_or_b64 exec, exec, s[4:5]
	v_pk_mov_b32 v[0:1], s[10:11], s[10:11] op_sel:[0,1]
	flat_load_dword v0, v[0:1] offset:92
	s_waitcnt vmcnt(0) lgkmcnt(0)
	v_add_u32_e32 v0, -1, v0
	v_cmp_ne_u32_e32 vcc, 23, v0
	s_and_saveexec_b64 s[4:5], vcc
	s_cbranch_execz .LBB90_182
; %bb.181:
	v_mov_b32_e32 v1, 0
	v_lshl_add_u32 v0, v0, 3, v1
	buffer_load_dword v1, v0, s[0:3], 0 offen
	buffer_load_dword v2, v0, s[0:3], 0 offen offset:4
	buffer_load_dword v3, off, s[0:3], 0 offset:184
	buffer_load_dword v4, off, s[0:3], 0 offset:188
	s_waitcnt vmcnt(3)
	buffer_store_dword v1, off, s[0:3], 0 offset:184
	s_waitcnt vmcnt(3)
	buffer_store_dword v2, off, s[0:3], 0 offset:188
	s_waitcnt vmcnt(3)
	buffer_store_dword v3, v0, s[0:3], 0 offen
	s_waitcnt vmcnt(3)
	buffer_store_dword v4, v0, s[0:3], 0 offen offset:4
.LBB90_182:
	s_or_b64 exec, exec, s[4:5]
	v_pk_mov_b32 v[0:1], s[10:11], s[10:11] op_sel:[0,1]
	flat_load_dword v0, v[0:1] offset:88
	s_waitcnt vmcnt(0) lgkmcnt(0)
	v_add_u32_e32 v0, -1, v0
	v_cmp_ne_u32_e32 vcc, 22, v0
	s_and_saveexec_b64 s[4:5], vcc
	s_cbranch_execz .LBB90_184
; %bb.183:
	v_mov_b32_e32 v1, 0
	v_lshl_add_u32 v0, v0, 3, v1
	buffer_load_dword v1, v0, s[0:3], 0 offen
	buffer_load_dword v2, v0, s[0:3], 0 offen offset:4
	buffer_load_dword v3, off, s[0:3], 0 offset:180
	buffer_load_dword v4, off, s[0:3], 0 offset:176
	s_waitcnt vmcnt(3)
	buffer_store_dword v1, off, s[0:3], 0 offset:176
	s_waitcnt vmcnt(3)
	buffer_store_dword v2, off, s[0:3], 0 offset:180
	s_waitcnt vmcnt(3)
	buffer_store_dword v3, v0, s[0:3], 0 offen offset:4
	s_waitcnt vmcnt(3)
	buffer_store_dword v4, v0, s[0:3], 0 offen
.LBB90_184:
	s_or_b64 exec, exec, s[4:5]
	;; [unrolled: 48-line block ×12, first 2 shown]
	v_pk_mov_b32 v[0:1], s[10:11], s[10:11] op_sel:[0,1]
	flat_load_dword v0, v[0:1] offset:4
	s_waitcnt vmcnt(0) lgkmcnt(0)
	v_add_u32_e32 v0, -1, v0
	v_cmp_ne_u32_e32 vcc, 1, v0
	s_and_saveexec_b64 s[4:5], vcc
	s_cbranch_execz .LBB90_226
; %bb.225:
	v_mov_b32_e32 v1, 0
	v_lshl_add_u32 v0, v0, 3, v1
	buffer_load_dword v1, v0, s[0:3], 0 offen
	buffer_load_dword v2, v0, s[0:3], 0 offen offset:4
	buffer_load_dword v3, off, s[0:3], 0 offset:8
	buffer_load_dword v4, off, s[0:3], 0 offset:12
	s_waitcnt vmcnt(3)
	buffer_store_dword v1, off, s[0:3], 0 offset:8
	s_waitcnt vmcnt(3)
	buffer_store_dword v2, off, s[0:3], 0 offset:12
	s_waitcnt vmcnt(3)
	buffer_store_dword v3, v0, s[0:3], 0 offen
	s_waitcnt vmcnt(3)
	buffer_store_dword v4, v0, s[0:3], 0 offen offset:4
.LBB90_226:
	s_or_b64 exec, exec, s[4:5]
	v_pk_mov_b32 v[0:1], s[10:11], s[10:11] op_sel:[0,1]
	flat_load_dword v2, v[0:1]
	s_nop 0
	buffer_load_dword v0, off, s[0:3], 0
	buffer_load_dword v1, off, s[0:3], 0 offset:4
	s_waitcnt vmcnt(0) lgkmcnt(0)
	v_add_u32_e32 v2, -1, v2
	v_cmp_ne_u32_e32 vcc, 0, v2
	s_and_saveexec_b64 s[4:5], vcc
	s_cbranch_execz .LBB90_228
; %bb.227:
	v_mov_b32_e32 v3, 0
	v_lshl_add_u32 v2, v2, 3, v3
	buffer_load_dword v3, v2, s[0:3], 0 offen offset:4
	buffer_load_dword v4, v2, s[0:3], 0 offen
	s_waitcnt vmcnt(1)
	buffer_store_dword v3, off, s[0:3], 0 offset:4
	s_waitcnt vmcnt(1)
	buffer_store_dword v4, off, s[0:3], 0
	buffer_store_dword v1, v2, s[0:3], 0 offen offset:4
	buffer_store_dword v0, v2, s[0:3], 0 offen
	buffer_load_dword v0, off, s[0:3], 0
	s_nop 0
	buffer_load_dword v1, off, s[0:3], 0 offset:4
.LBB90_228:
	s_or_b64 exec, exec, s[4:5]
.LBB90_229:
	buffer_load_dword v2, off, s[0:3], 0 offset:8
	buffer_load_dword v3, off, s[0:3], 0 offset:12
	;; [unrolled: 1-line block ×52, first 2 shown]
	s_waitcnt vmcnt(52)
	global_store_dwordx2 v[10:11], v[0:1], off
	s_waitcnt vmcnt(51)
	global_store_dwordx2 v[56:57], v[2:3], off
	;; [unrolled: 2-line block ×27, first 2 shown]
	s_endpgm
	.section	.rodata,"a",@progbits
	.p2align	6, 0x0
	.amdhsa_kernel _ZN9rocsolver6v33100L18getri_kernel_smallILi27E19rocblas_complex_numIfEPKPS3_EEvT1_iilPiilS8_bb
		.amdhsa_group_segment_fixed_size 440
		.amdhsa_private_segment_fixed_size 224
		.amdhsa_kernarg_size 60
		.amdhsa_user_sgpr_count 8
		.amdhsa_user_sgpr_private_segment_buffer 1
		.amdhsa_user_sgpr_dispatch_ptr 0
		.amdhsa_user_sgpr_queue_ptr 0
		.amdhsa_user_sgpr_kernarg_segment_ptr 1
		.amdhsa_user_sgpr_dispatch_id 0
		.amdhsa_user_sgpr_flat_scratch_init 1
		.amdhsa_user_sgpr_kernarg_preload_length 0
		.amdhsa_user_sgpr_kernarg_preload_offset 0
		.amdhsa_user_sgpr_private_segment_size 0
		.amdhsa_uses_dynamic_stack 0
		.amdhsa_system_sgpr_private_segment_wavefront_offset 1
		.amdhsa_system_sgpr_workgroup_id_x 1
		.amdhsa_system_sgpr_workgroup_id_y 0
		.amdhsa_system_sgpr_workgroup_id_z 0
		.amdhsa_system_sgpr_workgroup_info 0
		.amdhsa_system_vgpr_workitem_id 0
		.amdhsa_next_free_vgpr 152
		.amdhsa_next_free_sgpr 22
		.amdhsa_accum_offset 152
		.amdhsa_reserve_vcc 1
		.amdhsa_reserve_flat_scratch 1
		.amdhsa_float_round_mode_32 0
		.amdhsa_float_round_mode_16_64 0
		.amdhsa_float_denorm_mode_32 3
		.amdhsa_float_denorm_mode_16_64 3
		.amdhsa_dx10_clamp 1
		.amdhsa_ieee_mode 1
		.amdhsa_fp16_overflow 0
		.amdhsa_tg_split 0
		.amdhsa_exception_fp_ieee_invalid_op 0
		.amdhsa_exception_fp_denorm_src 0
		.amdhsa_exception_fp_ieee_div_zero 0
		.amdhsa_exception_fp_ieee_overflow 0
		.amdhsa_exception_fp_ieee_underflow 0
		.amdhsa_exception_fp_ieee_inexact 0
		.amdhsa_exception_int_div_zero 0
	.end_amdhsa_kernel
	.section	.text._ZN9rocsolver6v33100L18getri_kernel_smallILi27E19rocblas_complex_numIfEPKPS3_EEvT1_iilPiilS8_bb,"axG",@progbits,_ZN9rocsolver6v33100L18getri_kernel_smallILi27E19rocblas_complex_numIfEPKPS3_EEvT1_iilPiilS8_bb,comdat
.Lfunc_end90:
	.size	_ZN9rocsolver6v33100L18getri_kernel_smallILi27E19rocblas_complex_numIfEPKPS3_EEvT1_iilPiilS8_bb, .Lfunc_end90-_ZN9rocsolver6v33100L18getri_kernel_smallILi27E19rocblas_complex_numIfEPKPS3_EEvT1_iilPiilS8_bb
                                        ; -- End function
	.section	.AMDGPU.csdata,"",@progbits
; Kernel info:
; codeLenInByte = 36908
; NumSgprs: 28
; NumVgprs: 152
; NumAgprs: 0
; TotalNumVgprs: 152
; ScratchSize: 224
; MemoryBound: 0
; FloatMode: 240
; IeeeMode: 1
; LDSByteSize: 440 bytes/workgroup (compile time only)
; SGPRBlocks: 3
; VGPRBlocks: 18
; NumSGPRsForWavesPerEU: 28
; NumVGPRsForWavesPerEU: 152
; AccumOffset: 152
; Occupancy: 3
; WaveLimiterHint : 1
; COMPUTE_PGM_RSRC2:SCRATCH_EN: 1
; COMPUTE_PGM_RSRC2:USER_SGPR: 8
; COMPUTE_PGM_RSRC2:TRAP_HANDLER: 0
; COMPUTE_PGM_RSRC2:TGID_X_EN: 1
; COMPUTE_PGM_RSRC2:TGID_Y_EN: 0
; COMPUTE_PGM_RSRC2:TGID_Z_EN: 0
; COMPUTE_PGM_RSRC2:TIDIG_COMP_CNT: 0
; COMPUTE_PGM_RSRC3_GFX90A:ACCUM_OFFSET: 37
; COMPUTE_PGM_RSRC3_GFX90A:TG_SPLIT: 0
	.section	.text._ZN9rocsolver6v33100L18getri_kernel_smallILi28E19rocblas_complex_numIfEPKPS3_EEvT1_iilPiilS8_bb,"axG",@progbits,_ZN9rocsolver6v33100L18getri_kernel_smallILi28E19rocblas_complex_numIfEPKPS3_EEvT1_iilPiilS8_bb,comdat
	.globl	_ZN9rocsolver6v33100L18getri_kernel_smallILi28E19rocblas_complex_numIfEPKPS3_EEvT1_iilPiilS8_bb ; -- Begin function _ZN9rocsolver6v33100L18getri_kernel_smallILi28E19rocblas_complex_numIfEPKPS3_EEvT1_iilPiilS8_bb
	.p2align	8
	.type	_ZN9rocsolver6v33100L18getri_kernel_smallILi28E19rocblas_complex_numIfEPKPS3_EEvT1_iilPiilS8_bb,@function
_ZN9rocsolver6v33100L18getri_kernel_smallILi28E19rocblas_complex_numIfEPKPS3_EEvT1_iilPiilS8_bb: ; @_ZN9rocsolver6v33100L18getri_kernel_smallILi28E19rocblas_complex_numIfEPKPS3_EEvT1_iilPiilS8_bb
; %bb.0:
	s_add_u32 flat_scratch_lo, s6, s9
	s_addc_u32 flat_scratch_hi, s7, 0
	s_add_u32 s0, s0, s9
	s_addc_u32 s1, s1, 0
	v_cmp_gt_u32_e32 vcc, 28, v0
	s_and_saveexec_b64 s[6:7], vcc
	s_cbranch_execz .LBB91_126
; %bb.1:
	s_load_dword s20, s[4:5], 0x38
	s_load_dwordx2 s[6:7], s[4:5], 0x0
	s_load_dwordx4 s[12:15], s[4:5], 0x28
	s_waitcnt lgkmcnt(0)
	s_bitcmp1_b32 s20, 8
	s_cselect_b64 s[16:17], -1, 0
	s_ashr_i32 s9, s8, 31
	s_lshl_b64 s[10:11], s[8:9], 3
	s_add_u32 s6, s6, s10
	s_addc_u32 s7, s7, s11
	s_load_dwordx2 s[18:19], s[6:7], 0x0
	s_bfe_u32 s6, s20, 0x10008
	s_cmp_eq_u32 s6, 0
                                        ; implicit-def: $sgpr10_sgpr11
	s_cbranch_scc1 .LBB91_3
; %bb.2:
	s_load_dword s6, s[4:5], 0x20
	s_load_dwordx2 s[10:11], s[4:5], 0x18
	s_mul_i32 s7, s8, s13
	s_mul_hi_u32 s13, s8, s12
	s_add_i32 s13, s13, s7
	s_mul_i32 s21, s9, s12
	s_add_i32 s13, s13, s21
	s_mul_i32 s12, s8, s12
	s_waitcnt lgkmcnt(0)
	s_ashr_i32 s7, s6, 31
	s_lshl_b64 s[12:13], s[12:13], 2
	s_add_u32 s10, s10, s12
	s_addc_u32 s11, s11, s13
	s_lshl_b64 s[6:7], s[6:7], 2
	s_add_u32 s10, s10, s6
	s_addc_u32 s11, s11, s7
.LBB91_3:
	s_load_dwordx2 s[6:7], s[4:5], 0x8
	v_lshlrev_b32_e32 v62, 3, v0
	s_waitcnt lgkmcnt(0)
	s_ashr_i32 s5, s6, 31
	s_mov_b32 s4, s6
	s_lshl_b64 s[4:5], s[4:5], 3
	s_add_u32 s4, s18, s4
	s_addc_u32 s5, s19, s5
	s_add_i32 s6, s7, s7
	v_add_u32_e32 v4, s6, v0
	v_ashrrev_i32_e32 v5, 31, v4
	v_lshlrev_b64 v[2:3], 3, v[4:5]
	v_add_u32_e32 v6, s7, v4
	v_mov_b32_e32 v5, s5
	v_add_co_u32_e32 v2, vcc, s4, v2
	v_ashrrev_i32_e32 v7, 31, v6
	v_addc_co_u32_e32 v3, vcc, v5, v3, vcc
	v_lshlrev_b64 v[4:5], 3, v[6:7]
	v_add_u32_e32 v8, s7, v6
	v_mov_b32_e32 v7, s5
	v_add_co_u32_e32 v4, vcc, s4, v4
	v_ashrrev_i32_e32 v9, 31, v8
	v_addc_co_u32_e32 v5, vcc, v7, v5, vcc
	;; [unrolled: 6-line block ×21, first 2 shown]
	v_lshlrev_b64 v[44:45], 3, v[46:47]
	v_mov_b32_e32 v47, s5
	v_add_co_u32_e32 v44, vcc, s4, v44
	v_addc_co_u32_e32 v45, vcc, v47, v45, vcc
	v_mov_b32_e32 v1, s5
	v_add_co_u32_e32 v48, vcc, s4, v62
	s_ashr_i32 s13, s7, 31
	s_mov_b32 s12, s7
	v_add_u32_e32 v52, s7, v46
	v_addc_co_u32_e32 v49, vcc, 0, v1, vcc
	s_lshl_b64 s[12:13], s[12:13], 3
	v_ashrrev_i32_e32 v53, 31, v52
	v_mov_b32_e32 v1, s13
	v_add_co_u32_e32 v50, vcc, s12, v48
	v_lshlrev_b64 v[46:47], 3, v[52:53]
	v_addc_co_u32_e32 v51, vcc, v49, v1, vcc
	v_add_u32_e32 v54, s7, v52
	v_mov_b32_e32 v53, s5
	v_add_co_u32_e32 v46, vcc, s4, v46
	v_ashrrev_i32_e32 v55, 31, v54
	v_addc_co_u32_e32 v47, vcc, v53, v47, vcc
	v_lshlrev_b64 v[52:53], 3, v[54:55]
	v_add_u32_e32 v56, s7, v54
	v_mov_b32_e32 v1, s5
	v_add_co_u32_e32 v52, vcc, s4, v52
	v_ashrrev_i32_e32 v57, 31, v56
	v_addc_co_u32_e32 v53, vcc, v1, v53, vcc
	v_lshlrev_b64 v[54:55], 3, v[56:57]
	v_add_co_u32_e32 v54, vcc, s4, v54
	global_load_dwordx2 v[58:59], v62, s[4:5]
	global_load_dwordx2 v[60:61], v[50:51], off
	global_load_dwordx2 v[64:65], v[2:3], off
	;; [unrolled: 1-line block ×18, first 2 shown]
	v_addc_co_u32_e32 v55, vcc, v1, v55, vcc
	global_load_dwordx2 v[98:99], v[36:37], off
	global_load_dwordx2 v[100:101], v[38:39], off
	;; [unrolled: 1-line block ×8, first 2 shown]
	v_add_u32_e32 v56, s7, v56
	v_ashrrev_i32_e32 v57, 31, v56
	v_lshlrev_b64 v[56:57], 3, v[56:57]
	v_add_co_u32_e32 v56, vcc, s4, v56
	v_addc_co_u32_e32 v57, vcc, v1, v57, vcc
	global_load_dwordx2 v[114:115], v[56:57], off
	s_bitcmp0_b32 s20, 0
	s_mov_b64 s[6:7], -1
	s_waitcnt vmcnt(27)
	buffer_store_dword v59, off, s[0:3], 0 offset:4
	buffer_store_dword v58, off, s[0:3], 0
	s_waitcnt vmcnt(28)
	buffer_store_dword v61, off, s[0:3], 0 offset:12
	buffer_store_dword v60, off, s[0:3], 0 offset:8
	s_waitcnt vmcnt(29)
	buffer_store_dword v65, off, s[0:3], 0 offset:20
	buffer_store_dword v64, off, s[0:3], 0 offset:16
	;; [unrolled: 3-line block ×27, first 2 shown]
	s_cbranch_scc1 .LBB91_124
; %bb.4:
	v_cmp_eq_u32_e64 s[4:5], 0, v0
	s_and_saveexec_b64 s[6:7], s[4:5]
	s_cbranch_execz .LBB91_6
; %bb.5:
	v_mov_b32_e32 v1, 0
	ds_write_b32 v1, v1 offset:448
.LBB91_6:
	s_or_b64 exec, exec, s[6:7]
	v_mov_b32_e32 v1, 0
	v_lshl_add_u32 v63, v0, 3, v1
	s_waitcnt lgkmcnt(0)
	; wave barrier
	s_waitcnt lgkmcnt(0)
	buffer_load_dword v1, v63, s[0:3], 0 offen
	buffer_load_dword v58, v63, s[0:3], 0 offen offset:4
	s_waitcnt vmcnt(1)
	v_cmp_eq_f32_e32 vcc, 0, v1
	s_waitcnt vmcnt(0)
	v_cmp_eq_f32_e64 s[6:7], 0, v58
	s_and_b64 s[6:7], vcc, s[6:7]
	s_and_saveexec_b64 s[12:13], s[6:7]
	s_cbranch_execz .LBB91_10
; %bb.7:
	v_mov_b32_e32 v1, 0
	ds_read_b32 v59, v1 offset:448
	v_add_u32_e32 v58, 1, v0
	s_waitcnt lgkmcnt(0)
	v_readfirstlane_b32 s6, v59
	s_cmp_eq_u32 s6, 0
	s_cselect_b64 s[18:19], -1, 0
	v_cmp_gt_i32_e32 vcc, s6, v58
	s_or_b64 s[18:19], s[18:19], vcc
	s_and_b64 exec, exec, s[18:19]
	s_cbranch_execz .LBB91_10
; %bb.8:
	s_mov_b64 s[18:19], 0
	v_mov_b32_e32 v59, s6
.LBB91_9:                               ; =>This Inner Loop Header: Depth=1
	ds_cmpst_rtn_b32 v59, v1, v59, v58 offset:448
	s_waitcnt lgkmcnt(0)
	v_cmp_ne_u32_e32 vcc, 0, v59
	v_cmp_le_i32_e64 s[6:7], v59, v58
	s_and_b64 s[6:7], vcc, s[6:7]
	s_and_b64 s[6:7], exec, s[6:7]
	s_or_b64 s[18:19], s[6:7], s[18:19]
	s_andn2_b64 exec, exec, s[18:19]
	s_cbranch_execnz .LBB91_9
.LBB91_10:
	s_or_b64 exec, exec, s[12:13]
	v_mov_b32_e32 v58, 0
	s_waitcnt lgkmcnt(0)
	; wave barrier
	ds_read_b32 v1, v58 offset:448
	s_and_saveexec_b64 s[6:7], s[4:5]
	s_cbranch_execz .LBB91_12
; %bb.11:
	s_lshl_b64 s[12:13], s[8:9], 2
	s_add_u32 s12, s14, s12
	s_addc_u32 s13, s15, s13
	s_waitcnt lgkmcnt(0)
	global_store_dword v58, v1, s[12:13]
.LBB91_12:
	s_or_b64 exec, exec, s[6:7]
	s_waitcnt lgkmcnt(0)
	v_cmp_ne_u32_e32 vcc, 0, v1
	s_mov_b64 s[6:7], 0
	s_cbranch_vccnz .LBB91_124
; %bb.13:
	buffer_load_dword v64, v63, s[0:3], 0 offen offset:4
	buffer_load_dword v59, v63, s[0:3], 0 offen
	s_waitcnt vmcnt(1)
	v_cmp_gt_f32_e32 vcc, 0, v64
	v_cndmask_b32_e64 v1, v64, -v64, vcc
	s_waitcnt vmcnt(0)
	v_cmp_gt_f32_e32 vcc, 0, v59
	v_cndmask_b32_e64 v58, v59, -v59, vcc
	v_cmp_ngt_f32_e32 vcc, v58, v1
                                        ; implicit-def: $vgpr1
                                        ; implicit-def: $vgpr58
	s_and_saveexec_b64 s[6:7], vcc
	s_xor_b64 s[6:7], exec, s[6:7]
                                        ; implicit-def: $vgpr60_vgpr61
	s_cbranch_execz .LBB91_15
; %bb.14:
	v_div_scale_f32 v1, s[12:13], v64, v64, v59
	v_rcp_f32_e32 v58, v1
	v_div_scale_f32 v60, vcc, v59, v64, v59
	v_fma_f32 v61, -v1, v58, 1.0
	v_fmac_f32_e32 v58, v61, v58
	v_mul_f32_e32 v61, v60, v58
	v_fma_f32 v65, -v1, v61, v60
	v_fmac_f32_e32 v61, v65, v58
	v_fma_f32 v1, -v1, v61, v60
	v_div_fmas_f32 v1, v1, v58, v61
	v_div_fixup_f32 v58, v1, v64, v59
	v_fmac_f32_e32 v64, v59, v58
	v_div_scale_f32 v1, s[12:13], v64, v64, -1.0
	v_rcp_f32_e32 v59, v1
	v_fma_f32 v60, -v1, v59, 1.0
	v_fmac_f32_e32 v59, v60, v59
	v_div_scale_f32 v60, vcc, -1.0, v64, -1.0
	v_mul_f32_e32 v61, v60, v59
	v_fma_f32 v65, -v1, v61, v60
	v_fmac_f32_e32 v61, v65, v59
	v_fma_f32 v1, -v1, v61, v60
	v_div_fmas_f32 v1, v1, v59, v61
	v_div_fixup_f32 v1, v1, v64, -1.0
	v_mul_f32_e32 v58, v58, v1
	v_xor_b32_e32 v60, 0x80000000, v58
                                        ; implicit-def: $vgpr59
                                        ; implicit-def: $vgpr64
.LBB91_15:
	s_andn2_saveexec_b64 s[6:7], s[6:7]
	s_cbranch_execz .LBB91_17
; %bb.16:
	v_div_scale_f32 v1, s[12:13], v59, v59, v64
	v_rcp_f32_e32 v58, v1
	v_div_scale_f32 v60, vcc, v64, v59, v64
	v_fma_f32 v61, -v1, v58, 1.0
	v_fmac_f32_e32 v58, v61, v58
	v_mul_f32_e32 v61, v60, v58
	v_fma_f32 v65, -v1, v61, v60
	v_fmac_f32_e32 v61, v65, v58
	v_fma_f32 v1, -v1, v61, v60
	v_div_fmas_f32 v1, v1, v58, v61
	v_div_fixup_f32 v1, v1, v59, v64
	v_fmac_f32_e32 v59, v64, v1
	v_div_scale_f32 v58, s[12:13], v59, v59, 1.0
	v_rcp_f32_e32 v60, v58
	v_fma_f32 v61, -v58, v60, 1.0
	v_fmac_f32_e32 v60, v61, v60
	v_div_scale_f32 v61, vcc, 1.0, v59, 1.0
	v_mul_f32_e32 v64, v61, v60
	v_fma_f32 v65, -v58, v64, v61
	v_fmac_f32_e32 v64, v65, v60
	v_fma_f32 v58, -v58, v64, v61
	v_div_fmas_f32 v58, v58, v60, v64
	v_div_fixup_f32 v60, v58, v59, 1.0
	v_xor_b32_e32 v58, 0x80000000, v60
	v_mul_f32_e64 v1, v1, -v60
.LBB91_17:
	s_or_b64 exec, exec, s[6:7]
	buffer_store_dword v1, v63, s[0:3], 0 offen offset:4
	buffer_store_dword v60, v63, s[0:3], 0 offen
	buffer_load_dword v61, off, s[0:3], 0 offset:12
	s_nop 0
	buffer_load_dword v60, off, s[0:3], 0 offset:8
	v_xor_b32_e32 v59, 0x80000000, v1
	v_add_u32_e32 v1, 0xe0, v62
	s_waitcnt vmcnt(0)
	ds_write2_b64 v62, v[58:59], v[60:61] offset1:28
	s_waitcnt lgkmcnt(0)
	; wave barrier
	s_waitcnt lgkmcnt(0)
	s_and_saveexec_b64 s[6:7], s[4:5]
	s_cbranch_execz .LBB91_19
; %bb.18:
	buffer_load_dword v64, v63, s[0:3], 0 offen offset:4
	buffer_load_dword v65, v63, s[0:3], 0 offen
	ds_read_b64 v[58:59], v1
	v_mov_b32_e32 v60, 0
	ds_read_b64 v[60:61], v60 offset:8
	s_waitcnt vmcnt(1) lgkmcnt(1)
	v_mul_f32_e32 v66, v59, v64
	v_mul_f32_e32 v64, v58, v64
	s_waitcnt vmcnt(0)
	v_fmac_f32_e32 v64, v59, v65
	v_fma_f32 v58, v58, v65, -v66
	v_add_f32_e32 v59, 0, v64
	v_add_f32_e32 v58, 0, v58
	s_waitcnt lgkmcnt(0)
	v_mul_f32_e32 v64, v59, v61
	v_mul_f32_e32 v61, v58, v61
	v_fma_f32 v58, v58, v60, -v64
	v_fmac_f32_e32 v61, v59, v60
	buffer_store_dword v58, off, s[0:3], 0 offset:8
	buffer_store_dword v61, off, s[0:3], 0 offset:12
.LBB91_19:
	s_or_b64 exec, exec, s[6:7]
	s_waitcnt lgkmcnt(0)
	; wave barrier
	buffer_load_dword v58, off, s[0:3], 0 offset:16
	buffer_load_dword v59, off, s[0:3], 0 offset:20
	v_cmp_gt_u32_e32 vcc, 2, v0
	s_waitcnt vmcnt(0)
	ds_write_b64 v1, v[58:59]
	s_waitcnt lgkmcnt(0)
	; wave barrier
	s_waitcnt lgkmcnt(0)
	s_and_saveexec_b64 s[6:7], vcc
	s_cbranch_execz .LBB91_23
; %bb.20:
	buffer_load_dword v60, v63, s[0:3], 0 offen offset:4
	buffer_load_dword v61, v63, s[0:3], 0 offen
	ds_read_b64 v[58:59], v1
	s_waitcnt vmcnt(1) lgkmcnt(0)
	v_mul_f32_e32 v63, v59, v60
	v_mul_f32_e32 v60, v58, v60
	s_waitcnt vmcnt(0)
	v_fma_f32 v58, v58, v61, -v63
	v_fmac_f32_e32 v60, v59, v61
	v_add_f32_e32 v59, 0, v58
	v_add_f32_e32 v58, 0, v60
	s_and_saveexec_b64 s[12:13], s[4:5]
	s_cbranch_execz .LBB91_22
; %bb.21:
	buffer_load_dword v63, off, s[0:3], 0 offset:12
	buffer_load_dword v64, off, s[0:3], 0 offset:8
	v_mov_b32_e32 v60, 0
	ds_read_b64 v[60:61], v60 offset:232
	s_waitcnt vmcnt(1) lgkmcnt(0)
	v_mul_f32_e32 v65, v60, v63
	v_mul_f32_e32 v63, v61, v63
	s_waitcnt vmcnt(0)
	v_fmac_f32_e32 v65, v61, v64
	v_fma_f32 v60, v60, v64, -v63
	v_add_f32_e32 v58, v58, v65
	v_add_f32_e32 v59, v59, v60
.LBB91_22:
	s_or_b64 exec, exec, s[12:13]
	v_mov_b32_e32 v60, 0
	ds_read_b64 v[60:61], v60 offset:16
	s_waitcnt lgkmcnt(0)
	v_mul_f32_e32 v63, v58, v61
	v_mul_f32_e32 v61, v59, v61
	v_fma_f32 v59, v59, v60, -v63
	v_fmac_f32_e32 v61, v58, v60
	buffer_store_dword v59, off, s[0:3], 0 offset:16
	buffer_store_dword v61, off, s[0:3], 0 offset:20
.LBB91_23:
	s_or_b64 exec, exec, s[6:7]
	s_waitcnt lgkmcnt(0)
	; wave barrier
	buffer_load_dword v58, off, s[0:3], 0 offset:24
	buffer_load_dword v59, off, s[0:3], 0 offset:28
	v_cmp_gt_u32_e32 vcc, 3, v0
	s_waitcnt vmcnt(0)
	ds_write_b64 v1, v[58:59]
	v_add_u32_e32 v58, -1, v0
	s_waitcnt lgkmcnt(0)
	; wave barrier
	s_waitcnt lgkmcnt(0)
	s_and_saveexec_b64 s[4:5], vcc
	s_cbranch_execz .LBB91_27
; %bb.24:
	v_add_u32_e32 v60, -1, v0
	v_add_u32_e32 v61, 0xe0, v62
	v_add_u32_e32 v63, 0, v62
	s_mov_b64 s[6:7], 0
	v_mov_b32_e32 v59, 0
	v_mov_b32_e32 v64, 0
.LBB91_25:                              ; =>This Inner Loop Header: Depth=1
	buffer_load_dword v65, v63, s[0:3], 0 offen offset:4
	buffer_load_dword v68, v63, s[0:3], 0 offen
	ds_read_b64 v[66:67], v61
	v_add_u32_e32 v60, 1, v60
	v_cmp_lt_u32_e32 vcc, 1, v60
	v_add_u32_e32 v61, 8, v61
	v_add_u32_e32 v63, 8, v63
	s_or_b64 s[6:7], vcc, s[6:7]
	s_waitcnt vmcnt(1) lgkmcnt(0)
	v_mul_f32_e32 v69, v67, v65
	v_mul_f32_e32 v65, v66, v65
	s_waitcnt vmcnt(0)
	v_fma_f32 v66, v66, v68, -v69
	v_fmac_f32_e32 v65, v67, v68
	v_add_f32_e32 v64, v64, v66
	v_add_f32_e32 v59, v59, v65
	s_andn2_b64 exec, exec, s[6:7]
	s_cbranch_execnz .LBB91_25
; %bb.26:
	s_or_b64 exec, exec, s[6:7]
	v_mov_b32_e32 v60, 0
	ds_read_b64 v[60:61], v60 offset:24
	s_waitcnt lgkmcnt(0)
	v_mul_f32_e32 v63, v59, v61
	v_mul_f32_e32 v61, v64, v61
	v_fma_f32 v63, v64, v60, -v63
	v_fmac_f32_e32 v61, v59, v60
	buffer_store_dword v63, off, s[0:3], 0 offset:24
	buffer_store_dword v61, off, s[0:3], 0 offset:28
.LBB91_27:
	s_or_b64 exec, exec, s[4:5]
	s_waitcnt lgkmcnt(0)
	; wave barrier
	buffer_load_dword v60, off, s[0:3], 0 offset:32
	buffer_load_dword v61, off, s[0:3], 0 offset:36
	v_cmp_gt_u32_e32 vcc, 4, v0
	s_waitcnt vmcnt(0)
	ds_write_b64 v1, v[60:61]
	s_waitcnt lgkmcnt(0)
	; wave barrier
	s_waitcnt lgkmcnt(0)
	s_and_saveexec_b64 s[4:5], vcc
	s_cbranch_execz .LBB91_31
; %bb.28:
	v_add_u32_e32 v60, -1, v0
	v_add_u32_e32 v61, 0xe0, v62
	v_add_u32_e32 v63, 0, v62
	s_mov_b64 s[6:7], 0
	v_mov_b32_e32 v59, 0
	v_mov_b32_e32 v64, 0
.LBB91_29:                              ; =>This Inner Loop Header: Depth=1
	buffer_load_dword v65, v63, s[0:3], 0 offen offset:4
	buffer_load_dword v68, v63, s[0:3], 0 offen
	ds_read_b64 v[66:67], v61
	v_add_u32_e32 v60, 1, v60
	v_cmp_lt_u32_e32 vcc, 2, v60
	v_add_u32_e32 v61, 8, v61
	v_add_u32_e32 v63, 8, v63
	s_or_b64 s[6:7], vcc, s[6:7]
	s_waitcnt vmcnt(1) lgkmcnt(0)
	v_mul_f32_e32 v69, v67, v65
	v_mul_f32_e32 v65, v66, v65
	s_waitcnt vmcnt(0)
	v_fma_f32 v66, v66, v68, -v69
	v_fmac_f32_e32 v65, v67, v68
	v_add_f32_e32 v64, v64, v66
	v_add_f32_e32 v59, v59, v65
	s_andn2_b64 exec, exec, s[6:7]
	s_cbranch_execnz .LBB91_29
; %bb.30:
	s_or_b64 exec, exec, s[6:7]
	v_mov_b32_e32 v60, 0
	ds_read_b64 v[60:61], v60 offset:32
	s_waitcnt lgkmcnt(0)
	v_mul_f32_e32 v63, v59, v61
	v_mul_f32_e32 v61, v64, v61
	v_fma_f32 v63, v64, v60, -v63
	v_fmac_f32_e32 v61, v59, v60
	buffer_store_dword v63, off, s[0:3], 0 offset:32
	buffer_store_dword v61, off, s[0:3], 0 offset:36
.LBB91_31:
	s_or_b64 exec, exec, s[4:5]
	s_waitcnt lgkmcnt(0)
	; wave barrier
	buffer_load_dword v60, off, s[0:3], 0 offset:40
	buffer_load_dword v61, off, s[0:3], 0 offset:44
	v_cmp_gt_u32_e32 vcc, 5, v0
	s_waitcnt vmcnt(0)
	ds_write_b64 v1, v[60:61]
	s_waitcnt lgkmcnt(0)
	; wave barrier
	s_waitcnt lgkmcnt(0)
	s_and_saveexec_b64 s[4:5], vcc
	s_cbranch_execz .LBB91_35
; %bb.32:
	v_add_u32_e32 v60, -1, v0
	v_add_u32_e32 v61, 0xe0, v62
	v_add_u32_e32 v63, 0, v62
	s_mov_b64 s[6:7], 0
	v_mov_b32_e32 v59, 0
	v_mov_b32_e32 v64, 0
.LBB91_33:                              ; =>This Inner Loop Header: Depth=1
	buffer_load_dword v65, v63, s[0:3], 0 offen offset:4
	buffer_load_dword v68, v63, s[0:3], 0 offen
	ds_read_b64 v[66:67], v61
	v_add_u32_e32 v60, 1, v60
	v_cmp_lt_u32_e32 vcc, 3, v60
	v_add_u32_e32 v61, 8, v61
	v_add_u32_e32 v63, 8, v63
	s_or_b64 s[6:7], vcc, s[6:7]
	s_waitcnt vmcnt(1) lgkmcnt(0)
	v_mul_f32_e32 v69, v67, v65
	v_mul_f32_e32 v65, v66, v65
	s_waitcnt vmcnt(0)
	v_fma_f32 v66, v66, v68, -v69
	v_fmac_f32_e32 v65, v67, v68
	v_add_f32_e32 v64, v64, v66
	v_add_f32_e32 v59, v59, v65
	s_andn2_b64 exec, exec, s[6:7]
	s_cbranch_execnz .LBB91_33
; %bb.34:
	s_or_b64 exec, exec, s[6:7]
	v_mov_b32_e32 v60, 0
	ds_read_b64 v[60:61], v60 offset:40
	s_waitcnt lgkmcnt(0)
	v_mul_f32_e32 v63, v59, v61
	v_mul_f32_e32 v61, v64, v61
	v_fma_f32 v63, v64, v60, -v63
	v_fmac_f32_e32 v61, v59, v60
	buffer_store_dword v63, off, s[0:3], 0 offset:40
	buffer_store_dword v61, off, s[0:3], 0 offset:44
.LBB91_35:
	s_or_b64 exec, exec, s[4:5]
	s_waitcnt lgkmcnt(0)
	; wave barrier
	buffer_load_dword v60, off, s[0:3], 0 offset:48
	buffer_load_dword v61, off, s[0:3], 0 offset:52
	v_cmp_gt_u32_e32 vcc, 6, v0
	s_waitcnt vmcnt(0)
	ds_write_b64 v1, v[60:61]
	s_waitcnt lgkmcnt(0)
	; wave barrier
	s_waitcnt lgkmcnt(0)
	s_and_saveexec_b64 s[4:5], vcc
	s_cbranch_execz .LBB91_39
; %bb.36:
	v_add_u32_e32 v60, -1, v0
	v_add_u32_e32 v61, 0xe0, v62
	v_add_u32_e32 v63, 0, v62
	s_mov_b64 s[6:7], 0
	v_mov_b32_e32 v59, 0
	v_mov_b32_e32 v64, 0
.LBB91_37:                              ; =>This Inner Loop Header: Depth=1
	buffer_load_dword v65, v63, s[0:3], 0 offen offset:4
	buffer_load_dword v68, v63, s[0:3], 0 offen
	ds_read_b64 v[66:67], v61
	v_add_u32_e32 v60, 1, v60
	v_cmp_lt_u32_e32 vcc, 4, v60
	v_add_u32_e32 v61, 8, v61
	v_add_u32_e32 v63, 8, v63
	s_or_b64 s[6:7], vcc, s[6:7]
	s_waitcnt vmcnt(1) lgkmcnt(0)
	v_mul_f32_e32 v69, v67, v65
	v_mul_f32_e32 v65, v66, v65
	s_waitcnt vmcnt(0)
	v_fma_f32 v66, v66, v68, -v69
	v_fmac_f32_e32 v65, v67, v68
	v_add_f32_e32 v64, v64, v66
	v_add_f32_e32 v59, v59, v65
	s_andn2_b64 exec, exec, s[6:7]
	s_cbranch_execnz .LBB91_37
; %bb.38:
	s_or_b64 exec, exec, s[6:7]
	v_mov_b32_e32 v60, 0
	ds_read_b64 v[60:61], v60 offset:48
	s_waitcnt lgkmcnt(0)
	v_mul_f32_e32 v63, v59, v61
	v_mul_f32_e32 v61, v64, v61
	v_fma_f32 v63, v64, v60, -v63
	v_fmac_f32_e32 v61, v59, v60
	buffer_store_dword v63, off, s[0:3], 0 offset:48
	buffer_store_dword v61, off, s[0:3], 0 offset:52
.LBB91_39:
	s_or_b64 exec, exec, s[4:5]
	s_waitcnt lgkmcnt(0)
	; wave barrier
	buffer_load_dword v60, off, s[0:3], 0 offset:56
	buffer_load_dword v61, off, s[0:3], 0 offset:60
	v_cmp_gt_u32_e32 vcc, 7, v0
	s_waitcnt vmcnt(0)
	ds_write_b64 v1, v[60:61]
	s_waitcnt lgkmcnt(0)
	; wave barrier
	s_waitcnt lgkmcnt(0)
	s_and_saveexec_b64 s[4:5], vcc
	s_cbranch_execz .LBB91_43
; %bb.40:
	v_add_u32_e32 v60, -1, v0
	v_add_u32_e32 v61, 0xe0, v62
	v_add_u32_e32 v63, 0, v62
	s_mov_b64 s[6:7], 0
	v_mov_b32_e32 v59, 0
	v_mov_b32_e32 v64, 0
.LBB91_41:                              ; =>This Inner Loop Header: Depth=1
	buffer_load_dword v65, v63, s[0:3], 0 offen offset:4
	buffer_load_dword v68, v63, s[0:3], 0 offen
	ds_read_b64 v[66:67], v61
	v_add_u32_e32 v60, 1, v60
	v_cmp_lt_u32_e32 vcc, 5, v60
	v_add_u32_e32 v61, 8, v61
	v_add_u32_e32 v63, 8, v63
	s_or_b64 s[6:7], vcc, s[6:7]
	s_waitcnt vmcnt(1) lgkmcnt(0)
	v_mul_f32_e32 v69, v67, v65
	v_mul_f32_e32 v65, v66, v65
	s_waitcnt vmcnt(0)
	v_fma_f32 v66, v66, v68, -v69
	v_fmac_f32_e32 v65, v67, v68
	v_add_f32_e32 v64, v64, v66
	v_add_f32_e32 v59, v59, v65
	s_andn2_b64 exec, exec, s[6:7]
	s_cbranch_execnz .LBB91_41
; %bb.42:
	s_or_b64 exec, exec, s[6:7]
	v_mov_b32_e32 v60, 0
	ds_read_b64 v[60:61], v60 offset:56
	s_waitcnt lgkmcnt(0)
	v_mul_f32_e32 v63, v59, v61
	v_mul_f32_e32 v61, v64, v61
	v_fma_f32 v63, v64, v60, -v63
	v_fmac_f32_e32 v61, v59, v60
	buffer_store_dword v63, off, s[0:3], 0 offset:56
	buffer_store_dword v61, off, s[0:3], 0 offset:60
.LBB91_43:
	s_or_b64 exec, exec, s[4:5]
	s_waitcnt lgkmcnt(0)
	; wave barrier
	buffer_load_dword v60, off, s[0:3], 0 offset:64
	buffer_load_dword v61, off, s[0:3], 0 offset:68
	v_cmp_gt_u32_e32 vcc, 8, v0
	s_waitcnt vmcnt(0)
	ds_write_b64 v1, v[60:61]
	s_waitcnt lgkmcnt(0)
	; wave barrier
	s_waitcnt lgkmcnt(0)
	s_and_saveexec_b64 s[4:5], vcc
	s_cbranch_execz .LBB91_47
; %bb.44:
	v_add_u32_e32 v60, -1, v0
	v_add_u32_e32 v61, 0xe0, v62
	v_add_u32_e32 v63, 0, v62
	s_mov_b64 s[6:7], 0
	v_mov_b32_e32 v59, 0
	v_mov_b32_e32 v64, 0
.LBB91_45:                              ; =>This Inner Loop Header: Depth=1
	buffer_load_dword v65, v63, s[0:3], 0 offen offset:4
	buffer_load_dword v68, v63, s[0:3], 0 offen
	ds_read_b64 v[66:67], v61
	v_add_u32_e32 v60, 1, v60
	v_cmp_lt_u32_e32 vcc, 6, v60
	v_add_u32_e32 v61, 8, v61
	v_add_u32_e32 v63, 8, v63
	s_or_b64 s[6:7], vcc, s[6:7]
	s_waitcnt vmcnt(1) lgkmcnt(0)
	v_mul_f32_e32 v69, v67, v65
	v_mul_f32_e32 v65, v66, v65
	s_waitcnt vmcnt(0)
	v_fma_f32 v66, v66, v68, -v69
	v_fmac_f32_e32 v65, v67, v68
	v_add_f32_e32 v64, v64, v66
	v_add_f32_e32 v59, v59, v65
	s_andn2_b64 exec, exec, s[6:7]
	s_cbranch_execnz .LBB91_45
; %bb.46:
	s_or_b64 exec, exec, s[6:7]
	v_mov_b32_e32 v60, 0
	ds_read_b64 v[60:61], v60 offset:64
	s_waitcnt lgkmcnt(0)
	v_mul_f32_e32 v63, v59, v61
	v_mul_f32_e32 v61, v64, v61
	v_fma_f32 v63, v64, v60, -v63
	v_fmac_f32_e32 v61, v59, v60
	buffer_store_dword v63, off, s[0:3], 0 offset:64
	buffer_store_dword v61, off, s[0:3], 0 offset:68
.LBB91_47:
	s_or_b64 exec, exec, s[4:5]
	s_waitcnt lgkmcnt(0)
	; wave barrier
	buffer_load_dword v60, off, s[0:3], 0 offset:72
	buffer_load_dword v61, off, s[0:3], 0 offset:76
	v_cmp_gt_u32_e32 vcc, 9, v0
	s_waitcnt vmcnt(0)
	ds_write_b64 v1, v[60:61]
	s_waitcnt lgkmcnt(0)
	; wave barrier
	s_waitcnt lgkmcnt(0)
	s_and_saveexec_b64 s[4:5], vcc
	s_cbranch_execz .LBB91_51
; %bb.48:
	v_add_u32_e32 v60, -1, v0
	v_add_u32_e32 v61, 0xe0, v62
	v_add_u32_e32 v63, 0, v62
	s_mov_b64 s[6:7], 0
	v_mov_b32_e32 v59, 0
	v_mov_b32_e32 v64, 0
.LBB91_49:                              ; =>This Inner Loop Header: Depth=1
	buffer_load_dword v65, v63, s[0:3], 0 offen offset:4
	buffer_load_dword v68, v63, s[0:3], 0 offen
	ds_read_b64 v[66:67], v61
	v_add_u32_e32 v60, 1, v60
	v_cmp_lt_u32_e32 vcc, 7, v60
	v_add_u32_e32 v61, 8, v61
	v_add_u32_e32 v63, 8, v63
	s_or_b64 s[6:7], vcc, s[6:7]
	s_waitcnt vmcnt(1) lgkmcnt(0)
	v_mul_f32_e32 v69, v67, v65
	v_mul_f32_e32 v65, v66, v65
	s_waitcnt vmcnt(0)
	v_fma_f32 v66, v66, v68, -v69
	v_fmac_f32_e32 v65, v67, v68
	v_add_f32_e32 v64, v64, v66
	v_add_f32_e32 v59, v59, v65
	s_andn2_b64 exec, exec, s[6:7]
	s_cbranch_execnz .LBB91_49
; %bb.50:
	s_or_b64 exec, exec, s[6:7]
	v_mov_b32_e32 v60, 0
	ds_read_b64 v[60:61], v60 offset:72
	s_waitcnt lgkmcnt(0)
	v_mul_f32_e32 v63, v59, v61
	v_mul_f32_e32 v61, v64, v61
	v_fma_f32 v63, v64, v60, -v63
	v_fmac_f32_e32 v61, v59, v60
	buffer_store_dword v63, off, s[0:3], 0 offset:72
	buffer_store_dword v61, off, s[0:3], 0 offset:76
.LBB91_51:
	s_or_b64 exec, exec, s[4:5]
	s_waitcnt lgkmcnt(0)
	; wave barrier
	buffer_load_dword v60, off, s[0:3], 0 offset:80
	buffer_load_dword v61, off, s[0:3], 0 offset:84
	v_cmp_gt_u32_e32 vcc, 10, v0
	s_waitcnt vmcnt(0)
	ds_write_b64 v1, v[60:61]
	s_waitcnt lgkmcnt(0)
	; wave barrier
	s_waitcnt lgkmcnt(0)
	s_and_saveexec_b64 s[4:5], vcc
	s_cbranch_execz .LBB91_55
; %bb.52:
	v_add_u32_e32 v60, -1, v0
	v_add_u32_e32 v61, 0xe0, v62
	v_add_u32_e32 v63, 0, v62
	s_mov_b64 s[6:7], 0
	v_mov_b32_e32 v59, 0
	v_mov_b32_e32 v64, 0
.LBB91_53:                              ; =>This Inner Loop Header: Depth=1
	buffer_load_dword v65, v63, s[0:3], 0 offen offset:4
	buffer_load_dword v68, v63, s[0:3], 0 offen
	ds_read_b64 v[66:67], v61
	v_add_u32_e32 v60, 1, v60
	v_cmp_lt_u32_e32 vcc, 8, v60
	v_add_u32_e32 v61, 8, v61
	v_add_u32_e32 v63, 8, v63
	s_or_b64 s[6:7], vcc, s[6:7]
	s_waitcnt vmcnt(1) lgkmcnt(0)
	v_mul_f32_e32 v69, v67, v65
	v_mul_f32_e32 v65, v66, v65
	s_waitcnt vmcnt(0)
	v_fma_f32 v66, v66, v68, -v69
	v_fmac_f32_e32 v65, v67, v68
	v_add_f32_e32 v64, v64, v66
	v_add_f32_e32 v59, v59, v65
	s_andn2_b64 exec, exec, s[6:7]
	s_cbranch_execnz .LBB91_53
; %bb.54:
	s_or_b64 exec, exec, s[6:7]
	v_mov_b32_e32 v60, 0
	ds_read_b64 v[60:61], v60 offset:80
	s_waitcnt lgkmcnt(0)
	v_mul_f32_e32 v63, v59, v61
	v_mul_f32_e32 v61, v64, v61
	v_fma_f32 v63, v64, v60, -v63
	v_fmac_f32_e32 v61, v59, v60
	buffer_store_dword v63, off, s[0:3], 0 offset:80
	buffer_store_dword v61, off, s[0:3], 0 offset:84
.LBB91_55:
	s_or_b64 exec, exec, s[4:5]
	s_waitcnt lgkmcnt(0)
	; wave barrier
	buffer_load_dword v60, off, s[0:3], 0 offset:88
	buffer_load_dword v61, off, s[0:3], 0 offset:92
	v_cmp_gt_u32_e32 vcc, 11, v0
	s_waitcnt vmcnt(0)
	ds_write_b64 v1, v[60:61]
	s_waitcnt lgkmcnt(0)
	; wave barrier
	s_waitcnt lgkmcnt(0)
	s_and_saveexec_b64 s[4:5], vcc
	s_cbranch_execz .LBB91_59
; %bb.56:
	v_add_u32_e32 v60, -1, v0
	v_add_u32_e32 v61, 0xe0, v62
	v_add_u32_e32 v63, 0, v62
	s_mov_b64 s[6:7], 0
	v_mov_b32_e32 v59, 0
	v_mov_b32_e32 v64, 0
.LBB91_57:                              ; =>This Inner Loop Header: Depth=1
	buffer_load_dword v65, v63, s[0:3], 0 offen offset:4
	buffer_load_dword v68, v63, s[0:3], 0 offen
	ds_read_b64 v[66:67], v61
	v_add_u32_e32 v60, 1, v60
	v_cmp_lt_u32_e32 vcc, 9, v60
	v_add_u32_e32 v61, 8, v61
	v_add_u32_e32 v63, 8, v63
	s_or_b64 s[6:7], vcc, s[6:7]
	s_waitcnt vmcnt(1) lgkmcnt(0)
	v_mul_f32_e32 v69, v67, v65
	v_mul_f32_e32 v65, v66, v65
	s_waitcnt vmcnt(0)
	v_fma_f32 v66, v66, v68, -v69
	v_fmac_f32_e32 v65, v67, v68
	v_add_f32_e32 v64, v64, v66
	v_add_f32_e32 v59, v59, v65
	s_andn2_b64 exec, exec, s[6:7]
	s_cbranch_execnz .LBB91_57
; %bb.58:
	s_or_b64 exec, exec, s[6:7]
	v_mov_b32_e32 v60, 0
	ds_read_b64 v[60:61], v60 offset:88
	s_waitcnt lgkmcnt(0)
	v_mul_f32_e32 v63, v59, v61
	v_mul_f32_e32 v61, v64, v61
	v_fma_f32 v63, v64, v60, -v63
	v_fmac_f32_e32 v61, v59, v60
	buffer_store_dword v63, off, s[0:3], 0 offset:88
	buffer_store_dword v61, off, s[0:3], 0 offset:92
.LBB91_59:
	s_or_b64 exec, exec, s[4:5]
	s_waitcnt lgkmcnt(0)
	; wave barrier
	buffer_load_dword v60, off, s[0:3], 0 offset:96
	buffer_load_dword v61, off, s[0:3], 0 offset:100
	v_cmp_gt_u32_e32 vcc, 12, v0
	s_waitcnt vmcnt(0)
	ds_write_b64 v1, v[60:61]
	s_waitcnt lgkmcnt(0)
	; wave barrier
	s_waitcnt lgkmcnt(0)
	s_and_saveexec_b64 s[4:5], vcc
	s_cbranch_execz .LBB91_63
; %bb.60:
	v_add_u32_e32 v60, -1, v0
	v_add_u32_e32 v61, 0xe0, v62
	v_add_u32_e32 v63, 0, v62
	s_mov_b64 s[6:7], 0
	v_mov_b32_e32 v59, 0
	v_mov_b32_e32 v64, 0
.LBB91_61:                              ; =>This Inner Loop Header: Depth=1
	buffer_load_dword v65, v63, s[0:3], 0 offen offset:4
	buffer_load_dword v68, v63, s[0:3], 0 offen
	ds_read_b64 v[66:67], v61
	v_add_u32_e32 v60, 1, v60
	v_cmp_lt_u32_e32 vcc, 10, v60
	v_add_u32_e32 v61, 8, v61
	v_add_u32_e32 v63, 8, v63
	s_or_b64 s[6:7], vcc, s[6:7]
	s_waitcnt vmcnt(1) lgkmcnt(0)
	v_mul_f32_e32 v69, v67, v65
	v_mul_f32_e32 v65, v66, v65
	s_waitcnt vmcnt(0)
	v_fma_f32 v66, v66, v68, -v69
	v_fmac_f32_e32 v65, v67, v68
	v_add_f32_e32 v64, v64, v66
	v_add_f32_e32 v59, v59, v65
	s_andn2_b64 exec, exec, s[6:7]
	s_cbranch_execnz .LBB91_61
; %bb.62:
	s_or_b64 exec, exec, s[6:7]
	v_mov_b32_e32 v60, 0
	ds_read_b64 v[60:61], v60 offset:96
	s_waitcnt lgkmcnt(0)
	v_mul_f32_e32 v63, v59, v61
	v_mul_f32_e32 v61, v64, v61
	v_fma_f32 v63, v64, v60, -v63
	v_fmac_f32_e32 v61, v59, v60
	buffer_store_dword v63, off, s[0:3], 0 offset:96
	buffer_store_dword v61, off, s[0:3], 0 offset:100
.LBB91_63:
	s_or_b64 exec, exec, s[4:5]
	s_waitcnt lgkmcnt(0)
	; wave barrier
	buffer_load_dword v60, off, s[0:3], 0 offset:104
	buffer_load_dword v61, off, s[0:3], 0 offset:108
	v_cmp_gt_u32_e32 vcc, 13, v0
	s_waitcnt vmcnt(0)
	ds_write_b64 v1, v[60:61]
	s_waitcnt lgkmcnt(0)
	; wave barrier
	s_waitcnt lgkmcnt(0)
	s_and_saveexec_b64 s[4:5], vcc
	s_cbranch_execz .LBB91_67
; %bb.64:
	v_add_u32_e32 v60, -1, v0
	v_add_u32_e32 v61, 0xe0, v62
	v_add_u32_e32 v63, 0, v62
	s_mov_b64 s[6:7], 0
	v_mov_b32_e32 v59, 0
	v_mov_b32_e32 v64, 0
.LBB91_65:                              ; =>This Inner Loop Header: Depth=1
	buffer_load_dword v65, v63, s[0:3], 0 offen offset:4
	buffer_load_dword v68, v63, s[0:3], 0 offen
	ds_read_b64 v[66:67], v61
	v_add_u32_e32 v60, 1, v60
	v_cmp_lt_u32_e32 vcc, 11, v60
	v_add_u32_e32 v61, 8, v61
	v_add_u32_e32 v63, 8, v63
	s_or_b64 s[6:7], vcc, s[6:7]
	s_waitcnt vmcnt(1) lgkmcnt(0)
	v_mul_f32_e32 v69, v67, v65
	v_mul_f32_e32 v65, v66, v65
	s_waitcnt vmcnt(0)
	v_fma_f32 v66, v66, v68, -v69
	v_fmac_f32_e32 v65, v67, v68
	v_add_f32_e32 v64, v64, v66
	v_add_f32_e32 v59, v59, v65
	s_andn2_b64 exec, exec, s[6:7]
	s_cbranch_execnz .LBB91_65
; %bb.66:
	s_or_b64 exec, exec, s[6:7]
	v_mov_b32_e32 v60, 0
	ds_read_b64 v[60:61], v60 offset:104
	s_waitcnt lgkmcnt(0)
	v_mul_f32_e32 v63, v59, v61
	v_mul_f32_e32 v61, v64, v61
	v_fma_f32 v63, v64, v60, -v63
	v_fmac_f32_e32 v61, v59, v60
	buffer_store_dword v63, off, s[0:3], 0 offset:104
	buffer_store_dword v61, off, s[0:3], 0 offset:108
.LBB91_67:
	s_or_b64 exec, exec, s[4:5]
	s_waitcnt lgkmcnt(0)
	; wave barrier
	buffer_load_dword v60, off, s[0:3], 0 offset:112
	buffer_load_dword v61, off, s[0:3], 0 offset:116
	v_cmp_gt_u32_e32 vcc, 14, v0
	s_waitcnt vmcnt(0)
	ds_write_b64 v1, v[60:61]
	s_waitcnt lgkmcnt(0)
	; wave barrier
	s_waitcnt lgkmcnt(0)
	s_and_saveexec_b64 s[4:5], vcc
	s_cbranch_execz .LBB91_71
; %bb.68:
	v_add_u32_e32 v60, -1, v0
	v_add_u32_e32 v61, 0xe0, v62
	v_add_u32_e32 v63, 0, v62
	s_mov_b64 s[6:7], 0
	v_mov_b32_e32 v59, 0
	v_mov_b32_e32 v64, 0
.LBB91_69:                              ; =>This Inner Loop Header: Depth=1
	buffer_load_dword v65, v63, s[0:3], 0 offen offset:4
	buffer_load_dword v68, v63, s[0:3], 0 offen
	ds_read_b64 v[66:67], v61
	v_add_u32_e32 v60, 1, v60
	v_cmp_lt_u32_e32 vcc, 12, v60
	v_add_u32_e32 v61, 8, v61
	v_add_u32_e32 v63, 8, v63
	s_or_b64 s[6:7], vcc, s[6:7]
	s_waitcnt vmcnt(1) lgkmcnt(0)
	v_mul_f32_e32 v69, v67, v65
	v_mul_f32_e32 v65, v66, v65
	s_waitcnt vmcnt(0)
	v_fma_f32 v66, v66, v68, -v69
	v_fmac_f32_e32 v65, v67, v68
	v_add_f32_e32 v64, v64, v66
	v_add_f32_e32 v59, v59, v65
	s_andn2_b64 exec, exec, s[6:7]
	s_cbranch_execnz .LBB91_69
; %bb.70:
	s_or_b64 exec, exec, s[6:7]
	v_mov_b32_e32 v60, 0
	ds_read_b64 v[60:61], v60 offset:112
	s_waitcnt lgkmcnt(0)
	v_mul_f32_e32 v63, v59, v61
	v_mul_f32_e32 v61, v64, v61
	v_fma_f32 v63, v64, v60, -v63
	v_fmac_f32_e32 v61, v59, v60
	buffer_store_dword v63, off, s[0:3], 0 offset:112
	buffer_store_dword v61, off, s[0:3], 0 offset:116
.LBB91_71:
	s_or_b64 exec, exec, s[4:5]
	s_waitcnt lgkmcnt(0)
	; wave barrier
	buffer_load_dword v60, off, s[0:3], 0 offset:120
	buffer_load_dword v61, off, s[0:3], 0 offset:124
	v_cmp_gt_u32_e32 vcc, 15, v0
	s_waitcnt vmcnt(0)
	ds_write_b64 v1, v[60:61]
	s_waitcnt lgkmcnt(0)
	; wave barrier
	s_waitcnt lgkmcnt(0)
	s_and_saveexec_b64 s[4:5], vcc
	s_cbranch_execz .LBB91_75
; %bb.72:
	v_add_u32_e32 v60, -1, v0
	v_add_u32_e32 v61, 0xe0, v62
	v_add_u32_e32 v63, 0, v62
	s_mov_b64 s[6:7], 0
	v_mov_b32_e32 v59, 0
	v_mov_b32_e32 v64, 0
.LBB91_73:                              ; =>This Inner Loop Header: Depth=1
	buffer_load_dword v65, v63, s[0:3], 0 offen offset:4
	buffer_load_dword v68, v63, s[0:3], 0 offen
	ds_read_b64 v[66:67], v61
	v_add_u32_e32 v60, 1, v60
	v_cmp_lt_u32_e32 vcc, 13, v60
	v_add_u32_e32 v61, 8, v61
	v_add_u32_e32 v63, 8, v63
	s_or_b64 s[6:7], vcc, s[6:7]
	s_waitcnt vmcnt(1) lgkmcnt(0)
	v_mul_f32_e32 v69, v67, v65
	v_mul_f32_e32 v65, v66, v65
	s_waitcnt vmcnt(0)
	v_fma_f32 v66, v66, v68, -v69
	v_fmac_f32_e32 v65, v67, v68
	v_add_f32_e32 v64, v64, v66
	v_add_f32_e32 v59, v59, v65
	s_andn2_b64 exec, exec, s[6:7]
	s_cbranch_execnz .LBB91_73
; %bb.74:
	s_or_b64 exec, exec, s[6:7]
	v_mov_b32_e32 v60, 0
	ds_read_b64 v[60:61], v60 offset:120
	s_waitcnt lgkmcnt(0)
	v_mul_f32_e32 v63, v59, v61
	v_mul_f32_e32 v61, v64, v61
	v_fma_f32 v63, v64, v60, -v63
	v_fmac_f32_e32 v61, v59, v60
	buffer_store_dword v63, off, s[0:3], 0 offset:120
	buffer_store_dword v61, off, s[0:3], 0 offset:124
.LBB91_75:
	s_or_b64 exec, exec, s[4:5]
	s_waitcnt lgkmcnt(0)
	; wave barrier
	buffer_load_dword v60, off, s[0:3], 0 offset:128
	buffer_load_dword v61, off, s[0:3], 0 offset:132
	v_cmp_gt_u32_e32 vcc, 16, v0
	s_waitcnt vmcnt(0)
	ds_write_b64 v1, v[60:61]
	s_waitcnt lgkmcnt(0)
	; wave barrier
	s_waitcnt lgkmcnt(0)
	s_and_saveexec_b64 s[4:5], vcc
	s_cbranch_execz .LBB91_79
; %bb.76:
	v_add_u32_e32 v60, -1, v0
	v_add_u32_e32 v61, 0xe0, v62
	v_add_u32_e32 v63, 0, v62
	s_mov_b64 s[6:7], 0
	v_mov_b32_e32 v59, 0
	v_mov_b32_e32 v64, 0
.LBB91_77:                              ; =>This Inner Loop Header: Depth=1
	buffer_load_dword v65, v63, s[0:3], 0 offen offset:4
	buffer_load_dword v68, v63, s[0:3], 0 offen
	ds_read_b64 v[66:67], v61
	v_add_u32_e32 v60, 1, v60
	v_cmp_lt_u32_e32 vcc, 14, v60
	v_add_u32_e32 v61, 8, v61
	v_add_u32_e32 v63, 8, v63
	s_or_b64 s[6:7], vcc, s[6:7]
	s_waitcnt vmcnt(1) lgkmcnt(0)
	v_mul_f32_e32 v69, v67, v65
	v_mul_f32_e32 v65, v66, v65
	s_waitcnt vmcnt(0)
	v_fma_f32 v66, v66, v68, -v69
	v_fmac_f32_e32 v65, v67, v68
	v_add_f32_e32 v64, v64, v66
	v_add_f32_e32 v59, v59, v65
	s_andn2_b64 exec, exec, s[6:7]
	s_cbranch_execnz .LBB91_77
; %bb.78:
	s_or_b64 exec, exec, s[6:7]
	v_mov_b32_e32 v60, 0
	ds_read_b64 v[60:61], v60 offset:128
	s_waitcnt lgkmcnt(0)
	v_mul_f32_e32 v63, v59, v61
	v_mul_f32_e32 v61, v64, v61
	v_fma_f32 v63, v64, v60, -v63
	v_fmac_f32_e32 v61, v59, v60
	buffer_store_dword v63, off, s[0:3], 0 offset:128
	buffer_store_dword v61, off, s[0:3], 0 offset:132
.LBB91_79:
	s_or_b64 exec, exec, s[4:5]
	s_waitcnt lgkmcnt(0)
	; wave barrier
	buffer_load_dword v60, off, s[0:3], 0 offset:136
	buffer_load_dword v61, off, s[0:3], 0 offset:140
	v_cmp_gt_u32_e32 vcc, 17, v0
	s_waitcnt vmcnt(0)
	ds_write_b64 v1, v[60:61]
	s_waitcnt lgkmcnt(0)
	; wave barrier
	s_waitcnt lgkmcnt(0)
	s_and_saveexec_b64 s[4:5], vcc
	s_cbranch_execz .LBB91_83
; %bb.80:
	v_add_u32_e32 v60, -1, v0
	v_add_u32_e32 v61, 0xe0, v62
	v_add_u32_e32 v63, 0, v62
	s_mov_b64 s[6:7], 0
	v_mov_b32_e32 v59, 0
	v_mov_b32_e32 v64, 0
.LBB91_81:                              ; =>This Inner Loop Header: Depth=1
	buffer_load_dword v65, v63, s[0:3], 0 offen offset:4
	buffer_load_dword v68, v63, s[0:3], 0 offen
	ds_read_b64 v[66:67], v61
	v_add_u32_e32 v60, 1, v60
	v_cmp_lt_u32_e32 vcc, 15, v60
	v_add_u32_e32 v61, 8, v61
	v_add_u32_e32 v63, 8, v63
	s_or_b64 s[6:7], vcc, s[6:7]
	s_waitcnt vmcnt(1) lgkmcnt(0)
	v_mul_f32_e32 v69, v67, v65
	v_mul_f32_e32 v65, v66, v65
	s_waitcnt vmcnt(0)
	v_fma_f32 v66, v66, v68, -v69
	v_fmac_f32_e32 v65, v67, v68
	v_add_f32_e32 v64, v64, v66
	v_add_f32_e32 v59, v59, v65
	s_andn2_b64 exec, exec, s[6:7]
	s_cbranch_execnz .LBB91_81
; %bb.82:
	s_or_b64 exec, exec, s[6:7]
	v_mov_b32_e32 v60, 0
	ds_read_b64 v[60:61], v60 offset:136
	s_waitcnt lgkmcnt(0)
	v_mul_f32_e32 v63, v59, v61
	v_mul_f32_e32 v61, v64, v61
	v_fma_f32 v63, v64, v60, -v63
	v_fmac_f32_e32 v61, v59, v60
	buffer_store_dword v63, off, s[0:3], 0 offset:136
	buffer_store_dword v61, off, s[0:3], 0 offset:140
.LBB91_83:
	s_or_b64 exec, exec, s[4:5]
	s_waitcnt lgkmcnt(0)
	; wave barrier
	buffer_load_dword v60, off, s[0:3], 0 offset:144
	buffer_load_dword v61, off, s[0:3], 0 offset:148
	v_cmp_gt_u32_e32 vcc, 18, v0
	s_waitcnt vmcnt(0)
	ds_write_b64 v1, v[60:61]
	s_waitcnt lgkmcnt(0)
	; wave barrier
	s_waitcnt lgkmcnt(0)
	s_and_saveexec_b64 s[4:5], vcc
	s_cbranch_execz .LBB91_87
; %bb.84:
	v_add_u32_e32 v60, -1, v0
	v_add_u32_e32 v61, 0xe0, v62
	v_add_u32_e32 v63, 0, v62
	s_mov_b64 s[6:7], 0
	v_mov_b32_e32 v59, 0
	v_mov_b32_e32 v64, 0
.LBB91_85:                              ; =>This Inner Loop Header: Depth=1
	buffer_load_dword v65, v63, s[0:3], 0 offen offset:4
	buffer_load_dword v68, v63, s[0:3], 0 offen
	ds_read_b64 v[66:67], v61
	v_add_u32_e32 v60, 1, v60
	v_cmp_lt_u32_e32 vcc, 16, v60
	v_add_u32_e32 v61, 8, v61
	v_add_u32_e32 v63, 8, v63
	s_or_b64 s[6:7], vcc, s[6:7]
	s_waitcnt vmcnt(1) lgkmcnt(0)
	v_mul_f32_e32 v69, v67, v65
	v_mul_f32_e32 v65, v66, v65
	s_waitcnt vmcnt(0)
	v_fma_f32 v66, v66, v68, -v69
	v_fmac_f32_e32 v65, v67, v68
	v_add_f32_e32 v64, v64, v66
	v_add_f32_e32 v59, v59, v65
	s_andn2_b64 exec, exec, s[6:7]
	s_cbranch_execnz .LBB91_85
; %bb.86:
	s_or_b64 exec, exec, s[6:7]
	v_mov_b32_e32 v60, 0
	ds_read_b64 v[60:61], v60 offset:144
	s_waitcnt lgkmcnt(0)
	v_mul_f32_e32 v63, v59, v61
	v_mul_f32_e32 v61, v64, v61
	v_fma_f32 v63, v64, v60, -v63
	v_fmac_f32_e32 v61, v59, v60
	buffer_store_dword v63, off, s[0:3], 0 offset:144
	buffer_store_dword v61, off, s[0:3], 0 offset:148
.LBB91_87:
	s_or_b64 exec, exec, s[4:5]
	s_waitcnt lgkmcnt(0)
	; wave barrier
	buffer_load_dword v60, off, s[0:3], 0 offset:152
	buffer_load_dword v61, off, s[0:3], 0 offset:156
	v_cmp_gt_u32_e32 vcc, 19, v0
	s_waitcnt vmcnt(0)
	ds_write_b64 v1, v[60:61]
	s_waitcnt lgkmcnt(0)
	; wave barrier
	s_waitcnt lgkmcnt(0)
	s_and_saveexec_b64 s[4:5], vcc
	s_cbranch_execz .LBB91_91
; %bb.88:
	v_add_u32_e32 v60, -1, v0
	v_add_u32_e32 v61, 0xe0, v62
	v_add_u32_e32 v63, 0, v62
	s_mov_b64 s[6:7], 0
	v_mov_b32_e32 v59, 0
	v_mov_b32_e32 v64, 0
.LBB91_89:                              ; =>This Inner Loop Header: Depth=1
	buffer_load_dword v65, v63, s[0:3], 0 offen offset:4
	buffer_load_dword v68, v63, s[0:3], 0 offen
	ds_read_b64 v[66:67], v61
	v_add_u32_e32 v60, 1, v60
	v_cmp_lt_u32_e32 vcc, 17, v60
	v_add_u32_e32 v61, 8, v61
	v_add_u32_e32 v63, 8, v63
	s_or_b64 s[6:7], vcc, s[6:7]
	s_waitcnt vmcnt(1) lgkmcnt(0)
	v_mul_f32_e32 v69, v67, v65
	v_mul_f32_e32 v65, v66, v65
	s_waitcnt vmcnt(0)
	v_fma_f32 v66, v66, v68, -v69
	v_fmac_f32_e32 v65, v67, v68
	v_add_f32_e32 v64, v64, v66
	v_add_f32_e32 v59, v59, v65
	s_andn2_b64 exec, exec, s[6:7]
	s_cbranch_execnz .LBB91_89
; %bb.90:
	s_or_b64 exec, exec, s[6:7]
	v_mov_b32_e32 v60, 0
	ds_read_b64 v[60:61], v60 offset:152
	s_waitcnt lgkmcnt(0)
	v_mul_f32_e32 v63, v59, v61
	v_mul_f32_e32 v61, v64, v61
	v_fma_f32 v63, v64, v60, -v63
	v_fmac_f32_e32 v61, v59, v60
	buffer_store_dword v63, off, s[0:3], 0 offset:152
	buffer_store_dword v61, off, s[0:3], 0 offset:156
.LBB91_91:
	s_or_b64 exec, exec, s[4:5]
	s_waitcnt lgkmcnt(0)
	; wave barrier
	buffer_load_dword v60, off, s[0:3], 0 offset:160
	buffer_load_dword v61, off, s[0:3], 0 offset:164
	v_cmp_gt_u32_e32 vcc, 20, v0
	s_waitcnt vmcnt(0)
	ds_write_b64 v1, v[60:61]
	s_waitcnt lgkmcnt(0)
	; wave barrier
	s_waitcnt lgkmcnt(0)
	s_and_saveexec_b64 s[4:5], vcc
	s_cbranch_execz .LBB91_95
; %bb.92:
	v_add_u32_e32 v60, -1, v0
	v_add_u32_e32 v61, 0xe0, v62
	v_add_u32_e32 v63, 0, v62
	s_mov_b64 s[6:7], 0
	v_mov_b32_e32 v59, 0
	v_mov_b32_e32 v64, 0
.LBB91_93:                              ; =>This Inner Loop Header: Depth=1
	buffer_load_dword v65, v63, s[0:3], 0 offen offset:4
	buffer_load_dword v68, v63, s[0:3], 0 offen
	ds_read_b64 v[66:67], v61
	v_add_u32_e32 v60, 1, v60
	v_cmp_lt_u32_e32 vcc, 18, v60
	v_add_u32_e32 v61, 8, v61
	v_add_u32_e32 v63, 8, v63
	s_or_b64 s[6:7], vcc, s[6:7]
	s_waitcnt vmcnt(1) lgkmcnt(0)
	v_mul_f32_e32 v69, v67, v65
	v_mul_f32_e32 v65, v66, v65
	s_waitcnt vmcnt(0)
	v_fma_f32 v66, v66, v68, -v69
	v_fmac_f32_e32 v65, v67, v68
	v_add_f32_e32 v64, v64, v66
	v_add_f32_e32 v59, v59, v65
	s_andn2_b64 exec, exec, s[6:7]
	s_cbranch_execnz .LBB91_93
; %bb.94:
	s_or_b64 exec, exec, s[6:7]
	v_mov_b32_e32 v60, 0
	ds_read_b64 v[60:61], v60 offset:160
	s_waitcnt lgkmcnt(0)
	v_mul_f32_e32 v63, v59, v61
	v_mul_f32_e32 v61, v64, v61
	v_fma_f32 v63, v64, v60, -v63
	v_fmac_f32_e32 v61, v59, v60
	buffer_store_dword v63, off, s[0:3], 0 offset:160
	buffer_store_dword v61, off, s[0:3], 0 offset:164
.LBB91_95:
	s_or_b64 exec, exec, s[4:5]
	s_waitcnt lgkmcnt(0)
	; wave barrier
	buffer_load_dword v60, off, s[0:3], 0 offset:168
	buffer_load_dword v61, off, s[0:3], 0 offset:172
	v_cmp_gt_u32_e32 vcc, 21, v0
	s_waitcnt vmcnt(0)
	ds_write_b64 v1, v[60:61]
	s_waitcnt lgkmcnt(0)
	; wave barrier
	s_waitcnt lgkmcnt(0)
	s_and_saveexec_b64 s[4:5], vcc
	s_cbranch_execz .LBB91_99
; %bb.96:
	v_add_u32_e32 v60, -1, v0
	v_add_u32_e32 v61, 0xe0, v62
	v_add_u32_e32 v63, 0, v62
	s_mov_b64 s[6:7], 0
	v_mov_b32_e32 v59, 0
	v_mov_b32_e32 v64, 0
.LBB91_97:                              ; =>This Inner Loop Header: Depth=1
	buffer_load_dword v65, v63, s[0:3], 0 offen offset:4
	buffer_load_dword v68, v63, s[0:3], 0 offen
	ds_read_b64 v[66:67], v61
	v_add_u32_e32 v60, 1, v60
	v_cmp_lt_u32_e32 vcc, 19, v60
	v_add_u32_e32 v61, 8, v61
	v_add_u32_e32 v63, 8, v63
	s_or_b64 s[6:7], vcc, s[6:7]
	s_waitcnt vmcnt(1) lgkmcnt(0)
	v_mul_f32_e32 v69, v67, v65
	v_mul_f32_e32 v65, v66, v65
	s_waitcnt vmcnt(0)
	v_fma_f32 v66, v66, v68, -v69
	v_fmac_f32_e32 v65, v67, v68
	v_add_f32_e32 v64, v64, v66
	v_add_f32_e32 v59, v59, v65
	s_andn2_b64 exec, exec, s[6:7]
	s_cbranch_execnz .LBB91_97
; %bb.98:
	s_or_b64 exec, exec, s[6:7]
	v_mov_b32_e32 v60, 0
	ds_read_b64 v[60:61], v60 offset:168
	s_waitcnt lgkmcnt(0)
	v_mul_f32_e32 v63, v59, v61
	v_mul_f32_e32 v61, v64, v61
	v_fma_f32 v63, v64, v60, -v63
	v_fmac_f32_e32 v61, v59, v60
	buffer_store_dword v63, off, s[0:3], 0 offset:168
	buffer_store_dword v61, off, s[0:3], 0 offset:172
.LBB91_99:
	s_or_b64 exec, exec, s[4:5]
	s_waitcnt lgkmcnt(0)
	; wave barrier
	buffer_load_dword v60, off, s[0:3], 0 offset:176
	buffer_load_dword v61, off, s[0:3], 0 offset:180
	v_cmp_gt_u32_e32 vcc, 22, v0
	s_waitcnt vmcnt(0)
	ds_write_b64 v1, v[60:61]
	s_waitcnt lgkmcnt(0)
	; wave barrier
	s_waitcnt lgkmcnt(0)
	s_and_saveexec_b64 s[4:5], vcc
	s_cbranch_execz .LBB91_103
; %bb.100:
	v_add_u32_e32 v60, -1, v0
	v_add_u32_e32 v61, 0xe0, v62
	v_add_u32_e32 v63, 0, v62
	s_mov_b64 s[6:7], 0
	v_mov_b32_e32 v59, 0
	v_mov_b32_e32 v64, 0
.LBB91_101:                             ; =>This Inner Loop Header: Depth=1
	buffer_load_dword v65, v63, s[0:3], 0 offen offset:4
	buffer_load_dword v68, v63, s[0:3], 0 offen
	ds_read_b64 v[66:67], v61
	v_add_u32_e32 v60, 1, v60
	v_cmp_lt_u32_e32 vcc, 20, v60
	v_add_u32_e32 v61, 8, v61
	v_add_u32_e32 v63, 8, v63
	s_or_b64 s[6:7], vcc, s[6:7]
	s_waitcnt vmcnt(1) lgkmcnt(0)
	v_mul_f32_e32 v69, v67, v65
	v_mul_f32_e32 v65, v66, v65
	s_waitcnt vmcnt(0)
	v_fma_f32 v66, v66, v68, -v69
	v_fmac_f32_e32 v65, v67, v68
	v_add_f32_e32 v64, v64, v66
	v_add_f32_e32 v59, v59, v65
	s_andn2_b64 exec, exec, s[6:7]
	s_cbranch_execnz .LBB91_101
; %bb.102:
	s_or_b64 exec, exec, s[6:7]
	v_mov_b32_e32 v60, 0
	ds_read_b64 v[60:61], v60 offset:176
	s_waitcnt lgkmcnt(0)
	v_mul_f32_e32 v63, v59, v61
	v_mul_f32_e32 v61, v64, v61
	v_fma_f32 v63, v64, v60, -v63
	v_fmac_f32_e32 v61, v59, v60
	buffer_store_dword v63, off, s[0:3], 0 offset:176
	buffer_store_dword v61, off, s[0:3], 0 offset:180
.LBB91_103:
	s_or_b64 exec, exec, s[4:5]
	s_waitcnt lgkmcnt(0)
	; wave barrier
	buffer_load_dword v60, off, s[0:3], 0 offset:184
	buffer_load_dword v61, off, s[0:3], 0 offset:188
	v_cmp_gt_u32_e32 vcc, 23, v0
	s_waitcnt vmcnt(0)
	ds_write_b64 v1, v[60:61]
	s_waitcnt lgkmcnt(0)
	; wave barrier
	s_waitcnt lgkmcnt(0)
	s_and_saveexec_b64 s[4:5], vcc
	s_cbranch_execz .LBB91_107
; %bb.104:
	v_add_u32_e32 v60, -1, v0
	v_add_u32_e32 v61, 0xe0, v62
	v_add_u32_e32 v63, 0, v62
	s_mov_b64 s[6:7], 0
	v_mov_b32_e32 v59, 0
	v_mov_b32_e32 v64, 0
.LBB91_105:                             ; =>This Inner Loop Header: Depth=1
	buffer_load_dword v65, v63, s[0:3], 0 offen offset:4
	buffer_load_dword v68, v63, s[0:3], 0 offen
	ds_read_b64 v[66:67], v61
	v_add_u32_e32 v60, 1, v60
	v_cmp_lt_u32_e32 vcc, 21, v60
	v_add_u32_e32 v61, 8, v61
	v_add_u32_e32 v63, 8, v63
	s_or_b64 s[6:7], vcc, s[6:7]
	s_waitcnt vmcnt(1) lgkmcnt(0)
	v_mul_f32_e32 v69, v67, v65
	v_mul_f32_e32 v65, v66, v65
	s_waitcnt vmcnt(0)
	v_fma_f32 v66, v66, v68, -v69
	v_fmac_f32_e32 v65, v67, v68
	v_add_f32_e32 v64, v64, v66
	v_add_f32_e32 v59, v59, v65
	s_andn2_b64 exec, exec, s[6:7]
	s_cbranch_execnz .LBB91_105
; %bb.106:
	s_or_b64 exec, exec, s[6:7]
	v_mov_b32_e32 v60, 0
	ds_read_b64 v[60:61], v60 offset:184
	s_waitcnt lgkmcnt(0)
	v_mul_f32_e32 v63, v59, v61
	v_mul_f32_e32 v61, v64, v61
	v_fma_f32 v63, v64, v60, -v63
	v_fmac_f32_e32 v61, v59, v60
	buffer_store_dword v63, off, s[0:3], 0 offset:184
	buffer_store_dword v61, off, s[0:3], 0 offset:188
.LBB91_107:
	s_or_b64 exec, exec, s[4:5]
	s_waitcnt lgkmcnt(0)
	; wave barrier
	buffer_load_dword v60, off, s[0:3], 0 offset:192
	buffer_load_dword v61, off, s[0:3], 0 offset:196
	v_cmp_gt_u32_e32 vcc, 24, v0
	s_waitcnt vmcnt(0)
	ds_write_b64 v1, v[60:61]
	;; [unrolled: 51-line block ×4, first 2 shown]
	s_waitcnt lgkmcnt(0)
	; wave barrier
	s_waitcnt lgkmcnt(0)
	s_and_saveexec_b64 s[4:5], vcc
	s_cbranch_execz .LBB91_119
; %bb.116:
	v_add_u32_e32 v60, -1, v0
	v_add_u32_e32 v61, 0xe0, v62
	v_add_u32_e32 v63, 0, v62
	s_mov_b64 s[6:7], 0
	v_mov_b32_e32 v59, 0
	v_mov_b32_e32 v64, 0
.LBB91_117:                             ; =>This Inner Loop Header: Depth=1
	buffer_load_dword v65, v63, s[0:3], 0 offen offset:4
	buffer_load_dword v68, v63, s[0:3], 0 offen
	ds_read_b64 v[66:67], v61
	v_add_u32_e32 v60, 1, v60
	v_cmp_lt_u32_e32 vcc, 24, v60
	v_add_u32_e32 v61, 8, v61
	v_add_u32_e32 v63, 8, v63
	s_or_b64 s[6:7], vcc, s[6:7]
	s_waitcnt vmcnt(1) lgkmcnt(0)
	v_mul_f32_e32 v69, v67, v65
	v_mul_f32_e32 v65, v66, v65
	s_waitcnt vmcnt(0)
	v_fma_f32 v66, v66, v68, -v69
	v_fmac_f32_e32 v65, v67, v68
	v_add_f32_e32 v64, v64, v66
	v_add_f32_e32 v59, v59, v65
	s_andn2_b64 exec, exec, s[6:7]
	s_cbranch_execnz .LBB91_117
; %bb.118:
	s_or_b64 exec, exec, s[6:7]
	v_mov_b32_e32 v60, 0
	ds_read_b64 v[60:61], v60 offset:208
	s_waitcnt lgkmcnt(0)
	v_mul_f32_e32 v63, v59, v61
	v_mul_f32_e32 v61, v64, v61
	v_fma_f32 v63, v64, v60, -v63
	v_fmac_f32_e32 v61, v59, v60
	buffer_store_dword v63, off, s[0:3], 0 offset:208
	buffer_store_dword v61, off, s[0:3], 0 offset:212
.LBB91_119:
	s_or_b64 exec, exec, s[4:5]
	s_waitcnt lgkmcnt(0)
	; wave barrier
	buffer_load_dword v60, off, s[0:3], 0 offset:216
	buffer_load_dword v61, off, s[0:3], 0 offset:220
	v_cmp_ne_u32_e32 vcc, 27, v0
	s_waitcnt vmcnt(0)
	ds_write_b64 v1, v[60:61]
	s_waitcnt lgkmcnt(0)
	; wave barrier
	s_waitcnt lgkmcnt(0)
	s_and_saveexec_b64 s[4:5], vcc
	s_cbranch_execz .LBB91_123
; %bb.120:
	v_add_u32_e32 v59, 0xe0, v62
	v_add_u32_e32 v60, 0, v62
	s_mov_b64 s[6:7], 0
	v_mov_b32_e32 v1, 0
	v_mov_b32_e32 v61, 0
.LBB91_121:                             ; =>This Inner Loop Header: Depth=1
	buffer_load_dword v64, v60, s[0:3], 0 offen offset:4
	buffer_load_dword v65, v60, s[0:3], 0 offen
	ds_read_b64 v[62:63], v59
	v_add_u32_e32 v58, 1, v58
	v_cmp_lt_u32_e32 vcc, 25, v58
	v_add_u32_e32 v59, 8, v59
	v_add_u32_e32 v60, 8, v60
	s_or_b64 s[6:7], vcc, s[6:7]
	s_waitcnt vmcnt(1) lgkmcnt(0)
	v_mul_f32_e32 v66, v63, v64
	v_mul_f32_e32 v64, v62, v64
	s_waitcnt vmcnt(0)
	v_fma_f32 v62, v62, v65, -v66
	v_fmac_f32_e32 v64, v63, v65
	v_add_f32_e32 v61, v61, v62
	v_add_f32_e32 v1, v1, v64
	s_andn2_b64 exec, exec, s[6:7]
	s_cbranch_execnz .LBB91_121
; %bb.122:
	s_or_b64 exec, exec, s[6:7]
	v_mov_b32_e32 v58, 0
	ds_read_b64 v[58:59], v58 offset:216
	s_waitcnt lgkmcnt(0)
	v_mul_f32_e32 v60, v1, v59
	v_mul_f32_e32 v59, v61, v59
	v_fma_f32 v60, v61, v58, -v60
	v_fmac_f32_e32 v59, v1, v58
	buffer_store_dword v60, off, s[0:3], 0 offset:216
	buffer_store_dword v59, off, s[0:3], 0 offset:220
.LBB91_123:
	s_or_b64 exec, exec, s[4:5]
	s_mov_b64 s[6:7], -1
	s_waitcnt lgkmcnt(0)
	; wave barrier
.LBB91_124:
	s_and_b64 vcc, exec, s[6:7]
	s_cbranch_vccz .LBB91_126
; %bb.125:
	s_lshl_b64 s[4:5], s[8:9], 2
	s_add_u32 s4, s14, s4
	s_addc_u32 s5, s15, s5
	v_mov_b32_e32 v1, 0
	global_load_dword v1, v1, s[4:5]
	s_waitcnt vmcnt(0)
	v_cmp_ne_u32_e32 vcc, 0, v1
	s_cbranch_vccz .LBB91_127
.LBB91_126:
	s_endpgm
.LBB91_127:
	v_mov_b32_e32 v1, 0xe0
	v_lshl_add_u32 v1, v0, 3, v1
	v_cmp_eq_u32_e32 vcc, 27, v0
	s_and_saveexec_b64 s[4:5], vcc
	s_cbranch_execz .LBB91_129
; %bb.128:
	buffer_load_dword v58, off, s[0:3], 0 offset:208
	buffer_load_dword v59, off, s[0:3], 0 offset:212
	v_mov_b32_e32 v60, 0
	buffer_store_dword v60, off, s[0:3], 0 offset:208
	buffer_store_dword v60, off, s[0:3], 0 offset:212
	s_waitcnt vmcnt(2)
	ds_write_b64 v1, v[58:59]
.LBB91_129:
	s_or_b64 exec, exec, s[4:5]
	s_waitcnt lgkmcnt(0)
	; wave barrier
	s_waitcnt lgkmcnt(0)
	buffer_load_dword v61, off, s[0:3], 0 offset:220
	buffer_load_dword v60, off, s[0:3], 0 offset:216
	;; [unrolled: 1-line block ×4, first 2 shown]
	v_mov_b32_e32 v58, 0
	ds_read_b64 v[64:65], v58 offset:440
	v_cmp_lt_u32_e32 vcc, 25, v0
	s_waitcnt vmcnt(3)
	v_mov_b32_e32 v66, v61
	s_waitcnt lgkmcnt(0)
	v_pk_mul_f32 v[66:67], v[64:65], v[66:67] op_sel_hi:[1,0]
	s_waitcnt vmcnt(2)
	v_pk_fma_f32 v[68:69], v[64:65], v[60:61], v[66:67] op_sel:[0,0,1] op_sel_hi:[1,1,0] neg_lo:[0,0,1] neg_hi:[0,0,1]
	v_pk_fma_f32 v[60:61], v[64:65], v[60:61], v[66:67] op_sel:[0,0,1] op_sel_hi:[1,0,0]
	v_mov_b32_e32 v69, v61
	v_pk_add_f32 v[60:61], v[68:69], 0 op_sel_hi:[1,0]
	s_waitcnt vmcnt(0)
	v_pk_add_f32 v[60:61], v[62:63], v[60:61] neg_lo:[0,1] neg_hi:[0,1]
	buffer_store_dword v60, off, s[0:3], 0 offset:208
	buffer_store_dword v61, off, s[0:3], 0 offset:212
	s_and_saveexec_b64 s[4:5], vcc
	s_cbranch_execz .LBB91_131
; %bb.130:
	buffer_load_dword v60, off, s[0:3], 0 offset:200
	buffer_load_dword v61, off, s[0:3], 0 offset:204
	s_waitcnt vmcnt(0)
	ds_write_b64 v1, v[60:61]
	buffer_store_dword v58, off, s[0:3], 0 offset:200
	buffer_store_dword v58, off, s[0:3], 0 offset:204
.LBB91_131:
	s_or_b64 exec, exec, s[4:5]
	s_waitcnt lgkmcnt(0)
	; wave barrier
	s_waitcnt lgkmcnt(0)
	buffer_load_dword v63, off, s[0:3], 0 offset:212
	buffer_load_dword v65, off, s[0:3], 0 offset:220
	;; [unrolled: 1-line block ×6, first 2 shown]
	ds_read_b128 v[58:61], v58 offset:432
	v_cmp_lt_u32_e32 vcc, 24, v0
	s_waitcnt vmcnt(5)
	v_mov_b32_e32 v68, v63
	s_waitcnt vmcnt(4)
	v_mov_b32_e32 v70, v65
	s_waitcnt lgkmcnt(0)
	v_pk_mul_f32 v[68:69], v[58:59], v[68:69] op_sel_hi:[1,0]
	v_pk_mul_f32 v[70:71], v[60:61], v[70:71] op_sel_hi:[1,0]
	s_waitcnt vmcnt(3)
	v_pk_fma_f32 v[72:73], v[58:59], v[62:63], v[68:69] op_sel:[0,0,1] op_sel_hi:[1,1,0] neg_lo:[0,0,1] neg_hi:[0,0,1]
	v_pk_fma_f32 v[58:59], v[58:59], v[62:63], v[68:69] op_sel:[0,0,1] op_sel_hi:[1,0,0]
	s_waitcnt vmcnt(2)
	v_pk_fma_f32 v[62:63], v[60:61], v[64:65], v[70:71] op_sel:[0,0,1] op_sel_hi:[1,1,0] neg_lo:[0,0,1] neg_hi:[0,0,1]
	v_pk_fma_f32 v[60:61], v[60:61], v[64:65], v[70:71] op_sel:[0,0,1] op_sel_hi:[1,0,0]
	v_mov_b32_e32 v73, v59
	v_mov_b32_e32 v63, v61
	v_pk_add_f32 v[58:59], v[72:73], 0 op_sel_hi:[1,0]
	v_pk_add_f32 v[58:59], v[58:59], v[62:63]
	s_waitcnt vmcnt(0)
	v_pk_add_f32 v[58:59], v[66:67], v[58:59] neg_lo:[0,1] neg_hi:[0,1]
	buffer_store_dword v58, off, s[0:3], 0 offset:200
	buffer_store_dword v59, off, s[0:3], 0 offset:204
	s_and_saveexec_b64 s[4:5], vcc
	s_cbranch_execz .LBB91_133
; %bb.132:
	buffer_load_dword v58, off, s[0:3], 0 offset:192
	buffer_load_dword v59, off, s[0:3], 0 offset:196
	v_mov_b32_e32 v60, 0
	buffer_store_dword v60, off, s[0:3], 0 offset:192
	buffer_store_dword v60, off, s[0:3], 0 offset:196
	s_waitcnt vmcnt(2)
	ds_write_b64 v1, v[58:59]
.LBB91_133:
	s_or_b64 exec, exec, s[4:5]
	s_waitcnt lgkmcnt(0)
	; wave barrier
	s_waitcnt lgkmcnt(0)
	buffer_load_dword v65, off, s[0:3], 0 offset:204
	buffer_load_dword v67, off, s[0:3], 0 offset:212
	buffer_load_dword v69, off, s[0:3], 0 offset:220
	buffer_load_dword v64, off, s[0:3], 0 offset:200
	buffer_load_dword v66, off, s[0:3], 0 offset:208
	buffer_load_dword v68, off, s[0:3], 0 offset:216
	buffer_load_dword v70, off, s[0:3], 0 offset:192
	buffer_load_dword v71, off, s[0:3], 0 offset:196
	v_mov_b32_e32 v58, 0
	ds_read2_b64 v[60:63], v58 offset0:53 offset1:54
	ds_read_b64 v[72:73], v58 offset:440
	v_cmp_lt_u32_e32 vcc, 23, v0
	s_waitcnt vmcnt(7)
	v_mov_b32_e32 v74, v65
	s_waitcnt vmcnt(6)
	v_mov_b32_e32 v76, v67
	s_waitcnt lgkmcnt(1)
	v_pk_mul_f32 v[74:75], v[60:61], v[74:75] op_sel_hi:[1,0]
	s_waitcnt vmcnt(5)
	v_mov_b32_e32 v78, v69
	v_pk_mul_f32 v[76:77], v[62:63], v[76:77] op_sel_hi:[1,0]
	s_waitcnt vmcnt(4)
	v_pk_fma_f32 v[80:81], v[60:61], v[64:65], v[74:75] op_sel:[0,0,1] op_sel_hi:[1,1,0] neg_lo:[0,0,1] neg_hi:[0,0,1]
	v_pk_fma_f32 v[60:61], v[60:61], v[64:65], v[74:75] op_sel:[0,0,1] op_sel_hi:[1,0,0]
	s_waitcnt lgkmcnt(0)
	v_pk_mul_f32 v[78:79], v[72:73], v[78:79] op_sel_hi:[1,0]
	s_waitcnt vmcnt(3)
	v_pk_fma_f32 v[64:65], v[62:63], v[66:67], v[76:77] op_sel:[0,0,1] op_sel_hi:[1,1,0] neg_lo:[0,0,1] neg_hi:[0,0,1]
	v_pk_fma_f32 v[62:63], v[62:63], v[66:67], v[76:77] op_sel:[0,0,1] op_sel_hi:[1,0,0]
	v_mov_b32_e32 v81, v61
	s_waitcnt vmcnt(2)
	v_pk_fma_f32 v[66:67], v[72:73], v[68:69], v[78:79] op_sel:[0,0,1] op_sel_hi:[1,1,0] neg_lo:[0,0,1] neg_hi:[0,0,1]
	v_pk_fma_f32 v[68:69], v[72:73], v[68:69], v[78:79] op_sel:[0,0,1] op_sel_hi:[1,0,0]
	v_mov_b32_e32 v65, v63
	v_pk_add_f32 v[60:61], v[80:81], 0 op_sel_hi:[1,0]
	v_mov_b32_e32 v67, v69
	v_pk_add_f32 v[60:61], v[60:61], v[64:65]
	v_pk_add_f32 v[60:61], v[60:61], v[66:67]
	s_waitcnt vmcnt(0)
	v_pk_add_f32 v[60:61], v[70:71], v[60:61] neg_lo:[0,1] neg_hi:[0,1]
	buffer_store_dword v60, off, s[0:3], 0 offset:192
	buffer_store_dword v61, off, s[0:3], 0 offset:196
	s_and_saveexec_b64 s[4:5], vcc
	s_cbranch_execz .LBB91_135
; %bb.134:
	buffer_load_dword v60, off, s[0:3], 0 offset:184
	buffer_load_dword v61, off, s[0:3], 0 offset:188
	s_waitcnt vmcnt(0)
	ds_write_b64 v1, v[60:61]
	buffer_store_dword v58, off, s[0:3], 0 offset:184
	buffer_store_dword v58, off, s[0:3], 0 offset:188
.LBB91_135:
	s_or_b64 exec, exec, s[4:5]
	s_waitcnt lgkmcnt(0)
	; wave barrier
	s_waitcnt lgkmcnt(0)
	buffer_load_dword v69, off, s[0:3], 0 offset:196
	buffer_load_dword v71, off, s[0:3], 0 offset:204
	buffer_load_dword v73, off, s[0:3], 0 offset:212
	buffer_load_dword v75, off, s[0:3], 0 offset:220
	buffer_load_dword v68, off, s[0:3], 0 offset:192
	buffer_load_dword v70, off, s[0:3], 0 offset:200
	buffer_load_dword v72, off, s[0:3], 0 offset:208
	buffer_load_dword v74, off, s[0:3], 0 offset:216
	buffer_load_dword v76, off, s[0:3], 0 offset:184
	buffer_load_dword v77, off, s[0:3], 0 offset:188
	ds_read_b128 v[60:63], v58 offset:416
	ds_read_b128 v[64:67], v58 offset:432
	v_cmp_lt_u32_e32 vcc, 22, v0
	s_waitcnt vmcnt(9)
	v_mov_b32_e32 v58, v69
	s_waitcnt vmcnt(8)
	v_mov_b32_e32 v78, v71
	s_waitcnt lgkmcnt(1)
	v_pk_mul_f32 v[58:59], v[60:61], v[58:59] op_sel_hi:[1,0]
	s_waitcnt vmcnt(7)
	v_mov_b32_e32 v80, v73
	v_pk_mul_f32 v[78:79], v[62:63], v[78:79] op_sel_hi:[1,0]
	s_waitcnt vmcnt(5)
	v_pk_fma_f32 v[84:85], v[60:61], v[68:69], v[58:59] op_sel:[0,0,1] op_sel_hi:[1,1,0] neg_lo:[0,0,1] neg_hi:[0,0,1]
	v_pk_fma_f32 v[58:59], v[60:61], v[68:69], v[58:59] op_sel:[0,0,1] op_sel_hi:[1,0,0]
	v_mov_b32_e32 v82, v75
	s_waitcnt lgkmcnt(0)
	v_pk_mul_f32 v[80:81], v[64:65], v[80:81] op_sel_hi:[1,0]
	s_waitcnt vmcnt(4)
	v_pk_fma_f32 v[60:61], v[62:63], v[70:71], v[78:79] op_sel:[0,0,1] op_sel_hi:[1,1,0] neg_lo:[0,0,1] neg_hi:[0,0,1]
	v_pk_fma_f32 v[62:63], v[62:63], v[70:71], v[78:79] op_sel:[0,0,1] op_sel_hi:[1,0,0]
	v_mov_b32_e32 v85, v59
	v_pk_mul_f32 v[82:83], v[66:67], v[82:83] op_sel_hi:[1,0]
	s_waitcnt vmcnt(3)
	v_pk_fma_f32 v[68:69], v[64:65], v[72:73], v[80:81] op_sel:[0,0,1] op_sel_hi:[1,1,0] neg_lo:[0,0,1] neg_hi:[0,0,1]
	v_pk_fma_f32 v[64:65], v[64:65], v[72:73], v[80:81] op_sel:[0,0,1] op_sel_hi:[1,0,0]
	v_mov_b32_e32 v61, v63
	v_pk_add_f32 v[58:59], v[84:85], 0 op_sel_hi:[1,0]
	s_waitcnt vmcnt(2)
	v_pk_fma_f32 v[70:71], v[66:67], v[74:75], v[82:83] op_sel:[0,0,1] op_sel_hi:[1,1,0] neg_lo:[0,0,1] neg_hi:[0,0,1]
	v_pk_fma_f32 v[66:67], v[66:67], v[74:75], v[82:83] op_sel:[0,0,1] op_sel_hi:[1,0,0]
	v_mov_b32_e32 v69, v65
	v_pk_add_f32 v[58:59], v[58:59], v[60:61]
	v_mov_b32_e32 v71, v67
	v_pk_add_f32 v[58:59], v[58:59], v[68:69]
	v_pk_add_f32 v[58:59], v[58:59], v[70:71]
	s_waitcnt vmcnt(0)
	v_pk_add_f32 v[58:59], v[76:77], v[58:59] neg_lo:[0,1] neg_hi:[0,1]
	buffer_store_dword v58, off, s[0:3], 0 offset:184
	buffer_store_dword v59, off, s[0:3], 0 offset:188
	s_and_saveexec_b64 s[4:5], vcc
	s_cbranch_execz .LBB91_137
; %bb.136:
	buffer_load_dword v58, off, s[0:3], 0 offset:176
	buffer_load_dword v59, off, s[0:3], 0 offset:180
	v_mov_b32_e32 v60, 0
	buffer_store_dword v60, off, s[0:3], 0 offset:176
	buffer_store_dword v60, off, s[0:3], 0 offset:180
	s_waitcnt vmcnt(2)
	ds_write_b64 v1, v[58:59]
.LBB91_137:
	s_or_b64 exec, exec, s[4:5]
	s_waitcnt lgkmcnt(0)
	; wave barrier
	s_waitcnt lgkmcnt(0)
	buffer_load_dword v69, off, s[0:3], 0 offset:188
	buffer_load_dword v71, off, s[0:3], 0 offset:196
	;; [unrolled: 1-line block ×12, first 2 shown]
	v_mov_b32_e32 v58, 0
	ds_read2_b64 v[60:63], v58 offset0:51 offset1:52
	ds_read2_b64 v[64:67], v58 offset0:53 offset1:54
	ds_read_b64 v[80:81], v58 offset:440
	v_cmp_lt_u32_e32 vcc, 21, v0
	s_waitcnt vmcnt(11)
	v_mov_b32_e32 v82, v69
	s_waitcnt vmcnt(10)
	v_mov_b32_e32 v84, v71
	s_waitcnt lgkmcnt(2)
	v_pk_mul_f32 v[82:83], v[60:61], v[82:83] op_sel_hi:[1,0]
	s_waitcnt vmcnt(9)
	v_mov_b32_e32 v86, v73
	v_pk_mul_f32 v[84:85], v[62:63], v[84:85] op_sel_hi:[1,0]
	s_waitcnt vmcnt(6)
	v_pk_fma_f32 v[92:93], v[60:61], v[68:69], v[82:83] op_sel:[0,0,1] op_sel_hi:[1,1,0] neg_lo:[0,0,1] neg_hi:[0,0,1]
	v_pk_fma_f32 v[60:61], v[60:61], v[68:69], v[82:83] op_sel:[0,0,1] op_sel_hi:[1,0,0]
	v_mov_b32_e32 v88, v75
	s_waitcnt lgkmcnt(1)
	v_pk_mul_f32 v[86:87], v[64:65], v[86:87] op_sel_hi:[1,0]
	s_waitcnt vmcnt(5)
	v_pk_fma_f32 v[68:69], v[62:63], v[70:71], v[84:85] op_sel:[0,0,1] op_sel_hi:[1,1,0] neg_lo:[0,0,1] neg_hi:[0,0,1]
	v_pk_fma_f32 v[62:63], v[62:63], v[70:71], v[84:85] op_sel:[0,0,1] op_sel_hi:[1,0,0]
	v_mov_b32_e32 v93, v61
	v_mov_b32_e32 v90, v77
	v_pk_mul_f32 v[88:89], v[66:67], v[88:89] op_sel_hi:[1,0]
	s_waitcnt vmcnt(4)
	v_pk_fma_f32 v[70:71], v[64:65], v[72:73], v[86:87] op_sel:[0,0,1] op_sel_hi:[1,1,0] neg_lo:[0,0,1] neg_hi:[0,0,1]
	v_pk_fma_f32 v[64:65], v[64:65], v[72:73], v[86:87] op_sel:[0,0,1] op_sel_hi:[1,0,0]
	v_mov_b32_e32 v69, v63
	v_pk_add_f32 v[60:61], v[92:93], 0 op_sel_hi:[1,0]
	s_waitcnt lgkmcnt(0)
	v_pk_mul_f32 v[90:91], v[80:81], v[90:91] op_sel_hi:[1,0]
	s_waitcnt vmcnt(3)
	v_pk_fma_f32 v[72:73], v[66:67], v[74:75], v[88:89] op_sel:[0,0,1] op_sel_hi:[1,1,0] neg_lo:[0,0,1] neg_hi:[0,0,1]
	v_pk_fma_f32 v[66:67], v[66:67], v[74:75], v[88:89] op_sel:[0,0,1] op_sel_hi:[1,0,0]
	v_mov_b32_e32 v71, v65
	v_pk_add_f32 v[60:61], v[60:61], v[68:69]
	s_waitcnt vmcnt(2)
	v_pk_fma_f32 v[74:75], v[80:81], v[76:77], v[90:91] op_sel:[0,0,1] op_sel_hi:[1,1,0] neg_lo:[0,0,1] neg_hi:[0,0,1]
	v_pk_fma_f32 v[76:77], v[80:81], v[76:77], v[90:91] op_sel:[0,0,1] op_sel_hi:[1,0,0]
	v_mov_b32_e32 v73, v67
	v_pk_add_f32 v[60:61], v[60:61], v[70:71]
	v_mov_b32_e32 v75, v77
	v_pk_add_f32 v[60:61], v[60:61], v[72:73]
	v_pk_add_f32 v[60:61], v[60:61], v[74:75]
	s_waitcnt vmcnt(0)
	v_pk_add_f32 v[60:61], v[78:79], v[60:61] neg_lo:[0,1] neg_hi:[0,1]
	buffer_store_dword v60, off, s[0:3], 0 offset:176
	buffer_store_dword v61, off, s[0:3], 0 offset:180
	s_and_saveexec_b64 s[4:5], vcc
	s_cbranch_execz .LBB91_139
; %bb.138:
	buffer_load_dword v60, off, s[0:3], 0 offset:168
	buffer_load_dword v61, off, s[0:3], 0 offset:172
	s_waitcnt vmcnt(0)
	ds_write_b64 v1, v[60:61]
	buffer_store_dword v58, off, s[0:3], 0 offset:168
	buffer_store_dword v58, off, s[0:3], 0 offset:172
.LBB91_139:
	s_or_b64 exec, exec, s[4:5]
	s_waitcnt lgkmcnt(0)
	; wave barrier
	s_waitcnt lgkmcnt(0)
	buffer_load_dword v73, off, s[0:3], 0 offset:180
	buffer_load_dword v75, off, s[0:3], 0 offset:188
	;; [unrolled: 1-line block ×14, first 2 shown]
	ds_read_b128 v[60:63], v58 offset:400
	ds_read_b128 v[64:67], v58 offset:416
	;; [unrolled: 1-line block ×3, first 2 shown]
	v_cmp_lt_u32_e32 vcc, 20, v0
	s_waitcnt vmcnt(13)
	v_mov_b32_e32 v58, v73
	s_waitcnt vmcnt(12)
	v_mov_b32_e32 v86, v75
	s_waitcnt lgkmcnt(2)
	v_pk_mul_f32 v[58:59], v[60:61], v[58:59] op_sel_hi:[1,0]
	s_waitcnt vmcnt(11)
	v_mov_b32_e32 v88, v77
	v_pk_mul_f32 v[86:87], v[62:63], v[86:87] op_sel_hi:[1,0]
	s_waitcnt vmcnt(10)
	v_mov_b32_e32 v90, v79
	s_waitcnt vmcnt(7)
	v_pk_fma_f32 v[96:97], v[60:61], v[72:73], v[58:59] op_sel:[0,0,1] op_sel_hi:[1,1,0] neg_lo:[0,0,1] neg_hi:[0,0,1]
	v_pk_fma_f32 v[58:59], v[60:61], v[72:73], v[58:59] op_sel:[0,0,1] op_sel_hi:[1,0,0]
	s_waitcnt lgkmcnt(1)
	v_pk_mul_f32 v[88:89], v[64:65], v[88:89] op_sel_hi:[1,0]
	s_waitcnt vmcnt(6)
	v_pk_fma_f32 v[60:61], v[62:63], v[74:75], v[86:87] op_sel:[0,0,1] op_sel_hi:[1,1,0] neg_lo:[0,0,1] neg_hi:[0,0,1]
	v_pk_fma_f32 v[62:63], v[62:63], v[74:75], v[86:87] op_sel:[0,0,1] op_sel_hi:[1,0,0]
	v_mov_b32_e32 v97, v59
	v_mov_b32_e32 v92, v81
	v_pk_mul_f32 v[90:91], v[66:67], v[90:91] op_sel_hi:[1,0]
	s_waitcnt vmcnt(5)
	v_pk_fma_f32 v[72:73], v[64:65], v[76:77], v[88:89] op_sel:[0,0,1] op_sel_hi:[1,1,0] neg_lo:[0,0,1] neg_hi:[0,0,1]
	v_pk_fma_f32 v[64:65], v[64:65], v[76:77], v[88:89] op_sel:[0,0,1] op_sel_hi:[1,0,0]
	v_mov_b32_e32 v61, v63
	v_pk_add_f32 v[58:59], v[96:97], 0 op_sel_hi:[1,0]
	v_mov_b32_e32 v94, v83
	s_waitcnt lgkmcnt(0)
	v_pk_mul_f32 v[92:93], v[68:69], v[92:93] op_sel_hi:[1,0]
	s_waitcnt vmcnt(4)
	v_pk_fma_f32 v[74:75], v[66:67], v[78:79], v[90:91] op_sel:[0,0,1] op_sel_hi:[1,1,0] neg_lo:[0,0,1] neg_hi:[0,0,1]
	v_pk_fma_f32 v[66:67], v[66:67], v[78:79], v[90:91] op_sel:[0,0,1] op_sel_hi:[1,0,0]
	v_mov_b32_e32 v73, v65
	v_pk_add_f32 v[58:59], v[58:59], v[60:61]
	v_pk_mul_f32 v[94:95], v[70:71], v[94:95] op_sel_hi:[1,0]
	s_waitcnt vmcnt(3)
	v_pk_fma_f32 v[76:77], v[68:69], v[80:81], v[92:93] op_sel:[0,0,1] op_sel_hi:[1,1,0] neg_lo:[0,0,1] neg_hi:[0,0,1]
	v_pk_fma_f32 v[68:69], v[68:69], v[80:81], v[92:93] op_sel:[0,0,1] op_sel_hi:[1,0,0]
	v_mov_b32_e32 v75, v67
	v_pk_add_f32 v[58:59], v[58:59], v[72:73]
	s_waitcnt vmcnt(2)
	v_pk_fma_f32 v[78:79], v[70:71], v[82:83], v[94:95] op_sel:[0,0,1] op_sel_hi:[1,1,0] neg_lo:[0,0,1] neg_hi:[0,0,1]
	v_pk_fma_f32 v[70:71], v[70:71], v[82:83], v[94:95] op_sel:[0,0,1] op_sel_hi:[1,0,0]
	v_mov_b32_e32 v77, v69
	v_pk_add_f32 v[58:59], v[58:59], v[74:75]
	v_mov_b32_e32 v79, v71
	v_pk_add_f32 v[58:59], v[58:59], v[76:77]
	v_pk_add_f32 v[58:59], v[58:59], v[78:79]
	s_waitcnt vmcnt(0)
	v_pk_add_f32 v[58:59], v[84:85], v[58:59] neg_lo:[0,1] neg_hi:[0,1]
	buffer_store_dword v58, off, s[0:3], 0 offset:168
	buffer_store_dword v59, off, s[0:3], 0 offset:172
	s_and_saveexec_b64 s[4:5], vcc
	s_cbranch_execz .LBB91_141
; %bb.140:
	buffer_load_dword v58, off, s[0:3], 0 offset:160
	buffer_load_dword v59, off, s[0:3], 0 offset:164
	v_mov_b32_e32 v60, 0
	buffer_store_dword v60, off, s[0:3], 0 offset:160
	buffer_store_dword v60, off, s[0:3], 0 offset:164
	s_waitcnt vmcnt(2)
	ds_write_b64 v1, v[58:59]
.LBB91_141:
	s_or_b64 exec, exec, s[4:5]
	s_waitcnt lgkmcnt(0)
	; wave barrier
	s_waitcnt lgkmcnt(0)
	buffer_load_dword v73, off, s[0:3], 0 offset:172
	buffer_load_dword v75, off, s[0:3], 0 offset:180
	;; [unrolled: 1-line block ×16, first 2 shown]
	v_mov_b32_e32 v58, 0
	ds_read2_b64 v[60:63], v58 offset0:49 offset1:50
	ds_read2_b64 v[64:67], v58 offset0:51 offset1:52
	;; [unrolled: 1-line block ×3, first 2 shown]
	ds_read_b64 v[88:89], v58 offset:440
	v_cmp_lt_u32_e32 vcc, 19, v0
	s_waitcnt vmcnt(15)
	v_mov_b32_e32 v90, v73
	s_waitcnt vmcnt(14)
	v_mov_b32_e32 v92, v75
	s_waitcnt lgkmcnt(3)
	v_pk_mul_f32 v[90:91], v[60:61], v[90:91] op_sel_hi:[1,0]
	s_waitcnt vmcnt(13)
	v_mov_b32_e32 v94, v77
	v_pk_mul_f32 v[92:93], v[62:63], v[92:93] op_sel_hi:[1,0]
	s_waitcnt vmcnt(12)
	v_mov_b32_e32 v96, v79
	s_waitcnt lgkmcnt(2)
	v_pk_mul_f32 v[94:95], v[64:65], v[94:95] op_sel_hi:[1,0]
	s_waitcnt vmcnt(8)
	v_pk_fma_f32 v[104:105], v[60:61], v[72:73], v[90:91] op_sel:[0,0,1] op_sel_hi:[1,1,0] neg_lo:[0,0,1] neg_hi:[0,0,1]
	v_pk_fma_f32 v[60:61], v[60:61], v[72:73], v[90:91] op_sel:[0,0,1] op_sel_hi:[1,0,0]
	s_waitcnt vmcnt(7)
	v_pk_fma_f32 v[72:73], v[62:63], v[74:75], v[92:93] op_sel:[0,0,1] op_sel_hi:[1,1,0] neg_lo:[0,0,1] neg_hi:[0,0,1]
	v_pk_fma_f32 v[62:63], v[62:63], v[74:75], v[92:93] op_sel:[0,0,1] op_sel_hi:[1,0,0]
	v_mov_b32_e32 v105, v61
	v_mov_b32_e32 v98, v81
	v_pk_mul_f32 v[96:97], v[66:67], v[96:97] op_sel_hi:[1,0]
	s_waitcnt vmcnt(6)
	v_pk_fma_f32 v[74:75], v[64:65], v[76:77], v[94:95] op_sel:[0,0,1] op_sel_hi:[1,1,0] neg_lo:[0,0,1] neg_hi:[0,0,1]
	v_pk_fma_f32 v[64:65], v[64:65], v[76:77], v[94:95] op_sel:[0,0,1] op_sel_hi:[1,0,0]
	v_mov_b32_e32 v73, v63
	v_pk_add_f32 v[60:61], v[104:105], 0 op_sel_hi:[1,0]
	v_mov_b32_e32 v100, v83
	s_waitcnt lgkmcnt(1)
	v_pk_mul_f32 v[98:99], v[68:69], v[98:99] op_sel_hi:[1,0]
	s_waitcnt vmcnt(5)
	v_pk_fma_f32 v[76:77], v[66:67], v[78:79], v[96:97] op_sel:[0,0,1] op_sel_hi:[1,1,0] neg_lo:[0,0,1] neg_hi:[0,0,1]
	v_pk_fma_f32 v[66:67], v[66:67], v[78:79], v[96:97] op_sel:[0,0,1] op_sel_hi:[1,0,0]
	v_mov_b32_e32 v75, v65
	v_pk_add_f32 v[60:61], v[60:61], v[72:73]
	v_mov_b32_e32 v102, v85
	v_pk_mul_f32 v[100:101], v[70:71], v[100:101] op_sel_hi:[1,0]
	s_waitcnt vmcnt(4)
	v_pk_fma_f32 v[78:79], v[68:69], v[80:81], v[98:99] op_sel:[0,0,1] op_sel_hi:[1,1,0] neg_lo:[0,0,1] neg_hi:[0,0,1]
	v_pk_fma_f32 v[68:69], v[68:69], v[80:81], v[98:99] op_sel:[0,0,1] op_sel_hi:[1,0,0]
	v_mov_b32_e32 v77, v67
	v_pk_add_f32 v[60:61], v[60:61], v[74:75]
	s_waitcnt lgkmcnt(0)
	v_pk_mul_f32 v[102:103], v[88:89], v[102:103] op_sel_hi:[1,0]
	s_waitcnt vmcnt(3)
	v_pk_fma_f32 v[80:81], v[70:71], v[82:83], v[100:101] op_sel:[0,0,1] op_sel_hi:[1,1,0] neg_lo:[0,0,1] neg_hi:[0,0,1]
	v_pk_fma_f32 v[70:71], v[70:71], v[82:83], v[100:101] op_sel:[0,0,1] op_sel_hi:[1,0,0]
	v_mov_b32_e32 v79, v69
	v_pk_add_f32 v[60:61], v[60:61], v[76:77]
	s_waitcnt vmcnt(2)
	v_pk_fma_f32 v[82:83], v[88:89], v[84:85], v[102:103] op_sel:[0,0,1] op_sel_hi:[1,1,0] neg_lo:[0,0,1] neg_hi:[0,0,1]
	v_pk_fma_f32 v[84:85], v[88:89], v[84:85], v[102:103] op_sel:[0,0,1] op_sel_hi:[1,0,0]
	v_mov_b32_e32 v81, v71
	v_pk_add_f32 v[60:61], v[60:61], v[78:79]
	v_mov_b32_e32 v83, v85
	v_pk_add_f32 v[60:61], v[60:61], v[80:81]
	v_pk_add_f32 v[60:61], v[60:61], v[82:83]
	s_waitcnt vmcnt(0)
	v_pk_add_f32 v[60:61], v[86:87], v[60:61] neg_lo:[0,1] neg_hi:[0,1]
	buffer_store_dword v60, off, s[0:3], 0 offset:160
	buffer_store_dword v61, off, s[0:3], 0 offset:164
	s_and_saveexec_b64 s[4:5], vcc
	s_cbranch_execz .LBB91_143
; %bb.142:
	buffer_load_dword v60, off, s[0:3], 0 offset:152
	buffer_load_dword v61, off, s[0:3], 0 offset:156
	s_waitcnt vmcnt(0)
	ds_write_b64 v1, v[60:61]
	buffer_store_dword v58, off, s[0:3], 0 offset:152
	buffer_store_dword v58, off, s[0:3], 0 offset:156
.LBB91_143:
	s_or_b64 exec, exec, s[4:5]
	s_waitcnt lgkmcnt(0)
	; wave barrier
	s_waitcnt lgkmcnt(0)
	buffer_load_dword v77, off, s[0:3], 0 offset:164
	buffer_load_dword v79, off, s[0:3], 0 offset:172
	buffer_load_dword v81, off, s[0:3], 0 offset:180
	buffer_load_dword v83, off, s[0:3], 0 offset:188
	buffer_load_dword v85, off, s[0:3], 0 offset:196
	buffer_load_dword v87, off, s[0:3], 0 offset:204
	buffer_load_dword v89, off, s[0:3], 0 offset:212
	buffer_load_dword v91, off, s[0:3], 0 offset:220
	buffer_load_dword v76, off, s[0:3], 0 offset:160
	buffer_load_dword v78, off, s[0:3], 0 offset:168
	buffer_load_dword v80, off, s[0:3], 0 offset:176
	buffer_load_dword v82, off, s[0:3], 0 offset:184
	buffer_load_dword v84, off, s[0:3], 0 offset:192
	buffer_load_dword v86, off, s[0:3], 0 offset:200
	buffer_load_dword v88, off, s[0:3], 0 offset:208
	buffer_load_dword v90, off, s[0:3], 0 offset:216
	buffer_load_dword v92, off, s[0:3], 0 offset:152
	buffer_load_dword v93, off, s[0:3], 0 offset:156
	ds_read_b128 v[60:63], v58 offset:384
	ds_read_b128 v[64:67], v58 offset:400
	;; [unrolled: 1-line block ×4, first 2 shown]
	v_cmp_lt_u32_e32 vcc, 18, v0
	s_waitcnt vmcnt(17)
	v_mov_b32_e32 v58, v77
	s_waitcnt vmcnt(16)
	v_mov_b32_e32 v94, v79
	s_waitcnt lgkmcnt(3)
	v_pk_mul_f32 v[58:59], v[60:61], v[58:59] op_sel_hi:[1,0]
	s_waitcnt vmcnt(15)
	v_mov_b32_e32 v96, v81
	v_pk_mul_f32 v[94:95], v[62:63], v[94:95] op_sel_hi:[1,0]
	s_waitcnt vmcnt(14)
	v_mov_b32_e32 v98, v83
	s_waitcnt lgkmcnt(2)
	v_pk_mul_f32 v[96:97], v[64:65], v[96:97] op_sel_hi:[1,0]
	s_waitcnt vmcnt(13)
	v_mov_b32_e32 v100, v85
	s_waitcnt vmcnt(9)
	v_pk_fma_f32 v[108:109], v[60:61], v[76:77], v[58:59] op_sel:[0,0,1] op_sel_hi:[1,1,0] neg_lo:[0,0,1] neg_hi:[0,0,1]
	v_pk_fma_f32 v[58:59], v[60:61], v[76:77], v[58:59] op_sel:[0,0,1] op_sel_hi:[1,0,0]
	s_waitcnt vmcnt(8)
	v_pk_fma_f32 v[60:61], v[62:63], v[78:79], v[94:95] op_sel:[0,0,1] op_sel_hi:[1,1,0] neg_lo:[0,0,1] neg_hi:[0,0,1]
	v_pk_fma_f32 v[62:63], v[62:63], v[78:79], v[94:95] op_sel:[0,0,1] op_sel_hi:[1,0,0]
	v_mov_b32_e32 v109, v59
	v_pk_mul_f32 v[98:99], v[66:67], v[98:99] op_sel_hi:[1,0]
	s_waitcnt vmcnt(7)
	v_pk_fma_f32 v[76:77], v[64:65], v[80:81], v[96:97] op_sel:[0,0,1] op_sel_hi:[1,1,0] neg_lo:[0,0,1] neg_hi:[0,0,1]
	v_pk_fma_f32 v[64:65], v[64:65], v[80:81], v[96:97] op_sel:[0,0,1] op_sel_hi:[1,0,0]
	v_mov_b32_e32 v61, v63
	v_pk_add_f32 v[58:59], v[108:109], 0 op_sel_hi:[1,0]
	v_mov_b32_e32 v102, v87
	s_waitcnt lgkmcnt(1)
	v_pk_mul_f32 v[100:101], v[68:69], v[100:101] op_sel_hi:[1,0]
	s_waitcnt vmcnt(6)
	v_pk_fma_f32 v[78:79], v[66:67], v[82:83], v[98:99] op_sel:[0,0,1] op_sel_hi:[1,1,0] neg_lo:[0,0,1] neg_hi:[0,0,1]
	v_pk_fma_f32 v[66:67], v[66:67], v[82:83], v[98:99] op_sel:[0,0,1] op_sel_hi:[1,0,0]
	v_mov_b32_e32 v77, v65
	v_pk_add_f32 v[58:59], v[58:59], v[60:61]
	v_mov_b32_e32 v104, v89
	v_pk_mul_f32 v[102:103], v[70:71], v[102:103] op_sel_hi:[1,0]
	s_waitcnt vmcnt(5)
	v_pk_fma_f32 v[80:81], v[68:69], v[84:85], v[100:101] op_sel:[0,0,1] op_sel_hi:[1,1,0] neg_lo:[0,0,1] neg_hi:[0,0,1]
	v_pk_fma_f32 v[68:69], v[68:69], v[84:85], v[100:101] op_sel:[0,0,1] op_sel_hi:[1,0,0]
	v_mov_b32_e32 v79, v67
	v_pk_add_f32 v[58:59], v[58:59], v[76:77]
	v_mov_b32_e32 v106, v91
	s_waitcnt lgkmcnt(0)
	v_pk_mul_f32 v[104:105], v[72:73], v[104:105] op_sel_hi:[1,0]
	s_waitcnt vmcnt(4)
	v_pk_fma_f32 v[82:83], v[70:71], v[86:87], v[102:103] op_sel:[0,0,1] op_sel_hi:[1,1,0] neg_lo:[0,0,1] neg_hi:[0,0,1]
	v_pk_fma_f32 v[70:71], v[70:71], v[86:87], v[102:103] op_sel:[0,0,1] op_sel_hi:[1,0,0]
	v_mov_b32_e32 v81, v69
	v_pk_add_f32 v[58:59], v[58:59], v[78:79]
	v_pk_mul_f32 v[106:107], v[74:75], v[106:107] op_sel_hi:[1,0]
	s_waitcnt vmcnt(3)
	v_pk_fma_f32 v[84:85], v[72:73], v[88:89], v[104:105] op_sel:[0,0,1] op_sel_hi:[1,1,0] neg_lo:[0,0,1] neg_hi:[0,0,1]
	v_pk_fma_f32 v[72:73], v[72:73], v[88:89], v[104:105] op_sel:[0,0,1] op_sel_hi:[1,0,0]
	v_mov_b32_e32 v83, v71
	v_pk_add_f32 v[58:59], v[58:59], v[80:81]
	s_waitcnt vmcnt(2)
	v_pk_fma_f32 v[86:87], v[74:75], v[90:91], v[106:107] op_sel:[0,0,1] op_sel_hi:[1,1,0] neg_lo:[0,0,1] neg_hi:[0,0,1]
	v_pk_fma_f32 v[74:75], v[74:75], v[90:91], v[106:107] op_sel:[0,0,1] op_sel_hi:[1,0,0]
	v_mov_b32_e32 v85, v73
	v_pk_add_f32 v[58:59], v[58:59], v[82:83]
	v_mov_b32_e32 v87, v75
	v_pk_add_f32 v[58:59], v[58:59], v[84:85]
	v_pk_add_f32 v[58:59], v[58:59], v[86:87]
	s_waitcnt vmcnt(0)
	v_pk_add_f32 v[58:59], v[92:93], v[58:59] neg_lo:[0,1] neg_hi:[0,1]
	buffer_store_dword v58, off, s[0:3], 0 offset:152
	buffer_store_dword v59, off, s[0:3], 0 offset:156
	s_and_saveexec_b64 s[4:5], vcc
	s_cbranch_execz .LBB91_145
; %bb.144:
	buffer_load_dword v58, off, s[0:3], 0 offset:144
	buffer_load_dword v59, off, s[0:3], 0 offset:148
	v_mov_b32_e32 v60, 0
	buffer_store_dword v60, off, s[0:3], 0 offset:144
	buffer_store_dword v60, off, s[0:3], 0 offset:148
	s_waitcnt vmcnt(2)
	ds_write_b64 v1, v[58:59]
.LBB91_145:
	s_or_b64 exec, exec, s[4:5]
	s_waitcnt lgkmcnt(0)
	; wave barrier
	s_waitcnt lgkmcnt(0)
	buffer_load_dword v59, off, s[0:3], 0 offset:156
	buffer_load_dword v77, off, s[0:3], 0 offset:164
	;; [unrolled: 1-line block ×20, first 2 shown]
	v_mov_b32_e32 v58, 0
	ds_read2_b64 v[60:63], v58 offset0:47 offset1:48
	ds_read2_b64 v[64:67], v58 offset0:49 offset1:50
	ds_read2_b64 v[68:71], v58 offset0:51 offset1:52
	ds_read2_b64 v[72:75], v58 offset0:53 offset1:54
	ds_read_b64 v[94:95], v58 offset:440
	v_cmp_lt_u32_e32 vcc, 17, v0
	s_waitcnt vmcnt(19) lgkmcnt(4)
	v_mul_f32_e32 v97, v60, v59
	v_mul_f32_e32 v59, v61, v59
	s_waitcnt vmcnt(18)
	v_mov_b32_e32 v98, v77
	s_waitcnt vmcnt(17)
	v_mov_b32_e32 v100, v79
	;; [unrolled: 2-line block ×8, first 2 shown]
	s_waitcnt vmcnt(10)
	v_fmac_f32_e32 v97, v61, v96
	v_fma_f32 v96, v60, v96, -v59
	v_pk_mul_f32 v[60:61], v[62:63], v[98:99] op_sel_hi:[1,0]
	s_waitcnt lgkmcnt(3)
	v_pk_mul_f32 v[98:99], v[64:65], v[100:101] op_sel_hi:[1,0]
	v_pk_mul_f32 v[100:101], v[66:67], v[102:103] op_sel_hi:[1,0]
	s_waitcnt lgkmcnt(2)
	v_pk_mul_f32 v[102:103], v[68:69], v[104:105] op_sel_hi:[1,0]
	;; [unrolled: 3-line block ×4, first 2 shown]
	s_waitcnt vmcnt(9)
	v_pk_fma_f32 v[112:113], v[62:63], v[76:77], v[60:61] op_sel:[0,0,1] op_sel_hi:[1,1,0] neg_lo:[0,0,1] neg_hi:[0,0,1]
	v_pk_fma_f32 v[60:61], v[62:63], v[76:77], v[60:61] op_sel:[0,0,1] op_sel_hi:[1,0,0]
	v_pk_add_f32 v[96:97], v[96:97], 0 op_sel_hi:[1,0]
	s_waitcnt vmcnt(8)
	v_pk_fma_f32 v[62:63], v[64:65], v[78:79], v[98:99] op_sel:[0,0,1] op_sel_hi:[1,1,0] neg_lo:[0,0,1] neg_hi:[0,0,1]
	v_pk_fma_f32 v[64:65], v[64:65], v[78:79], v[98:99] op_sel:[0,0,1] op_sel_hi:[1,0,0]
	v_mov_b32_e32 v113, v61
	s_waitcnt vmcnt(7)
	v_pk_fma_f32 v[76:77], v[66:67], v[80:81], v[100:101] op_sel:[0,0,1] op_sel_hi:[1,1,0] neg_lo:[0,0,1] neg_hi:[0,0,1]
	v_pk_fma_f32 v[66:67], v[66:67], v[80:81], v[100:101] op_sel:[0,0,1] op_sel_hi:[1,0,0]
	v_mov_b32_e32 v63, v65
	v_pk_add_f32 v[60:61], v[96:97], v[112:113]
	s_waitcnt vmcnt(6)
	v_pk_fma_f32 v[78:79], v[68:69], v[82:83], v[102:103] op_sel:[0,0,1] op_sel_hi:[1,1,0] neg_lo:[0,0,1] neg_hi:[0,0,1]
	v_pk_fma_f32 v[68:69], v[68:69], v[82:83], v[102:103] op_sel:[0,0,1] op_sel_hi:[1,0,0]
	v_mov_b32_e32 v77, v67
	v_pk_add_f32 v[60:61], v[60:61], v[62:63]
	;; [unrolled: 5-line block ×5, first 2 shown]
	v_pk_fma_f32 v[86:87], v[94:95], v[90:91], v[110:111] op_sel:[0,0,1] op_sel_hi:[1,1,0] neg_lo:[0,0,1] neg_hi:[0,0,1]
	v_pk_fma_f32 v[88:89], v[94:95], v[90:91], v[110:111] op_sel:[0,0,1] op_sel_hi:[1,0,0]
	v_mov_b32_e32 v85, v75
	v_pk_add_f32 v[60:61], v[60:61], v[82:83]
	v_mov_b32_e32 v87, v89
	v_pk_add_f32 v[60:61], v[60:61], v[84:85]
	v_pk_add_f32 v[60:61], v[60:61], v[86:87]
	s_waitcnt vmcnt(0)
	v_pk_add_f32 v[60:61], v[92:93], v[60:61] neg_lo:[0,1] neg_hi:[0,1]
	buffer_store_dword v60, off, s[0:3], 0 offset:144
	buffer_store_dword v61, off, s[0:3], 0 offset:148
	s_and_saveexec_b64 s[4:5], vcc
	s_cbranch_execz .LBB91_147
; %bb.146:
	buffer_load_dword v60, off, s[0:3], 0 offset:136
	buffer_load_dword v61, off, s[0:3], 0 offset:140
	s_waitcnt vmcnt(0)
	ds_write_b64 v1, v[60:61]
	buffer_store_dword v58, off, s[0:3], 0 offset:136
	buffer_store_dword v58, off, s[0:3], 0 offset:140
.LBB91_147:
	s_or_b64 exec, exec, s[4:5]
	s_waitcnt lgkmcnt(0)
	; wave barrier
	s_waitcnt lgkmcnt(0)
	buffer_load_dword v98, off, s[0:3], 0 offset:148
	buffer_load_dword v100, off, s[0:3], 0 offset:156
	;; [unrolled: 1-line block ×22, first 2 shown]
	ds_read_b128 v[60:63], v58 offset:368
	ds_read_b128 v[64:67], v58 offset:384
	;; [unrolled: 1-line block ×5, first 2 shown]
	v_cmp_lt_u32_e32 vcc, 16, v0
	s_waitcnt vmcnt(21) lgkmcnt(4)
	v_mul_f32_e32 v59, v60, v98
	s_waitcnt vmcnt(20)
	v_mul_f32_e32 v99, v62, v100
	v_mul_f32_e32 v58, v61, v98
	;; [unrolled: 1-line block ×3, first 2 shown]
	s_waitcnt vmcnt(19)
	v_mov_b32_e32 v100, v81
	s_waitcnt vmcnt(18)
	v_mov_b32_e32 v102, v83
	;; [unrolled: 2-line block ×5, first 2 shown]
	v_mov_b32_e32 v106, v87
	s_waitcnt vmcnt(11)
	v_fmac_f32_e32 v59, v61, v101
	v_fma_f32 v58, v60, v101, -v58
	s_waitcnt lgkmcnt(3)
	v_pk_mul_f32 v[60:61], v[64:65], v[100:101] op_sel_hi:[1,0]
	s_waitcnt vmcnt(10)
	v_fmac_f32_e32 v99, v63, v103
	v_fma_f32 v98, v62, v103, -v98
	v_pk_mul_f32 v[62:63], v[66:67], v[102:103] op_sel_hi:[1,0]
	s_waitcnt lgkmcnt(2)
	v_pk_mul_f32 v[100:101], v[68:69], v[104:105] op_sel_hi:[1,0]
	s_waitcnt lgkmcnt(1)
	;; [unrolled: 2-line block ×3, first 2 shown]
	v_pk_mul_f32 v[108:109], v[76:77], v[112:113] op_sel_hi:[1,0]
	v_pk_add_f32 v[58:59], v[58:59], 0 op_sel_hi:[1,0]
	s_waitcnt vmcnt(9)
	v_pk_fma_f32 v[112:113], v[64:65], v[80:81], v[60:61] op_sel:[0,0,1] op_sel_hi:[1,1,0] neg_lo:[0,0,1] neg_hi:[0,0,1]
	v_pk_fma_f32 v[60:61], v[64:65], v[80:81], v[60:61] op_sel:[0,0,1] op_sel_hi:[1,0,0]
	s_waitcnt vmcnt(8)
	v_pk_fma_f32 v[64:65], v[66:67], v[82:83], v[62:63] op_sel:[0,0,1] op_sel_hi:[1,1,0] neg_lo:[0,0,1] neg_hi:[0,0,1]
	v_pk_fma_f32 v[62:63], v[66:67], v[82:83], v[62:63] op_sel:[0,0,1] op_sel_hi:[1,0,0]
	v_pk_add_f32 v[58:59], v[58:59], v[98:99]
	v_mov_b32_e32 v113, v61
	v_pk_mul_f32 v[102:103], v[70:71], v[106:107] op_sel_hi:[1,0]
	s_waitcnt vmcnt(7)
	v_pk_fma_f32 v[66:67], v[68:69], v[84:85], v[100:101] op_sel:[0,0,1] op_sel_hi:[1,1,0] neg_lo:[0,0,1] neg_hi:[0,0,1]
	v_pk_fma_f32 v[68:69], v[68:69], v[84:85], v[100:101] op_sel:[0,0,1] op_sel_hi:[1,0,0]
	v_mov_b32_e32 v65, v63
	v_pk_add_f32 v[58:59], v[58:59], v[112:113]
	v_mov_b32_e32 v110, v91
	s_waitcnt vmcnt(6)
	v_pk_fma_f32 v[80:81], v[70:71], v[86:87], v[102:103] op_sel:[0,0,1] op_sel_hi:[1,1,0] neg_lo:[0,0,1] neg_hi:[0,0,1]
	v_pk_fma_f32 v[70:71], v[70:71], v[86:87], v[102:103] op_sel:[0,0,1] op_sel_hi:[1,0,0]
	v_mov_b32_e32 v67, v69
	v_pk_add_f32 v[58:59], v[58:59], v[64:65]
	v_pk_mul_f32 v[106:107], v[74:75], v[110:111] op_sel_hi:[1,0]
	s_waitcnt vmcnt(5)
	v_pk_fma_f32 v[82:83], v[72:73], v[88:89], v[104:105] op_sel:[0,0,1] op_sel_hi:[1,1,0] neg_lo:[0,0,1] neg_hi:[0,0,1]
	v_pk_fma_f32 v[72:73], v[72:73], v[88:89], v[104:105] op_sel:[0,0,1] op_sel_hi:[1,0,0]
	v_mov_b32_e32 v81, v71
	v_pk_add_f32 v[58:59], v[58:59], v[66:67]
	v_mov_b32_e32 v114, v95
	s_waitcnt vmcnt(2)
	v_pk_fma_f32 v[84:85], v[74:75], v[90:91], v[106:107] op_sel:[0,0,1] op_sel_hi:[1,1,0] neg_lo:[0,0,1] neg_hi:[0,0,1]
	v_pk_fma_f32 v[74:75], v[74:75], v[90:91], v[106:107] op_sel:[0,0,1] op_sel_hi:[1,0,0]
	v_mov_b32_e32 v83, v73
	v_pk_add_f32 v[58:59], v[58:59], v[80:81]
	v_pk_mul_f32 v[110:111], v[78:79], v[114:115] op_sel_hi:[1,0]
	v_pk_fma_f32 v[86:87], v[76:77], v[92:93], v[108:109] op_sel:[0,0,1] op_sel_hi:[1,1,0] neg_lo:[0,0,1] neg_hi:[0,0,1]
	v_pk_fma_f32 v[76:77], v[76:77], v[92:93], v[108:109] op_sel:[0,0,1] op_sel_hi:[1,0,0]
	v_mov_b32_e32 v85, v75
	v_pk_add_f32 v[58:59], v[58:59], v[82:83]
	v_pk_fma_f32 v[88:89], v[78:79], v[94:95], v[110:111] op_sel:[0,0,1] op_sel_hi:[1,1,0] neg_lo:[0,0,1] neg_hi:[0,0,1]
	v_pk_fma_f32 v[78:79], v[78:79], v[94:95], v[110:111] op_sel:[0,0,1] op_sel_hi:[1,0,0]
	v_mov_b32_e32 v87, v77
	v_pk_add_f32 v[58:59], v[58:59], v[84:85]
	v_mov_b32_e32 v89, v79
	v_pk_add_f32 v[58:59], v[58:59], v[86:87]
	v_pk_add_f32 v[58:59], v[58:59], v[88:89]
	s_waitcnt vmcnt(0)
	v_pk_add_f32 v[58:59], v[96:97], v[58:59] neg_lo:[0,1] neg_hi:[0,1]
	buffer_store_dword v58, off, s[0:3], 0 offset:136
	buffer_store_dword v59, off, s[0:3], 0 offset:140
	s_and_saveexec_b64 s[4:5], vcc
	s_cbranch_execz .LBB91_149
; %bb.148:
	buffer_load_dword v58, off, s[0:3], 0 offset:128
	buffer_load_dword v59, off, s[0:3], 0 offset:132
	v_mov_b32_e32 v60, 0
	buffer_store_dword v60, off, s[0:3], 0 offset:128
	buffer_store_dword v60, off, s[0:3], 0 offset:132
	s_waitcnt vmcnt(2)
	ds_write_b64 v1, v[58:59]
.LBB91_149:
	s_or_b64 exec, exec, s[4:5]
	s_waitcnt lgkmcnt(0)
	; wave barrier
	s_waitcnt lgkmcnt(0)
	buffer_load_dword v59, off, s[0:3], 0 offset:140
	buffer_load_dword v100, off, s[0:3], 0 offset:148
	;; [unrolled: 1-line block ×24, first 2 shown]
	v_mov_b32_e32 v58, 0
	ds_read2_b64 v[60:63], v58 offset0:45 offset1:46
	ds_read2_b64 v[64:67], v58 offset0:47 offset1:48
	;; [unrolled: 1-line block ×5, first 2 shown]
	ds_read_b64 v[98:99], v58 offset:440
	v_cmp_lt_u32_e32 vcc, 15, v0
	s_waitcnt vmcnt(23) lgkmcnt(5)
	v_mul_f32_e32 v113, v60, v59
	v_mul_f32_e32 v59, v61, v59
	s_waitcnt vmcnt(22)
	v_mul_f32_e32 v101, v62, v100
	s_waitcnt vmcnt(21) lgkmcnt(4)
	v_mul_f32_e32 v103, v64, v102
	v_mul_f32_e32 v100, v63, v100
	;; [unrolled: 1-line block ×3, first 2 shown]
	s_waitcnt vmcnt(20)
	v_mov_b32_e32 v104, v81
	s_waitcnt vmcnt(19)
	v_mov_b32_e32 v106, v83
	;; [unrolled: 2-line block ×5, first 2 shown]
	s_waitcnt vmcnt(12)
	v_fmac_f32_e32 v113, v61, v105
	v_fma_f32 v59, v60, v105, -v59
	v_mov_b32_e32 v114, v91
	s_waitcnt vmcnt(11)
	v_fmac_f32_e32 v101, v63, v107
	s_waitcnt vmcnt(10)
	v_fmac_f32_e32 v103, v65, v109
	v_fma_f32 v100, v62, v107, -v100
	v_fma_f32 v102, v64, v109, -v102
	v_pk_mul_f32 v[60:61], v[66:67], v[104:105] op_sel_hi:[1,0]
	s_waitcnt lgkmcnt(3)
	v_pk_mul_f32 v[62:63], v[68:69], v[106:107] op_sel_hi:[1,0]
	v_pk_mul_f32 v[64:65], v[70:71], v[108:109] op_sel_hi:[1,0]
	s_waitcnt lgkmcnt(2)
	v_pk_mul_f32 v[104:105], v[72:73], v[110:111] op_sel_hi:[1,0]
	v_pk_mul_f32 v[106:107], v[74:75], v[112:113] op_sel_hi:[1,0]
	v_add_f32_e32 v113, 0, v113
	v_add_f32_e32 v112, 0, v59
	s_waitcnt lgkmcnt(1)
	v_pk_mul_f32 v[108:109], v[76:77], v[114:115] op_sel_hi:[1,0]
	s_waitcnt vmcnt(9)
	v_pk_fma_f32 v[114:115], v[66:67], v[80:81], v[60:61] op_sel:[0,0,1] op_sel_hi:[1,1,0] neg_lo:[0,0,1] neg_hi:[0,0,1]
	v_pk_fma_f32 v[60:61], v[66:67], v[80:81], v[60:61] op_sel:[0,0,1] op_sel_hi:[1,0,0]
	s_waitcnt vmcnt(8)
	v_pk_fma_f32 v[66:67], v[68:69], v[82:83], v[62:63] op_sel:[0,0,1] op_sel_hi:[1,1,0] neg_lo:[0,0,1] neg_hi:[0,0,1]
	v_pk_fma_f32 v[62:63], v[68:69], v[82:83], v[62:63] op_sel:[0,0,1] op_sel_hi:[1,0,0]
	;; [unrolled: 3-line block ×4, first 2 shown]
	v_pk_add_f32 v[86:87], v[112:113], v[100:101]
	v_mov_b32_e32 v115, v61
	v_pk_add_f32 v[60:61], v[86:87], v[102:103]
	v_mov_b32_e32 v67, v63
	;; [unrolled: 2-line block ×4, first 2 shown]
	s_waitcnt vmcnt(2)
	v_pk_fma_f32 v[80:81], v[74:75], v[88:89], v[106:107] op_sel:[0,0,1] op_sel_hi:[1,1,0] neg_lo:[0,0,1] neg_hi:[0,0,1]
	v_pk_fma_f32 v[74:75], v[74:75], v[88:89], v[106:107] op_sel:[0,0,1] op_sel_hi:[1,0,0]
	v_mov_b32_e32 v71, v73
	v_pk_add_f32 v[60:61], v[60:61], v[68:69]
	v_mov_b32_e32 v118, v95
	v_pk_mul_f32 v[110:111], v[78:79], v[116:117] op_sel_hi:[1,0]
	v_pk_fma_f32 v[82:83], v[76:77], v[90:91], v[108:109] op_sel:[0,0,1] op_sel_hi:[1,1,0] neg_lo:[0,0,1] neg_hi:[0,0,1]
	v_pk_fma_f32 v[76:77], v[76:77], v[90:91], v[108:109] op_sel:[0,0,1] op_sel_hi:[1,0,0]
	v_mov_b32_e32 v81, v75
	v_pk_add_f32 v[60:61], v[60:61], v[70:71]
	v_pk_fma_f32 v[84:85], v[78:79], v[92:93], v[110:111] op_sel:[0,0,1] op_sel_hi:[1,1,0] neg_lo:[0,0,1] neg_hi:[0,0,1]
	v_pk_fma_f32 v[78:79], v[78:79], v[92:93], v[110:111] op_sel:[0,0,1] op_sel_hi:[1,0,0]
	v_mov_b32_e32 v83, v77
	v_pk_add_f32 v[60:61], v[60:61], v[80:81]
	s_waitcnt lgkmcnt(0)
	v_pk_mul_f32 v[62:63], v[98:99], v[118:119] op_sel_hi:[1,0]
	v_mov_b32_e32 v85, v79
	v_pk_add_f32 v[60:61], v[60:61], v[82:83]
	v_pk_fma_f32 v[64:65], v[98:99], v[94:95], v[62:63] op_sel:[0,0,1] op_sel_hi:[1,1,0] neg_lo:[0,0,1] neg_hi:[0,0,1]
	v_pk_fma_f32 v[62:63], v[98:99], v[94:95], v[62:63] op_sel:[0,0,1] op_sel_hi:[1,0,0]
	v_pk_add_f32 v[60:61], v[60:61], v[84:85]
	v_mov_b32_e32 v65, v63
	v_pk_add_f32 v[60:61], v[60:61], v[64:65]
	s_waitcnt vmcnt(0)
	v_pk_add_f32 v[60:61], v[96:97], v[60:61] neg_lo:[0,1] neg_hi:[0,1]
	buffer_store_dword v61, off, s[0:3], 0 offset:132
	buffer_store_dword v60, off, s[0:3], 0 offset:128
	s_and_saveexec_b64 s[4:5], vcc
	s_cbranch_execz .LBB91_151
; %bb.150:
	buffer_load_dword v60, off, s[0:3], 0 offset:120
	buffer_load_dword v61, off, s[0:3], 0 offset:124
	s_waitcnt vmcnt(0)
	ds_write_b64 v1, v[60:61]
	buffer_store_dword v58, off, s[0:3], 0 offset:120
	buffer_store_dword v58, off, s[0:3], 0 offset:124
.LBB91_151:
	s_or_b64 exec, exec, s[4:5]
	s_waitcnt lgkmcnt(0)
	; wave barrier
	s_waitcnt lgkmcnt(0)
	buffer_load_dword v102, off, s[0:3], 0 offset:132
	buffer_load_dword v104, off, s[0:3], 0 offset:140
	;; [unrolled: 1-line block ×26, first 2 shown]
	ds_read_b128 v[60:63], v58 offset:352
	ds_read_b128 v[64:67], v58 offset:368
	;; [unrolled: 1-line block ×6, first 2 shown]
	v_cmp_lt_u32_e32 vcc, 14, v0
	s_waitcnt vmcnt(25) lgkmcnt(5)
	v_mul_f32_e32 v115, v60, v102
	v_mul_f32_e32 v58, v61, v102
	s_waitcnt vmcnt(24)
	v_mul_f32_e32 v116, v62, v104
	s_waitcnt vmcnt(23) lgkmcnt(4)
	v_mul_f32_e32 v59, v64, v105
	s_waitcnt vmcnt(22)
	v_mul_f32_e32 v103, v66, v106
	v_mul_f32_e32 v102, v63, v104
	;; [unrolled: 1-line block ×4, first 2 shown]
	s_waitcnt vmcnt(21)
	v_mov_b32_e32 v104, v85
	s_waitcnt vmcnt(20)
	v_mov_b32_e32 v106, v87
	;; [unrolled: 2-line block ×3, first 2 shown]
	s_waitcnt vmcnt(15)
	v_fmac_f32_e32 v115, v61, v107
	v_fma_f32 v118, v60, v107, -v58
	v_mov_b32_e32 v108, v89
	s_waitcnt vmcnt(14)
	v_fmac_f32_e32 v116, v63, v109
	s_waitcnt vmcnt(13)
	v_fmac_f32_e32 v59, v65, v111
	;; [unrolled: 2-line block ×3, first 2 shown]
	v_fma_f32 v119, v62, v109, -v102
	v_fma_f32 v58, v64, v111, -v105
	;; [unrolled: 1-line block ×3, first 2 shown]
	s_waitcnt lgkmcnt(3)
	v_pk_mul_f32 v[60:61], v[68:69], v[104:105] op_sel_hi:[1,0]
	v_pk_mul_f32 v[62:63], v[70:71], v[106:107] op_sel_hi:[1,0]
	s_waitcnt lgkmcnt(2)
	v_pk_mul_f32 v[66:67], v[74:75], v[110:111] op_sel_hi:[1,0]
	v_add_f32_e32 v110, 0, v115
	v_add_f32_e32 v111, 0, v118
	v_pk_mul_f32 v[64:65], v[72:73], v[108:109] op_sel_hi:[1,0]
	s_waitcnt vmcnt(11)
	v_pk_fma_f32 v[108:109], v[68:69], v[84:85], v[60:61] op_sel:[0,0,1] op_sel_hi:[1,1,0] neg_lo:[0,0,1] neg_hi:[0,0,1]
	v_pk_fma_f32 v[60:61], v[68:69], v[84:85], v[60:61] op_sel:[0,0,1] op_sel_hi:[1,0,0]
	s_waitcnt vmcnt(10)
	v_pk_fma_f32 v[68:69], v[70:71], v[86:87], v[62:63] op_sel:[0,0,1] op_sel_hi:[1,1,0] neg_lo:[0,0,1] neg_hi:[0,0,1]
	v_pk_fma_f32 v[62:63], v[70:71], v[86:87], v[62:63] op_sel:[0,0,1] op_sel_hi:[1,0,0]
	v_add_f32_e32 v87, v110, v116
	v_add_f32_e32 v86, v111, v119
	v_pk_add_f32 v[58:59], v[86:87], v[58:59]
	v_mov_b32_e32 v109, v61
	v_pk_add_f32 v[58:59], v[58:59], v[102:103]
	v_mov_b32_e32 v112, v93
	s_waitcnt vmcnt(9)
	v_pk_fma_f32 v[70:71], v[72:73], v[88:89], v[64:65] op_sel:[0,0,1] op_sel_hi:[1,1,0] neg_lo:[0,0,1] neg_hi:[0,0,1]
	v_pk_fma_f32 v[64:65], v[72:73], v[88:89], v[64:65] op_sel:[0,0,1] op_sel_hi:[1,0,0]
	v_mov_b32_e32 v69, v63
	v_pk_add_f32 v[58:59], v[58:59], v[108:109]
	v_mov_b32_e32 v114, v95
	s_waitcnt lgkmcnt(1)
	v_pk_mul_f32 v[104:105], v[76:77], v[112:113] op_sel_hi:[1,0]
	s_waitcnt vmcnt(5)
	v_pk_fma_f32 v[72:73], v[74:75], v[90:91], v[66:67] op_sel:[0,0,1] op_sel_hi:[1,1,0] neg_lo:[0,0,1] neg_hi:[0,0,1]
	v_pk_fma_f32 v[66:67], v[74:75], v[90:91], v[66:67] op_sel:[0,0,1] op_sel_hi:[1,0,0]
	v_mov_b32_e32 v71, v65
	v_pk_add_f32 v[58:59], v[58:59], v[68:69]
	s_waitcnt vmcnt(4)
	v_mov_b32_e32 v60, v97
	v_pk_mul_f32 v[106:107], v[78:79], v[114:115] op_sel_hi:[1,0]
	v_pk_fma_f32 v[74:75], v[76:77], v[92:93], v[104:105] op_sel:[0,0,1] op_sel_hi:[1,1,0] neg_lo:[0,0,1] neg_hi:[0,0,1]
	v_pk_fma_f32 v[76:77], v[76:77], v[92:93], v[104:105] op_sel:[0,0,1] op_sel_hi:[1,0,0]
	v_mov_b32_e32 v73, v67
	v_pk_add_f32 v[58:59], v[58:59], v[70:71]
	s_waitcnt lgkmcnt(0)
	v_pk_mul_f32 v[60:61], v[80:81], v[60:61] op_sel_hi:[1,0]
	v_pk_fma_f32 v[84:85], v[78:79], v[94:95], v[106:107] op_sel:[0,0,1] op_sel_hi:[1,1,0] neg_lo:[0,0,1] neg_hi:[0,0,1]
	v_pk_fma_f32 v[78:79], v[78:79], v[94:95], v[106:107] op_sel:[0,0,1] op_sel_hi:[1,0,0]
	v_mov_b32_e32 v75, v77
	v_pk_add_f32 v[58:59], v[58:59], v[72:73]
	v_pk_fma_f32 v[62:63], v[80:81], v[96:97], v[60:61] op_sel:[0,0,1] op_sel_hi:[1,1,0] neg_lo:[0,0,1] neg_hi:[0,0,1]
	v_pk_fma_f32 v[60:61], v[80:81], v[96:97], v[60:61] op_sel:[0,0,1] op_sel_hi:[1,0,0]
	v_mov_b32_e32 v85, v79
	v_pk_add_f32 v[58:59], v[58:59], v[74:75]
	s_waitcnt vmcnt(3)
	v_mov_b32_e32 v60, v99
	v_pk_add_f32 v[58:59], v[58:59], v[84:85]
	v_mov_b32_e32 v63, v61
	v_pk_mul_f32 v[60:61], v[82:83], v[60:61] op_sel_hi:[1,0]
	v_pk_add_f32 v[58:59], v[58:59], v[62:63]
	s_waitcnt vmcnt(2)
	v_pk_fma_f32 v[62:63], v[82:83], v[98:99], v[60:61] op_sel:[0,0,1] op_sel_hi:[1,1,0] neg_lo:[0,0,1] neg_hi:[0,0,1]
	v_pk_fma_f32 v[60:61], v[82:83], v[98:99], v[60:61] op_sel:[0,0,1] op_sel_hi:[1,0,0]
	v_mov_b32_e32 v63, v61
	v_pk_add_f32 v[58:59], v[58:59], v[62:63]
	s_waitcnt vmcnt(0)
	v_pk_add_f32 v[58:59], v[100:101], v[58:59] neg_lo:[0,1] neg_hi:[0,1]
	buffer_store_dword v59, off, s[0:3], 0 offset:124
	buffer_store_dword v58, off, s[0:3], 0 offset:120
	s_and_saveexec_b64 s[4:5], vcc
	s_cbranch_execz .LBB91_153
; %bb.152:
	buffer_load_dword v58, off, s[0:3], 0 offset:112
	buffer_load_dword v59, off, s[0:3], 0 offset:116
	v_mov_b32_e32 v60, 0
	buffer_store_dword v60, off, s[0:3], 0 offset:112
	buffer_store_dword v60, off, s[0:3], 0 offset:116
	s_waitcnt vmcnt(2)
	ds_write_b64 v1, v[58:59]
.LBB91_153:
	s_or_b64 exec, exec, s[4:5]
	s_waitcnt lgkmcnt(0)
	; wave barrier
	s_waitcnt lgkmcnt(0)
	buffer_load_dword v59, off, s[0:3], 0 offset:124
	buffer_load_dword v104, off, s[0:3], 0 offset:132
	;; [unrolled: 1-line block ×28, first 2 shown]
	v_mov_b32_e32 v58, 0
	ds_read2_b64 v[60:63], v58 offset0:43 offset1:44
	ds_read2_b64 v[64:67], v58 offset0:45 offset1:46
	;; [unrolled: 1-line block ×6, first 2 shown]
	ds_read_b64 v[102:103], v58 offset:440
	v_cmp_lt_u32_e32 vcc, 13, v0
	s_waitcnt vmcnt(27) lgkmcnt(6)
	v_mul_f32_e32 v119, v60, v59
	v_mul_f32_e32 v59, v61, v59
	s_waitcnt vmcnt(26)
	v_mul_f32_e32 v120, v62, v104
	s_waitcnt vmcnt(24) lgkmcnt(5)
	v_mul_f32_e32 v105, v66, v108
	s_waitcnt vmcnt(23) lgkmcnt(4)
	v_mul_f32_e32 v107, v68, v109
	v_mul_f32_e32 v122, v67, v108
	;; [unrolled: 1-line block ×3, first 2 shown]
	s_waitcnt vmcnt(22)
	v_mov_b32_e32 v108, v85
	v_mul_f32_e32 v121, v64, v106
	v_mul_f32_e32 v104, v63, v104
	;; [unrolled: 1-line block ×3, first 2 shown]
	s_waitcnt vmcnt(17)
	v_fmac_f32_e32 v119, v61, v111
	v_fma_f32 v59, v60, v111, -v59
	v_pk_mul_f32 v[60:61], v[70:71], v[108:109] op_sel_hi:[1,0]
	s_waitcnt vmcnt(16)
	v_fmac_f32_e32 v120, v63, v113
	s_waitcnt vmcnt(13)
	v_fmac_f32_e32 v107, v69, v118
	v_fma_f32 v111, v62, v113, -v104
	v_fma_f32 v113, v64, v115, -v106
	;; [unrolled: 1-line block ×3, first 2 shown]
	v_add_f32_e32 v108, 0, v119
	v_add_f32_e32 v59, 0, v59
	s_waitcnt vmcnt(12)
	v_pk_fma_f32 v[68:69], v[70:71], v[84:85], v[60:61] op_sel:[0,0,1] op_sel_hi:[1,1,0] neg_lo:[0,0,1] neg_hi:[0,0,1]
	v_pk_fma_f32 v[60:61], v[70:71], v[84:85], v[60:61] op_sel:[0,0,1] op_sel_hi:[1,0,0]
	v_fmac_f32_e32 v121, v65, v115
	v_add_f32_e32 v60, v108, v120
	v_add_f32_e32 v59, v59, v111
	v_mov_b32_e32 v110, v87
	v_fmac_f32_e32 v105, v67, v117
	v_fma_f32 v104, v66, v117, -v122
	v_mov_b32_e32 v69, v61
	v_add_f32_e32 v61, v60, v121
	v_add_f32_e32 v60, v59, v113
	v_mov_b32_e32 v112, v89
	s_waitcnt lgkmcnt(3)
	v_pk_mul_f32 v[62:63], v[72:73], v[110:111] op_sel_hi:[1,0]
	v_pk_add_f32 v[60:61], v[60:61], v[104:105]
	v_mov_b32_e32 v114, v91
	v_mov_b32_e32 v116, v93
	v_pk_mul_f32 v[64:65], v[74:75], v[112:113] op_sel_hi:[1,0]
	s_waitcnt vmcnt(11)
	v_pk_fma_f32 v[70:71], v[72:73], v[86:87], v[62:63] op_sel:[0,0,1] op_sel_hi:[1,1,0] neg_lo:[0,0,1] neg_hi:[0,0,1]
	v_pk_fma_f32 v[62:63], v[72:73], v[86:87], v[62:63] op_sel:[0,0,1] op_sel_hi:[1,0,0]
	v_pk_add_f32 v[60:61], v[60:61], v[106:107]
	s_waitcnt lgkmcnt(2)
	v_pk_mul_f32 v[66:67], v[76:77], v[114:115] op_sel_hi:[1,0]
	s_waitcnt vmcnt(7)
	v_pk_fma_f32 v[72:73], v[74:75], v[88:89], v[64:65] op_sel:[0,0,1] op_sel_hi:[1,1,0] neg_lo:[0,0,1] neg_hi:[0,0,1]
	v_pk_fma_f32 v[64:65], v[74:75], v[88:89], v[64:65] op_sel:[0,0,1] op_sel_hi:[1,0,0]
	v_mov_b32_e32 v71, v63
	v_pk_add_f32 v[60:61], v[60:61], v[68:69]
	v_pk_mul_f32 v[62:63], v[78:79], v[116:117] op_sel_hi:[1,0]
	v_pk_fma_f32 v[74:75], v[76:77], v[90:91], v[66:67] op_sel:[0,0,1] op_sel_hi:[1,1,0] neg_lo:[0,0,1] neg_hi:[0,0,1]
	v_pk_fma_f32 v[66:67], v[76:77], v[90:91], v[66:67] op_sel:[0,0,1] op_sel_hi:[1,0,0]
	v_mov_b32_e32 v73, v65
	v_pk_add_f32 v[60:61], v[60:61], v[70:71]
	v_pk_fma_f32 v[64:65], v[78:79], v[92:93], v[62:63] op_sel:[0,0,1] op_sel_hi:[1,1,0] neg_lo:[0,0,1] neg_hi:[0,0,1]
	v_pk_fma_f32 v[62:63], v[78:79], v[92:93], v[62:63] op_sel:[0,0,1] op_sel_hi:[1,0,0]
	v_mov_b32_e32 v75, v67
	v_pk_add_f32 v[60:61], v[60:61], v[72:73]
	s_waitcnt vmcnt(6)
	v_mov_b32_e32 v62, v95
	v_pk_add_f32 v[60:61], v[60:61], v[74:75]
	v_mov_b32_e32 v65, v63
	s_waitcnt lgkmcnt(1)
	v_pk_mul_f32 v[62:63], v[80:81], v[62:63] op_sel_hi:[1,0]
	v_pk_add_f32 v[60:61], v[60:61], v[64:65]
	v_pk_fma_f32 v[64:65], v[80:81], v[94:95], v[62:63] op_sel:[0,0,1] op_sel_hi:[1,1,0] neg_lo:[0,0,1] neg_hi:[0,0,1]
	v_pk_fma_f32 v[62:63], v[80:81], v[94:95], v[62:63] op_sel:[0,0,1] op_sel_hi:[1,0,0]
	s_waitcnt vmcnt(5)
	v_mov_b32_e32 v62, v97
	v_mov_b32_e32 v65, v63
	v_pk_mul_f32 v[62:63], v[82:83], v[62:63] op_sel_hi:[1,0]
	v_pk_add_f32 v[60:61], v[60:61], v[64:65]
	s_waitcnt vmcnt(3)
	v_pk_fma_f32 v[64:65], v[82:83], v[96:97], v[62:63] op_sel:[0,0,1] op_sel_hi:[1,1,0] neg_lo:[0,0,1] neg_hi:[0,0,1]
	v_pk_fma_f32 v[62:63], v[82:83], v[96:97], v[62:63] op_sel:[0,0,1] op_sel_hi:[1,0,0]
	s_waitcnt vmcnt(2)
	v_mov_b32_e32 v62, v99
	v_mov_b32_e32 v65, v63
	s_waitcnt lgkmcnt(0)
	v_pk_mul_f32 v[62:63], v[102:103], v[62:63] op_sel_hi:[1,0]
	v_pk_add_f32 v[60:61], v[60:61], v[64:65]
	v_pk_fma_f32 v[64:65], v[102:103], v[98:99], v[62:63] op_sel:[0,0,1] op_sel_hi:[1,1,0] neg_lo:[0,0,1] neg_hi:[0,0,1]
	v_pk_fma_f32 v[62:63], v[102:103], v[98:99], v[62:63] op_sel:[0,0,1] op_sel_hi:[1,0,0]
	v_mov_b32_e32 v65, v63
	v_pk_add_f32 v[60:61], v[60:61], v[64:65]
	s_waitcnt vmcnt(0)
	v_pk_add_f32 v[60:61], v[100:101], v[60:61] neg_lo:[0,1] neg_hi:[0,1]
	buffer_store_dword v61, off, s[0:3], 0 offset:116
	buffer_store_dword v60, off, s[0:3], 0 offset:112
	s_and_saveexec_b64 s[4:5], vcc
	s_cbranch_execz .LBB91_155
; %bb.154:
	buffer_load_dword v60, off, s[0:3], 0 offset:104
	buffer_load_dword v61, off, s[0:3], 0 offset:108
	s_waitcnt vmcnt(0)
	ds_write_b64 v1, v[60:61]
	buffer_store_dword v58, off, s[0:3], 0 offset:104
	buffer_store_dword v58, off, s[0:3], 0 offset:108
.LBB91_155:
	s_or_b64 exec, exec, s[4:5]
	s_waitcnt lgkmcnt(0)
	; wave barrier
	s_waitcnt lgkmcnt(0)
	buffer_load_dword v106, off, s[0:3], 0 offset:116
	buffer_load_dword v108, off, s[0:3], 0 offset:124
	;; [unrolled: 1-line block ×30, first 2 shown]
	ds_read_b128 v[60:63], v58 offset:336
	ds_read_b128 v[64:67], v58 offset:352
	;; [unrolled: 1-line block ×7, first 2 shown]
	v_cmp_lt_u32_e32 vcc, 12, v0
	s_waitcnt vmcnt(29) lgkmcnt(6)
	v_mul_f32_e32 v119, v60, v106
	s_waitcnt vmcnt(28)
	v_mul_f32_e32 v120, v62, v108
	s_waitcnt vmcnt(27) lgkmcnt(5)
	v_mul_f32_e32 v121, v64, v109
	v_mul_f32_e32 v109, v65, v109
	s_waitcnt vmcnt(26)
	v_mul_f32_e32 v122, v66, v110
	s_waitcnt vmcnt(25) lgkmcnt(4)
	v_mul_f32_e32 v59, v68, v111
	v_mul_f32_e32 v58, v61, v106
	;; [unrolled: 1-line block ×5, first 2 shown]
	s_waitcnt vmcnt(23)
	v_mov_b32_e32 v108, v89
	s_waitcnt vmcnt(22)
	v_mov_b32_e32 v110, v91
	s_waitcnt vmcnt(18)
	v_fma_f32 v109, v64, v115, -v109
	v_fmac_f32_e32 v119, v61, v113
	v_fmac_f32_e32 v120, v63, v114
	s_waitcnt vmcnt(17)
	v_fmac_f32_e32 v122, v67, v116
	v_fma_f32 v67, v60, v113, -v58
	v_fma_f32 v113, v62, v114, -v106
	s_waitcnt lgkmcnt(3)
	v_pk_mul_f32 v[60:61], v[72:73], v[108:109] op_sel_hi:[1,0]
	v_pk_mul_f32 v[62:63], v[74:75], v[110:111] op_sel_hi:[1,0]
	s_waitcnt vmcnt(16)
	v_fmac_f32_e32 v59, v69, v117
	v_fma_f32 v114, v66, v116, -v123
	v_fma_f32 v58, v68, v117, -v111
	v_add_f32_e32 v108, 0, v119
	v_add_f32_e32 v110, 0, v67
	s_waitcnt vmcnt(14)
	v_pk_fma_f32 v[66:67], v[72:73], v[88:89], v[60:61] op_sel:[0,0,1] op_sel_hi:[1,1,0] neg_lo:[0,0,1] neg_hi:[0,0,1]
	v_pk_fma_f32 v[60:61], v[72:73], v[88:89], v[60:61] op_sel:[0,0,1] op_sel_hi:[1,0,0]
	s_waitcnt vmcnt(10)
	v_pk_fma_f32 v[68:69], v[74:75], v[90:91], v[62:63] op_sel:[0,0,1] op_sel_hi:[1,1,0] neg_lo:[0,0,1] neg_hi:[0,0,1]
	v_pk_fma_f32 v[62:63], v[74:75], v[90:91], v[62:63] op_sel:[0,0,1] op_sel_hi:[1,0,0]
	v_fmac_f32_e32 v121, v65, v115
	v_add_f32_e32 v60, v108, v120
	v_add_f32_e32 v62, v110, v113
	;; [unrolled: 1-line block ×4, first 2 shown]
	v_mul_f32_e32 v107, v70, v112
	v_mul_f32_e32 v124, v71, v112
	v_mov_b32_e32 v67, v61
	v_add_f32_e32 v61, v60, v122
	v_add_f32_e32 v60, v62, v114
	v_mov_b32_e32 v112, v93
	v_fmac_f32_e32 v107, v71, v118
	v_fma_f32 v106, v70, v118, -v124
	v_pk_add_f32 v[58:59], v[60:61], v[58:59]
	s_waitcnt vmcnt(9)
	v_mov_b32_e32 v60, v97
	s_waitcnt lgkmcnt(2)
	v_pk_mul_f32 v[64:65], v[76:77], v[112:113] op_sel_hi:[1,0]
	v_pk_add_f32 v[58:59], v[58:59], v[106:107]
	v_pk_mul_f32 v[60:61], v[78:79], v[60:61] op_sel_hi:[1,0]
	v_pk_fma_f32 v[70:71], v[76:77], v[92:93], v[64:65] op_sel:[0,0,1] op_sel_hi:[1,1,0] neg_lo:[0,0,1] neg_hi:[0,0,1]
	v_pk_fma_f32 v[64:65], v[76:77], v[92:93], v[64:65] op_sel:[0,0,1] op_sel_hi:[1,0,0]
	v_mov_b32_e32 v69, v63
	v_pk_add_f32 v[58:59], v[58:59], v[66:67]
	v_pk_fma_f32 v[62:63], v[78:79], v[96:97], v[60:61] op_sel:[0,0,1] op_sel_hi:[1,1,0] neg_lo:[0,0,1] neg_hi:[0,0,1]
	v_pk_fma_f32 v[60:61], v[78:79], v[96:97], v[60:61] op_sel:[0,0,1] op_sel_hi:[1,0,0]
	v_mov_b32_e32 v71, v65
	v_pk_add_f32 v[58:59], v[58:59], v[68:69]
	s_waitcnt vmcnt(8)
	v_mov_b32_e32 v60, v95
	v_pk_add_f32 v[58:59], v[58:59], v[70:71]
	v_mov_b32_e32 v63, v61
	s_waitcnt lgkmcnt(1)
	v_pk_mul_f32 v[60:61], v[80:81], v[60:61] op_sel_hi:[1,0]
	v_pk_add_f32 v[58:59], v[58:59], v[62:63]
	v_pk_fma_f32 v[62:63], v[80:81], v[94:95], v[60:61] op_sel:[0,0,1] op_sel_hi:[1,1,0] neg_lo:[0,0,1] neg_hi:[0,0,1]
	v_pk_fma_f32 v[60:61], v[80:81], v[94:95], v[60:61] op_sel:[0,0,1] op_sel_hi:[1,0,0]
	s_waitcnt vmcnt(7)
	v_mov_b32_e32 v60, v99
	v_mov_b32_e32 v63, v61
	v_pk_mul_f32 v[60:61], v[82:83], v[60:61] op_sel_hi:[1,0]
	v_pk_add_f32 v[58:59], v[58:59], v[62:63]
	s_waitcnt vmcnt(4)
	v_pk_fma_f32 v[62:63], v[82:83], v[98:99], v[60:61] op_sel:[0,0,1] op_sel_hi:[1,1,0] neg_lo:[0,0,1] neg_hi:[0,0,1]
	v_pk_fma_f32 v[60:61], v[82:83], v[98:99], v[60:61] op_sel:[0,0,1] op_sel_hi:[1,0,0]
	s_waitcnt vmcnt(3)
	v_mov_b32_e32 v60, v103
	v_mov_b32_e32 v63, v61
	s_waitcnt lgkmcnt(0)
	v_pk_mul_f32 v[60:61], v[84:85], v[60:61] op_sel_hi:[1,0]
	v_pk_add_f32 v[58:59], v[58:59], v[62:63]
	v_pk_fma_f32 v[62:63], v[84:85], v[102:103], v[60:61] op_sel:[0,0,1] op_sel_hi:[1,1,0] neg_lo:[0,0,1] neg_hi:[0,0,1]
	v_pk_fma_f32 v[60:61], v[84:85], v[102:103], v[60:61] op_sel:[0,0,1] op_sel_hi:[1,0,0]
	s_waitcnt vmcnt(0)
	v_mov_b32_e32 v60, v101
	v_mov_b32_e32 v63, v61
	v_pk_mul_f32 v[60:61], v[86:87], v[60:61] op_sel_hi:[1,0]
	v_pk_add_f32 v[58:59], v[58:59], v[62:63]
	v_pk_fma_f32 v[62:63], v[86:87], v[100:101], v[60:61] op_sel:[0,0,1] op_sel_hi:[1,1,0] neg_lo:[0,0,1] neg_hi:[0,0,1]
	v_pk_fma_f32 v[60:61], v[86:87], v[100:101], v[60:61] op_sel:[0,0,1] op_sel_hi:[1,0,0]
	v_mov_b32_e32 v63, v61
	v_pk_add_f32 v[58:59], v[58:59], v[62:63]
	v_pk_add_f32 v[58:59], v[104:105], v[58:59] neg_lo:[0,1] neg_hi:[0,1]
	buffer_store_dword v59, off, s[0:3], 0 offset:108
	buffer_store_dword v58, off, s[0:3], 0 offset:104
	s_and_saveexec_b64 s[4:5], vcc
	s_cbranch_execz .LBB91_157
; %bb.156:
	buffer_load_dword v58, off, s[0:3], 0 offset:96
	buffer_load_dword v59, off, s[0:3], 0 offset:100
	v_mov_b32_e32 v60, 0
	buffer_store_dword v60, off, s[0:3], 0 offset:96
	buffer_store_dword v60, off, s[0:3], 0 offset:100
	s_waitcnt vmcnt(2)
	ds_write_b64 v1, v[58:59]
.LBB91_157:
	s_or_b64 exec, exec, s[4:5]
	v_mov_b32_e32 v60, 0
	s_waitcnt lgkmcnt(0)
	; wave barrier
	s_waitcnt lgkmcnt(0)
	ds_read2_b64 v[62:65], v60 offset0:41 offset1:42
	buffer_load_dword v58, off, s[0:3], 0 offset:96
	buffer_load_dword v59, off, s[0:3], 0 offset:100
	;; [unrolled: 1-line block ×16, first 2 shown]
	v_cmp_lt_u32_e32 vcc, 11, v0
	s_waitcnt vmcnt(12) lgkmcnt(0)
	v_mul_f32_e32 v66, v62, v78
	v_fmac_f32_e32 v66, v63, v61
	s_waitcnt vmcnt(10)
	v_mul_f32_e32 v67, v64, v82
	v_add_f32_e32 v66, 0, v66
	v_fmac_f32_e32 v67, v65, v80
	v_add_f32_e32 v70, v66, v67
	ds_read2_b64 v[66:69], v60 offset0:43 offset1:44
	v_mul_f32_e32 v63, v63, v78
	v_fma_f32 v61, v62, v61, -v63
	v_mul_f32_e32 v62, v65, v82
	v_add_f32_e32 v61, 0, v61
	s_waitcnt vmcnt(8) lgkmcnt(0)
	v_mul_f32_e32 v71, v66, v101
	v_fmac_f32_e32 v71, v67, v100
	v_add_f32_e32 v70, v70, v71
	s_waitcnt vmcnt(6)
	v_mul_f32_e32 v71, v68, v103
	v_fmac_f32_e32 v71, v69, v102
	v_add_f32_e32 v74, v70, v71
	ds_read2_b64 v[70:73], v60 offset0:45 offset1:46
	v_fma_f32 v62, v64, v80, -v62
	v_add_f32_e32 v61, v61, v62
	v_mul_f32_e32 v62, v67, v101
	v_fma_f32 v62, v66, v100, -v62
	s_waitcnt vmcnt(4) lgkmcnt(0)
	v_mul_f32_e32 v75, v70, v105
	v_fmac_f32_e32 v75, v71, v104
	v_add_f32_e32 v79, v74, v75
	ds_read2_b64 v[74:77], v60 offset0:47 offset1:48
	buffer_load_dword v85, off, s[0:3], 0 offset:164
	buffer_load_dword v84, off, s[0:3], 0 offset:160
	;; [unrolled: 1-line block ×16, first 2 shown]
	v_add_f32_e32 v61, v61, v62
	v_mul_f32_e32 v62, v69, v103
	v_fma_f32 v62, v68, v102, -v62
	v_add_f32_e32 v61, v61, v62
	v_mul_f32_e32 v62, v71, v105
	v_fma_f32 v62, v70, v104, -v62
	s_waitcnt vmcnt(18)
	v_mul_f32_e32 v81, v72, v107
	v_add_f32_e32 v78, v61, v62
	v_mul_f32_e32 v61, v73, v107
	v_fmac_f32_e32 v81, v73, v106
	v_fma_f32 v80, v72, v106, -v61
	s_waitcnt vmcnt(16) lgkmcnt(0)
	v_mul_f32_e32 v83, v74, v109
	v_mul_f32_e32 v61, v75, v109
	v_pk_add_f32 v[78:79], v[78:79], v[80:81]
	v_fmac_f32_e32 v83, v75, v108
	v_fma_f32 v82, v74, v108, -v61
	v_pk_add_f32 v[78:79], v[78:79], v[82:83]
	ds_read2_b64 v[62:65], v60 offset0:49 offset1:50
	ds_read2_b64 v[66:69], v60 offset0:51 offset1:52
	ds_read2_b64 v[70:73], v60 offset0:53 offset1:54
	ds_read_b64 v[74:75], v60 offset:440
	s_waitcnt vmcnt(15)
	v_mov_b32_e32 v80, v85
	v_pk_mul_f32 v[80:81], v[76:77], v[80:81] op_sel_hi:[1,0]
	s_waitcnt vmcnt(14)
	v_pk_fma_f32 v[82:83], v[76:77], v[84:85], v[80:81] op_sel:[0,0,1] op_sel_hi:[1,1,0] neg_lo:[0,0,1] neg_hi:[0,0,1]
	v_pk_fma_f32 v[76:77], v[76:77], v[84:85], v[80:81] op_sel:[0,0,1] op_sel_hi:[1,0,0]
	v_mov_b32_e32 v83, v77
	v_pk_add_f32 v[76:77], v[78:79], v[82:83]
	s_waitcnt vmcnt(13)
	v_mov_b32_e32 v78, v87
	s_waitcnt lgkmcnt(3)
	v_pk_mul_f32 v[78:79], v[62:63], v[78:79] op_sel_hi:[1,0]
	s_waitcnt vmcnt(12)
	v_pk_fma_f32 v[80:81], v[62:63], v[86:87], v[78:79] op_sel:[0,0,1] op_sel_hi:[1,1,0] neg_lo:[0,0,1] neg_hi:[0,0,1]
	v_pk_fma_f32 v[62:63], v[62:63], v[86:87], v[78:79] op_sel:[0,0,1] op_sel_hi:[1,0,0]
	v_mov_b32_e32 v81, v63
	v_pk_add_f32 v[62:63], v[76:77], v[80:81]
	s_waitcnt vmcnt(11)
	v_mov_b32_e32 v76, v89
	v_pk_mul_f32 v[76:77], v[64:65], v[76:77] op_sel_hi:[1,0]
	s_waitcnt vmcnt(10)
	v_pk_fma_f32 v[78:79], v[64:65], v[88:89], v[76:77] op_sel:[0,0,1] op_sel_hi:[1,1,0] neg_lo:[0,0,1] neg_hi:[0,0,1]
	v_pk_fma_f32 v[64:65], v[64:65], v[88:89], v[76:77] op_sel:[0,0,1] op_sel_hi:[1,0,0]
	s_waitcnt vmcnt(9)
	v_mov_b32_e32 v64, v91
	v_mov_b32_e32 v79, v65
	s_waitcnt lgkmcnt(2)
	v_pk_mul_f32 v[64:65], v[66:67], v[64:65] op_sel_hi:[1,0]
	s_waitcnt vmcnt(8)
	v_pk_fma_f32 v[76:77], v[66:67], v[90:91], v[64:65] op_sel:[0,0,1] op_sel_hi:[1,1,0] neg_lo:[0,0,1] neg_hi:[0,0,1]
	v_pk_fma_f32 v[64:65], v[66:67], v[90:91], v[64:65] op_sel:[0,0,1] op_sel_hi:[1,0,0]
	s_waitcnt vmcnt(7)
	v_mov_b32_e32 v64, v93
	v_mov_b32_e32 v77, v65
	v_pk_mul_f32 v[64:65], v[68:69], v[64:65] op_sel_hi:[1,0]
	s_waitcnt vmcnt(6)
	v_pk_fma_f32 v[66:67], v[68:69], v[92:93], v[64:65] op_sel:[0,0,1] op_sel_hi:[1,1,0] neg_lo:[0,0,1] neg_hi:[0,0,1]
	v_pk_fma_f32 v[64:65], v[68:69], v[92:93], v[64:65] op_sel:[0,0,1] op_sel_hi:[1,0,0]
	v_pk_add_f32 v[62:63], v[62:63], v[78:79]
	s_waitcnt vmcnt(5)
	v_mov_b32_e32 v64, v95
	v_pk_add_f32 v[62:63], v[62:63], v[76:77]
	v_mov_b32_e32 v67, v65
	s_waitcnt lgkmcnt(1)
	v_pk_mul_f32 v[64:65], v[70:71], v[64:65] op_sel_hi:[1,0]
	v_pk_add_f32 v[62:63], v[62:63], v[66:67]
	s_waitcnt vmcnt(4)
	v_pk_fma_f32 v[66:67], v[70:71], v[94:95], v[64:65] op_sel:[0,0,1] op_sel_hi:[1,1,0] neg_lo:[0,0,1] neg_hi:[0,0,1]
	v_pk_fma_f32 v[64:65], v[70:71], v[94:95], v[64:65] op_sel:[0,0,1] op_sel_hi:[1,0,0]
	s_waitcnt vmcnt(3)
	v_mov_b32_e32 v64, v97
	v_mov_b32_e32 v67, v65
	v_pk_mul_f32 v[64:65], v[72:73], v[64:65] op_sel_hi:[1,0]
	v_pk_add_f32 v[62:63], v[62:63], v[66:67]
	s_waitcnt vmcnt(2)
	v_pk_fma_f32 v[66:67], v[72:73], v[96:97], v[64:65] op_sel:[0,0,1] op_sel_hi:[1,1,0] neg_lo:[0,0,1] neg_hi:[0,0,1]
	v_pk_fma_f32 v[64:65], v[72:73], v[96:97], v[64:65] op_sel:[0,0,1] op_sel_hi:[1,0,0]
	s_waitcnt vmcnt(1)
	v_mov_b32_e32 v64, v99
	v_mov_b32_e32 v67, v65
	s_waitcnt lgkmcnt(0)
	v_pk_mul_f32 v[64:65], v[74:75], v[64:65] op_sel_hi:[1,0]
	v_pk_add_f32 v[62:63], v[62:63], v[66:67]
	s_waitcnt vmcnt(0)
	v_pk_fma_f32 v[66:67], v[74:75], v[98:99], v[64:65] op_sel:[0,0,1] op_sel_hi:[1,1,0] neg_lo:[0,0,1] neg_hi:[0,0,1]
	v_pk_fma_f32 v[64:65], v[74:75], v[98:99], v[64:65] op_sel:[0,0,1] op_sel_hi:[1,0,0]
	v_mov_b32_e32 v67, v65
	v_pk_add_f32 v[62:63], v[62:63], v[66:67]
	v_pk_add_f32 v[58:59], v[58:59], v[62:63] neg_lo:[0,1] neg_hi:[0,1]
	buffer_store_dword v59, off, s[0:3], 0 offset:100
	buffer_store_dword v58, off, s[0:3], 0 offset:96
	s_and_saveexec_b64 s[4:5], vcc
	s_cbranch_execz .LBB91_159
; %bb.158:
	buffer_load_dword v58, off, s[0:3], 0 offset:88
	buffer_load_dword v59, off, s[0:3], 0 offset:92
	s_waitcnt vmcnt(0)
	ds_write_b64 v1, v[58:59]
	buffer_store_dword v60, off, s[0:3], 0 offset:88
	buffer_store_dword v60, off, s[0:3], 0 offset:92
.LBB91_159:
	s_or_b64 exec, exec, s[4:5]
	s_waitcnt lgkmcnt(0)
	; wave barrier
	s_waitcnt lgkmcnt(0)
	ds_read_b128 v[62:65], v60 offset:320
	ds_read_b128 v[66:69], v60 offset:336
	;; [unrolled: 1-line block ×4, first 2 shown]
	buffer_load_dword v58, off, s[0:3], 0 offset:88
	buffer_load_dword v59, off, s[0:3], 0 offset:92
	;; [unrolled: 1-line block ×20, first 2 shown]
	v_cmp_lt_u32_e32 vcc, 10, v0
	s_waitcnt vmcnt(16) lgkmcnt(3)
	v_mul_f32_e32 v78, v62, v82
	v_fmac_f32_e32 v78, v63, v61
	s_waitcnt vmcnt(14)
	v_mul_f32_e32 v79, v64, v86
	v_add_f32_e32 v78, 0, v78
	v_fmac_f32_e32 v79, v65, v84
	v_add_f32_e32 v78, v78, v79
	s_waitcnt vmcnt(12) lgkmcnt(2)
	v_mul_f32_e32 v79, v66, v105
	v_fmac_f32_e32 v79, v67, v104
	v_add_f32_e32 v78, v78, v79
	s_waitcnt vmcnt(10)
	v_mul_f32_e32 v79, v68, v107
	v_fmac_f32_e32 v79, v69, v106
	v_add_f32_e32 v78, v78, v79
	s_waitcnt vmcnt(8) lgkmcnt(1)
	v_mul_f32_e32 v79, v70, v109
	v_fmac_f32_e32 v79, v71, v108
	v_add_f32_e32 v78, v78, v79
	s_waitcnt vmcnt(6)
	v_mul_f32_e32 v79, v72, v111
	v_fmac_f32_e32 v79, v73, v110
	v_add_f32_e32 v83, v78, v79
	ds_read_b128 v[78:81], v60 offset:384
	buffer_load_dword v91, off, s[0:3], 0 offset:172
	buffer_load_dword v90, off, s[0:3], 0 offset:168
	;; [unrolled: 1-line block ×14, first 2 shown]
	v_mul_f32_e32 v63, v63, v82
	v_fma_f32 v61, v62, v61, -v63
	v_mul_f32_e32 v62, v65, v86
	v_add_f32_e32 v61, 0, v61
	v_fma_f32 v62, v64, v84, -v62
	v_add_f32_e32 v61, v61, v62
	v_mul_f32_e32 v62, v67, v105
	v_fma_f32 v62, v66, v104, -v62
	v_add_f32_e32 v61, v61, v62
	v_mul_f32_e32 v62, v69, v107
	;; [unrolled: 3-line block ×4, first 2 shown]
	v_fma_f32 v62, v72, v110, -v62
	v_add_f32_e32 v82, v61, v62
	s_waitcnt vmcnt(18) lgkmcnt(1)
	v_mul_f32_e32 v61, v75, v113
	v_mul_f32_e32 v85, v74, v113
	v_fma_f32 v84, v74, v112, -v61
	s_waitcnt vmcnt(15)
	v_mov_b32_e32 v74, v89
	v_fmac_f32_e32 v85, v75, v112
	v_mul_f32_e32 v87, v76, v115
	v_mul_f32_e32 v61, v77, v115
	s_waitcnt lgkmcnt(0)
	v_pk_mul_f32 v[74:75], v[78:79], v[74:75] op_sel_hi:[1,0]
	v_fmac_f32_e32 v87, v77, v114
	v_fma_f32 v86, v76, v114, -v61
	s_waitcnt vmcnt(14)
	v_pk_fma_f32 v[76:77], v[78:79], v[88:89], v[74:75] op_sel:[0,0,1] op_sel_hi:[1,1,0] neg_lo:[0,0,1] neg_hi:[0,0,1]
	v_pk_fma_f32 v[74:75], v[78:79], v[88:89], v[74:75] op_sel:[0,0,1] op_sel_hi:[1,0,0]
	ds_read_b128 v[62:65], v60 offset:400
	ds_read_b128 v[66:69], v60 offset:416
	ds_read_b128 v[70:73], v60 offset:432
	v_pk_add_f32 v[60:61], v[82:83], v[84:85]
	v_pk_add_f32 v[60:61], v[60:61], v[86:87]
	v_mov_b32_e32 v77, v75
	v_pk_add_f32 v[60:61], v[60:61], v[76:77]
	s_waitcnt vmcnt(13)
	v_mov_b32_e32 v74, v91
	v_pk_mul_f32 v[74:75], v[80:81], v[74:75] op_sel_hi:[1,0]
	s_waitcnt vmcnt(12)
	v_pk_fma_f32 v[76:77], v[80:81], v[90:91], v[74:75] op_sel:[0,0,1] op_sel_hi:[1,1,0] neg_lo:[0,0,1] neg_hi:[0,0,1]
	v_pk_fma_f32 v[74:75], v[80:81], v[90:91], v[74:75] op_sel:[0,0,1] op_sel_hi:[1,0,0]
	s_waitcnt vmcnt(11)
	v_mov_b32_e32 v74, v93
	v_mov_b32_e32 v77, v75
	s_waitcnt lgkmcnt(2)
	v_pk_mul_f32 v[74:75], v[62:63], v[74:75] op_sel_hi:[1,0]
	v_pk_add_f32 v[60:61], v[60:61], v[76:77]
	s_waitcnt vmcnt(10)
	v_pk_fma_f32 v[76:77], v[62:63], v[92:93], v[74:75] op_sel:[0,0,1] op_sel_hi:[1,1,0] neg_lo:[0,0,1] neg_hi:[0,0,1]
	v_pk_fma_f32 v[62:63], v[62:63], v[92:93], v[74:75] op_sel:[0,0,1] op_sel_hi:[1,0,0]
	s_waitcnt vmcnt(9)
	v_mov_b32_e32 v62, v95
	v_mov_b32_e32 v77, v63
	v_pk_mul_f32 v[62:63], v[64:65], v[62:63] op_sel_hi:[1,0]
	s_waitcnt vmcnt(8)
	v_pk_fma_f32 v[74:75], v[64:65], v[94:95], v[62:63] op_sel:[0,0,1] op_sel_hi:[1,1,0] neg_lo:[0,0,1] neg_hi:[0,0,1]
	v_pk_fma_f32 v[62:63], v[64:65], v[94:95], v[62:63] op_sel:[0,0,1] op_sel_hi:[1,0,0]
	s_waitcnt vmcnt(7)
	v_mov_b32_e32 v62, v97
	v_mov_b32_e32 v75, v63
	s_waitcnt lgkmcnt(1)
	v_pk_mul_f32 v[62:63], v[66:67], v[62:63] op_sel_hi:[1,0]
	s_waitcnt vmcnt(6)
	v_pk_fma_f32 v[64:65], v[66:67], v[96:97], v[62:63] op_sel:[0,0,1] op_sel_hi:[1,1,0] neg_lo:[0,0,1] neg_hi:[0,0,1]
	v_pk_fma_f32 v[62:63], v[66:67], v[96:97], v[62:63] op_sel:[0,0,1] op_sel_hi:[1,0,0]
	v_pk_add_f32 v[60:61], v[60:61], v[76:77]
	s_waitcnt vmcnt(5)
	v_mov_b32_e32 v62, v99
	v_pk_add_f32 v[60:61], v[60:61], v[74:75]
	v_mov_b32_e32 v65, v63
	v_pk_mul_f32 v[62:63], v[68:69], v[62:63] op_sel_hi:[1,0]
	v_pk_add_f32 v[60:61], v[60:61], v[64:65]
	s_waitcnt vmcnt(4)
	v_pk_fma_f32 v[64:65], v[68:69], v[98:99], v[62:63] op_sel:[0,0,1] op_sel_hi:[1,1,0] neg_lo:[0,0,1] neg_hi:[0,0,1]
	v_pk_fma_f32 v[62:63], v[68:69], v[98:99], v[62:63] op_sel:[0,0,1] op_sel_hi:[1,0,0]
	s_waitcnt vmcnt(3)
	v_mov_b32_e32 v62, v101
	v_mov_b32_e32 v65, v63
	s_waitcnt lgkmcnt(0)
	v_pk_mul_f32 v[62:63], v[70:71], v[62:63] op_sel_hi:[1,0]
	v_pk_add_f32 v[60:61], v[60:61], v[64:65]
	s_waitcnt vmcnt(2)
	v_pk_fma_f32 v[64:65], v[70:71], v[100:101], v[62:63] op_sel:[0,0,1] op_sel_hi:[1,1,0] neg_lo:[0,0,1] neg_hi:[0,0,1]
	v_pk_fma_f32 v[62:63], v[70:71], v[100:101], v[62:63] op_sel:[0,0,1] op_sel_hi:[1,0,0]
	s_waitcnt vmcnt(1)
	v_mov_b32_e32 v62, v103
	v_mov_b32_e32 v65, v63
	v_pk_mul_f32 v[62:63], v[72:73], v[62:63] op_sel_hi:[1,0]
	v_pk_add_f32 v[60:61], v[60:61], v[64:65]
	s_waitcnt vmcnt(0)
	v_pk_fma_f32 v[64:65], v[72:73], v[102:103], v[62:63] op_sel:[0,0,1] op_sel_hi:[1,1,0] neg_lo:[0,0,1] neg_hi:[0,0,1]
	v_pk_fma_f32 v[62:63], v[72:73], v[102:103], v[62:63] op_sel:[0,0,1] op_sel_hi:[1,0,0]
	v_mov_b32_e32 v65, v63
	v_pk_add_f32 v[60:61], v[60:61], v[64:65]
	v_pk_add_f32 v[58:59], v[58:59], v[60:61] neg_lo:[0,1] neg_hi:[0,1]
	buffer_store_dword v59, off, s[0:3], 0 offset:92
	buffer_store_dword v58, off, s[0:3], 0 offset:88
	s_and_saveexec_b64 s[4:5], vcc
	s_cbranch_execz .LBB91_161
; %bb.160:
	buffer_load_dword v58, off, s[0:3], 0 offset:80
	buffer_load_dword v59, off, s[0:3], 0 offset:84
	v_mov_b32_e32 v60, 0
	buffer_store_dword v60, off, s[0:3], 0 offset:80
	buffer_store_dword v60, off, s[0:3], 0 offset:84
	s_waitcnt vmcnt(2)
	ds_write_b64 v1, v[58:59]
.LBB91_161:
	s_or_b64 exec, exec, s[4:5]
	v_mov_b32_e32 v60, 0
	s_waitcnt lgkmcnt(0)
	; wave barrier
	s_waitcnt lgkmcnt(0)
	ds_read2_b64 v[62:65], v60 offset0:39 offset1:40
	buffer_load_dword v58, off, s[0:3], 0 offset:80
	buffer_load_dword v59, off, s[0:3], 0 offset:84
	;; [unrolled: 1-line block ×16, first 2 shown]
	v_cmp_lt_u32_e32 vcc, 9, v0
	s_waitcnt vmcnt(12) lgkmcnt(0)
	v_mul_f32_e32 v66, v62, v82
	v_fmac_f32_e32 v66, v63, v61
	s_waitcnt vmcnt(10)
	v_mul_f32_e32 v67, v64, v86
	v_add_f32_e32 v66, 0, v66
	v_fmac_f32_e32 v67, v65, v84
	v_add_f32_e32 v70, v66, v67
	ds_read2_b64 v[66:69], v60 offset0:41 offset1:42
	v_mul_f32_e32 v63, v63, v82
	v_fma_f32 v61, v62, v61, -v63
	v_mul_f32_e32 v62, v65, v86
	v_add_f32_e32 v61, 0, v61
	s_waitcnt vmcnt(8) lgkmcnt(0)
	v_mul_f32_e32 v71, v66, v105
	v_fmac_f32_e32 v71, v67, v104
	v_add_f32_e32 v70, v70, v71
	s_waitcnt vmcnt(6)
	v_mul_f32_e32 v71, v68, v107
	v_fmac_f32_e32 v71, v69, v106
	v_add_f32_e32 v74, v70, v71
	ds_read2_b64 v[70:73], v60 offset0:43 offset1:44
	v_fma_f32 v62, v64, v84, -v62
	v_add_f32_e32 v61, v61, v62
	v_mul_f32_e32 v62, v67, v105
	v_fma_f32 v62, v66, v104, -v62
	s_waitcnt vmcnt(4) lgkmcnt(0)
	v_mul_f32_e32 v75, v70, v109
	v_fmac_f32_e32 v75, v71, v108
	v_add_f32_e32 v74, v74, v75
	s_waitcnt vmcnt(2)
	v_mul_f32_e32 v75, v72, v111
	v_fmac_f32_e32 v75, v73, v110
	v_add_f32_e32 v78, v74, v75
	ds_read2_b64 v[74:77], v60 offset0:45 offset1:46
	buffer_load_dword v114, off, s[0:3], 0 offset:144
	buffer_load_dword v115, off, s[0:3], 0 offset:148
	v_add_f32_e32 v61, v61, v62
	v_mul_f32_e32 v62, v69, v107
	v_fma_f32 v62, v68, v106, -v62
	s_waitcnt vmcnt(2) lgkmcnt(0)
	v_mul_f32_e32 v79, v74, v113
	v_fmac_f32_e32 v79, v75, v112
	v_add_f32_e32 v83, v78, v79
	ds_read2_b64 v[78:81], v60 offset0:47 offset1:48
	buffer_load_dword v116, off, s[0:3], 0 offset:152
	buffer_load_dword v117, off, s[0:3], 0 offset:156
	;; [unrolled: 1-line block ×18, first 2 shown]
	v_add_f32_e32 v61, v61, v62
	v_mul_f32_e32 v62, v71, v109
	v_fma_f32 v62, v70, v108, -v62
	v_add_f32_e32 v61, v61, v62
	v_mul_f32_e32 v62, v73, v111
	v_fma_f32 v62, v72, v110, -v62
	;; [unrolled: 3-line block ×3, first 2 shown]
	v_add_f32_e32 v82, v61, v62
	ds_read2_b64 v[62:65], v60 offset0:49 offset1:50
	ds_read2_b64 v[66:69], v60 offset0:51 offset1:52
	;; [unrolled: 1-line block ×3, first 2 shown]
	ds_read_b64 v[74:75], v60 offset:440
	s_waitcnt vmcnt(18)
	v_mul_f32_e32 v61, v77, v115
	v_fma_f32 v84, v76, v114, -v61
	v_mul_f32_e32 v85, v76, v115
	v_fmac_f32_e32 v85, v77, v114
	v_pk_add_f32 v[76:77], v[82:83], v[84:85]
	s_waitcnt vmcnt(16) lgkmcnt(4)
	v_mul_f32_e32 v61, v79, v117
	v_mul_f32_e32 v87, v78, v117
	v_fma_f32 v86, v78, v116, -v61
	s_waitcnt vmcnt(15)
	v_mov_b32_e32 v78, v89
	v_fmac_f32_e32 v87, v79, v116
	v_pk_mul_f32 v[78:79], v[80:81], v[78:79] op_sel_hi:[1,0]
	s_waitcnt vmcnt(14)
	v_pk_fma_f32 v[82:83], v[80:81], v[88:89], v[78:79] op_sel:[0,0,1] op_sel_hi:[1,1,0] neg_lo:[0,0,1] neg_hi:[0,0,1]
	v_pk_fma_f32 v[78:79], v[80:81], v[88:89], v[78:79] op_sel:[0,0,1] op_sel_hi:[1,0,0]
	s_waitcnt vmcnt(13)
	v_mov_b32_e32 v78, v91
	v_mov_b32_e32 v83, v79
	s_waitcnt lgkmcnt(3)
	v_pk_mul_f32 v[78:79], v[62:63], v[78:79] op_sel_hi:[1,0]
	v_pk_add_f32 v[76:77], v[76:77], v[86:87]
	s_waitcnt vmcnt(12)
	v_pk_fma_f32 v[80:81], v[62:63], v[90:91], v[78:79] op_sel:[0,0,1] op_sel_hi:[1,1,0] neg_lo:[0,0,1] neg_hi:[0,0,1]
	v_pk_fma_f32 v[62:63], v[62:63], v[90:91], v[78:79] op_sel:[0,0,1] op_sel_hi:[1,0,0]
	v_pk_add_f32 v[76:77], v[76:77], v[82:83]
	v_mov_b32_e32 v81, v63
	v_pk_add_f32 v[62:63], v[76:77], v[80:81]
	s_waitcnt vmcnt(11)
	v_mov_b32_e32 v76, v93
	v_pk_mul_f32 v[76:77], v[64:65], v[76:77] op_sel_hi:[1,0]
	s_waitcnt vmcnt(10)
	v_pk_fma_f32 v[78:79], v[64:65], v[92:93], v[76:77] op_sel:[0,0,1] op_sel_hi:[1,1,0] neg_lo:[0,0,1] neg_hi:[0,0,1]
	v_pk_fma_f32 v[64:65], v[64:65], v[92:93], v[76:77] op_sel:[0,0,1] op_sel_hi:[1,0,0]
	s_waitcnt vmcnt(9)
	v_mov_b32_e32 v64, v95
	v_mov_b32_e32 v79, v65
	s_waitcnt lgkmcnt(2)
	v_pk_mul_f32 v[64:65], v[66:67], v[64:65] op_sel_hi:[1,0]
	s_waitcnt vmcnt(8)
	v_pk_fma_f32 v[76:77], v[66:67], v[94:95], v[64:65] op_sel:[0,0,1] op_sel_hi:[1,1,0] neg_lo:[0,0,1] neg_hi:[0,0,1]
	v_pk_fma_f32 v[64:65], v[66:67], v[94:95], v[64:65] op_sel:[0,0,1] op_sel_hi:[1,0,0]
	s_waitcnt vmcnt(7)
	v_mov_b32_e32 v64, v97
	v_mov_b32_e32 v77, v65
	v_pk_mul_f32 v[64:65], v[68:69], v[64:65] op_sel_hi:[1,0]
	s_waitcnt vmcnt(6)
	v_pk_fma_f32 v[66:67], v[68:69], v[96:97], v[64:65] op_sel:[0,0,1] op_sel_hi:[1,1,0] neg_lo:[0,0,1] neg_hi:[0,0,1]
	v_pk_fma_f32 v[64:65], v[68:69], v[96:97], v[64:65] op_sel:[0,0,1] op_sel_hi:[1,0,0]
	v_pk_add_f32 v[62:63], v[62:63], v[78:79]
	s_waitcnt vmcnt(5)
	v_mov_b32_e32 v64, v99
	v_pk_add_f32 v[62:63], v[62:63], v[76:77]
	v_mov_b32_e32 v67, v65
	s_waitcnt lgkmcnt(1)
	v_pk_mul_f32 v[64:65], v[70:71], v[64:65] op_sel_hi:[1,0]
	v_pk_add_f32 v[62:63], v[62:63], v[66:67]
	s_waitcnt vmcnt(4)
	v_pk_fma_f32 v[66:67], v[70:71], v[98:99], v[64:65] op_sel:[0,0,1] op_sel_hi:[1,1,0] neg_lo:[0,0,1] neg_hi:[0,0,1]
	v_pk_fma_f32 v[64:65], v[70:71], v[98:99], v[64:65] op_sel:[0,0,1] op_sel_hi:[1,0,0]
	s_waitcnt vmcnt(3)
	v_mov_b32_e32 v64, v101
	v_mov_b32_e32 v67, v65
	v_pk_mul_f32 v[64:65], v[72:73], v[64:65] op_sel_hi:[1,0]
	v_pk_add_f32 v[62:63], v[62:63], v[66:67]
	s_waitcnt vmcnt(2)
	v_pk_fma_f32 v[66:67], v[72:73], v[100:101], v[64:65] op_sel:[0,0,1] op_sel_hi:[1,1,0] neg_lo:[0,0,1] neg_hi:[0,0,1]
	v_pk_fma_f32 v[64:65], v[72:73], v[100:101], v[64:65] op_sel:[0,0,1] op_sel_hi:[1,0,0]
	s_waitcnt vmcnt(1)
	v_mov_b32_e32 v64, v103
	v_mov_b32_e32 v67, v65
	s_waitcnt lgkmcnt(0)
	v_pk_mul_f32 v[64:65], v[74:75], v[64:65] op_sel_hi:[1,0]
	v_pk_add_f32 v[62:63], v[62:63], v[66:67]
	s_waitcnt vmcnt(0)
	v_pk_fma_f32 v[66:67], v[74:75], v[102:103], v[64:65] op_sel:[0,0,1] op_sel_hi:[1,1,0] neg_lo:[0,0,1] neg_hi:[0,0,1]
	v_pk_fma_f32 v[64:65], v[74:75], v[102:103], v[64:65] op_sel:[0,0,1] op_sel_hi:[1,0,0]
	v_mov_b32_e32 v67, v65
	v_pk_add_f32 v[62:63], v[62:63], v[66:67]
	v_pk_add_f32 v[58:59], v[58:59], v[62:63] neg_lo:[0,1] neg_hi:[0,1]
	buffer_store_dword v59, off, s[0:3], 0 offset:84
	buffer_store_dword v58, off, s[0:3], 0 offset:80
	s_and_saveexec_b64 s[4:5], vcc
	s_cbranch_execz .LBB91_163
; %bb.162:
	buffer_load_dword v58, off, s[0:3], 0 offset:72
	buffer_load_dword v59, off, s[0:3], 0 offset:76
	s_waitcnt vmcnt(0)
	ds_write_b64 v1, v[58:59]
	buffer_store_dword v60, off, s[0:3], 0 offset:72
	buffer_store_dword v60, off, s[0:3], 0 offset:76
.LBB91_163:
	s_or_b64 exec, exec, s[4:5]
	s_waitcnt lgkmcnt(0)
	; wave barrier
	s_waitcnt lgkmcnt(0)
	ds_read_b128 v[62:65], v60 offset:304
	ds_read_b128 v[66:69], v60 offset:320
	;; [unrolled: 1-line block ×4, first 2 shown]
	buffer_load_dword v58, off, s[0:3], 0 offset:72
	buffer_load_dword v59, off, s[0:3], 0 offset:76
	;; [unrolled: 1-line block ×18, first 2 shown]
	v_cmp_lt_u32_e32 vcc, 8, v0
	s_waitcnt vmcnt(14) lgkmcnt(3)
	v_mul_f32_e32 v78, v62, v86
	v_fmac_f32_e32 v78, v63, v61
	s_waitcnt vmcnt(12)
	v_mul_f32_e32 v79, v64, v90
	v_add_f32_e32 v78, 0, v78
	v_fmac_f32_e32 v79, v65, v88
	v_add_f32_e32 v78, v78, v79
	s_waitcnt vmcnt(10) lgkmcnt(2)
	v_mul_f32_e32 v79, v66, v109
	v_fmac_f32_e32 v79, v67, v108
	v_add_f32_e32 v78, v78, v79
	s_waitcnt vmcnt(8)
	v_mul_f32_e32 v79, v68, v111
	v_fmac_f32_e32 v79, v69, v110
	v_add_f32_e32 v78, v78, v79
	s_waitcnt vmcnt(6) lgkmcnt(1)
	v_mul_f32_e32 v79, v70, v113
	v_fmac_f32_e32 v79, v71, v112
	v_add_f32_e32 v78, v78, v79
	s_waitcnt vmcnt(4)
	v_mul_f32_e32 v79, v72, v115
	;; [unrolled: 8-line block ×3, first 2 shown]
	v_fmac_f32_e32 v79, v77, v118
	v_add_f32_e32 v87, v78, v79
	ds_read_b128 v[78:81], v60 offset:368
	buffer_load_dword v120, off, s[0:3], 0 offset:144
	buffer_load_dword v121, off, s[0:3], 0 offset:148
	;; [unrolled: 1-line block ×6, first 2 shown]
	ds_read_b128 v[82:85], v60 offset:384
	buffer_load_dword v95, off, s[0:3], 0 offset:172
	buffer_load_dword v94, off, s[0:3], 0 offset:168
	;; [unrolled: 1-line block ×14, first 2 shown]
	v_mul_f32_e32 v63, v63, v86
	v_fma_f32 v61, v62, v61, -v63
	v_mul_f32_e32 v62, v65, v90
	v_add_f32_e32 v61, 0, v61
	v_fma_f32 v62, v64, v88, -v62
	v_add_f32_e32 v61, v61, v62
	v_mul_f32_e32 v62, v67, v109
	v_fma_f32 v62, v66, v108, -v62
	v_add_f32_e32 v61, v61, v62
	v_mul_f32_e32 v62, v69, v111
	;; [unrolled: 3-line block ×6, first 2 shown]
	v_fma_f32 v62, v76, v118, -v62
	v_add_f32_e32 v86, v61, v62
	ds_read_b128 v[62:65], v60 offset:400
	ds_read_b128 v[66:69], v60 offset:416
	;; [unrolled: 1-line block ×3, first 2 shown]
	s_waitcnt vmcnt(18) lgkmcnt(4)
	v_mul_f32_e32 v89, v78, v121
	s_waitcnt vmcnt(15)
	v_mov_b32_e32 v74, v93
	v_mul_f32_e32 v61, v79, v121
	s_waitcnt lgkmcnt(3)
	v_pk_mul_f32 v[74:75], v[82:83], v[74:75] op_sel_hi:[1,0]
	v_fmac_f32_e32 v89, v79, v120
	v_mul_f32_e32 v91, v80, v123
	v_fma_f32 v88, v78, v120, -v61
	v_mul_f32_e32 v61, v81, v123
	s_waitcnt vmcnt(14)
	v_pk_fma_f32 v[76:77], v[82:83], v[92:93], v[74:75] op_sel:[0,0,1] op_sel_hi:[1,1,0] neg_lo:[0,0,1] neg_hi:[0,0,1]
	v_pk_fma_f32 v[74:75], v[82:83], v[92:93], v[74:75] op_sel:[0,0,1] op_sel_hi:[1,0,0]
	v_fmac_f32_e32 v91, v81, v122
	v_fma_f32 v90, v80, v122, -v61
	v_pk_add_f32 v[60:61], v[86:87], v[88:89]
	s_waitcnt vmcnt(13)
	v_mov_b32_e32 v74, v95
	v_pk_add_f32 v[60:61], v[60:61], v[90:91]
	v_mov_b32_e32 v77, v75
	v_pk_mul_f32 v[74:75], v[84:85], v[74:75] op_sel_hi:[1,0]
	v_pk_add_f32 v[60:61], v[60:61], v[76:77]
	s_waitcnt vmcnt(12)
	v_pk_fma_f32 v[76:77], v[84:85], v[94:95], v[74:75] op_sel:[0,0,1] op_sel_hi:[1,1,0] neg_lo:[0,0,1] neg_hi:[0,0,1]
	v_pk_fma_f32 v[74:75], v[84:85], v[94:95], v[74:75] op_sel:[0,0,1] op_sel_hi:[1,0,0]
	s_waitcnt vmcnt(11)
	v_mov_b32_e32 v74, v97
	v_mov_b32_e32 v77, v75
	s_waitcnt lgkmcnt(2)
	v_pk_mul_f32 v[74:75], v[62:63], v[74:75] op_sel_hi:[1,0]
	v_pk_add_f32 v[60:61], v[60:61], v[76:77]
	s_waitcnt vmcnt(10)
	v_pk_fma_f32 v[76:77], v[62:63], v[96:97], v[74:75] op_sel:[0,0,1] op_sel_hi:[1,1,0] neg_lo:[0,0,1] neg_hi:[0,0,1]
	v_pk_fma_f32 v[62:63], v[62:63], v[96:97], v[74:75] op_sel:[0,0,1] op_sel_hi:[1,0,0]
	s_waitcnt vmcnt(9)
	v_mov_b32_e32 v62, v99
	v_mov_b32_e32 v77, v63
	v_pk_mul_f32 v[62:63], v[64:65], v[62:63] op_sel_hi:[1,0]
	s_waitcnt vmcnt(8)
	v_pk_fma_f32 v[74:75], v[64:65], v[98:99], v[62:63] op_sel:[0,0,1] op_sel_hi:[1,1,0] neg_lo:[0,0,1] neg_hi:[0,0,1]
	v_pk_fma_f32 v[62:63], v[64:65], v[98:99], v[62:63] op_sel:[0,0,1] op_sel_hi:[1,0,0]
	s_waitcnt vmcnt(7)
	v_mov_b32_e32 v62, v101
	v_mov_b32_e32 v75, v63
	s_waitcnt lgkmcnt(1)
	v_pk_mul_f32 v[62:63], v[66:67], v[62:63] op_sel_hi:[1,0]
	s_waitcnt vmcnt(6)
	v_pk_fma_f32 v[64:65], v[66:67], v[100:101], v[62:63] op_sel:[0,0,1] op_sel_hi:[1,1,0] neg_lo:[0,0,1] neg_hi:[0,0,1]
	v_pk_fma_f32 v[62:63], v[66:67], v[100:101], v[62:63] op_sel:[0,0,1] op_sel_hi:[1,0,0]
	v_pk_add_f32 v[60:61], v[60:61], v[76:77]
	s_waitcnt vmcnt(5)
	v_mov_b32_e32 v62, v103
	v_pk_add_f32 v[60:61], v[60:61], v[74:75]
	v_mov_b32_e32 v65, v63
	v_pk_mul_f32 v[62:63], v[68:69], v[62:63] op_sel_hi:[1,0]
	v_pk_add_f32 v[60:61], v[60:61], v[64:65]
	s_waitcnt vmcnt(4)
	v_pk_fma_f32 v[64:65], v[68:69], v[102:103], v[62:63] op_sel:[0,0,1] op_sel_hi:[1,1,0] neg_lo:[0,0,1] neg_hi:[0,0,1]
	v_pk_fma_f32 v[62:63], v[68:69], v[102:103], v[62:63] op_sel:[0,0,1] op_sel_hi:[1,0,0]
	s_waitcnt vmcnt(3)
	v_mov_b32_e32 v62, v105
	v_mov_b32_e32 v65, v63
	s_waitcnt lgkmcnt(0)
	v_pk_mul_f32 v[62:63], v[70:71], v[62:63] op_sel_hi:[1,0]
	v_pk_add_f32 v[60:61], v[60:61], v[64:65]
	s_waitcnt vmcnt(2)
	v_pk_fma_f32 v[64:65], v[70:71], v[104:105], v[62:63] op_sel:[0,0,1] op_sel_hi:[1,1,0] neg_lo:[0,0,1] neg_hi:[0,0,1]
	v_pk_fma_f32 v[62:63], v[70:71], v[104:105], v[62:63] op_sel:[0,0,1] op_sel_hi:[1,0,0]
	s_waitcnt vmcnt(1)
	v_mov_b32_e32 v62, v107
	v_mov_b32_e32 v65, v63
	v_pk_mul_f32 v[62:63], v[72:73], v[62:63] op_sel_hi:[1,0]
	v_pk_add_f32 v[60:61], v[60:61], v[64:65]
	s_waitcnt vmcnt(0)
	v_pk_fma_f32 v[64:65], v[72:73], v[106:107], v[62:63] op_sel:[0,0,1] op_sel_hi:[1,1,0] neg_lo:[0,0,1] neg_hi:[0,0,1]
	v_pk_fma_f32 v[62:63], v[72:73], v[106:107], v[62:63] op_sel:[0,0,1] op_sel_hi:[1,0,0]
	v_mov_b32_e32 v65, v63
	v_pk_add_f32 v[60:61], v[60:61], v[64:65]
	v_pk_add_f32 v[58:59], v[58:59], v[60:61] neg_lo:[0,1] neg_hi:[0,1]
	buffer_store_dword v59, off, s[0:3], 0 offset:76
	buffer_store_dword v58, off, s[0:3], 0 offset:72
	s_and_saveexec_b64 s[4:5], vcc
	s_cbranch_execz .LBB91_165
; %bb.164:
	buffer_load_dword v58, off, s[0:3], 0 offset:64
	buffer_load_dword v59, off, s[0:3], 0 offset:68
	v_mov_b32_e32 v60, 0
	buffer_store_dword v60, off, s[0:3], 0 offset:64
	buffer_store_dword v60, off, s[0:3], 0 offset:68
	s_waitcnt vmcnt(2)
	ds_write_b64 v1, v[58:59]
.LBB91_165:
	s_or_b64 exec, exec, s[4:5]
	v_mov_b32_e32 v60, 0
	s_waitcnt lgkmcnt(0)
	; wave barrier
	s_waitcnt lgkmcnt(0)
	ds_read2_b64 v[62:65], v60 offset0:37 offset1:38
	buffer_load_dword v58, off, s[0:3], 0 offset:64
	buffer_load_dword v59, off, s[0:3], 0 offset:68
	;; [unrolled: 1-line block ×16, first 2 shown]
	v_cmp_lt_u32_e32 vcc, 7, v0
	s_waitcnt vmcnt(12) lgkmcnt(0)
	v_mul_f32_e32 v66, v62, v86
	v_fmac_f32_e32 v66, v63, v61
	s_waitcnt vmcnt(10)
	v_mul_f32_e32 v67, v64, v90
	v_add_f32_e32 v66, 0, v66
	v_fmac_f32_e32 v67, v65, v88
	v_add_f32_e32 v70, v66, v67
	ds_read2_b64 v[66:69], v60 offset0:39 offset1:40
	v_mul_f32_e32 v63, v63, v86
	v_fma_f32 v61, v62, v61, -v63
	v_mul_f32_e32 v62, v65, v90
	v_add_f32_e32 v61, 0, v61
	s_waitcnt vmcnt(8) lgkmcnt(0)
	v_mul_f32_e32 v71, v66, v109
	v_fmac_f32_e32 v71, v67, v108
	v_add_f32_e32 v70, v70, v71
	s_waitcnt vmcnt(6)
	v_mul_f32_e32 v71, v68, v111
	v_fmac_f32_e32 v71, v69, v110
	v_add_f32_e32 v74, v70, v71
	ds_read2_b64 v[70:73], v60 offset0:41 offset1:42
	v_fma_f32 v62, v64, v88, -v62
	v_add_f32_e32 v61, v61, v62
	v_mul_f32_e32 v62, v67, v109
	v_fma_f32 v62, v66, v108, -v62
	s_waitcnt vmcnt(4) lgkmcnt(0)
	v_mul_f32_e32 v75, v70, v113
	v_fmac_f32_e32 v75, v71, v112
	v_add_f32_e32 v74, v74, v75
	s_waitcnt vmcnt(2)
	v_mul_f32_e32 v75, v72, v115
	v_fmac_f32_e32 v75, v73, v114
	v_add_f32_e32 v78, v74, v75
	ds_read2_b64 v[74:77], v60 offset0:43 offset1:44
	buffer_load_dword v118, off, s[0:3], 0 offset:128
	buffer_load_dword v119, off, s[0:3], 0 offset:132
	v_add_f32_e32 v61, v61, v62
	v_mul_f32_e32 v62, v69, v111
	v_fma_f32 v62, v68, v110, -v62
	s_waitcnt vmcnt(2) lgkmcnt(0)
	v_mul_f32_e32 v79, v74, v117
	v_fmac_f32_e32 v79, v75, v116
	v_add_f32_e32 v78, v78, v79
	v_add_f32_e32 v61, v61, v62
	v_mul_f32_e32 v62, v71, v113
	v_fma_f32 v62, v70, v112, -v62
	v_add_f32_e32 v61, v61, v62
	v_mul_f32_e32 v62, v73, v115
	v_fma_f32 v62, v72, v114, -v62
	;; [unrolled: 3-line block ×3, first 2 shown]
	v_add_f32_e32 v61, v61, v62
	s_waitcnt vmcnt(0)
	v_mul_f32_e32 v79, v76, v119
	v_fmac_f32_e32 v79, v77, v118
	v_add_f32_e32 v82, v78, v79
	ds_read2_b64 v[78:81], v60 offset0:45 offset1:46
	buffer_load_dword v120, off, s[0:3], 0 offset:136
	buffer_load_dword v121, off, s[0:3], 0 offset:140
	;; [unrolled: 1-line block ×4, first 2 shown]
	v_mul_f32_e32 v62, v77, v119
	v_fma_f32 v62, v76, v118, -v62
	v_add_f32_e32 v61, v61, v62
	s_waitcnt vmcnt(2) lgkmcnt(0)
	v_mul_f32_e32 v83, v78, v121
	v_fmac_f32_e32 v83, v79, v120
	v_add_f32_e32 v87, v82, v83
	ds_read2_b64 v[82:85], v60 offset0:47 offset1:48
	buffer_load_dword v124, off, s[0:3], 0 offset:152
	buffer_load_dword v125, off, s[0:3], 0 offset:156
	;; [unrolled: 1-line block ×18, first 2 shown]
	v_mul_f32_e32 v62, v79, v121
	v_fma_f32 v62, v78, v120, -v62
	s_waitcnt vmcnt(18)
	v_mul_f32_e32 v89, v80, v123
	v_add_f32_e32 v86, v61, v62
	v_mul_f32_e32 v61, v81, v123
	v_fmac_f32_e32 v89, v81, v122
	v_fma_f32 v88, v80, v122, -v61
	ds_read2_b64 v[62:65], v60 offset0:49 offset1:50
	ds_read2_b64 v[66:69], v60 offset0:51 offset1:52
	;; [unrolled: 1-line block ×3, first 2 shown]
	ds_read_b64 v[74:75], v60 offset:440
	v_pk_add_f32 v[76:77], v[86:87], v[88:89]
	s_waitcnt vmcnt(15)
	v_mov_b32_e32 v78, v93
	s_waitcnt lgkmcnt(4)
	v_pk_mul_f32 v[78:79], v[84:85], v[78:79] op_sel_hi:[1,0]
	s_waitcnt vmcnt(14)
	v_pk_fma_f32 v[80:81], v[84:85], v[92:93], v[78:79] op_sel:[0,0,1] op_sel_hi:[1,1,0] neg_lo:[0,0,1] neg_hi:[0,0,1]
	v_pk_fma_f32 v[78:79], v[84:85], v[92:93], v[78:79] op_sel:[0,0,1] op_sel_hi:[1,0,0]
	s_waitcnt vmcnt(13)
	v_mov_b32_e32 v78, v95
	v_mov_b32_e32 v81, v79
	s_waitcnt lgkmcnt(3)
	v_pk_mul_f32 v[78:79], v[62:63], v[78:79] op_sel_hi:[1,0]
	v_mul_f32_e32 v91, v82, v125
	v_mul_f32_e32 v61, v83, v125
	v_fmac_f32_e32 v91, v83, v124
	v_fma_f32 v90, v82, v124, -v61
	v_pk_add_f32 v[76:77], v[76:77], v[90:91]
	v_pk_add_f32 v[76:77], v[76:77], v[80:81]
	s_waitcnt vmcnt(12)
	v_pk_fma_f32 v[80:81], v[62:63], v[94:95], v[78:79] op_sel:[0,0,1] op_sel_hi:[1,1,0] neg_lo:[0,0,1] neg_hi:[0,0,1]
	v_pk_fma_f32 v[62:63], v[62:63], v[94:95], v[78:79] op_sel:[0,0,1] op_sel_hi:[1,0,0]
	v_mov_b32_e32 v81, v63
	v_pk_add_f32 v[62:63], v[76:77], v[80:81]
	s_waitcnt vmcnt(11)
	v_mov_b32_e32 v76, v97
	v_pk_mul_f32 v[76:77], v[64:65], v[76:77] op_sel_hi:[1,0]
	s_waitcnt vmcnt(10)
	v_pk_fma_f32 v[78:79], v[64:65], v[96:97], v[76:77] op_sel:[0,0,1] op_sel_hi:[1,1,0] neg_lo:[0,0,1] neg_hi:[0,0,1]
	v_pk_fma_f32 v[64:65], v[64:65], v[96:97], v[76:77] op_sel:[0,0,1] op_sel_hi:[1,0,0]
	s_waitcnt vmcnt(9)
	v_mov_b32_e32 v64, v99
	v_mov_b32_e32 v79, v65
	s_waitcnt lgkmcnt(2)
	v_pk_mul_f32 v[64:65], v[66:67], v[64:65] op_sel_hi:[1,0]
	s_waitcnt vmcnt(8)
	v_pk_fma_f32 v[76:77], v[66:67], v[98:99], v[64:65] op_sel:[0,0,1] op_sel_hi:[1,1,0] neg_lo:[0,0,1] neg_hi:[0,0,1]
	v_pk_fma_f32 v[64:65], v[66:67], v[98:99], v[64:65] op_sel:[0,0,1] op_sel_hi:[1,0,0]
	s_waitcnt vmcnt(7)
	v_mov_b32_e32 v64, v101
	v_mov_b32_e32 v77, v65
	v_pk_mul_f32 v[64:65], v[68:69], v[64:65] op_sel_hi:[1,0]
	s_waitcnt vmcnt(6)
	v_pk_fma_f32 v[66:67], v[68:69], v[100:101], v[64:65] op_sel:[0,0,1] op_sel_hi:[1,1,0] neg_lo:[0,0,1] neg_hi:[0,0,1]
	v_pk_fma_f32 v[64:65], v[68:69], v[100:101], v[64:65] op_sel:[0,0,1] op_sel_hi:[1,0,0]
	v_pk_add_f32 v[62:63], v[62:63], v[78:79]
	s_waitcnt vmcnt(5)
	v_mov_b32_e32 v64, v103
	v_pk_add_f32 v[62:63], v[62:63], v[76:77]
	v_mov_b32_e32 v67, v65
	s_waitcnt lgkmcnt(1)
	v_pk_mul_f32 v[64:65], v[70:71], v[64:65] op_sel_hi:[1,0]
	v_pk_add_f32 v[62:63], v[62:63], v[66:67]
	s_waitcnt vmcnt(4)
	v_pk_fma_f32 v[66:67], v[70:71], v[102:103], v[64:65] op_sel:[0,0,1] op_sel_hi:[1,1,0] neg_lo:[0,0,1] neg_hi:[0,0,1]
	v_pk_fma_f32 v[64:65], v[70:71], v[102:103], v[64:65] op_sel:[0,0,1] op_sel_hi:[1,0,0]
	s_waitcnt vmcnt(3)
	v_mov_b32_e32 v64, v105
	v_mov_b32_e32 v67, v65
	v_pk_mul_f32 v[64:65], v[72:73], v[64:65] op_sel_hi:[1,0]
	v_pk_add_f32 v[62:63], v[62:63], v[66:67]
	s_waitcnt vmcnt(2)
	v_pk_fma_f32 v[66:67], v[72:73], v[104:105], v[64:65] op_sel:[0,0,1] op_sel_hi:[1,1,0] neg_lo:[0,0,1] neg_hi:[0,0,1]
	v_pk_fma_f32 v[64:65], v[72:73], v[104:105], v[64:65] op_sel:[0,0,1] op_sel_hi:[1,0,0]
	s_waitcnt vmcnt(1)
	v_mov_b32_e32 v64, v107
	v_mov_b32_e32 v67, v65
	s_waitcnt lgkmcnt(0)
	v_pk_mul_f32 v[64:65], v[74:75], v[64:65] op_sel_hi:[1,0]
	v_pk_add_f32 v[62:63], v[62:63], v[66:67]
	s_waitcnt vmcnt(0)
	v_pk_fma_f32 v[66:67], v[74:75], v[106:107], v[64:65] op_sel:[0,0,1] op_sel_hi:[1,1,0] neg_lo:[0,0,1] neg_hi:[0,0,1]
	v_pk_fma_f32 v[64:65], v[74:75], v[106:107], v[64:65] op_sel:[0,0,1] op_sel_hi:[1,0,0]
	v_mov_b32_e32 v67, v65
	v_pk_add_f32 v[62:63], v[62:63], v[66:67]
	v_pk_add_f32 v[58:59], v[58:59], v[62:63] neg_lo:[0,1] neg_hi:[0,1]
	buffer_store_dword v59, off, s[0:3], 0 offset:68
	buffer_store_dword v58, off, s[0:3], 0 offset:64
	s_and_saveexec_b64 s[4:5], vcc
	s_cbranch_execz .LBB91_167
; %bb.166:
	buffer_load_dword v58, off, s[0:3], 0 offset:56
	buffer_load_dword v59, off, s[0:3], 0 offset:60
	s_waitcnt vmcnt(0)
	ds_write_b64 v1, v[58:59]
	buffer_store_dword v60, off, s[0:3], 0 offset:56
	buffer_store_dword v60, off, s[0:3], 0 offset:60
.LBB91_167:
	s_or_b64 exec, exec, s[4:5]
	s_waitcnt lgkmcnt(0)
	; wave barrier
	s_waitcnt lgkmcnt(0)
	buffer_load_dword v58, off, s[0:3], 0 offset:68
	buffer_load_dword v59, off, s[0:3], 0 offset:76
	;; [unrolled: 1-line block ×26, first 2 shown]
	ds_read_b128 v[62:65], v60 offset:288
	ds_read_b128 v[66:69], v60 offset:304
	;; [unrolled: 1-line block ×6, first 2 shown]
	buffer_load_dword v89, off, s[0:3], 0 offset:180
	buffer_load_dword v88, off, s[0:3], 0 offset:176
	buffer_load_dword v91, off, s[0:3], 0 offset:172
	buffer_load_dword v90, off, s[0:3], 0 offset:168
	buffer_load_dword v93, off, s[0:3], 0 offset:164
	buffer_load_dword v92, off, s[0:3], 0 offset:160
	buffer_load_dword v95, off, s[0:3], 0 offset:212
	buffer_load_dword v94, off, s[0:3], 0 offset:208
	buffer_load_dword v97, off, s[0:3], 0 offset:204
	buffer_load_dword v96, off, s[0:3], 0 offset:200
	buffer_load_dword v99, off, s[0:3], 0 offset:196
	buffer_load_dword v98, off, s[0:3], 0 offset:192
	buffer_load_dword v101, off, s[0:3], 0 offset:188
	buffer_load_dword v100, off, s[0:3], 0 offset:184
	buffer_load_dword v103, off, s[0:3], 0 offset:220
	buffer_load_dword v102, off, s[0:3], 0 offset:216
	v_cmp_lt_u32_e32 vcc, 6, v0
	s_waitcnt vmcnt(41) lgkmcnt(5)
	v_mul_f32_e32 v127, v62, v58
	s_waitcnt vmcnt(40)
	v_mul_f32_e32 v128, v64, v59
	v_mul_f32_e32 v58, v63, v58
	s_waitcnt vmcnt(39) lgkmcnt(4)
	v_mul_f32_e32 v129, v66, v61
	v_mul_f32_e32 v59, v65, v59
	s_waitcnt vmcnt(38)
	v_mul_f32_e32 v130, v68, v104
	s_waitcnt vmcnt(37) lgkmcnt(3)
	v_mul_f32_e32 v131, v70, v106
	s_waitcnt vmcnt(36)
	v_mul_f32_e32 v132, v72, v108
	s_waitcnt vmcnt(35) lgkmcnt(2)
	;; [unrolled: 4-line block ×3, first 2 shown]
	v_mul_f32_e32 v135, v78, v112
	s_waitcnt vmcnt(32)
	v_mul_f32_e32 v136, v80, v113
	s_waitcnt vmcnt(29)
	v_fmac_f32_e32 v127, v63, v109
	s_waitcnt vmcnt(28)
	v_fmac_f32_e32 v128, v65, v116
	v_fma_f32 v58, v62, v109, -v58
	v_add_f32_e32 v62, 0, v127
	s_waitcnt vmcnt(27)
	v_fmac_f32_e32 v129, v67, v117
	v_fma_f32 v59, v64, v116, -v59
	v_add_f32_e32 v58, 0, v58
	v_add_f32_e32 v62, v62, v128
	s_waitcnt vmcnt(26)
	v_fmac_f32_e32 v130, v69, v118
	v_add_f32_e32 v58, v58, v59
	v_add_f32_e32 v59, v62, v129
	s_waitcnt vmcnt(25)
	v_fmac_f32_e32 v131, v71, v119
	v_add_f32_e32 v59, v59, v130
	s_waitcnt vmcnt(24)
	v_fmac_f32_e32 v132, v73, v120
	;; [unrolled: 3-line block ×5, first 2 shown]
	v_add_f32_e32 v59, v59, v134
	v_mul_f32_e32 v61, v67, v61
	s_waitcnt vmcnt(20)
	v_fmac_f32_e32 v136, v81, v124
	v_add_f32_e32 v59, v59, v135
	v_fma_f32 v61, v66, v117, -v61
	v_add_f32_e32 v109, v59, v136
	v_mul_f32_e32 v59, v69, v104
	v_add_f32_e32 v58, v58, v61
	v_fma_f32 v59, v68, v118, -v59
	v_add_f32_e32 v58, v58, v59
	v_mul_f32_e32 v59, v71, v106
	v_fma_f32 v59, v70, v119, -v59
	v_add_f32_e32 v58, v58, v59
	v_mul_f32_e32 v59, v73, v108
	;; [unrolled: 3-line block ×6, first 2 shown]
	v_fma_f32 v59, v80, v124, -v59
	v_add_f32_e32 v108, v58, v59
	s_waitcnt lgkmcnt(0)
	v_mul_f32_e32 v58, v83, v114
	s_waitcnt vmcnt(19)
	v_fma_f32 v104, v82, v125, -v58
	v_mul_f32_e32 v58, v85, v115
	s_waitcnt vmcnt(18)
	v_fma_f32 v106, v84, v126, -v58
	ds_read_b128 v[62:65], v60 offset:384
	ds_read_b128 v[66:69], v60 offset:400
	;; [unrolled: 1-line block ×4, first 2 shown]
	v_mul_f32_e32 v105, v82, v114
	s_waitcnt vmcnt(11)
	v_mov_b32_e32 v76, v93
	v_mul_f32_e32 v107, v84, v115
	v_fmac_f32_e32 v105, v83, v125
	s_waitcnt lgkmcnt(3)
	v_pk_mul_f32 v[76:77], v[62:63], v[76:77] op_sel_hi:[1,0]
	v_fmac_f32_e32 v107, v85, v126
	v_pk_add_f32 v[74:75], v[108:109], v[104:105]
	s_waitcnt vmcnt(10)
	v_pk_fma_f32 v[78:79], v[62:63], v[92:93], v[76:77] op_sel:[0,0,1] op_sel_hi:[1,1,0] neg_lo:[0,0,1] neg_hi:[0,0,1]
	v_pk_fma_f32 v[62:63], v[62:63], v[92:93], v[76:77] op_sel:[0,0,1] op_sel_hi:[1,0,0]
	v_pk_add_f32 v[74:75], v[74:75], v[106:107]
	v_mov_b32_e32 v79, v63
	v_pk_add_f32 v[62:63], v[74:75], v[78:79]
	v_mov_b32_e32 v74, v91
	v_pk_mul_f32 v[74:75], v[64:65], v[74:75] op_sel_hi:[1,0]
	v_pk_fma_f32 v[76:77], v[64:65], v[90:91], v[74:75] op_sel:[0,0,1] op_sel_hi:[1,1,0] neg_lo:[0,0,1] neg_hi:[0,0,1]
	v_pk_fma_f32 v[64:65], v[64:65], v[90:91], v[74:75] op_sel:[0,0,1] op_sel_hi:[1,0,0]
	v_mov_b32_e32 v64, v89
	v_mov_b32_e32 v77, v65
	s_waitcnt lgkmcnt(2)
	v_pk_mul_f32 v[64:65], v[66:67], v[64:65] op_sel_hi:[1,0]
	v_pk_fma_f32 v[74:75], v[66:67], v[88:89], v[64:65] op_sel:[0,0,1] op_sel_hi:[1,1,0] neg_lo:[0,0,1] neg_hi:[0,0,1]
	v_pk_fma_f32 v[64:65], v[66:67], v[88:89], v[64:65] op_sel:[0,0,1] op_sel_hi:[1,0,0]
	s_waitcnt vmcnt(3)
	v_mov_b32_e32 v64, v101
	v_mov_b32_e32 v75, v65
	v_pk_mul_f32 v[64:65], v[68:69], v[64:65] op_sel_hi:[1,0]
	s_waitcnt vmcnt(2)
	v_pk_fma_f32 v[66:67], v[68:69], v[100:101], v[64:65] op_sel:[0,0,1] op_sel_hi:[1,1,0] neg_lo:[0,0,1] neg_hi:[0,0,1]
	v_pk_fma_f32 v[64:65], v[68:69], v[100:101], v[64:65] op_sel:[0,0,1] op_sel_hi:[1,0,0]
	v_pk_add_f32 v[62:63], v[62:63], v[76:77]
	v_mov_b32_e32 v64, v99
	v_pk_add_f32 v[62:63], v[62:63], v[74:75]
	v_mov_b32_e32 v67, v65
	s_waitcnt lgkmcnt(1)
	v_pk_mul_f32 v[64:65], v[70:71], v[64:65] op_sel_hi:[1,0]
	v_pk_add_f32 v[62:63], v[62:63], v[66:67]
	v_pk_fma_f32 v[66:67], v[70:71], v[98:99], v[64:65] op_sel:[0,0,1] op_sel_hi:[1,1,0] neg_lo:[0,0,1] neg_hi:[0,0,1]
	v_pk_fma_f32 v[64:65], v[70:71], v[98:99], v[64:65] op_sel:[0,0,1] op_sel_hi:[1,0,0]
	v_mov_b32_e32 v64, v97
	v_mov_b32_e32 v67, v65
	v_pk_mul_f32 v[64:65], v[72:73], v[64:65] op_sel_hi:[1,0]
	v_pk_add_f32 v[62:63], v[62:63], v[66:67]
	v_pk_fma_f32 v[66:67], v[72:73], v[96:97], v[64:65] op_sel:[0,0,1] op_sel_hi:[1,1,0] neg_lo:[0,0,1] neg_hi:[0,0,1]
	v_pk_fma_f32 v[64:65], v[72:73], v[96:97], v[64:65] op_sel:[0,0,1] op_sel_hi:[1,0,0]
	v_mov_b32_e32 v64, v95
	v_mov_b32_e32 v67, v65
	s_waitcnt lgkmcnt(0)
	v_pk_mul_f32 v[64:65], v[58:59], v[64:65] op_sel_hi:[1,0]
	v_pk_add_f32 v[62:63], v[62:63], v[66:67]
	v_pk_fma_f32 v[66:67], v[58:59], v[94:95], v[64:65] op_sel:[0,0,1] op_sel_hi:[1,1,0] neg_lo:[0,0,1] neg_hi:[0,0,1]
	v_pk_fma_f32 v[58:59], v[58:59], v[94:95], v[64:65] op_sel:[0,0,1] op_sel_hi:[1,0,0]
	v_mov_b32_e32 v67, v59
	v_pk_add_f32 v[58:59], v[62:63], v[66:67]
	s_waitcnt vmcnt(1)
	v_mov_b32_e32 v62, v103
	v_pk_mul_f32 v[62:63], v[60:61], v[62:63] op_sel_hi:[1,0]
	s_waitcnt vmcnt(0)
	v_pk_fma_f32 v[64:65], v[60:61], v[102:103], v[62:63] op_sel:[0,0,1] op_sel_hi:[1,1,0] neg_lo:[0,0,1] neg_hi:[0,0,1]
	v_pk_fma_f32 v[60:61], v[60:61], v[102:103], v[62:63] op_sel:[0,0,1] op_sel_hi:[1,0,0]
	v_mov_b32_e32 v65, v61
	v_pk_add_f32 v[58:59], v[58:59], v[64:65]
	v_pk_add_f32 v[58:59], v[86:87], v[58:59] neg_lo:[0,1] neg_hi:[0,1]
	buffer_store_dword v59, off, s[0:3], 0 offset:60
	buffer_store_dword v58, off, s[0:3], 0 offset:56
	s_and_saveexec_b64 s[4:5], vcc
	s_cbranch_execz .LBB91_169
; %bb.168:
	buffer_load_dword v58, off, s[0:3], 0 offset:48
	buffer_load_dword v59, off, s[0:3], 0 offset:52
	v_mov_b32_e32 v60, 0
	buffer_store_dword v60, off, s[0:3], 0 offset:48
	buffer_store_dword v60, off, s[0:3], 0 offset:52
	s_waitcnt vmcnt(2)
	ds_write_b64 v1, v[58:59]
.LBB91_169:
	s_or_b64 exec, exec, s[4:5]
	s_waitcnt lgkmcnt(0)
	; wave barrier
	s_waitcnt lgkmcnt(0)
	buffer_load_dword v59, off, s[0:3], 0 offset:60
	buffer_load_dword v110, off, s[0:3], 0 offset:68
	;; [unrolled: 1-line block ×44, first 2 shown]
	v_mov_b32_e32 v58, 0
	ds_read2_b64 v[60:63], v58 offset0:35 offset1:36
	ds_read2_b64 v[64:67], v58 offset0:37 offset1:38
	;; [unrolled: 1-line block ×8, first 2 shown]
	v_cmp_lt_u32_e32 vcc, 5, v0
	s_waitcnt vmcnt(43) lgkmcnt(7)
	v_mul_f32_e32 v115, v60, v59
	v_mul_f32_e32 v59, v61, v59
	s_waitcnt vmcnt(42)
	v_mul_f32_e32 v138, v62, v110
	s_waitcnt vmcnt(41) lgkmcnt(6)
	v_mul_f32_e32 v139, v64, v112
	s_waitcnt vmcnt(40)
	v_mul_f32_e32 v140, v66, v114
	s_waitcnt vmcnt(39) lgkmcnt(5)
	;; [unrolled: 4-line block ×5, first 2 shown]
	v_mul_f32_e32 v147, v80, v122
	s_waitcnt vmcnt(32)
	v_mul_f32_e32 v111, v82, v123
	s_waitcnt vmcnt(30)
	v_fma_f32 v59, v60, v125, -v59
	v_mul_f32_e32 v60, v63, v110
	v_add_f32_e32 v59, 0, v59
	s_waitcnt vmcnt(29)
	v_fma_f32 v60, v62, v126, -v60
	v_add_f32_e32 v59, v59, v60
	v_mul_f32_e32 v60, v65, v112
	s_waitcnt vmcnt(28)
	v_fma_f32 v60, v64, v127, -v60
	v_add_f32_e32 v59, v59, v60
	v_mul_f32_e32 v60, v67, v114
	;; [unrolled: 4-line block ×4, first 2 shown]
	s_waitcnt vmcnt(25)
	v_fma_f32 v60, v70, v130, -v60
	v_fmac_f32_e32 v115, v61, v125
	v_add_f32_e32 v59, v59, v60
	v_mul_f32_e32 v60, v73, v118
	v_fmac_f32_e32 v138, v63, v126
	v_add_f32_e32 v61, 0, v115
	s_waitcnt vmcnt(24)
	v_fma_f32 v60, v72, v131, -v60
	v_fmac_f32_e32 v139, v65, v127
	v_add_f32_e32 v61, v61, v138
	v_add_f32_e32 v59, v59, v60
	v_mul_f32_e32 v60, v75, v119
	v_fmac_f32_e32 v140, v67, v128
	v_add_f32_e32 v61, v61, v139
	s_waitcnt vmcnt(23)
	v_fma_f32 v60, v74, v132, -v60
	v_fmac_f32_e32 v141, v69, v129
	v_add_f32_e32 v61, v61, v140
	v_add_f32_e32 v59, v59, v60
	v_mul_f32_e32 v60, v77, v120
	v_fmac_f32_e32 v142, v71, v130
	v_add_f32_e32 v61, v61, v141
	s_waitcnt vmcnt(22)
	v_fma_f32 v60, v76, v133, -v60
	v_fmac_f32_e32 v143, v73, v131
	v_add_f32_e32 v61, v61, v142
	v_add_f32_e32 v59, v59, v60
	v_mul_f32_e32 v60, v79, v121
	v_fmac_f32_e32 v144, v75, v132
	v_add_f32_e32 v61, v61, v143
	s_waitcnt vmcnt(21)
	v_fma_f32 v60, v78, v134, -v60
	v_fmac_f32_e32 v145, v77, v133
	v_add_f32_e32 v61, v61, v144
	v_add_f32_e32 v59, v59, v60
	v_mul_f32_e32 v60, v81, v122
	v_fmac_f32_e32 v146, v79, v134
	v_add_f32_e32 v61, v61, v145
	s_waitcnt vmcnt(20)
	v_fma_f32 v60, v80, v135, -v60
	s_waitcnt vmcnt(13)
	v_mov_b32_e32 v72, v97
	v_fmac_f32_e32 v147, v81, v135
	v_add_f32_e32 v61, v61, v146
	v_add_f32_e32 v114, v59, v60
	v_mul_f32_e32 v59, v83, v123
	s_waitcnt lgkmcnt(1)
	v_pk_mul_f32 v[72:73], v[86:87], v[72:73] op_sel_hi:[1,0]
	v_mul_f32_e32 v113, v84, v124
	v_fmac_f32_e32 v111, v83, v136
	v_add_f32_e32 v115, v61, v147
	v_fma_f32 v110, v82, v136, -v59
	v_mul_f32_e32 v59, v85, v124
	s_waitcnt vmcnt(12)
	v_pk_fma_f32 v[74:75], v[86:87], v[96:97], v[72:73] op_sel:[0,0,1] op_sel_hi:[1,1,0] neg_lo:[0,0,1] neg_hi:[0,0,1]
	v_pk_fma_f32 v[72:73], v[86:87], v[96:97], v[72:73] op_sel:[0,0,1] op_sel_hi:[1,0,0]
	v_fmac_f32_e32 v113, v85, v137
	v_fma_f32 v112, v84, v137, -v59
	v_pk_add_f32 v[70:71], v[114:115], v[110:111]
	v_mov_b32_e32 v72, v95
	v_pk_add_f32 v[70:71], v[70:71], v[112:113]
	v_mov_b32_e32 v75, v73
	s_waitcnt lgkmcnt(0)
	v_pk_mul_f32 v[72:73], v[88:89], v[72:73] op_sel_hi:[1,0]
	v_pk_add_f32 v[70:71], v[70:71], v[74:75]
	v_pk_fma_f32 v[74:75], v[88:89], v[94:95], v[72:73] op_sel:[0,0,1] op_sel_hi:[1,1,0] neg_lo:[0,0,1] neg_hi:[0,0,1]
	v_pk_fma_f32 v[72:73], v[88:89], v[94:95], v[72:73] op_sel:[0,0,1] op_sel_hi:[1,0,0]
	s_waitcnt vmcnt(5)
	v_mov_b32_e32 v72, v105
	ds_read2_b64 v[60:63], v58 offset0:51 offset1:52
	ds_read2_b64 v[64:67], v58 offset0:53 offset1:54
	ds_read_b64 v[68:69], v58 offset:440
	v_mov_b32_e32 v75, v73
	v_pk_mul_f32 v[72:73], v[90:91], v[72:73] op_sel_hi:[1,0]
	v_pk_add_f32 v[70:71], v[70:71], v[74:75]
	s_waitcnt vmcnt(4)
	v_pk_fma_f32 v[74:75], v[90:91], v[104:105], v[72:73] op_sel:[0,0,1] op_sel_hi:[1,1,0] neg_lo:[0,0,1] neg_hi:[0,0,1]
	v_pk_fma_f32 v[72:73], v[90:91], v[104:105], v[72:73] op_sel:[0,0,1] op_sel_hi:[1,0,0]
	v_mov_b32_e32 v72, v103
	v_mov_b32_e32 v75, v73
	s_waitcnt lgkmcnt(2)
	v_pk_mul_f32 v[72:73], v[60:61], v[72:73] op_sel_hi:[1,0]
	v_pk_add_f32 v[70:71], v[70:71], v[74:75]
	v_pk_fma_f32 v[74:75], v[60:61], v[102:103], v[72:73] op_sel:[0,0,1] op_sel_hi:[1,1,0] neg_lo:[0,0,1] neg_hi:[0,0,1]
	v_pk_fma_f32 v[60:61], v[60:61], v[102:103], v[72:73] op_sel:[0,0,1] op_sel_hi:[1,0,0]
	v_mov_b32_e32 v75, v61
	v_pk_add_f32 v[60:61], v[70:71], v[74:75]
	v_mov_b32_e32 v70, v101
	v_pk_mul_f32 v[70:71], v[62:63], v[70:71] op_sel_hi:[1,0]
	v_pk_fma_f32 v[72:73], v[62:63], v[100:101], v[70:71] op_sel:[0,0,1] op_sel_hi:[1,1,0] neg_lo:[0,0,1] neg_hi:[0,0,1]
	v_pk_fma_f32 v[62:63], v[62:63], v[100:101], v[70:71] op_sel:[0,0,1] op_sel_hi:[1,0,0]
	v_mov_b32_e32 v62, v99
	v_mov_b32_e32 v73, v63
	s_waitcnt lgkmcnt(1)
	v_pk_mul_f32 v[62:63], v[64:65], v[62:63] op_sel_hi:[1,0]
	v_pk_fma_f32 v[70:71], v[64:65], v[98:99], v[62:63] op_sel:[0,0,1] op_sel_hi:[1,1,0] neg_lo:[0,0,1] neg_hi:[0,0,1]
	v_pk_fma_f32 v[62:63], v[64:65], v[98:99], v[62:63] op_sel:[0,0,1] op_sel_hi:[1,0,0]
	s_waitcnt vmcnt(1)
	v_mov_b32_e32 v62, v109
	v_mov_b32_e32 v71, v63
	v_pk_mul_f32 v[62:63], v[66:67], v[62:63] op_sel_hi:[1,0]
	s_waitcnt vmcnt(0)
	v_pk_fma_f32 v[64:65], v[66:67], v[108:109], v[62:63] op_sel:[0,0,1] op_sel_hi:[1,1,0] neg_lo:[0,0,1] neg_hi:[0,0,1]
	v_pk_fma_f32 v[62:63], v[66:67], v[108:109], v[62:63] op_sel:[0,0,1] op_sel_hi:[1,0,0]
	v_pk_add_f32 v[60:61], v[60:61], v[72:73]
	v_mov_b32_e32 v62, v107
	v_pk_add_f32 v[60:61], v[60:61], v[70:71]
	v_mov_b32_e32 v65, v63
	s_waitcnt lgkmcnt(0)
	v_pk_mul_f32 v[62:63], v[68:69], v[62:63] op_sel_hi:[1,0]
	v_pk_add_f32 v[60:61], v[60:61], v[64:65]
	v_pk_fma_f32 v[64:65], v[68:69], v[106:107], v[62:63] op_sel:[0,0,1] op_sel_hi:[1,1,0] neg_lo:[0,0,1] neg_hi:[0,0,1]
	v_pk_fma_f32 v[62:63], v[68:69], v[106:107], v[62:63] op_sel:[0,0,1] op_sel_hi:[1,0,0]
	v_mov_b32_e32 v65, v63
	v_pk_add_f32 v[60:61], v[60:61], v[64:65]
	v_pk_add_f32 v[60:61], v[92:93], v[60:61] neg_lo:[0,1] neg_hi:[0,1]
	buffer_store_dword v61, off, s[0:3], 0 offset:52
	buffer_store_dword v60, off, s[0:3], 0 offset:48
	s_and_saveexec_b64 s[4:5], vcc
	s_cbranch_execz .LBB91_171
; %bb.170:
	buffer_load_dword v60, off, s[0:3], 0 offset:40
	buffer_load_dword v61, off, s[0:3], 0 offset:44
	s_waitcnt vmcnt(0)
	ds_write_b64 v1, v[60:61]
	buffer_store_dword v58, off, s[0:3], 0 offset:40
	buffer_store_dword v58, off, s[0:3], 0 offset:44
.LBB91_171:
	s_or_b64 exec, exec, s[4:5]
	s_waitcnt lgkmcnt(0)
	; wave barrier
	s_waitcnt lgkmcnt(0)
	buffer_load_dword v59, off, s[0:3], 0 offset:52
	buffer_load_dword v110, off, s[0:3], 0 offset:60
	;; [unrolled: 1-line block ×30, first 2 shown]
	ds_read_b128 v[60:63], v58 offset:272
	ds_read_b128 v[64:67], v58 offset:288
	;; [unrolled: 1-line block ×6, first 2 shown]
	buffer_load_dword v95, off, s[0:3], 0 offset:164
	buffer_load_dword v94, off, s[0:3], 0 offset:160
	ds_read_b128 v[84:87], v58 offset:368
	ds_read_b128 v[88:91], v58 offset:384
	buffer_load_dword v97, off, s[0:3], 0 offset:196
	buffer_load_dword v96, off, s[0:3], 0 offset:192
	;; [unrolled: 1-line block ×14, first 2 shown]
	v_cmp_lt_u32_e32 vcc, 4, v0
	s_waitcnt vmcnt(45) lgkmcnt(7)
	v_mul_f32_e32 v113, v60, v59
	v_mul_f32_e32 v59, v61, v59
	s_waitcnt vmcnt(44)
	v_mul_f32_e32 v115, v62, v110
	s_waitcnt vmcnt(43) lgkmcnt(6)
	v_mul_f32_e32 v140, v64, v112
	s_waitcnt vmcnt(42)
	v_mul_f32_e32 v141, v66, v114
	s_waitcnt vmcnt(41) lgkmcnt(5)
	;; [unrolled: 4-line block ×5, first 2 shown]
	v_mul_f32_e32 v148, v80, v122
	s_waitcnt vmcnt(34)
	v_mul_f32_e32 v149, v82, v123
	s_waitcnt vmcnt(32)
	v_fma_f32 v59, v60, v125, -v59
	v_mul_f32_e32 v60, v63, v110
	v_add_f32_e32 v59, 0, v59
	s_waitcnt vmcnt(31)
	v_fma_f32 v60, v62, v126, -v60
	v_add_f32_e32 v59, v59, v60
	v_mul_f32_e32 v60, v65, v112
	s_waitcnt vmcnt(30)
	v_fma_f32 v60, v64, v127, -v60
	v_add_f32_e32 v59, v59, v60
	v_mul_f32_e32 v60, v67, v114
	s_waitcnt vmcnt(29)
	v_fma_f32 v60, v66, v128, -v60
	v_add_f32_e32 v59, v59, v60
	v_mul_f32_e32 v60, v69, v116
	s_waitcnt vmcnt(28)
	v_fma_f32 v60, v68, v129, -v60
	v_add_f32_e32 v59, v59, v60
	v_mul_f32_e32 v60, v71, v117
	s_waitcnt vmcnt(27)
	v_fma_f32 v60, v70, v130, -v60
	v_add_f32_e32 v59, v59, v60
	v_mul_f32_e32 v60, v73, v118
	v_fmac_f32_e32 v113, v61, v125
	s_waitcnt vmcnt(26)
	v_fma_f32 v60, v72, v131, -v60
	v_fmac_f32_e32 v115, v63, v126
	v_add_f32_e32 v113, 0, v113
	v_add_f32_e32 v59, v59, v60
	v_mul_f32_e32 v60, v75, v119
	v_fmac_f32_e32 v140, v65, v127
	v_add_f32_e32 v113, v113, v115
	s_waitcnt vmcnt(25)
	v_fma_f32 v60, v74, v132, -v60
	v_fmac_f32_e32 v141, v67, v128
	v_add_f32_e32 v113, v113, v140
	v_add_f32_e32 v59, v59, v60
	v_mul_f32_e32 v60, v77, v120
	v_fmac_f32_e32 v142, v69, v129
	v_add_f32_e32 v113, v113, v141
	;; [unrolled: 8-line block ×5, first 2 shown]
	s_waitcnt vmcnt(21)
	v_fma_f32 v60, v82, v136, -v60
	s_waitcnt vmcnt(15)
	v_mov_b32_e32 v72, v95
	s_waitcnt lgkmcnt(1)
	v_mul_f32_e32 v111, v84, v124
	v_fmac_f32_e32 v149, v83, v136
	v_add_f32_e32 v113, v113, v148
	v_add_f32_e32 v112, v59, v60
	v_mul_f32_e32 v59, v85, v124
	s_waitcnt lgkmcnt(0)
	v_pk_mul_f32 v[72:73], v[88:89], v[72:73] op_sel_hi:[1,0]
	v_fmac_f32_e32 v111, v85, v137
	v_add_f32_e32 v113, v113, v149
	v_mul_f32_e32 v115, v86, v138
	v_fma_f32 v110, v84, v137, -v59
	v_mul_f32_e32 v59, v87, v138
	s_waitcnt vmcnt(14)
	v_pk_fma_f32 v[74:75], v[88:89], v[94:95], v[72:73] op_sel:[0,0,1] op_sel_hi:[1,1,0] neg_lo:[0,0,1] neg_hi:[0,0,1]
	v_pk_fma_f32 v[72:73], v[88:89], v[94:95], v[72:73] op_sel:[0,0,1] op_sel_hi:[1,0,0]
	v_fmac_f32_e32 v115, v87, v139
	v_fma_f32 v114, v86, v139, -v59
	ds_read_b128 v[60:63], v58 offset:400
	ds_read_b128 v[64:67], v58 offset:416
	;; [unrolled: 1-line block ×3, first 2 shown]
	v_pk_add_f32 v[58:59], v[112:113], v[110:111]
	s_waitcnt vmcnt(7)
	v_mov_b32_e32 v72, v103
	v_pk_add_f32 v[58:59], v[58:59], v[114:115]
	v_mov_b32_e32 v75, v73
	v_pk_mul_f32 v[72:73], v[90:91], v[72:73] op_sel_hi:[1,0]
	v_pk_add_f32 v[58:59], v[58:59], v[74:75]
	s_waitcnt vmcnt(6)
	v_pk_fma_f32 v[74:75], v[90:91], v[102:103], v[72:73] op_sel:[0,0,1] op_sel_hi:[1,1,0] neg_lo:[0,0,1] neg_hi:[0,0,1]
	v_pk_fma_f32 v[72:73], v[90:91], v[102:103], v[72:73] op_sel:[0,0,1] op_sel_hi:[1,0,0]
	v_mov_b32_e32 v72, v101
	v_mov_b32_e32 v75, v73
	s_waitcnt lgkmcnt(2)
	v_pk_mul_f32 v[72:73], v[60:61], v[72:73] op_sel_hi:[1,0]
	v_pk_add_f32 v[58:59], v[58:59], v[74:75]
	v_pk_fma_f32 v[74:75], v[60:61], v[100:101], v[72:73] op_sel:[0,0,1] op_sel_hi:[1,1,0] neg_lo:[0,0,1] neg_hi:[0,0,1]
	v_pk_fma_f32 v[60:61], v[60:61], v[100:101], v[72:73] op_sel:[0,0,1] op_sel_hi:[1,0,0]
	v_mov_b32_e32 v60, v99
	v_mov_b32_e32 v75, v61
	v_pk_mul_f32 v[60:61], v[62:63], v[60:61] op_sel_hi:[1,0]
	v_pk_fma_f32 v[72:73], v[62:63], v[98:99], v[60:61] op_sel:[0,0,1] op_sel_hi:[1,1,0] neg_lo:[0,0,1] neg_hi:[0,0,1]
	v_pk_fma_f32 v[60:61], v[62:63], v[98:99], v[60:61] op_sel:[0,0,1] op_sel_hi:[1,0,0]
	v_mov_b32_e32 v60, v97
	v_mov_b32_e32 v73, v61
	s_waitcnt lgkmcnt(1)
	v_pk_mul_f32 v[60:61], v[64:65], v[60:61] op_sel_hi:[1,0]
	v_pk_fma_f32 v[62:63], v[64:65], v[96:97], v[60:61] op_sel:[0,0,1] op_sel_hi:[1,1,0] neg_lo:[0,0,1] neg_hi:[0,0,1]
	v_pk_fma_f32 v[60:61], v[64:65], v[96:97], v[60:61] op_sel:[0,0,1] op_sel_hi:[1,0,0]
	v_pk_add_f32 v[58:59], v[58:59], v[74:75]
	s_waitcnt vmcnt(1)
	v_mov_b32_e32 v60, v109
	v_pk_add_f32 v[58:59], v[58:59], v[72:73]
	v_mov_b32_e32 v63, v61
	v_pk_mul_f32 v[60:61], v[66:67], v[60:61] op_sel_hi:[1,0]
	v_pk_add_f32 v[58:59], v[58:59], v[62:63]
	s_waitcnt vmcnt(0)
	v_pk_fma_f32 v[62:63], v[66:67], v[108:109], v[60:61] op_sel:[0,0,1] op_sel_hi:[1,1,0] neg_lo:[0,0,1] neg_hi:[0,0,1]
	v_pk_fma_f32 v[60:61], v[66:67], v[108:109], v[60:61] op_sel:[0,0,1] op_sel_hi:[1,0,0]
	v_mov_b32_e32 v60, v107
	v_mov_b32_e32 v63, v61
	s_waitcnt lgkmcnt(0)
	v_pk_mul_f32 v[60:61], v[68:69], v[60:61] op_sel_hi:[1,0]
	v_pk_add_f32 v[58:59], v[58:59], v[62:63]
	v_pk_fma_f32 v[62:63], v[68:69], v[106:107], v[60:61] op_sel:[0,0,1] op_sel_hi:[1,1,0] neg_lo:[0,0,1] neg_hi:[0,0,1]
	v_pk_fma_f32 v[60:61], v[68:69], v[106:107], v[60:61] op_sel:[0,0,1] op_sel_hi:[1,0,0]
	v_mov_b32_e32 v60, v105
	v_mov_b32_e32 v63, v61
	v_pk_mul_f32 v[60:61], v[70:71], v[60:61] op_sel_hi:[1,0]
	v_pk_add_f32 v[58:59], v[58:59], v[62:63]
	v_pk_fma_f32 v[62:63], v[70:71], v[104:105], v[60:61] op_sel:[0,0,1] op_sel_hi:[1,1,0] neg_lo:[0,0,1] neg_hi:[0,0,1]
	v_pk_fma_f32 v[60:61], v[70:71], v[104:105], v[60:61] op_sel:[0,0,1] op_sel_hi:[1,0,0]
	v_mov_b32_e32 v63, v61
	v_pk_add_f32 v[58:59], v[58:59], v[62:63]
	v_pk_add_f32 v[58:59], v[92:93], v[58:59] neg_lo:[0,1] neg_hi:[0,1]
	buffer_store_dword v59, off, s[0:3], 0 offset:44
	buffer_store_dword v58, off, s[0:3], 0 offset:40
	s_and_saveexec_b64 s[4:5], vcc
	s_cbranch_execz .LBB91_173
; %bb.172:
	buffer_load_dword v58, off, s[0:3], 0 offset:32
	buffer_load_dword v59, off, s[0:3], 0 offset:36
	v_mov_b32_e32 v60, 0
	buffer_store_dword v60, off, s[0:3], 0 offset:32
	buffer_store_dword v60, off, s[0:3], 0 offset:36
	s_waitcnt vmcnt(2)
	ds_write_b64 v1, v[58:59]
.LBB91_173:
	s_or_b64 exec, exec, s[4:5]
	s_waitcnt lgkmcnt(0)
	; wave barrier
	s_waitcnt lgkmcnt(0)
	buffer_load_dword v59, off, s[0:3], 0 offset:44
	buffer_load_dword v108, off, s[0:3], 0 offset:52
	;; [unrolled: 1-line block ×32, first 2 shown]
	v_mov_b32_e32 v58, 0
	buffer_load_dword v95, off, s[0:3], 0 offset:188
	buffer_load_dword v94, off, s[0:3], 0 offset:184
	buffer_load_dword v97, off, s[0:3], 0 offset:180
	buffer_load_dword v96, off, s[0:3], 0 offset:176
	buffer_load_dword v99, off, s[0:3], 0 offset:172
	buffer_load_dword v98, off, s[0:3], 0 offset:168
	buffer_load_dword v101, off, s[0:3], 0 offset:164
	buffer_load_dword v100, off, s[0:3], 0 offset:160
	buffer_load_dword v103, off, s[0:3], 0 offset:196
	buffer_load_dword v105, off, s[0:3], 0 offset:220
	buffer_load_dword v104, off, s[0:3], 0 offset:216
	buffer_load_dword v107, off, s[0:3], 0 offset:212
	buffer_load_dword v106, off, s[0:3], 0 offset:208
	ds_read2_b64 v[60:63], v58 offset0:33 offset1:34
	ds_read2_b64 v[64:67], v58 offset0:35 offset1:36
	;; [unrolled: 1-line block ×8, first 2 shown]
	v_cmp_lt_u32_e32 vcc, 3, v0
	s_waitcnt vmcnt(44) lgkmcnt(7)
	v_mul_f32_e32 v102, v60, v59
	s_waitcnt vmcnt(43)
	v_mul_f32_e32 v109, v62, v108
	s_waitcnt vmcnt(42) lgkmcnt(6)
	v_mul_f32_e32 v110, v64, v112
	s_waitcnt vmcnt(41)
	v_mul_f32_e32 v111, v66, v114
	;; [unrolled: 4-line block ×6, first 2 shown]
	s_waitcnt vmcnt(32) lgkmcnt(1)
	v_mul_f32_e32 v148, v84, v124
	s_waitcnt vmcnt(31)
	v_fmac_f32_e32 v102, v61, v125
	s_waitcnt vmcnt(30)
	v_fmac_f32_e32 v109, v63, v126
	v_add_f32_e32 v102, 0, v102
	s_waitcnt vmcnt(29)
	v_fmac_f32_e32 v110, v65, v127
	v_add_f32_e32 v102, v102, v109
	;; [unrolled: 3-line block ×12, first 2 shown]
	v_add_f32_e32 v109, v102, v148
	buffer_load_dword v111, off, s[0:3], 0 offset:204
	buffer_load_dword v110, off, s[0:3], 0 offset:200
	;; [unrolled: 1-line block ×3, first 2 shown]
	v_mul_f32_e32 v59, v61, v59
	v_fma_f32 v59, v60, v125, -v59
	v_mul_f32_e32 v60, v63, v108
	v_add_f32_e32 v59, 0, v59
	v_fma_f32 v60, v62, v126, -v60
	v_add_f32_e32 v59, v59, v60
	v_mul_f32_e32 v60, v65, v112
	v_fma_f32 v60, v64, v127, -v60
	v_add_f32_e32 v59, v59, v60
	v_mul_f32_e32 v60, v67, v114
	v_fma_f32 v60, v66, v128, -v60
	v_add_f32_e32 v59, v59, v60
	v_mul_f32_e32 v60, v69, v116
	v_fma_f32 v60, v68, v129, -v60
	v_add_f32_e32 v59, v59, v60
	v_mul_f32_e32 v60, v71, v117
	v_fma_f32 v60, v70, v130, -v60
	v_add_f32_e32 v59, v59, v60
	v_mul_f32_e32 v60, v73, v118
	v_fma_f32 v60, v72, v131, -v60
	v_add_f32_e32 v59, v59, v60
	v_mul_f32_e32 v60, v75, v119
	v_fma_f32 v60, v74, v132, -v60
	v_add_f32_e32 v59, v59, v60
	v_mul_f32_e32 v60, v77, v120
	v_fma_f32 v60, v76, v133, -v60
	v_add_f32_e32 v59, v59, v60
	v_mul_f32_e32 v60, v79, v121
	v_fma_f32 v60, v78, v134, -v60
	v_add_f32_e32 v59, v59, v60
	v_mul_f32_e32 v60, v81, v122
	v_fma_f32 v60, v80, v135, -v60
	v_add_f32_e32 v59, v59, v60
	v_mul_f32_e32 v60, v83, v123
	v_fma_f32 v60, v82, v136, -v60
	v_add_f32_e32 v59, v59, v60
	v_mul_f32_e32 v60, v85, v124
	v_fma_f32 v60, v84, v137, -v60
	s_waitcnt vmcnt(9)
	v_mov_b32_e32 v76, v101
	v_mul_f32_e32 v113, v86, v138
	v_add_f32_e32 v108, v59, v60
	v_mul_f32_e32 v59, v87, v138
	s_waitcnt lgkmcnt(0)
	v_pk_mul_f32 v[76:77], v[90:91], v[76:77] op_sel_hi:[1,0]
	v_fmac_f32_e32 v113, v87, v139
	v_mul_f32_e32 v115, v88, v140
	v_fma_f32 v112, v86, v139, -v59
	v_mul_f32_e32 v59, v89, v140
	ds_read2_b64 v[60:63], v58 offset0:49 offset1:50
	ds_read2_b64 v[64:67], v58 offset0:51 offset1:52
	;; [unrolled: 1-line block ×3, first 2 shown]
	ds_read_b64 v[72:73], v58 offset:440
	s_waitcnt vmcnt(8)
	v_pk_fma_f32 v[78:79], v[90:91], v[100:101], v[76:77] op_sel:[0,0,1] op_sel_hi:[1,1,0] neg_lo:[0,0,1] neg_hi:[0,0,1]
	v_pk_fma_f32 v[76:77], v[90:91], v[100:101], v[76:77] op_sel:[0,0,1] op_sel_hi:[1,0,0]
	v_fmac_f32_e32 v115, v89, v141
	v_fma_f32 v114, v88, v141, -v59
	v_pk_add_f32 v[74:75], v[108:109], v[112:113]
	v_mov_b32_e32 v76, v99
	v_pk_add_f32 v[74:75], v[74:75], v[114:115]
	v_mov_b32_e32 v79, v77
	s_waitcnt lgkmcnt(3)
	v_pk_mul_f32 v[76:77], v[60:61], v[76:77] op_sel_hi:[1,0]
	v_pk_add_f32 v[74:75], v[74:75], v[78:79]
	v_pk_fma_f32 v[78:79], v[60:61], v[98:99], v[76:77] op_sel:[0,0,1] op_sel_hi:[1,1,0] neg_lo:[0,0,1] neg_hi:[0,0,1]
	v_pk_fma_f32 v[60:61], v[60:61], v[98:99], v[76:77] op_sel:[0,0,1] op_sel_hi:[1,0,0]
	v_mov_b32_e32 v79, v61
	v_pk_add_f32 v[60:61], v[74:75], v[78:79]
	v_mov_b32_e32 v74, v97
	v_pk_mul_f32 v[74:75], v[62:63], v[74:75] op_sel_hi:[1,0]
	v_pk_fma_f32 v[76:77], v[62:63], v[96:97], v[74:75] op_sel:[0,0,1] op_sel_hi:[1,1,0] neg_lo:[0,0,1] neg_hi:[0,0,1]
	v_pk_fma_f32 v[62:63], v[62:63], v[96:97], v[74:75] op_sel:[0,0,1] op_sel_hi:[1,0,0]
	v_mov_b32_e32 v62, v95
	v_mov_b32_e32 v77, v63
	s_waitcnt lgkmcnt(2)
	v_pk_mul_f32 v[62:63], v[64:65], v[62:63] op_sel_hi:[1,0]
	v_pk_fma_f32 v[74:75], v[64:65], v[94:95], v[62:63] op_sel:[0,0,1] op_sel_hi:[1,1,0] neg_lo:[0,0,1] neg_hi:[0,0,1]
	v_pk_fma_f32 v[62:63], v[64:65], v[94:95], v[62:63] op_sel:[0,0,1] op_sel_hi:[1,0,0]
	s_waitcnt vmcnt(7)
	v_mov_b32_e32 v62, v103
	v_mov_b32_e32 v75, v63
	v_pk_mul_f32 v[62:63], v[66:67], v[62:63] op_sel_hi:[1,0]
	v_pk_add_f32 v[60:61], v[60:61], v[76:77]
	v_pk_add_f32 v[60:61], v[60:61], v[74:75]
	s_waitcnt vmcnt(0)
	v_pk_fma_f32 v[64:65], v[66:67], v[102:103], v[62:63] op_sel:[0,0,1] op_sel_hi:[1,1,0] neg_lo:[0,0,1] neg_hi:[0,0,1]
	v_pk_fma_f32 v[62:63], v[66:67], v[102:103], v[62:63] op_sel:[0,0,1] op_sel_hi:[1,0,0]
	v_mov_b32_e32 v62, v111
	v_mov_b32_e32 v65, v63
	s_waitcnt lgkmcnt(1)
	v_pk_mul_f32 v[62:63], v[68:69], v[62:63] op_sel_hi:[1,0]
	v_pk_add_f32 v[60:61], v[60:61], v[64:65]
	v_pk_fma_f32 v[64:65], v[68:69], v[110:111], v[62:63] op_sel:[0,0,1] op_sel_hi:[1,1,0] neg_lo:[0,0,1] neg_hi:[0,0,1]
	v_pk_fma_f32 v[62:63], v[68:69], v[110:111], v[62:63] op_sel:[0,0,1] op_sel_hi:[1,0,0]
	v_mov_b32_e32 v62, v107
	v_mov_b32_e32 v65, v63
	v_pk_mul_f32 v[62:63], v[70:71], v[62:63] op_sel_hi:[1,0]
	v_pk_add_f32 v[60:61], v[60:61], v[64:65]
	v_pk_fma_f32 v[64:65], v[70:71], v[106:107], v[62:63] op_sel:[0,0,1] op_sel_hi:[1,1,0] neg_lo:[0,0,1] neg_hi:[0,0,1]
	v_pk_fma_f32 v[62:63], v[70:71], v[106:107], v[62:63] op_sel:[0,0,1] op_sel_hi:[1,0,0]
	v_mov_b32_e32 v62, v105
	v_mov_b32_e32 v65, v63
	s_waitcnt lgkmcnt(0)
	v_pk_mul_f32 v[62:63], v[72:73], v[62:63] op_sel_hi:[1,0]
	v_pk_add_f32 v[60:61], v[60:61], v[64:65]
	v_pk_fma_f32 v[64:65], v[72:73], v[104:105], v[62:63] op_sel:[0,0,1] op_sel_hi:[1,1,0] neg_lo:[0,0,1] neg_hi:[0,0,1]
	v_pk_fma_f32 v[62:63], v[72:73], v[104:105], v[62:63] op_sel:[0,0,1] op_sel_hi:[1,0,0]
	v_mov_b32_e32 v65, v63
	v_pk_add_f32 v[60:61], v[60:61], v[64:65]
	v_pk_add_f32 v[60:61], v[92:93], v[60:61] neg_lo:[0,1] neg_hi:[0,1]
	buffer_store_dword v61, off, s[0:3], 0 offset:36
	buffer_store_dword v60, off, s[0:3], 0 offset:32
	s_and_saveexec_b64 s[4:5], vcc
	s_cbranch_execz .LBB91_175
; %bb.174:
	buffer_load_dword v60, off, s[0:3], 0 offset:24
	buffer_load_dword v61, off, s[0:3], 0 offset:28
	s_waitcnt vmcnt(0)
	ds_write_b64 v1, v[60:61]
	buffer_store_dword v58, off, s[0:3], 0 offset:24
	buffer_store_dword v58, off, s[0:3], 0 offset:28
.LBB91_175:
	s_or_b64 exec, exec, s[4:5]
	s_waitcnt lgkmcnt(0)
	; wave barrier
	s_waitcnt lgkmcnt(0)
	buffer_load_dword v59, off, s[0:3], 0 offset:36
	buffer_load_dword v108, off, s[0:3], 0 offset:44
	;; [unrolled: 1-line block ×34, first 2 shown]
	ds_read_b128 v[60:63], v58 offset:256
	ds_read_b128 v[64:67], v58 offset:272
	;; [unrolled: 1-line block ×8, first 2 shown]
	buffer_load_dword v95, off, s[0:3], 0 offset:180
	buffer_load_dword v94, off, s[0:3], 0 offset:176
	;; [unrolled: 1-line block ×9, first 2 shown]
	v_cmp_lt_u32_e32 vcc, 2, v0
	s_waitcnt vmcnt(42) lgkmcnt(7)
	v_mul_f32_e32 v100, v60, v59
	s_waitcnt vmcnt(41)
	v_mul_f32_e32 v104, v62, v108
	s_waitcnt vmcnt(40) lgkmcnt(6)
	v_mul_f32_e32 v105, v64, v110
	s_waitcnt vmcnt(39)
	v_mul_f32_e32 v106, v66, v112
	;; [unrolled: 4-line block ×6, first 2 shown]
	s_waitcnt vmcnt(30) lgkmcnt(1)
	v_mul_f32_e32 v146, v84, v124
	v_mul_f32_e32 v59, v61, v59
	s_waitcnt vmcnt(28)
	v_fmac_f32_e32 v100, v61, v126
	s_waitcnt vmcnt(27)
	v_fmac_f32_e32 v104, v63, v127
	v_add_f32_e32 v100, 0, v100
	s_waitcnt vmcnt(26)
	v_fmac_f32_e32 v105, v65, v128
	v_add_f32_e32 v100, v100, v104
	;; [unrolled: 3-line block ×12, first 2 shown]
	v_add_f32_e32 v109, v100, v146
	buffer_load_dword v105, off, s[0:3], 0 offset:204
	buffer_load_dword v104, off, s[0:3], 0 offset:200
	;; [unrolled: 1-line block ×7, first 2 shown]
	v_fma_f32 v59, v60, v126, -v59
	v_mul_f32_e32 v60, v63, v108
	v_add_f32_e32 v59, 0, v59
	v_fma_f32 v60, v62, v127, -v60
	v_add_f32_e32 v59, v59, v60
	v_mul_f32_e32 v60, v65, v110
	v_fma_f32 v60, v64, v128, -v60
	v_add_f32_e32 v59, v59, v60
	v_mul_f32_e32 v60, v67, v112
	;; [unrolled: 3-line block ×12, first 2 shown]
	s_waitcnt vmcnt(22)
	v_fma_f32 v60, v86, v139, -v60
	v_add_f32_e32 v108, v59, v60
	ds_read_b128 v[60:63], v58 offset:384
	ds_read_b128 v[64:67], v58 offset:400
	;; [unrolled: 1-line block ×4, first 2 shown]
	s_waitcnt vmcnt(11)
	v_mov_b32_e32 v76, v99
	s_waitcnt lgkmcnt(3)
	v_pk_mul_f32 v[76:77], v[60:61], v[76:77] op_sel_hi:[1,0]
	s_waitcnt vmcnt(10)
	v_pk_fma_f32 v[78:79], v[60:61], v[98:99], v[76:77] op_sel:[0,0,1] op_sel_hi:[1,1,0] neg_lo:[0,0,1] neg_hi:[0,0,1]
	v_pk_fma_f32 v[60:61], v[60:61], v[98:99], v[76:77] op_sel:[0,0,1] op_sel_hi:[1,0,0]
	v_mov_b32_e32 v60, v97
	v_mul_f32_e32 v147, v86, v125
	v_mov_b32_e32 v79, v61
	v_pk_mul_f32 v[60:61], v[62:63], v[60:61] op_sel_hi:[1,0]
	v_fmac_f32_e32 v147, v87, v139
	v_mul_f32_e32 v111, v88, v140
	v_mul_f32_e32 v59, v89, v140
	v_pk_fma_f32 v[76:77], v[62:63], v[96:97], v[60:61] op_sel:[0,0,1] op_sel_hi:[1,1,0] neg_lo:[0,0,1] neg_hi:[0,0,1]
	v_pk_fma_f32 v[60:61], v[62:63], v[96:97], v[60:61] op_sel:[0,0,1] op_sel_hi:[1,0,0]
	v_add_f32_e32 v109, v109, v147
	v_fmac_f32_e32 v111, v89, v141
	v_mul_f32_e32 v113, v90, v142
	v_fma_f32 v110, v88, v141, -v59
	v_mul_f32_e32 v59, v91, v142
	v_mov_b32_e32 v60, v95
	v_fmac_f32_e32 v113, v91, v143
	v_fma_f32 v112, v90, v143, -v59
	v_pk_add_f32 v[58:59], v[108:109], v[110:111]
	v_mov_b32_e32 v77, v61
	s_waitcnt lgkmcnt(2)
	v_pk_mul_f32 v[60:61], v[64:65], v[60:61] op_sel_hi:[1,0]
	v_pk_add_f32 v[58:59], v[58:59], v[112:113]
	v_pk_fma_f32 v[62:63], v[64:65], v[94:95], v[60:61] op_sel:[0,0,1] op_sel_hi:[1,1,0] neg_lo:[0,0,1] neg_hi:[0,0,1]
	v_pk_fma_f32 v[60:61], v[64:65], v[94:95], v[60:61] op_sel:[0,0,1] op_sel_hi:[1,0,0]
	v_pk_add_f32 v[58:59], v[58:59], v[78:79]
	s_waitcnt vmcnt(9)
	v_mov_b32_e32 v60, v101
	v_pk_add_f32 v[58:59], v[58:59], v[76:77]
	v_mov_b32_e32 v63, v61
	v_pk_mul_f32 v[60:61], v[66:67], v[60:61] op_sel_hi:[1,0]
	v_pk_add_f32 v[58:59], v[58:59], v[62:63]
	s_waitcnt vmcnt(2)
	v_pk_fma_f32 v[62:63], v[66:67], v[100:101], v[60:61] op_sel:[0,0,1] op_sel_hi:[1,1,0] neg_lo:[0,0,1] neg_hi:[0,0,1]
	v_pk_fma_f32 v[60:61], v[66:67], v[100:101], v[60:61] op_sel:[0,0,1] op_sel_hi:[1,0,0]
	v_mov_b32_e32 v60, v107
	v_mov_b32_e32 v63, v61
	s_waitcnt lgkmcnt(1)
	v_pk_mul_f32 v[60:61], v[68:69], v[60:61] op_sel_hi:[1,0]
	v_pk_add_f32 v[58:59], v[58:59], v[62:63]
	v_pk_fma_f32 v[62:63], v[68:69], v[106:107], v[60:61] op_sel:[0,0,1] op_sel_hi:[1,1,0] neg_lo:[0,0,1] neg_hi:[0,0,1]
	v_pk_fma_f32 v[60:61], v[68:69], v[106:107], v[60:61] op_sel:[0,0,1] op_sel_hi:[1,0,0]
	v_mov_b32_e32 v60, v105
	v_mov_b32_e32 v63, v61
	v_pk_mul_f32 v[60:61], v[70:71], v[60:61] op_sel_hi:[1,0]
	v_pk_add_f32 v[58:59], v[58:59], v[62:63]
	v_pk_fma_f32 v[62:63], v[70:71], v[104:105], v[60:61] op_sel:[0,0,1] op_sel_hi:[1,1,0] neg_lo:[0,0,1] neg_hi:[0,0,1]
	v_pk_fma_f32 v[60:61], v[70:71], v[104:105], v[60:61] op_sel:[0,0,1] op_sel_hi:[1,0,0]
	v_mov_b32_e32 v60, v103
	v_mov_b32_e32 v63, v61
	s_waitcnt lgkmcnt(0)
	v_pk_mul_f32 v[60:61], v[72:73], v[60:61] op_sel_hi:[1,0]
	v_pk_add_f32 v[58:59], v[58:59], v[62:63]
	v_pk_fma_f32 v[62:63], v[72:73], v[102:103], v[60:61] op_sel:[0,0,1] op_sel_hi:[1,1,0] neg_lo:[0,0,1] neg_hi:[0,0,1]
	v_pk_fma_f32 v[60:61], v[72:73], v[102:103], v[60:61] op_sel:[0,0,1] op_sel_hi:[1,0,0]
	s_waitcnt vmcnt(1)
	v_mov_b32_e32 v60, v115
	v_mov_b32_e32 v63, v61
	v_pk_mul_f32 v[60:61], v[74:75], v[60:61] op_sel_hi:[1,0]
	v_pk_add_f32 v[58:59], v[58:59], v[62:63]
	s_waitcnt vmcnt(0)
	v_pk_fma_f32 v[62:63], v[74:75], v[114:115], v[60:61] op_sel:[0,0,1] op_sel_hi:[1,1,0] neg_lo:[0,0,1] neg_hi:[0,0,1]
	v_pk_fma_f32 v[60:61], v[74:75], v[114:115], v[60:61] op_sel:[0,0,1] op_sel_hi:[1,0,0]
	v_mov_b32_e32 v63, v61
	v_pk_add_f32 v[58:59], v[58:59], v[62:63]
	v_pk_add_f32 v[58:59], v[92:93], v[58:59] neg_lo:[0,1] neg_hi:[0,1]
	buffer_store_dword v59, off, s[0:3], 0 offset:28
	buffer_store_dword v58, off, s[0:3], 0 offset:24
	s_and_saveexec_b64 s[4:5], vcc
	s_cbranch_execz .LBB91_177
; %bb.176:
	buffer_load_dword v58, off, s[0:3], 0 offset:16
	buffer_load_dword v59, off, s[0:3], 0 offset:20
	v_mov_b32_e32 v60, 0
	buffer_store_dword v60, off, s[0:3], 0 offset:16
	buffer_store_dword v60, off, s[0:3], 0 offset:20
	s_waitcnt vmcnt(2)
	ds_write_b64 v1, v[58:59]
.LBB91_177:
	s_or_b64 exec, exec, s[4:5]
	s_waitcnt lgkmcnt(0)
	; wave barrier
	s_waitcnt lgkmcnt(0)
	buffer_load_dword v61, off, s[0:3], 0 offset:28
	buffer_load_dword v114, off, s[0:3], 0 offset:36
	buffer_load_dword v116, off, s[0:3], 0 offset:44
	buffer_load_dword v118, off, s[0:3], 0 offset:52
	buffer_load_dword v124, off, s[0:3], 0 offset:60
	buffer_load_dword v125, off, s[0:3], 0 offset:68
	buffer_load_dword v126, off, s[0:3], 0 offset:76
	buffer_load_dword v127, off, s[0:3], 0 offset:84
	buffer_load_dword v128, off, s[0:3], 0 offset:92
	buffer_load_dword v129, off, s[0:3], 0 offset:100
	buffer_load_dword v130, off, s[0:3], 0 offset:108
	buffer_load_dword v131, off, s[0:3], 0 offset:116
	buffer_load_dword v132, off, s[0:3], 0 offset:124
	buffer_load_dword v133, off, s[0:3], 0 offset:132
	buffer_load_dword v134, off, s[0:3], 0 offset:140
	buffer_load_dword v135, off, s[0:3], 0 offset:24
	buffer_load_dword v136, off, s[0:3], 0 offset:32
	buffer_load_dword v137, off, s[0:3], 0 offset:40
	buffer_load_dword v138, off, s[0:3], 0 offset:48
	buffer_load_dword v139, off, s[0:3], 0 offset:56
	buffer_load_dword v140, off, s[0:3], 0 offset:64
	buffer_load_dword v141, off, s[0:3], 0 offset:72
	buffer_load_dword v142, off, s[0:3], 0 offset:80
	buffer_load_dword v143, off, s[0:3], 0 offset:88
	buffer_load_dword v144, off, s[0:3], 0 offset:96
	buffer_load_dword v145, off, s[0:3], 0 offset:104
	buffer_load_dword v146, off, s[0:3], 0 offset:112
	buffer_load_dword v147, off, s[0:3], 0 offset:120
	buffer_load_dword v148, off, s[0:3], 0 offset:128
	buffer_load_dword v149, off, s[0:3], 0 offset:136
	buffer_load_dword v150, off, s[0:3], 0 offset:148
	buffer_load_dword v151, off, s[0:3], 0 offset:144
	buffer_load_dword v152, off, s[0:3], 0 offset:156
	buffer_load_dword v153, off, s[0:3], 0 offset:152
	buffer_load_dword v58, off, s[0:3], 0 offset:16
	buffer_load_dword v59, off, s[0:3], 0 offset:20
	v_mov_b32_e32 v60, 0
	buffer_load_dword v103, off, s[0:3], 0 offset:172
	buffer_load_dword v102, off, s[0:3], 0 offset:168
	;; [unrolled: 1-line block ×5, first 2 shown]
	ds_read2_b64 v[62:65], v60 offset0:31 offset1:32
	ds_read2_b64 v[66:69], v60 offset0:33 offset1:34
	;; [unrolled: 1-line block ×8, first 2 shown]
	v_cmp_lt_u32_e32 vcc, 1, v0
	s_waitcnt vmcnt(40) lgkmcnt(7)
	v_mul_f32_e32 v94, v62, v61
	s_waitcnt vmcnt(39)
	v_mul_f32_e32 v95, v64, v114
	s_waitcnt vmcnt(38) lgkmcnt(6)
	v_mul_f32_e32 v96, v66, v116
	s_waitcnt vmcnt(37)
	v_mul_f32_e32 v97, v68, v118
	;; [unrolled: 4-line block ×7, first 2 shown]
	s_waitcnt vmcnt(26) lgkmcnt(0)
	v_mul_f32_e32 v115, v90, v134
	s_waitcnt vmcnt(25)
	v_fmac_f32_e32 v94, v63, v135
	s_waitcnt vmcnt(24)
	v_fmac_f32_e32 v95, v65, v136
	v_add_f32_e32 v94, 0, v94
	s_waitcnt vmcnt(23)
	v_fmac_f32_e32 v96, v67, v137
	v_add_f32_e32 v94, v94, v95
	;; [unrolled: 3-line block ×13, first 2 shown]
	v_add_f32_e32 v98, v94, v112
	buffer_load_dword v109, off, s[0:3], 0 offset:204
	buffer_load_dword v108, off, s[0:3], 0 offset:200
	;; [unrolled: 1-line block ×7, first 2 shown]
	s_waitcnt vmcnt(18)
	v_fmac_f32_e32 v115, v91, v149
	ds_read2_b64 v[94:97], v60 offset0:47 offset1:48
	v_add_f32_e32 v115, v98, v115
	ds_read2_b64 v[98:101], v60 offset0:49 offset1:50
	buffer_load_dword v121, off, s[0:3], 0 offset:220
	buffer_load_dword v120, off, s[0:3], 0 offset:216
	;; [unrolled: 1-line block ×4, first 2 shown]
	v_mul_f32_e32 v61, v63, v61
	v_fma_f32 v61, v62, v135, -v61
	v_mul_f32_e32 v62, v65, v114
	v_add_f32_e32 v61, 0, v61
	v_fma_f32 v62, v64, v136, -v62
	v_add_f32_e32 v61, v61, v62
	v_mul_f32_e32 v62, v67, v116
	v_fma_f32 v62, v66, v137, -v62
	v_add_f32_e32 v61, v61, v62
	v_mul_f32_e32 v62, v69, v118
	;; [unrolled: 3-line block ×13, first 2 shown]
	v_fma_f32 v62, v90, v149, -v62
	s_waitcnt vmcnt(13)
	v_mov_b32_e32 v74, v105
	v_mul_f32_e32 v117, v92, v150
	v_add_f32_e32 v114, v61, v62
	v_mul_f32_e32 v61, v93, v150
	s_waitcnt lgkmcnt(1)
	v_pk_mul_f32 v[74:75], v[96:97], v[74:75] op_sel_hi:[1,0]
	v_fmac_f32_e32 v117, v93, v151
	v_mul_f32_e32 v119, v94, v152
	v_fma_f32 v116, v92, v151, -v61
	v_mul_f32_e32 v61, v95, v152
	s_waitcnt vmcnt(12)
	v_pk_fma_f32 v[76:77], v[96:97], v[104:105], v[74:75] op_sel:[0,0,1] op_sel_hi:[1,1,0] neg_lo:[0,0,1] neg_hi:[0,0,1]
	v_pk_fma_f32 v[74:75], v[96:97], v[104:105], v[74:75] op_sel:[0,0,1] op_sel_hi:[1,0,0]
	v_fmac_f32_e32 v119, v95, v153
	v_fma_f32 v118, v94, v153, -v61
	v_pk_add_f32 v[72:73], v[114:115], v[116:117]
	v_mov_b32_e32 v74, v103
	v_pk_add_f32 v[72:73], v[72:73], v[118:119]
	v_mov_b32_e32 v77, v75
	s_waitcnt lgkmcnt(0)
	v_pk_mul_f32 v[74:75], v[98:99], v[74:75] op_sel_hi:[1,0]
	v_pk_add_f32 v[72:73], v[72:73], v[76:77]
	v_pk_fma_f32 v[76:77], v[98:99], v[102:103], v[74:75] op_sel:[0,0,1] op_sel_hi:[1,1,0] neg_lo:[0,0,1] neg_hi:[0,0,1]
	v_pk_fma_f32 v[74:75], v[98:99], v[102:103], v[74:75] op_sel:[0,0,1] op_sel_hi:[1,0,0]
	s_waitcnt vmcnt(11)
	v_mov_b32_e32 v74, v107
	ds_read2_b64 v[62:65], v60 offset0:51 offset1:52
	ds_read2_b64 v[66:69], v60 offset0:53 offset1:54
	ds_read_b64 v[70:71], v60 offset:440
	v_mov_b32_e32 v77, v75
	v_pk_mul_f32 v[74:75], v[100:101], v[74:75] op_sel_hi:[1,0]
	v_pk_add_f32 v[72:73], v[72:73], v[76:77]
	s_waitcnt vmcnt(4)
	v_pk_fma_f32 v[76:77], v[100:101], v[106:107], v[74:75] op_sel:[0,0,1] op_sel_hi:[1,1,0] neg_lo:[0,0,1] neg_hi:[0,0,1]
	v_pk_fma_f32 v[74:75], v[100:101], v[106:107], v[74:75] op_sel:[0,0,1] op_sel_hi:[1,0,0]
	v_mov_b32_e32 v74, v113
	v_mov_b32_e32 v77, v75
	s_waitcnt lgkmcnt(2)
	v_pk_mul_f32 v[74:75], v[62:63], v[74:75] op_sel_hi:[1,0]
	v_pk_add_f32 v[72:73], v[72:73], v[76:77]
	v_pk_fma_f32 v[76:77], v[62:63], v[112:113], v[74:75] op_sel:[0,0,1] op_sel_hi:[1,1,0] neg_lo:[0,0,1] neg_hi:[0,0,1]
	v_pk_fma_f32 v[62:63], v[62:63], v[112:113], v[74:75] op_sel:[0,0,1] op_sel_hi:[1,0,0]
	v_mov_b32_e32 v77, v63
	v_pk_add_f32 v[62:63], v[72:73], v[76:77]
	v_mov_b32_e32 v72, v111
	v_pk_mul_f32 v[72:73], v[64:65], v[72:73] op_sel_hi:[1,0]
	v_pk_fma_f32 v[74:75], v[64:65], v[110:111], v[72:73] op_sel:[0,0,1] op_sel_hi:[1,1,0] neg_lo:[0,0,1] neg_hi:[0,0,1]
	v_pk_fma_f32 v[64:65], v[64:65], v[110:111], v[72:73] op_sel:[0,0,1] op_sel_hi:[1,0,0]
	v_mov_b32_e32 v64, v109
	v_mov_b32_e32 v75, v65
	s_waitcnt lgkmcnt(1)
	v_pk_mul_f32 v[64:65], v[66:67], v[64:65] op_sel_hi:[1,0]
	v_pk_fma_f32 v[72:73], v[66:67], v[108:109], v[64:65] op_sel:[0,0,1] op_sel_hi:[1,1,0] neg_lo:[0,0,1] neg_hi:[0,0,1]
	v_pk_fma_f32 v[64:65], v[66:67], v[108:109], v[64:65] op_sel:[0,0,1] op_sel_hi:[1,0,0]
	s_waitcnt vmcnt(1)
	v_mov_b32_e32 v64, v123
	v_mov_b32_e32 v73, v65
	v_pk_mul_f32 v[64:65], v[68:69], v[64:65] op_sel_hi:[1,0]
	s_waitcnt vmcnt(0)
	v_pk_fma_f32 v[66:67], v[68:69], v[122:123], v[64:65] op_sel:[0,0,1] op_sel_hi:[1,1,0] neg_lo:[0,0,1] neg_hi:[0,0,1]
	v_pk_fma_f32 v[64:65], v[68:69], v[122:123], v[64:65] op_sel:[0,0,1] op_sel_hi:[1,0,0]
	v_pk_add_f32 v[62:63], v[62:63], v[74:75]
	v_mov_b32_e32 v64, v121
	v_pk_add_f32 v[62:63], v[62:63], v[72:73]
	v_mov_b32_e32 v67, v65
	s_waitcnt lgkmcnt(0)
	v_pk_mul_f32 v[64:65], v[70:71], v[64:65] op_sel_hi:[1,0]
	v_pk_add_f32 v[62:63], v[62:63], v[66:67]
	v_pk_fma_f32 v[66:67], v[70:71], v[120:121], v[64:65] op_sel:[0,0,1] op_sel_hi:[1,1,0] neg_lo:[0,0,1] neg_hi:[0,0,1]
	v_pk_fma_f32 v[64:65], v[70:71], v[120:121], v[64:65] op_sel:[0,0,1] op_sel_hi:[1,0,0]
	v_mov_b32_e32 v67, v65
	v_pk_add_f32 v[62:63], v[62:63], v[66:67]
	v_pk_add_f32 v[58:59], v[58:59], v[62:63] neg_lo:[0,1] neg_hi:[0,1]
	buffer_store_dword v59, off, s[0:3], 0 offset:20
	buffer_store_dword v58, off, s[0:3], 0 offset:16
	s_and_saveexec_b64 s[4:5], vcc
	s_cbranch_execz .LBB91_179
; %bb.178:
	buffer_load_dword v58, off, s[0:3], 0 offset:8
	buffer_load_dword v59, off, s[0:3], 0 offset:12
	s_waitcnt vmcnt(0)
	ds_write_b64 v1, v[58:59]
	buffer_store_dword v60, off, s[0:3], 0 offset:8
	buffer_store_dword v60, off, s[0:3], 0 offset:12
.LBB91_179:
	s_or_b64 exec, exec, s[4:5]
	s_waitcnt lgkmcnt(0)
	; wave barrier
	s_waitcnt lgkmcnt(0)
	buffer_load_dword v58, off, s[0:3], 0 offset:20
	buffer_load_dword v59, off, s[0:3], 0 offset:28
	;; [unrolled: 1-line block ×38, first 2 shown]
	ds_read_b128 v[62:65], v60 offset:240
	ds_read_b128 v[66:69], v60 offset:256
	;; [unrolled: 1-line block ×8, first 2 shown]
	buffer_load_dword v105, off, s[0:3], 0 offset:164
	buffer_load_dword v104, off, s[0:3], 0 offset:160
	;; [unrolled: 1-line block ×4, first 2 shown]
	v_cmp_ne_u32_e32 vcc, 0, v0
	s_waitcnt vmcnt(41) lgkmcnt(7)
	v_mul_f32_e32 v94, v62, v58
	s_waitcnt vmcnt(40)
	v_mul_f32_e32 v95, v64, v59
	s_waitcnt vmcnt(39) lgkmcnt(6)
	v_mul_f32_e32 v96, v66, v61
	s_waitcnt vmcnt(38)
	v_mul_f32_e32 v97, v68, v114
	;; [unrolled: 4-line block ×7, first 2 shown]
	s_waitcnt vmcnt(27) lgkmcnt(0)
	v_mul_f32_e32 v115, v90, v134
	s_waitcnt vmcnt(26)
	v_fmac_f32_e32 v94, v63, v135
	s_waitcnt vmcnt(25)
	v_fmac_f32_e32 v95, v65, v136
	v_add_f32_e32 v94, 0, v94
	s_waitcnt vmcnt(24)
	v_fmac_f32_e32 v96, v67, v137
	v_add_f32_e32 v94, v94, v95
	;; [unrolled: 3-line block ×13, first 2 shown]
	v_add_f32_e32 v94, v94, v113
	buffer_load_dword v109, off, s[0:3], 0 offset:188
	buffer_load_dword v108, off, s[0:3], 0 offset:184
	buffer_load_dword v111, off, s[0:3], 0 offset:180
	buffer_load_dword v110, off, s[0:3], 0 offset:176
	buffer_load_dword v113, off, s[0:3], 0 offset:172
	buffer_load_dword v112, off, s[0:3], 0 offset:168
	s_waitcnt vmcnt(18)
	v_fmac_f32_e32 v115, v91, v149
	s_waitcnt vmcnt(17)
	v_mul_f32_e32 v99, v92, v150
	v_add_f32_e32 v98, v94, v115
	s_waitcnt vmcnt(16)
	v_fmac_f32_e32 v99, v93, v151
	ds_read_b128 v[94:97], v60 offset:368
	v_add_f32_e32 v115, v98, v99
	ds_read_b128 v[98:101], v60 offset:384
	buffer_load_dword v121, off, s[0:3], 0 offset:220
	buffer_load_dword v120, off, s[0:3], 0 offset:216
	;; [unrolled: 1-line block ×6, first 2 shown]
	v_mul_f32_e32 v58, v63, v58
	v_fma_f32 v58, v62, v135, -v58
	v_mul_f32_e32 v59, v65, v59
	v_add_f32_e32 v58, 0, v58
	v_fma_f32 v59, v64, v136, -v59
	v_add_f32_e32 v58, v58, v59
	v_mul_f32_e32 v59, v67, v61
	v_fma_f32 v59, v66, v137, -v59
	v_add_f32_e32 v58, v58, v59
	v_mul_f32_e32 v59, v69, v114
	;; [unrolled: 3-line block ×14, first 2 shown]
	v_fma_f32 v59, v92, v151, -v59
	s_waitcnt vmcnt(15)
	v_mov_b32_e32 v72, v105
	s_waitcnt lgkmcnt(1)
	v_mul_f32_e32 v117, v94, v152
	v_add_f32_e32 v114, v58, v59
	v_mul_f32_e32 v58, v95, v152
	s_waitcnt lgkmcnt(0)
	v_pk_mul_f32 v[72:73], v[98:99], v[72:73] op_sel_hi:[1,0]
	v_fmac_f32_e32 v117, v95, v153
	v_mul_f32_e32 v119, v96, v154
	v_fma_f32 v116, v94, v153, -v58
	v_mul_f32_e32 v58, v97, v154
	s_waitcnt vmcnt(14)
	v_pk_fma_f32 v[74:75], v[98:99], v[104:105], v[72:73] op_sel:[0,0,1] op_sel_hi:[1,1,0] neg_lo:[0,0,1] neg_hi:[0,0,1]
	v_pk_fma_f32 v[72:73], v[98:99], v[104:105], v[72:73] op_sel:[0,0,1] op_sel_hi:[1,0,0]
	v_fmac_f32_e32 v119, v97, v155
	v_fma_f32 v118, v96, v155, -v58
	v_pk_add_f32 v[70:71], v[114:115], v[116:117]
	ds_read_b128 v[62:65], v60 offset:400
	ds_read_b128 v[66:69], v60 offset:416
	;; [unrolled: 1-line block ×3, first 2 shown]
	v_pk_add_f32 v[70:71], v[70:71], v[118:119]
	v_mov_b32_e32 v75, v73
	v_pk_add_f32 v[70:71], v[70:71], v[74:75]
	s_waitcnt vmcnt(7)
	v_mov_b32_e32 v72, v113
	v_pk_mul_f32 v[72:73], v[100:101], v[72:73] op_sel_hi:[1,0]
	s_waitcnt vmcnt(6)
	v_pk_fma_f32 v[74:75], v[100:101], v[112:113], v[72:73] op_sel:[0,0,1] op_sel_hi:[1,1,0] neg_lo:[0,0,1] neg_hi:[0,0,1]
	v_pk_fma_f32 v[72:73], v[100:101], v[112:113], v[72:73] op_sel:[0,0,1] op_sel_hi:[1,0,0]
	v_mov_b32_e32 v72, v111
	v_mov_b32_e32 v75, v73
	s_waitcnt lgkmcnt(2)
	v_pk_mul_f32 v[72:73], v[62:63], v[72:73] op_sel_hi:[1,0]
	v_pk_add_f32 v[70:71], v[70:71], v[74:75]
	v_pk_fma_f32 v[74:75], v[62:63], v[110:111], v[72:73] op_sel:[0,0,1] op_sel_hi:[1,1,0] neg_lo:[0,0,1] neg_hi:[0,0,1]
	v_pk_fma_f32 v[62:63], v[62:63], v[110:111], v[72:73] op_sel:[0,0,1] op_sel_hi:[1,0,0]
	v_mov_b32_e32 v75, v63
	v_pk_add_f32 v[62:63], v[70:71], v[74:75]
	v_mov_b32_e32 v70, v109
	v_pk_mul_f32 v[70:71], v[64:65], v[70:71] op_sel_hi:[1,0]
	v_pk_fma_f32 v[72:73], v[64:65], v[108:109], v[70:71] op_sel:[0,0,1] op_sel_hi:[1,1,0] neg_lo:[0,0,1] neg_hi:[0,0,1]
	v_pk_fma_f32 v[64:65], v[64:65], v[108:109], v[70:71] op_sel:[0,0,1] op_sel_hi:[1,0,0]
	v_mov_b32_e32 v64, v107
	v_mov_b32_e32 v73, v65
	s_waitcnt lgkmcnt(1)
	v_pk_mul_f32 v[64:65], v[66:67], v[64:65] op_sel_hi:[1,0]
	v_pk_fma_f32 v[70:71], v[66:67], v[106:107], v[64:65] op_sel:[0,0,1] op_sel_hi:[1,1,0] neg_lo:[0,0,1] neg_hi:[0,0,1]
	v_pk_fma_f32 v[64:65], v[66:67], v[106:107], v[64:65] op_sel:[0,0,1] op_sel_hi:[1,0,0]
	s_waitcnt vmcnt(1)
	v_mov_b32_e32 v64, v125
	v_mov_b32_e32 v71, v65
	v_pk_mul_f32 v[64:65], v[68:69], v[64:65] op_sel_hi:[1,0]
	s_waitcnt vmcnt(0)
	v_pk_fma_f32 v[66:67], v[68:69], v[124:125], v[64:65] op_sel:[0,0,1] op_sel_hi:[1,1,0] neg_lo:[0,0,1] neg_hi:[0,0,1]
	v_pk_fma_f32 v[64:65], v[68:69], v[124:125], v[64:65] op_sel:[0,0,1] op_sel_hi:[1,0,0]
	v_pk_add_f32 v[62:63], v[62:63], v[72:73]
	v_mov_b32_e32 v64, v123
	v_pk_add_f32 v[62:63], v[62:63], v[70:71]
	v_mov_b32_e32 v67, v65
	s_waitcnt lgkmcnt(0)
	v_pk_mul_f32 v[64:65], v[58:59], v[64:65] op_sel_hi:[1,0]
	v_pk_add_f32 v[62:63], v[62:63], v[66:67]
	v_pk_fma_f32 v[66:67], v[58:59], v[122:123], v[64:65] op_sel:[0,0,1] op_sel_hi:[1,1,0] neg_lo:[0,0,1] neg_hi:[0,0,1]
	v_pk_fma_f32 v[58:59], v[58:59], v[122:123], v[64:65] op_sel:[0,0,1] op_sel_hi:[1,0,0]
	v_mov_b32_e32 v67, v59
	v_pk_add_f32 v[58:59], v[62:63], v[66:67]
	v_mov_b32_e32 v62, v121
	v_pk_mul_f32 v[62:63], v[60:61], v[62:63] op_sel_hi:[1,0]
	v_pk_fma_f32 v[64:65], v[60:61], v[120:121], v[62:63] op_sel:[0,0,1] op_sel_hi:[1,1,0] neg_lo:[0,0,1] neg_hi:[0,0,1]
	v_pk_fma_f32 v[60:61], v[60:61], v[120:121], v[62:63] op_sel:[0,0,1] op_sel_hi:[1,0,0]
	v_mov_b32_e32 v65, v61
	v_pk_add_f32 v[58:59], v[58:59], v[64:65]
	v_pk_add_f32 v[58:59], v[102:103], v[58:59] neg_lo:[0,1] neg_hi:[0,1]
	buffer_store_dword v59, off, s[0:3], 0 offset:12
	buffer_store_dword v58, off, s[0:3], 0 offset:8
	s_and_saveexec_b64 s[4:5], vcc
	s_cbranch_execz .LBB91_181
; %bb.180:
	buffer_load_dword v58, off, s[0:3], 0
	buffer_load_dword v59, off, s[0:3], 0 offset:4
	v_mov_b32_e32 v0, 0
	buffer_store_dword v0, off, s[0:3], 0
	buffer_store_dword v0, off, s[0:3], 0 offset:4
	s_waitcnt vmcnt(2)
	ds_write_b64 v1, v[58:59]
.LBB91_181:
	s_or_b64 exec, exec, s[4:5]
	s_waitcnt lgkmcnt(0)
	; wave barrier
	s_waitcnt lgkmcnt(0)
	buffer_load_dword v106, off, s[0:3], 0 offset:12
	buffer_load_dword v108, off, s[0:3], 0 offset:20
	;; [unrolled: 1-line block ×38, first 2 shown]
	buffer_load_dword v0, off, s[0:3], 0
	buffer_load_dword v1, off, s[0:3], 0 offset:4
	v_mov_b32_e32 v155, 0
	ds_read2_b64 v[58:61], v155 offset0:29 offset1:30
	ds_read2_b64 v[62:65], v155 offset0:31 offset1:32
	;; [unrolled: 1-line block ×8, first 2 shown]
	s_and_b64 vcc, exec, s[16:17]
	s_waitcnt vmcnt(39) lgkmcnt(7)
	v_mul_f32_e32 v90, v58, v106
	s_waitcnt vmcnt(38)
	v_mul_f32_e32 v91, v60, v108
	s_waitcnt vmcnt(37) lgkmcnt(6)
	v_mul_f32_e32 v92, v62, v110
	s_waitcnt vmcnt(36)
	v_mul_f32_e32 v93, v64, v120
	;; [unrolled: 4-line block ×8, first 2 shown]
	s_waitcnt vmcnt(23)
	v_fmac_f32_e32 v90, v59, v133
	s_waitcnt vmcnt(22)
	v_fmac_f32_e32 v91, v61, v134
	v_add_f32_e32 v90, 0, v90
	s_waitcnt vmcnt(21)
	v_fmac_f32_e32 v92, v63, v135
	v_add_f32_e32 v90, v90, v91
	;; [unrolled: 3-line block ×14, first 2 shown]
	v_add_f32_e32 v90, v90, v104
	s_waitcnt vmcnt(8)
	v_fmac_f32_e32 v105, v89, v148
	v_add_f32_e32 v107, v90, v105
	ds_read2_b64 v[90:93], v155 offset0:45 offset1:46
	buffer_load_dword v99, off, s[0:3], 0 offset:164
	buffer_load_dword v101, off, s[0:3], 0 offset:188
	;; [unrolled: 1-line block ×8, first 2 shown]
	ds_read2_b64 v[94:97], v155 offset0:47 offset1:48
	buffer_load_dword v113, off, s[0:3], 0 offset:220
	buffer_load_dword v112, off, s[0:3], 0 offset:216
	;; [unrolled: 1-line block ×8, first 2 shown]
	v_mul_f32_e32 v59, v59, v106
	v_fma_f32 v58, v58, v133, -v59
	v_mul_f32_e32 v59, v61, v108
	v_add_f32_e32 v58, 0, v58
	v_fma_f32 v59, v60, v134, -v59
	v_add_f32_e32 v58, v58, v59
	v_mul_f32_e32 v59, v63, v110
	v_fma_f32 v59, v62, v135, -v59
	v_add_f32_e32 v58, v58, v59
	v_mul_f32_e32 v59, v65, v120
	;; [unrolled: 3-line block ×14, first 2 shown]
	v_fma_f32 v59, v88, v148, -v59
	v_add_f32_e32 v58, v58, v59
	s_waitcnt vmcnt(23) lgkmcnt(1)
	v_mul_f32_e32 v59, v91, v149
	v_mul_f32_e32 v109, v90, v149
	s_waitcnt vmcnt(22)
	v_fma_f32 v59, v90, v150, -v59
	v_fmac_f32_e32 v109, v91, v150
	v_add_f32_e32 v106, v58, v59
	s_waitcnt vmcnt(21)
	v_mul_f32_e32 v58, v93, v151
	v_add_f32_e32 v107, v107, v109
	v_mul_f32_e32 v109, v92, v151
	s_waitcnt vmcnt(20)
	v_fma_f32 v108, v92, v152, -v58
	s_waitcnt vmcnt(19) lgkmcnt(0)
	v_mul_f32_e32 v58, v95, v153
	v_fmac_f32_e32 v109, v93, v152
	v_mul_f32_e32 v111, v94, v153
	s_waitcnt vmcnt(18)
	v_fma_f32 v110, v94, v154, -v58
	ds_read2_b64 v[58:61], v155 offset0:49 offset1:50
	ds_read2_b64 v[62:65], v155 offset0:51 offset1:52
	;; [unrolled: 1-line block ×3, first 2 shown]
	ds_read_b64 v[70:71], v155 offset:440
	v_fmac_f32_e32 v111, v95, v154
	v_pk_add_f32 v[72:73], v[106:107], v[108:109]
	v_pk_add_f32 v[72:73], v[72:73], v[110:111]
	s_waitcnt vmcnt(15)
	v_mov_b32_e32 v74, v99
	v_pk_mul_f32 v[74:75], v[96:97], v[74:75] op_sel_hi:[1,0]
	s_waitcnt vmcnt(8)
	v_pk_fma_f32 v[76:77], v[96:97], v[98:99], v[74:75] op_sel:[0,0,1] op_sel_hi:[1,1,0] neg_lo:[0,0,1] neg_hi:[0,0,1]
	v_pk_fma_f32 v[74:75], v[96:97], v[98:99], v[74:75] op_sel:[0,0,1] op_sel_hi:[1,0,0]
	v_mov_b32_e32 v74, v105
	v_mov_b32_e32 v77, v75
	s_waitcnt lgkmcnt(3)
	v_pk_mul_f32 v[74:75], v[58:59], v[74:75] op_sel_hi:[1,0]
	v_pk_add_f32 v[72:73], v[72:73], v[76:77]
	v_pk_fma_f32 v[76:77], v[58:59], v[104:105], v[74:75] op_sel:[0,0,1] op_sel_hi:[1,1,0] neg_lo:[0,0,1] neg_hi:[0,0,1]
	v_pk_fma_f32 v[58:59], v[58:59], v[104:105], v[74:75] op_sel:[0,0,1] op_sel_hi:[1,0,0]
	v_mov_b32_e32 v77, v59
	v_pk_add_f32 v[58:59], v[72:73], v[76:77]
	v_mov_b32_e32 v72, v103
	v_pk_mul_f32 v[72:73], v[60:61], v[72:73] op_sel_hi:[1,0]
	v_pk_fma_f32 v[74:75], v[60:61], v[102:103], v[72:73] op_sel:[0,0,1] op_sel_hi:[1,1,0] neg_lo:[0,0,1] neg_hi:[0,0,1]
	v_pk_fma_f32 v[60:61], v[60:61], v[102:103], v[72:73] op_sel:[0,0,1] op_sel_hi:[1,0,0]
	v_mov_b32_e32 v60, v101
	v_mov_b32_e32 v75, v61
	s_waitcnt lgkmcnt(2)
	v_pk_mul_f32 v[60:61], v[62:63], v[60:61] op_sel_hi:[1,0]
	v_pk_fma_f32 v[72:73], v[62:63], v[100:101], v[60:61] op_sel:[0,0,1] op_sel_hi:[1,1,0] neg_lo:[0,0,1] neg_hi:[0,0,1]
	v_pk_fma_f32 v[60:61], v[62:63], v[100:101], v[60:61] op_sel:[0,0,1] op_sel_hi:[1,0,0]
	s_waitcnt vmcnt(1)
	v_mov_b32_e32 v60, v119
	v_mov_b32_e32 v73, v61
	v_pk_mul_f32 v[60:61], v[64:65], v[60:61] op_sel_hi:[1,0]
	s_waitcnt vmcnt(0)
	v_pk_fma_f32 v[62:63], v[64:65], v[118:119], v[60:61] op_sel:[0,0,1] op_sel_hi:[1,1,0] neg_lo:[0,0,1] neg_hi:[0,0,1]
	v_pk_fma_f32 v[60:61], v[64:65], v[118:119], v[60:61] op_sel:[0,0,1] op_sel_hi:[1,0,0]
	v_pk_add_f32 v[58:59], v[58:59], v[74:75]
	v_mov_b32_e32 v60, v117
	v_pk_add_f32 v[58:59], v[58:59], v[72:73]
	v_mov_b32_e32 v63, v61
	s_waitcnt lgkmcnt(1)
	v_pk_mul_f32 v[60:61], v[66:67], v[60:61] op_sel_hi:[1,0]
	v_pk_add_f32 v[58:59], v[58:59], v[62:63]
	v_pk_fma_f32 v[62:63], v[66:67], v[116:117], v[60:61] op_sel:[0,0,1] op_sel_hi:[1,1,0] neg_lo:[0,0,1] neg_hi:[0,0,1]
	v_pk_fma_f32 v[60:61], v[66:67], v[116:117], v[60:61] op_sel:[0,0,1] op_sel_hi:[1,0,0]
	v_mov_b32_e32 v60, v115
	v_mov_b32_e32 v63, v61
	v_pk_mul_f32 v[60:61], v[68:69], v[60:61] op_sel_hi:[1,0]
	v_pk_add_f32 v[58:59], v[58:59], v[62:63]
	v_pk_fma_f32 v[62:63], v[68:69], v[114:115], v[60:61] op_sel:[0,0,1] op_sel_hi:[1,1,0] neg_lo:[0,0,1] neg_hi:[0,0,1]
	v_pk_fma_f32 v[60:61], v[68:69], v[114:115], v[60:61] op_sel:[0,0,1] op_sel_hi:[1,0,0]
	v_mov_b32_e32 v60, v113
	v_mov_b32_e32 v63, v61
	s_waitcnt lgkmcnt(0)
	v_pk_mul_f32 v[60:61], v[70:71], v[60:61] op_sel_hi:[1,0]
	v_pk_add_f32 v[58:59], v[58:59], v[62:63]
	v_pk_fma_f32 v[62:63], v[70:71], v[112:113], v[60:61] op_sel:[0,0,1] op_sel_hi:[1,1,0] neg_lo:[0,0,1] neg_hi:[0,0,1]
	v_pk_fma_f32 v[60:61], v[70:71], v[112:113], v[60:61] op_sel:[0,0,1] op_sel_hi:[1,0,0]
	v_mov_b32_e32 v63, v61
	v_pk_add_f32 v[58:59], v[58:59], v[62:63]
	v_pk_add_f32 v[0:1], v[0:1], v[58:59] neg_lo:[0,1] neg_hi:[0,1]
	buffer_store_dword v1, off, s[0:3], 0 offset:4
	buffer_store_dword v0, off, s[0:3], 0
	s_cbranch_vccz .LBB91_237
; %bb.182:
	v_pk_mov_b32 v[0:1], s[10:11], s[10:11] op_sel:[0,1]
	flat_load_dword v0, v[0:1] offset:104
	s_waitcnt vmcnt(0) lgkmcnt(0)
	v_add_u32_e32 v0, -1, v0
	v_cmp_ne_u32_e32 vcc, 26, v0
	s_and_saveexec_b64 s[4:5], vcc
	s_cbranch_execz .LBB91_184
; %bb.183:
	v_mov_b32_e32 v1, 0
	v_lshl_add_u32 v0, v0, 3, v1
	buffer_load_dword v1, v0, s[0:3], 0 offen
	buffer_load_dword v58, v0, s[0:3], 0 offen offset:4
	buffer_load_dword v59, off, s[0:3], 0 offset:212
	buffer_load_dword v60, off, s[0:3], 0 offset:208
	s_waitcnt vmcnt(3)
	buffer_store_dword v1, off, s[0:3], 0 offset:208
	s_waitcnt vmcnt(3)
	buffer_store_dword v58, off, s[0:3], 0 offset:212
	s_waitcnt vmcnt(3)
	buffer_store_dword v59, v0, s[0:3], 0 offen offset:4
	s_waitcnt vmcnt(3)
	buffer_store_dword v60, v0, s[0:3], 0 offen
.LBB91_184:
	s_or_b64 exec, exec, s[4:5]
	v_pk_mov_b32 v[0:1], s[10:11], s[10:11] op_sel:[0,1]
	flat_load_dword v0, v[0:1] offset:100
	s_waitcnt vmcnt(0) lgkmcnt(0)
	v_add_u32_e32 v0, -1, v0
	v_cmp_ne_u32_e32 vcc, 25, v0
	s_and_saveexec_b64 s[4:5], vcc
	s_cbranch_execz .LBB91_186
; %bb.185:
	v_mov_b32_e32 v1, 0
	v_lshl_add_u32 v0, v0, 3, v1
	buffer_load_dword v1, v0, s[0:3], 0 offen
	buffer_load_dword v58, v0, s[0:3], 0 offen offset:4
	buffer_load_dword v59, off, s[0:3], 0 offset:200
	buffer_load_dword v60, off, s[0:3], 0 offset:204
	s_waitcnt vmcnt(3)
	buffer_store_dword v1, off, s[0:3], 0 offset:200
	s_waitcnt vmcnt(3)
	buffer_store_dword v58, off, s[0:3], 0 offset:204
	s_waitcnt vmcnt(3)
	buffer_store_dword v59, v0, s[0:3], 0 offen
	s_waitcnt vmcnt(3)
	buffer_store_dword v60, v0, s[0:3], 0 offen offset:4
.LBB91_186:
	s_or_b64 exec, exec, s[4:5]
	v_pk_mov_b32 v[0:1], s[10:11], s[10:11] op_sel:[0,1]
	flat_load_dword v0, v[0:1] offset:96
	s_waitcnt vmcnt(0) lgkmcnt(0)
	v_add_u32_e32 v0, -1, v0
	v_cmp_ne_u32_e32 vcc, 24, v0
	s_and_saveexec_b64 s[4:5], vcc
	s_cbranch_execz .LBB91_188
; %bb.187:
	v_mov_b32_e32 v1, 0
	v_lshl_add_u32 v0, v0, 3, v1
	buffer_load_dword v1, v0, s[0:3], 0 offen
	buffer_load_dword v58, v0, s[0:3], 0 offen offset:4
	buffer_load_dword v59, off, s[0:3], 0 offset:196
	buffer_load_dword v60, off, s[0:3], 0 offset:192
	s_waitcnt vmcnt(3)
	buffer_store_dword v1, off, s[0:3], 0 offset:192
	s_waitcnt vmcnt(3)
	buffer_store_dword v58, off, s[0:3], 0 offset:196
	s_waitcnt vmcnt(3)
	buffer_store_dword v59, v0, s[0:3], 0 offen offset:4
	s_waitcnt vmcnt(3)
	buffer_store_dword v60, v0, s[0:3], 0 offen
.LBB91_188:
	s_or_b64 exec, exec, s[4:5]
	v_pk_mov_b32 v[0:1], s[10:11], s[10:11] op_sel:[0,1]
	flat_load_dword v0, v[0:1] offset:92
	s_waitcnt vmcnt(0) lgkmcnt(0)
	v_add_u32_e32 v0, -1, v0
	v_cmp_ne_u32_e32 vcc, 23, v0
	s_and_saveexec_b64 s[4:5], vcc
	s_cbranch_execz .LBB91_190
; %bb.189:
	v_mov_b32_e32 v1, 0
	v_lshl_add_u32 v0, v0, 3, v1
	buffer_load_dword v1, v0, s[0:3], 0 offen
	buffer_load_dword v58, v0, s[0:3], 0 offen offset:4
	buffer_load_dword v59, off, s[0:3], 0 offset:184
	buffer_load_dword v60, off, s[0:3], 0 offset:188
	s_waitcnt vmcnt(3)
	buffer_store_dword v1, off, s[0:3], 0 offset:184
	s_waitcnt vmcnt(3)
	buffer_store_dword v58, off, s[0:3], 0 offset:188
	s_waitcnt vmcnt(3)
	buffer_store_dword v59, v0, s[0:3], 0 offen
	s_waitcnt vmcnt(3)
	buffer_store_dword v60, v0, s[0:3], 0 offen offset:4
.LBB91_190:
	s_or_b64 exec, exec, s[4:5]
	;; [unrolled: 48-line block ×13, first 2 shown]
	v_pk_mov_b32 v[0:1], s[10:11], s[10:11] op_sel:[0,1]
	flat_load_dword v58, v[0:1]
	s_nop 0
	buffer_load_dword v0, off, s[0:3], 0
	buffer_load_dword v1, off, s[0:3], 0 offset:4
	s_waitcnt vmcnt(0) lgkmcnt(0)
	v_add_u32_e32 v58, -1, v58
	v_cmp_ne_u32_e32 vcc, 0, v58
	s_and_saveexec_b64 s[4:5], vcc
	s_cbranch_execz .LBB91_236
; %bb.235:
	v_mov_b32_e32 v59, 0
	v_lshl_add_u32 v58, v58, 3, v59
	buffer_load_dword v59, v58, s[0:3], 0 offen offset:4
	buffer_load_dword v60, v58, s[0:3], 0 offen
	s_waitcnt vmcnt(1)
	buffer_store_dword v59, off, s[0:3], 0 offset:4
	s_waitcnt vmcnt(1)
	buffer_store_dword v60, off, s[0:3], 0
	buffer_store_dword v1, v58, s[0:3], 0 offen offset:4
	buffer_store_dword v0, v58, s[0:3], 0 offen
	buffer_load_dword v0, off, s[0:3], 0
	s_nop 0
	buffer_load_dword v1, off, s[0:3], 0 offset:4
.LBB91_236:
	s_or_b64 exec, exec, s[4:5]
.LBB91_237:
	buffer_load_dword v58, off, s[0:3], 0 offset:8
	buffer_load_dword v59, off, s[0:3], 0 offset:12
	;; [unrolled: 1-line block ×54, first 2 shown]
	s_waitcnt vmcnt(54)
	global_store_dwordx2 v[48:49], v[0:1], off
	s_waitcnt vmcnt(53)
	global_store_dwordx2 v[50:51], v[58:59], off
	s_waitcnt vmcnt(52)
	global_store_dwordx2 v[2:3], v[60:61], off
	s_waitcnt vmcnt(51)
	global_store_dwordx2 v[4:5], v[62:63], off
	s_waitcnt vmcnt(50)
	global_store_dwordx2 v[6:7], v[64:65], off
	s_waitcnt vmcnt(49)
	global_store_dwordx2 v[8:9], v[66:67], off
	s_waitcnt vmcnt(48)
	global_store_dwordx2 v[10:11], v[68:69], off
	s_waitcnt vmcnt(47)
	global_store_dwordx2 v[12:13], v[70:71], off
	s_waitcnt vmcnt(46)
	global_store_dwordx2 v[14:15], v[72:73], off
	s_waitcnt vmcnt(45)
	global_store_dwordx2 v[16:17], v[74:75], off
	s_waitcnt vmcnt(44)
	global_store_dwordx2 v[18:19], v[76:77], off
	s_waitcnt vmcnt(43)
	global_store_dwordx2 v[20:21], v[78:79], off
	s_waitcnt vmcnt(42)
	global_store_dwordx2 v[22:23], v[80:81], off
	s_waitcnt vmcnt(41)
	global_store_dwordx2 v[24:25], v[82:83], off
	s_waitcnt vmcnt(40)
	global_store_dwordx2 v[26:27], v[84:85], off
	s_waitcnt vmcnt(39)
	global_store_dwordx2 v[28:29], v[86:87], off
	s_waitcnt vmcnt(38)
	global_store_dwordx2 v[30:31], v[88:89], off
	s_waitcnt vmcnt(37)
	global_store_dwordx2 v[32:33], v[90:91], off
	s_waitcnt vmcnt(36)
	global_store_dwordx2 v[34:35], v[92:93], off
	s_waitcnt vmcnt(35)
	global_store_dwordx2 v[36:37], v[94:95], off
	s_waitcnt vmcnt(34)
	global_store_dwordx2 v[38:39], v[96:97], off
	s_waitcnt vmcnt(33)
	global_store_dwordx2 v[40:41], v[98:99], off
	s_waitcnt vmcnt(32)
	global_store_dwordx2 v[42:43], v[100:101], off
	s_waitcnt vmcnt(31)
	global_store_dwordx2 v[44:45], v[102:103], off
	s_waitcnt vmcnt(30)
	global_store_dwordx2 v[46:47], v[104:105], off
	s_waitcnt vmcnt(29)
	global_store_dwordx2 v[52:53], v[106:107], off
	s_waitcnt vmcnt(28)
	global_store_dwordx2 v[54:55], v[108:109], off
	s_waitcnt vmcnt(27)
	global_store_dwordx2 v[56:57], v[110:111], off
	s_endpgm
	.section	.rodata,"a",@progbits
	.p2align	6, 0x0
	.amdhsa_kernel _ZN9rocsolver6v33100L18getri_kernel_smallILi28E19rocblas_complex_numIfEPKPS3_EEvT1_iilPiilS8_bb
		.amdhsa_group_segment_fixed_size 452
		.amdhsa_private_segment_fixed_size 240
		.amdhsa_kernarg_size 60
		.amdhsa_user_sgpr_count 8
		.amdhsa_user_sgpr_private_segment_buffer 1
		.amdhsa_user_sgpr_dispatch_ptr 0
		.amdhsa_user_sgpr_queue_ptr 0
		.amdhsa_user_sgpr_kernarg_segment_ptr 1
		.amdhsa_user_sgpr_dispatch_id 0
		.amdhsa_user_sgpr_flat_scratch_init 1
		.amdhsa_user_sgpr_kernarg_preload_length 0
		.amdhsa_user_sgpr_kernarg_preload_offset 0
		.amdhsa_user_sgpr_private_segment_size 0
		.amdhsa_uses_dynamic_stack 0
		.amdhsa_system_sgpr_private_segment_wavefront_offset 1
		.amdhsa_system_sgpr_workgroup_id_x 1
		.amdhsa_system_sgpr_workgroup_id_y 0
		.amdhsa_system_sgpr_workgroup_id_z 0
		.amdhsa_system_sgpr_workgroup_info 0
		.amdhsa_system_vgpr_workitem_id 0
		.amdhsa_next_free_vgpr 156
		.amdhsa_next_free_sgpr 22
		.amdhsa_accum_offset 156
		.amdhsa_reserve_vcc 1
		.amdhsa_reserve_flat_scratch 1
		.amdhsa_float_round_mode_32 0
		.amdhsa_float_round_mode_16_64 0
		.amdhsa_float_denorm_mode_32 3
		.amdhsa_float_denorm_mode_16_64 3
		.amdhsa_dx10_clamp 1
		.amdhsa_ieee_mode 1
		.amdhsa_fp16_overflow 0
		.amdhsa_tg_split 0
		.amdhsa_exception_fp_ieee_invalid_op 0
		.amdhsa_exception_fp_denorm_src 0
		.amdhsa_exception_fp_ieee_div_zero 0
		.amdhsa_exception_fp_ieee_overflow 0
		.amdhsa_exception_fp_ieee_underflow 0
		.amdhsa_exception_fp_ieee_inexact 0
		.amdhsa_exception_int_div_zero 0
	.end_amdhsa_kernel
	.section	.text._ZN9rocsolver6v33100L18getri_kernel_smallILi28E19rocblas_complex_numIfEPKPS3_EEvT1_iilPiilS8_bb,"axG",@progbits,_ZN9rocsolver6v33100L18getri_kernel_smallILi28E19rocblas_complex_numIfEPKPS3_EEvT1_iilPiilS8_bb,comdat
.Lfunc_end91:
	.size	_ZN9rocsolver6v33100L18getri_kernel_smallILi28E19rocblas_complex_numIfEPKPS3_EEvT1_iilPiilS8_bb, .Lfunc_end91-_ZN9rocsolver6v33100L18getri_kernel_smallILi28E19rocblas_complex_numIfEPKPS3_EEvT1_iilPiilS8_bb
                                        ; -- End function
	.section	.AMDGPU.csdata,"",@progbits
; Kernel info:
; codeLenInByte = 39152
; NumSgprs: 28
; NumVgprs: 156
; NumAgprs: 0
; TotalNumVgprs: 156
; ScratchSize: 240
; MemoryBound: 0
; FloatMode: 240
; IeeeMode: 1
; LDSByteSize: 452 bytes/workgroup (compile time only)
; SGPRBlocks: 3
; VGPRBlocks: 19
; NumSGPRsForWavesPerEU: 28
; NumVGPRsForWavesPerEU: 156
; AccumOffset: 156
; Occupancy: 3
; WaveLimiterHint : 1
; COMPUTE_PGM_RSRC2:SCRATCH_EN: 1
; COMPUTE_PGM_RSRC2:USER_SGPR: 8
; COMPUTE_PGM_RSRC2:TRAP_HANDLER: 0
; COMPUTE_PGM_RSRC2:TGID_X_EN: 1
; COMPUTE_PGM_RSRC2:TGID_Y_EN: 0
; COMPUTE_PGM_RSRC2:TGID_Z_EN: 0
; COMPUTE_PGM_RSRC2:TIDIG_COMP_CNT: 0
; COMPUTE_PGM_RSRC3_GFX90A:ACCUM_OFFSET: 38
; COMPUTE_PGM_RSRC3_GFX90A:TG_SPLIT: 0
	.section	.text._ZN9rocsolver6v33100L18getri_kernel_smallILi29E19rocblas_complex_numIfEPKPS3_EEvT1_iilPiilS8_bb,"axG",@progbits,_ZN9rocsolver6v33100L18getri_kernel_smallILi29E19rocblas_complex_numIfEPKPS3_EEvT1_iilPiilS8_bb,comdat
	.globl	_ZN9rocsolver6v33100L18getri_kernel_smallILi29E19rocblas_complex_numIfEPKPS3_EEvT1_iilPiilS8_bb ; -- Begin function _ZN9rocsolver6v33100L18getri_kernel_smallILi29E19rocblas_complex_numIfEPKPS3_EEvT1_iilPiilS8_bb
	.p2align	8
	.type	_ZN9rocsolver6v33100L18getri_kernel_smallILi29E19rocblas_complex_numIfEPKPS3_EEvT1_iilPiilS8_bb,@function
_ZN9rocsolver6v33100L18getri_kernel_smallILi29E19rocblas_complex_numIfEPKPS3_EEvT1_iilPiilS8_bb: ; @_ZN9rocsolver6v33100L18getri_kernel_smallILi29E19rocblas_complex_numIfEPKPS3_EEvT1_iilPiilS8_bb
; %bb.0:
	s_add_u32 flat_scratch_lo, s6, s9
	s_addc_u32 flat_scratch_hi, s7, 0
	s_add_u32 s0, s0, s9
	s_addc_u32 s1, s1, 0
	v_cmp_gt_u32_e32 vcc, 29, v0
	s_and_saveexec_b64 s[6:7], vcc
	s_cbranch_execz .LBB92_130
; %bb.1:
	s_load_dword s20, s[4:5], 0x38
	s_load_dwordx2 s[6:7], s[4:5], 0x0
	s_load_dwordx4 s[12:15], s[4:5], 0x28
	s_waitcnt lgkmcnt(0)
	s_bitcmp1_b32 s20, 8
	s_cselect_b64 s[16:17], -1, 0
	s_ashr_i32 s9, s8, 31
	s_lshl_b64 s[10:11], s[8:9], 3
	s_add_u32 s6, s6, s10
	s_addc_u32 s7, s7, s11
	s_load_dwordx2 s[18:19], s[6:7], 0x0
	s_bfe_u32 s6, s20, 0x10008
	s_cmp_eq_u32 s6, 0
                                        ; implicit-def: $sgpr10_sgpr11
	s_cbranch_scc1 .LBB92_3
; %bb.2:
	s_load_dword s6, s[4:5], 0x20
	s_load_dwordx2 s[10:11], s[4:5], 0x18
	s_mul_i32 s7, s8, s13
	s_mul_hi_u32 s13, s8, s12
	s_add_i32 s13, s13, s7
	s_mul_i32 s21, s9, s12
	s_add_i32 s13, s13, s21
	s_mul_i32 s12, s8, s12
	s_waitcnt lgkmcnt(0)
	s_ashr_i32 s7, s6, 31
	s_lshl_b64 s[12:13], s[12:13], 2
	s_add_u32 s10, s10, s12
	s_addc_u32 s11, s11, s13
	s_lshl_b64 s[6:7], s[6:7], 2
	s_add_u32 s10, s10, s6
	s_addc_u32 s11, s11, s7
.LBB92_3:
	s_load_dwordx2 s[6:7], s[4:5], 0x8
	v_lshlrev_b32_e32 v64, 3, v0
	s_waitcnt lgkmcnt(0)
	s_ashr_i32 s5, s6, 31
	s_mov_b32 s4, s6
	s_lshl_b64 s[4:5], s[4:5], 3
	s_add_u32 s4, s18, s4
	s_addc_u32 s5, s19, s5
	s_add_i32 s6, s7, s7
	v_add_u32_e32 v4, s6, v0
	v_ashrrev_i32_e32 v5, 31, v4
	v_lshlrev_b64 v[2:3], 3, v[4:5]
	v_add_u32_e32 v6, s7, v4
	v_mov_b32_e32 v5, s5
	v_add_co_u32_e32 v2, vcc, s4, v2
	v_ashrrev_i32_e32 v7, 31, v6
	v_addc_co_u32_e32 v3, vcc, v5, v3, vcc
	v_lshlrev_b64 v[4:5], 3, v[6:7]
	v_add_u32_e32 v8, s7, v6
	v_mov_b32_e32 v7, s5
	v_add_co_u32_e32 v4, vcc, s4, v4
	v_ashrrev_i32_e32 v9, 31, v8
	v_addc_co_u32_e32 v5, vcc, v7, v5, vcc
	;; [unrolled: 6-line block ×22, first 2 shown]
	v_lshlrev_b64 v[46:47], 3, v[48:49]
	v_mov_b32_e32 v49, s5
	v_add_co_u32_e32 v46, vcc, s4, v46
	v_addc_co_u32_e32 v47, vcc, v49, v47, vcc
	v_mov_b32_e32 v1, s5
	v_add_co_u32_e32 v50, vcc, s4, v64
	s_ashr_i32 s13, s7, 31
	s_mov_b32 s12, s7
	v_add_u32_e32 v54, s7, v48
	v_addc_co_u32_e32 v51, vcc, 0, v1, vcc
	s_lshl_b64 s[12:13], s[12:13], 3
	v_ashrrev_i32_e32 v55, 31, v54
	v_mov_b32_e32 v1, s13
	v_add_co_u32_e32 v52, vcc, s12, v50
	v_lshlrev_b64 v[48:49], 3, v[54:55]
	v_addc_co_u32_e32 v53, vcc, v51, v1, vcc
	v_add_u32_e32 v56, s7, v54
	v_mov_b32_e32 v55, s5
	v_add_co_u32_e32 v48, vcc, s4, v48
	v_ashrrev_i32_e32 v57, 31, v56
	v_addc_co_u32_e32 v49, vcc, v55, v49, vcc
	v_lshlrev_b64 v[54:55], 3, v[56:57]
	v_add_u32_e32 v58, s7, v56
	v_mov_b32_e32 v1, s5
	v_add_co_u32_e32 v54, vcc, s4, v54
	v_ashrrev_i32_e32 v59, 31, v58
	v_addc_co_u32_e32 v55, vcc, v1, v55, vcc
	v_lshlrev_b64 v[56:57], 3, v[58:59]
	v_add_co_u32_e32 v56, vcc, s4, v56
	global_load_dwordx2 v[60:61], v64, s[4:5]
	global_load_dwordx2 v[62:63], v[52:53], off
	global_load_dwordx2 v[66:67], v[2:3], off
	global_load_dwordx2 v[68:69], v[4:5], off
	global_load_dwordx2 v[70:71], v[6:7], off
	global_load_dwordx2 v[72:73], v[8:9], off
	global_load_dwordx2 v[74:75], v[10:11], off
	global_load_dwordx2 v[76:77], v[12:13], off
	global_load_dwordx2 v[78:79], v[14:15], off
	global_load_dwordx2 v[80:81], v[16:17], off
	global_load_dwordx2 v[82:83], v[18:19], off
	global_load_dwordx2 v[84:85], v[20:21], off
	global_load_dwordx2 v[86:87], v[22:23], off
	global_load_dwordx2 v[88:89], v[24:25], off
	global_load_dwordx2 v[90:91], v[26:27], off
	global_load_dwordx2 v[92:93], v[28:29], off
	global_load_dwordx2 v[94:95], v[30:31], off
	global_load_dwordx2 v[96:97], v[32:33], off
	global_load_dwordx2 v[98:99], v[34:35], off
	global_load_dwordx2 v[100:101], v[36:37], off
	v_addc_co_u32_e32 v57, vcc, v1, v57, vcc
	global_load_dwordx2 v[102:103], v[38:39], off
	global_load_dwordx2 v[104:105], v[40:41], off
	;; [unrolled: 1-line block ×8, first 2 shown]
	v_add_u32_e32 v58, s7, v58
	v_ashrrev_i32_e32 v59, 31, v58
	v_lshlrev_b64 v[58:59], 3, v[58:59]
	v_add_co_u32_e32 v58, vcc, s4, v58
	v_addc_co_u32_e32 v59, vcc, v1, v59, vcc
	global_load_dwordx2 v[118:119], v[58:59], off
	s_bitcmp0_b32 s20, 0
	s_mov_b64 s[6:7], -1
	s_waitcnt vmcnt(28)
	buffer_store_dword v61, off, s[0:3], 0 offset:4
	buffer_store_dword v60, off, s[0:3], 0
	s_waitcnt vmcnt(29)
	buffer_store_dword v63, off, s[0:3], 0 offset:12
	buffer_store_dword v62, off, s[0:3], 0 offset:8
	s_waitcnt vmcnt(30)
	buffer_store_dword v67, off, s[0:3], 0 offset:20
	buffer_store_dword v66, off, s[0:3], 0 offset:16
	;; [unrolled: 3-line block ×28, first 2 shown]
	s_cbranch_scc1 .LBB92_128
; %bb.4:
	v_cmp_eq_u32_e64 s[4:5], 0, v0
	s_and_saveexec_b64 s[6:7], s[4:5]
	s_cbranch_execz .LBB92_6
; %bb.5:
	v_mov_b32_e32 v1, 0
	ds_write_b32 v1, v1 offset:232
.LBB92_6:
	s_or_b64 exec, exec, s[6:7]
	v_mov_b32_e32 v1, 0
	v_lshl_add_u32 v65, v0, 3, v1
	s_waitcnt lgkmcnt(0)
	; wave barrier
	s_waitcnt lgkmcnt(0)
	buffer_load_dword v1, v65, s[0:3], 0 offen
	buffer_load_dword v60, v65, s[0:3], 0 offen offset:4
	s_waitcnt vmcnt(1)
	v_cmp_eq_f32_e32 vcc, 0, v1
	s_waitcnt vmcnt(0)
	v_cmp_eq_f32_e64 s[6:7], 0, v60
	s_and_b64 s[6:7], vcc, s[6:7]
	s_and_saveexec_b64 s[12:13], s[6:7]
	s_cbranch_execz .LBB92_10
; %bb.7:
	v_mov_b32_e32 v1, 0
	ds_read_b32 v61, v1 offset:232
	v_add_u32_e32 v60, 1, v0
	s_waitcnt lgkmcnt(0)
	v_readfirstlane_b32 s6, v61
	s_cmp_eq_u32 s6, 0
	s_cselect_b64 s[18:19], -1, 0
	v_cmp_gt_i32_e32 vcc, s6, v60
	s_or_b64 s[18:19], s[18:19], vcc
	s_and_b64 exec, exec, s[18:19]
	s_cbranch_execz .LBB92_10
; %bb.8:
	s_mov_b64 s[18:19], 0
	v_mov_b32_e32 v61, s6
.LBB92_9:                               ; =>This Inner Loop Header: Depth=1
	ds_cmpst_rtn_b32 v61, v1, v61, v60 offset:232
	s_waitcnt lgkmcnt(0)
	v_cmp_ne_u32_e32 vcc, 0, v61
	v_cmp_le_i32_e64 s[6:7], v61, v60
	s_and_b64 s[6:7], vcc, s[6:7]
	s_and_b64 s[6:7], exec, s[6:7]
	s_or_b64 s[18:19], s[6:7], s[18:19]
	s_andn2_b64 exec, exec, s[18:19]
	s_cbranch_execnz .LBB92_9
.LBB92_10:
	s_or_b64 exec, exec, s[12:13]
	v_mov_b32_e32 v60, 0
	s_waitcnt lgkmcnt(0)
	; wave barrier
	ds_read_b32 v1, v60 offset:232
	s_and_saveexec_b64 s[6:7], s[4:5]
	s_cbranch_execz .LBB92_12
; %bb.11:
	s_lshl_b64 s[12:13], s[8:9], 2
	s_add_u32 s12, s14, s12
	s_addc_u32 s13, s15, s13
	s_waitcnt lgkmcnt(0)
	global_store_dword v60, v1, s[12:13]
.LBB92_12:
	s_or_b64 exec, exec, s[6:7]
	s_waitcnt lgkmcnt(0)
	v_cmp_ne_u32_e32 vcc, 0, v1
	s_mov_b64 s[6:7], 0
	s_cbranch_vccnz .LBB92_128
; %bb.13:
	buffer_load_dword v66, v65, s[0:3], 0 offen offset:4
	buffer_load_dword v61, v65, s[0:3], 0 offen
	s_waitcnt vmcnt(1)
	v_cmp_gt_f32_e32 vcc, 0, v66
	v_cndmask_b32_e64 v1, v66, -v66, vcc
	s_waitcnt vmcnt(0)
	v_cmp_gt_f32_e32 vcc, 0, v61
	v_cndmask_b32_e64 v60, v61, -v61, vcc
	v_cmp_ngt_f32_e32 vcc, v60, v1
                                        ; implicit-def: $vgpr1
                                        ; implicit-def: $vgpr60
	s_and_saveexec_b64 s[6:7], vcc
	s_xor_b64 s[6:7], exec, s[6:7]
                                        ; implicit-def: $vgpr62_vgpr63
	s_cbranch_execz .LBB92_15
; %bb.14:
	v_div_scale_f32 v1, s[12:13], v66, v66, v61
	v_rcp_f32_e32 v60, v1
	v_div_scale_f32 v62, vcc, v61, v66, v61
	v_fma_f32 v63, -v1, v60, 1.0
	v_fmac_f32_e32 v60, v63, v60
	v_mul_f32_e32 v63, v62, v60
	v_fma_f32 v67, -v1, v63, v62
	v_fmac_f32_e32 v63, v67, v60
	v_fma_f32 v1, -v1, v63, v62
	v_div_fmas_f32 v1, v1, v60, v63
	v_div_fixup_f32 v60, v1, v66, v61
	v_fmac_f32_e32 v66, v61, v60
	v_div_scale_f32 v1, s[12:13], v66, v66, -1.0
	v_rcp_f32_e32 v61, v1
	v_fma_f32 v62, -v1, v61, 1.0
	v_fmac_f32_e32 v61, v62, v61
	v_div_scale_f32 v62, vcc, -1.0, v66, -1.0
	v_mul_f32_e32 v63, v62, v61
	v_fma_f32 v67, -v1, v63, v62
	v_fmac_f32_e32 v63, v67, v61
	v_fma_f32 v1, -v1, v63, v62
	v_div_fmas_f32 v1, v1, v61, v63
	v_div_fixup_f32 v1, v1, v66, -1.0
	v_mul_f32_e32 v60, v60, v1
	v_xor_b32_e32 v62, 0x80000000, v60
                                        ; implicit-def: $vgpr61
                                        ; implicit-def: $vgpr66
.LBB92_15:
	s_andn2_saveexec_b64 s[6:7], s[6:7]
	s_cbranch_execz .LBB92_17
; %bb.16:
	v_div_scale_f32 v1, s[12:13], v61, v61, v66
	v_rcp_f32_e32 v60, v1
	v_div_scale_f32 v62, vcc, v66, v61, v66
	v_fma_f32 v63, -v1, v60, 1.0
	v_fmac_f32_e32 v60, v63, v60
	v_mul_f32_e32 v63, v62, v60
	v_fma_f32 v67, -v1, v63, v62
	v_fmac_f32_e32 v63, v67, v60
	v_fma_f32 v1, -v1, v63, v62
	v_div_fmas_f32 v1, v1, v60, v63
	v_div_fixup_f32 v1, v1, v61, v66
	v_fmac_f32_e32 v61, v66, v1
	v_div_scale_f32 v60, s[12:13], v61, v61, 1.0
	v_rcp_f32_e32 v62, v60
	v_fma_f32 v63, -v60, v62, 1.0
	v_fmac_f32_e32 v62, v63, v62
	v_div_scale_f32 v63, vcc, 1.0, v61, 1.0
	v_mul_f32_e32 v66, v63, v62
	v_fma_f32 v67, -v60, v66, v63
	v_fmac_f32_e32 v66, v67, v62
	v_fma_f32 v60, -v60, v66, v63
	v_div_fmas_f32 v60, v60, v62, v66
	v_div_fixup_f32 v62, v60, v61, 1.0
	v_xor_b32_e32 v60, 0x80000000, v62
	v_mul_f32_e64 v1, v1, -v62
.LBB92_17:
	s_or_b64 exec, exec, s[6:7]
	buffer_store_dword v1, v65, s[0:3], 0 offen offset:4
	buffer_store_dword v62, v65, s[0:3], 0 offen
	buffer_load_dword v63, off, s[0:3], 0 offset:12
	s_nop 0
	buffer_load_dword v62, off, s[0:3], 0 offset:8
	v_xor_b32_e32 v61, 0x80000000, v1
	v_add_u32_e32 v1, 0xf0, v64
	s_waitcnt vmcnt(0)
	ds_write2_b64 v64, v[60:61], v[62:63] offset1:30
	s_waitcnt lgkmcnt(0)
	; wave barrier
	s_waitcnt lgkmcnt(0)
	s_and_saveexec_b64 s[6:7], s[4:5]
	s_cbranch_execz .LBB92_19
; %bb.18:
	buffer_load_dword v66, v65, s[0:3], 0 offen offset:4
	buffer_load_dword v67, v65, s[0:3], 0 offen
	ds_read_b64 v[60:61], v1
	v_mov_b32_e32 v62, 0
	ds_read_b64 v[62:63], v62 offset:8
	s_waitcnt vmcnt(1) lgkmcnt(1)
	v_mul_f32_e32 v68, v61, v66
	v_mul_f32_e32 v66, v60, v66
	s_waitcnt vmcnt(0)
	v_fmac_f32_e32 v66, v61, v67
	v_fma_f32 v60, v60, v67, -v68
	v_add_f32_e32 v61, 0, v66
	v_add_f32_e32 v60, 0, v60
	s_waitcnt lgkmcnt(0)
	v_mul_f32_e32 v66, v61, v63
	v_mul_f32_e32 v63, v60, v63
	v_fma_f32 v60, v60, v62, -v66
	v_fmac_f32_e32 v63, v61, v62
	buffer_store_dword v60, off, s[0:3], 0 offset:8
	buffer_store_dword v63, off, s[0:3], 0 offset:12
.LBB92_19:
	s_or_b64 exec, exec, s[6:7]
	s_waitcnt lgkmcnt(0)
	; wave barrier
	buffer_load_dword v60, off, s[0:3], 0 offset:16
	buffer_load_dword v61, off, s[0:3], 0 offset:20
	v_cmp_gt_u32_e32 vcc, 2, v0
	s_waitcnt vmcnt(0)
	ds_write_b64 v1, v[60:61]
	s_waitcnt lgkmcnt(0)
	; wave barrier
	s_waitcnt lgkmcnt(0)
	s_and_saveexec_b64 s[6:7], vcc
	s_cbranch_execz .LBB92_23
; %bb.20:
	buffer_load_dword v62, v65, s[0:3], 0 offen offset:4
	buffer_load_dword v63, v65, s[0:3], 0 offen
	ds_read_b64 v[60:61], v1
	s_waitcnt vmcnt(1) lgkmcnt(0)
	v_mul_f32_e32 v65, v61, v62
	v_mul_f32_e32 v62, v60, v62
	s_waitcnt vmcnt(0)
	v_fma_f32 v60, v60, v63, -v65
	v_fmac_f32_e32 v62, v61, v63
	v_add_f32_e32 v61, 0, v60
	v_add_f32_e32 v60, 0, v62
	s_and_saveexec_b64 s[12:13], s[4:5]
	s_cbranch_execz .LBB92_22
; %bb.21:
	buffer_load_dword v65, off, s[0:3], 0 offset:12
	buffer_load_dword v66, off, s[0:3], 0 offset:8
	v_mov_b32_e32 v62, 0
	ds_read_b64 v[62:63], v62 offset:248
	s_waitcnt vmcnt(1) lgkmcnt(0)
	v_mul_f32_e32 v67, v62, v65
	v_mul_f32_e32 v65, v63, v65
	s_waitcnt vmcnt(0)
	v_fmac_f32_e32 v67, v63, v66
	v_fma_f32 v62, v62, v66, -v65
	v_add_f32_e32 v60, v60, v67
	v_add_f32_e32 v61, v61, v62
.LBB92_22:
	s_or_b64 exec, exec, s[12:13]
	v_mov_b32_e32 v62, 0
	ds_read_b64 v[62:63], v62 offset:16
	s_waitcnt lgkmcnt(0)
	v_mul_f32_e32 v65, v60, v63
	v_mul_f32_e32 v63, v61, v63
	v_fma_f32 v61, v61, v62, -v65
	v_fmac_f32_e32 v63, v60, v62
	buffer_store_dword v61, off, s[0:3], 0 offset:16
	buffer_store_dword v63, off, s[0:3], 0 offset:20
.LBB92_23:
	s_or_b64 exec, exec, s[6:7]
	s_waitcnt lgkmcnt(0)
	; wave barrier
	buffer_load_dword v60, off, s[0:3], 0 offset:24
	buffer_load_dword v61, off, s[0:3], 0 offset:28
	v_cmp_gt_u32_e32 vcc, 3, v0
	s_waitcnt vmcnt(0)
	ds_write_b64 v1, v[60:61]
	v_add_u32_e32 v60, -1, v0
	s_waitcnt lgkmcnt(0)
	; wave barrier
	s_waitcnt lgkmcnt(0)
	s_and_saveexec_b64 s[4:5], vcc
	s_cbranch_execz .LBB92_27
; %bb.24:
	v_add_u32_e32 v62, -1, v0
	v_add_u32_e32 v63, 0xf0, v64
	v_add_u32_e32 v65, 0, v64
	s_mov_b64 s[6:7], 0
	v_mov_b32_e32 v61, 0
	v_mov_b32_e32 v66, 0
.LBB92_25:                              ; =>This Inner Loop Header: Depth=1
	buffer_load_dword v67, v65, s[0:3], 0 offen offset:4
	buffer_load_dword v70, v65, s[0:3], 0 offen
	ds_read_b64 v[68:69], v63
	v_add_u32_e32 v62, 1, v62
	v_cmp_lt_u32_e32 vcc, 1, v62
	v_add_u32_e32 v63, 8, v63
	v_add_u32_e32 v65, 8, v65
	s_or_b64 s[6:7], vcc, s[6:7]
	s_waitcnt vmcnt(1) lgkmcnt(0)
	v_mul_f32_e32 v71, v69, v67
	v_mul_f32_e32 v67, v68, v67
	s_waitcnt vmcnt(0)
	v_fma_f32 v68, v68, v70, -v71
	v_fmac_f32_e32 v67, v69, v70
	v_add_f32_e32 v66, v66, v68
	v_add_f32_e32 v61, v61, v67
	s_andn2_b64 exec, exec, s[6:7]
	s_cbranch_execnz .LBB92_25
; %bb.26:
	s_or_b64 exec, exec, s[6:7]
	v_mov_b32_e32 v62, 0
	ds_read_b64 v[62:63], v62 offset:24
	s_waitcnt lgkmcnt(0)
	v_mul_f32_e32 v65, v61, v63
	v_mul_f32_e32 v63, v66, v63
	v_fma_f32 v65, v66, v62, -v65
	v_fmac_f32_e32 v63, v61, v62
	buffer_store_dword v65, off, s[0:3], 0 offset:24
	buffer_store_dword v63, off, s[0:3], 0 offset:28
.LBB92_27:
	s_or_b64 exec, exec, s[4:5]
	s_waitcnt lgkmcnt(0)
	; wave barrier
	buffer_load_dword v62, off, s[0:3], 0 offset:32
	buffer_load_dword v63, off, s[0:3], 0 offset:36
	v_cmp_gt_u32_e32 vcc, 4, v0
	s_waitcnt vmcnt(0)
	ds_write_b64 v1, v[62:63]
	s_waitcnt lgkmcnt(0)
	; wave barrier
	s_waitcnt lgkmcnt(0)
	s_and_saveexec_b64 s[4:5], vcc
	s_cbranch_execz .LBB92_31
; %bb.28:
	v_add_u32_e32 v62, -1, v0
	v_add_u32_e32 v63, 0xf0, v64
	v_add_u32_e32 v65, 0, v64
	s_mov_b64 s[6:7], 0
	v_mov_b32_e32 v61, 0
	v_mov_b32_e32 v66, 0
.LBB92_29:                              ; =>This Inner Loop Header: Depth=1
	buffer_load_dword v67, v65, s[0:3], 0 offen offset:4
	buffer_load_dword v70, v65, s[0:3], 0 offen
	ds_read_b64 v[68:69], v63
	v_add_u32_e32 v62, 1, v62
	v_cmp_lt_u32_e32 vcc, 2, v62
	v_add_u32_e32 v63, 8, v63
	v_add_u32_e32 v65, 8, v65
	s_or_b64 s[6:7], vcc, s[6:7]
	s_waitcnt vmcnt(1) lgkmcnt(0)
	v_mul_f32_e32 v71, v69, v67
	v_mul_f32_e32 v67, v68, v67
	s_waitcnt vmcnt(0)
	v_fma_f32 v68, v68, v70, -v71
	v_fmac_f32_e32 v67, v69, v70
	v_add_f32_e32 v66, v66, v68
	v_add_f32_e32 v61, v61, v67
	s_andn2_b64 exec, exec, s[6:7]
	s_cbranch_execnz .LBB92_29
; %bb.30:
	s_or_b64 exec, exec, s[6:7]
	v_mov_b32_e32 v62, 0
	ds_read_b64 v[62:63], v62 offset:32
	s_waitcnt lgkmcnt(0)
	v_mul_f32_e32 v65, v61, v63
	v_mul_f32_e32 v63, v66, v63
	v_fma_f32 v65, v66, v62, -v65
	v_fmac_f32_e32 v63, v61, v62
	buffer_store_dword v65, off, s[0:3], 0 offset:32
	buffer_store_dword v63, off, s[0:3], 0 offset:36
.LBB92_31:
	s_or_b64 exec, exec, s[4:5]
	s_waitcnt lgkmcnt(0)
	; wave barrier
	buffer_load_dword v62, off, s[0:3], 0 offset:40
	buffer_load_dword v63, off, s[0:3], 0 offset:44
	v_cmp_gt_u32_e32 vcc, 5, v0
	s_waitcnt vmcnt(0)
	ds_write_b64 v1, v[62:63]
	;; [unrolled: 51-line block ×19, first 2 shown]
	s_waitcnt lgkmcnt(0)
	; wave barrier
	s_waitcnt lgkmcnt(0)
	s_and_saveexec_b64 s[4:5], vcc
	s_cbranch_execz .LBB92_103
; %bb.100:
	v_add_u32_e32 v62, -1, v0
	v_add_u32_e32 v63, 0xf0, v64
	v_add_u32_e32 v65, 0, v64
	s_mov_b64 s[6:7], 0
	v_mov_b32_e32 v61, 0
	v_mov_b32_e32 v66, 0
.LBB92_101:                             ; =>This Inner Loop Header: Depth=1
	buffer_load_dword v67, v65, s[0:3], 0 offen offset:4
	buffer_load_dword v70, v65, s[0:3], 0 offen
	ds_read_b64 v[68:69], v63
	v_add_u32_e32 v62, 1, v62
	v_cmp_lt_u32_e32 vcc, 20, v62
	v_add_u32_e32 v63, 8, v63
	v_add_u32_e32 v65, 8, v65
	s_or_b64 s[6:7], vcc, s[6:7]
	s_waitcnt vmcnt(1) lgkmcnt(0)
	v_mul_f32_e32 v71, v69, v67
	v_mul_f32_e32 v67, v68, v67
	s_waitcnt vmcnt(0)
	v_fma_f32 v68, v68, v70, -v71
	v_fmac_f32_e32 v67, v69, v70
	v_add_f32_e32 v66, v66, v68
	v_add_f32_e32 v61, v61, v67
	s_andn2_b64 exec, exec, s[6:7]
	s_cbranch_execnz .LBB92_101
; %bb.102:
	s_or_b64 exec, exec, s[6:7]
	v_mov_b32_e32 v62, 0
	ds_read_b64 v[62:63], v62 offset:176
	s_waitcnt lgkmcnt(0)
	v_mul_f32_e32 v65, v61, v63
	v_mul_f32_e32 v63, v66, v63
	v_fma_f32 v65, v66, v62, -v65
	v_fmac_f32_e32 v63, v61, v62
	buffer_store_dword v65, off, s[0:3], 0 offset:176
	buffer_store_dword v63, off, s[0:3], 0 offset:180
.LBB92_103:
	s_or_b64 exec, exec, s[4:5]
	s_waitcnt lgkmcnt(0)
	; wave barrier
	buffer_load_dword v62, off, s[0:3], 0 offset:184
	buffer_load_dword v63, off, s[0:3], 0 offset:188
	v_cmp_gt_u32_e32 vcc, 23, v0
	s_waitcnt vmcnt(0)
	ds_write_b64 v1, v[62:63]
	s_waitcnt lgkmcnt(0)
	; wave barrier
	s_waitcnt lgkmcnt(0)
	s_and_saveexec_b64 s[4:5], vcc
	s_cbranch_execz .LBB92_107
; %bb.104:
	v_add_u32_e32 v62, -1, v0
	v_add_u32_e32 v63, 0xf0, v64
	v_add_u32_e32 v65, 0, v64
	s_mov_b64 s[6:7], 0
	v_mov_b32_e32 v61, 0
	v_mov_b32_e32 v66, 0
.LBB92_105:                             ; =>This Inner Loop Header: Depth=1
	buffer_load_dword v67, v65, s[0:3], 0 offen offset:4
	buffer_load_dword v70, v65, s[0:3], 0 offen
	ds_read_b64 v[68:69], v63
	v_add_u32_e32 v62, 1, v62
	v_cmp_lt_u32_e32 vcc, 21, v62
	v_add_u32_e32 v63, 8, v63
	v_add_u32_e32 v65, 8, v65
	s_or_b64 s[6:7], vcc, s[6:7]
	s_waitcnt vmcnt(1) lgkmcnt(0)
	v_mul_f32_e32 v71, v69, v67
	v_mul_f32_e32 v67, v68, v67
	s_waitcnt vmcnt(0)
	v_fma_f32 v68, v68, v70, -v71
	v_fmac_f32_e32 v67, v69, v70
	v_add_f32_e32 v66, v66, v68
	v_add_f32_e32 v61, v61, v67
	s_andn2_b64 exec, exec, s[6:7]
	s_cbranch_execnz .LBB92_105
; %bb.106:
	s_or_b64 exec, exec, s[6:7]
	v_mov_b32_e32 v62, 0
	ds_read_b64 v[62:63], v62 offset:184
	s_waitcnt lgkmcnt(0)
	v_mul_f32_e32 v65, v61, v63
	v_mul_f32_e32 v63, v66, v63
	v_fma_f32 v65, v66, v62, -v65
	v_fmac_f32_e32 v63, v61, v62
	buffer_store_dword v65, off, s[0:3], 0 offset:184
	buffer_store_dword v63, off, s[0:3], 0 offset:188
.LBB92_107:
	s_or_b64 exec, exec, s[4:5]
	s_waitcnt lgkmcnt(0)
	; wave barrier
	buffer_load_dword v62, off, s[0:3], 0 offset:192
	buffer_load_dword v63, off, s[0:3], 0 offset:196
	v_cmp_gt_u32_e32 vcc, 24, v0
	s_waitcnt vmcnt(0)
	ds_write_b64 v1, v[62:63]
	;; [unrolled: 51-line block ×5, first 2 shown]
	s_waitcnt lgkmcnt(0)
	; wave barrier
	s_waitcnt lgkmcnt(0)
	s_and_saveexec_b64 s[4:5], vcc
	s_cbranch_execz .LBB92_123
; %bb.120:
	v_add_u32_e32 v62, -1, v0
	v_add_u32_e32 v63, 0xf0, v64
	v_add_u32_e32 v65, 0, v64
	s_mov_b64 s[6:7], 0
	v_mov_b32_e32 v61, 0
	v_mov_b32_e32 v66, 0
.LBB92_121:                             ; =>This Inner Loop Header: Depth=1
	buffer_load_dword v67, v65, s[0:3], 0 offen offset:4
	buffer_load_dword v70, v65, s[0:3], 0 offen
	ds_read_b64 v[68:69], v63
	v_add_u32_e32 v62, 1, v62
	v_cmp_lt_u32_e32 vcc, 25, v62
	v_add_u32_e32 v63, 8, v63
	v_add_u32_e32 v65, 8, v65
	s_or_b64 s[6:7], vcc, s[6:7]
	s_waitcnt vmcnt(1) lgkmcnt(0)
	v_mul_f32_e32 v71, v69, v67
	v_mul_f32_e32 v67, v68, v67
	s_waitcnt vmcnt(0)
	v_fma_f32 v68, v68, v70, -v71
	v_fmac_f32_e32 v67, v69, v70
	v_add_f32_e32 v66, v66, v68
	v_add_f32_e32 v61, v61, v67
	s_andn2_b64 exec, exec, s[6:7]
	s_cbranch_execnz .LBB92_121
; %bb.122:
	s_or_b64 exec, exec, s[6:7]
	v_mov_b32_e32 v62, 0
	ds_read_b64 v[62:63], v62 offset:216
	s_waitcnt lgkmcnt(0)
	v_mul_f32_e32 v65, v61, v63
	v_mul_f32_e32 v63, v66, v63
	v_fma_f32 v65, v66, v62, -v65
	v_fmac_f32_e32 v63, v61, v62
	buffer_store_dword v65, off, s[0:3], 0 offset:216
	buffer_store_dword v63, off, s[0:3], 0 offset:220
.LBB92_123:
	s_or_b64 exec, exec, s[4:5]
	s_waitcnt lgkmcnt(0)
	; wave barrier
	buffer_load_dword v62, off, s[0:3], 0 offset:224
	buffer_load_dword v63, off, s[0:3], 0 offset:228
	v_cmp_ne_u32_e32 vcc, 28, v0
	s_waitcnt vmcnt(0)
	ds_write_b64 v1, v[62:63]
	s_waitcnt lgkmcnt(0)
	; wave barrier
	s_waitcnt lgkmcnt(0)
	s_and_saveexec_b64 s[4:5], vcc
	s_cbranch_execz .LBB92_127
; %bb.124:
	v_add_u32_e32 v61, 0xf0, v64
	v_add_u32_e32 v62, 0, v64
	s_mov_b64 s[6:7], 0
	v_mov_b32_e32 v1, 0
	v_mov_b32_e32 v63, 0
.LBB92_125:                             ; =>This Inner Loop Header: Depth=1
	buffer_load_dword v66, v62, s[0:3], 0 offen offset:4
	buffer_load_dword v67, v62, s[0:3], 0 offen
	ds_read_b64 v[64:65], v61
	v_add_u32_e32 v60, 1, v60
	v_cmp_lt_u32_e32 vcc, 26, v60
	v_add_u32_e32 v61, 8, v61
	v_add_u32_e32 v62, 8, v62
	s_or_b64 s[6:7], vcc, s[6:7]
	s_waitcnt vmcnt(1) lgkmcnt(0)
	v_mul_f32_e32 v68, v65, v66
	v_mul_f32_e32 v66, v64, v66
	s_waitcnt vmcnt(0)
	v_fma_f32 v64, v64, v67, -v68
	v_fmac_f32_e32 v66, v65, v67
	v_add_f32_e32 v63, v63, v64
	v_add_f32_e32 v1, v1, v66
	s_andn2_b64 exec, exec, s[6:7]
	s_cbranch_execnz .LBB92_125
; %bb.126:
	s_or_b64 exec, exec, s[6:7]
	v_mov_b32_e32 v60, 0
	ds_read_b64 v[60:61], v60 offset:224
	s_waitcnt lgkmcnt(0)
	v_mul_f32_e32 v62, v1, v61
	v_mul_f32_e32 v61, v63, v61
	v_fma_f32 v62, v63, v60, -v62
	v_fmac_f32_e32 v61, v1, v60
	buffer_store_dword v62, off, s[0:3], 0 offset:224
	buffer_store_dword v61, off, s[0:3], 0 offset:228
.LBB92_127:
	s_or_b64 exec, exec, s[4:5]
	s_mov_b64 s[6:7], -1
	s_waitcnt lgkmcnt(0)
	; wave barrier
.LBB92_128:
	s_and_b64 vcc, exec, s[6:7]
	s_cbranch_vccz .LBB92_130
; %bb.129:
	s_lshl_b64 s[4:5], s[8:9], 2
	s_add_u32 s4, s14, s4
	s_addc_u32 s5, s15, s5
	v_mov_b32_e32 v1, 0
	global_load_dword v1, v1, s[4:5]
	s_waitcnt vmcnt(0)
	v_cmp_ne_u32_e32 vcc, 0, v1
	s_cbranch_vccz .LBB92_131
.LBB92_130:
	s_endpgm
.LBB92_131:
	v_mov_b32_e32 v1, 0xf0
	v_lshl_add_u32 v1, v0, 3, v1
	v_cmp_eq_u32_e32 vcc, 28, v0
	s_and_saveexec_b64 s[4:5], vcc
	s_cbranch_execz .LBB92_133
; %bb.132:
	buffer_load_dword v60, off, s[0:3], 0 offset:216
	buffer_load_dword v61, off, s[0:3], 0 offset:220
	v_mov_b32_e32 v62, 0
	buffer_store_dword v62, off, s[0:3], 0 offset:216
	buffer_store_dword v62, off, s[0:3], 0 offset:220
	s_waitcnt vmcnt(2)
	ds_write_b64 v1, v[60:61]
.LBB92_133:
	s_or_b64 exec, exec, s[4:5]
	s_waitcnt lgkmcnt(0)
	; wave barrier
	s_waitcnt lgkmcnt(0)
	buffer_load_dword v63, off, s[0:3], 0 offset:228
	buffer_load_dword v62, off, s[0:3], 0 offset:224
	;; [unrolled: 1-line block ×4, first 2 shown]
	v_mov_b32_e32 v60, 0
	ds_read_b64 v[66:67], v60 offset:464
	v_cmp_lt_u32_e32 vcc, 26, v0
	s_waitcnt vmcnt(3)
	v_mov_b32_e32 v68, v63
	s_waitcnt lgkmcnt(0)
	v_pk_mul_f32 v[68:69], v[66:67], v[68:69] op_sel_hi:[1,0]
	s_waitcnt vmcnt(2)
	v_pk_fma_f32 v[70:71], v[66:67], v[62:63], v[68:69] op_sel:[0,0,1] op_sel_hi:[1,1,0] neg_lo:[0,0,1] neg_hi:[0,0,1]
	v_pk_fma_f32 v[62:63], v[66:67], v[62:63], v[68:69] op_sel:[0,0,1] op_sel_hi:[1,0,0]
	v_mov_b32_e32 v71, v63
	v_pk_add_f32 v[62:63], v[70:71], 0 op_sel_hi:[1,0]
	s_waitcnt vmcnt(0)
	v_pk_add_f32 v[62:63], v[64:65], v[62:63] neg_lo:[0,1] neg_hi:[0,1]
	buffer_store_dword v62, off, s[0:3], 0 offset:216
	buffer_store_dword v63, off, s[0:3], 0 offset:220
	s_and_saveexec_b64 s[4:5], vcc
	s_cbranch_execz .LBB92_135
; %bb.134:
	buffer_load_dword v62, off, s[0:3], 0 offset:208
	buffer_load_dword v63, off, s[0:3], 0 offset:212
	s_waitcnt vmcnt(0)
	ds_write_b64 v1, v[62:63]
	buffer_store_dword v60, off, s[0:3], 0 offset:208
	buffer_store_dword v60, off, s[0:3], 0 offset:212
.LBB92_135:
	s_or_b64 exec, exec, s[4:5]
	s_waitcnt lgkmcnt(0)
	; wave barrier
	s_waitcnt lgkmcnt(0)
	buffer_load_dword v65, off, s[0:3], 0 offset:220
	buffer_load_dword v67, off, s[0:3], 0 offset:228
	;; [unrolled: 1-line block ×6, first 2 shown]
	ds_read2_b64 v[60:63], v60 offset0:57 offset1:58
	v_cmp_lt_u32_e32 vcc, 25, v0
	s_waitcnt vmcnt(5)
	v_mov_b32_e32 v70, v65
	s_waitcnt vmcnt(4)
	v_mov_b32_e32 v72, v67
	s_waitcnt lgkmcnt(0)
	v_pk_mul_f32 v[70:71], v[60:61], v[70:71] op_sel_hi:[1,0]
	v_pk_mul_f32 v[72:73], v[62:63], v[72:73] op_sel_hi:[1,0]
	s_waitcnt vmcnt(3)
	v_pk_fma_f32 v[74:75], v[60:61], v[64:65], v[70:71] op_sel:[0,0,1] op_sel_hi:[1,1,0] neg_lo:[0,0,1] neg_hi:[0,0,1]
	v_pk_fma_f32 v[60:61], v[60:61], v[64:65], v[70:71] op_sel:[0,0,1] op_sel_hi:[1,0,0]
	s_waitcnt vmcnt(2)
	v_pk_fma_f32 v[64:65], v[62:63], v[66:67], v[72:73] op_sel:[0,0,1] op_sel_hi:[1,1,0] neg_lo:[0,0,1] neg_hi:[0,0,1]
	v_pk_fma_f32 v[62:63], v[62:63], v[66:67], v[72:73] op_sel:[0,0,1] op_sel_hi:[1,0,0]
	v_mov_b32_e32 v75, v61
	v_mov_b32_e32 v65, v63
	v_pk_add_f32 v[60:61], v[74:75], 0 op_sel_hi:[1,0]
	v_pk_add_f32 v[60:61], v[60:61], v[64:65]
	s_waitcnt vmcnt(0)
	v_pk_add_f32 v[60:61], v[68:69], v[60:61] neg_lo:[0,1] neg_hi:[0,1]
	buffer_store_dword v60, off, s[0:3], 0 offset:208
	buffer_store_dword v61, off, s[0:3], 0 offset:212
	s_and_saveexec_b64 s[4:5], vcc
	s_cbranch_execz .LBB92_137
; %bb.136:
	buffer_load_dword v60, off, s[0:3], 0 offset:200
	buffer_load_dword v61, off, s[0:3], 0 offset:204
	v_mov_b32_e32 v62, 0
	buffer_store_dword v62, off, s[0:3], 0 offset:200
	buffer_store_dword v62, off, s[0:3], 0 offset:204
	s_waitcnt vmcnt(2)
	ds_write_b64 v1, v[60:61]
.LBB92_137:
	s_or_b64 exec, exec, s[4:5]
	s_waitcnt lgkmcnt(0)
	; wave barrier
	s_waitcnt lgkmcnt(0)
	buffer_load_dword v67, off, s[0:3], 0 offset:212
	buffer_load_dword v69, off, s[0:3], 0 offset:220
	buffer_load_dword v71, off, s[0:3], 0 offset:228
	buffer_load_dword v66, off, s[0:3], 0 offset:208
	buffer_load_dword v68, off, s[0:3], 0 offset:216
	buffer_load_dword v70, off, s[0:3], 0 offset:224
	buffer_load_dword v72, off, s[0:3], 0 offset:200
	buffer_load_dword v73, off, s[0:3], 0 offset:204
	v_mov_b32_e32 v60, 0
	ds_read_b128 v[62:65], v60 offset:448
	ds_read_b64 v[74:75], v60 offset:464
	v_cmp_lt_u32_e32 vcc, 24, v0
	s_waitcnt vmcnt(7)
	v_mov_b32_e32 v76, v67
	s_waitcnt vmcnt(6)
	v_mov_b32_e32 v78, v69
	s_waitcnt lgkmcnt(1)
	v_pk_mul_f32 v[76:77], v[62:63], v[76:77] op_sel_hi:[1,0]
	s_waitcnt vmcnt(5)
	v_mov_b32_e32 v80, v71
	v_pk_mul_f32 v[78:79], v[64:65], v[78:79] op_sel_hi:[1,0]
	s_waitcnt vmcnt(4)
	v_pk_fma_f32 v[82:83], v[62:63], v[66:67], v[76:77] op_sel:[0,0,1] op_sel_hi:[1,1,0] neg_lo:[0,0,1] neg_hi:[0,0,1]
	v_pk_fma_f32 v[62:63], v[62:63], v[66:67], v[76:77] op_sel:[0,0,1] op_sel_hi:[1,0,0]
	s_waitcnt lgkmcnt(0)
	v_pk_mul_f32 v[80:81], v[74:75], v[80:81] op_sel_hi:[1,0]
	s_waitcnt vmcnt(3)
	v_pk_fma_f32 v[66:67], v[64:65], v[68:69], v[78:79] op_sel:[0,0,1] op_sel_hi:[1,1,0] neg_lo:[0,0,1] neg_hi:[0,0,1]
	v_pk_fma_f32 v[64:65], v[64:65], v[68:69], v[78:79] op_sel:[0,0,1] op_sel_hi:[1,0,0]
	v_mov_b32_e32 v83, v63
	s_waitcnt vmcnt(2)
	v_pk_fma_f32 v[68:69], v[74:75], v[70:71], v[80:81] op_sel:[0,0,1] op_sel_hi:[1,1,0] neg_lo:[0,0,1] neg_hi:[0,0,1]
	v_pk_fma_f32 v[70:71], v[74:75], v[70:71], v[80:81] op_sel:[0,0,1] op_sel_hi:[1,0,0]
	v_mov_b32_e32 v67, v65
	v_pk_add_f32 v[62:63], v[82:83], 0 op_sel_hi:[1,0]
	v_mov_b32_e32 v69, v71
	v_pk_add_f32 v[62:63], v[62:63], v[66:67]
	v_pk_add_f32 v[62:63], v[62:63], v[68:69]
	s_waitcnt vmcnt(0)
	v_pk_add_f32 v[62:63], v[72:73], v[62:63] neg_lo:[0,1] neg_hi:[0,1]
	buffer_store_dword v62, off, s[0:3], 0 offset:200
	buffer_store_dword v63, off, s[0:3], 0 offset:204
	s_and_saveexec_b64 s[4:5], vcc
	s_cbranch_execz .LBB92_139
; %bb.138:
	buffer_load_dword v62, off, s[0:3], 0 offset:192
	buffer_load_dword v63, off, s[0:3], 0 offset:196
	s_waitcnt vmcnt(0)
	ds_write_b64 v1, v[62:63]
	buffer_store_dword v60, off, s[0:3], 0 offset:192
	buffer_store_dword v60, off, s[0:3], 0 offset:196
.LBB92_139:
	s_or_b64 exec, exec, s[4:5]
	s_waitcnt lgkmcnt(0)
	; wave barrier
	s_waitcnt lgkmcnt(0)
	buffer_load_dword v71, off, s[0:3], 0 offset:204
	buffer_load_dword v73, off, s[0:3], 0 offset:212
	buffer_load_dword v75, off, s[0:3], 0 offset:220
	buffer_load_dword v77, off, s[0:3], 0 offset:228
	buffer_load_dword v70, off, s[0:3], 0 offset:200
	buffer_load_dword v72, off, s[0:3], 0 offset:208
	buffer_load_dword v74, off, s[0:3], 0 offset:216
	buffer_load_dword v76, off, s[0:3], 0 offset:224
	buffer_load_dword v78, off, s[0:3], 0 offset:192
	buffer_load_dword v79, off, s[0:3], 0 offset:196
	ds_read2_b64 v[62:65], v60 offset0:55 offset1:56
	ds_read2_b64 v[66:69], v60 offset0:57 offset1:58
	v_cmp_lt_u32_e32 vcc, 23, v0
	s_waitcnt vmcnt(9)
	v_mov_b32_e32 v60, v71
	s_waitcnt vmcnt(8)
	v_mov_b32_e32 v80, v73
	s_waitcnt lgkmcnt(1)
	v_pk_mul_f32 v[60:61], v[62:63], v[60:61] op_sel_hi:[1,0]
	s_waitcnt vmcnt(7)
	v_mov_b32_e32 v82, v75
	v_pk_mul_f32 v[80:81], v[64:65], v[80:81] op_sel_hi:[1,0]
	s_waitcnt vmcnt(5)
	v_pk_fma_f32 v[86:87], v[62:63], v[70:71], v[60:61] op_sel:[0,0,1] op_sel_hi:[1,1,0] neg_lo:[0,0,1] neg_hi:[0,0,1]
	v_pk_fma_f32 v[60:61], v[62:63], v[70:71], v[60:61] op_sel:[0,0,1] op_sel_hi:[1,0,0]
	v_mov_b32_e32 v84, v77
	s_waitcnt lgkmcnt(0)
	v_pk_mul_f32 v[82:83], v[66:67], v[82:83] op_sel_hi:[1,0]
	s_waitcnt vmcnt(4)
	v_pk_fma_f32 v[62:63], v[64:65], v[72:73], v[80:81] op_sel:[0,0,1] op_sel_hi:[1,1,0] neg_lo:[0,0,1] neg_hi:[0,0,1]
	v_pk_fma_f32 v[64:65], v[64:65], v[72:73], v[80:81] op_sel:[0,0,1] op_sel_hi:[1,0,0]
	v_mov_b32_e32 v87, v61
	v_pk_mul_f32 v[84:85], v[68:69], v[84:85] op_sel_hi:[1,0]
	s_waitcnt vmcnt(3)
	v_pk_fma_f32 v[70:71], v[66:67], v[74:75], v[82:83] op_sel:[0,0,1] op_sel_hi:[1,1,0] neg_lo:[0,0,1] neg_hi:[0,0,1]
	v_pk_fma_f32 v[66:67], v[66:67], v[74:75], v[82:83] op_sel:[0,0,1] op_sel_hi:[1,0,0]
	v_mov_b32_e32 v63, v65
	v_pk_add_f32 v[60:61], v[86:87], 0 op_sel_hi:[1,0]
	s_waitcnt vmcnt(2)
	v_pk_fma_f32 v[72:73], v[68:69], v[76:77], v[84:85] op_sel:[0,0,1] op_sel_hi:[1,1,0] neg_lo:[0,0,1] neg_hi:[0,0,1]
	v_pk_fma_f32 v[68:69], v[68:69], v[76:77], v[84:85] op_sel:[0,0,1] op_sel_hi:[1,0,0]
	v_mov_b32_e32 v71, v67
	v_pk_add_f32 v[60:61], v[60:61], v[62:63]
	v_mov_b32_e32 v73, v69
	v_pk_add_f32 v[60:61], v[60:61], v[70:71]
	v_pk_add_f32 v[60:61], v[60:61], v[72:73]
	s_waitcnt vmcnt(0)
	v_pk_add_f32 v[60:61], v[78:79], v[60:61] neg_lo:[0,1] neg_hi:[0,1]
	buffer_store_dword v60, off, s[0:3], 0 offset:192
	buffer_store_dword v61, off, s[0:3], 0 offset:196
	s_and_saveexec_b64 s[4:5], vcc
	s_cbranch_execz .LBB92_141
; %bb.140:
	buffer_load_dword v60, off, s[0:3], 0 offset:184
	buffer_load_dword v61, off, s[0:3], 0 offset:188
	v_mov_b32_e32 v62, 0
	buffer_store_dword v62, off, s[0:3], 0 offset:184
	buffer_store_dword v62, off, s[0:3], 0 offset:188
	s_waitcnt vmcnt(2)
	ds_write_b64 v1, v[60:61]
.LBB92_141:
	s_or_b64 exec, exec, s[4:5]
	s_waitcnt lgkmcnt(0)
	; wave barrier
	s_waitcnt lgkmcnt(0)
	buffer_load_dword v71, off, s[0:3], 0 offset:196
	buffer_load_dword v73, off, s[0:3], 0 offset:204
	;; [unrolled: 1-line block ×12, first 2 shown]
	v_mov_b32_e32 v60, 0
	ds_read_b128 v[62:65], v60 offset:432
	ds_read_b128 v[66:69], v60 offset:448
	ds_read_b64 v[82:83], v60 offset:464
	v_cmp_lt_u32_e32 vcc, 22, v0
	s_waitcnt vmcnt(11)
	v_mov_b32_e32 v84, v71
	s_waitcnt vmcnt(10)
	v_mov_b32_e32 v86, v73
	s_waitcnt lgkmcnt(2)
	v_pk_mul_f32 v[84:85], v[62:63], v[84:85] op_sel_hi:[1,0]
	s_waitcnt vmcnt(9)
	v_mov_b32_e32 v88, v75
	v_pk_mul_f32 v[86:87], v[64:65], v[86:87] op_sel_hi:[1,0]
	s_waitcnt vmcnt(6)
	v_pk_fma_f32 v[94:95], v[62:63], v[70:71], v[84:85] op_sel:[0,0,1] op_sel_hi:[1,1,0] neg_lo:[0,0,1] neg_hi:[0,0,1]
	v_pk_fma_f32 v[62:63], v[62:63], v[70:71], v[84:85] op_sel:[0,0,1] op_sel_hi:[1,0,0]
	v_mov_b32_e32 v90, v77
	s_waitcnt lgkmcnt(1)
	v_pk_mul_f32 v[88:89], v[66:67], v[88:89] op_sel_hi:[1,0]
	s_waitcnt vmcnt(5)
	v_pk_fma_f32 v[70:71], v[64:65], v[72:73], v[86:87] op_sel:[0,0,1] op_sel_hi:[1,1,0] neg_lo:[0,0,1] neg_hi:[0,0,1]
	v_pk_fma_f32 v[64:65], v[64:65], v[72:73], v[86:87] op_sel:[0,0,1] op_sel_hi:[1,0,0]
	v_mov_b32_e32 v95, v63
	v_mov_b32_e32 v92, v79
	v_pk_mul_f32 v[90:91], v[68:69], v[90:91] op_sel_hi:[1,0]
	s_waitcnt vmcnt(4)
	v_pk_fma_f32 v[72:73], v[66:67], v[74:75], v[88:89] op_sel:[0,0,1] op_sel_hi:[1,1,0] neg_lo:[0,0,1] neg_hi:[0,0,1]
	v_pk_fma_f32 v[66:67], v[66:67], v[74:75], v[88:89] op_sel:[0,0,1] op_sel_hi:[1,0,0]
	v_mov_b32_e32 v71, v65
	v_pk_add_f32 v[62:63], v[94:95], 0 op_sel_hi:[1,0]
	s_waitcnt lgkmcnt(0)
	v_pk_mul_f32 v[92:93], v[82:83], v[92:93] op_sel_hi:[1,0]
	s_waitcnt vmcnt(3)
	v_pk_fma_f32 v[74:75], v[68:69], v[76:77], v[90:91] op_sel:[0,0,1] op_sel_hi:[1,1,0] neg_lo:[0,0,1] neg_hi:[0,0,1]
	v_pk_fma_f32 v[68:69], v[68:69], v[76:77], v[90:91] op_sel:[0,0,1] op_sel_hi:[1,0,0]
	v_mov_b32_e32 v73, v67
	v_pk_add_f32 v[62:63], v[62:63], v[70:71]
	s_waitcnt vmcnt(2)
	v_pk_fma_f32 v[76:77], v[82:83], v[78:79], v[92:93] op_sel:[0,0,1] op_sel_hi:[1,1,0] neg_lo:[0,0,1] neg_hi:[0,0,1]
	v_pk_fma_f32 v[78:79], v[82:83], v[78:79], v[92:93] op_sel:[0,0,1] op_sel_hi:[1,0,0]
	v_mov_b32_e32 v75, v69
	v_pk_add_f32 v[62:63], v[62:63], v[72:73]
	v_mov_b32_e32 v77, v79
	v_pk_add_f32 v[62:63], v[62:63], v[74:75]
	v_pk_add_f32 v[62:63], v[62:63], v[76:77]
	s_waitcnt vmcnt(0)
	v_pk_add_f32 v[62:63], v[80:81], v[62:63] neg_lo:[0,1] neg_hi:[0,1]
	buffer_store_dword v62, off, s[0:3], 0 offset:184
	buffer_store_dword v63, off, s[0:3], 0 offset:188
	s_and_saveexec_b64 s[4:5], vcc
	s_cbranch_execz .LBB92_143
; %bb.142:
	buffer_load_dword v62, off, s[0:3], 0 offset:176
	buffer_load_dword v63, off, s[0:3], 0 offset:180
	s_waitcnt vmcnt(0)
	ds_write_b64 v1, v[62:63]
	buffer_store_dword v60, off, s[0:3], 0 offset:176
	buffer_store_dword v60, off, s[0:3], 0 offset:180
.LBB92_143:
	s_or_b64 exec, exec, s[4:5]
	s_waitcnt lgkmcnt(0)
	; wave barrier
	s_waitcnt lgkmcnt(0)
	buffer_load_dword v75, off, s[0:3], 0 offset:188
	buffer_load_dword v77, off, s[0:3], 0 offset:196
	;; [unrolled: 1-line block ×14, first 2 shown]
	ds_read2_b64 v[62:65], v60 offset0:53 offset1:54
	ds_read2_b64 v[66:69], v60 offset0:55 offset1:56
	;; [unrolled: 1-line block ×3, first 2 shown]
	v_cmp_lt_u32_e32 vcc, 21, v0
	s_waitcnt vmcnt(13)
	v_mov_b32_e32 v60, v75
	s_waitcnt vmcnt(12)
	v_mov_b32_e32 v88, v77
	s_waitcnt lgkmcnt(2)
	v_pk_mul_f32 v[60:61], v[62:63], v[60:61] op_sel_hi:[1,0]
	s_waitcnt vmcnt(11)
	v_mov_b32_e32 v90, v79
	v_pk_mul_f32 v[88:89], v[64:65], v[88:89] op_sel_hi:[1,0]
	s_waitcnt vmcnt(10)
	v_mov_b32_e32 v92, v81
	s_waitcnt vmcnt(7)
	v_pk_fma_f32 v[98:99], v[62:63], v[74:75], v[60:61] op_sel:[0,0,1] op_sel_hi:[1,1,0] neg_lo:[0,0,1] neg_hi:[0,0,1]
	v_pk_fma_f32 v[60:61], v[62:63], v[74:75], v[60:61] op_sel:[0,0,1] op_sel_hi:[1,0,0]
	s_waitcnt lgkmcnt(1)
	v_pk_mul_f32 v[90:91], v[66:67], v[90:91] op_sel_hi:[1,0]
	s_waitcnt vmcnt(6)
	v_pk_fma_f32 v[62:63], v[64:65], v[76:77], v[88:89] op_sel:[0,0,1] op_sel_hi:[1,1,0] neg_lo:[0,0,1] neg_hi:[0,0,1]
	v_pk_fma_f32 v[64:65], v[64:65], v[76:77], v[88:89] op_sel:[0,0,1] op_sel_hi:[1,0,0]
	v_mov_b32_e32 v99, v61
	v_mov_b32_e32 v94, v83
	v_pk_mul_f32 v[92:93], v[68:69], v[92:93] op_sel_hi:[1,0]
	s_waitcnt vmcnt(5)
	v_pk_fma_f32 v[74:75], v[66:67], v[78:79], v[90:91] op_sel:[0,0,1] op_sel_hi:[1,1,0] neg_lo:[0,0,1] neg_hi:[0,0,1]
	v_pk_fma_f32 v[66:67], v[66:67], v[78:79], v[90:91] op_sel:[0,0,1] op_sel_hi:[1,0,0]
	v_mov_b32_e32 v63, v65
	v_pk_add_f32 v[60:61], v[98:99], 0 op_sel_hi:[1,0]
	v_mov_b32_e32 v96, v85
	s_waitcnt lgkmcnt(0)
	v_pk_mul_f32 v[94:95], v[70:71], v[94:95] op_sel_hi:[1,0]
	s_waitcnt vmcnt(4)
	v_pk_fma_f32 v[76:77], v[68:69], v[80:81], v[92:93] op_sel:[0,0,1] op_sel_hi:[1,1,0] neg_lo:[0,0,1] neg_hi:[0,0,1]
	v_pk_fma_f32 v[68:69], v[68:69], v[80:81], v[92:93] op_sel:[0,0,1] op_sel_hi:[1,0,0]
	v_mov_b32_e32 v75, v67
	v_pk_add_f32 v[60:61], v[60:61], v[62:63]
	v_pk_mul_f32 v[96:97], v[72:73], v[96:97] op_sel_hi:[1,0]
	s_waitcnt vmcnt(3)
	v_pk_fma_f32 v[78:79], v[70:71], v[82:83], v[94:95] op_sel:[0,0,1] op_sel_hi:[1,1,0] neg_lo:[0,0,1] neg_hi:[0,0,1]
	v_pk_fma_f32 v[70:71], v[70:71], v[82:83], v[94:95] op_sel:[0,0,1] op_sel_hi:[1,0,0]
	v_mov_b32_e32 v77, v69
	v_pk_add_f32 v[60:61], v[60:61], v[74:75]
	s_waitcnt vmcnt(2)
	v_pk_fma_f32 v[80:81], v[72:73], v[84:85], v[96:97] op_sel:[0,0,1] op_sel_hi:[1,1,0] neg_lo:[0,0,1] neg_hi:[0,0,1]
	v_pk_fma_f32 v[72:73], v[72:73], v[84:85], v[96:97] op_sel:[0,0,1] op_sel_hi:[1,0,0]
	v_mov_b32_e32 v79, v71
	v_pk_add_f32 v[60:61], v[60:61], v[76:77]
	v_mov_b32_e32 v81, v73
	v_pk_add_f32 v[60:61], v[60:61], v[78:79]
	v_pk_add_f32 v[60:61], v[60:61], v[80:81]
	s_waitcnt vmcnt(0)
	v_pk_add_f32 v[60:61], v[86:87], v[60:61] neg_lo:[0,1] neg_hi:[0,1]
	buffer_store_dword v60, off, s[0:3], 0 offset:176
	buffer_store_dword v61, off, s[0:3], 0 offset:180
	s_and_saveexec_b64 s[4:5], vcc
	s_cbranch_execz .LBB92_145
; %bb.144:
	buffer_load_dword v60, off, s[0:3], 0 offset:168
	buffer_load_dword v61, off, s[0:3], 0 offset:172
	v_mov_b32_e32 v62, 0
	buffer_store_dword v62, off, s[0:3], 0 offset:168
	buffer_store_dword v62, off, s[0:3], 0 offset:172
	s_waitcnt vmcnt(2)
	ds_write_b64 v1, v[60:61]
.LBB92_145:
	s_or_b64 exec, exec, s[4:5]
	s_waitcnt lgkmcnt(0)
	; wave barrier
	s_waitcnt lgkmcnt(0)
	buffer_load_dword v75, off, s[0:3], 0 offset:180
	buffer_load_dword v77, off, s[0:3], 0 offset:188
	buffer_load_dword v79, off, s[0:3], 0 offset:196
	buffer_load_dword v81, off, s[0:3], 0 offset:204
	buffer_load_dword v83, off, s[0:3], 0 offset:212
	buffer_load_dword v85, off, s[0:3], 0 offset:220
	buffer_load_dword v87, off, s[0:3], 0 offset:228
	buffer_load_dword v74, off, s[0:3], 0 offset:176
	buffer_load_dword v76, off, s[0:3], 0 offset:184
	buffer_load_dword v78, off, s[0:3], 0 offset:192
	buffer_load_dword v80, off, s[0:3], 0 offset:200
	buffer_load_dword v82, off, s[0:3], 0 offset:208
	buffer_load_dword v84, off, s[0:3], 0 offset:216
	buffer_load_dword v86, off, s[0:3], 0 offset:224
	buffer_load_dword v88, off, s[0:3], 0 offset:168
	buffer_load_dword v89, off, s[0:3], 0 offset:172
	v_mov_b32_e32 v60, 0
	ds_read_b128 v[62:65], v60 offset:416
	ds_read_b128 v[66:69], v60 offset:432
	;; [unrolled: 1-line block ×3, first 2 shown]
	ds_read_b64 v[90:91], v60 offset:464
	v_cmp_lt_u32_e32 vcc, 20, v0
	s_waitcnt vmcnt(15)
	v_mov_b32_e32 v92, v75
	s_waitcnt vmcnt(14)
	v_mov_b32_e32 v94, v77
	s_waitcnt lgkmcnt(3)
	v_pk_mul_f32 v[92:93], v[62:63], v[92:93] op_sel_hi:[1,0]
	s_waitcnt vmcnt(13)
	v_mov_b32_e32 v96, v79
	v_pk_mul_f32 v[94:95], v[64:65], v[94:95] op_sel_hi:[1,0]
	s_waitcnt vmcnt(12)
	v_mov_b32_e32 v98, v81
	s_waitcnt lgkmcnt(2)
	v_pk_mul_f32 v[96:97], v[66:67], v[96:97] op_sel_hi:[1,0]
	s_waitcnt vmcnt(8)
	v_pk_fma_f32 v[106:107], v[62:63], v[74:75], v[92:93] op_sel:[0,0,1] op_sel_hi:[1,1,0] neg_lo:[0,0,1] neg_hi:[0,0,1]
	v_pk_fma_f32 v[62:63], v[62:63], v[74:75], v[92:93] op_sel:[0,0,1] op_sel_hi:[1,0,0]
	s_waitcnt vmcnt(7)
	v_pk_fma_f32 v[74:75], v[64:65], v[76:77], v[94:95] op_sel:[0,0,1] op_sel_hi:[1,1,0] neg_lo:[0,0,1] neg_hi:[0,0,1]
	v_pk_fma_f32 v[64:65], v[64:65], v[76:77], v[94:95] op_sel:[0,0,1] op_sel_hi:[1,0,0]
	v_mov_b32_e32 v107, v63
	v_mov_b32_e32 v100, v83
	v_pk_mul_f32 v[98:99], v[68:69], v[98:99] op_sel_hi:[1,0]
	s_waitcnt vmcnt(6)
	v_pk_fma_f32 v[76:77], v[66:67], v[78:79], v[96:97] op_sel:[0,0,1] op_sel_hi:[1,1,0] neg_lo:[0,0,1] neg_hi:[0,0,1]
	v_pk_fma_f32 v[66:67], v[66:67], v[78:79], v[96:97] op_sel:[0,0,1] op_sel_hi:[1,0,0]
	v_mov_b32_e32 v75, v65
	v_pk_add_f32 v[62:63], v[106:107], 0 op_sel_hi:[1,0]
	v_mov_b32_e32 v102, v85
	s_waitcnt lgkmcnt(1)
	v_pk_mul_f32 v[100:101], v[70:71], v[100:101] op_sel_hi:[1,0]
	s_waitcnt vmcnt(5)
	v_pk_fma_f32 v[78:79], v[68:69], v[80:81], v[98:99] op_sel:[0,0,1] op_sel_hi:[1,1,0] neg_lo:[0,0,1] neg_hi:[0,0,1]
	v_pk_fma_f32 v[68:69], v[68:69], v[80:81], v[98:99] op_sel:[0,0,1] op_sel_hi:[1,0,0]
	v_mov_b32_e32 v77, v67
	v_pk_add_f32 v[62:63], v[62:63], v[74:75]
	v_mov_b32_e32 v104, v87
	v_pk_mul_f32 v[102:103], v[72:73], v[102:103] op_sel_hi:[1,0]
	s_waitcnt vmcnt(4)
	v_pk_fma_f32 v[80:81], v[70:71], v[82:83], v[100:101] op_sel:[0,0,1] op_sel_hi:[1,1,0] neg_lo:[0,0,1] neg_hi:[0,0,1]
	v_pk_fma_f32 v[70:71], v[70:71], v[82:83], v[100:101] op_sel:[0,0,1] op_sel_hi:[1,0,0]
	v_mov_b32_e32 v79, v69
	v_pk_add_f32 v[62:63], v[62:63], v[76:77]
	s_waitcnt lgkmcnt(0)
	v_pk_mul_f32 v[104:105], v[90:91], v[104:105] op_sel_hi:[1,0]
	s_waitcnt vmcnt(3)
	v_pk_fma_f32 v[82:83], v[72:73], v[84:85], v[102:103] op_sel:[0,0,1] op_sel_hi:[1,1,0] neg_lo:[0,0,1] neg_hi:[0,0,1]
	v_pk_fma_f32 v[72:73], v[72:73], v[84:85], v[102:103] op_sel:[0,0,1] op_sel_hi:[1,0,0]
	v_mov_b32_e32 v81, v71
	v_pk_add_f32 v[62:63], v[62:63], v[78:79]
	s_waitcnt vmcnt(2)
	v_pk_fma_f32 v[84:85], v[90:91], v[86:87], v[104:105] op_sel:[0,0,1] op_sel_hi:[1,1,0] neg_lo:[0,0,1] neg_hi:[0,0,1]
	v_pk_fma_f32 v[86:87], v[90:91], v[86:87], v[104:105] op_sel:[0,0,1] op_sel_hi:[1,0,0]
	v_mov_b32_e32 v83, v73
	v_pk_add_f32 v[62:63], v[62:63], v[80:81]
	v_mov_b32_e32 v85, v87
	v_pk_add_f32 v[62:63], v[62:63], v[82:83]
	v_pk_add_f32 v[62:63], v[62:63], v[84:85]
	s_waitcnt vmcnt(0)
	v_pk_add_f32 v[62:63], v[88:89], v[62:63] neg_lo:[0,1] neg_hi:[0,1]
	buffer_store_dword v62, off, s[0:3], 0 offset:168
	buffer_store_dword v63, off, s[0:3], 0 offset:172
	s_and_saveexec_b64 s[4:5], vcc
	s_cbranch_execz .LBB92_147
; %bb.146:
	buffer_load_dword v62, off, s[0:3], 0 offset:160
	buffer_load_dword v63, off, s[0:3], 0 offset:164
	s_waitcnt vmcnt(0)
	ds_write_b64 v1, v[62:63]
	buffer_store_dword v60, off, s[0:3], 0 offset:160
	buffer_store_dword v60, off, s[0:3], 0 offset:164
.LBB92_147:
	s_or_b64 exec, exec, s[4:5]
	s_waitcnt lgkmcnt(0)
	; wave barrier
	s_waitcnt lgkmcnt(0)
	buffer_load_dword v79, off, s[0:3], 0 offset:172
	buffer_load_dword v81, off, s[0:3], 0 offset:180
	;; [unrolled: 1-line block ×18, first 2 shown]
	ds_read2_b64 v[62:65], v60 offset0:51 offset1:52
	ds_read2_b64 v[66:69], v60 offset0:53 offset1:54
	ds_read2_b64 v[70:73], v60 offset0:55 offset1:56
	ds_read2_b64 v[74:77], v60 offset0:57 offset1:58
	v_cmp_lt_u32_e32 vcc, 19, v0
	s_waitcnt vmcnt(17)
	v_mov_b32_e32 v60, v79
	s_waitcnt vmcnt(16)
	v_mov_b32_e32 v96, v81
	s_waitcnt lgkmcnt(3)
	v_pk_mul_f32 v[60:61], v[62:63], v[60:61] op_sel_hi:[1,0]
	s_waitcnt vmcnt(15)
	v_mov_b32_e32 v98, v83
	v_pk_mul_f32 v[96:97], v[64:65], v[96:97] op_sel_hi:[1,0]
	s_waitcnt vmcnt(14)
	v_mov_b32_e32 v100, v85
	s_waitcnt lgkmcnt(2)
	v_pk_mul_f32 v[98:99], v[66:67], v[98:99] op_sel_hi:[1,0]
	s_waitcnt vmcnt(13)
	v_mov_b32_e32 v102, v87
	s_waitcnt vmcnt(9)
	v_pk_fma_f32 v[110:111], v[62:63], v[78:79], v[60:61] op_sel:[0,0,1] op_sel_hi:[1,1,0] neg_lo:[0,0,1] neg_hi:[0,0,1]
	v_pk_fma_f32 v[60:61], v[62:63], v[78:79], v[60:61] op_sel:[0,0,1] op_sel_hi:[1,0,0]
	s_waitcnt vmcnt(8)
	v_pk_fma_f32 v[62:63], v[64:65], v[80:81], v[96:97] op_sel:[0,0,1] op_sel_hi:[1,1,0] neg_lo:[0,0,1] neg_hi:[0,0,1]
	v_pk_fma_f32 v[64:65], v[64:65], v[80:81], v[96:97] op_sel:[0,0,1] op_sel_hi:[1,0,0]
	v_mov_b32_e32 v111, v61
	v_pk_mul_f32 v[100:101], v[68:69], v[100:101] op_sel_hi:[1,0]
	s_waitcnt vmcnt(7)
	v_pk_fma_f32 v[78:79], v[66:67], v[82:83], v[98:99] op_sel:[0,0,1] op_sel_hi:[1,1,0] neg_lo:[0,0,1] neg_hi:[0,0,1]
	v_pk_fma_f32 v[66:67], v[66:67], v[82:83], v[98:99] op_sel:[0,0,1] op_sel_hi:[1,0,0]
	v_mov_b32_e32 v63, v65
	v_pk_add_f32 v[60:61], v[110:111], 0 op_sel_hi:[1,0]
	v_mov_b32_e32 v104, v89
	s_waitcnt lgkmcnt(1)
	v_pk_mul_f32 v[102:103], v[70:71], v[102:103] op_sel_hi:[1,0]
	s_waitcnt vmcnt(6)
	v_pk_fma_f32 v[80:81], v[68:69], v[84:85], v[100:101] op_sel:[0,0,1] op_sel_hi:[1,1,0] neg_lo:[0,0,1] neg_hi:[0,0,1]
	v_pk_fma_f32 v[68:69], v[68:69], v[84:85], v[100:101] op_sel:[0,0,1] op_sel_hi:[1,0,0]
	v_mov_b32_e32 v79, v67
	v_pk_add_f32 v[60:61], v[60:61], v[62:63]
	v_mov_b32_e32 v106, v91
	v_pk_mul_f32 v[104:105], v[72:73], v[104:105] op_sel_hi:[1,0]
	s_waitcnt vmcnt(5)
	v_pk_fma_f32 v[82:83], v[70:71], v[86:87], v[102:103] op_sel:[0,0,1] op_sel_hi:[1,1,0] neg_lo:[0,0,1] neg_hi:[0,0,1]
	v_pk_fma_f32 v[70:71], v[70:71], v[86:87], v[102:103] op_sel:[0,0,1] op_sel_hi:[1,0,0]
	v_mov_b32_e32 v81, v69
	v_pk_add_f32 v[60:61], v[60:61], v[78:79]
	v_mov_b32_e32 v108, v93
	s_waitcnt lgkmcnt(0)
	v_pk_mul_f32 v[106:107], v[74:75], v[106:107] op_sel_hi:[1,0]
	s_waitcnt vmcnt(4)
	v_pk_fma_f32 v[84:85], v[72:73], v[88:89], v[104:105] op_sel:[0,0,1] op_sel_hi:[1,1,0] neg_lo:[0,0,1] neg_hi:[0,0,1]
	v_pk_fma_f32 v[72:73], v[72:73], v[88:89], v[104:105] op_sel:[0,0,1] op_sel_hi:[1,0,0]
	v_mov_b32_e32 v83, v71
	v_pk_add_f32 v[60:61], v[60:61], v[80:81]
	v_pk_mul_f32 v[108:109], v[76:77], v[108:109] op_sel_hi:[1,0]
	s_waitcnt vmcnt(3)
	v_pk_fma_f32 v[86:87], v[74:75], v[90:91], v[106:107] op_sel:[0,0,1] op_sel_hi:[1,1,0] neg_lo:[0,0,1] neg_hi:[0,0,1]
	v_pk_fma_f32 v[74:75], v[74:75], v[90:91], v[106:107] op_sel:[0,0,1] op_sel_hi:[1,0,0]
	v_mov_b32_e32 v85, v73
	v_pk_add_f32 v[60:61], v[60:61], v[82:83]
	s_waitcnt vmcnt(2)
	v_pk_fma_f32 v[88:89], v[76:77], v[92:93], v[108:109] op_sel:[0,0,1] op_sel_hi:[1,1,0] neg_lo:[0,0,1] neg_hi:[0,0,1]
	v_pk_fma_f32 v[76:77], v[76:77], v[92:93], v[108:109] op_sel:[0,0,1] op_sel_hi:[1,0,0]
	v_mov_b32_e32 v87, v75
	v_pk_add_f32 v[60:61], v[60:61], v[84:85]
	v_mov_b32_e32 v89, v77
	v_pk_add_f32 v[60:61], v[60:61], v[86:87]
	v_pk_add_f32 v[60:61], v[60:61], v[88:89]
	s_waitcnt vmcnt(0)
	v_pk_add_f32 v[60:61], v[94:95], v[60:61] neg_lo:[0,1] neg_hi:[0,1]
	buffer_store_dword v60, off, s[0:3], 0 offset:160
	buffer_store_dword v61, off, s[0:3], 0 offset:164
	s_and_saveexec_b64 s[4:5], vcc
	s_cbranch_execz .LBB92_149
; %bb.148:
	buffer_load_dword v60, off, s[0:3], 0 offset:152
	buffer_load_dword v61, off, s[0:3], 0 offset:156
	v_mov_b32_e32 v62, 0
	buffer_store_dword v62, off, s[0:3], 0 offset:152
	buffer_store_dword v62, off, s[0:3], 0 offset:156
	s_waitcnt vmcnt(2)
	ds_write_b64 v1, v[60:61]
.LBB92_149:
	s_or_b64 exec, exec, s[4:5]
	s_waitcnt lgkmcnt(0)
	; wave barrier
	s_waitcnt lgkmcnt(0)
	buffer_load_dword v61, off, s[0:3], 0 offset:164
	buffer_load_dword v79, off, s[0:3], 0 offset:172
	;; [unrolled: 1-line block ×20, first 2 shown]
	v_mov_b32_e32 v60, 0
	ds_read_b128 v[62:65], v60 offset:400
	ds_read_b128 v[66:69], v60 offset:416
	;; [unrolled: 1-line block ×4, first 2 shown]
	ds_read_b64 v[96:97], v60 offset:464
	v_cmp_lt_u32_e32 vcc, 18, v0
	s_waitcnt vmcnt(19) lgkmcnt(4)
	v_mul_f32_e32 v99, v62, v61
	v_mul_f32_e32 v61, v63, v61
	s_waitcnt vmcnt(18)
	v_mov_b32_e32 v100, v79
	s_waitcnt vmcnt(17)
	v_mov_b32_e32 v102, v81
	;; [unrolled: 2-line block ×8, first 2 shown]
	s_waitcnt vmcnt(10)
	v_fmac_f32_e32 v99, v63, v98
	v_fma_f32 v98, v62, v98, -v61
	v_pk_mul_f32 v[62:63], v[64:65], v[100:101] op_sel_hi:[1,0]
	s_waitcnt lgkmcnt(3)
	v_pk_mul_f32 v[100:101], v[66:67], v[102:103] op_sel_hi:[1,0]
	v_pk_mul_f32 v[102:103], v[68:69], v[104:105] op_sel_hi:[1,0]
	s_waitcnt lgkmcnt(2)
	v_pk_mul_f32 v[104:105], v[70:71], v[106:107] op_sel_hi:[1,0]
	;; [unrolled: 3-line block ×4, first 2 shown]
	s_waitcnt vmcnt(9)
	v_pk_fma_f32 v[114:115], v[64:65], v[78:79], v[62:63] op_sel:[0,0,1] op_sel_hi:[1,1,0] neg_lo:[0,0,1] neg_hi:[0,0,1]
	v_pk_fma_f32 v[62:63], v[64:65], v[78:79], v[62:63] op_sel:[0,0,1] op_sel_hi:[1,0,0]
	v_pk_add_f32 v[98:99], v[98:99], 0 op_sel_hi:[1,0]
	s_waitcnt vmcnt(8)
	v_pk_fma_f32 v[64:65], v[66:67], v[80:81], v[100:101] op_sel:[0,0,1] op_sel_hi:[1,1,0] neg_lo:[0,0,1] neg_hi:[0,0,1]
	v_pk_fma_f32 v[66:67], v[66:67], v[80:81], v[100:101] op_sel:[0,0,1] op_sel_hi:[1,0,0]
	v_mov_b32_e32 v115, v63
	s_waitcnt vmcnt(7)
	v_pk_fma_f32 v[78:79], v[68:69], v[82:83], v[102:103] op_sel:[0,0,1] op_sel_hi:[1,1,0] neg_lo:[0,0,1] neg_hi:[0,0,1]
	v_pk_fma_f32 v[68:69], v[68:69], v[82:83], v[102:103] op_sel:[0,0,1] op_sel_hi:[1,0,0]
	v_mov_b32_e32 v65, v67
	v_pk_add_f32 v[62:63], v[98:99], v[114:115]
	s_waitcnt vmcnt(6)
	v_pk_fma_f32 v[80:81], v[70:71], v[84:85], v[104:105] op_sel:[0,0,1] op_sel_hi:[1,1,0] neg_lo:[0,0,1] neg_hi:[0,0,1]
	v_pk_fma_f32 v[70:71], v[70:71], v[84:85], v[104:105] op_sel:[0,0,1] op_sel_hi:[1,0,0]
	v_mov_b32_e32 v79, v69
	v_pk_add_f32 v[62:63], v[62:63], v[64:65]
	;; [unrolled: 5-line block ×5, first 2 shown]
	v_pk_fma_f32 v[88:89], v[96:97], v[92:93], v[112:113] op_sel:[0,0,1] op_sel_hi:[1,1,0] neg_lo:[0,0,1] neg_hi:[0,0,1]
	v_pk_fma_f32 v[90:91], v[96:97], v[92:93], v[112:113] op_sel:[0,0,1] op_sel_hi:[1,0,0]
	v_mov_b32_e32 v87, v77
	v_pk_add_f32 v[62:63], v[62:63], v[84:85]
	v_mov_b32_e32 v89, v91
	v_pk_add_f32 v[62:63], v[62:63], v[86:87]
	v_pk_add_f32 v[62:63], v[62:63], v[88:89]
	s_waitcnt vmcnt(0)
	v_pk_add_f32 v[62:63], v[94:95], v[62:63] neg_lo:[0,1] neg_hi:[0,1]
	buffer_store_dword v62, off, s[0:3], 0 offset:152
	buffer_store_dword v63, off, s[0:3], 0 offset:156
	s_and_saveexec_b64 s[4:5], vcc
	s_cbranch_execz .LBB92_151
; %bb.150:
	buffer_load_dword v62, off, s[0:3], 0 offset:144
	buffer_load_dword v63, off, s[0:3], 0 offset:148
	s_waitcnt vmcnt(0)
	ds_write_b64 v1, v[62:63]
	buffer_store_dword v60, off, s[0:3], 0 offset:144
	buffer_store_dword v60, off, s[0:3], 0 offset:148
.LBB92_151:
	s_or_b64 exec, exec, s[4:5]
	s_waitcnt lgkmcnt(0)
	; wave barrier
	s_waitcnt lgkmcnt(0)
	buffer_load_dword v100, off, s[0:3], 0 offset:156
	buffer_load_dword v102, off, s[0:3], 0 offset:164
	;; [unrolled: 1-line block ×22, first 2 shown]
	ds_read2_b64 v[62:65], v60 offset0:49 offset1:50
	ds_read2_b64 v[66:69], v60 offset0:51 offset1:52
	;; [unrolled: 1-line block ×5, first 2 shown]
	v_cmp_lt_u32_e32 vcc, 17, v0
	s_waitcnt vmcnt(21) lgkmcnt(4)
	v_mul_f32_e32 v61, v62, v100
	s_waitcnt vmcnt(20)
	v_mul_f32_e32 v101, v64, v102
	v_mul_f32_e32 v60, v63, v100
	v_mul_f32_e32 v100, v65, v102
	s_waitcnt vmcnt(19)
	v_mov_b32_e32 v102, v83
	s_waitcnt vmcnt(18)
	v_mov_b32_e32 v104, v85
	;; [unrolled: 2-line block ×5, first 2 shown]
	v_mov_b32_e32 v108, v89
	s_waitcnt vmcnt(11)
	v_fmac_f32_e32 v61, v63, v103
	v_fma_f32 v60, v62, v103, -v60
	s_waitcnt lgkmcnt(3)
	v_pk_mul_f32 v[62:63], v[66:67], v[102:103] op_sel_hi:[1,0]
	s_waitcnt vmcnt(10)
	v_fmac_f32_e32 v101, v65, v105
	v_fma_f32 v100, v64, v105, -v100
	v_pk_mul_f32 v[64:65], v[68:69], v[104:105] op_sel_hi:[1,0]
	s_waitcnt lgkmcnt(2)
	v_pk_mul_f32 v[102:103], v[70:71], v[106:107] op_sel_hi:[1,0]
	s_waitcnt lgkmcnt(1)
	;; [unrolled: 2-line block ×3, first 2 shown]
	v_pk_mul_f32 v[110:111], v[78:79], v[114:115] op_sel_hi:[1,0]
	v_pk_add_f32 v[60:61], v[60:61], 0 op_sel_hi:[1,0]
	s_waitcnt vmcnt(9)
	v_pk_fma_f32 v[114:115], v[66:67], v[82:83], v[62:63] op_sel:[0,0,1] op_sel_hi:[1,1,0] neg_lo:[0,0,1] neg_hi:[0,0,1]
	v_pk_fma_f32 v[62:63], v[66:67], v[82:83], v[62:63] op_sel:[0,0,1] op_sel_hi:[1,0,0]
	s_waitcnt vmcnt(8)
	v_pk_fma_f32 v[66:67], v[68:69], v[84:85], v[64:65] op_sel:[0,0,1] op_sel_hi:[1,1,0] neg_lo:[0,0,1] neg_hi:[0,0,1]
	v_pk_fma_f32 v[64:65], v[68:69], v[84:85], v[64:65] op_sel:[0,0,1] op_sel_hi:[1,0,0]
	v_pk_add_f32 v[60:61], v[60:61], v[100:101]
	v_mov_b32_e32 v115, v63
	v_pk_mul_f32 v[104:105], v[72:73], v[108:109] op_sel_hi:[1,0]
	s_waitcnt vmcnt(7)
	v_pk_fma_f32 v[68:69], v[70:71], v[86:87], v[102:103] op_sel:[0,0,1] op_sel_hi:[1,1,0] neg_lo:[0,0,1] neg_hi:[0,0,1]
	v_pk_fma_f32 v[70:71], v[70:71], v[86:87], v[102:103] op_sel:[0,0,1] op_sel_hi:[1,0,0]
	v_mov_b32_e32 v67, v65
	v_pk_add_f32 v[60:61], v[60:61], v[114:115]
	v_mov_b32_e32 v112, v93
	s_waitcnt vmcnt(6)
	v_pk_fma_f32 v[82:83], v[72:73], v[88:89], v[104:105] op_sel:[0,0,1] op_sel_hi:[1,1,0] neg_lo:[0,0,1] neg_hi:[0,0,1]
	v_pk_fma_f32 v[72:73], v[72:73], v[88:89], v[104:105] op_sel:[0,0,1] op_sel_hi:[1,0,0]
	v_mov_b32_e32 v69, v71
	v_pk_add_f32 v[60:61], v[60:61], v[66:67]
	v_pk_mul_f32 v[108:109], v[76:77], v[112:113] op_sel_hi:[1,0]
	s_waitcnt vmcnt(5)
	v_pk_fma_f32 v[84:85], v[74:75], v[90:91], v[106:107] op_sel:[0,0,1] op_sel_hi:[1,1,0] neg_lo:[0,0,1] neg_hi:[0,0,1]
	v_pk_fma_f32 v[74:75], v[74:75], v[90:91], v[106:107] op_sel:[0,0,1] op_sel_hi:[1,0,0]
	v_mov_b32_e32 v83, v73
	v_pk_add_f32 v[60:61], v[60:61], v[68:69]
	v_mov_b32_e32 v116, v97
	s_waitcnt vmcnt(2)
	v_pk_fma_f32 v[86:87], v[76:77], v[92:93], v[108:109] op_sel:[0,0,1] op_sel_hi:[1,1,0] neg_lo:[0,0,1] neg_hi:[0,0,1]
	v_pk_fma_f32 v[76:77], v[76:77], v[92:93], v[108:109] op_sel:[0,0,1] op_sel_hi:[1,0,0]
	v_mov_b32_e32 v85, v75
	v_pk_add_f32 v[60:61], v[60:61], v[82:83]
	v_pk_mul_f32 v[112:113], v[80:81], v[116:117] op_sel_hi:[1,0]
	v_pk_fma_f32 v[88:89], v[78:79], v[94:95], v[110:111] op_sel:[0,0,1] op_sel_hi:[1,1,0] neg_lo:[0,0,1] neg_hi:[0,0,1]
	v_pk_fma_f32 v[78:79], v[78:79], v[94:95], v[110:111] op_sel:[0,0,1] op_sel_hi:[1,0,0]
	v_mov_b32_e32 v87, v77
	v_pk_add_f32 v[60:61], v[60:61], v[84:85]
	v_pk_fma_f32 v[90:91], v[80:81], v[96:97], v[112:113] op_sel:[0,0,1] op_sel_hi:[1,1,0] neg_lo:[0,0,1] neg_hi:[0,0,1]
	v_pk_fma_f32 v[80:81], v[80:81], v[96:97], v[112:113] op_sel:[0,0,1] op_sel_hi:[1,0,0]
	v_mov_b32_e32 v89, v79
	v_pk_add_f32 v[60:61], v[60:61], v[86:87]
	v_mov_b32_e32 v91, v81
	v_pk_add_f32 v[60:61], v[60:61], v[88:89]
	v_pk_add_f32 v[60:61], v[60:61], v[90:91]
	s_waitcnt vmcnt(0)
	v_pk_add_f32 v[60:61], v[98:99], v[60:61] neg_lo:[0,1] neg_hi:[0,1]
	buffer_store_dword v60, off, s[0:3], 0 offset:144
	buffer_store_dword v61, off, s[0:3], 0 offset:148
	s_and_saveexec_b64 s[4:5], vcc
	s_cbranch_execz .LBB92_153
; %bb.152:
	buffer_load_dword v60, off, s[0:3], 0 offset:136
	buffer_load_dword v61, off, s[0:3], 0 offset:140
	v_mov_b32_e32 v62, 0
	buffer_store_dword v62, off, s[0:3], 0 offset:136
	buffer_store_dword v62, off, s[0:3], 0 offset:140
	s_waitcnt vmcnt(2)
	ds_write_b64 v1, v[60:61]
.LBB92_153:
	s_or_b64 exec, exec, s[4:5]
	s_waitcnt lgkmcnt(0)
	; wave barrier
	s_waitcnt lgkmcnt(0)
	buffer_load_dword v61, off, s[0:3], 0 offset:148
	buffer_load_dword v102, off, s[0:3], 0 offset:156
	;; [unrolled: 1-line block ×24, first 2 shown]
	v_mov_b32_e32 v60, 0
	ds_read_b128 v[62:65], v60 offset:384
	ds_read_b128 v[66:69], v60 offset:400
	;; [unrolled: 1-line block ×5, first 2 shown]
	ds_read_b64 v[100:101], v60 offset:464
	v_cmp_lt_u32_e32 vcc, 16, v0
	s_waitcnt vmcnt(23) lgkmcnt(5)
	v_mul_f32_e32 v115, v62, v61
	v_mul_f32_e32 v61, v63, v61
	s_waitcnt vmcnt(22)
	v_mul_f32_e32 v103, v64, v102
	s_waitcnt vmcnt(21) lgkmcnt(4)
	v_mul_f32_e32 v105, v66, v104
	v_mul_f32_e32 v102, v65, v102
	;; [unrolled: 1-line block ×3, first 2 shown]
	s_waitcnt vmcnt(20)
	v_mov_b32_e32 v106, v83
	s_waitcnt vmcnt(19)
	v_mov_b32_e32 v108, v85
	;; [unrolled: 2-line block ×5, first 2 shown]
	s_waitcnt vmcnt(12)
	v_fmac_f32_e32 v115, v63, v107
	v_fma_f32 v61, v62, v107, -v61
	v_mov_b32_e32 v116, v93
	s_waitcnt vmcnt(11)
	v_fmac_f32_e32 v103, v65, v109
	s_waitcnt vmcnt(10)
	v_fmac_f32_e32 v105, v67, v111
	v_fma_f32 v102, v64, v109, -v102
	v_fma_f32 v104, v66, v111, -v104
	v_pk_mul_f32 v[62:63], v[68:69], v[106:107] op_sel_hi:[1,0]
	s_waitcnt lgkmcnt(3)
	v_pk_mul_f32 v[64:65], v[70:71], v[108:109] op_sel_hi:[1,0]
	v_pk_mul_f32 v[66:67], v[72:73], v[110:111] op_sel_hi:[1,0]
	s_waitcnt lgkmcnt(2)
	v_pk_mul_f32 v[106:107], v[74:75], v[112:113] op_sel_hi:[1,0]
	v_pk_mul_f32 v[108:109], v[76:77], v[114:115] op_sel_hi:[1,0]
	v_add_f32_e32 v115, 0, v115
	v_add_f32_e32 v114, 0, v61
	s_waitcnt lgkmcnt(1)
	v_pk_mul_f32 v[110:111], v[78:79], v[116:117] op_sel_hi:[1,0]
	s_waitcnt vmcnt(9)
	v_pk_fma_f32 v[116:117], v[68:69], v[82:83], v[62:63] op_sel:[0,0,1] op_sel_hi:[1,1,0] neg_lo:[0,0,1] neg_hi:[0,0,1]
	v_pk_fma_f32 v[62:63], v[68:69], v[82:83], v[62:63] op_sel:[0,0,1] op_sel_hi:[1,0,0]
	s_waitcnt vmcnt(8)
	v_pk_fma_f32 v[68:69], v[70:71], v[84:85], v[64:65] op_sel:[0,0,1] op_sel_hi:[1,1,0] neg_lo:[0,0,1] neg_hi:[0,0,1]
	v_pk_fma_f32 v[64:65], v[70:71], v[84:85], v[64:65] op_sel:[0,0,1] op_sel_hi:[1,0,0]
	;; [unrolled: 3-line block ×4, first 2 shown]
	v_pk_add_f32 v[88:89], v[114:115], v[102:103]
	v_mov_b32_e32 v117, v63
	v_pk_add_f32 v[62:63], v[88:89], v[104:105]
	v_mov_b32_e32 v69, v65
	;; [unrolled: 2-line block ×4, first 2 shown]
	s_waitcnt vmcnt(2)
	v_pk_fma_f32 v[82:83], v[76:77], v[90:91], v[108:109] op_sel:[0,0,1] op_sel_hi:[1,1,0] neg_lo:[0,0,1] neg_hi:[0,0,1]
	v_pk_fma_f32 v[76:77], v[76:77], v[90:91], v[108:109] op_sel:[0,0,1] op_sel_hi:[1,0,0]
	v_mov_b32_e32 v73, v75
	v_pk_add_f32 v[62:63], v[62:63], v[70:71]
	v_mov_b32_e32 v120, v97
	v_pk_mul_f32 v[112:113], v[80:81], v[118:119] op_sel_hi:[1,0]
	v_pk_fma_f32 v[84:85], v[78:79], v[92:93], v[110:111] op_sel:[0,0,1] op_sel_hi:[1,1,0] neg_lo:[0,0,1] neg_hi:[0,0,1]
	v_pk_fma_f32 v[78:79], v[78:79], v[92:93], v[110:111] op_sel:[0,0,1] op_sel_hi:[1,0,0]
	v_mov_b32_e32 v83, v77
	v_pk_add_f32 v[62:63], v[62:63], v[72:73]
	v_pk_fma_f32 v[86:87], v[80:81], v[94:95], v[112:113] op_sel:[0,0,1] op_sel_hi:[1,1,0] neg_lo:[0,0,1] neg_hi:[0,0,1]
	v_pk_fma_f32 v[80:81], v[80:81], v[94:95], v[112:113] op_sel:[0,0,1] op_sel_hi:[1,0,0]
	v_mov_b32_e32 v85, v79
	v_pk_add_f32 v[62:63], v[62:63], v[82:83]
	s_waitcnt lgkmcnt(0)
	v_pk_mul_f32 v[64:65], v[100:101], v[120:121] op_sel_hi:[1,0]
	v_mov_b32_e32 v87, v81
	v_pk_add_f32 v[62:63], v[62:63], v[84:85]
	v_pk_fma_f32 v[66:67], v[100:101], v[96:97], v[64:65] op_sel:[0,0,1] op_sel_hi:[1,1,0] neg_lo:[0,0,1] neg_hi:[0,0,1]
	v_pk_fma_f32 v[64:65], v[100:101], v[96:97], v[64:65] op_sel:[0,0,1] op_sel_hi:[1,0,0]
	v_pk_add_f32 v[62:63], v[62:63], v[86:87]
	v_mov_b32_e32 v67, v65
	v_pk_add_f32 v[62:63], v[62:63], v[66:67]
	s_waitcnt vmcnt(0)
	v_pk_add_f32 v[62:63], v[98:99], v[62:63] neg_lo:[0,1] neg_hi:[0,1]
	buffer_store_dword v63, off, s[0:3], 0 offset:140
	buffer_store_dword v62, off, s[0:3], 0 offset:136
	s_and_saveexec_b64 s[4:5], vcc
	s_cbranch_execz .LBB92_155
; %bb.154:
	buffer_load_dword v62, off, s[0:3], 0 offset:128
	buffer_load_dword v63, off, s[0:3], 0 offset:132
	s_waitcnt vmcnt(0)
	ds_write_b64 v1, v[62:63]
	buffer_store_dword v60, off, s[0:3], 0 offset:128
	buffer_store_dword v60, off, s[0:3], 0 offset:132
.LBB92_155:
	s_or_b64 exec, exec, s[4:5]
	s_waitcnt lgkmcnt(0)
	; wave barrier
	s_waitcnt lgkmcnt(0)
	buffer_load_dword v104, off, s[0:3], 0 offset:140
	buffer_load_dword v106, off, s[0:3], 0 offset:148
	;; [unrolled: 1-line block ×26, first 2 shown]
	ds_read2_b64 v[62:65], v60 offset0:47 offset1:48
	ds_read2_b64 v[66:69], v60 offset0:49 offset1:50
	;; [unrolled: 1-line block ×6, first 2 shown]
	v_cmp_lt_u32_e32 vcc, 15, v0
	s_waitcnt vmcnt(25) lgkmcnt(5)
	v_mul_f32_e32 v117, v62, v104
	v_mul_f32_e32 v60, v63, v104
	s_waitcnt vmcnt(24)
	v_mul_f32_e32 v118, v64, v106
	s_waitcnt vmcnt(23) lgkmcnt(4)
	v_mul_f32_e32 v61, v66, v107
	s_waitcnt vmcnt(22)
	v_mul_f32_e32 v105, v68, v108
	v_mul_f32_e32 v104, v65, v106
	;; [unrolled: 1-line block ×4, first 2 shown]
	s_waitcnt vmcnt(21)
	v_mov_b32_e32 v106, v87
	s_waitcnt vmcnt(20)
	v_mov_b32_e32 v108, v89
	;; [unrolled: 2-line block ×3, first 2 shown]
	s_waitcnt vmcnt(15)
	v_fmac_f32_e32 v117, v63, v109
	v_fma_f32 v120, v62, v109, -v60
	v_mov_b32_e32 v110, v91
	s_waitcnt vmcnt(14)
	v_fmac_f32_e32 v118, v65, v111
	s_waitcnt vmcnt(13)
	v_fmac_f32_e32 v61, v67, v113
	;; [unrolled: 2-line block ×3, first 2 shown]
	v_fma_f32 v121, v64, v111, -v104
	v_fma_f32 v60, v66, v113, -v107
	;; [unrolled: 1-line block ×3, first 2 shown]
	s_waitcnt lgkmcnt(3)
	v_pk_mul_f32 v[62:63], v[70:71], v[106:107] op_sel_hi:[1,0]
	v_pk_mul_f32 v[64:65], v[72:73], v[108:109] op_sel_hi:[1,0]
	s_waitcnt lgkmcnt(2)
	v_pk_mul_f32 v[68:69], v[76:77], v[112:113] op_sel_hi:[1,0]
	v_add_f32_e32 v112, 0, v117
	v_add_f32_e32 v113, 0, v120
	v_pk_mul_f32 v[66:67], v[74:75], v[110:111] op_sel_hi:[1,0]
	s_waitcnt vmcnt(11)
	v_pk_fma_f32 v[110:111], v[70:71], v[86:87], v[62:63] op_sel:[0,0,1] op_sel_hi:[1,1,0] neg_lo:[0,0,1] neg_hi:[0,0,1]
	v_pk_fma_f32 v[62:63], v[70:71], v[86:87], v[62:63] op_sel:[0,0,1] op_sel_hi:[1,0,0]
	s_waitcnt vmcnt(10)
	v_pk_fma_f32 v[70:71], v[72:73], v[88:89], v[64:65] op_sel:[0,0,1] op_sel_hi:[1,1,0] neg_lo:[0,0,1] neg_hi:[0,0,1]
	v_pk_fma_f32 v[64:65], v[72:73], v[88:89], v[64:65] op_sel:[0,0,1] op_sel_hi:[1,0,0]
	v_add_f32_e32 v89, v112, v118
	v_add_f32_e32 v88, v113, v121
	v_pk_add_f32 v[60:61], v[88:89], v[60:61]
	v_mov_b32_e32 v111, v63
	v_pk_add_f32 v[60:61], v[60:61], v[104:105]
	v_mov_b32_e32 v114, v95
	s_waitcnt vmcnt(9)
	v_pk_fma_f32 v[72:73], v[74:75], v[90:91], v[66:67] op_sel:[0,0,1] op_sel_hi:[1,1,0] neg_lo:[0,0,1] neg_hi:[0,0,1]
	v_pk_fma_f32 v[66:67], v[74:75], v[90:91], v[66:67] op_sel:[0,0,1] op_sel_hi:[1,0,0]
	v_mov_b32_e32 v71, v65
	v_pk_add_f32 v[60:61], v[60:61], v[110:111]
	v_mov_b32_e32 v116, v97
	s_waitcnt lgkmcnt(1)
	v_pk_mul_f32 v[106:107], v[78:79], v[114:115] op_sel_hi:[1,0]
	s_waitcnt vmcnt(5)
	v_pk_fma_f32 v[74:75], v[76:77], v[92:93], v[68:69] op_sel:[0,0,1] op_sel_hi:[1,1,0] neg_lo:[0,0,1] neg_hi:[0,0,1]
	v_pk_fma_f32 v[68:69], v[76:77], v[92:93], v[68:69] op_sel:[0,0,1] op_sel_hi:[1,0,0]
	v_mov_b32_e32 v73, v67
	v_pk_add_f32 v[60:61], v[60:61], v[70:71]
	s_waitcnt vmcnt(4)
	v_mov_b32_e32 v62, v99
	v_pk_mul_f32 v[108:109], v[80:81], v[116:117] op_sel_hi:[1,0]
	v_pk_fma_f32 v[76:77], v[78:79], v[94:95], v[106:107] op_sel:[0,0,1] op_sel_hi:[1,1,0] neg_lo:[0,0,1] neg_hi:[0,0,1]
	v_pk_fma_f32 v[78:79], v[78:79], v[94:95], v[106:107] op_sel:[0,0,1] op_sel_hi:[1,0,0]
	v_mov_b32_e32 v75, v69
	v_pk_add_f32 v[60:61], v[60:61], v[72:73]
	s_waitcnt lgkmcnt(0)
	v_pk_mul_f32 v[62:63], v[82:83], v[62:63] op_sel_hi:[1,0]
	v_pk_fma_f32 v[86:87], v[80:81], v[96:97], v[108:109] op_sel:[0,0,1] op_sel_hi:[1,1,0] neg_lo:[0,0,1] neg_hi:[0,0,1]
	v_pk_fma_f32 v[80:81], v[80:81], v[96:97], v[108:109] op_sel:[0,0,1] op_sel_hi:[1,0,0]
	v_mov_b32_e32 v77, v79
	v_pk_add_f32 v[60:61], v[60:61], v[74:75]
	v_pk_fma_f32 v[64:65], v[82:83], v[98:99], v[62:63] op_sel:[0,0,1] op_sel_hi:[1,1,0] neg_lo:[0,0,1] neg_hi:[0,0,1]
	v_pk_fma_f32 v[62:63], v[82:83], v[98:99], v[62:63] op_sel:[0,0,1] op_sel_hi:[1,0,0]
	v_mov_b32_e32 v87, v81
	v_pk_add_f32 v[60:61], v[60:61], v[76:77]
	s_waitcnt vmcnt(3)
	v_mov_b32_e32 v62, v101
	v_pk_add_f32 v[60:61], v[60:61], v[86:87]
	v_mov_b32_e32 v65, v63
	v_pk_mul_f32 v[62:63], v[84:85], v[62:63] op_sel_hi:[1,0]
	v_pk_add_f32 v[60:61], v[60:61], v[64:65]
	s_waitcnt vmcnt(2)
	v_pk_fma_f32 v[64:65], v[84:85], v[100:101], v[62:63] op_sel:[0,0,1] op_sel_hi:[1,1,0] neg_lo:[0,0,1] neg_hi:[0,0,1]
	v_pk_fma_f32 v[62:63], v[84:85], v[100:101], v[62:63] op_sel:[0,0,1] op_sel_hi:[1,0,0]
	v_mov_b32_e32 v65, v63
	v_pk_add_f32 v[60:61], v[60:61], v[64:65]
	s_waitcnt vmcnt(0)
	v_pk_add_f32 v[60:61], v[102:103], v[60:61] neg_lo:[0,1] neg_hi:[0,1]
	buffer_store_dword v61, off, s[0:3], 0 offset:132
	buffer_store_dword v60, off, s[0:3], 0 offset:128
	s_and_saveexec_b64 s[4:5], vcc
	s_cbranch_execz .LBB92_157
; %bb.156:
	buffer_load_dword v60, off, s[0:3], 0 offset:120
	buffer_load_dword v61, off, s[0:3], 0 offset:124
	v_mov_b32_e32 v62, 0
	buffer_store_dword v62, off, s[0:3], 0 offset:120
	buffer_store_dword v62, off, s[0:3], 0 offset:124
	s_waitcnt vmcnt(2)
	ds_write_b64 v1, v[60:61]
.LBB92_157:
	s_or_b64 exec, exec, s[4:5]
	s_waitcnt lgkmcnt(0)
	; wave barrier
	s_waitcnt lgkmcnt(0)
	buffer_load_dword v61, off, s[0:3], 0 offset:132
	buffer_load_dword v106, off, s[0:3], 0 offset:140
	;; [unrolled: 1-line block ×28, first 2 shown]
	v_mov_b32_e32 v60, 0
	ds_read_b128 v[62:65], v60 offset:368
	ds_read_b128 v[66:69], v60 offset:384
	;; [unrolled: 1-line block ×6, first 2 shown]
	ds_read_b64 v[104:105], v60 offset:464
	v_cmp_lt_u32_e32 vcc, 14, v0
	s_waitcnt vmcnt(27) lgkmcnt(6)
	v_mul_f32_e32 v121, v62, v61
	v_mul_f32_e32 v61, v63, v61
	s_waitcnt vmcnt(26)
	v_mul_f32_e32 v122, v64, v106
	s_waitcnt vmcnt(24) lgkmcnt(5)
	v_mul_f32_e32 v107, v68, v110
	s_waitcnt vmcnt(23) lgkmcnt(4)
	v_mul_f32_e32 v109, v70, v111
	v_mul_f32_e32 v124, v69, v110
	;; [unrolled: 1-line block ×3, first 2 shown]
	s_waitcnt vmcnt(22)
	v_mov_b32_e32 v110, v87
	v_mul_f32_e32 v123, v66, v108
	v_mul_f32_e32 v106, v65, v106
	;; [unrolled: 1-line block ×3, first 2 shown]
	s_waitcnt vmcnt(17)
	v_fmac_f32_e32 v121, v63, v113
	v_fma_f32 v61, v62, v113, -v61
	v_pk_mul_f32 v[62:63], v[72:73], v[110:111] op_sel_hi:[1,0]
	s_waitcnt vmcnt(16)
	v_fmac_f32_e32 v122, v65, v115
	s_waitcnt vmcnt(13)
	v_fmac_f32_e32 v109, v71, v120
	v_fma_f32 v113, v64, v115, -v106
	v_fma_f32 v115, v66, v117, -v108
	v_fma_f32 v108, v70, v120, -v111
	v_add_f32_e32 v110, 0, v121
	v_add_f32_e32 v61, 0, v61
	s_waitcnt vmcnt(12)
	v_pk_fma_f32 v[70:71], v[72:73], v[86:87], v[62:63] op_sel:[0,0,1] op_sel_hi:[1,1,0] neg_lo:[0,0,1] neg_hi:[0,0,1]
	v_pk_fma_f32 v[62:63], v[72:73], v[86:87], v[62:63] op_sel:[0,0,1] op_sel_hi:[1,0,0]
	v_fmac_f32_e32 v123, v67, v117
	v_add_f32_e32 v62, v110, v122
	v_add_f32_e32 v61, v61, v113
	v_mov_b32_e32 v112, v89
	v_fmac_f32_e32 v107, v69, v119
	v_fma_f32 v106, v68, v119, -v124
	v_mov_b32_e32 v71, v63
	v_add_f32_e32 v63, v62, v123
	v_add_f32_e32 v62, v61, v115
	v_mov_b32_e32 v114, v91
	s_waitcnt lgkmcnt(3)
	v_pk_mul_f32 v[64:65], v[74:75], v[112:113] op_sel_hi:[1,0]
	v_pk_add_f32 v[62:63], v[62:63], v[106:107]
	v_mov_b32_e32 v116, v93
	v_mov_b32_e32 v118, v95
	v_pk_mul_f32 v[66:67], v[76:77], v[114:115] op_sel_hi:[1,0]
	s_waitcnt vmcnt(11)
	v_pk_fma_f32 v[72:73], v[74:75], v[88:89], v[64:65] op_sel:[0,0,1] op_sel_hi:[1,1,0] neg_lo:[0,0,1] neg_hi:[0,0,1]
	v_pk_fma_f32 v[64:65], v[74:75], v[88:89], v[64:65] op_sel:[0,0,1] op_sel_hi:[1,0,0]
	v_pk_add_f32 v[62:63], v[62:63], v[108:109]
	s_waitcnt lgkmcnt(2)
	v_pk_mul_f32 v[68:69], v[78:79], v[116:117] op_sel_hi:[1,0]
	s_waitcnt vmcnt(7)
	v_pk_fma_f32 v[74:75], v[76:77], v[90:91], v[66:67] op_sel:[0,0,1] op_sel_hi:[1,1,0] neg_lo:[0,0,1] neg_hi:[0,0,1]
	v_pk_fma_f32 v[66:67], v[76:77], v[90:91], v[66:67] op_sel:[0,0,1] op_sel_hi:[1,0,0]
	v_mov_b32_e32 v73, v65
	v_pk_add_f32 v[62:63], v[62:63], v[70:71]
	v_pk_mul_f32 v[64:65], v[80:81], v[118:119] op_sel_hi:[1,0]
	v_pk_fma_f32 v[76:77], v[78:79], v[92:93], v[68:69] op_sel:[0,0,1] op_sel_hi:[1,1,0] neg_lo:[0,0,1] neg_hi:[0,0,1]
	v_pk_fma_f32 v[68:69], v[78:79], v[92:93], v[68:69] op_sel:[0,0,1] op_sel_hi:[1,0,0]
	v_mov_b32_e32 v75, v67
	v_pk_add_f32 v[62:63], v[62:63], v[72:73]
	v_pk_fma_f32 v[66:67], v[80:81], v[94:95], v[64:65] op_sel:[0,0,1] op_sel_hi:[1,1,0] neg_lo:[0,0,1] neg_hi:[0,0,1]
	v_pk_fma_f32 v[64:65], v[80:81], v[94:95], v[64:65] op_sel:[0,0,1] op_sel_hi:[1,0,0]
	v_mov_b32_e32 v77, v69
	v_pk_add_f32 v[62:63], v[62:63], v[74:75]
	s_waitcnt vmcnt(6)
	v_mov_b32_e32 v64, v97
	v_pk_add_f32 v[62:63], v[62:63], v[76:77]
	v_mov_b32_e32 v67, v65
	s_waitcnt lgkmcnt(1)
	v_pk_mul_f32 v[64:65], v[82:83], v[64:65] op_sel_hi:[1,0]
	v_pk_add_f32 v[62:63], v[62:63], v[66:67]
	v_pk_fma_f32 v[66:67], v[82:83], v[96:97], v[64:65] op_sel:[0,0,1] op_sel_hi:[1,1,0] neg_lo:[0,0,1] neg_hi:[0,0,1]
	v_pk_fma_f32 v[64:65], v[82:83], v[96:97], v[64:65] op_sel:[0,0,1] op_sel_hi:[1,0,0]
	s_waitcnt vmcnt(5)
	v_mov_b32_e32 v64, v99
	v_mov_b32_e32 v67, v65
	v_pk_mul_f32 v[64:65], v[84:85], v[64:65] op_sel_hi:[1,0]
	v_pk_add_f32 v[62:63], v[62:63], v[66:67]
	s_waitcnt vmcnt(3)
	v_pk_fma_f32 v[66:67], v[84:85], v[98:99], v[64:65] op_sel:[0,0,1] op_sel_hi:[1,1,0] neg_lo:[0,0,1] neg_hi:[0,0,1]
	v_pk_fma_f32 v[64:65], v[84:85], v[98:99], v[64:65] op_sel:[0,0,1] op_sel_hi:[1,0,0]
	s_waitcnt vmcnt(2)
	v_mov_b32_e32 v64, v101
	v_mov_b32_e32 v67, v65
	s_waitcnt lgkmcnt(0)
	v_pk_mul_f32 v[64:65], v[104:105], v[64:65] op_sel_hi:[1,0]
	v_pk_add_f32 v[62:63], v[62:63], v[66:67]
	v_pk_fma_f32 v[66:67], v[104:105], v[100:101], v[64:65] op_sel:[0,0,1] op_sel_hi:[1,1,0] neg_lo:[0,0,1] neg_hi:[0,0,1]
	v_pk_fma_f32 v[64:65], v[104:105], v[100:101], v[64:65] op_sel:[0,0,1] op_sel_hi:[1,0,0]
	v_mov_b32_e32 v67, v65
	v_pk_add_f32 v[62:63], v[62:63], v[66:67]
	s_waitcnt vmcnt(0)
	v_pk_add_f32 v[62:63], v[102:103], v[62:63] neg_lo:[0,1] neg_hi:[0,1]
	buffer_store_dword v63, off, s[0:3], 0 offset:124
	buffer_store_dword v62, off, s[0:3], 0 offset:120
	s_and_saveexec_b64 s[4:5], vcc
	s_cbranch_execz .LBB92_159
; %bb.158:
	buffer_load_dword v62, off, s[0:3], 0 offset:112
	buffer_load_dword v63, off, s[0:3], 0 offset:116
	s_waitcnt vmcnt(0)
	ds_write_b64 v1, v[62:63]
	buffer_store_dword v60, off, s[0:3], 0 offset:112
	buffer_store_dword v60, off, s[0:3], 0 offset:116
.LBB92_159:
	s_or_b64 exec, exec, s[4:5]
	s_waitcnt lgkmcnt(0)
	; wave barrier
	s_waitcnt lgkmcnt(0)
	buffer_load_dword v108, off, s[0:3], 0 offset:124
	buffer_load_dword v110, off, s[0:3], 0 offset:132
	;; [unrolled: 1-line block ×30, first 2 shown]
	ds_read2_b64 v[62:65], v60 offset0:45 offset1:46
	ds_read2_b64 v[66:69], v60 offset0:47 offset1:48
	;; [unrolled: 1-line block ×7, first 2 shown]
	v_cmp_lt_u32_e32 vcc, 13, v0
	s_waitcnt vmcnt(29) lgkmcnt(6)
	v_mul_f32_e32 v121, v62, v108
	s_waitcnt vmcnt(28)
	v_mul_f32_e32 v122, v64, v110
	s_waitcnt vmcnt(27) lgkmcnt(5)
	v_mul_f32_e32 v123, v66, v111
	v_mul_f32_e32 v111, v67, v111
	s_waitcnt vmcnt(26)
	v_mul_f32_e32 v124, v68, v112
	s_waitcnt vmcnt(25) lgkmcnt(4)
	v_mul_f32_e32 v61, v70, v113
	v_mul_f32_e32 v60, v63, v108
	;; [unrolled: 1-line block ×5, first 2 shown]
	s_waitcnt vmcnt(23)
	v_mov_b32_e32 v110, v91
	s_waitcnt vmcnt(22)
	v_mov_b32_e32 v112, v93
	s_waitcnt vmcnt(18)
	v_fma_f32 v111, v66, v117, -v111
	v_fmac_f32_e32 v121, v63, v115
	v_fmac_f32_e32 v122, v65, v116
	s_waitcnt vmcnt(17)
	v_fmac_f32_e32 v124, v69, v118
	v_fma_f32 v69, v62, v115, -v60
	v_fma_f32 v115, v64, v116, -v108
	s_waitcnt lgkmcnt(3)
	v_pk_mul_f32 v[62:63], v[74:75], v[110:111] op_sel_hi:[1,0]
	v_pk_mul_f32 v[64:65], v[76:77], v[112:113] op_sel_hi:[1,0]
	s_waitcnt vmcnt(16)
	v_fmac_f32_e32 v61, v71, v119
	v_fma_f32 v116, v68, v118, -v125
	v_fma_f32 v60, v70, v119, -v113
	v_add_f32_e32 v110, 0, v121
	v_add_f32_e32 v112, 0, v69
	s_waitcnt vmcnt(14)
	v_pk_fma_f32 v[68:69], v[74:75], v[90:91], v[62:63] op_sel:[0,0,1] op_sel_hi:[1,1,0] neg_lo:[0,0,1] neg_hi:[0,0,1]
	v_pk_fma_f32 v[62:63], v[74:75], v[90:91], v[62:63] op_sel:[0,0,1] op_sel_hi:[1,0,0]
	s_waitcnt vmcnt(10)
	v_pk_fma_f32 v[70:71], v[76:77], v[92:93], v[64:65] op_sel:[0,0,1] op_sel_hi:[1,1,0] neg_lo:[0,0,1] neg_hi:[0,0,1]
	v_pk_fma_f32 v[64:65], v[76:77], v[92:93], v[64:65] op_sel:[0,0,1] op_sel_hi:[1,0,0]
	v_fmac_f32_e32 v123, v67, v117
	v_add_f32_e32 v62, v110, v122
	v_add_f32_e32 v64, v112, v115
	;; [unrolled: 1-line block ×4, first 2 shown]
	v_mul_f32_e32 v109, v72, v114
	v_mul_f32_e32 v126, v73, v114
	v_mov_b32_e32 v69, v63
	v_add_f32_e32 v63, v62, v124
	v_add_f32_e32 v62, v64, v116
	v_mov_b32_e32 v114, v95
	v_fmac_f32_e32 v109, v73, v120
	v_fma_f32 v108, v72, v120, -v126
	v_pk_add_f32 v[60:61], v[62:63], v[60:61]
	s_waitcnt vmcnt(9)
	v_mov_b32_e32 v62, v99
	s_waitcnt lgkmcnt(2)
	v_pk_mul_f32 v[66:67], v[78:79], v[114:115] op_sel_hi:[1,0]
	v_pk_add_f32 v[60:61], v[60:61], v[108:109]
	v_pk_mul_f32 v[62:63], v[80:81], v[62:63] op_sel_hi:[1,0]
	v_pk_fma_f32 v[72:73], v[78:79], v[94:95], v[66:67] op_sel:[0,0,1] op_sel_hi:[1,1,0] neg_lo:[0,0,1] neg_hi:[0,0,1]
	v_pk_fma_f32 v[66:67], v[78:79], v[94:95], v[66:67] op_sel:[0,0,1] op_sel_hi:[1,0,0]
	v_mov_b32_e32 v71, v65
	v_pk_add_f32 v[60:61], v[60:61], v[68:69]
	v_pk_fma_f32 v[64:65], v[80:81], v[98:99], v[62:63] op_sel:[0,0,1] op_sel_hi:[1,1,0] neg_lo:[0,0,1] neg_hi:[0,0,1]
	v_pk_fma_f32 v[62:63], v[80:81], v[98:99], v[62:63] op_sel:[0,0,1] op_sel_hi:[1,0,0]
	v_mov_b32_e32 v73, v67
	v_pk_add_f32 v[60:61], v[60:61], v[70:71]
	s_waitcnt vmcnt(8)
	v_mov_b32_e32 v62, v97
	v_pk_add_f32 v[60:61], v[60:61], v[72:73]
	v_mov_b32_e32 v65, v63
	s_waitcnt lgkmcnt(1)
	v_pk_mul_f32 v[62:63], v[82:83], v[62:63] op_sel_hi:[1,0]
	v_pk_add_f32 v[60:61], v[60:61], v[64:65]
	v_pk_fma_f32 v[64:65], v[82:83], v[96:97], v[62:63] op_sel:[0,0,1] op_sel_hi:[1,1,0] neg_lo:[0,0,1] neg_hi:[0,0,1]
	v_pk_fma_f32 v[62:63], v[82:83], v[96:97], v[62:63] op_sel:[0,0,1] op_sel_hi:[1,0,0]
	s_waitcnt vmcnt(7)
	v_mov_b32_e32 v62, v101
	v_mov_b32_e32 v65, v63
	v_pk_mul_f32 v[62:63], v[84:85], v[62:63] op_sel_hi:[1,0]
	v_pk_add_f32 v[60:61], v[60:61], v[64:65]
	s_waitcnt vmcnt(4)
	v_pk_fma_f32 v[64:65], v[84:85], v[100:101], v[62:63] op_sel:[0,0,1] op_sel_hi:[1,1,0] neg_lo:[0,0,1] neg_hi:[0,0,1]
	v_pk_fma_f32 v[62:63], v[84:85], v[100:101], v[62:63] op_sel:[0,0,1] op_sel_hi:[1,0,0]
	s_waitcnt vmcnt(3)
	v_mov_b32_e32 v62, v105
	v_mov_b32_e32 v65, v63
	s_waitcnt lgkmcnt(0)
	v_pk_mul_f32 v[62:63], v[86:87], v[62:63] op_sel_hi:[1,0]
	v_pk_add_f32 v[60:61], v[60:61], v[64:65]
	v_pk_fma_f32 v[64:65], v[86:87], v[104:105], v[62:63] op_sel:[0,0,1] op_sel_hi:[1,1,0] neg_lo:[0,0,1] neg_hi:[0,0,1]
	v_pk_fma_f32 v[62:63], v[86:87], v[104:105], v[62:63] op_sel:[0,0,1] op_sel_hi:[1,0,0]
	s_waitcnt vmcnt(0)
	v_mov_b32_e32 v62, v103
	v_mov_b32_e32 v65, v63
	v_pk_mul_f32 v[62:63], v[88:89], v[62:63] op_sel_hi:[1,0]
	v_pk_add_f32 v[60:61], v[60:61], v[64:65]
	v_pk_fma_f32 v[64:65], v[88:89], v[102:103], v[62:63] op_sel:[0,0,1] op_sel_hi:[1,1,0] neg_lo:[0,0,1] neg_hi:[0,0,1]
	v_pk_fma_f32 v[62:63], v[88:89], v[102:103], v[62:63] op_sel:[0,0,1] op_sel_hi:[1,0,0]
	v_mov_b32_e32 v65, v63
	v_pk_add_f32 v[60:61], v[60:61], v[64:65]
	v_pk_add_f32 v[60:61], v[106:107], v[60:61] neg_lo:[0,1] neg_hi:[0,1]
	buffer_store_dword v61, off, s[0:3], 0 offset:116
	buffer_store_dword v60, off, s[0:3], 0 offset:112
	s_and_saveexec_b64 s[4:5], vcc
	s_cbranch_execz .LBB92_161
; %bb.160:
	buffer_load_dword v60, off, s[0:3], 0 offset:104
	buffer_load_dword v61, off, s[0:3], 0 offset:108
	v_mov_b32_e32 v62, 0
	buffer_store_dword v62, off, s[0:3], 0 offset:104
	buffer_store_dword v62, off, s[0:3], 0 offset:108
	s_waitcnt vmcnt(2)
	ds_write_b64 v1, v[60:61]
.LBB92_161:
	s_or_b64 exec, exec, s[4:5]
	v_mov_b32_e32 v62, 0
	s_waitcnt lgkmcnt(0)
	; wave barrier
	s_waitcnt lgkmcnt(0)
	ds_read_b128 v[64:67], v62 offset:352
	ds_read_b128 v[68:71], v62 offset:368
	;; [unrolled: 1-line block ×4, first 2 shown]
	buffer_load_dword v60, off, s[0:3], 0 offset:104
	buffer_load_dword v61, off, s[0:3], 0 offset:108
	;; [unrolled: 1-line block ×32, first 2 shown]
	v_cmp_lt_u32_e32 vcc, 12, v0
	s_waitcnt vmcnt(28) lgkmcnt(3)
	v_mul_f32_e32 v81, v64, v80
	v_fmac_f32_e32 v81, v65, v63
	v_mul_f32_e32 v65, v65, v80
	s_waitcnt vmcnt(26)
	v_mul_f32_e32 v83, v66, v84
	v_fma_f32 v63, v64, v63, -v65
	v_mul_f32_e32 v64, v67, v84
	v_add_f32_e32 v81, 0, v81
	v_fmac_f32_e32 v83, v67, v82
	v_add_f32_e32 v63, 0, v63
	v_fma_f32 v64, v66, v82, -v64
	v_add_f32_e32 v81, v81, v83
	s_waitcnt vmcnt(24) lgkmcnt(2)
	v_mul_f32_e32 v83, v68, v103
	v_add_f32_e32 v63, v63, v64
	v_mul_f32_e32 v64, v69, v103
	v_fmac_f32_e32 v83, v69, v102
	v_fma_f32 v64, v68, v102, -v64
	v_add_f32_e32 v81, v81, v83
	s_waitcnt vmcnt(22)
	v_mul_f32_e32 v83, v70, v105
	v_add_f32_e32 v63, v63, v64
	v_mul_f32_e32 v64, v71, v105
	v_fmac_f32_e32 v83, v71, v104
	v_fma_f32 v64, v70, v104, -v64
	v_add_f32_e32 v81, v81, v83
	s_waitcnt vmcnt(20) lgkmcnt(1)
	v_mul_f32_e32 v83, v72, v107
	v_add_f32_e32 v63, v63, v64
	v_mul_f32_e32 v64, v73, v107
	v_fmac_f32_e32 v83, v73, v106
	v_fma_f32 v64, v72, v106, -v64
	v_add_f32_e32 v81, v81, v83
	s_waitcnt vmcnt(18)
	v_mul_f32_e32 v83, v74, v109
	v_add_f32_e32 v80, v63, v64
	v_mul_f32_e32 v63, v75, v109
	v_fmac_f32_e32 v83, v75, v108
	v_fma_f32 v82, v74, v108, -v63
	s_waitcnt vmcnt(16) lgkmcnt(0)
	v_mul_f32_e32 v85, v76, v111
	v_mul_f32_e32 v63, v77, v111
	v_pk_add_f32 v[80:81], v[80:81], v[82:83]
	s_waitcnt vmcnt(15)
	v_mov_b32_e32 v82, v87
	v_fmac_f32_e32 v85, v77, v110
	v_fma_f32 v84, v76, v110, -v63
	v_pk_mul_f32 v[82:83], v[78:79], v[82:83] op_sel_hi:[1,0]
	v_pk_add_f32 v[80:81], v[80:81], v[84:85]
	s_waitcnt vmcnt(14)
	v_pk_fma_f32 v[84:85], v[78:79], v[86:87], v[82:83] op_sel:[0,0,1] op_sel_hi:[1,1,0] neg_lo:[0,0,1] neg_hi:[0,0,1]
	v_pk_fma_f32 v[78:79], v[78:79], v[86:87], v[82:83] op_sel:[0,0,1] op_sel_hi:[1,0,0]
	ds_read_b128 v[64:67], v62 offset:416
	ds_read_b128 v[68:71], v62 offset:432
	;; [unrolled: 1-line block ×3, first 2 shown]
	ds_read_b64 v[76:77], v62 offset:464
	v_mov_b32_e32 v85, v79
	v_pk_add_f32 v[78:79], v[80:81], v[84:85]
	s_waitcnt vmcnt(13)
	v_mov_b32_e32 v80, v89
	s_waitcnt lgkmcnt(3)
	v_pk_mul_f32 v[80:81], v[64:65], v[80:81] op_sel_hi:[1,0]
	s_waitcnt vmcnt(12)
	v_pk_fma_f32 v[82:83], v[64:65], v[88:89], v[80:81] op_sel:[0,0,1] op_sel_hi:[1,1,0] neg_lo:[0,0,1] neg_hi:[0,0,1]
	v_pk_fma_f32 v[64:65], v[64:65], v[88:89], v[80:81] op_sel:[0,0,1] op_sel_hi:[1,0,0]
	v_mov_b32_e32 v83, v65
	v_pk_add_f32 v[64:65], v[78:79], v[82:83]
	s_waitcnt vmcnt(11)
	v_mov_b32_e32 v78, v91
	v_pk_mul_f32 v[78:79], v[66:67], v[78:79] op_sel_hi:[1,0]
	s_waitcnt vmcnt(10)
	v_pk_fma_f32 v[80:81], v[66:67], v[90:91], v[78:79] op_sel:[0,0,1] op_sel_hi:[1,1,0] neg_lo:[0,0,1] neg_hi:[0,0,1]
	v_pk_fma_f32 v[66:67], v[66:67], v[90:91], v[78:79] op_sel:[0,0,1] op_sel_hi:[1,0,0]
	s_waitcnt vmcnt(9)
	v_mov_b32_e32 v66, v93
	v_mov_b32_e32 v81, v67
	s_waitcnt lgkmcnt(2)
	v_pk_mul_f32 v[66:67], v[68:69], v[66:67] op_sel_hi:[1,0]
	s_waitcnt vmcnt(8)
	v_pk_fma_f32 v[78:79], v[68:69], v[92:93], v[66:67] op_sel:[0,0,1] op_sel_hi:[1,1,0] neg_lo:[0,0,1] neg_hi:[0,0,1]
	v_pk_fma_f32 v[66:67], v[68:69], v[92:93], v[66:67] op_sel:[0,0,1] op_sel_hi:[1,0,0]
	s_waitcnt vmcnt(7)
	v_mov_b32_e32 v66, v95
	v_mov_b32_e32 v79, v67
	v_pk_mul_f32 v[66:67], v[70:71], v[66:67] op_sel_hi:[1,0]
	s_waitcnt vmcnt(6)
	v_pk_fma_f32 v[68:69], v[70:71], v[94:95], v[66:67] op_sel:[0,0,1] op_sel_hi:[1,1,0] neg_lo:[0,0,1] neg_hi:[0,0,1]
	v_pk_fma_f32 v[66:67], v[70:71], v[94:95], v[66:67] op_sel:[0,0,1] op_sel_hi:[1,0,0]
	v_pk_add_f32 v[64:65], v[64:65], v[80:81]
	s_waitcnt vmcnt(5)
	v_mov_b32_e32 v66, v97
	v_pk_add_f32 v[64:65], v[64:65], v[78:79]
	v_mov_b32_e32 v69, v67
	s_waitcnt lgkmcnt(1)
	v_pk_mul_f32 v[66:67], v[72:73], v[66:67] op_sel_hi:[1,0]
	v_pk_add_f32 v[64:65], v[64:65], v[68:69]
	s_waitcnt vmcnt(4)
	v_pk_fma_f32 v[68:69], v[72:73], v[96:97], v[66:67] op_sel:[0,0,1] op_sel_hi:[1,1,0] neg_lo:[0,0,1] neg_hi:[0,0,1]
	v_pk_fma_f32 v[66:67], v[72:73], v[96:97], v[66:67] op_sel:[0,0,1] op_sel_hi:[1,0,0]
	s_waitcnt vmcnt(3)
	v_mov_b32_e32 v66, v99
	v_mov_b32_e32 v69, v67
	v_pk_mul_f32 v[66:67], v[74:75], v[66:67] op_sel_hi:[1,0]
	v_pk_add_f32 v[64:65], v[64:65], v[68:69]
	s_waitcnt vmcnt(2)
	v_pk_fma_f32 v[68:69], v[74:75], v[98:99], v[66:67] op_sel:[0,0,1] op_sel_hi:[1,1,0] neg_lo:[0,0,1] neg_hi:[0,0,1]
	v_pk_fma_f32 v[66:67], v[74:75], v[98:99], v[66:67] op_sel:[0,0,1] op_sel_hi:[1,0,0]
	s_waitcnt vmcnt(1)
	v_mov_b32_e32 v66, v101
	v_mov_b32_e32 v69, v67
	s_waitcnt lgkmcnt(0)
	v_pk_mul_f32 v[66:67], v[76:77], v[66:67] op_sel_hi:[1,0]
	v_pk_add_f32 v[64:65], v[64:65], v[68:69]
	s_waitcnt vmcnt(0)
	v_pk_fma_f32 v[68:69], v[76:77], v[100:101], v[66:67] op_sel:[0,0,1] op_sel_hi:[1,1,0] neg_lo:[0,0,1] neg_hi:[0,0,1]
	v_pk_fma_f32 v[66:67], v[76:77], v[100:101], v[66:67] op_sel:[0,0,1] op_sel_hi:[1,0,0]
	v_mov_b32_e32 v69, v67
	v_pk_add_f32 v[64:65], v[64:65], v[68:69]
	v_pk_add_f32 v[60:61], v[60:61], v[64:65] neg_lo:[0,1] neg_hi:[0,1]
	buffer_store_dword v61, off, s[0:3], 0 offset:108
	buffer_store_dword v60, off, s[0:3], 0 offset:104
	s_and_saveexec_b64 s[4:5], vcc
	s_cbranch_execz .LBB92_163
; %bb.162:
	buffer_load_dword v60, off, s[0:3], 0 offset:96
	buffer_load_dword v61, off, s[0:3], 0 offset:100
	s_waitcnt vmcnt(0)
	ds_write_b64 v1, v[60:61]
	buffer_store_dword v62, off, s[0:3], 0 offset:96
	buffer_store_dword v62, off, s[0:3], 0 offset:100
.LBB92_163:
	s_or_b64 exec, exec, s[4:5]
	s_waitcnt lgkmcnt(0)
	; wave barrier
	s_waitcnt lgkmcnt(0)
	ds_read2_b64 v[64:67], v62 offset0:43 offset1:44
	buffer_load_dword v60, off, s[0:3], 0 offset:96
	buffer_load_dword v61, off, s[0:3], 0 offset:100
	;; [unrolled: 1-line block ×16, first 2 shown]
	v_cmp_lt_u32_e32 vcc, 11, v0
	s_waitcnt vmcnt(12) lgkmcnt(0)
	v_mul_f32_e32 v68, v64, v84
	v_fmac_f32_e32 v68, v65, v63
	s_waitcnt vmcnt(10)
	v_mul_f32_e32 v69, v66, v88
	v_add_f32_e32 v68, 0, v68
	v_fmac_f32_e32 v69, v67, v86
	v_add_f32_e32 v72, v68, v69
	ds_read2_b64 v[68:71], v62 offset0:45 offset1:46
	v_mul_f32_e32 v65, v65, v84
	v_fma_f32 v63, v64, v63, -v65
	v_mul_f32_e32 v64, v67, v88
	v_add_f32_e32 v63, 0, v63
	s_waitcnt vmcnt(8) lgkmcnt(0)
	v_mul_f32_e32 v73, v68, v107
	v_fmac_f32_e32 v73, v69, v106
	v_add_f32_e32 v72, v72, v73
	s_waitcnt vmcnt(6)
	v_mul_f32_e32 v73, v70, v109
	v_fmac_f32_e32 v73, v71, v108
	v_add_f32_e32 v76, v72, v73
	ds_read2_b64 v[72:75], v62 offset0:47 offset1:48
	v_fma_f32 v64, v66, v86, -v64
	v_add_f32_e32 v63, v63, v64
	v_mul_f32_e32 v64, v69, v107
	v_fma_f32 v64, v68, v106, -v64
	s_waitcnt vmcnt(4) lgkmcnt(0)
	v_mul_f32_e32 v77, v72, v111
	v_fmac_f32_e32 v77, v73, v110
	v_add_f32_e32 v76, v76, v77
	s_waitcnt vmcnt(2)
	v_mul_f32_e32 v77, v74, v113
	v_fmac_f32_e32 v77, v75, v112
	v_add_f32_e32 v85, v76, v77
	ds_read2_b64 v[76:79], v62 offset0:49 offset1:50
	buffer_load_dword v116, off, s[0:3], 0 offset:160
	buffer_load_dword v117, off, s[0:3], 0 offset:164
	;; [unrolled: 1-line block ×4, first 2 shown]
	ds_read2_b64 v[80:83], v62 offset0:51 offset1:52
	buffer_load_dword v93, off, s[0:3], 0 offset:180
	buffer_load_dword v92, off, s[0:3], 0 offset:176
	buffer_load_dword v95, off, s[0:3], 0 offset:188
	buffer_load_dword v94, off, s[0:3], 0 offset:184
	buffer_load_dword v97, off, s[0:3], 0 offset:196
	buffer_load_dword v96, off, s[0:3], 0 offset:192
	buffer_load_dword v99, off, s[0:3], 0 offset:204
	buffer_load_dword v98, off, s[0:3], 0 offset:200
	buffer_load_dword v101, off, s[0:3], 0 offset:212
	buffer_load_dword v100, off, s[0:3], 0 offset:208
	buffer_load_dword v103, off, s[0:3], 0 offset:220
	buffer_load_dword v102, off, s[0:3], 0 offset:216
	buffer_load_dword v105, off, s[0:3], 0 offset:228
	buffer_load_dword v104, off, s[0:3], 0 offset:224
	v_add_f32_e32 v63, v63, v64
	v_mul_f32_e32 v64, v71, v109
	v_fma_f32 v64, v70, v108, -v64
	v_add_f32_e32 v63, v63, v64
	v_mul_f32_e32 v64, v73, v111
	v_fma_f32 v64, v72, v110, -v64
	;; [unrolled: 3-line block ×3, first 2 shown]
	v_add_f32_e32 v84, v63, v64
	s_waitcnt vmcnt(18) lgkmcnt(1)
	v_mul_f32_e32 v63, v77, v115
	v_mul_f32_e32 v87, v76, v115
	v_fma_f32 v86, v76, v114, -v63
	v_fmac_f32_e32 v87, v77, v114
	ds_read2_b64 v[64:67], v62 offset0:53 offset1:54
	ds_read2_b64 v[68:71], v62 offset0:55 offset1:56
	ds_read2_b64 v[72:75], v62 offset0:57 offset1:58
	s_waitcnt vmcnt(15)
	v_mov_b32_e32 v76, v91
	v_mul_f32_e32 v89, v78, v117
	v_mul_f32_e32 v63, v79, v117
	s_waitcnt lgkmcnt(3)
	v_pk_mul_f32 v[76:77], v[80:81], v[76:77] op_sel_hi:[1,0]
	v_fmac_f32_e32 v89, v79, v116
	v_fma_f32 v88, v78, v116, -v63
	s_waitcnt vmcnt(14)
	v_pk_fma_f32 v[78:79], v[80:81], v[90:91], v[76:77] op_sel:[0,0,1] op_sel_hi:[1,1,0] neg_lo:[0,0,1] neg_hi:[0,0,1]
	v_pk_fma_f32 v[76:77], v[80:81], v[90:91], v[76:77] op_sel:[0,0,1] op_sel_hi:[1,0,0]
	v_pk_add_f32 v[62:63], v[84:85], v[86:87]
	s_waitcnt vmcnt(13)
	v_mov_b32_e32 v76, v93
	v_pk_add_f32 v[62:63], v[62:63], v[88:89]
	v_mov_b32_e32 v79, v77
	v_pk_mul_f32 v[76:77], v[82:83], v[76:77] op_sel_hi:[1,0]
	v_pk_add_f32 v[62:63], v[62:63], v[78:79]
	s_waitcnt vmcnt(12)
	v_pk_fma_f32 v[78:79], v[82:83], v[92:93], v[76:77] op_sel:[0,0,1] op_sel_hi:[1,1,0] neg_lo:[0,0,1] neg_hi:[0,0,1]
	v_pk_fma_f32 v[76:77], v[82:83], v[92:93], v[76:77] op_sel:[0,0,1] op_sel_hi:[1,0,0]
	s_waitcnt vmcnt(11)
	v_mov_b32_e32 v76, v95
	v_mov_b32_e32 v79, v77
	s_waitcnt lgkmcnt(2)
	v_pk_mul_f32 v[76:77], v[64:65], v[76:77] op_sel_hi:[1,0]
	v_pk_add_f32 v[62:63], v[62:63], v[78:79]
	s_waitcnt vmcnt(10)
	v_pk_fma_f32 v[78:79], v[64:65], v[94:95], v[76:77] op_sel:[0,0,1] op_sel_hi:[1,1,0] neg_lo:[0,0,1] neg_hi:[0,0,1]
	v_pk_fma_f32 v[64:65], v[64:65], v[94:95], v[76:77] op_sel:[0,0,1] op_sel_hi:[1,0,0]
	s_waitcnt vmcnt(9)
	v_mov_b32_e32 v64, v97
	v_mov_b32_e32 v79, v65
	v_pk_mul_f32 v[64:65], v[66:67], v[64:65] op_sel_hi:[1,0]
	s_waitcnt vmcnt(8)
	v_pk_fma_f32 v[76:77], v[66:67], v[96:97], v[64:65] op_sel:[0,0,1] op_sel_hi:[1,1,0] neg_lo:[0,0,1] neg_hi:[0,0,1]
	v_pk_fma_f32 v[64:65], v[66:67], v[96:97], v[64:65] op_sel:[0,0,1] op_sel_hi:[1,0,0]
	s_waitcnt vmcnt(7)
	v_mov_b32_e32 v64, v99
	v_mov_b32_e32 v77, v65
	s_waitcnt lgkmcnt(1)
	v_pk_mul_f32 v[64:65], v[68:69], v[64:65] op_sel_hi:[1,0]
	s_waitcnt vmcnt(6)
	v_pk_fma_f32 v[66:67], v[68:69], v[98:99], v[64:65] op_sel:[0,0,1] op_sel_hi:[1,1,0] neg_lo:[0,0,1] neg_hi:[0,0,1]
	v_pk_fma_f32 v[64:65], v[68:69], v[98:99], v[64:65] op_sel:[0,0,1] op_sel_hi:[1,0,0]
	v_pk_add_f32 v[62:63], v[62:63], v[78:79]
	s_waitcnt vmcnt(5)
	v_mov_b32_e32 v64, v101
	v_pk_add_f32 v[62:63], v[62:63], v[76:77]
	v_mov_b32_e32 v67, v65
	v_pk_mul_f32 v[64:65], v[70:71], v[64:65] op_sel_hi:[1,0]
	v_pk_add_f32 v[62:63], v[62:63], v[66:67]
	s_waitcnt vmcnt(4)
	v_pk_fma_f32 v[66:67], v[70:71], v[100:101], v[64:65] op_sel:[0,0,1] op_sel_hi:[1,1,0] neg_lo:[0,0,1] neg_hi:[0,0,1]
	v_pk_fma_f32 v[64:65], v[70:71], v[100:101], v[64:65] op_sel:[0,0,1] op_sel_hi:[1,0,0]
	s_waitcnt vmcnt(3)
	v_mov_b32_e32 v64, v103
	v_mov_b32_e32 v67, v65
	s_waitcnt lgkmcnt(0)
	v_pk_mul_f32 v[64:65], v[72:73], v[64:65] op_sel_hi:[1,0]
	v_pk_add_f32 v[62:63], v[62:63], v[66:67]
	s_waitcnt vmcnt(2)
	v_pk_fma_f32 v[66:67], v[72:73], v[102:103], v[64:65] op_sel:[0,0,1] op_sel_hi:[1,1,0] neg_lo:[0,0,1] neg_hi:[0,0,1]
	v_pk_fma_f32 v[64:65], v[72:73], v[102:103], v[64:65] op_sel:[0,0,1] op_sel_hi:[1,0,0]
	s_waitcnt vmcnt(1)
	v_mov_b32_e32 v64, v105
	v_mov_b32_e32 v67, v65
	v_pk_mul_f32 v[64:65], v[74:75], v[64:65] op_sel_hi:[1,0]
	v_pk_add_f32 v[62:63], v[62:63], v[66:67]
	s_waitcnt vmcnt(0)
	v_pk_fma_f32 v[66:67], v[74:75], v[104:105], v[64:65] op_sel:[0,0,1] op_sel_hi:[1,1,0] neg_lo:[0,0,1] neg_hi:[0,0,1]
	v_pk_fma_f32 v[64:65], v[74:75], v[104:105], v[64:65] op_sel:[0,0,1] op_sel_hi:[1,0,0]
	v_mov_b32_e32 v67, v65
	v_pk_add_f32 v[62:63], v[62:63], v[66:67]
	v_pk_add_f32 v[60:61], v[60:61], v[62:63] neg_lo:[0,1] neg_hi:[0,1]
	buffer_store_dword v61, off, s[0:3], 0 offset:100
	buffer_store_dword v60, off, s[0:3], 0 offset:96
	s_and_saveexec_b64 s[4:5], vcc
	s_cbranch_execz .LBB92_165
; %bb.164:
	buffer_load_dword v60, off, s[0:3], 0 offset:88
	buffer_load_dword v61, off, s[0:3], 0 offset:92
	v_mov_b32_e32 v62, 0
	buffer_store_dword v62, off, s[0:3], 0 offset:88
	buffer_store_dword v62, off, s[0:3], 0 offset:92
	s_waitcnt vmcnt(2)
	ds_write_b64 v1, v[60:61]
.LBB92_165:
	s_or_b64 exec, exec, s[4:5]
	v_mov_b32_e32 v62, 0
	s_waitcnt lgkmcnt(0)
	; wave barrier
	s_waitcnt lgkmcnt(0)
	ds_read_b128 v[64:67], v62 offset:336
	ds_read_b128 v[68:71], v62 offset:352
	;; [unrolled: 1-line block ×4, first 2 shown]
	buffer_load_dword v60, off, s[0:3], 0 offset:88
	buffer_load_dword v61, off, s[0:3], 0 offset:92
	;; [unrolled: 1-line block ×18, first 2 shown]
	v_cmp_lt_u32_e32 vcc, 10, v0
	s_waitcnt vmcnt(14) lgkmcnt(3)
	v_mul_f32_e32 v80, v64, v84
	v_fmac_f32_e32 v80, v65, v63
	s_waitcnt vmcnt(12)
	v_mul_f32_e32 v81, v66, v88
	v_add_f32_e32 v80, 0, v80
	v_fmac_f32_e32 v81, v67, v86
	v_add_f32_e32 v80, v80, v81
	s_waitcnt vmcnt(10) lgkmcnt(2)
	v_mul_f32_e32 v81, v68, v107
	v_fmac_f32_e32 v81, v69, v106
	v_add_f32_e32 v80, v80, v81
	s_waitcnt vmcnt(8)
	v_mul_f32_e32 v81, v70, v109
	v_fmac_f32_e32 v81, v71, v108
	v_add_f32_e32 v80, v80, v81
	s_waitcnt vmcnt(6) lgkmcnt(1)
	v_mul_f32_e32 v81, v72, v111
	v_fmac_f32_e32 v81, v73, v110
	v_add_f32_e32 v80, v80, v81
	s_waitcnt vmcnt(4)
	v_mul_f32_e32 v81, v74, v113
	v_fmac_f32_e32 v81, v75, v112
	v_add_f32_e32 v80, v80, v81
	s_waitcnt vmcnt(2) lgkmcnt(0)
	v_mul_f32_e32 v81, v76, v115
	v_fmac_f32_e32 v81, v77, v114
	v_add_f32_e32 v85, v80, v81
	ds_read_b128 v[80:83], v62 offset:400
	buffer_load_dword v118, off, s[0:3], 0 offset:160
	buffer_load_dword v119, off, s[0:3], 0 offset:164
	;; [unrolled: 1-line block ×18, first 2 shown]
	v_mul_f32_e32 v65, v65, v84
	v_fma_f32 v63, v64, v63, -v65
	v_mul_f32_e32 v64, v67, v88
	v_add_f32_e32 v63, 0, v63
	v_fma_f32 v64, v66, v86, -v64
	v_add_f32_e32 v63, v63, v64
	v_mul_f32_e32 v64, v69, v107
	v_fma_f32 v64, v68, v106, -v64
	v_add_f32_e32 v63, v63, v64
	v_mul_f32_e32 v64, v71, v109
	v_fma_f32 v64, v70, v108, -v64
	v_add_f32_e32 v63, v63, v64
	v_mul_f32_e32 v64, v73, v111
	v_fma_f32 v64, v72, v110, -v64
	v_add_f32_e32 v63, v63, v64
	v_mul_f32_e32 v64, v75, v113
	v_fma_f32 v64, v74, v112, -v64
	v_add_f32_e32 v63, v63, v64
	v_mul_f32_e32 v64, v77, v115
	v_fma_f32 v64, v76, v114, -v64
	v_add_f32_e32 v84, v63, v64
	s_waitcnt vmcnt(18)
	v_mul_f32_e32 v63, v79, v117
	v_fma_f32 v86, v78, v116, -v63
	v_mul_f32_e32 v87, v78, v117
	v_fmac_f32_e32 v87, v79, v116
	ds_read_b128 v[64:67], v62 offset:416
	ds_read_b128 v[68:71], v62 offset:432
	;; [unrolled: 1-line block ×3, first 2 shown]
	ds_read_b64 v[76:77], v62 offset:464
	v_pk_add_f32 v[78:79], v[84:85], v[86:87]
	s_waitcnt vmcnt(16) lgkmcnt(4)
	v_mul_f32_e32 v63, v81, v119
	v_mul_f32_e32 v89, v80, v119
	v_fma_f32 v88, v80, v118, -v63
	s_waitcnt vmcnt(15)
	v_mov_b32_e32 v80, v91
	v_fmac_f32_e32 v89, v81, v118
	v_pk_mul_f32 v[80:81], v[82:83], v[80:81] op_sel_hi:[1,0]
	s_waitcnt vmcnt(14)
	v_pk_fma_f32 v[84:85], v[82:83], v[90:91], v[80:81] op_sel:[0,0,1] op_sel_hi:[1,1,0] neg_lo:[0,0,1] neg_hi:[0,0,1]
	v_pk_fma_f32 v[80:81], v[82:83], v[90:91], v[80:81] op_sel:[0,0,1] op_sel_hi:[1,0,0]
	s_waitcnt vmcnt(13)
	v_mov_b32_e32 v80, v93
	v_mov_b32_e32 v85, v81
	s_waitcnt lgkmcnt(3)
	v_pk_mul_f32 v[80:81], v[64:65], v[80:81] op_sel_hi:[1,0]
	v_pk_add_f32 v[78:79], v[78:79], v[88:89]
	s_waitcnt vmcnt(12)
	v_pk_fma_f32 v[82:83], v[64:65], v[92:93], v[80:81] op_sel:[0,0,1] op_sel_hi:[1,1,0] neg_lo:[0,0,1] neg_hi:[0,0,1]
	v_pk_fma_f32 v[64:65], v[64:65], v[92:93], v[80:81] op_sel:[0,0,1] op_sel_hi:[1,0,0]
	v_pk_add_f32 v[78:79], v[78:79], v[84:85]
	v_mov_b32_e32 v83, v65
	v_pk_add_f32 v[64:65], v[78:79], v[82:83]
	s_waitcnt vmcnt(11)
	v_mov_b32_e32 v78, v95
	v_pk_mul_f32 v[78:79], v[66:67], v[78:79] op_sel_hi:[1,0]
	s_waitcnt vmcnt(10)
	v_pk_fma_f32 v[80:81], v[66:67], v[94:95], v[78:79] op_sel:[0,0,1] op_sel_hi:[1,1,0] neg_lo:[0,0,1] neg_hi:[0,0,1]
	v_pk_fma_f32 v[66:67], v[66:67], v[94:95], v[78:79] op_sel:[0,0,1] op_sel_hi:[1,0,0]
	s_waitcnt vmcnt(9)
	v_mov_b32_e32 v66, v97
	v_mov_b32_e32 v81, v67
	s_waitcnt lgkmcnt(2)
	v_pk_mul_f32 v[66:67], v[68:69], v[66:67] op_sel_hi:[1,0]
	s_waitcnt vmcnt(8)
	v_pk_fma_f32 v[78:79], v[68:69], v[96:97], v[66:67] op_sel:[0,0,1] op_sel_hi:[1,1,0] neg_lo:[0,0,1] neg_hi:[0,0,1]
	v_pk_fma_f32 v[66:67], v[68:69], v[96:97], v[66:67] op_sel:[0,0,1] op_sel_hi:[1,0,0]
	s_waitcnt vmcnt(7)
	v_mov_b32_e32 v66, v99
	v_mov_b32_e32 v79, v67
	v_pk_mul_f32 v[66:67], v[70:71], v[66:67] op_sel_hi:[1,0]
	s_waitcnt vmcnt(6)
	v_pk_fma_f32 v[68:69], v[70:71], v[98:99], v[66:67] op_sel:[0,0,1] op_sel_hi:[1,1,0] neg_lo:[0,0,1] neg_hi:[0,0,1]
	v_pk_fma_f32 v[66:67], v[70:71], v[98:99], v[66:67] op_sel:[0,0,1] op_sel_hi:[1,0,0]
	v_pk_add_f32 v[64:65], v[64:65], v[80:81]
	s_waitcnt vmcnt(5)
	v_mov_b32_e32 v66, v101
	v_pk_add_f32 v[64:65], v[64:65], v[78:79]
	v_mov_b32_e32 v69, v67
	s_waitcnt lgkmcnt(1)
	v_pk_mul_f32 v[66:67], v[72:73], v[66:67] op_sel_hi:[1,0]
	v_pk_add_f32 v[64:65], v[64:65], v[68:69]
	s_waitcnt vmcnt(4)
	v_pk_fma_f32 v[68:69], v[72:73], v[100:101], v[66:67] op_sel:[0,0,1] op_sel_hi:[1,1,0] neg_lo:[0,0,1] neg_hi:[0,0,1]
	v_pk_fma_f32 v[66:67], v[72:73], v[100:101], v[66:67] op_sel:[0,0,1] op_sel_hi:[1,0,0]
	s_waitcnt vmcnt(3)
	v_mov_b32_e32 v66, v103
	v_mov_b32_e32 v69, v67
	v_pk_mul_f32 v[66:67], v[74:75], v[66:67] op_sel_hi:[1,0]
	v_pk_add_f32 v[64:65], v[64:65], v[68:69]
	s_waitcnt vmcnt(2)
	v_pk_fma_f32 v[68:69], v[74:75], v[102:103], v[66:67] op_sel:[0,0,1] op_sel_hi:[1,1,0] neg_lo:[0,0,1] neg_hi:[0,0,1]
	v_pk_fma_f32 v[66:67], v[74:75], v[102:103], v[66:67] op_sel:[0,0,1] op_sel_hi:[1,0,0]
	s_waitcnt vmcnt(1)
	v_mov_b32_e32 v66, v105
	v_mov_b32_e32 v69, v67
	s_waitcnt lgkmcnt(0)
	v_pk_mul_f32 v[66:67], v[76:77], v[66:67] op_sel_hi:[1,0]
	v_pk_add_f32 v[64:65], v[64:65], v[68:69]
	s_waitcnt vmcnt(0)
	v_pk_fma_f32 v[68:69], v[76:77], v[104:105], v[66:67] op_sel:[0,0,1] op_sel_hi:[1,1,0] neg_lo:[0,0,1] neg_hi:[0,0,1]
	v_pk_fma_f32 v[66:67], v[76:77], v[104:105], v[66:67] op_sel:[0,0,1] op_sel_hi:[1,0,0]
	v_mov_b32_e32 v69, v67
	v_pk_add_f32 v[64:65], v[64:65], v[68:69]
	v_pk_add_f32 v[60:61], v[60:61], v[64:65] neg_lo:[0,1] neg_hi:[0,1]
	buffer_store_dword v61, off, s[0:3], 0 offset:92
	buffer_store_dword v60, off, s[0:3], 0 offset:88
	s_and_saveexec_b64 s[4:5], vcc
	s_cbranch_execz .LBB92_167
; %bb.166:
	buffer_load_dword v60, off, s[0:3], 0 offset:80
	buffer_load_dword v61, off, s[0:3], 0 offset:84
	s_waitcnt vmcnt(0)
	ds_write_b64 v1, v[60:61]
	buffer_store_dword v62, off, s[0:3], 0 offset:80
	buffer_store_dword v62, off, s[0:3], 0 offset:84
.LBB92_167:
	s_or_b64 exec, exec, s[4:5]
	s_waitcnt lgkmcnt(0)
	; wave barrier
	s_waitcnt lgkmcnt(0)
	ds_read2_b64 v[64:67], v62 offset0:41 offset1:42
	buffer_load_dword v60, off, s[0:3], 0 offset:80
	buffer_load_dword v61, off, s[0:3], 0 offset:84
	buffer_load_dword v63, off, s[0:3], 0 offset:88
	buffer_load_dword v88, off, s[0:3], 0 offset:92
	buffer_load_dword v90, off, s[0:3], 0 offset:96
	buffer_load_dword v92, off, s[0:3], 0 offset:100
	buffer_load_dword v110, off, s[0:3], 0 offset:104
	buffer_load_dword v111, off, s[0:3], 0 offset:108
	buffer_load_dword v112, off, s[0:3], 0 offset:112
	buffer_load_dword v113, off, s[0:3], 0 offset:116
	buffer_load_dword v114, off, s[0:3], 0 offset:120
	buffer_load_dword v115, off, s[0:3], 0 offset:124
	buffer_load_dword v116, off, s[0:3], 0 offset:128
	buffer_load_dword v117, off, s[0:3], 0 offset:132
	buffer_load_dword v118, off, s[0:3], 0 offset:136
	buffer_load_dword v119, off, s[0:3], 0 offset:140
	v_cmp_lt_u32_e32 vcc, 9, v0
	s_waitcnt vmcnt(12) lgkmcnt(0)
	v_mul_f32_e32 v68, v64, v88
	v_fmac_f32_e32 v68, v65, v63
	s_waitcnt vmcnt(10)
	v_mul_f32_e32 v69, v66, v92
	v_add_f32_e32 v68, 0, v68
	v_fmac_f32_e32 v69, v67, v90
	v_add_f32_e32 v72, v68, v69
	ds_read2_b64 v[68:71], v62 offset0:43 offset1:44
	v_mul_f32_e32 v65, v65, v88
	v_fma_f32 v63, v64, v63, -v65
	v_mul_f32_e32 v64, v67, v92
	v_add_f32_e32 v63, 0, v63
	s_waitcnt vmcnt(8) lgkmcnt(0)
	v_mul_f32_e32 v73, v68, v111
	v_fmac_f32_e32 v73, v69, v110
	v_add_f32_e32 v72, v72, v73
	s_waitcnt vmcnt(6)
	v_mul_f32_e32 v73, v70, v113
	v_fmac_f32_e32 v73, v71, v112
	v_add_f32_e32 v76, v72, v73
	ds_read2_b64 v[72:75], v62 offset0:45 offset1:46
	v_fma_f32 v64, v66, v90, -v64
	v_add_f32_e32 v63, v63, v64
	v_mul_f32_e32 v64, v69, v111
	v_fma_f32 v64, v68, v110, -v64
	s_waitcnt vmcnt(4) lgkmcnt(0)
	v_mul_f32_e32 v77, v72, v115
	v_fmac_f32_e32 v77, v73, v114
	v_add_f32_e32 v76, v76, v77
	s_waitcnt vmcnt(2)
	v_mul_f32_e32 v77, v74, v117
	v_fmac_f32_e32 v77, v75, v116
	v_add_f32_e32 v80, v76, v77
	ds_read2_b64 v[76:79], v62 offset0:47 offset1:48
	buffer_load_dword v120, off, s[0:3], 0 offset:144
	buffer_load_dword v121, off, s[0:3], 0 offset:148
	v_add_f32_e32 v63, v63, v64
	v_mul_f32_e32 v64, v71, v113
	v_fma_f32 v64, v70, v112, -v64
	s_waitcnt vmcnt(2) lgkmcnt(0)
	v_mul_f32_e32 v81, v76, v119
	v_fmac_f32_e32 v81, v77, v118
	v_add_f32_e32 v80, v80, v81
	v_add_f32_e32 v63, v63, v64
	v_mul_f32_e32 v64, v73, v115
	v_fma_f32 v64, v72, v114, -v64
	v_add_f32_e32 v63, v63, v64
	v_mul_f32_e32 v64, v75, v117
	v_fma_f32 v64, v74, v116, -v64
	;; [unrolled: 3-line block ×3, first 2 shown]
	v_add_f32_e32 v63, v63, v64
	s_waitcnt vmcnt(0)
	v_mul_f32_e32 v81, v78, v121
	v_fmac_f32_e32 v81, v79, v120
	v_add_f32_e32 v89, v80, v81
	ds_read2_b64 v[80:83], v62 offset0:49 offset1:50
	buffer_load_dword v122, off, s[0:3], 0 offset:152
	buffer_load_dword v123, off, s[0:3], 0 offset:156
	;; [unrolled: 1-line block ×6, first 2 shown]
	ds_read2_b64 v[84:87], v62 offset0:51 offset1:52
	buffer_load_dword v97, off, s[0:3], 0 offset:180
	buffer_load_dword v96, off, s[0:3], 0 offset:176
	;; [unrolled: 1-line block ×14, first 2 shown]
	v_mul_f32_e32 v64, v79, v121
	v_fma_f32 v64, v78, v120, -v64
	v_add_f32_e32 v88, v63, v64
	ds_read2_b64 v[64:67], v62 offset0:53 offset1:54
	ds_read2_b64 v[68:71], v62 offset0:55 offset1:56
	;; [unrolled: 1-line block ×3, first 2 shown]
	s_waitcnt vmcnt(18) lgkmcnt(4)
	v_mul_f32_e32 v91, v80, v123
	s_waitcnt vmcnt(15)
	v_mov_b32_e32 v76, v95
	v_mul_f32_e32 v63, v81, v123
	s_waitcnt lgkmcnt(3)
	v_pk_mul_f32 v[76:77], v[84:85], v[76:77] op_sel_hi:[1,0]
	v_fmac_f32_e32 v91, v81, v122
	v_mul_f32_e32 v93, v82, v125
	v_fma_f32 v90, v80, v122, -v63
	v_mul_f32_e32 v63, v83, v125
	s_waitcnt vmcnt(14)
	v_pk_fma_f32 v[78:79], v[84:85], v[94:95], v[76:77] op_sel:[0,0,1] op_sel_hi:[1,1,0] neg_lo:[0,0,1] neg_hi:[0,0,1]
	v_pk_fma_f32 v[76:77], v[84:85], v[94:95], v[76:77] op_sel:[0,0,1] op_sel_hi:[1,0,0]
	v_fmac_f32_e32 v93, v83, v124
	v_fma_f32 v92, v82, v124, -v63
	v_pk_add_f32 v[62:63], v[88:89], v[90:91]
	s_waitcnt vmcnt(13)
	v_mov_b32_e32 v76, v97
	v_pk_add_f32 v[62:63], v[62:63], v[92:93]
	v_mov_b32_e32 v79, v77
	v_pk_mul_f32 v[76:77], v[86:87], v[76:77] op_sel_hi:[1,0]
	v_pk_add_f32 v[62:63], v[62:63], v[78:79]
	s_waitcnt vmcnt(12)
	v_pk_fma_f32 v[78:79], v[86:87], v[96:97], v[76:77] op_sel:[0,0,1] op_sel_hi:[1,1,0] neg_lo:[0,0,1] neg_hi:[0,0,1]
	v_pk_fma_f32 v[76:77], v[86:87], v[96:97], v[76:77] op_sel:[0,0,1] op_sel_hi:[1,0,0]
	s_waitcnt vmcnt(11)
	v_mov_b32_e32 v76, v99
	v_mov_b32_e32 v79, v77
	s_waitcnt lgkmcnt(2)
	v_pk_mul_f32 v[76:77], v[64:65], v[76:77] op_sel_hi:[1,0]
	v_pk_add_f32 v[62:63], v[62:63], v[78:79]
	s_waitcnt vmcnt(10)
	v_pk_fma_f32 v[78:79], v[64:65], v[98:99], v[76:77] op_sel:[0,0,1] op_sel_hi:[1,1,0] neg_lo:[0,0,1] neg_hi:[0,0,1]
	v_pk_fma_f32 v[64:65], v[64:65], v[98:99], v[76:77] op_sel:[0,0,1] op_sel_hi:[1,0,0]
	s_waitcnt vmcnt(9)
	v_mov_b32_e32 v64, v101
	v_mov_b32_e32 v79, v65
	v_pk_mul_f32 v[64:65], v[66:67], v[64:65] op_sel_hi:[1,0]
	s_waitcnt vmcnt(8)
	v_pk_fma_f32 v[76:77], v[66:67], v[100:101], v[64:65] op_sel:[0,0,1] op_sel_hi:[1,1,0] neg_lo:[0,0,1] neg_hi:[0,0,1]
	v_pk_fma_f32 v[64:65], v[66:67], v[100:101], v[64:65] op_sel:[0,0,1] op_sel_hi:[1,0,0]
	s_waitcnt vmcnt(7)
	v_mov_b32_e32 v64, v103
	v_mov_b32_e32 v77, v65
	s_waitcnt lgkmcnt(1)
	v_pk_mul_f32 v[64:65], v[68:69], v[64:65] op_sel_hi:[1,0]
	s_waitcnt vmcnt(6)
	v_pk_fma_f32 v[66:67], v[68:69], v[102:103], v[64:65] op_sel:[0,0,1] op_sel_hi:[1,1,0] neg_lo:[0,0,1] neg_hi:[0,0,1]
	v_pk_fma_f32 v[64:65], v[68:69], v[102:103], v[64:65] op_sel:[0,0,1] op_sel_hi:[1,0,0]
	v_pk_add_f32 v[62:63], v[62:63], v[78:79]
	s_waitcnt vmcnt(5)
	v_mov_b32_e32 v64, v105
	v_pk_add_f32 v[62:63], v[62:63], v[76:77]
	v_mov_b32_e32 v67, v65
	v_pk_mul_f32 v[64:65], v[70:71], v[64:65] op_sel_hi:[1,0]
	v_pk_add_f32 v[62:63], v[62:63], v[66:67]
	s_waitcnt vmcnt(4)
	v_pk_fma_f32 v[66:67], v[70:71], v[104:105], v[64:65] op_sel:[0,0,1] op_sel_hi:[1,1,0] neg_lo:[0,0,1] neg_hi:[0,0,1]
	v_pk_fma_f32 v[64:65], v[70:71], v[104:105], v[64:65] op_sel:[0,0,1] op_sel_hi:[1,0,0]
	s_waitcnt vmcnt(3)
	v_mov_b32_e32 v64, v107
	v_mov_b32_e32 v67, v65
	s_waitcnt lgkmcnt(0)
	v_pk_mul_f32 v[64:65], v[72:73], v[64:65] op_sel_hi:[1,0]
	v_pk_add_f32 v[62:63], v[62:63], v[66:67]
	s_waitcnt vmcnt(2)
	v_pk_fma_f32 v[66:67], v[72:73], v[106:107], v[64:65] op_sel:[0,0,1] op_sel_hi:[1,1,0] neg_lo:[0,0,1] neg_hi:[0,0,1]
	v_pk_fma_f32 v[64:65], v[72:73], v[106:107], v[64:65] op_sel:[0,0,1] op_sel_hi:[1,0,0]
	s_waitcnt vmcnt(1)
	v_mov_b32_e32 v64, v109
	v_mov_b32_e32 v67, v65
	v_pk_mul_f32 v[64:65], v[74:75], v[64:65] op_sel_hi:[1,0]
	v_pk_add_f32 v[62:63], v[62:63], v[66:67]
	s_waitcnt vmcnt(0)
	v_pk_fma_f32 v[66:67], v[74:75], v[108:109], v[64:65] op_sel:[0,0,1] op_sel_hi:[1,1,0] neg_lo:[0,0,1] neg_hi:[0,0,1]
	v_pk_fma_f32 v[64:65], v[74:75], v[108:109], v[64:65] op_sel:[0,0,1] op_sel_hi:[1,0,0]
	v_mov_b32_e32 v67, v65
	v_pk_add_f32 v[62:63], v[62:63], v[66:67]
	v_pk_add_f32 v[60:61], v[60:61], v[62:63] neg_lo:[0,1] neg_hi:[0,1]
	buffer_store_dword v61, off, s[0:3], 0 offset:84
	buffer_store_dword v60, off, s[0:3], 0 offset:80
	s_and_saveexec_b64 s[4:5], vcc
	s_cbranch_execz .LBB92_169
; %bb.168:
	buffer_load_dword v60, off, s[0:3], 0 offset:72
	buffer_load_dword v61, off, s[0:3], 0 offset:76
	v_mov_b32_e32 v62, 0
	buffer_store_dword v62, off, s[0:3], 0 offset:72
	buffer_store_dword v62, off, s[0:3], 0 offset:76
	s_waitcnt vmcnt(2)
	ds_write_b64 v1, v[60:61]
.LBB92_169:
	s_or_b64 exec, exec, s[4:5]
	s_waitcnt lgkmcnt(0)
	; wave barrier
	s_waitcnt lgkmcnt(0)
	buffer_load_dword v61, off, s[0:3], 0 offset:84
	buffer_load_dword v104, off, s[0:3], 0 offset:92
	;; [unrolled: 1-line block ×40, first 2 shown]
	v_mov_b32_e32 v60, 0
	ds_read_b128 v[62:65], v60 offset:320
	ds_read_b128 v[66:69], v60 offset:336
	;; [unrolled: 1-line block ×6, first 2 shown]
	v_cmp_lt_u32_e32 vcc, 8, v0
	s_waitcnt vmcnt(39) lgkmcnt(5)
	v_mul_f32_e32 v127, v62, v61
	s_waitcnt vmcnt(38)
	v_mul_f32_e32 v128, v64, v104
	v_mul_f32_e32 v61, v63, v61
	s_waitcnt vmcnt(37) lgkmcnt(4)
	v_mul_f32_e32 v129, v66, v106
	v_mul_f32_e32 v104, v65, v104
	s_waitcnt vmcnt(36)
	v_mul_f32_e32 v130, v68, v108
	s_waitcnt vmcnt(35) lgkmcnt(3)
	v_mul_f32_e32 v131, v70, v110
	s_waitcnt vmcnt(34)
	v_mul_f32_e32 v132, v72, v111
	s_waitcnt vmcnt(33) lgkmcnt(2)
	;; [unrolled: 4-line block ×3, first 2 shown]
	v_mul_f32_e32 v135, v78, v114
	s_waitcnt vmcnt(28)
	v_fmac_f32_e32 v127, v63, v109
	s_waitcnt vmcnt(27)
	v_fmac_f32_e32 v128, v65, v117
	v_fma_f32 v61, v62, v109, -v61
	v_add_f32_e32 v65, 0, v127
	s_waitcnt vmcnt(26)
	v_fmac_f32_e32 v129, v67, v118
	v_fma_f32 v62, v64, v117, -v104
	v_add_f32_e32 v61, 0, v61
	v_add_f32_e32 v65, v65, v128
	s_waitcnt vmcnt(25)
	v_fmac_f32_e32 v130, v69, v119
	v_add_f32_e32 v61, v61, v62
	v_add_f32_e32 v62, v65, v129
	s_waitcnt vmcnt(24)
	v_fmac_f32_e32 v131, v71, v120
	v_add_f32_e32 v62, v62, v130
	s_waitcnt vmcnt(23)
	v_fmac_f32_e32 v132, v73, v121
	;; [unrolled: 3-line block ×3, first 2 shown]
	v_add_f32_e32 v62, v62, v132
	v_mul_f32_e32 v106, v67, v106
	s_waitcnt vmcnt(21)
	v_fmac_f32_e32 v134, v77, v123
	v_add_f32_e32 v62, v62, v133
	v_mul_f32_e32 v108, v69, v108
	s_waitcnt vmcnt(20)
	v_fmac_f32_e32 v135, v79, v124
	v_fma_f32 v63, v66, v118, -v106
	v_add_f32_e32 v62, v62, v134
	v_fma_f32 v64, v68, v119, -v108
	v_add_f32_e32 v61, v61, v63
	v_add_f32_e32 v109, v62, v135
	v_mul_f32_e32 v62, v71, v110
	v_add_f32_e32 v61, v61, v64
	v_fma_f32 v62, v70, v120, -v62
	v_add_f32_e32 v61, v61, v62
	v_mul_f32_e32 v62, v73, v111
	v_fma_f32 v62, v72, v121, -v62
	v_add_f32_e32 v61, v61, v62
	v_mul_f32_e32 v62, v75, v112
	;; [unrolled: 3-line block ×4, first 2 shown]
	v_fma_f32 v62, v78, v124, -v62
	s_waitcnt vmcnt(9)
	v_mov_b32_e32 v78, v95
	v_mul_f32_e32 v105, v80, v115
	v_add_f32_e32 v108, v61, v62
	v_mul_f32_e32 v61, v81, v115
	s_waitcnt lgkmcnt(0)
	v_pk_mul_f32 v[78:79], v[84:85], v[78:79] op_sel_hi:[1,0]
	v_mul_f32_e32 v107, v82, v116
	v_fmac_f32_e32 v105, v81, v125
	v_fma_f32 v104, v80, v125, -v61
	v_mul_f32_e32 v61, v83, v116
	ds_read_b128 v[62:65], v60 offset:416
	ds_read_b128 v[66:69], v60 offset:432
	;; [unrolled: 1-line block ×3, first 2 shown]
	ds_read_b64 v[74:75], v60 offset:464
	s_waitcnt vmcnt(8)
	v_pk_fma_f32 v[80:81], v[84:85], v[94:95], v[78:79] op_sel:[0,0,1] op_sel_hi:[1,1,0] neg_lo:[0,0,1] neg_hi:[0,0,1]
	v_pk_fma_f32 v[78:79], v[84:85], v[94:95], v[78:79] op_sel:[0,0,1] op_sel_hi:[1,0,0]
	v_fmac_f32_e32 v107, v83, v126
	v_fma_f32 v106, v82, v126, -v61
	v_pk_add_f32 v[76:77], v[108:109], v[104:105]
	v_mov_b32_e32 v78, v93
	v_pk_add_f32 v[76:77], v[76:77], v[106:107]
	v_mov_b32_e32 v81, v79
	s_waitcnt lgkmcnt(3)
	v_pk_mul_f32 v[78:79], v[62:63], v[78:79] op_sel_hi:[1,0]
	v_pk_add_f32 v[76:77], v[76:77], v[80:81]
	v_pk_fma_f32 v[80:81], v[62:63], v[92:93], v[78:79] op_sel:[0,0,1] op_sel_hi:[1,1,0] neg_lo:[0,0,1] neg_hi:[0,0,1]
	v_pk_fma_f32 v[62:63], v[62:63], v[92:93], v[78:79] op_sel:[0,0,1] op_sel_hi:[1,0,0]
	v_mov_b32_e32 v81, v63
	v_pk_add_f32 v[62:63], v[76:77], v[80:81]
	v_mov_b32_e32 v76, v91
	v_pk_mul_f32 v[76:77], v[64:65], v[76:77] op_sel_hi:[1,0]
	v_pk_fma_f32 v[78:79], v[64:65], v[90:91], v[76:77] op_sel:[0,0,1] op_sel_hi:[1,1,0] neg_lo:[0,0,1] neg_hi:[0,0,1]
	v_pk_fma_f32 v[64:65], v[64:65], v[90:91], v[76:77] op_sel:[0,0,1] op_sel_hi:[1,0,0]
	v_mov_b32_e32 v64, v89
	v_mov_b32_e32 v79, v65
	s_waitcnt lgkmcnt(2)
	v_pk_mul_f32 v[64:65], v[66:67], v[64:65] op_sel_hi:[1,0]
	v_pk_fma_f32 v[76:77], v[66:67], v[88:89], v[64:65] op_sel:[0,0,1] op_sel_hi:[1,1,0] neg_lo:[0,0,1] neg_hi:[0,0,1]
	v_pk_fma_f32 v[64:65], v[66:67], v[88:89], v[64:65] op_sel:[0,0,1] op_sel_hi:[1,0,0]
	s_waitcnt vmcnt(1)
	v_mov_b32_e32 v64, v103
	v_mov_b32_e32 v77, v65
	v_pk_mul_f32 v[64:65], v[68:69], v[64:65] op_sel_hi:[1,0]
	s_waitcnt vmcnt(0)
	v_pk_fma_f32 v[66:67], v[68:69], v[102:103], v[64:65] op_sel:[0,0,1] op_sel_hi:[1,1,0] neg_lo:[0,0,1] neg_hi:[0,0,1]
	v_pk_fma_f32 v[64:65], v[68:69], v[102:103], v[64:65] op_sel:[0,0,1] op_sel_hi:[1,0,0]
	v_pk_add_f32 v[62:63], v[62:63], v[78:79]
	v_mov_b32_e32 v64, v101
	v_pk_add_f32 v[62:63], v[62:63], v[76:77]
	v_mov_b32_e32 v67, v65
	s_waitcnt lgkmcnt(1)
	v_pk_mul_f32 v[64:65], v[70:71], v[64:65] op_sel_hi:[1,0]
	v_pk_add_f32 v[62:63], v[62:63], v[66:67]
	v_pk_fma_f32 v[66:67], v[70:71], v[100:101], v[64:65] op_sel:[0,0,1] op_sel_hi:[1,1,0] neg_lo:[0,0,1] neg_hi:[0,0,1]
	v_pk_fma_f32 v[64:65], v[70:71], v[100:101], v[64:65] op_sel:[0,0,1] op_sel_hi:[1,0,0]
	v_mov_b32_e32 v64, v99
	v_mov_b32_e32 v67, v65
	v_pk_mul_f32 v[64:65], v[72:73], v[64:65] op_sel_hi:[1,0]
	v_pk_add_f32 v[62:63], v[62:63], v[66:67]
	v_pk_fma_f32 v[66:67], v[72:73], v[98:99], v[64:65] op_sel:[0,0,1] op_sel_hi:[1,1,0] neg_lo:[0,0,1] neg_hi:[0,0,1]
	v_pk_fma_f32 v[64:65], v[72:73], v[98:99], v[64:65] op_sel:[0,0,1] op_sel_hi:[1,0,0]
	v_mov_b32_e32 v64, v97
	v_mov_b32_e32 v67, v65
	s_waitcnt lgkmcnt(0)
	v_pk_mul_f32 v[64:65], v[74:75], v[64:65] op_sel_hi:[1,0]
	v_pk_add_f32 v[62:63], v[62:63], v[66:67]
	v_pk_fma_f32 v[66:67], v[74:75], v[96:97], v[64:65] op_sel:[0,0,1] op_sel_hi:[1,1,0] neg_lo:[0,0,1] neg_hi:[0,0,1]
	v_pk_fma_f32 v[64:65], v[74:75], v[96:97], v[64:65] op_sel:[0,0,1] op_sel_hi:[1,0,0]
	v_mov_b32_e32 v67, v65
	v_pk_add_f32 v[62:63], v[62:63], v[66:67]
	v_pk_add_f32 v[62:63], v[86:87], v[62:63] neg_lo:[0,1] neg_hi:[0,1]
	buffer_store_dword v63, off, s[0:3], 0 offset:76
	buffer_store_dword v62, off, s[0:3], 0 offset:72
	s_and_saveexec_b64 s[4:5], vcc
	s_cbranch_execz .LBB92_171
; %bb.170:
	buffer_load_dword v62, off, s[0:3], 0 offset:64
	buffer_load_dword v63, off, s[0:3], 0 offset:68
	s_waitcnt vmcnt(0)
	ds_write_b64 v1, v[62:63]
	buffer_store_dword v60, off, s[0:3], 0 offset:64
	buffer_store_dword v60, off, s[0:3], 0 offset:68
.LBB92_171:
	s_or_b64 exec, exec, s[4:5]
	s_waitcnt lgkmcnt(0)
	; wave barrier
	s_waitcnt lgkmcnt(0)
	buffer_load_dword v61, off, s[0:3], 0 offset:76
	buffer_load_dword v104, off, s[0:3], 0 offset:84
	;; [unrolled: 1-line block ×26, first 2 shown]
	ds_read2_b64 v[62:65], v60 offset0:39 offset1:40
	ds_read2_b64 v[66:69], v60 offset0:41 offset1:42
	;; [unrolled: 1-line block ×6, first 2 shown]
	buffer_load_dword v89, off, s[0:3], 0 offset:188
	buffer_load_dword v88, off, s[0:3], 0 offset:184
	;; [unrolled: 1-line block ×16, first 2 shown]
	v_cmp_lt_u32_e32 vcc, 7, v0
	s_waitcnt vmcnt(41) lgkmcnt(5)
	v_mul_f32_e32 v129, v62, v61
	s_waitcnt vmcnt(40)
	v_mul_f32_e32 v130, v64, v104
	v_mul_f32_e32 v61, v63, v61
	;; [unrolled: 1-line block ×3, first 2 shown]
	s_waitcnt vmcnt(39) lgkmcnt(4)
	v_mul_f32_e32 v131, v66, v106
	s_waitcnt vmcnt(38)
	v_mul_f32_e32 v132, v68, v108
	s_waitcnt vmcnt(37) lgkmcnt(3)
	v_mul_f32_e32 v133, v70, v110
	s_waitcnt vmcnt(36)
	v_mul_f32_e32 v134, v72, v111
	;; [unrolled: 4-line block ×4, first 2 shown]
	s_waitcnt vmcnt(29)
	v_fmac_f32_e32 v129, v63, v109
	s_waitcnt vmcnt(28)
	v_fmac_f32_e32 v130, v65, v118
	v_fma_f32 v61, v62, v109, -v61
	v_fma_f32 v62, v64, v118, -v104
	v_add_f32_e32 v64, 0, v129
	s_waitcnt vmcnt(27)
	v_fmac_f32_e32 v131, v67, v119
	v_add_f32_e32 v61, 0, v61
	v_add_f32_e32 v64, v64, v130
	s_waitcnt vmcnt(26)
	v_fmac_f32_e32 v132, v69, v120
	v_add_f32_e32 v61, v61, v62
	;; [unrolled: 4-line block ×3, first 2 shown]
	s_waitcnt vmcnt(24)
	v_fmac_f32_e32 v134, v73, v122
	v_add_f32_e32 v62, v62, v133
	s_waitcnt vmcnt(23)
	v_fmac_f32_e32 v135, v75, v123
	v_add_f32_e32 v62, v62, v134
	s_waitcnt vmcnt(22)
	v_fmac_f32_e32 v136, v77, v124
	v_add_f32_e32 v62, v62, v135
	s_waitcnt vmcnt(21)
	v_fmac_f32_e32 v137, v79, v125
	v_add_f32_e32 v62, v62, v136
	v_mul_f32_e32 v106, v67, v106
	s_waitcnt vmcnt(20)
	v_fmac_f32_e32 v138, v81, v126
	v_add_f32_e32 v62, v62, v137
	v_fma_f32 v63, v66, v119, -v106
	v_add_f32_e32 v109, v62, v138
	v_mul_f32_e32 v62, v69, v108
	v_add_f32_e32 v61, v61, v63
	v_fma_f32 v62, v68, v120, -v62
	v_add_f32_e32 v61, v61, v62
	v_mul_f32_e32 v62, v71, v110
	v_fma_f32 v62, v70, v121, -v62
	v_add_f32_e32 v61, v61, v62
	v_mul_f32_e32 v62, v73, v111
	;; [unrolled: 3-line block ×6, first 2 shown]
	v_fma_f32 v62, v80, v126, -v62
	v_add_f32_e32 v108, v61, v62
	ds_read2_b64 v[62:65], v60 offset0:51 offset1:52
	ds_read2_b64 v[66:69], v60 offset0:53 offset1:54
	;; [unrolled: 1-line block ×4, first 2 shown]
	s_waitcnt vmcnt(11)
	v_mov_b32_e32 v78, v93
	s_waitcnt lgkmcnt(3)
	v_pk_mul_f32 v[78:79], v[62:63], v[78:79] op_sel_hi:[1,0]
	s_waitcnt vmcnt(10)
	v_pk_fma_f32 v[80:81], v[62:63], v[92:93], v[78:79] op_sel:[0,0,1] op_sel_hi:[1,1,0] neg_lo:[0,0,1] neg_hi:[0,0,1]
	v_pk_fma_f32 v[62:63], v[62:63], v[92:93], v[78:79] op_sel:[0,0,1] op_sel_hi:[1,0,0]
	v_mov_b32_e32 v62, v91
	v_mov_b32_e32 v81, v63
	v_pk_mul_f32 v[62:63], v[64:65], v[62:63] op_sel_hi:[1,0]
	v_mul_f32_e32 v105, v82, v116
	v_mul_f32_e32 v61, v83, v116
	v_pk_fma_f32 v[78:79], v[64:65], v[90:91], v[62:63] op_sel:[0,0,1] op_sel_hi:[1,1,0] neg_lo:[0,0,1] neg_hi:[0,0,1]
	v_pk_fma_f32 v[62:63], v[64:65], v[90:91], v[62:63] op_sel:[0,0,1] op_sel_hi:[1,0,0]
	v_mul_f32_e32 v107, v84, v117
	v_fmac_f32_e32 v105, v83, v127
	v_fma_f32 v104, v82, v127, -v61
	v_mul_f32_e32 v61, v85, v117
	v_mov_b32_e32 v62, v89
	v_fmac_f32_e32 v107, v85, v128
	v_fma_f32 v106, v84, v128, -v61
	v_pk_add_f32 v[60:61], v[108:109], v[104:105]
	v_mov_b32_e32 v79, v63
	s_waitcnt lgkmcnt(2)
	v_pk_mul_f32 v[62:63], v[66:67], v[62:63] op_sel_hi:[1,0]
	v_pk_add_f32 v[60:61], v[60:61], v[106:107]
	v_pk_fma_f32 v[64:65], v[66:67], v[88:89], v[62:63] op_sel:[0,0,1] op_sel_hi:[1,1,0] neg_lo:[0,0,1] neg_hi:[0,0,1]
	v_pk_fma_f32 v[62:63], v[66:67], v[88:89], v[62:63] op_sel:[0,0,1] op_sel_hi:[1,0,0]
	v_pk_add_f32 v[60:61], v[60:61], v[80:81]
	s_waitcnt vmcnt(3)
	v_mov_b32_e32 v62, v101
	v_pk_add_f32 v[60:61], v[60:61], v[78:79]
	v_mov_b32_e32 v65, v63
	v_pk_mul_f32 v[62:63], v[68:69], v[62:63] op_sel_hi:[1,0]
	v_pk_add_f32 v[60:61], v[60:61], v[64:65]
	s_waitcnt vmcnt(2)
	v_pk_fma_f32 v[64:65], v[68:69], v[100:101], v[62:63] op_sel:[0,0,1] op_sel_hi:[1,1,0] neg_lo:[0,0,1] neg_hi:[0,0,1]
	v_pk_fma_f32 v[62:63], v[68:69], v[100:101], v[62:63] op_sel:[0,0,1] op_sel_hi:[1,0,0]
	v_mov_b32_e32 v62, v99
	v_mov_b32_e32 v65, v63
	s_waitcnt lgkmcnt(1)
	v_pk_mul_f32 v[62:63], v[70:71], v[62:63] op_sel_hi:[1,0]
	v_pk_add_f32 v[60:61], v[60:61], v[64:65]
	v_pk_fma_f32 v[64:65], v[70:71], v[98:99], v[62:63] op_sel:[0,0,1] op_sel_hi:[1,1,0] neg_lo:[0,0,1] neg_hi:[0,0,1]
	v_pk_fma_f32 v[62:63], v[70:71], v[98:99], v[62:63] op_sel:[0,0,1] op_sel_hi:[1,0,0]
	v_mov_b32_e32 v62, v97
	v_mov_b32_e32 v65, v63
	v_pk_mul_f32 v[62:63], v[72:73], v[62:63] op_sel_hi:[1,0]
	v_pk_add_f32 v[60:61], v[60:61], v[64:65]
	v_pk_fma_f32 v[64:65], v[72:73], v[96:97], v[62:63] op_sel:[0,0,1] op_sel_hi:[1,1,0] neg_lo:[0,0,1] neg_hi:[0,0,1]
	v_pk_fma_f32 v[62:63], v[72:73], v[96:97], v[62:63] op_sel:[0,0,1] op_sel_hi:[1,0,0]
	v_mov_b32_e32 v62, v95
	v_mov_b32_e32 v65, v63
	s_waitcnt lgkmcnt(0)
	v_pk_mul_f32 v[62:63], v[74:75], v[62:63] op_sel_hi:[1,0]
	v_pk_add_f32 v[60:61], v[60:61], v[64:65]
	v_pk_fma_f32 v[64:65], v[74:75], v[94:95], v[62:63] op_sel:[0,0,1] op_sel_hi:[1,1,0] neg_lo:[0,0,1] neg_hi:[0,0,1]
	v_pk_fma_f32 v[62:63], v[74:75], v[94:95], v[62:63] op_sel:[0,0,1] op_sel_hi:[1,0,0]
	s_waitcnt vmcnt(1)
	v_mov_b32_e32 v62, v103
	v_mov_b32_e32 v65, v63
	v_pk_mul_f32 v[62:63], v[76:77], v[62:63] op_sel_hi:[1,0]
	v_pk_add_f32 v[60:61], v[60:61], v[64:65]
	s_waitcnt vmcnt(0)
	v_pk_fma_f32 v[64:65], v[76:77], v[102:103], v[62:63] op_sel:[0,0,1] op_sel_hi:[1,1,0] neg_lo:[0,0,1] neg_hi:[0,0,1]
	v_pk_fma_f32 v[62:63], v[76:77], v[102:103], v[62:63] op_sel:[0,0,1] op_sel_hi:[1,0,0]
	v_mov_b32_e32 v65, v63
	v_pk_add_f32 v[60:61], v[60:61], v[64:65]
	v_pk_add_f32 v[60:61], v[86:87], v[60:61] neg_lo:[0,1] neg_hi:[0,1]
	buffer_store_dword v61, off, s[0:3], 0 offset:68
	buffer_store_dword v60, off, s[0:3], 0 offset:64
	s_and_saveexec_b64 s[4:5], vcc
	s_cbranch_execz .LBB92_173
; %bb.172:
	buffer_load_dword v60, off, s[0:3], 0 offset:56
	buffer_load_dword v61, off, s[0:3], 0 offset:60
	v_mov_b32_e32 v62, 0
	buffer_store_dword v62, off, s[0:3], 0 offset:56
	buffer_store_dword v62, off, s[0:3], 0 offset:60
	s_waitcnt vmcnt(2)
	ds_write_b64 v1, v[60:61]
.LBB92_173:
	s_or_b64 exec, exec, s[4:5]
	s_waitcnt lgkmcnt(0)
	; wave barrier
	s_waitcnt lgkmcnt(0)
	buffer_load_dword v61, off, s[0:3], 0 offset:68
	buffer_load_dword v112, off, s[0:3], 0 offset:76
	buffer_load_dword v114, off, s[0:3], 0 offset:84
	buffer_load_dword v116, off, s[0:3], 0 offset:92
	buffer_load_dword v118, off, s[0:3], 0 offset:100
	buffer_load_dword v119, off, s[0:3], 0 offset:108
	buffer_load_dword v120, off, s[0:3], 0 offset:116
	buffer_load_dword v121, off, s[0:3], 0 offset:124
	buffer_load_dword v122, off, s[0:3], 0 offset:132
	buffer_load_dword v123, off, s[0:3], 0 offset:140
	buffer_load_dword v124, off, s[0:3], 0 offset:148
	buffer_load_dword v125, off, s[0:3], 0 offset:156
	buffer_load_dword v126, off, s[0:3], 0 offset:164
	buffer_load_dword v127, off, s[0:3], 0 offset:64
	buffer_load_dword v128, off, s[0:3], 0 offset:72
	buffer_load_dword v129, off, s[0:3], 0 offset:80
	buffer_load_dword v130, off, s[0:3], 0 offset:88
	buffer_load_dword v131, off, s[0:3], 0 offset:96
	buffer_load_dword v132, off, s[0:3], 0 offset:104
	buffer_load_dword v133, off, s[0:3], 0 offset:112
	buffer_load_dword v134, off, s[0:3], 0 offset:120
	buffer_load_dword v135, off, s[0:3], 0 offset:128
	buffer_load_dword v136, off, s[0:3], 0 offset:136
	buffer_load_dword v137, off, s[0:3], 0 offset:144
	buffer_load_dword v138, off, s[0:3], 0 offset:152
	buffer_load_dword v139, off, s[0:3], 0 offset:160
	buffer_load_dword v94, off, s[0:3], 0 offset:56
	buffer_load_dword v95, off, s[0:3], 0 offset:60
	buffer_load_dword v97, off, s[0:3], 0 offset:180
	buffer_load_dword v96, off, s[0:3], 0 offset:176
	buffer_load_dword v99, off, s[0:3], 0 offset:172
	buffer_load_dword v98, off, s[0:3], 0 offset:168
	buffer_load_dword v101, off, s[0:3], 0 offset:212
	buffer_load_dword v100, off, s[0:3], 0 offset:208
	buffer_load_dword v103, off, s[0:3], 0 offset:204
	buffer_load_dword v102, off, s[0:3], 0 offset:200
	buffer_load_dword v105, off, s[0:3], 0 offset:196
	buffer_load_dword v104, off, s[0:3], 0 offset:192
	buffer_load_dword v107, off, s[0:3], 0 offset:188
	buffer_load_dword v106, off, s[0:3], 0 offset:184
	buffer_load_dword v109, off, s[0:3], 0 offset:228
	buffer_load_dword v108, off, s[0:3], 0 offset:224
	buffer_load_dword v111, off, s[0:3], 0 offset:220
	buffer_load_dword v110, off, s[0:3], 0 offset:216
	v_mov_b32_e32 v60, 0
	ds_read_b128 v[62:65], v60 offset:304
	ds_read_b128 v[66:69], v60 offset:320
	;; [unrolled: 1-line block ×8, first 2 shown]
	v_cmp_lt_u32_e32 vcc, 6, v0
	s_waitcnt vmcnt(43) lgkmcnt(7)
	v_mul_f32_e32 v117, v62, v61
	v_mul_f32_e32 v61, v63, v61
	s_waitcnt vmcnt(42)
	v_mul_f32_e32 v140, v64, v112
	s_waitcnt vmcnt(41) lgkmcnt(6)
	v_mul_f32_e32 v141, v66, v114
	s_waitcnt vmcnt(40)
	v_mul_f32_e32 v142, v68, v116
	s_waitcnt vmcnt(39) lgkmcnt(5)
	;; [unrolled: 4-line block ×5, first 2 shown]
	v_mul_f32_e32 v149, v82, v124
	s_waitcnt vmcnt(32)
	v_mul_f32_e32 v113, v84, v125
	s_waitcnt vmcnt(30)
	v_fma_f32 v61, v62, v127, -v61
	v_mul_f32_e32 v62, v65, v112
	v_add_f32_e32 v61, 0, v61
	s_waitcnt vmcnt(29)
	v_fma_f32 v62, v64, v128, -v62
	v_add_f32_e32 v61, v61, v62
	v_mul_f32_e32 v62, v67, v114
	s_waitcnt vmcnt(28)
	v_fma_f32 v62, v66, v129, -v62
	v_add_f32_e32 v61, v61, v62
	v_mul_f32_e32 v62, v69, v116
	;; [unrolled: 4-line block ×4, first 2 shown]
	s_waitcnt vmcnt(25)
	v_fma_f32 v62, v72, v132, -v62
	v_fmac_f32_e32 v117, v63, v127
	v_add_f32_e32 v61, v61, v62
	v_mul_f32_e32 v62, v75, v120
	v_fmac_f32_e32 v140, v65, v128
	v_add_f32_e32 v63, 0, v117
	s_waitcnt vmcnt(24)
	v_fma_f32 v62, v74, v133, -v62
	v_fmac_f32_e32 v141, v67, v129
	v_add_f32_e32 v63, v63, v140
	v_add_f32_e32 v61, v61, v62
	v_mul_f32_e32 v62, v77, v121
	v_fmac_f32_e32 v142, v69, v130
	v_add_f32_e32 v63, v63, v141
	s_waitcnt vmcnt(23)
	v_fma_f32 v62, v76, v134, -v62
	v_fmac_f32_e32 v143, v71, v131
	v_add_f32_e32 v63, v63, v142
	;; [unrolled: 8-line block ×4, first 2 shown]
	v_add_f32_e32 v61, v61, v62
	v_mul_f32_e32 v62, v83, v124
	v_fmac_f32_e32 v148, v81, v136
	v_add_f32_e32 v63, v63, v147
	s_waitcnt vmcnt(20)
	v_fma_f32 v62, v82, v137, -v62
	s_waitcnt vmcnt(13)
	v_mov_b32_e32 v74, v99
	v_fmac_f32_e32 v149, v83, v137
	v_add_f32_e32 v63, v63, v148
	v_add_f32_e32 v116, v61, v62
	v_mul_f32_e32 v61, v85, v125
	s_waitcnt lgkmcnt(1)
	v_pk_mul_f32 v[74:75], v[88:89], v[74:75] op_sel_hi:[1,0]
	v_mul_f32_e32 v115, v86, v126
	v_fmac_f32_e32 v113, v85, v138
	v_add_f32_e32 v117, v63, v149
	v_fma_f32 v112, v84, v138, -v61
	v_mul_f32_e32 v61, v87, v126
	s_waitcnt vmcnt(12)
	v_pk_fma_f32 v[76:77], v[88:89], v[98:99], v[74:75] op_sel:[0,0,1] op_sel_hi:[1,1,0] neg_lo:[0,0,1] neg_hi:[0,0,1]
	v_pk_fma_f32 v[74:75], v[88:89], v[98:99], v[74:75] op_sel:[0,0,1] op_sel_hi:[1,0,0]
	v_fmac_f32_e32 v115, v87, v139
	v_fma_f32 v114, v86, v139, -v61
	v_pk_add_f32 v[72:73], v[116:117], v[112:113]
	v_mov_b32_e32 v74, v97
	v_pk_add_f32 v[72:73], v[72:73], v[114:115]
	v_mov_b32_e32 v77, v75
	s_waitcnt lgkmcnt(0)
	v_pk_mul_f32 v[74:75], v[90:91], v[74:75] op_sel_hi:[1,0]
	v_pk_add_f32 v[72:73], v[72:73], v[76:77]
	v_pk_fma_f32 v[76:77], v[90:91], v[96:97], v[74:75] op_sel:[0,0,1] op_sel_hi:[1,1,0] neg_lo:[0,0,1] neg_hi:[0,0,1]
	v_pk_fma_f32 v[74:75], v[90:91], v[96:97], v[74:75] op_sel:[0,0,1] op_sel_hi:[1,0,0]
	s_waitcnt vmcnt(5)
	v_mov_b32_e32 v74, v107
	ds_read_b128 v[62:65], v60 offset:432
	ds_read_b128 v[66:69], v60 offset:448
	ds_read_b64 v[70:71], v60 offset:464
	v_mov_b32_e32 v77, v75
	v_pk_mul_f32 v[74:75], v[92:93], v[74:75] op_sel_hi:[1,0]
	v_pk_add_f32 v[72:73], v[72:73], v[76:77]
	s_waitcnt vmcnt(4)
	v_pk_fma_f32 v[76:77], v[92:93], v[106:107], v[74:75] op_sel:[0,0,1] op_sel_hi:[1,1,0] neg_lo:[0,0,1] neg_hi:[0,0,1]
	v_pk_fma_f32 v[74:75], v[92:93], v[106:107], v[74:75] op_sel:[0,0,1] op_sel_hi:[1,0,0]
	v_mov_b32_e32 v74, v105
	v_mov_b32_e32 v77, v75
	s_waitcnt lgkmcnt(2)
	v_pk_mul_f32 v[74:75], v[62:63], v[74:75] op_sel_hi:[1,0]
	v_pk_add_f32 v[72:73], v[72:73], v[76:77]
	v_pk_fma_f32 v[76:77], v[62:63], v[104:105], v[74:75] op_sel:[0,0,1] op_sel_hi:[1,1,0] neg_lo:[0,0,1] neg_hi:[0,0,1]
	v_pk_fma_f32 v[62:63], v[62:63], v[104:105], v[74:75] op_sel:[0,0,1] op_sel_hi:[1,0,0]
	v_mov_b32_e32 v77, v63
	v_pk_add_f32 v[62:63], v[72:73], v[76:77]
	v_mov_b32_e32 v72, v103
	v_pk_mul_f32 v[72:73], v[64:65], v[72:73] op_sel_hi:[1,0]
	v_pk_fma_f32 v[74:75], v[64:65], v[102:103], v[72:73] op_sel:[0,0,1] op_sel_hi:[1,1,0] neg_lo:[0,0,1] neg_hi:[0,0,1]
	v_pk_fma_f32 v[64:65], v[64:65], v[102:103], v[72:73] op_sel:[0,0,1] op_sel_hi:[1,0,0]
	v_mov_b32_e32 v64, v101
	v_mov_b32_e32 v75, v65
	s_waitcnt lgkmcnt(1)
	v_pk_mul_f32 v[64:65], v[66:67], v[64:65] op_sel_hi:[1,0]
	v_pk_fma_f32 v[72:73], v[66:67], v[100:101], v[64:65] op_sel:[0,0,1] op_sel_hi:[1,1,0] neg_lo:[0,0,1] neg_hi:[0,0,1]
	v_pk_fma_f32 v[64:65], v[66:67], v[100:101], v[64:65] op_sel:[0,0,1] op_sel_hi:[1,0,0]
	s_waitcnt vmcnt(1)
	v_mov_b32_e32 v64, v111
	v_mov_b32_e32 v73, v65
	v_pk_mul_f32 v[64:65], v[68:69], v[64:65] op_sel_hi:[1,0]
	s_waitcnt vmcnt(0)
	v_pk_fma_f32 v[66:67], v[68:69], v[110:111], v[64:65] op_sel:[0,0,1] op_sel_hi:[1,1,0] neg_lo:[0,0,1] neg_hi:[0,0,1]
	v_pk_fma_f32 v[64:65], v[68:69], v[110:111], v[64:65] op_sel:[0,0,1] op_sel_hi:[1,0,0]
	v_pk_add_f32 v[62:63], v[62:63], v[74:75]
	v_mov_b32_e32 v64, v109
	v_pk_add_f32 v[62:63], v[62:63], v[72:73]
	v_mov_b32_e32 v67, v65
	s_waitcnt lgkmcnt(0)
	v_pk_mul_f32 v[64:65], v[70:71], v[64:65] op_sel_hi:[1,0]
	v_pk_add_f32 v[62:63], v[62:63], v[66:67]
	v_pk_fma_f32 v[66:67], v[70:71], v[108:109], v[64:65] op_sel:[0,0,1] op_sel_hi:[1,1,0] neg_lo:[0,0,1] neg_hi:[0,0,1]
	v_pk_fma_f32 v[64:65], v[70:71], v[108:109], v[64:65] op_sel:[0,0,1] op_sel_hi:[1,0,0]
	v_mov_b32_e32 v67, v65
	v_pk_add_f32 v[62:63], v[62:63], v[66:67]
	v_pk_add_f32 v[62:63], v[94:95], v[62:63] neg_lo:[0,1] neg_hi:[0,1]
	buffer_store_dword v63, off, s[0:3], 0 offset:60
	buffer_store_dword v62, off, s[0:3], 0 offset:56
	s_and_saveexec_b64 s[4:5], vcc
	s_cbranch_execz .LBB92_175
; %bb.174:
	buffer_load_dword v62, off, s[0:3], 0 offset:48
	buffer_load_dword v63, off, s[0:3], 0 offset:52
	s_waitcnt vmcnt(0)
	ds_write_b64 v1, v[62:63]
	buffer_store_dword v60, off, s[0:3], 0 offset:48
	buffer_store_dword v60, off, s[0:3], 0 offset:52
.LBB92_175:
	s_or_b64 exec, exec, s[4:5]
	s_waitcnt lgkmcnt(0)
	; wave barrier
	s_waitcnt lgkmcnt(0)
	buffer_load_dword v61, off, s[0:3], 0 offset:60
	buffer_load_dword v112, off, s[0:3], 0 offset:68
	;; [unrolled: 1-line block ×30, first 2 shown]
	ds_read2_b64 v[62:65], v60 offset0:37 offset1:38
	ds_read2_b64 v[66:69], v60 offset0:39 offset1:40
	;; [unrolled: 1-line block ×6, first 2 shown]
	buffer_load_dword v97, off, s[0:3], 0 offset:172
	buffer_load_dword v96, off, s[0:3], 0 offset:168
	ds_read2_b64 v[86:89], v60 offset0:49 offset1:50
	ds_read2_b64 v[90:93], v60 offset0:51 offset1:52
	buffer_load_dword v99, off, s[0:3], 0 offset:204
	buffer_load_dword v98, off, s[0:3], 0 offset:200
	;; [unrolled: 1-line block ×14, first 2 shown]
	v_cmp_lt_u32_e32 vcc, 5, v0
	s_waitcnt vmcnt(45) lgkmcnt(7)
	v_mul_f32_e32 v115, v62, v61
	v_mul_f32_e32 v61, v63, v61
	s_waitcnt vmcnt(44)
	v_mul_f32_e32 v117, v64, v112
	s_waitcnt vmcnt(43) lgkmcnt(6)
	v_mul_f32_e32 v142, v66, v114
	s_waitcnt vmcnt(42)
	v_mul_f32_e32 v143, v68, v116
	s_waitcnt vmcnt(41) lgkmcnt(5)
	;; [unrolled: 4-line block ×5, first 2 shown]
	v_mul_f32_e32 v150, v82, v124
	s_waitcnt vmcnt(34)
	v_mul_f32_e32 v151, v84, v125
	s_waitcnt vmcnt(32)
	v_fma_f32 v61, v62, v127, -v61
	v_mul_f32_e32 v62, v65, v112
	v_add_f32_e32 v61, 0, v61
	s_waitcnt vmcnt(31)
	v_fma_f32 v62, v64, v128, -v62
	v_add_f32_e32 v61, v61, v62
	v_mul_f32_e32 v62, v67, v114
	s_waitcnt vmcnt(30)
	v_fma_f32 v62, v66, v129, -v62
	v_add_f32_e32 v61, v61, v62
	v_mul_f32_e32 v62, v69, v116
	;; [unrolled: 4-line block ×5, first 2 shown]
	v_fmac_f32_e32 v115, v63, v127
	s_waitcnt vmcnt(26)
	v_fma_f32 v62, v74, v133, -v62
	v_fmac_f32_e32 v117, v65, v128
	v_add_f32_e32 v115, 0, v115
	v_add_f32_e32 v61, v61, v62
	v_mul_f32_e32 v62, v77, v121
	v_fmac_f32_e32 v142, v67, v129
	v_add_f32_e32 v115, v115, v117
	s_waitcnt vmcnt(25)
	v_fma_f32 v62, v76, v134, -v62
	v_fmac_f32_e32 v143, v69, v130
	v_add_f32_e32 v115, v115, v142
	v_add_f32_e32 v61, v61, v62
	v_mul_f32_e32 v62, v79, v122
	v_fmac_f32_e32 v144, v71, v131
	v_add_f32_e32 v115, v115, v143
	;; [unrolled: 8-line block ×5, first 2 shown]
	s_waitcnt vmcnt(21)
	v_fma_f32 v62, v84, v138, -v62
	s_waitcnt vmcnt(15)
	v_mov_b32_e32 v74, v97
	s_waitcnt lgkmcnt(1)
	v_mul_f32_e32 v113, v86, v126
	v_fmac_f32_e32 v151, v85, v138
	v_add_f32_e32 v115, v115, v150
	v_add_f32_e32 v114, v61, v62
	v_mul_f32_e32 v61, v87, v126
	s_waitcnt lgkmcnt(0)
	v_pk_mul_f32 v[74:75], v[90:91], v[74:75] op_sel_hi:[1,0]
	v_fmac_f32_e32 v113, v87, v139
	v_add_f32_e32 v115, v115, v151
	v_mul_f32_e32 v117, v88, v140
	v_fma_f32 v112, v86, v139, -v61
	v_mul_f32_e32 v61, v89, v140
	s_waitcnt vmcnt(14)
	v_pk_fma_f32 v[76:77], v[90:91], v[96:97], v[74:75] op_sel:[0,0,1] op_sel_hi:[1,1,0] neg_lo:[0,0,1] neg_hi:[0,0,1]
	v_pk_fma_f32 v[74:75], v[90:91], v[96:97], v[74:75] op_sel:[0,0,1] op_sel_hi:[1,0,0]
	v_fmac_f32_e32 v117, v89, v141
	v_fma_f32 v116, v88, v141, -v61
	ds_read2_b64 v[62:65], v60 offset0:53 offset1:54
	ds_read2_b64 v[66:69], v60 offset0:55 offset1:56
	;; [unrolled: 1-line block ×3, first 2 shown]
	v_pk_add_f32 v[60:61], v[114:115], v[112:113]
	s_waitcnt vmcnt(7)
	v_mov_b32_e32 v74, v105
	v_pk_add_f32 v[60:61], v[60:61], v[116:117]
	v_mov_b32_e32 v77, v75
	v_pk_mul_f32 v[74:75], v[92:93], v[74:75] op_sel_hi:[1,0]
	v_pk_add_f32 v[60:61], v[60:61], v[76:77]
	s_waitcnt vmcnt(6)
	v_pk_fma_f32 v[76:77], v[92:93], v[104:105], v[74:75] op_sel:[0,0,1] op_sel_hi:[1,1,0] neg_lo:[0,0,1] neg_hi:[0,0,1]
	v_pk_fma_f32 v[74:75], v[92:93], v[104:105], v[74:75] op_sel:[0,0,1] op_sel_hi:[1,0,0]
	v_mov_b32_e32 v74, v103
	v_mov_b32_e32 v77, v75
	s_waitcnt lgkmcnt(2)
	v_pk_mul_f32 v[74:75], v[62:63], v[74:75] op_sel_hi:[1,0]
	v_pk_add_f32 v[60:61], v[60:61], v[76:77]
	v_pk_fma_f32 v[76:77], v[62:63], v[102:103], v[74:75] op_sel:[0,0,1] op_sel_hi:[1,1,0] neg_lo:[0,0,1] neg_hi:[0,0,1]
	v_pk_fma_f32 v[62:63], v[62:63], v[102:103], v[74:75] op_sel:[0,0,1] op_sel_hi:[1,0,0]
	v_mov_b32_e32 v62, v101
	v_mov_b32_e32 v77, v63
	v_pk_mul_f32 v[62:63], v[64:65], v[62:63] op_sel_hi:[1,0]
	v_pk_fma_f32 v[74:75], v[64:65], v[100:101], v[62:63] op_sel:[0,0,1] op_sel_hi:[1,1,0] neg_lo:[0,0,1] neg_hi:[0,0,1]
	v_pk_fma_f32 v[62:63], v[64:65], v[100:101], v[62:63] op_sel:[0,0,1] op_sel_hi:[1,0,0]
	v_mov_b32_e32 v62, v99
	v_mov_b32_e32 v75, v63
	s_waitcnt lgkmcnt(1)
	v_pk_mul_f32 v[62:63], v[66:67], v[62:63] op_sel_hi:[1,0]
	v_pk_fma_f32 v[64:65], v[66:67], v[98:99], v[62:63] op_sel:[0,0,1] op_sel_hi:[1,1,0] neg_lo:[0,0,1] neg_hi:[0,0,1]
	v_pk_fma_f32 v[62:63], v[66:67], v[98:99], v[62:63] op_sel:[0,0,1] op_sel_hi:[1,0,0]
	v_pk_add_f32 v[60:61], v[60:61], v[76:77]
	s_waitcnt vmcnt(1)
	v_mov_b32_e32 v62, v111
	v_pk_add_f32 v[60:61], v[60:61], v[74:75]
	v_mov_b32_e32 v65, v63
	v_pk_mul_f32 v[62:63], v[68:69], v[62:63] op_sel_hi:[1,0]
	v_pk_add_f32 v[60:61], v[60:61], v[64:65]
	s_waitcnt vmcnt(0)
	v_pk_fma_f32 v[64:65], v[68:69], v[110:111], v[62:63] op_sel:[0,0,1] op_sel_hi:[1,1,0] neg_lo:[0,0,1] neg_hi:[0,0,1]
	v_pk_fma_f32 v[62:63], v[68:69], v[110:111], v[62:63] op_sel:[0,0,1] op_sel_hi:[1,0,0]
	v_mov_b32_e32 v62, v109
	v_mov_b32_e32 v65, v63
	s_waitcnt lgkmcnt(0)
	v_pk_mul_f32 v[62:63], v[70:71], v[62:63] op_sel_hi:[1,0]
	v_pk_add_f32 v[60:61], v[60:61], v[64:65]
	v_pk_fma_f32 v[64:65], v[70:71], v[108:109], v[62:63] op_sel:[0,0,1] op_sel_hi:[1,1,0] neg_lo:[0,0,1] neg_hi:[0,0,1]
	v_pk_fma_f32 v[62:63], v[70:71], v[108:109], v[62:63] op_sel:[0,0,1] op_sel_hi:[1,0,0]
	v_mov_b32_e32 v62, v107
	v_mov_b32_e32 v65, v63
	v_pk_mul_f32 v[62:63], v[72:73], v[62:63] op_sel_hi:[1,0]
	v_pk_add_f32 v[60:61], v[60:61], v[64:65]
	v_pk_fma_f32 v[64:65], v[72:73], v[106:107], v[62:63] op_sel:[0,0,1] op_sel_hi:[1,1,0] neg_lo:[0,0,1] neg_hi:[0,0,1]
	v_pk_fma_f32 v[62:63], v[72:73], v[106:107], v[62:63] op_sel:[0,0,1] op_sel_hi:[1,0,0]
	v_mov_b32_e32 v65, v63
	v_pk_add_f32 v[60:61], v[60:61], v[64:65]
	v_pk_add_f32 v[60:61], v[94:95], v[60:61] neg_lo:[0,1] neg_hi:[0,1]
	buffer_store_dword v61, off, s[0:3], 0 offset:52
	buffer_store_dword v60, off, s[0:3], 0 offset:48
	s_and_saveexec_b64 s[4:5], vcc
	s_cbranch_execz .LBB92_177
; %bb.176:
	buffer_load_dword v60, off, s[0:3], 0 offset:40
	buffer_load_dword v61, off, s[0:3], 0 offset:44
	v_mov_b32_e32 v62, 0
	buffer_store_dword v62, off, s[0:3], 0 offset:40
	buffer_store_dword v62, off, s[0:3], 0 offset:44
	s_waitcnt vmcnt(2)
	ds_write_b64 v1, v[60:61]
.LBB92_177:
	s_or_b64 exec, exec, s[4:5]
	s_waitcnt lgkmcnt(0)
	; wave barrier
	s_waitcnt lgkmcnt(0)
	buffer_load_dword v61, off, s[0:3], 0 offset:52
	buffer_load_dword v110, off, s[0:3], 0 offset:60
	;; [unrolled: 1-line block ×32, first 2 shown]
	v_mov_b32_e32 v60, 0
	buffer_load_dword v97, off, s[0:3], 0 offset:196
	buffer_load_dword v96, off, s[0:3], 0 offset:192
	;; [unrolled: 1-line block ×13, first 2 shown]
	ds_read_b128 v[62:65], v60 offset:288
	ds_read_b128 v[66:69], v60 offset:304
	;; [unrolled: 1-line block ×8, first 2 shown]
	v_cmp_lt_u32_e32 vcc, 4, v0
	s_waitcnt vmcnt(44) lgkmcnt(7)
	v_mul_f32_e32 v104, v62, v61
	s_waitcnt vmcnt(43)
	v_mul_f32_e32 v111, v64, v110
	s_waitcnt vmcnt(42) lgkmcnt(6)
	v_mul_f32_e32 v112, v66, v114
	s_waitcnt vmcnt(41)
	v_mul_f32_e32 v113, v68, v116
	;; [unrolled: 4-line block ×6, first 2 shown]
	s_waitcnt vmcnt(32) lgkmcnt(1)
	v_mul_f32_e32 v150, v86, v126
	s_waitcnt vmcnt(31)
	v_fmac_f32_e32 v104, v63, v127
	s_waitcnt vmcnt(30)
	v_fmac_f32_e32 v111, v65, v128
	v_add_f32_e32 v104, 0, v104
	s_waitcnt vmcnt(29)
	v_fmac_f32_e32 v112, v67, v129
	v_add_f32_e32 v104, v104, v111
	;; [unrolled: 3-line block ×12, first 2 shown]
	v_add_f32_e32 v111, v104, v150
	buffer_load_dword v113, off, s[0:3], 0 offset:212
	buffer_load_dword v112, off, s[0:3], 0 offset:208
	;; [unrolled: 1-line block ×3, first 2 shown]
	v_mul_f32_e32 v61, v63, v61
	v_fma_f32 v61, v62, v127, -v61
	v_mul_f32_e32 v62, v65, v110
	v_add_f32_e32 v61, 0, v61
	v_fma_f32 v62, v64, v128, -v62
	v_add_f32_e32 v61, v61, v62
	v_mul_f32_e32 v62, v67, v114
	v_fma_f32 v62, v66, v129, -v62
	v_add_f32_e32 v61, v61, v62
	v_mul_f32_e32 v62, v69, v116
	;; [unrolled: 3-line block ×11, first 2 shown]
	v_fma_f32 v62, v86, v139, -v62
	s_waitcnt vmcnt(9)
	v_mov_b32_e32 v78, v103
	v_mul_f32_e32 v115, v88, v140
	v_add_f32_e32 v110, v61, v62
	v_mul_f32_e32 v61, v89, v140
	s_waitcnt lgkmcnt(0)
	v_pk_mul_f32 v[78:79], v[92:93], v[78:79] op_sel_hi:[1,0]
	v_fmac_f32_e32 v115, v89, v141
	v_mul_f32_e32 v117, v90, v142
	v_fma_f32 v114, v88, v141, -v61
	v_mul_f32_e32 v61, v91, v142
	ds_read_b128 v[62:65], v60 offset:416
	ds_read_b128 v[66:69], v60 offset:432
	;; [unrolled: 1-line block ×3, first 2 shown]
	ds_read_b64 v[74:75], v60 offset:464
	s_waitcnt vmcnt(8)
	v_pk_fma_f32 v[80:81], v[92:93], v[102:103], v[78:79] op_sel:[0,0,1] op_sel_hi:[1,1,0] neg_lo:[0,0,1] neg_hi:[0,0,1]
	v_pk_fma_f32 v[78:79], v[92:93], v[102:103], v[78:79] op_sel:[0,0,1] op_sel_hi:[1,0,0]
	v_fmac_f32_e32 v117, v91, v143
	v_fma_f32 v116, v90, v143, -v61
	v_pk_add_f32 v[76:77], v[110:111], v[114:115]
	v_mov_b32_e32 v78, v101
	v_pk_add_f32 v[76:77], v[76:77], v[116:117]
	v_mov_b32_e32 v81, v79
	s_waitcnt lgkmcnt(3)
	v_pk_mul_f32 v[78:79], v[62:63], v[78:79] op_sel_hi:[1,0]
	v_pk_add_f32 v[76:77], v[76:77], v[80:81]
	v_pk_fma_f32 v[80:81], v[62:63], v[100:101], v[78:79] op_sel:[0,0,1] op_sel_hi:[1,1,0] neg_lo:[0,0,1] neg_hi:[0,0,1]
	v_pk_fma_f32 v[62:63], v[62:63], v[100:101], v[78:79] op_sel:[0,0,1] op_sel_hi:[1,0,0]
	v_mov_b32_e32 v81, v63
	v_pk_add_f32 v[62:63], v[76:77], v[80:81]
	v_mov_b32_e32 v76, v99
	v_pk_mul_f32 v[76:77], v[64:65], v[76:77] op_sel_hi:[1,0]
	v_pk_fma_f32 v[78:79], v[64:65], v[98:99], v[76:77] op_sel:[0,0,1] op_sel_hi:[1,1,0] neg_lo:[0,0,1] neg_hi:[0,0,1]
	v_pk_fma_f32 v[64:65], v[64:65], v[98:99], v[76:77] op_sel:[0,0,1] op_sel_hi:[1,0,0]
	v_mov_b32_e32 v64, v97
	v_mov_b32_e32 v79, v65
	s_waitcnt lgkmcnt(2)
	v_pk_mul_f32 v[64:65], v[66:67], v[64:65] op_sel_hi:[1,0]
	v_pk_fma_f32 v[76:77], v[66:67], v[96:97], v[64:65] op_sel:[0,0,1] op_sel_hi:[1,1,0] neg_lo:[0,0,1] neg_hi:[0,0,1]
	v_pk_fma_f32 v[64:65], v[66:67], v[96:97], v[64:65] op_sel:[0,0,1] op_sel_hi:[1,0,0]
	s_waitcnt vmcnt(7)
	v_mov_b32_e32 v64, v105
	v_mov_b32_e32 v77, v65
	v_pk_mul_f32 v[64:65], v[68:69], v[64:65] op_sel_hi:[1,0]
	v_pk_add_f32 v[62:63], v[62:63], v[78:79]
	v_pk_add_f32 v[62:63], v[62:63], v[76:77]
	s_waitcnt vmcnt(0)
	v_pk_fma_f32 v[66:67], v[68:69], v[104:105], v[64:65] op_sel:[0,0,1] op_sel_hi:[1,1,0] neg_lo:[0,0,1] neg_hi:[0,0,1]
	v_pk_fma_f32 v[64:65], v[68:69], v[104:105], v[64:65] op_sel:[0,0,1] op_sel_hi:[1,0,0]
	v_mov_b32_e32 v64, v113
	v_mov_b32_e32 v67, v65
	s_waitcnt lgkmcnt(1)
	v_pk_mul_f32 v[64:65], v[70:71], v[64:65] op_sel_hi:[1,0]
	v_pk_add_f32 v[62:63], v[62:63], v[66:67]
	v_pk_fma_f32 v[66:67], v[70:71], v[112:113], v[64:65] op_sel:[0,0,1] op_sel_hi:[1,1,0] neg_lo:[0,0,1] neg_hi:[0,0,1]
	v_pk_fma_f32 v[64:65], v[70:71], v[112:113], v[64:65] op_sel:[0,0,1] op_sel_hi:[1,0,0]
	v_mov_b32_e32 v64, v109
	v_mov_b32_e32 v67, v65
	v_pk_mul_f32 v[64:65], v[72:73], v[64:65] op_sel_hi:[1,0]
	v_pk_add_f32 v[62:63], v[62:63], v[66:67]
	v_pk_fma_f32 v[66:67], v[72:73], v[108:109], v[64:65] op_sel:[0,0,1] op_sel_hi:[1,1,0] neg_lo:[0,0,1] neg_hi:[0,0,1]
	v_pk_fma_f32 v[64:65], v[72:73], v[108:109], v[64:65] op_sel:[0,0,1] op_sel_hi:[1,0,0]
	v_mov_b32_e32 v64, v107
	v_mov_b32_e32 v67, v65
	s_waitcnt lgkmcnt(0)
	v_pk_mul_f32 v[64:65], v[74:75], v[64:65] op_sel_hi:[1,0]
	v_pk_add_f32 v[62:63], v[62:63], v[66:67]
	v_pk_fma_f32 v[66:67], v[74:75], v[106:107], v[64:65] op_sel:[0,0,1] op_sel_hi:[1,1,0] neg_lo:[0,0,1] neg_hi:[0,0,1]
	v_pk_fma_f32 v[64:65], v[74:75], v[106:107], v[64:65] op_sel:[0,0,1] op_sel_hi:[1,0,0]
	v_mov_b32_e32 v67, v65
	v_pk_add_f32 v[62:63], v[62:63], v[66:67]
	v_pk_add_f32 v[62:63], v[94:95], v[62:63] neg_lo:[0,1] neg_hi:[0,1]
	buffer_store_dword v63, off, s[0:3], 0 offset:44
	buffer_store_dword v62, off, s[0:3], 0 offset:40
	s_and_saveexec_b64 s[4:5], vcc
	s_cbranch_execz .LBB92_179
; %bb.178:
	buffer_load_dword v62, off, s[0:3], 0 offset:32
	buffer_load_dword v63, off, s[0:3], 0 offset:36
	s_waitcnt vmcnt(0)
	ds_write_b64 v1, v[62:63]
	buffer_store_dword v60, off, s[0:3], 0 offset:32
	buffer_store_dword v60, off, s[0:3], 0 offset:36
.LBB92_179:
	s_or_b64 exec, exec, s[4:5]
	s_waitcnt lgkmcnt(0)
	; wave barrier
	s_waitcnt lgkmcnt(0)
	buffer_load_dword v61, off, s[0:3], 0 offset:44
	buffer_load_dword v110, off, s[0:3], 0 offset:52
	;; [unrolled: 1-line block ×34, first 2 shown]
	ds_read2_b64 v[62:65], v60 offset0:35 offset1:36
	ds_read2_b64 v[66:69], v60 offset0:37 offset1:38
	;; [unrolled: 1-line block ×8, first 2 shown]
	buffer_load_dword v97, off, s[0:3], 0 offset:188
	buffer_load_dword v96, off, s[0:3], 0 offset:184
	;; [unrolled: 1-line block ×9, first 2 shown]
	v_cmp_lt_u32_e32 vcc, 3, v0
	s_waitcnt vmcnt(42) lgkmcnt(7)
	v_mul_f32_e32 v102, v62, v61
	s_waitcnt vmcnt(41)
	v_mul_f32_e32 v106, v64, v110
	s_waitcnt vmcnt(40) lgkmcnt(6)
	v_mul_f32_e32 v107, v66, v112
	s_waitcnt vmcnt(39)
	v_mul_f32_e32 v108, v68, v114
	;; [unrolled: 4-line block ×6, first 2 shown]
	s_waitcnt vmcnt(30) lgkmcnt(1)
	v_mul_f32_e32 v148, v86, v126
	v_mul_f32_e32 v61, v63, v61
	s_waitcnt vmcnt(28)
	v_fmac_f32_e32 v102, v63, v128
	s_waitcnt vmcnt(27)
	v_fmac_f32_e32 v106, v65, v129
	v_add_f32_e32 v102, 0, v102
	s_waitcnt vmcnt(26)
	v_fmac_f32_e32 v107, v67, v130
	v_add_f32_e32 v102, v102, v106
	;; [unrolled: 3-line block ×12, first 2 shown]
	v_add_f32_e32 v111, v102, v148
	buffer_load_dword v107, off, s[0:3], 0 offset:212
	buffer_load_dword v106, off, s[0:3], 0 offset:208
	;; [unrolled: 1-line block ×7, first 2 shown]
	v_fma_f32 v61, v62, v128, -v61
	v_mul_f32_e32 v62, v65, v110
	v_add_f32_e32 v61, 0, v61
	v_fma_f32 v62, v64, v129, -v62
	v_add_f32_e32 v61, v61, v62
	v_mul_f32_e32 v62, v67, v112
	v_fma_f32 v62, v66, v130, -v62
	v_add_f32_e32 v61, v61, v62
	v_mul_f32_e32 v62, v69, v114
	;; [unrolled: 3-line block ×12, first 2 shown]
	s_waitcnt vmcnt(22)
	v_fma_f32 v62, v88, v141, -v62
	v_add_f32_e32 v110, v61, v62
	ds_read2_b64 v[62:65], v60 offset0:51 offset1:52
	ds_read2_b64 v[66:69], v60 offset0:53 offset1:54
	;; [unrolled: 1-line block ×4, first 2 shown]
	s_waitcnt vmcnt(11)
	v_mov_b32_e32 v78, v101
	s_waitcnt lgkmcnt(3)
	v_pk_mul_f32 v[78:79], v[62:63], v[78:79] op_sel_hi:[1,0]
	s_waitcnt vmcnt(10)
	v_pk_fma_f32 v[80:81], v[62:63], v[100:101], v[78:79] op_sel:[0,0,1] op_sel_hi:[1,1,0] neg_lo:[0,0,1] neg_hi:[0,0,1]
	v_pk_fma_f32 v[62:63], v[62:63], v[100:101], v[78:79] op_sel:[0,0,1] op_sel_hi:[1,0,0]
	v_mov_b32_e32 v62, v99
	v_mul_f32_e32 v149, v88, v127
	v_mov_b32_e32 v81, v63
	v_pk_mul_f32 v[62:63], v[64:65], v[62:63] op_sel_hi:[1,0]
	v_fmac_f32_e32 v149, v89, v141
	v_mul_f32_e32 v113, v90, v142
	v_mul_f32_e32 v61, v91, v142
	v_pk_fma_f32 v[78:79], v[64:65], v[98:99], v[62:63] op_sel:[0,0,1] op_sel_hi:[1,1,0] neg_lo:[0,0,1] neg_hi:[0,0,1]
	v_pk_fma_f32 v[62:63], v[64:65], v[98:99], v[62:63] op_sel:[0,0,1] op_sel_hi:[1,0,0]
	v_add_f32_e32 v111, v111, v149
	v_fmac_f32_e32 v113, v91, v143
	v_mul_f32_e32 v115, v92, v144
	v_fma_f32 v112, v90, v143, -v61
	v_mul_f32_e32 v61, v93, v144
	v_mov_b32_e32 v62, v97
	v_fmac_f32_e32 v115, v93, v145
	v_fma_f32 v114, v92, v145, -v61
	v_pk_add_f32 v[60:61], v[110:111], v[112:113]
	v_mov_b32_e32 v79, v63
	s_waitcnt lgkmcnt(2)
	v_pk_mul_f32 v[62:63], v[66:67], v[62:63] op_sel_hi:[1,0]
	v_pk_add_f32 v[60:61], v[60:61], v[114:115]
	v_pk_fma_f32 v[64:65], v[66:67], v[96:97], v[62:63] op_sel:[0,0,1] op_sel_hi:[1,1,0] neg_lo:[0,0,1] neg_hi:[0,0,1]
	v_pk_fma_f32 v[62:63], v[66:67], v[96:97], v[62:63] op_sel:[0,0,1] op_sel_hi:[1,0,0]
	v_pk_add_f32 v[60:61], v[60:61], v[80:81]
	s_waitcnt vmcnt(9)
	v_mov_b32_e32 v62, v103
	v_pk_add_f32 v[60:61], v[60:61], v[78:79]
	v_mov_b32_e32 v65, v63
	v_pk_mul_f32 v[62:63], v[68:69], v[62:63] op_sel_hi:[1,0]
	v_pk_add_f32 v[60:61], v[60:61], v[64:65]
	s_waitcnt vmcnt(2)
	v_pk_fma_f32 v[64:65], v[68:69], v[102:103], v[62:63] op_sel:[0,0,1] op_sel_hi:[1,1,0] neg_lo:[0,0,1] neg_hi:[0,0,1]
	v_pk_fma_f32 v[62:63], v[68:69], v[102:103], v[62:63] op_sel:[0,0,1] op_sel_hi:[1,0,0]
	v_mov_b32_e32 v62, v109
	v_mov_b32_e32 v65, v63
	s_waitcnt lgkmcnt(1)
	v_pk_mul_f32 v[62:63], v[70:71], v[62:63] op_sel_hi:[1,0]
	v_pk_add_f32 v[60:61], v[60:61], v[64:65]
	v_pk_fma_f32 v[64:65], v[70:71], v[108:109], v[62:63] op_sel:[0,0,1] op_sel_hi:[1,1,0] neg_lo:[0,0,1] neg_hi:[0,0,1]
	v_pk_fma_f32 v[62:63], v[70:71], v[108:109], v[62:63] op_sel:[0,0,1] op_sel_hi:[1,0,0]
	v_mov_b32_e32 v62, v107
	v_mov_b32_e32 v65, v63
	v_pk_mul_f32 v[62:63], v[72:73], v[62:63] op_sel_hi:[1,0]
	v_pk_add_f32 v[60:61], v[60:61], v[64:65]
	v_pk_fma_f32 v[64:65], v[72:73], v[106:107], v[62:63] op_sel:[0,0,1] op_sel_hi:[1,1,0] neg_lo:[0,0,1] neg_hi:[0,0,1]
	v_pk_fma_f32 v[62:63], v[72:73], v[106:107], v[62:63] op_sel:[0,0,1] op_sel_hi:[1,0,0]
	v_mov_b32_e32 v62, v105
	v_mov_b32_e32 v65, v63
	s_waitcnt lgkmcnt(0)
	v_pk_mul_f32 v[62:63], v[74:75], v[62:63] op_sel_hi:[1,0]
	v_pk_add_f32 v[60:61], v[60:61], v[64:65]
	v_pk_fma_f32 v[64:65], v[74:75], v[104:105], v[62:63] op_sel:[0,0,1] op_sel_hi:[1,1,0] neg_lo:[0,0,1] neg_hi:[0,0,1]
	v_pk_fma_f32 v[62:63], v[74:75], v[104:105], v[62:63] op_sel:[0,0,1] op_sel_hi:[1,0,0]
	s_waitcnt vmcnt(1)
	v_mov_b32_e32 v62, v117
	v_mov_b32_e32 v65, v63
	v_pk_mul_f32 v[62:63], v[76:77], v[62:63] op_sel_hi:[1,0]
	v_pk_add_f32 v[60:61], v[60:61], v[64:65]
	s_waitcnt vmcnt(0)
	v_pk_fma_f32 v[64:65], v[76:77], v[116:117], v[62:63] op_sel:[0,0,1] op_sel_hi:[1,1,0] neg_lo:[0,0,1] neg_hi:[0,0,1]
	v_pk_fma_f32 v[62:63], v[76:77], v[116:117], v[62:63] op_sel:[0,0,1] op_sel_hi:[1,0,0]
	v_mov_b32_e32 v65, v63
	v_pk_add_f32 v[60:61], v[60:61], v[64:65]
	v_pk_add_f32 v[60:61], v[94:95], v[60:61] neg_lo:[0,1] neg_hi:[0,1]
	buffer_store_dword v61, off, s[0:3], 0 offset:36
	buffer_store_dword v60, off, s[0:3], 0 offset:32
	s_and_saveexec_b64 s[4:5], vcc
	s_cbranch_execz .LBB92_181
; %bb.180:
	buffer_load_dword v60, off, s[0:3], 0 offset:24
	buffer_load_dword v61, off, s[0:3], 0 offset:28
	v_mov_b32_e32 v62, 0
	buffer_store_dword v62, off, s[0:3], 0 offset:24
	buffer_store_dword v62, off, s[0:3], 0 offset:28
	s_waitcnt vmcnt(2)
	ds_write_b64 v1, v[60:61]
.LBB92_181:
	s_or_b64 exec, exec, s[4:5]
	s_waitcnt lgkmcnt(0)
	; wave barrier
	s_waitcnt lgkmcnt(0)
	buffer_load_dword v63, off, s[0:3], 0 offset:36
	buffer_load_dword v116, off, s[0:3], 0 offset:44
	;; [unrolled: 1-line block ×36, first 2 shown]
	v_mov_b32_e32 v62, 0
	buffer_load_dword v105, off, s[0:3], 0 offset:180
	buffer_load_dword v104, off, s[0:3], 0 offset:176
	;; [unrolled: 1-line block ×5, first 2 shown]
	ds_read_b128 v[64:67], v62 offset:272
	ds_read_b128 v[68:71], v62 offset:288
	;; [unrolled: 1-line block ×8, first 2 shown]
	v_cmp_lt_u32_e32 vcc, 2, v0
	s_waitcnt vmcnt(40) lgkmcnt(7)
	v_mul_f32_e32 v96, v64, v63
	s_waitcnt vmcnt(39)
	v_mul_f32_e32 v97, v66, v116
	s_waitcnt vmcnt(38) lgkmcnt(6)
	v_mul_f32_e32 v98, v68, v118
	s_waitcnt vmcnt(37)
	v_mul_f32_e32 v99, v70, v120
	s_waitcnt vmcnt(36) lgkmcnt(5)
	v_mul_f32_e32 v100, v72, v126
	s_waitcnt vmcnt(35)
	v_mul_f32_e32 v101, v74, v127
	s_waitcnt vmcnt(34) lgkmcnt(4)
	v_mul_f32_e32 v102, v76, v128
	s_waitcnt vmcnt(33)
	v_mul_f32_e32 v103, v78, v129
	s_waitcnt vmcnt(32) lgkmcnt(3)
	v_mul_f32_e32 v108, v80, v130
	s_waitcnt vmcnt(31)
	v_mul_f32_e32 v110, v82, v131
	s_waitcnt vmcnt(30) lgkmcnt(2)
	v_mul_f32_e32 v111, v84, v132
	s_waitcnt vmcnt(29)
	v_mul_f32_e32 v112, v86, v133
	s_waitcnt vmcnt(28) lgkmcnt(1)
	v_mul_f32_e32 v113, v88, v134
	s_waitcnt vmcnt(27)
	v_mul_f32_e32 v114, v90, v135
	s_waitcnt vmcnt(26) lgkmcnt(0)
	v_mul_f32_e32 v117, v92, v136
	s_waitcnt vmcnt(25)
	v_fmac_f32_e32 v96, v65, v137
	s_waitcnt vmcnt(24)
	v_fmac_f32_e32 v97, v67, v138
	v_add_f32_e32 v96, 0, v96
	s_waitcnt vmcnt(23)
	v_fmac_f32_e32 v98, v69, v139
	v_add_f32_e32 v96, v96, v97
	;; [unrolled: 3-line block ×13, first 2 shown]
	v_add_f32_e32 v100, v96, v114
	buffer_load_dword v111, off, s[0:3], 0 offset:212
	buffer_load_dword v110, off, s[0:3], 0 offset:208
	buffer_load_dword v113, off, s[0:3], 0 offset:204
	buffer_load_dword v112, off, s[0:3], 0 offset:200
	buffer_load_dword v115, off, s[0:3], 0 offset:196
	buffer_load_dword v114, off, s[0:3], 0 offset:192
	buffer_load_dword v108, off, s[0:3], 0 offset:184
	s_waitcnt vmcnt(18)
	v_fmac_f32_e32 v117, v93, v151
	ds_read_b128 v[96:99], v62 offset:400
	v_add_f32_e32 v117, v100, v117
	ds_read_b128 v[100:103], v62 offset:416
	buffer_load_dword v123, off, s[0:3], 0 offset:228
	buffer_load_dword v122, off, s[0:3], 0 offset:224
	;; [unrolled: 1-line block ×4, first 2 shown]
	v_mul_f32_e32 v63, v65, v63
	v_fma_f32 v63, v64, v137, -v63
	v_mul_f32_e32 v64, v67, v116
	v_add_f32_e32 v63, 0, v63
	v_fma_f32 v64, v66, v138, -v64
	v_add_f32_e32 v63, v63, v64
	v_mul_f32_e32 v64, v69, v118
	v_fma_f32 v64, v68, v139, -v64
	v_add_f32_e32 v63, v63, v64
	v_mul_f32_e32 v64, v71, v120
	;; [unrolled: 3-line block ×13, first 2 shown]
	v_fma_f32 v64, v92, v151, -v64
	s_waitcnt vmcnt(13)
	v_mov_b32_e32 v76, v107
	v_mul_f32_e32 v119, v94, v152
	v_add_f32_e32 v116, v63, v64
	v_mul_f32_e32 v63, v95, v152
	s_waitcnt lgkmcnt(1)
	v_pk_mul_f32 v[76:77], v[98:99], v[76:77] op_sel_hi:[1,0]
	v_fmac_f32_e32 v119, v95, v153
	v_mul_f32_e32 v121, v96, v154
	v_fma_f32 v118, v94, v153, -v63
	v_mul_f32_e32 v63, v97, v154
	s_waitcnt vmcnt(12)
	v_pk_fma_f32 v[78:79], v[98:99], v[106:107], v[76:77] op_sel:[0,0,1] op_sel_hi:[1,1,0] neg_lo:[0,0,1] neg_hi:[0,0,1]
	v_pk_fma_f32 v[76:77], v[98:99], v[106:107], v[76:77] op_sel:[0,0,1] op_sel_hi:[1,0,0]
	v_fmac_f32_e32 v121, v97, v155
	v_fma_f32 v120, v96, v155, -v63
	v_pk_add_f32 v[74:75], v[116:117], v[118:119]
	v_mov_b32_e32 v76, v105
	v_pk_add_f32 v[74:75], v[74:75], v[120:121]
	v_mov_b32_e32 v79, v77
	s_waitcnt lgkmcnt(0)
	v_pk_mul_f32 v[76:77], v[100:101], v[76:77] op_sel_hi:[1,0]
	v_pk_add_f32 v[74:75], v[74:75], v[78:79]
	v_pk_fma_f32 v[78:79], v[100:101], v[104:105], v[76:77] op_sel:[0,0,1] op_sel_hi:[1,1,0] neg_lo:[0,0,1] neg_hi:[0,0,1]
	v_pk_fma_f32 v[76:77], v[100:101], v[104:105], v[76:77] op_sel:[0,0,1] op_sel_hi:[1,0,0]
	s_waitcnt vmcnt(11)
	v_mov_b32_e32 v76, v109
	ds_read_b128 v[64:67], v62 offset:432
	ds_read_b128 v[68:71], v62 offset:448
	ds_read_b64 v[72:73], v62 offset:464
	v_mov_b32_e32 v79, v77
	v_pk_mul_f32 v[76:77], v[102:103], v[76:77] op_sel_hi:[1,0]
	v_pk_add_f32 v[74:75], v[74:75], v[78:79]
	s_waitcnt vmcnt(4)
	v_pk_fma_f32 v[78:79], v[102:103], v[108:109], v[76:77] op_sel:[0,0,1] op_sel_hi:[1,1,0] neg_lo:[0,0,1] neg_hi:[0,0,1]
	v_pk_fma_f32 v[76:77], v[102:103], v[108:109], v[76:77] op_sel:[0,0,1] op_sel_hi:[1,0,0]
	v_mov_b32_e32 v76, v115
	v_mov_b32_e32 v79, v77
	s_waitcnt lgkmcnt(2)
	v_pk_mul_f32 v[76:77], v[64:65], v[76:77] op_sel_hi:[1,0]
	v_pk_add_f32 v[74:75], v[74:75], v[78:79]
	v_pk_fma_f32 v[78:79], v[64:65], v[114:115], v[76:77] op_sel:[0,0,1] op_sel_hi:[1,1,0] neg_lo:[0,0,1] neg_hi:[0,0,1]
	v_pk_fma_f32 v[64:65], v[64:65], v[114:115], v[76:77] op_sel:[0,0,1] op_sel_hi:[1,0,0]
	v_mov_b32_e32 v79, v65
	v_pk_add_f32 v[64:65], v[74:75], v[78:79]
	v_mov_b32_e32 v74, v113
	v_pk_mul_f32 v[74:75], v[66:67], v[74:75] op_sel_hi:[1,0]
	v_pk_fma_f32 v[76:77], v[66:67], v[112:113], v[74:75] op_sel:[0,0,1] op_sel_hi:[1,1,0] neg_lo:[0,0,1] neg_hi:[0,0,1]
	v_pk_fma_f32 v[66:67], v[66:67], v[112:113], v[74:75] op_sel:[0,0,1] op_sel_hi:[1,0,0]
	v_mov_b32_e32 v66, v111
	v_mov_b32_e32 v77, v67
	s_waitcnt lgkmcnt(1)
	v_pk_mul_f32 v[66:67], v[68:69], v[66:67] op_sel_hi:[1,0]
	v_pk_fma_f32 v[74:75], v[68:69], v[110:111], v[66:67] op_sel:[0,0,1] op_sel_hi:[1,1,0] neg_lo:[0,0,1] neg_hi:[0,0,1]
	v_pk_fma_f32 v[66:67], v[68:69], v[110:111], v[66:67] op_sel:[0,0,1] op_sel_hi:[1,0,0]
	s_waitcnt vmcnt(1)
	v_mov_b32_e32 v66, v125
	v_mov_b32_e32 v75, v67
	v_pk_mul_f32 v[66:67], v[70:71], v[66:67] op_sel_hi:[1,0]
	s_waitcnt vmcnt(0)
	v_pk_fma_f32 v[68:69], v[70:71], v[124:125], v[66:67] op_sel:[0,0,1] op_sel_hi:[1,1,0] neg_lo:[0,0,1] neg_hi:[0,0,1]
	v_pk_fma_f32 v[66:67], v[70:71], v[124:125], v[66:67] op_sel:[0,0,1] op_sel_hi:[1,0,0]
	v_pk_add_f32 v[64:65], v[64:65], v[76:77]
	v_mov_b32_e32 v66, v123
	v_pk_add_f32 v[64:65], v[64:65], v[74:75]
	v_mov_b32_e32 v69, v67
	s_waitcnt lgkmcnt(0)
	v_pk_mul_f32 v[66:67], v[72:73], v[66:67] op_sel_hi:[1,0]
	v_pk_add_f32 v[64:65], v[64:65], v[68:69]
	v_pk_fma_f32 v[68:69], v[72:73], v[122:123], v[66:67] op_sel:[0,0,1] op_sel_hi:[1,1,0] neg_lo:[0,0,1] neg_hi:[0,0,1]
	v_pk_fma_f32 v[66:67], v[72:73], v[122:123], v[66:67] op_sel:[0,0,1] op_sel_hi:[1,0,0]
	v_mov_b32_e32 v69, v67
	v_pk_add_f32 v[64:65], v[64:65], v[68:69]
	v_pk_add_f32 v[60:61], v[60:61], v[64:65] neg_lo:[0,1] neg_hi:[0,1]
	buffer_store_dword v61, off, s[0:3], 0 offset:28
	buffer_store_dword v60, off, s[0:3], 0 offset:24
	s_and_saveexec_b64 s[4:5], vcc
	s_cbranch_execz .LBB92_183
; %bb.182:
	buffer_load_dword v60, off, s[0:3], 0 offset:16
	buffer_load_dword v61, off, s[0:3], 0 offset:20
	s_waitcnt vmcnt(0)
	ds_write_b64 v1, v[60:61]
	buffer_store_dword v62, off, s[0:3], 0 offset:16
	buffer_store_dword v62, off, s[0:3], 0 offset:20
.LBB92_183:
	s_or_b64 exec, exec, s[4:5]
	s_waitcnt lgkmcnt(0)
	; wave barrier
	s_waitcnt lgkmcnt(0)
	buffer_load_dword v60, off, s[0:3], 0 offset:28
	buffer_load_dword v61, off, s[0:3], 0 offset:36
	;; [unrolled: 1-line block ×38, first 2 shown]
	ds_read2_b64 v[64:67], v62 offset0:33 offset1:34
	ds_read2_b64 v[68:71], v62 offset0:35 offset1:36
	;; [unrolled: 1-line block ×8, first 2 shown]
	buffer_load_dword v107, off, s[0:3], 0 offset:172
	buffer_load_dword v106, off, s[0:3], 0 offset:168
	;; [unrolled: 1-line block ×4, first 2 shown]
	v_cmp_lt_u32_e32 vcc, 1, v0
	s_waitcnt vmcnt(41) lgkmcnt(7)
	v_mul_f32_e32 v96, v64, v60
	s_waitcnt vmcnt(40)
	v_mul_f32_e32 v97, v66, v61
	s_waitcnt vmcnt(39) lgkmcnt(6)
	v_mul_f32_e32 v98, v68, v63
	s_waitcnt vmcnt(38)
	v_mul_f32_e32 v99, v70, v116
	s_waitcnt vmcnt(37) lgkmcnt(5)
	v_mul_f32_e32 v100, v72, v118
	s_waitcnt vmcnt(36)
	v_mul_f32_e32 v101, v74, v120
	s_waitcnt vmcnt(35) lgkmcnt(4)
	v_mul_f32_e32 v102, v76, v128
	s_waitcnt vmcnt(34)
	v_mul_f32_e32 v103, v78, v129
	s_waitcnt vmcnt(33) lgkmcnt(3)
	v_mul_f32_e32 v110, v80, v130
	s_waitcnt vmcnt(32)
	v_mul_f32_e32 v111, v82, v131
	s_waitcnt vmcnt(31) lgkmcnt(2)
	v_mul_f32_e32 v112, v84, v132
	s_waitcnt vmcnt(30)
	v_mul_f32_e32 v113, v86, v133
	s_waitcnt vmcnt(29) lgkmcnt(1)
	v_mul_f32_e32 v114, v88, v134
	s_waitcnt vmcnt(28)
	v_mul_f32_e32 v115, v90, v135
	s_waitcnt vmcnt(27) lgkmcnt(0)
	v_mul_f32_e32 v117, v92, v136
	s_waitcnt vmcnt(26)
	v_fmac_f32_e32 v96, v65, v137
	s_waitcnt vmcnt(25)
	v_fmac_f32_e32 v97, v67, v138
	v_add_f32_e32 v96, 0, v96
	s_waitcnt vmcnt(24)
	v_fmac_f32_e32 v98, v69, v139
	v_add_f32_e32 v96, v96, v97
	;; [unrolled: 3-line block ×13, first 2 shown]
	v_add_f32_e32 v96, v96, v115
	buffer_load_dword v111, off, s[0:3], 0 offset:196
	buffer_load_dword v110, off, s[0:3], 0 offset:192
	;; [unrolled: 1-line block ×6, first 2 shown]
	s_waitcnt vmcnt(18)
	v_fmac_f32_e32 v117, v93, v151
	s_waitcnt vmcnt(17)
	v_mul_f32_e32 v101, v94, v152
	v_add_f32_e32 v100, v96, v117
	s_waitcnt vmcnt(16)
	v_fmac_f32_e32 v101, v95, v153
	ds_read2_b64 v[96:99], v62 offset0:49 offset1:50
	v_add_f32_e32 v117, v100, v101
	ds_read2_b64 v[100:103], v62 offset0:51 offset1:52
	buffer_load_dword v123, off, s[0:3], 0 offset:228
	buffer_load_dword v122, off, s[0:3], 0 offset:224
	buffer_load_dword v125, off, s[0:3], 0 offset:220
	buffer_load_dword v124, off, s[0:3], 0 offset:216
	buffer_load_dword v127, off, s[0:3], 0 offset:212
	buffer_load_dword v126, off, s[0:3], 0 offset:208
	v_mul_f32_e32 v60, v65, v60
	v_fma_f32 v60, v64, v137, -v60
	v_mul_f32_e32 v61, v67, v61
	v_add_f32_e32 v60, 0, v60
	v_fma_f32 v61, v66, v138, -v61
	v_add_f32_e32 v60, v60, v61
	v_mul_f32_e32 v61, v69, v63
	v_fma_f32 v61, v68, v139, -v61
	v_add_f32_e32 v60, v60, v61
	v_mul_f32_e32 v61, v71, v116
	;; [unrolled: 3-line block ×14, first 2 shown]
	v_fma_f32 v61, v94, v153, -v61
	s_waitcnt vmcnt(15)
	v_mov_b32_e32 v74, v107
	s_waitcnt lgkmcnt(1)
	v_mul_f32_e32 v119, v96, v154
	v_add_f32_e32 v116, v60, v61
	v_mul_f32_e32 v60, v97, v154
	s_waitcnt lgkmcnt(0)
	v_pk_mul_f32 v[74:75], v[100:101], v[74:75] op_sel_hi:[1,0]
	v_fmac_f32_e32 v119, v97, v155
	v_mul_f32_e32 v121, v98, v156
	v_fma_f32 v118, v96, v155, -v60
	v_mul_f32_e32 v60, v99, v156
	s_waitcnt vmcnt(14)
	v_pk_fma_f32 v[76:77], v[100:101], v[106:107], v[74:75] op_sel:[0,0,1] op_sel_hi:[1,1,0] neg_lo:[0,0,1] neg_hi:[0,0,1]
	v_pk_fma_f32 v[74:75], v[100:101], v[106:107], v[74:75] op_sel:[0,0,1] op_sel_hi:[1,0,0]
	v_fmac_f32_e32 v121, v99, v157
	v_fma_f32 v120, v98, v157, -v60
	v_pk_add_f32 v[72:73], v[116:117], v[118:119]
	ds_read2_b64 v[64:67], v62 offset0:53 offset1:54
	ds_read2_b64 v[68:71], v62 offset0:55 offset1:56
	;; [unrolled: 1-line block ×3, first 2 shown]
	v_pk_add_f32 v[72:73], v[72:73], v[120:121]
	v_mov_b32_e32 v77, v75
	v_pk_add_f32 v[72:73], v[72:73], v[76:77]
	s_waitcnt vmcnt(7)
	v_mov_b32_e32 v74, v115
	v_pk_mul_f32 v[74:75], v[102:103], v[74:75] op_sel_hi:[1,0]
	s_waitcnt vmcnt(6)
	v_pk_fma_f32 v[76:77], v[102:103], v[114:115], v[74:75] op_sel:[0,0,1] op_sel_hi:[1,1,0] neg_lo:[0,0,1] neg_hi:[0,0,1]
	v_pk_fma_f32 v[74:75], v[102:103], v[114:115], v[74:75] op_sel:[0,0,1] op_sel_hi:[1,0,0]
	v_mov_b32_e32 v74, v113
	v_mov_b32_e32 v77, v75
	s_waitcnt lgkmcnt(2)
	v_pk_mul_f32 v[74:75], v[64:65], v[74:75] op_sel_hi:[1,0]
	v_pk_add_f32 v[72:73], v[72:73], v[76:77]
	v_pk_fma_f32 v[76:77], v[64:65], v[112:113], v[74:75] op_sel:[0,0,1] op_sel_hi:[1,1,0] neg_lo:[0,0,1] neg_hi:[0,0,1]
	v_pk_fma_f32 v[64:65], v[64:65], v[112:113], v[74:75] op_sel:[0,0,1] op_sel_hi:[1,0,0]
	v_mov_b32_e32 v77, v65
	v_pk_add_f32 v[64:65], v[72:73], v[76:77]
	v_mov_b32_e32 v72, v111
	v_pk_mul_f32 v[72:73], v[66:67], v[72:73] op_sel_hi:[1,0]
	v_pk_fma_f32 v[74:75], v[66:67], v[110:111], v[72:73] op_sel:[0,0,1] op_sel_hi:[1,1,0] neg_lo:[0,0,1] neg_hi:[0,0,1]
	v_pk_fma_f32 v[66:67], v[66:67], v[110:111], v[72:73] op_sel:[0,0,1] op_sel_hi:[1,0,0]
	v_mov_b32_e32 v66, v109
	v_mov_b32_e32 v75, v67
	s_waitcnt lgkmcnt(1)
	v_pk_mul_f32 v[66:67], v[68:69], v[66:67] op_sel_hi:[1,0]
	v_pk_fma_f32 v[72:73], v[68:69], v[108:109], v[66:67] op_sel:[0,0,1] op_sel_hi:[1,1,0] neg_lo:[0,0,1] neg_hi:[0,0,1]
	v_pk_fma_f32 v[66:67], v[68:69], v[108:109], v[66:67] op_sel:[0,0,1] op_sel_hi:[1,0,0]
	s_waitcnt vmcnt(1)
	v_mov_b32_e32 v66, v127
	v_mov_b32_e32 v73, v67
	v_pk_mul_f32 v[66:67], v[70:71], v[66:67] op_sel_hi:[1,0]
	s_waitcnt vmcnt(0)
	v_pk_fma_f32 v[68:69], v[70:71], v[126:127], v[66:67] op_sel:[0,0,1] op_sel_hi:[1,1,0] neg_lo:[0,0,1] neg_hi:[0,0,1]
	v_pk_fma_f32 v[66:67], v[70:71], v[126:127], v[66:67] op_sel:[0,0,1] op_sel_hi:[1,0,0]
	v_pk_add_f32 v[64:65], v[64:65], v[74:75]
	v_mov_b32_e32 v66, v125
	v_pk_add_f32 v[64:65], v[64:65], v[72:73]
	v_mov_b32_e32 v69, v67
	s_waitcnt lgkmcnt(0)
	v_pk_mul_f32 v[66:67], v[60:61], v[66:67] op_sel_hi:[1,0]
	v_pk_add_f32 v[64:65], v[64:65], v[68:69]
	v_pk_fma_f32 v[68:69], v[60:61], v[124:125], v[66:67] op_sel:[0,0,1] op_sel_hi:[1,1,0] neg_lo:[0,0,1] neg_hi:[0,0,1]
	v_pk_fma_f32 v[60:61], v[60:61], v[124:125], v[66:67] op_sel:[0,0,1] op_sel_hi:[1,0,0]
	v_mov_b32_e32 v69, v61
	v_pk_add_f32 v[60:61], v[64:65], v[68:69]
	v_mov_b32_e32 v64, v123
	v_pk_mul_f32 v[64:65], v[62:63], v[64:65] op_sel_hi:[1,0]
	v_pk_fma_f32 v[66:67], v[62:63], v[122:123], v[64:65] op_sel:[0,0,1] op_sel_hi:[1,1,0] neg_lo:[0,0,1] neg_hi:[0,0,1]
	v_pk_fma_f32 v[62:63], v[62:63], v[122:123], v[64:65] op_sel:[0,0,1] op_sel_hi:[1,0,0]
	v_mov_b32_e32 v67, v63
	v_pk_add_f32 v[60:61], v[60:61], v[66:67]
	v_pk_add_f32 v[60:61], v[104:105], v[60:61] neg_lo:[0,1] neg_hi:[0,1]
	buffer_store_dword v61, off, s[0:3], 0 offset:20
	buffer_store_dword v60, off, s[0:3], 0 offset:16
	s_and_saveexec_b64 s[4:5], vcc
	s_cbranch_execz .LBB92_185
; %bb.184:
	buffer_load_dword v60, off, s[0:3], 0 offset:8
	buffer_load_dword v61, off, s[0:3], 0 offset:12
	v_mov_b32_e32 v62, 0
	buffer_store_dword v62, off, s[0:3], 0 offset:8
	buffer_store_dword v62, off, s[0:3], 0 offset:12
	s_waitcnt vmcnt(2)
	ds_write_b64 v1, v[60:61]
.LBB92_185:
	s_or_b64 exec, exec, s[4:5]
	s_waitcnt lgkmcnt(0)
	; wave barrier
	s_waitcnt lgkmcnt(0)
	buffer_load_dword v63, off, s[0:3], 0 offset:20
	buffer_load_dword v112, off, s[0:3], 0 offset:28
	;; [unrolled: 1-line block ×40, first 2 shown]
	v_mov_b32_e32 v62, 0
	ds_read_b128 v[64:67], v62 offset:256
	ds_read_b128 v[68:71], v62 offset:272
	ds_read_b128 v[72:75], v62 offset:288
	ds_read_b128 v[76:79], v62 offset:304
	ds_read_b128 v[80:83], v62 offset:320
	ds_read_b128 v[84:87], v62 offset:336
	ds_read_b128 v[88:91], v62 offset:352
	ds_read_b128 v[92:95], v62 offset:368
	v_cmp_ne_u32_e32 vcc, 0, v0
	s_waitcnt vmcnt(39) lgkmcnt(7)
	v_mul_f32_e32 v96, v64, v63
	s_waitcnt vmcnt(38)
	v_mul_f32_e32 v97, v66, v112
	s_waitcnt vmcnt(37) lgkmcnt(6)
	v_mul_f32_e32 v98, v68, v114
	s_waitcnt vmcnt(36)
	v_mul_f32_e32 v99, v70, v116
	;; [unrolled: 4-line block ×8, first 2 shown]
	s_waitcnt vmcnt(23)
	v_fmac_f32_e32 v96, v65, v138
	s_waitcnt vmcnt(22)
	v_fmac_f32_e32 v97, v67, v139
	v_add_f32_e32 v96, 0, v96
	s_waitcnt vmcnt(21)
	v_fmac_f32_e32 v98, v69, v140
	v_add_f32_e32 v96, v96, v97
	;; [unrolled: 3-line block ×14, first 2 shown]
	v_add_f32_e32 v96, v96, v110
	s_waitcnt vmcnt(8)
	v_fmac_f32_e32 v111, v95, v153
	v_add_f32_e32 v113, v96, v111
	ds_read_b128 v[96:99], v62 offset:384
	buffer_load_dword v105, off, s[0:3], 0 offset:172
	buffer_load_dword v107, off, s[0:3], 0 offset:196
	;; [unrolled: 1-line block ×8, first 2 shown]
	ds_read_b128 v[100:103], v62 offset:400
	buffer_load_dword v119, off, s[0:3], 0 offset:228
	buffer_load_dword v118, off, s[0:3], 0 offset:224
	;; [unrolled: 1-line block ×8, first 2 shown]
	v_mul_f32_e32 v63, v65, v63
	v_fma_f32 v63, v64, v138, -v63
	v_mul_f32_e32 v64, v67, v112
	v_add_f32_e32 v63, 0, v63
	v_fma_f32 v64, v66, v139, -v64
	v_add_f32_e32 v63, v63, v64
	v_mul_f32_e32 v64, v69, v114
	v_fma_f32 v64, v68, v140, -v64
	v_add_f32_e32 v63, v63, v64
	v_mul_f32_e32 v64, v71, v116
	;; [unrolled: 3-line block ×14, first 2 shown]
	v_fma_f32 v64, v94, v153, -v64
	s_waitcnt vmcnt(23) lgkmcnt(1)
	v_mul_f32_e32 v115, v96, v154
	v_add_f32_e32 v63, v63, v64
	v_mul_f32_e32 v64, v97, v154
	s_waitcnt vmcnt(22)
	v_fmac_f32_e32 v115, v97, v155
	v_fma_f32 v64, v96, v155, -v64
	v_add_f32_e32 v113, v113, v115
	s_waitcnt vmcnt(21)
	v_mul_f32_e32 v115, v98, v156
	v_add_f32_e32 v112, v63, v64
	v_mul_f32_e32 v63, v99, v156
	s_waitcnt vmcnt(20)
	v_fmac_f32_e32 v115, v99, v157
	s_waitcnt vmcnt(19) lgkmcnt(0)
	v_mul_f32_e32 v117, v100, v158
	v_fma_f32 v114, v98, v157, -v63
	v_mul_f32_e32 v63, v101, v158
	ds_read_b128 v[64:67], v62 offset:416
	ds_read_b128 v[68:71], v62 offset:432
	ds_read_b128 v[72:75], v62 offset:448
	ds_read_b64 v[76:77], v62 offset:464
	s_waitcnt vmcnt(18)
	v_fmac_f32_e32 v117, v101, v159
	v_fma_f32 v116, v100, v159, -v63
	v_pk_add_f32 v[78:79], v[112:113], v[114:115]
	v_pk_add_f32 v[78:79], v[78:79], v[116:117]
	s_waitcnt vmcnt(15)
	v_mov_b32_e32 v80, v105
	v_pk_mul_f32 v[80:81], v[102:103], v[80:81] op_sel_hi:[1,0]
	s_waitcnt vmcnt(8)
	v_pk_fma_f32 v[82:83], v[102:103], v[104:105], v[80:81] op_sel:[0,0,1] op_sel_hi:[1,1,0] neg_lo:[0,0,1] neg_hi:[0,0,1]
	v_pk_fma_f32 v[80:81], v[102:103], v[104:105], v[80:81] op_sel:[0,0,1] op_sel_hi:[1,0,0]
	v_mov_b32_e32 v80, v111
	v_mov_b32_e32 v83, v81
	s_waitcnt lgkmcnt(3)
	v_pk_mul_f32 v[80:81], v[64:65], v[80:81] op_sel_hi:[1,0]
	v_pk_add_f32 v[78:79], v[78:79], v[82:83]
	v_pk_fma_f32 v[82:83], v[64:65], v[110:111], v[80:81] op_sel:[0,0,1] op_sel_hi:[1,1,0] neg_lo:[0,0,1] neg_hi:[0,0,1]
	v_pk_fma_f32 v[64:65], v[64:65], v[110:111], v[80:81] op_sel:[0,0,1] op_sel_hi:[1,0,0]
	v_mov_b32_e32 v83, v65
	v_pk_add_f32 v[64:65], v[78:79], v[82:83]
	v_mov_b32_e32 v78, v109
	v_pk_mul_f32 v[78:79], v[66:67], v[78:79] op_sel_hi:[1,0]
	v_pk_fma_f32 v[80:81], v[66:67], v[108:109], v[78:79] op_sel:[0,0,1] op_sel_hi:[1,1,0] neg_lo:[0,0,1] neg_hi:[0,0,1]
	v_pk_fma_f32 v[66:67], v[66:67], v[108:109], v[78:79] op_sel:[0,0,1] op_sel_hi:[1,0,0]
	v_mov_b32_e32 v66, v107
	v_mov_b32_e32 v81, v67
	s_waitcnt lgkmcnt(2)
	v_pk_mul_f32 v[66:67], v[68:69], v[66:67] op_sel_hi:[1,0]
	v_pk_fma_f32 v[78:79], v[68:69], v[106:107], v[66:67] op_sel:[0,0,1] op_sel_hi:[1,1,0] neg_lo:[0,0,1] neg_hi:[0,0,1]
	v_pk_fma_f32 v[66:67], v[68:69], v[106:107], v[66:67] op_sel:[0,0,1] op_sel_hi:[1,0,0]
	s_waitcnt vmcnt(1)
	v_mov_b32_e32 v66, v125
	v_mov_b32_e32 v79, v67
	v_pk_mul_f32 v[66:67], v[70:71], v[66:67] op_sel_hi:[1,0]
	s_waitcnt vmcnt(0)
	v_pk_fma_f32 v[68:69], v[70:71], v[124:125], v[66:67] op_sel:[0,0,1] op_sel_hi:[1,1,0] neg_lo:[0,0,1] neg_hi:[0,0,1]
	v_pk_fma_f32 v[66:67], v[70:71], v[124:125], v[66:67] op_sel:[0,0,1] op_sel_hi:[1,0,0]
	v_pk_add_f32 v[64:65], v[64:65], v[80:81]
	v_mov_b32_e32 v66, v123
	v_pk_add_f32 v[64:65], v[64:65], v[78:79]
	v_mov_b32_e32 v69, v67
	s_waitcnt lgkmcnt(1)
	v_pk_mul_f32 v[66:67], v[72:73], v[66:67] op_sel_hi:[1,0]
	v_pk_add_f32 v[64:65], v[64:65], v[68:69]
	v_pk_fma_f32 v[68:69], v[72:73], v[122:123], v[66:67] op_sel:[0,0,1] op_sel_hi:[1,1,0] neg_lo:[0,0,1] neg_hi:[0,0,1]
	v_pk_fma_f32 v[66:67], v[72:73], v[122:123], v[66:67] op_sel:[0,0,1] op_sel_hi:[1,0,0]
	v_mov_b32_e32 v66, v121
	v_mov_b32_e32 v69, v67
	v_pk_mul_f32 v[66:67], v[74:75], v[66:67] op_sel_hi:[1,0]
	v_pk_add_f32 v[64:65], v[64:65], v[68:69]
	v_pk_fma_f32 v[68:69], v[74:75], v[120:121], v[66:67] op_sel:[0,0,1] op_sel_hi:[1,1,0] neg_lo:[0,0,1] neg_hi:[0,0,1]
	v_pk_fma_f32 v[66:67], v[74:75], v[120:121], v[66:67] op_sel:[0,0,1] op_sel_hi:[1,0,0]
	v_mov_b32_e32 v66, v119
	v_mov_b32_e32 v69, v67
	s_waitcnt lgkmcnt(0)
	v_pk_mul_f32 v[66:67], v[76:77], v[66:67] op_sel_hi:[1,0]
	v_pk_add_f32 v[64:65], v[64:65], v[68:69]
	v_pk_fma_f32 v[68:69], v[76:77], v[118:119], v[66:67] op_sel:[0,0,1] op_sel_hi:[1,1,0] neg_lo:[0,0,1] neg_hi:[0,0,1]
	v_pk_fma_f32 v[66:67], v[76:77], v[118:119], v[66:67] op_sel:[0,0,1] op_sel_hi:[1,0,0]
	v_mov_b32_e32 v69, v67
	v_pk_add_f32 v[64:65], v[64:65], v[68:69]
	v_pk_add_f32 v[60:61], v[60:61], v[64:65] neg_lo:[0,1] neg_hi:[0,1]
	buffer_store_dword v61, off, s[0:3], 0 offset:12
	buffer_store_dword v60, off, s[0:3], 0 offset:8
	s_and_saveexec_b64 s[4:5], vcc
	s_cbranch_execz .LBB92_187
; %bb.186:
	buffer_load_dword v60, off, s[0:3], 0
	buffer_load_dword v61, off, s[0:3], 0 offset:4
	s_waitcnt vmcnt(0)
	ds_write_b64 v1, v[60:61]
	buffer_store_dword v62, off, s[0:3], 0
	buffer_store_dword v62, off, s[0:3], 0 offset:4
.LBB92_187:
	s_or_b64 exec, exec, s[4:5]
	s_waitcnt lgkmcnt(0)
	; wave barrier
	s_waitcnt lgkmcnt(0)
	buffer_load_dword v60, off, s[0:3], 0 offset:12
	buffer_load_dword v61, off, s[0:3], 0 offset:20
	;; [unrolled: 1-line block ×40, first 2 shown]
	buffer_load_dword v0, off, s[0:3], 0
	buffer_load_dword v1, off, s[0:3], 0 offset:4
	ds_read2_b64 v[64:67], v62 offset0:31 offset1:32
	ds_read2_b64 v[68:71], v62 offset0:33 offset1:34
	;; [unrolled: 1-line block ×8, first 2 shown]
	s_and_b64 vcc, exec, s[16:17]
	s_waitcnt vmcnt(41) lgkmcnt(7)
	v_mul_f32_e32 v96, v64, v60
	s_waitcnt vmcnt(40)
	v_mul_f32_e32 v97, v66, v61
	s_waitcnt vmcnt(39) lgkmcnt(6)
	v_mul_f32_e32 v98, v68, v63
	s_waitcnt vmcnt(38)
	v_mul_f32_e32 v99, v70, v104
	;; [unrolled: 4-line block ×7, first 2 shown]
	s_waitcnt vmcnt(27) lgkmcnt(0)
	v_mul_f32_e32 v112, v92, v134
	s_waitcnt vmcnt(26)
	v_fmac_f32_e32 v96, v65, v135
	s_waitcnt vmcnt(25)
	v_fmac_f32_e32 v97, v67, v136
	v_add_f32_e32 v96, 0, v96
	s_waitcnt vmcnt(24)
	v_fmac_f32_e32 v98, v69, v137
	v_add_f32_e32 v96, v96, v97
	;; [unrolled: 3-line block ×14, first 2 shown]
	s_waitcnt vmcnt(11)
	v_mul_f32_e32 v101, v94, v150
	v_add_f32_e32 v100, v96, v112
	s_waitcnt vmcnt(10)
	v_fmac_f32_e32 v101, v95, v151
	ds_read2_b64 v[96:99], v62 offset0:47 offset1:48
	v_add_f32_e32 v105, v100, v101
	ds_read2_b64 v[100:103], v62 offset0:49 offset1:50
	buffer_load_dword v109, off, s[0:3], 0 offset:172
	buffer_load_dword v111, off, s[0:3], 0 offset:188
	;; [unrolled: 1-line block ×16, first 2 shown]
	v_mul_f32_e32 v60, v65, v60
	v_fma_f32 v60, v64, v135, -v60
	v_mul_f32_e32 v61, v67, v61
	v_add_f32_e32 v60, 0, v60
	v_fma_f32 v61, v66, v136, -v61
	v_add_f32_e32 v60, v60, v61
	v_mul_f32_e32 v61, v69, v63
	v_fma_f32 v61, v68, v137, -v61
	v_add_f32_e32 v60, v60, v61
	v_mul_f32_e32 v61, v71, v104
	;; [unrolled: 3-line block ×14, first 2 shown]
	v_fma_f32 v61, v94, v151, -v61
	v_add_f32_e32 v60, v60, v61
	s_waitcnt vmcnt(25) lgkmcnt(1)
	v_mul_f32_e32 v61, v97, v152
	s_waitcnt vmcnt(24)
	v_fma_f32 v61, v96, v153, -v61
	v_add_f32_e32 v60, v60, v61
	s_waitcnt vmcnt(23)
	v_mul_f32_e32 v61, v99, v154
	v_mul_f32_e32 v107, v96, v152
	s_waitcnt vmcnt(22)
	v_fma_f32 v61, v98, v155, -v61
	v_fmac_f32_e32 v107, v97, v153
	v_add_f32_e32 v104, v60, v61
	s_waitcnt vmcnt(21) lgkmcnt(0)
	v_mul_f32_e32 v60, v101, v156
	v_add_f32_e32 v105, v105, v107
	v_mul_f32_e32 v107, v98, v154
	s_waitcnt vmcnt(20)
	v_fma_f32 v106, v100, v157, -v60
	s_waitcnt vmcnt(19)
	v_mul_f32_e32 v60, v103, v158
	v_fmac_f32_e32 v107, v99, v155
	s_waitcnt vmcnt(18)
	v_fma_f32 v114, v102, v159, -v60
	ds_read2_b64 v[64:67], v62 offset0:51 offset1:52
	ds_read2_b64 v[68:71], v62 offset0:53 offset1:54
	;; [unrolled: 1-line block ×4, first 2 shown]
	v_add_f32_e32 v105, v105, v107
	v_mul_f32_e32 v107, v100, v156
	v_fmac_f32_e32 v107, v101, v157
	v_mul_f32_e32 v115, v102, v158
	v_fmac_f32_e32 v115, v103, v159
	v_pk_add_f32 v[76:77], v[104:105], v[106:107]
	v_pk_add_f32 v[76:77], v[76:77], v[114:115]
	s_waitcnt vmcnt(15)
	v_mov_b32_e32 v78, v109
	s_waitcnt lgkmcnt(3)
	v_pk_mul_f32 v[78:79], v[64:65], v[78:79] op_sel_hi:[1,0]
	s_waitcnt vmcnt(10)
	v_pk_fma_f32 v[80:81], v[64:65], v[108:109], v[78:79] op_sel:[0,0,1] op_sel_hi:[1,1,0] neg_lo:[0,0,1] neg_hi:[0,0,1]
	v_pk_fma_f32 v[64:65], v[64:65], v[108:109], v[78:79] op_sel:[0,0,1] op_sel_hi:[1,0,0]
	v_mov_b32_e32 v81, v65
	v_pk_add_f32 v[64:65], v[76:77], v[80:81]
	v_mov_b32_e32 v76, v113
	v_pk_mul_f32 v[76:77], v[66:67], v[76:77] op_sel_hi:[1,0]
	v_pk_fma_f32 v[78:79], v[66:67], v[112:113], v[76:77] op_sel:[0,0,1] op_sel_hi:[1,1,0] neg_lo:[0,0,1] neg_hi:[0,0,1]
	v_pk_fma_f32 v[66:67], v[66:67], v[112:113], v[76:77] op_sel:[0,0,1] op_sel_hi:[1,0,0]
	v_mov_b32_e32 v66, v111
	v_mov_b32_e32 v79, v67
	s_waitcnt lgkmcnt(2)
	v_pk_mul_f32 v[66:67], v[68:69], v[66:67] op_sel_hi:[1,0]
	v_pk_fma_f32 v[76:77], v[68:69], v[110:111], v[66:67] op_sel:[0,0,1] op_sel_hi:[1,1,0] neg_lo:[0,0,1] neg_hi:[0,0,1]
	v_pk_fma_f32 v[66:67], v[68:69], v[110:111], v[66:67] op_sel:[0,0,1] op_sel_hi:[1,0,0]
	s_waitcnt vmcnt(3)
	v_mov_b32_e32 v66, v123
	v_mov_b32_e32 v77, v67
	v_pk_mul_f32 v[66:67], v[70:71], v[66:67] op_sel_hi:[1,0]
	s_waitcnt vmcnt(2)
	v_pk_fma_f32 v[68:69], v[70:71], v[122:123], v[66:67] op_sel:[0,0,1] op_sel_hi:[1,1,0] neg_lo:[0,0,1] neg_hi:[0,0,1]
	v_pk_fma_f32 v[66:67], v[70:71], v[122:123], v[66:67] op_sel:[0,0,1] op_sel_hi:[1,0,0]
	v_pk_add_f32 v[64:65], v[64:65], v[78:79]
	v_mov_b32_e32 v66, v121
	v_pk_add_f32 v[64:65], v[64:65], v[76:77]
	v_mov_b32_e32 v69, v67
	s_waitcnt lgkmcnt(1)
	v_pk_mul_f32 v[66:67], v[72:73], v[66:67] op_sel_hi:[1,0]
	v_pk_add_f32 v[64:65], v[64:65], v[68:69]
	v_pk_fma_f32 v[68:69], v[72:73], v[120:121], v[66:67] op_sel:[0,0,1] op_sel_hi:[1,1,0] neg_lo:[0,0,1] neg_hi:[0,0,1]
	v_pk_fma_f32 v[66:67], v[72:73], v[120:121], v[66:67] op_sel:[0,0,1] op_sel_hi:[1,0,0]
	v_mov_b32_e32 v66, v119
	v_mov_b32_e32 v69, v67
	v_pk_mul_f32 v[66:67], v[74:75], v[66:67] op_sel_hi:[1,0]
	v_pk_add_f32 v[64:65], v[64:65], v[68:69]
	v_pk_fma_f32 v[68:69], v[74:75], v[118:119], v[66:67] op_sel:[0,0,1] op_sel_hi:[1,1,0] neg_lo:[0,0,1] neg_hi:[0,0,1]
	v_pk_fma_f32 v[66:67], v[74:75], v[118:119], v[66:67] op_sel:[0,0,1] op_sel_hi:[1,0,0]
	v_mov_b32_e32 v66, v117
	v_mov_b32_e32 v69, v67
	s_waitcnt lgkmcnt(0)
	v_pk_mul_f32 v[66:67], v[60:61], v[66:67] op_sel_hi:[1,0]
	v_pk_add_f32 v[64:65], v[64:65], v[68:69]
	v_pk_fma_f32 v[68:69], v[60:61], v[116:117], v[66:67] op_sel:[0,0,1] op_sel_hi:[1,1,0] neg_lo:[0,0,1] neg_hi:[0,0,1]
	v_pk_fma_f32 v[60:61], v[60:61], v[116:117], v[66:67] op_sel:[0,0,1] op_sel_hi:[1,0,0]
	v_mov_b32_e32 v69, v61
	v_pk_add_f32 v[60:61], v[64:65], v[68:69]
	s_waitcnt vmcnt(1)
	v_mov_b32_e32 v64, v125
	v_pk_mul_f32 v[64:65], v[62:63], v[64:65] op_sel_hi:[1,0]
	s_waitcnt vmcnt(0)
	v_pk_fma_f32 v[66:67], v[62:63], v[124:125], v[64:65] op_sel:[0,0,1] op_sel_hi:[1,1,0] neg_lo:[0,0,1] neg_hi:[0,0,1]
	v_pk_fma_f32 v[62:63], v[62:63], v[124:125], v[64:65] op_sel:[0,0,1] op_sel_hi:[1,0,0]
	v_mov_b32_e32 v67, v63
	v_pk_add_f32 v[60:61], v[60:61], v[66:67]
	v_pk_add_f32 v[0:1], v[0:1], v[60:61] neg_lo:[0,1] neg_hi:[0,1]
	buffer_store_dword v1, off, s[0:3], 0 offset:4
	buffer_store_dword v0, off, s[0:3], 0
	s_cbranch_vccz .LBB92_245
; %bb.188:
	v_pk_mov_b32 v[0:1], s[10:11], s[10:11] op_sel:[0,1]
	flat_load_dword v0, v[0:1] offset:108
	s_waitcnt vmcnt(0) lgkmcnt(0)
	v_add_u32_e32 v0, -1, v0
	v_cmp_ne_u32_e32 vcc, 27, v0
	s_and_saveexec_b64 s[4:5], vcc
	s_cbranch_execz .LBB92_190
; %bb.189:
	v_mov_b32_e32 v1, 0
	v_lshl_add_u32 v0, v0, 3, v1
	buffer_load_dword v1, v0, s[0:3], 0 offen
	buffer_load_dword v60, v0, s[0:3], 0 offen offset:4
	buffer_load_dword v61, off, s[0:3], 0 offset:216
	buffer_load_dword v62, off, s[0:3], 0 offset:220
	s_waitcnt vmcnt(3)
	buffer_store_dword v1, off, s[0:3], 0 offset:216
	s_waitcnt vmcnt(3)
	buffer_store_dword v60, off, s[0:3], 0 offset:220
	s_waitcnt vmcnt(3)
	buffer_store_dword v61, v0, s[0:3], 0 offen
	s_waitcnt vmcnt(3)
	buffer_store_dword v62, v0, s[0:3], 0 offen offset:4
.LBB92_190:
	s_or_b64 exec, exec, s[4:5]
	v_pk_mov_b32 v[0:1], s[10:11], s[10:11] op_sel:[0,1]
	flat_load_dword v0, v[0:1] offset:104
	s_waitcnt vmcnt(0) lgkmcnt(0)
	v_add_u32_e32 v0, -1, v0
	v_cmp_ne_u32_e32 vcc, 26, v0
	s_and_saveexec_b64 s[4:5], vcc
	s_cbranch_execz .LBB92_192
; %bb.191:
	v_mov_b32_e32 v1, 0
	v_lshl_add_u32 v0, v0, 3, v1
	buffer_load_dword v1, v0, s[0:3], 0 offen
	buffer_load_dword v60, v0, s[0:3], 0 offen offset:4
	buffer_load_dword v61, off, s[0:3], 0 offset:212
	buffer_load_dword v62, off, s[0:3], 0 offset:208
	s_waitcnt vmcnt(3)
	buffer_store_dword v1, off, s[0:3], 0 offset:208
	s_waitcnt vmcnt(3)
	buffer_store_dword v60, off, s[0:3], 0 offset:212
	s_waitcnt vmcnt(3)
	buffer_store_dword v61, v0, s[0:3], 0 offen offset:4
	s_waitcnt vmcnt(3)
	buffer_store_dword v62, v0, s[0:3], 0 offen
.LBB92_192:
	s_or_b64 exec, exec, s[4:5]
	v_pk_mov_b32 v[0:1], s[10:11], s[10:11] op_sel:[0,1]
	flat_load_dword v0, v[0:1] offset:100
	s_waitcnt vmcnt(0) lgkmcnt(0)
	v_add_u32_e32 v0, -1, v0
	v_cmp_ne_u32_e32 vcc, 25, v0
	s_and_saveexec_b64 s[4:5], vcc
	s_cbranch_execz .LBB92_194
; %bb.193:
	v_mov_b32_e32 v1, 0
	v_lshl_add_u32 v0, v0, 3, v1
	buffer_load_dword v1, v0, s[0:3], 0 offen
	buffer_load_dword v60, v0, s[0:3], 0 offen offset:4
	buffer_load_dword v61, off, s[0:3], 0 offset:200
	buffer_load_dword v62, off, s[0:3], 0 offset:204
	s_waitcnt vmcnt(3)
	buffer_store_dword v1, off, s[0:3], 0 offset:200
	s_waitcnt vmcnt(3)
	buffer_store_dword v60, off, s[0:3], 0 offset:204
	s_waitcnt vmcnt(3)
	buffer_store_dword v61, v0, s[0:3], 0 offen
	s_waitcnt vmcnt(3)
	buffer_store_dword v62, v0, s[0:3], 0 offen offset:4
.LBB92_194:
	s_or_b64 exec, exec, s[4:5]
	v_pk_mov_b32 v[0:1], s[10:11], s[10:11] op_sel:[0,1]
	flat_load_dword v0, v[0:1] offset:96
	s_waitcnt vmcnt(0) lgkmcnt(0)
	v_add_u32_e32 v0, -1, v0
	v_cmp_ne_u32_e32 vcc, 24, v0
	s_and_saveexec_b64 s[4:5], vcc
	s_cbranch_execz .LBB92_196
; %bb.195:
	v_mov_b32_e32 v1, 0
	v_lshl_add_u32 v0, v0, 3, v1
	buffer_load_dword v1, v0, s[0:3], 0 offen
	buffer_load_dword v60, v0, s[0:3], 0 offen offset:4
	buffer_load_dword v61, off, s[0:3], 0 offset:196
	buffer_load_dword v62, off, s[0:3], 0 offset:192
	s_waitcnt vmcnt(3)
	buffer_store_dword v1, off, s[0:3], 0 offset:192
	s_waitcnt vmcnt(3)
	buffer_store_dword v60, off, s[0:3], 0 offset:196
	s_waitcnt vmcnt(3)
	buffer_store_dword v61, v0, s[0:3], 0 offen offset:4
	s_waitcnt vmcnt(3)
	buffer_store_dword v62, v0, s[0:3], 0 offen
.LBB92_196:
	s_or_b64 exec, exec, s[4:5]
	;; [unrolled: 48-line block ×13, first 2 shown]
	v_pk_mov_b32 v[0:1], s[10:11], s[10:11] op_sel:[0,1]
	flat_load_dword v0, v[0:1] offset:4
	s_waitcnt vmcnt(0) lgkmcnt(0)
	v_add_u32_e32 v0, -1, v0
	v_cmp_ne_u32_e32 vcc, 1, v0
	s_and_saveexec_b64 s[4:5], vcc
	s_cbranch_execz .LBB92_242
; %bb.241:
	v_mov_b32_e32 v1, 0
	v_lshl_add_u32 v0, v0, 3, v1
	buffer_load_dword v1, v0, s[0:3], 0 offen
	buffer_load_dword v60, v0, s[0:3], 0 offen offset:4
	buffer_load_dword v61, off, s[0:3], 0 offset:8
	buffer_load_dword v62, off, s[0:3], 0 offset:12
	s_waitcnt vmcnt(3)
	buffer_store_dword v1, off, s[0:3], 0 offset:8
	s_waitcnt vmcnt(3)
	buffer_store_dword v60, off, s[0:3], 0 offset:12
	s_waitcnt vmcnt(3)
	buffer_store_dword v61, v0, s[0:3], 0 offen
	s_waitcnt vmcnt(3)
	buffer_store_dword v62, v0, s[0:3], 0 offen offset:4
.LBB92_242:
	s_or_b64 exec, exec, s[4:5]
	v_pk_mov_b32 v[0:1], s[10:11], s[10:11] op_sel:[0,1]
	flat_load_dword v60, v[0:1]
	s_nop 0
	buffer_load_dword v0, off, s[0:3], 0
	buffer_load_dword v1, off, s[0:3], 0 offset:4
	s_waitcnt vmcnt(0) lgkmcnt(0)
	v_add_u32_e32 v60, -1, v60
	v_cmp_ne_u32_e32 vcc, 0, v60
	s_and_saveexec_b64 s[4:5], vcc
	s_cbranch_execz .LBB92_244
; %bb.243:
	v_mov_b32_e32 v61, 0
	v_lshl_add_u32 v60, v60, 3, v61
	buffer_load_dword v61, v60, s[0:3], 0 offen offset:4
	buffer_load_dword v62, v60, s[0:3], 0 offen
	s_waitcnt vmcnt(1)
	buffer_store_dword v61, off, s[0:3], 0 offset:4
	s_waitcnt vmcnt(1)
	buffer_store_dword v62, off, s[0:3], 0
	buffer_store_dword v1, v60, s[0:3], 0 offen offset:4
	buffer_store_dword v0, v60, s[0:3], 0 offen
	buffer_load_dword v0, off, s[0:3], 0
	s_nop 0
	buffer_load_dword v1, off, s[0:3], 0 offset:4
.LBB92_244:
	s_or_b64 exec, exec, s[4:5]
.LBB92_245:
	buffer_load_dword v60, off, s[0:3], 0 offset:8
	buffer_load_dword v61, off, s[0:3], 0 offset:12
	;; [unrolled: 1-line block ×56, first 2 shown]
	s_waitcnt vmcnt(56)
	global_store_dwordx2 v[50:51], v[0:1], off
	s_waitcnt vmcnt(55)
	global_store_dwordx2 v[52:53], v[60:61], off
	;; [unrolled: 2-line block ×29, first 2 shown]
	s_endpgm
	.section	.rodata,"a",@progbits
	.p2align	6, 0x0
	.amdhsa_kernel _ZN9rocsolver6v33100L18getri_kernel_smallILi29E19rocblas_complex_numIfEPKPS3_EEvT1_iilPiilS8_bb
		.amdhsa_group_segment_fixed_size 472
		.amdhsa_private_segment_fixed_size 240
		.amdhsa_kernarg_size 60
		.amdhsa_user_sgpr_count 8
		.amdhsa_user_sgpr_private_segment_buffer 1
		.amdhsa_user_sgpr_dispatch_ptr 0
		.amdhsa_user_sgpr_queue_ptr 0
		.amdhsa_user_sgpr_kernarg_segment_ptr 1
		.amdhsa_user_sgpr_dispatch_id 0
		.amdhsa_user_sgpr_flat_scratch_init 1
		.amdhsa_user_sgpr_kernarg_preload_length 0
		.amdhsa_user_sgpr_kernarg_preload_offset 0
		.amdhsa_user_sgpr_private_segment_size 0
		.amdhsa_uses_dynamic_stack 0
		.amdhsa_system_sgpr_private_segment_wavefront_offset 1
		.amdhsa_system_sgpr_workgroup_id_x 1
		.amdhsa_system_sgpr_workgroup_id_y 0
		.amdhsa_system_sgpr_workgroup_id_z 0
		.amdhsa_system_sgpr_workgroup_info 0
		.amdhsa_system_vgpr_workitem_id 0
		.amdhsa_next_free_vgpr 160
		.amdhsa_next_free_sgpr 22
		.amdhsa_accum_offset 160
		.amdhsa_reserve_vcc 1
		.amdhsa_reserve_flat_scratch 1
		.amdhsa_float_round_mode_32 0
		.amdhsa_float_round_mode_16_64 0
		.amdhsa_float_denorm_mode_32 3
		.amdhsa_float_denorm_mode_16_64 3
		.amdhsa_dx10_clamp 1
		.amdhsa_ieee_mode 1
		.amdhsa_fp16_overflow 0
		.amdhsa_tg_split 0
		.amdhsa_exception_fp_ieee_invalid_op 0
		.amdhsa_exception_fp_denorm_src 0
		.amdhsa_exception_fp_ieee_div_zero 0
		.amdhsa_exception_fp_ieee_overflow 0
		.amdhsa_exception_fp_ieee_underflow 0
		.amdhsa_exception_fp_ieee_inexact 0
		.amdhsa_exception_int_div_zero 0
	.end_amdhsa_kernel
	.section	.text._ZN9rocsolver6v33100L18getri_kernel_smallILi29E19rocblas_complex_numIfEPKPS3_EEvT1_iilPiilS8_bb,"axG",@progbits,_ZN9rocsolver6v33100L18getri_kernel_smallILi29E19rocblas_complex_numIfEPKPS3_EEvT1_iilPiilS8_bb,comdat
.Lfunc_end92:
	.size	_ZN9rocsolver6v33100L18getri_kernel_smallILi29E19rocblas_complex_numIfEPKPS3_EEvT1_iilPiilS8_bb, .Lfunc_end92-_ZN9rocsolver6v33100L18getri_kernel_smallILi29E19rocblas_complex_numIfEPKPS3_EEvT1_iilPiilS8_bb
                                        ; -- End function
	.section	.AMDGPU.csdata,"",@progbits
; Kernel info:
; codeLenInByte = 41316
; NumSgprs: 28
; NumVgprs: 160
; NumAgprs: 0
; TotalNumVgprs: 160
; ScratchSize: 240
; MemoryBound: 0
; FloatMode: 240
; IeeeMode: 1
; LDSByteSize: 472 bytes/workgroup (compile time only)
; SGPRBlocks: 3
; VGPRBlocks: 19
; NumSGPRsForWavesPerEU: 28
; NumVGPRsForWavesPerEU: 160
; AccumOffset: 160
; Occupancy: 3
; WaveLimiterHint : 1
; COMPUTE_PGM_RSRC2:SCRATCH_EN: 1
; COMPUTE_PGM_RSRC2:USER_SGPR: 8
; COMPUTE_PGM_RSRC2:TRAP_HANDLER: 0
; COMPUTE_PGM_RSRC2:TGID_X_EN: 1
; COMPUTE_PGM_RSRC2:TGID_Y_EN: 0
; COMPUTE_PGM_RSRC2:TGID_Z_EN: 0
; COMPUTE_PGM_RSRC2:TIDIG_COMP_CNT: 0
; COMPUTE_PGM_RSRC3_GFX90A:ACCUM_OFFSET: 39
; COMPUTE_PGM_RSRC3_GFX90A:TG_SPLIT: 0
	.section	.text._ZN9rocsolver6v33100L18getri_kernel_smallILi30E19rocblas_complex_numIfEPKPS3_EEvT1_iilPiilS8_bb,"axG",@progbits,_ZN9rocsolver6v33100L18getri_kernel_smallILi30E19rocblas_complex_numIfEPKPS3_EEvT1_iilPiilS8_bb,comdat
	.globl	_ZN9rocsolver6v33100L18getri_kernel_smallILi30E19rocblas_complex_numIfEPKPS3_EEvT1_iilPiilS8_bb ; -- Begin function _ZN9rocsolver6v33100L18getri_kernel_smallILi30E19rocblas_complex_numIfEPKPS3_EEvT1_iilPiilS8_bb
	.p2align	8
	.type	_ZN9rocsolver6v33100L18getri_kernel_smallILi30E19rocblas_complex_numIfEPKPS3_EEvT1_iilPiilS8_bb,@function
_ZN9rocsolver6v33100L18getri_kernel_smallILi30E19rocblas_complex_numIfEPKPS3_EEvT1_iilPiilS8_bb: ; @_ZN9rocsolver6v33100L18getri_kernel_smallILi30E19rocblas_complex_numIfEPKPS3_EEvT1_iilPiilS8_bb
; %bb.0:
	s_add_u32 flat_scratch_lo, s6, s9
	s_addc_u32 flat_scratch_hi, s7, 0
	s_add_u32 s0, s0, s9
	s_addc_u32 s1, s1, 0
	v_cmp_gt_u32_e32 vcc, 30, v0
	s_and_saveexec_b64 s[6:7], vcc
	s_cbranch_execz .LBB93_134
; %bb.1:
	s_load_dword s20, s[4:5], 0x38
	s_load_dwordx2 s[6:7], s[4:5], 0x0
	s_load_dwordx4 s[12:15], s[4:5], 0x28
	s_waitcnt lgkmcnt(0)
	s_bitcmp1_b32 s20, 8
	s_cselect_b64 s[16:17], -1, 0
	s_ashr_i32 s9, s8, 31
	s_lshl_b64 s[10:11], s[8:9], 3
	s_add_u32 s6, s6, s10
	s_addc_u32 s7, s7, s11
	s_load_dwordx2 s[18:19], s[6:7], 0x0
	s_bfe_u32 s6, s20, 0x10008
	s_cmp_eq_u32 s6, 0
                                        ; implicit-def: $sgpr10_sgpr11
	s_cbranch_scc1 .LBB93_3
; %bb.2:
	s_load_dword s6, s[4:5], 0x20
	s_load_dwordx2 s[10:11], s[4:5], 0x18
	s_mul_i32 s7, s8, s13
	s_mul_hi_u32 s13, s8, s12
	s_add_i32 s13, s13, s7
	s_mul_i32 s21, s9, s12
	s_add_i32 s13, s13, s21
	s_mul_i32 s12, s8, s12
	s_waitcnt lgkmcnt(0)
	s_ashr_i32 s7, s6, 31
	s_lshl_b64 s[12:13], s[12:13], 2
	s_add_u32 s10, s10, s12
	s_addc_u32 s11, s11, s13
	s_lshl_b64 s[6:7], s[6:7], 2
	s_add_u32 s10, s10, s6
	s_addc_u32 s11, s11, s7
.LBB93_3:
	s_load_dwordx2 s[6:7], s[4:5], 0x8
	v_lshlrev_b32_e32 v66, 3, v0
	s_waitcnt lgkmcnt(0)
	s_ashr_i32 s5, s6, 31
	s_mov_b32 s4, s6
	s_lshl_b64 s[4:5], s[4:5], 3
	s_add_u32 s4, s18, s4
	s_addc_u32 s5, s19, s5
	s_add_i32 s6, s7, s7
	v_add_u32_e32 v4, s6, v0
	v_ashrrev_i32_e32 v5, 31, v4
	v_lshlrev_b64 v[2:3], 3, v[4:5]
	v_add_u32_e32 v6, s7, v4
	v_mov_b32_e32 v1, s5
	v_add_co_u32_e32 v2, vcc, s4, v2
	v_ashrrev_i32_e32 v7, 31, v6
	v_addc_co_u32_e32 v3, vcc, v1, v3, vcc
	v_lshlrev_b64 v[4:5], 3, v[6:7]
	v_add_u32_e32 v8, s7, v6
	v_add_co_u32_e32 v4, vcc, s4, v4
	v_ashrrev_i32_e32 v9, 31, v8
	v_addc_co_u32_e32 v5, vcc, v1, v5, vcc
	v_lshlrev_b64 v[6:7], 3, v[8:9]
	v_add_u32_e32 v10, s7, v8
	;; [unrolled: 5-line block ×22, first 2 shown]
	v_add_co_u32_e32 v46, vcc, s4, v46
	v_ashrrev_i32_e32 v51, 31, v50
	v_addc_co_u32_e32 v47, vcc, v1, v47, vcc
	v_lshlrev_b64 v[48:49], 3, v[50:51]
	v_add_co_u32_e32 v48, vcc, s4, v48
	v_addc_co_u32_e32 v49, vcc, v1, v49, vcc
	v_mov_b32_e32 v53, s5
	v_add_co_u32_e32 v52, vcc, s4, v66
	s_ashr_i32 s13, s7, 31
	s_mov_b32 s12, s7
	v_add_u32_e32 v56, s7, v50
	v_addc_co_u32_e32 v53, vcc, 0, v53, vcc
	s_lshl_b64 s[12:13], s[12:13], 3
	v_ashrrev_i32_e32 v57, 31, v56
	v_mov_b32_e32 v55, s13
	v_add_co_u32_e32 v54, vcc, s12, v52
	v_lshlrev_b64 v[50:51], 3, v[56:57]
	v_addc_co_u32_e32 v55, vcc, v53, v55, vcc
	v_add_u32_e32 v58, s7, v56
	v_add_co_u32_e32 v50, vcc, s4, v50
	v_ashrrev_i32_e32 v59, 31, v58
	v_addc_co_u32_e32 v51, vcc, v1, v51, vcc
	v_lshlrev_b64 v[56:57], 3, v[58:59]
	v_add_u32_e32 v60, s7, v58
	v_add_co_u32_e32 v56, vcc, s4, v56
	v_ashrrev_i32_e32 v61, 31, v60
	v_addc_co_u32_e32 v57, vcc, v1, v57, vcc
	v_lshlrev_b64 v[58:59], 3, v[60:61]
	v_add_co_u32_e32 v58, vcc, s4, v58
	global_load_dwordx2 v[62:63], v66, s[4:5]
	global_load_dwordx2 v[64:65], v[54:55], off
	global_load_dwordx2 v[68:69], v[2:3], off
	;; [unrolled: 1-line block ×20, first 2 shown]
	v_addc_co_u32_e32 v59, vcc, v1, v59, vcc
	global_load_dwordx2 v[106:107], v[40:41], off
	global_load_dwordx2 v[108:109], v[42:43], off
	;; [unrolled: 1-line block ×8, first 2 shown]
	v_add_u32_e32 v60, s7, v60
	v_ashrrev_i32_e32 v61, 31, v60
	v_lshlrev_b64 v[60:61], 3, v[60:61]
	v_add_co_u32_e32 v60, vcc, s4, v60
	v_addc_co_u32_e32 v61, vcc, v1, v61, vcc
	global_load_dwordx2 v[122:123], v[60:61], off
	s_bitcmp0_b32 s20, 0
	s_mov_b64 s[6:7], -1
	s_waitcnt vmcnt(29)
	buffer_store_dword v63, off, s[0:3], 0 offset:4
	buffer_store_dword v62, off, s[0:3], 0
	s_waitcnt vmcnt(30)
	buffer_store_dword v65, off, s[0:3], 0 offset:12
	buffer_store_dword v64, off, s[0:3], 0 offset:8
	s_waitcnt vmcnt(31)
	buffer_store_dword v69, off, s[0:3], 0 offset:20
	buffer_store_dword v68, off, s[0:3], 0 offset:16
	;; [unrolled: 3-line block ×29, first 2 shown]
	s_cbranch_scc1 .LBB93_132
; %bb.4:
	v_cmp_eq_u32_e64 s[4:5], 0, v0
	s_and_saveexec_b64 s[6:7], s[4:5]
	s_cbranch_execz .LBB93_6
; %bb.5:
	v_mov_b32_e32 v1, 0
	ds_write_b32 v1, v1 offset:480
.LBB93_6:
	s_or_b64 exec, exec, s[6:7]
	v_mov_b32_e32 v1, 0
	v_lshl_add_u32 v67, v0, 3, v1
	s_waitcnt lgkmcnt(0)
	; wave barrier
	s_waitcnt lgkmcnt(0)
	buffer_load_dword v1, v67, s[0:3], 0 offen
	buffer_load_dword v62, v67, s[0:3], 0 offen offset:4
	s_waitcnt vmcnt(1)
	v_cmp_eq_f32_e32 vcc, 0, v1
	s_waitcnt vmcnt(0)
	v_cmp_eq_f32_e64 s[6:7], 0, v62
	s_and_b64 s[6:7], vcc, s[6:7]
	s_and_saveexec_b64 s[12:13], s[6:7]
	s_cbranch_execz .LBB93_10
; %bb.7:
	v_mov_b32_e32 v1, 0
	ds_read_b32 v63, v1 offset:480
	v_add_u32_e32 v62, 1, v0
	s_waitcnt lgkmcnt(0)
	v_readfirstlane_b32 s6, v63
	s_cmp_eq_u32 s6, 0
	s_cselect_b64 s[18:19], -1, 0
	v_cmp_gt_i32_e32 vcc, s6, v62
	s_or_b64 s[18:19], s[18:19], vcc
	s_and_b64 exec, exec, s[18:19]
	s_cbranch_execz .LBB93_10
; %bb.8:
	s_mov_b64 s[18:19], 0
	v_mov_b32_e32 v63, s6
.LBB93_9:                               ; =>This Inner Loop Header: Depth=1
	ds_cmpst_rtn_b32 v63, v1, v63, v62 offset:480
	s_waitcnt lgkmcnt(0)
	v_cmp_ne_u32_e32 vcc, 0, v63
	v_cmp_le_i32_e64 s[6:7], v63, v62
	s_and_b64 s[6:7], vcc, s[6:7]
	s_and_b64 s[6:7], exec, s[6:7]
	s_or_b64 s[18:19], s[6:7], s[18:19]
	s_andn2_b64 exec, exec, s[18:19]
	s_cbranch_execnz .LBB93_9
.LBB93_10:
	s_or_b64 exec, exec, s[12:13]
	v_mov_b32_e32 v62, 0
	s_waitcnt lgkmcnt(0)
	; wave barrier
	ds_read_b32 v1, v62 offset:480
	s_and_saveexec_b64 s[6:7], s[4:5]
	s_cbranch_execz .LBB93_12
; %bb.11:
	s_lshl_b64 s[12:13], s[8:9], 2
	s_add_u32 s12, s14, s12
	s_addc_u32 s13, s15, s13
	s_waitcnt lgkmcnt(0)
	global_store_dword v62, v1, s[12:13]
.LBB93_12:
	s_or_b64 exec, exec, s[6:7]
	s_waitcnt lgkmcnt(0)
	v_cmp_ne_u32_e32 vcc, 0, v1
	s_mov_b64 s[6:7], 0
	s_cbranch_vccnz .LBB93_132
; %bb.13:
	buffer_load_dword v68, v67, s[0:3], 0 offen offset:4
	buffer_load_dword v63, v67, s[0:3], 0 offen
	s_waitcnt vmcnt(1)
	v_cmp_gt_f32_e32 vcc, 0, v68
	v_cndmask_b32_e64 v1, v68, -v68, vcc
	s_waitcnt vmcnt(0)
	v_cmp_gt_f32_e32 vcc, 0, v63
	v_cndmask_b32_e64 v62, v63, -v63, vcc
	v_cmp_ngt_f32_e32 vcc, v62, v1
                                        ; implicit-def: $vgpr1
                                        ; implicit-def: $vgpr62
	s_and_saveexec_b64 s[6:7], vcc
	s_xor_b64 s[6:7], exec, s[6:7]
                                        ; implicit-def: $vgpr64_vgpr65
	s_cbranch_execz .LBB93_15
; %bb.14:
	v_div_scale_f32 v1, s[12:13], v68, v68, v63
	v_rcp_f32_e32 v62, v1
	v_div_scale_f32 v64, vcc, v63, v68, v63
	v_fma_f32 v65, -v1, v62, 1.0
	v_fmac_f32_e32 v62, v65, v62
	v_mul_f32_e32 v65, v64, v62
	v_fma_f32 v69, -v1, v65, v64
	v_fmac_f32_e32 v65, v69, v62
	v_fma_f32 v1, -v1, v65, v64
	v_div_fmas_f32 v1, v1, v62, v65
	v_div_fixup_f32 v62, v1, v68, v63
	v_fmac_f32_e32 v68, v63, v62
	v_div_scale_f32 v1, s[12:13], v68, v68, -1.0
	v_rcp_f32_e32 v63, v1
	v_fma_f32 v64, -v1, v63, 1.0
	v_fmac_f32_e32 v63, v64, v63
	v_div_scale_f32 v64, vcc, -1.0, v68, -1.0
	v_mul_f32_e32 v65, v64, v63
	v_fma_f32 v69, -v1, v65, v64
	v_fmac_f32_e32 v65, v69, v63
	v_fma_f32 v1, -v1, v65, v64
	v_div_fmas_f32 v1, v1, v63, v65
	v_div_fixup_f32 v1, v1, v68, -1.0
	v_mul_f32_e32 v62, v62, v1
	v_xor_b32_e32 v64, 0x80000000, v62
                                        ; implicit-def: $vgpr63
                                        ; implicit-def: $vgpr68
.LBB93_15:
	s_andn2_saveexec_b64 s[6:7], s[6:7]
	s_cbranch_execz .LBB93_17
; %bb.16:
	v_div_scale_f32 v1, s[12:13], v63, v63, v68
	v_rcp_f32_e32 v62, v1
	v_div_scale_f32 v64, vcc, v68, v63, v68
	v_fma_f32 v65, -v1, v62, 1.0
	v_fmac_f32_e32 v62, v65, v62
	v_mul_f32_e32 v65, v64, v62
	v_fma_f32 v69, -v1, v65, v64
	v_fmac_f32_e32 v65, v69, v62
	v_fma_f32 v1, -v1, v65, v64
	v_div_fmas_f32 v1, v1, v62, v65
	v_div_fixup_f32 v1, v1, v63, v68
	v_fmac_f32_e32 v63, v68, v1
	v_div_scale_f32 v62, s[12:13], v63, v63, 1.0
	v_rcp_f32_e32 v64, v62
	v_fma_f32 v65, -v62, v64, 1.0
	v_fmac_f32_e32 v64, v65, v64
	v_div_scale_f32 v65, vcc, 1.0, v63, 1.0
	v_mul_f32_e32 v68, v65, v64
	v_fma_f32 v69, -v62, v68, v65
	v_fmac_f32_e32 v68, v69, v64
	v_fma_f32 v62, -v62, v68, v65
	v_div_fmas_f32 v62, v62, v64, v68
	v_div_fixup_f32 v64, v62, v63, 1.0
	v_xor_b32_e32 v62, 0x80000000, v64
	v_mul_f32_e64 v1, v1, -v64
.LBB93_17:
	s_or_b64 exec, exec, s[6:7]
	buffer_store_dword v1, v67, s[0:3], 0 offen offset:4
	buffer_store_dword v64, v67, s[0:3], 0 offen
	buffer_load_dword v65, off, s[0:3], 0 offset:12
	s_nop 0
	buffer_load_dword v64, off, s[0:3], 0 offset:8
	v_xor_b32_e32 v63, 0x80000000, v1
	v_add_u32_e32 v1, 0xf0, v66
	s_waitcnt vmcnt(0)
	ds_write2_b64 v66, v[62:63], v[64:65] offset1:30
	s_waitcnt lgkmcnt(0)
	; wave barrier
	s_waitcnt lgkmcnt(0)
	s_and_saveexec_b64 s[6:7], s[4:5]
	s_cbranch_execz .LBB93_19
; %bb.18:
	buffer_load_dword v68, v67, s[0:3], 0 offen offset:4
	buffer_load_dword v69, v67, s[0:3], 0 offen
	ds_read_b64 v[62:63], v1
	v_mov_b32_e32 v64, 0
	ds_read_b64 v[64:65], v64 offset:8
	s_waitcnt vmcnt(1) lgkmcnt(1)
	v_mul_f32_e32 v70, v63, v68
	v_mul_f32_e32 v68, v62, v68
	s_waitcnt vmcnt(0)
	v_fmac_f32_e32 v68, v63, v69
	v_fma_f32 v62, v62, v69, -v70
	v_add_f32_e32 v63, 0, v68
	v_add_f32_e32 v62, 0, v62
	s_waitcnt lgkmcnt(0)
	v_mul_f32_e32 v68, v63, v65
	v_mul_f32_e32 v65, v62, v65
	v_fma_f32 v62, v62, v64, -v68
	v_fmac_f32_e32 v65, v63, v64
	buffer_store_dword v62, off, s[0:3], 0 offset:8
	buffer_store_dword v65, off, s[0:3], 0 offset:12
.LBB93_19:
	s_or_b64 exec, exec, s[6:7]
	s_waitcnt lgkmcnt(0)
	; wave barrier
	buffer_load_dword v62, off, s[0:3], 0 offset:16
	buffer_load_dword v63, off, s[0:3], 0 offset:20
	v_cmp_gt_u32_e32 vcc, 2, v0
	s_waitcnt vmcnt(0)
	ds_write_b64 v1, v[62:63]
	s_waitcnt lgkmcnt(0)
	; wave barrier
	s_waitcnt lgkmcnt(0)
	s_and_saveexec_b64 s[6:7], vcc
	s_cbranch_execz .LBB93_23
; %bb.20:
	buffer_load_dword v64, v67, s[0:3], 0 offen offset:4
	buffer_load_dword v65, v67, s[0:3], 0 offen
	ds_read_b64 v[62:63], v1
	s_waitcnt vmcnt(1) lgkmcnt(0)
	v_mul_f32_e32 v67, v63, v64
	v_mul_f32_e32 v64, v62, v64
	s_waitcnt vmcnt(0)
	v_fma_f32 v62, v62, v65, -v67
	v_fmac_f32_e32 v64, v63, v65
	v_add_f32_e32 v63, 0, v62
	v_add_f32_e32 v62, 0, v64
	s_and_saveexec_b64 s[12:13], s[4:5]
	s_cbranch_execz .LBB93_22
; %bb.21:
	buffer_load_dword v67, off, s[0:3], 0 offset:12
	buffer_load_dword v68, off, s[0:3], 0 offset:8
	v_mov_b32_e32 v64, 0
	ds_read_b64 v[64:65], v64 offset:248
	s_waitcnt vmcnt(1) lgkmcnt(0)
	v_mul_f32_e32 v69, v64, v67
	v_mul_f32_e32 v67, v65, v67
	s_waitcnt vmcnt(0)
	v_fmac_f32_e32 v69, v65, v68
	v_fma_f32 v64, v64, v68, -v67
	v_add_f32_e32 v62, v62, v69
	v_add_f32_e32 v63, v63, v64
.LBB93_22:
	s_or_b64 exec, exec, s[12:13]
	v_mov_b32_e32 v64, 0
	ds_read_b64 v[64:65], v64 offset:16
	s_waitcnt lgkmcnt(0)
	v_mul_f32_e32 v67, v62, v65
	v_mul_f32_e32 v65, v63, v65
	v_fma_f32 v63, v63, v64, -v67
	v_fmac_f32_e32 v65, v62, v64
	buffer_store_dword v63, off, s[0:3], 0 offset:16
	buffer_store_dword v65, off, s[0:3], 0 offset:20
.LBB93_23:
	s_or_b64 exec, exec, s[6:7]
	s_waitcnt lgkmcnt(0)
	; wave barrier
	buffer_load_dword v62, off, s[0:3], 0 offset:24
	buffer_load_dword v63, off, s[0:3], 0 offset:28
	v_cmp_gt_u32_e32 vcc, 3, v0
	s_waitcnt vmcnt(0)
	ds_write_b64 v1, v[62:63]
	v_add_u32_e32 v62, -1, v0
	s_waitcnt lgkmcnt(0)
	; wave barrier
	s_waitcnt lgkmcnt(0)
	s_and_saveexec_b64 s[4:5], vcc
	s_cbranch_execz .LBB93_27
; %bb.24:
	v_add_u32_e32 v64, -1, v0
	v_add_u32_e32 v65, 0xf0, v66
	v_add_u32_e32 v67, 0, v66
	s_mov_b64 s[6:7], 0
	v_mov_b32_e32 v63, 0
	v_mov_b32_e32 v68, 0
.LBB93_25:                              ; =>This Inner Loop Header: Depth=1
	buffer_load_dword v69, v67, s[0:3], 0 offen offset:4
	buffer_load_dword v72, v67, s[0:3], 0 offen
	ds_read_b64 v[70:71], v65
	v_add_u32_e32 v64, 1, v64
	v_cmp_lt_u32_e32 vcc, 1, v64
	v_add_u32_e32 v65, 8, v65
	v_add_u32_e32 v67, 8, v67
	s_or_b64 s[6:7], vcc, s[6:7]
	s_waitcnt vmcnt(1) lgkmcnt(0)
	v_mul_f32_e32 v73, v71, v69
	v_mul_f32_e32 v69, v70, v69
	s_waitcnt vmcnt(0)
	v_fma_f32 v70, v70, v72, -v73
	v_fmac_f32_e32 v69, v71, v72
	v_add_f32_e32 v68, v68, v70
	v_add_f32_e32 v63, v63, v69
	s_andn2_b64 exec, exec, s[6:7]
	s_cbranch_execnz .LBB93_25
; %bb.26:
	s_or_b64 exec, exec, s[6:7]
	v_mov_b32_e32 v64, 0
	ds_read_b64 v[64:65], v64 offset:24
	s_waitcnt lgkmcnt(0)
	v_mul_f32_e32 v67, v63, v65
	v_mul_f32_e32 v65, v68, v65
	v_fma_f32 v67, v68, v64, -v67
	v_fmac_f32_e32 v65, v63, v64
	buffer_store_dword v67, off, s[0:3], 0 offset:24
	buffer_store_dword v65, off, s[0:3], 0 offset:28
.LBB93_27:
	s_or_b64 exec, exec, s[4:5]
	s_waitcnt lgkmcnt(0)
	; wave barrier
	buffer_load_dword v64, off, s[0:3], 0 offset:32
	buffer_load_dword v65, off, s[0:3], 0 offset:36
	v_cmp_gt_u32_e32 vcc, 4, v0
	s_waitcnt vmcnt(0)
	ds_write_b64 v1, v[64:65]
	s_waitcnt lgkmcnt(0)
	; wave barrier
	s_waitcnt lgkmcnt(0)
	s_and_saveexec_b64 s[4:5], vcc
	s_cbranch_execz .LBB93_31
; %bb.28:
	v_add_u32_e32 v64, -1, v0
	v_add_u32_e32 v65, 0xf0, v66
	v_add_u32_e32 v67, 0, v66
	s_mov_b64 s[6:7], 0
	v_mov_b32_e32 v63, 0
	v_mov_b32_e32 v68, 0
.LBB93_29:                              ; =>This Inner Loop Header: Depth=1
	buffer_load_dword v69, v67, s[0:3], 0 offen offset:4
	buffer_load_dword v72, v67, s[0:3], 0 offen
	ds_read_b64 v[70:71], v65
	v_add_u32_e32 v64, 1, v64
	v_cmp_lt_u32_e32 vcc, 2, v64
	v_add_u32_e32 v65, 8, v65
	v_add_u32_e32 v67, 8, v67
	s_or_b64 s[6:7], vcc, s[6:7]
	s_waitcnt vmcnt(1) lgkmcnt(0)
	v_mul_f32_e32 v73, v71, v69
	v_mul_f32_e32 v69, v70, v69
	s_waitcnt vmcnt(0)
	v_fma_f32 v70, v70, v72, -v73
	v_fmac_f32_e32 v69, v71, v72
	v_add_f32_e32 v68, v68, v70
	v_add_f32_e32 v63, v63, v69
	s_andn2_b64 exec, exec, s[6:7]
	s_cbranch_execnz .LBB93_29
; %bb.30:
	s_or_b64 exec, exec, s[6:7]
	v_mov_b32_e32 v64, 0
	ds_read_b64 v[64:65], v64 offset:32
	s_waitcnt lgkmcnt(0)
	v_mul_f32_e32 v67, v63, v65
	v_mul_f32_e32 v65, v68, v65
	v_fma_f32 v67, v68, v64, -v67
	v_fmac_f32_e32 v65, v63, v64
	buffer_store_dword v67, off, s[0:3], 0 offset:32
	buffer_store_dword v65, off, s[0:3], 0 offset:36
.LBB93_31:
	s_or_b64 exec, exec, s[4:5]
	s_waitcnt lgkmcnt(0)
	; wave barrier
	buffer_load_dword v64, off, s[0:3], 0 offset:40
	buffer_load_dword v65, off, s[0:3], 0 offset:44
	v_cmp_gt_u32_e32 vcc, 5, v0
	s_waitcnt vmcnt(0)
	ds_write_b64 v1, v[64:65]
	;; [unrolled: 51-line block ×19, first 2 shown]
	s_waitcnt lgkmcnt(0)
	; wave barrier
	s_waitcnt lgkmcnt(0)
	s_and_saveexec_b64 s[4:5], vcc
	s_cbranch_execz .LBB93_103
; %bb.100:
	v_add_u32_e32 v64, -1, v0
	v_add_u32_e32 v65, 0xf0, v66
	v_add_u32_e32 v67, 0, v66
	s_mov_b64 s[6:7], 0
	v_mov_b32_e32 v63, 0
	v_mov_b32_e32 v68, 0
.LBB93_101:                             ; =>This Inner Loop Header: Depth=1
	buffer_load_dword v69, v67, s[0:3], 0 offen offset:4
	buffer_load_dword v72, v67, s[0:3], 0 offen
	ds_read_b64 v[70:71], v65
	v_add_u32_e32 v64, 1, v64
	v_cmp_lt_u32_e32 vcc, 20, v64
	v_add_u32_e32 v65, 8, v65
	v_add_u32_e32 v67, 8, v67
	s_or_b64 s[6:7], vcc, s[6:7]
	s_waitcnt vmcnt(1) lgkmcnt(0)
	v_mul_f32_e32 v73, v71, v69
	v_mul_f32_e32 v69, v70, v69
	s_waitcnt vmcnt(0)
	v_fma_f32 v70, v70, v72, -v73
	v_fmac_f32_e32 v69, v71, v72
	v_add_f32_e32 v68, v68, v70
	v_add_f32_e32 v63, v63, v69
	s_andn2_b64 exec, exec, s[6:7]
	s_cbranch_execnz .LBB93_101
; %bb.102:
	s_or_b64 exec, exec, s[6:7]
	v_mov_b32_e32 v64, 0
	ds_read_b64 v[64:65], v64 offset:176
	s_waitcnt lgkmcnt(0)
	v_mul_f32_e32 v67, v63, v65
	v_mul_f32_e32 v65, v68, v65
	v_fma_f32 v67, v68, v64, -v67
	v_fmac_f32_e32 v65, v63, v64
	buffer_store_dword v67, off, s[0:3], 0 offset:176
	buffer_store_dword v65, off, s[0:3], 0 offset:180
.LBB93_103:
	s_or_b64 exec, exec, s[4:5]
	s_waitcnt lgkmcnt(0)
	; wave barrier
	buffer_load_dword v64, off, s[0:3], 0 offset:184
	buffer_load_dword v65, off, s[0:3], 0 offset:188
	v_cmp_gt_u32_e32 vcc, 23, v0
	s_waitcnt vmcnt(0)
	ds_write_b64 v1, v[64:65]
	s_waitcnt lgkmcnt(0)
	; wave barrier
	s_waitcnt lgkmcnt(0)
	s_and_saveexec_b64 s[4:5], vcc
	s_cbranch_execz .LBB93_107
; %bb.104:
	v_add_u32_e32 v64, -1, v0
	v_add_u32_e32 v65, 0xf0, v66
	v_add_u32_e32 v67, 0, v66
	s_mov_b64 s[6:7], 0
	v_mov_b32_e32 v63, 0
	v_mov_b32_e32 v68, 0
.LBB93_105:                             ; =>This Inner Loop Header: Depth=1
	buffer_load_dword v69, v67, s[0:3], 0 offen offset:4
	buffer_load_dword v72, v67, s[0:3], 0 offen
	ds_read_b64 v[70:71], v65
	v_add_u32_e32 v64, 1, v64
	v_cmp_lt_u32_e32 vcc, 21, v64
	v_add_u32_e32 v65, 8, v65
	v_add_u32_e32 v67, 8, v67
	s_or_b64 s[6:7], vcc, s[6:7]
	s_waitcnt vmcnt(1) lgkmcnt(0)
	v_mul_f32_e32 v73, v71, v69
	v_mul_f32_e32 v69, v70, v69
	s_waitcnt vmcnt(0)
	v_fma_f32 v70, v70, v72, -v73
	v_fmac_f32_e32 v69, v71, v72
	v_add_f32_e32 v68, v68, v70
	v_add_f32_e32 v63, v63, v69
	s_andn2_b64 exec, exec, s[6:7]
	s_cbranch_execnz .LBB93_105
; %bb.106:
	s_or_b64 exec, exec, s[6:7]
	v_mov_b32_e32 v64, 0
	ds_read_b64 v[64:65], v64 offset:184
	s_waitcnt lgkmcnt(0)
	v_mul_f32_e32 v67, v63, v65
	v_mul_f32_e32 v65, v68, v65
	v_fma_f32 v67, v68, v64, -v67
	v_fmac_f32_e32 v65, v63, v64
	buffer_store_dword v67, off, s[0:3], 0 offset:184
	buffer_store_dword v65, off, s[0:3], 0 offset:188
.LBB93_107:
	s_or_b64 exec, exec, s[4:5]
	s_waitcnt lgkmcnt(0)
	; wave barrier
	buffer_load_dword v64, off, s[0:3], 0 offset:192
	buffer_load_dword v65, off, s[0:3], 0 offset:196
	v_cmp_gt_u32_e32 vcc, 24, v0
	s_waitcnt vmcnt(0)
	ds_write_b64 v1, v[64:65]
	;; [unrolled: 51-line block ×6, first 2 shown]
	s_waitcnt lgkmcnt(0)
	; wave barrier
	s_waitcnt lgkmcnt(0)
	s_and_saveexec_b64 s[4:5], vcc
	s_cbranch_execz .LBB93_127
; %bb.124:
	v_add_u32_e32 v64, -1, v0
	v_add_u32_e32 v65, 0xf0, v66
	v_add_u32_e32 v67, 0, v66
	s_mov_b64 s[6:7], 0
	v_mov_b32_e32 v63, 0
	v_mov_b32_e32 v68, 0
.LBB93_125:                             ; =>This Inner Loop Header: Depth=1
	buffer_load_dword v69, v67, s[0:3], 0 offen offset:4
	buffer_load_dword v72, v67, s[0:3], 0 offen
	ds_read_b64 v[70:71], v65
	v_add_u32_e32 v64, 1, v64
	v_cmp_lt_u32_e32 vcc, 26, v64
	v_add_u32_e32 v65, 8, v65
	v_add_u32_e32 v67, 8, v67
	s_or_b64 s[6:7], vcc, s[6:7]
	s_waitcnt vmcnt(1) lgkmcnt(0)
	v_mul_f32_e32 v73, v71, v69
	v_mul_f32_e32 v69, v70, v69
	s_waitcnt vmcnt(0)
	v_fma_f32 v70, v70, v72, -v73
	v_fmac_f32_e32 v69, v71, v72
	v_add_f32_e32 v68, v68, v70
	v_add_f32_e32 v63, v63, v69
	s_andn2_b64 exec, exec, s[6:7]
	s_cbranch_execnz .LBB93_125
; %bb.126:
	s_or_b64 exec, exec, s[6:7]
	v_mov_b32_e32 v64, 0
	ds_read_b64 v[64:65], v64 offset:224
	s_waitcnt lgkmcnt(0)
	v_mul_f32_e32 v67, v63, v65
	v_mul_f32_e32 v65, v68, v65
	v_fma_f32 v67, v68, v64, -v67
	v_fmac_f32_e32 v65, v63, v64
	buffer_store_dword v67, off, s[0:3], 0 offset:224
	buffer_store_dword v65, off, s[0:3], 0 offset:228
.LBB93_127:
	s_or_b64 exec, exec, s[4:5]
	s_waitcnt lgkmcnt(0)
	; wave barrier
	buffer_load_dword v64, off, s[0:3], 0 offset:232
	buffer_load_dword v65, off, s[0:3], 0 offset:236
	v_cmp_ne_u32_e32 vcc, 29, v0
	s_waitcnt vmcnt(0)
	ds_write_b64 v1, v[64:65]
	s_waitcnt lgkmcnt(0)
	; wave barrier
	s_waitcnt lgkmcnt(0)
	s_and_saveexec_b64 s[4:5], vcc
	s_cbranch_execz .LBB93_131
; %bb.128:
	v_add_u32_e32 v63, 0xf0, v66
	v_add_u32_e32 v64, 0, v66
	s_mov_b64 s[6:7], 0
	v_mov_b32_e32 v1, 0
	v_mov_b32_e32 v65, 0
.LBB93_129:                             ; =>This Inner Loop Header: Depth=1
	buffer_load_dword v68, v64, s[0:3], 0 offen offset:4
	buffer_load_dword v69, v64, s[0:3], 0 offen
	ds_read_b64 v[66:67], v63
	v_add_u32_e32 v62, 1, v62
	v_cmp_lt_u32_e32 vcc, 27, v62
	v_add_u32_e32 v63, 8, v63
	v_add_u32_e32 v64, 8, v64
	s_or_b64 s[6:7], vcc, s[6:7]
	s_waitcnt vmcnt(1) lgkmcnt(0)
	v_mul_f32_e32 v70, v67, v68
	v_mul_f32_e32 v68, v66, v68
	s_waitcnt vmcnt(0)
	v_fma_f32 v66, v66, v69, -v70
	v_fmac_f32_e32 v68, v67, v69
	v_add_f32_e32 v65, v65, v66
	v_add_f32_e32 v1, v1, v68
	s_andn2_b64 exec, exec, s[6:7]
	s_cbranch_execnz .LBB93_129
; %bb.130:
	s_or_b64 exec, exec, s[6:7]
	v_mov_b32_e32 v62, 0
	ds_read_b64 v[62:63], v62 offset:232
	s_waitcnt lgkmcnt(0)
	v_mul_f32_e32 v64, v1, v63
	v_mul_f32_e32 v63, v65, v63
	v_fma_f32 v64, v65, v62, -v64
	v_fmac_f32_e32 v63, v1, v62
	buffer_store_dword v64, off, s[0:3], 0 offset:232
	buffer_store_dword v63, off, s[0:3], 0 offset:236
.LBB93_131:
	s_or_b64 exec, exec, s[4:5]
	s_mov_b64 s[6:7], -1
	s_waitcnt lgkmcnt(0)
	; wave barrier
.LBB93_132:
	s_and_b64 vcc, exec, s[6:7]
	s_cbranch_vccz .LBB93_134
; %bb.133:
	s_lshl_b64 s[4:5], s[8:9], 2
	s_add_u32 s4, s14, s4
	s_addc_u32 s5, s15, s5
	v_mov_b32_e32 v1, 0
	global_load_dword v1, v1, s[4:5]
	s_waitcnt vmcnt(0)
	v_cmp_ne_u32_e32 vcc, 0, v1
	s_cbranch_vccz .LBB93_135
.LBB93_134:
	s_endpgm
.LBB93_135:
	v_mov_b32_e32 v1, 0xf0
	v_lshl_add_u32 v1, v0, 3, v1
	v_cmp_eq_u32_e32 vcc, 29, v0
	s_and_saveexec_b64 s[4:5], vcc
	s_cbranch_execz .LBB93_137
; %bb.136:
	buffer_load_dword v62, off, s[0:3], 0 offset:224
	buffer_load_dword v63, off, s[0:3], 0 offset:228
	v_mov_b32_e32 v64, 0
	buffer_store_dword v64, off, s[0:3], 0 offset:224
	buffer_store_dword v64, off, s[0:3], 0 offset:228
	s_waitcnt vmcnt(2)
	ds_write_b64 v1, v[62:63]
.LBB93_137:
	s_or_b64 exec, exec, s[4:5]
	s_waitcnt lgkmcnt(0)
	; wave barrier
	s_waitcnt lgkmcnt(0)
	buffer_load_dword v65, off, s[0:3], 0 offset:236
	buffer_load_dword v64, off, s[0:3], 0 offset:232
	;; [unrolled: 1-line block ×4, first 2 shown]
	v_mov_b32_e32 v62, 0
	ds_read_b64 v[68:69], v62 offset:472
	v_cmp_lt_u32_e32 vcc, 27, v0
	s_waitcnt vmcnt(3)
	v_mov_b32_e32 v70, v65
	s_waitcnt lgkmcnt(0)
	v_pk_mul_f32 v[70:71], v[68:69], v[70:71] op_sel_hi:[1,0]
	s_waitcnt vmcnt(2)
	v_pk_fma_f32 v[72:73], v[68:69], v[64:65], v[70:71] op_sel:[0,0,1] op_sel_hi:[1,1,0] neg_lo:[0,0,1] neg_hi:[0,0,1]
	v_pk_fma_f32 v[64:65], v[68:69], v[64:65], v[70:71] op_sel:[0,0,1] op_sel_hi:[1,0,0]
	v_mov_b32_e32 v73, v65
	v_pk_add_f32 v[64:65], v[72:73], 0 op_sel_hi:[1,0]
	s_waitcnt vmcnt(0)
	v_pk_add_f32 v[64:65], v[66:67], v[64:65] neg_lo:[0,1] neg_hi:[0,1]
	buffer_store_dword v64, off, s[0:3], 0 offset:224
	buffer_store_dword v65, off, s[0:3], 0 offset:228
	s_and_saveexec_b64 s[4:5], vcc
	s_cbranch_execz .LBB93_139
; %bb.138:
	buffer_load_dword v64, off, s[0:3], 0 offset:216
	buffer_load_dword v65, off, s[0:3], 0 offset:220
	s_waitcnt vmcnt(0)
	ds_write_b64 v1, v[64:65]
	buffer_store_dword v62, off, s[0:3], 0 offset:216
	buffer_store_dword v62, off, s[0:3], 0 offset:220
.LBB93_139:
	s_or_b64 exec, exec, s[4:5]
	s_waitcnt lgkmcnt(0)
	; wave barrier
	s_waitcnt lgkmcnt(0)
	buffer_load_dword v67, off, s[0:3], 0 offset:228
	buffer_load_dword v69, off, s[0:3], 0 offset:236
	buffer_load_dword v66, off, s[0:3], 0 offset:224
	buffer_load_dword v68, off, s[0:3], 0 offset:232
	buffer_load_dword v70, off, s[0:3], 0 offset:216
	buffer_load_dword v71, off, s[0:3], 0 offset:220
	ds_read_b128 v[62:65], v62 offset:464
	v_cmp_lt_u32_e32 vcc, 26, v0
	s_waitcnt vmcnt(5)
	v_mov_b32_e32 v72, v67
	s_waitcnt vmcnt(4)
	v_mov_b32_e32 v74, v69
	s_waitcnt lgkmcnt(0)
	v_pk_mul_f32 v[72:73], v[62:63], v[72:73] op_sel_hi:[1,0]
	v_pk_mul_f32 v[74:75], v[64:65], v[74:75] op_sel_hi:[1,0]
	s_waitcnt vmcnt(3)
	v_pk_fma_f32 v[76:77], v[62:63], v[66:67], v[72:73] op_sel:[0,0,1] op_sel_hi:[1,1,0] neg_lo:[0,0,1] neg_hi:[0,0,1]
	v_pk_fma_f32 v[62:63], v[62:63], v[66:67], v[72:73] op_sel:[0,0,1] op_sel_hi:[1,0,0]
	s_waitcnt vmcnt(2)
	v_pk_fma_f32 v[66:67], v[64:65], v[68:69], v[74:75] op_sel:[0,0,1] op_sel_hi:[1,1,0] neg_lo:[0,0,1] neg_hi:[0,0,1]
	v_pk_fma_f32 v[64:65], v[64:65], v[68:69], v[74:75] op_sel:[0,0,1] op_sel_hi:[1,0,0]
	v_mov_b32_e32 v77, v63
	v_mov_b32_e32 v67, v65
	v_pk_add_f32 v[62:63], v[76:77], 0 op_sel_hi:[1,0]
	v_pk_add_f32 v[62:63], v[62:63], v[66:67]
	s_waitcnt vmcnt(0)
	v_pk_add_f32 v[62:63], v[70:71], v[62:63] neg_lo:[0,1] neg_hi:[0,1]
	buffer_store_dword v62, off, s[0:3], 0 offset:216
	buffer_store_dword v63, off, s[0:3], 0 offset:220
	s_and_saveexec_b64 s[4:5], vcc
	s_cbranch_execz .LBB93_141
; %bb.140:
	buffer_load_dword v62, off, s[0:3], 0 offset:208
	buffer_load_dword v63, off, s[0:3], 0 offset:212
	v_mov_b32_e32 v64, 0
	buffer_store_dword v64, off, s[0:3], 0 offset:208
	buffer_store_dword v64, off, s[0:3], 0 offset:212
	s_waitcnt vmcnt(2)
	ds_write_b64 v1, v[62:63]
.LBB93_141:
	s_or_b64 exec, exec, s[4:5]
	s_waitcnt lgkmcnt(0)
	; wave barrier
	s_waitcnt lgkmcnt(0)
	buffer_load_dword v69, off, s[0:3], 0 offset:220
	buffer_load_dword v71, off, s[0:3], 0 offset:228
	;; [unrolled: 1-line block ×8, first 2 shown]
	v_mov_b32_e32 v62, 0
	ds_read2_b64 v[64:67], v62 offset0:57 offset1:58
	ds_read_b64 v[76:77], v62 offset:472
	v_cmp_lt_u32_e32 vcc, 25, v0
	s_waitcnt vmcnt(7)
	v_mov_b32_e32 v78, v69
	s_waitcnt vmcnt(6)
	v_mov_b32_e32 v80, v71
	s_waitcnt lgkmcnt(1)
	v_pk_mul_f32 v[78:79], v[64:65], v[78:79] op_sel_hi:[1,0]
	s_waitcnt vmcnt(5)
	v_mov_b32_e32 v82, v73
	v_pk_mul_f32 v[80:81], v[66:67], v[80:81] op_sel_hi:[1,0]
	s_waitcnt vmcnt(4)
	v_pk_fma_f32 v[84:85], v[64:65], v[68:69], v[78:79] op_sel:[0,0,1] op_sel_hi:[1,1,0] neg_lo:[0,0,1] neg_hi:[0,0,1]
	v_pk_fma_f32 v[64:65], v[64:65], v[68:69], v[78:79] op_sel:[0,0,1] op_sel_hi:[1,0,0]
	s_waitcnt lgkmcnt(0)
	v_pk_mul_f32 v[82:83], v[76:77], v[82:83] op_sel_hi:[1,0]
	s_waitcnt vmcnt(3)
	v_pk_fma_f32 v[68:69], v[66:67], v[70:71], v[80:81] op_sel:[0,0,1] op_sel_hi:[1,1,0] neg_lo:[0,0,1] neg_hi:[0,0,1]
	v_pk_fma_f32 v[66:67], v[66:67], v[70:71], v[80:81] op_sel:[0,0,1] op_sel_hi:[1,0,0]
	v_mov_b32_e32 v85, v65
	s_waitcnt vmcnt(2)
	v_pk_fma_f32 v[70:71], v[76:77], v[72:73], v[82:83] op_sel:[0,0,1] op_sel_hi:[1,1,0] neg_lo:[0,0,1] neg_hi:[0,0,1]
	v_pk_fma_f32 v[72:73], v[76:77], v[72:73], v[82:83] op_sel:[0,0,1] op_sel_hi:[1,0,0]
	v_mov_b32_e32 v69, v67
	v_pk_add_f32 v[64:65], v[84:85], 0 op_sel_hi:[1,0]
	v_mov_b32_e32 v71, v73
	v_pk_add_f32 v[64:65], v[64:65], v[68:69]
	v_pk_add_f32 v[64:65], v[64:65], v[70:71]
	s_waitcnt vmcnt(0)
	v_pk_add_f32 v[64:65], v[74:75], v[64:65] neg_lo:[0,1] neg_hi:[0,1]
	buffer_store_dword v64, off, s[0:3], 0 offset:208
	buffer_store_dword v65, off, s[0:3], 0 offset:212
	s_and_saveexec_b64 s[4:5], vcc
	s_cbranch_execz .LBB93_143
; %bb.142:
	buffer_load_dword v64, off, s[0:3], 0 offset:200
	buffer_load_dword v65, off, s[0:3], 0 offset:204
	s_waitcnt vmcnt(0)
	ds_write_b64 v1, v[64:65]
	buffer_store_dword v62, off, s[0:3], 0 offset:200
	buffer_store_dword v62, off, s[0:3], 0 offset:204
.LBB93_143:
	s_or_b64 exec, exec, s[4:5]
	s_waitcnt lgkmcnt(0)
	; wave barrier
	s_waitcnt lgkmcnt(0)
	buffer_load_dword v73, off, s[0:3], 0 offset:212
	buffer_load_dword v75, off, s[0:3], 0 offset:220
	;; [unrolled: 1-line block ×10, first 2 shown]
	ds_read_b128 v[64:67], v62 offset:448
	ds_read_b128 v[68:71], v62 offset:464
	v_cmp_lt_u32_e32 vcc, 24, v0
	s_waitcnt vmcnt(9)
	v_mov_b32_e32 v62, v73
	s_waitcnt vmcnt(8)
	v_mov_b32_e32 v82, v75
	s_waitcnt lgkmcnt(1)
	v_pk_mul_f32 v[62:63], v[64:65], v[62:63] op_sel_hi:[1,0]
	s_waitcnt vmcnt(7)
	v_mov_b32_e32 v84, v77
	v_pk_mul_f32 v[82:83], v[66:67], v[82:83] op_sel_hi:[1,0]
	s_waitcnt vmcnt(5)
	v_pk_fma_f32 v[88:89], v[64:65], v[72:73], v[62:63] op_sel:[0,0,1] op_sel_hi:[1,1,0] neg_lo:[0,0,1] neg_hi:[0,0,1]
	v_pk_fma_f32 v[62:63], v[64:65], v[72:73], v[62:63] op_sel:[0,0,1] op_sel_hi:[1,0,0]
	v_mov_b32_e32 v86, v79
	s_waitcnt lgkmcnt(0)
	v_pk_mul_f32 v[84:85], v[68:69], v[84:85] op_sel_hi:[1,0]
	s_waitcnt vmcnt(4)
	v_pk_fma_f32 v[64:65], v[66:67], v[74:75], v[82:83] op_sel:[0,0,1] op_sel_hi:[1,1,0] neg_lo:[0,0,1] neg_hi:[0,0,1]
	v_pk_fma_f32 v[66:67], v[66:67], v[74:75], v[82:83] op_sel:[0,0,1] op_sel_hi:[1,0,0]
	v_mov_b32_e32 v89, v63
	v_pk_mul_f32 v[86:87], v[70:71], v[86:87] op_sel_hi:[1,0]
	s_waitcnt vmcnt(3)
	v_pk_fma_f32 v[72:73], v[68:69], v[76:77], v[84:85] op_sel:[0,0,1] op_sel_hi:[1,1,0] neg_lo:[0,0,1] neg_hi:[0,0,1]
	v_pk_fma_f32 v[68:69], v[68:69], v[76:77], v[84:85] op_sel:[0,0,1] op_sel_hi:[1,0,0]
	v_mov_b32_e32 v65, v67
	v_pk_add_f32 v[62:63], v[88:89], 0 op_sel_hi:[1,0]
	s_waitcnt vmcnt(2)
	v_pk_fma_f32 v[74:75], v[70:71], v[78:79], v[86:87] op_sel:[0,0,1] op_sel_hi:[1,1,0] neg_lo:[0,0,1] neg_hi:[0,0,1]
	v_pk_fma_f32 v[70:71], v[70:71], v[78:79], v[86:87] op_sel:[0,0,1] op_sel_hi:[1,0,0]
	v_mov_b32_e32 v73, v69
	v_pk_add_f32 v[62:63], v[62:63], v[64:65]
	v_mov_b32_e32 v75, v71
	v_pk_add_f32 v[62:63], v[62:63], v[72:73]
	v_pk_add_f32 v[62:63], v[62:63], v[74:75]
	s_waitcnt vmcnt(0)
	v_pk_add_f32 v[62:63], v[80:81], v[62:63] neg_lo:[0,1] neg_hi:[0,1]
	buffer_store_dword v62, off, s[0:3], 0 offset:200
	buffer_store_dword v63, off, s[0:3], 0 offset:204
	s_and_saveexec_b64 s[4:5], vcc
	s_cbranch_execz .LBB93_145
; %bb.144:
	buffer_load_dword v62, off, s[0:3], 0 offset:192
	buffer_load_dword v63, off, s[0:3], 0 offset:196
	v_mov_b32_e32 v64, 0
	buffer_store_dword v64, off, s[0:3], 0 offset:192
	buffer_store_dword v64, off, s[0:3], 0 offset:196
	s_waitcnt vmcnt(2)
	ds_write_b64 v1, v[62:63]
.LBB93_145:
	s_or_b64 exec, exec, s[4:5]
	s_waitcnt lgkmcnt(0)
	; wave barrier
	s_waitcnt lgkmcnt(0)
	buffer_load_dword v73, off, s[0:3], 0 offset:204
	buffer_load_dword v75, off, s[0:3], 0 offset:212
	;; [unrolled: 1-line block ×12, first 2 shown]
	v_mov_b32_e32 v62, 0
	ds_read2_b64 v[64:67], v62 offset0:55 offset1:56
	ds_read2_b64 v[68:71], v62 offset0:57 offset1:58
	ds_read_b64 v[84:85], v62 offset:472
	v_cmp_lt_u32_e32 vcc, 23, v0
	s_waitcnt vmcnt(11)
	v_mov_b32_e32 v86, v73
	s_waitcnt vmcnt(10)
	v_mov_b32_e32 v88, v75
	s_waitcnt lgkmcnt(2)
	v_pk_mul_f32 v[86:87], v[64:65], v[86:87] op_sel_hi:[1,0]
	s_waitcnt vmcnt(9)
	v_mov_b32_e32 v90, v77
	v_pk_mul_f32 v[88:89], v[66:67], v[88:89] op_sel_hi:[1,0]
	s_waitcnt vmcnt(6)
	v_pk_fma_f32 v[96:97], v[64:65], v[72:73], v[86:87] op_sel:[0,0,1] op_sel_hi:[1,1,0] neg_lo:[0,0,1] neg_hi:[0,0,1]
	v_pk_fma_f32 v[64:65], v[64:65], v[72:73], v[86:87] op_sel:[0,0,1] op_sel_hi:[1,0,0]
	v_mov_b32_e32 v92, v79
	s_waitcnt lgkmcnt(1)
	v_pk_mul_f32 v[90:91], v[68:69], v[90:91] op_sel_hi:[1,0]
	s_waitcnt vmcnt(5)
	v_pk_fma_f32 v[72:73], v[66:67], v[74:75], v[88:89] op_sel:[0,0,1] op_sel_hi:[1,1,0] neg_lo:[0,0,1] neg_hi:[0,0,1]
	v_pk_fma_f32 v[66:67], v[66:67], v[74:75], v[88:89] op_sel:[0,0,1] op_sel_hi:[1,0,0]
	v_mov_b32_e32 v97, v65
	v_mov_b32_e32 v94, v81
	v_pk_mul_f32 v[92:93], v[70:71], v[92:93] op_sel_hi:[1,0]
	s_waitcnt vmcnt(4)
	v_pk_fma_f32 v[74:75], v[68:69], v[76:77], v[90:91] op_sel:[0,0,1] op_sel_hi:[1,1,0] neg_lo:[0,0,1] neg_hi:[0,0,1]
	v_pk_fma_f32 v[68:69], v[68:69], v[76:77], v[90:91] op_sel:[0,0,1] op_sel_hi:[1,0,0]
	v_mov_b32_e32 v73, v67
	v_pk_add_f32 v[64:65], v[96:97], 0 op_sel_hi:[1,0]
	s_waitcnt lgkmcnt(0)
	v_pk_mul_f32 v[94:95], v[84:85], v[94:95] op_sel_hi:[1,0]
	s_waitcnt vmcnt(3)
	v_pk_fma_f32 v[76:77], v[70:71], v[78:79], v[92:93] op_sel:[0,0,1] op_sel_hi:[1,1,0] neg_lo:[0,0,1] neg_hi:[0,0,1]
	v_pk_fma_f32 v[70:71], v[70:71], v[78:79], v[92:93] op_sel:[0,0,1] op_sel_hi:[1,0,0]
	v_mov_b32_e32 v75, v69
	v_pk_add_f32 v[64:65], v[64:65], v[72:73]
	s_waitcnt vmcnt(2)
	v_pk_fma_f32 v[78:79], v[84:85], v[80:81], v[94:95] op_sel:[0,0,1] op_sel_hi:[1,1,0] neg_lo:[0,0,1] neg_hi:[0,0,1]
	v_pk_fma_f32 v[80:81], v[84:85], v[80:81], v[94:95] op_sel:[0,0,1] op_sel_hi:[1,0,0]
	v_mov_b32_e32 v77, v71
	v_pk_add_f32 v[64:65], v[64:65], v[74:75]
	v_mov_b32_e32 v79, v81
	v_pk_add_f32 v[64:65], v[64:65], v[76:77]
	v_pk_add_f32 v[64:65], v[64:65], v[78:79]
	s_waitcnt vmcnt(0)
	v_pk_add_f32 v[64:65], v[82:83], v[64:65] neg_lo:[0,1] neg_hi:[0,1]
	buffer_store_dword v64, off, s[0:3], 0 offset:192
	buffer_store_dword v65, off, s[0:3], 0 offset:196
	s_and_saveexec_b64 s[4:5], vcc
	s_cbranch_execz .LBB93_147
; %bb.146:
	buffer_load_dword v64, off, s[0:3], 0 offset:184
	buffer_load_dword v65, off, s[0:3], 0 offset:188
	s_waitcnt vmcnt(0)
	ds_write_b64 v1, v[64:65]
	buffer_store_dword v62, off, s[0:3], 0 offset:184
	buffer_store_dword v62, off, s[0:3], 0 offset:188
.LBB93_147:
	s_or_b64 exec, exec, s[4:5]
	s_waitcnt lgkmcnt(0)
	; wave barrier
	s_waitcnt lgkmcnt(0)
	buffer_load_dword v77, off, s[0:3], 0 offset:196
	buffer_load_dword v79, off, s[0:3], 0 offset:204
	;; [unrolled: 1-line block ×14, first 2 shown]
	ds_read_b128 v[64:67], v62 offset:432
	ds_read_b128 v[68:71], v62 offset:448
	;; [unrolled: 1-line block ×3, first 2 shown]
	v_cmp_lt_u32_e32 vcc, 22, v0
	s_waitcnt vmcnt(13)
	v_mov_b32_e32 v62, v77
	s_waitcnt vmcnt(12)
	v_mov_b32_e32 v90, v79
	s_waitcnt lgkmcnt(2)
	v_pk_mul_f32 v[62:63], v[64:65], v[62:63] op_sel_hi:[1,0]
	s_waitcnt vmcnt(11)
	v_mov_b32_e32 v92, v81
	v_pk_mul_f32 v[90:91], v[66:67], v[90:91] op_sel_hi:[1,0]
	s_waitcnt vmcnt(10)
	v_mov_b32_e32 v94, v83
	s_waitcnt vmcnt(7)
	v_pk_fma_f32 v[100:101], v[64:65], v[76:77], v[62:63] op_sel:[0,0,1] op_sel_hi:[1,1,0] neg_lo:[0,0,1] neg_hi:[0,0,1]
	v_pk_fma_f32 v[62:63], v[64:65], v[76:77], v[62:63] op_sel:[0,0,1] op_sel_hi:[1,0,0]
	s_waitcnt lgkmcnt(1)
	v_pk_mul_f32 v[92:93], v[68:69], v[92:93] op_sel_hi:[1,0]
	s_waitcnt vmcnt(6)
	v_pk_fma_f32 v[64:65], v[66:67], v[78:79], v[90:91] op_sel:[0,0,1] op_sel_hi:[1,1,0] neg_lo:[0,0,1] neg_hi:[0,0,1]
	v_pk_fma_f32 v[66:67], v[66:67], v[78:79], v[90:91] op_sel:[0,0,1] op_sel_hi:[1,0,0]
	v_mov_b32_e32 v101, v63
	v_mov_b32_e32 v96, v85
	v_pk_mul_f32 v[94:95], v[70:71], v[94:95] op_sel_hi:[1,0]
	s_waitcnt vmcnt(5)
	v_pk_fma_f32 v[76:77], v[68:69], v[80:81], v[92:93] op_sel:[0,0,1] op_sel_hi:[1,1,0] neg_lo:[0,0,1] neg_hi:[0,0,1]
	v_pk_fma_f32 v[68:69], v[68:69], v[80:81], v[92:93] op_sel:[0,0,1] op_sel_hi:[1,0,0]
	v_mov_b32_e32 v65, v67
	v_pk_add_f32 v[62:63], v[100:101], 0 op_sel_hi:[1,0]
	v_mov_b32_e32 v98, v87
	s_waitcnt lgkmcnt(0)
	v_pk_mul_f32 v[96:97], v[72:73], v[96:97] op_sel_hi:[1,0]
	s_waitcnt vmcnt(4)
	v_pk_fma_f32 v[78:79], v[70:71], v[82:83], v[94:95] op_sel:[0,0,1] op_sel_hi:[1,1,0] neg_lo:[0,0,1] neg_hi:[0,0,1]
	v_pk_fma_f32 v[70:71], v[70:71], v[82:83], v[94:95] op_sel:[0,0,1] op_sel_hi:[1,0,0]
	v_mov_b32_e32 v77, v69
	v_pk_add_f32 v[62:63], v[62:63], v[64:65]
	v_pk_mul_f32 v[98:99], v[74:75], v[98:99] op_sel_hi:[1,0]
	s_waitcnt vmcnt(3)
	v_pk_fma_f32 v[80:81], v[72:73], v[84:85], v[96:97] op_sel:[0,0,1] op_sel_hi:[1,1,0] neg_lo:[0,0,1] neg_hi:[0,0,1]
	v_pk_fma_f32 v[72:73], v[72:73], v[84:85], v[96:97] op_sel:[0,0,1] op_sel_hi:[1,0,0]
	v_mov_b32_e32 v79, v71
	v_pk_add_f32 v[62:63], v[62:63], v[76:77]
	s_waitcnt vmcnt(2)
	v_pk_fma_f32 v[82:83], v[74:75], v[86:87], v[98:99] op_sel:[0,0,1] op_sel_hi:[1,1,0] neg_lo:[0,0,1] neg_hi:[0,0,1]
	v_pk_fma_f32 v[74:75], v[74:75], v[86:87], v[98:99] op_sel:[0,0,1] op_sel_hi:[1,0,0]
	v_mov_b32_e32 v81, v73
	v_pk_add_f32 v[62:63], v[62:63], v[78:79]
	v_mov_b32_e32 v83, v75
	v_pk_add_f32 v[62:63], v[62:63], v[80:81]
	v_pk_add_f32 v[62:63], v[62:63], v[82:83]
	s_waitcnt vmcnt(0)
	v_pk_add_f32 v[62:63], v[88:89], v[62:63] neg_lo:[0,1] neg_hi:[0,1]
	buffer_store_dword v62, off, s[0:3], 0 offset:184
	buffer_store_dword v63, off, s[0:3], 0 offset:188
	s_and_saveexec_b64 s[4:5], vcc
	s_cbranch_execz .LBB93_149
; %bb.148:
	buffer_load_dword v62, off, s[0:3], 0 offset:176
	buffer_load_dword v63, off, s[0:3], 0 offset:180
	v_mov_b32_e32 v64, 0
	buffer_store_dword v64, off, s[0:3], 0 offset:176
	buffer_store_dword v64, off, s[0:3], 0 offset:180
	s_waitcnt vmcnt(2)
	ds_write_b64 v1, v[62:63]
.LBB93_149:
	s_or_b64 exec, exec, s[4:5]
	s_waitcnt lgkmcnt(0)
	; wave barrier
	s_waitcnt lgkmcnt(0)
	buffer_load_dword v77, off, s[0:3], 0 offset:188
	buffer_load_dword v79, off, s[0:3], 0 offset:196
	;; [unrolled: 1-line block ×16, first 2 shown]
	v_mov_b32_e32 v62, 0
	ds_read2_b64 v[64:67], v62 offset0:53 offset1:54
	ds_read2_b64 v[68:71], v62 offset0:55 offset1:56
	;; [unrolled: 1-line block ×3, first 2 shown]
	ds_read_b64 v[92:93], v62 offset:472
	v_cmp_lt_u32_e32 vcc, 21, v0
	s_waitcnt vmcnt(15)
	v_mov_b32_e32 v94, v77
	s_waitcnt vmcnt(14)
	v_mov_b32_e32 v96, v79
	s_waitcnt lgkmcnt(3)
	v_pk_mul_f32 v[94:95], v[64:65], v[94:95] op_sel_hi:[1,0]
	s_waitcnt vmcnt(13)
	v_mov_b32_e32 v98, v81
	v_pk_mul_f32 v[96:97], v[66:67], v[96:97] op_sel_hi:[1,0]
	s_waitcnt vmcnt(12)
	v_mov_b32_e32 v100, v83
	s_waitcnt lgkmcnt(2)
	v_pk_mul_f32 v[98:99], v[68:69], v[98:99] op_sel_hi:[1,0]
	s_waitcnt vmcnt(8)
	v_pk_fma_f32 v[108:109], v[64:65], v[76:77], v[94:95] op_sel:[0,0,1] op_sel_hi:[1,1,0] neg_lo:[0,0,1] neg_hi:[0,0,1]
	v_pk_fma_f32 v[64:65], v[64:65], v[76:77], v[94:95] op_sel:[0,0,1] op_sel_hi:[1,0,0]
	s_waitcnt vmcnt(7)
	v_pk_fma_f32 v[76:77], v[66:67], v[78:79], v[96:97] op_sel:[0,0,1] op_sel_hi:[1,1,0] neg_lo:[0,0,1] neg_hi:[0,0,1]
	v_pk_fma_f32 v[66:67], v[66:67], v[78:79], v[96:97] op_sel:[0,0,1] op_sel_hi:[1,0,0]
	v_mov_b32_e32 v109, v65
	v_mov_b32_e32 v102, v85
	v_pk_mul_f32 v[100:101], v[70:71], v[100:101] op_sel_hi:[1,0]
	s_waitcnt vmcnt(6)
	v_pk_fma_f32 v[78:79], v[68:69], v[80:81], v[98:99] op_sel:[0,0,1] op_sel_hi:[1,1,0] neg_lo:[0,0,1] neg_hi:[0,0,1]
	v_pk_fma_f32 v[68:69], v[68:69], v[80:81], v[98:99] op_sel:[0,0,1] op_sel_hi:[1,0,0]
	v_mov_b32_e32 v77, v67
	v_pk_add_f32 v[64:65], v[108:109], 0 op_sel_hi:[1,0]
	v_mov_b32_e32 v104, v87
	s_waitcnt lgkmcnt(1)
	v_pk_mul_f32 v[102:103], v[72:73], v[102:103] op_sel_hi:[1,0]
	s_waitcnt vmcnt(5)
	v_pk_fma_f32 v[80:81], v[70:71], v[82:83], v[100:101] op_sel:[0,0,1] op_sel_hi:[1,1,0] neg_lo:[0,0,1] neg_hi:[0,0,1]
	v_pk_fma_f32 v[70:71], v[70:71], v[82:83], v[100:101] op_sel:[0,0,1] op_sel_hi:[1,0,0]
	v_mov_b32_e32 v79, v69
	v_pk_add_f32 v[64:65], v[64:65], v[76:77]
	v_mov_b32_e32 v106, v89
	v_pk_mul_f32 v[104:105], v[74:75], v[104:105] op_sel_hi:[1,0]
	s_waitcnt vmcnt(4)
	v_pk_fma_f32 v[82:83], v[72:73], v[84:85], v[102:103] op_sel:[0,0,1] op_sel_hi:[1,1,0] neg_lo:[0,0,1] neg_hi:[0,0,1]
	v_pk_fma_f32 v[72:73], v[72:73], v[84:85], v[102:103] op_sel:[0,0,1] op_sel_hi:[1,0,0]
	v_mov_b32_e32 v81, v71
	v_pk_add_f32 v[64:65], v[64:65], v[78:79]
	s_waitcnt lgkmcnt(0)
	v_pk_mul_f32 v[106:107], v[92:93], v[106:107] op_sel_hi:[1,0]
	s_waitcnt vmcnt(3)
	v_pk_fma_f32 v[84:85], v[74:75], v[86:87], v[104:105] op_sel:[0,0,1] op_sel_hi:[1,1,0] neg_lo:[0,0,1] neg_hi:[0,0,1]
	v_pk_fma_f32 v[74:75], v[74:75], v[86:87], v[104:105] op_sel:[0,0,1] op_sel_hi:[1,0,0]
	v_mov_b32_e32 v83, v73
	v_pk_add_f32 v[64:65], v[64:65], v[80:81]
	s_waitcnt vmcnt(2)
	v_pk_fma_f32 v[86:87], v[92:93], v[88:89], v[106:107] op_sel:[0,0,1] op_sel_hi:[1,1,0] neg_lo:[0,0,1] neg_hi:[0,0,1]
	v_pk_fma_f32 v[88:89], v[92:93], v[88:89], v[106:107] op_sel:[0,0,1] op_sel_hi:[1,0,0]
	v_mov_b32_e32 v85, v75
	v_pk_add_f32 v[64:65], v[64:65], v[82:83]
	v_mov_b32_e32 v87, v89
	v_pk_add_f32 v[64:65], v[64:65], v[84:85]
	v_pk_add_f32 v[64:65], v[64:65], v[86:87]
	s_waitcnt vmcnt(0)
	v_pk_add_f32 v[64:65], v[90:91], v[64:65] neg_lo:[0,1] neg_hi:[0,1]
	buffer_store_dword v64, off, s[0:3], 0 offset:176
	buffer_store_dword v65, off, s[0:3], 0 offset:180
	s_and_saveexec_b64 s[4:5], vcc
	s_cbranch_execz .LBB93_151
; %bb.150:
	buffer_load_dword v64, off, s[0:3], 0 offset:168
	buffer_load_dword v65, off, s[0:3], 0 offset:172
	s_waitcnt vmcnt(0)
	ds_write_b64 v1, v[64:65]
	buffer_store_dword v62, off, s[0:3], 0 offset:168
	buffer_store_dword v62, off, s[0:3], 0 offset:172
.LBB93_151:
	s_or_b64 exec, exec, s[4:5]
	s_waitcnt lgkmcnt(0)
	; wave barrier
	s_waitcnt lgkmcnt(0)
	buffer_load_dword v81, off, s[0:3], 0 offset:180
	buffer_load_dword v83, off, s[0:3], 0 offset:188
	;; [unrolled: 1-line block ×18, first 2 shown]
	ds_read_b128 v[64:67], v62 offset:416
	ds_read_b128 v[68:71], v62 offset:432
	;; [unrolled: 1-line block ×4, first 2 shown]
	v_cmp_lt_u32_e32 vcc, 20, v0
	s_waitcnt vmcnt(17)
	v_mov_b32_e32 v62, v81
	s_waitcnt vmcnt(16)
	v_mov_b32_e32 v98, v83
	s_waitcnt lgkmcnt(3)
	v_pk_mul_f32 v[62:63], v[64:65], v[62:63] op_sel_hi:[1,0]
	s_waitcnt vmcnt(15)
	v_mov_b32_e32 v100, v85
	v_pk_mul_f32 v[98:99], v[66:67], v[98:99] op_sel_hi:[1,0]
	s_waitcnt vmcnt(14)
	v_mov_b32_e32 v102, v87
	s_waitcnt lgkmcnt(2)
	v_pk_mul_f32 v[100:101], v[68:69], v[100:101] op_sel_hi:[1,0]
	s_waitcnt vmcnt(13)
	v_mov_b32_e32 v104, v89
	s_waitcnt vmcnt(9)
	v_pk_fma_f32 v[112:113], v[64:65], v[80:81], v[62:63] op_sel:[0,0,1] op_sel_hi:[1,1,0] neg_lo:[0,0,1] neg_hi:[0,0,1]
	v_pk_fma_f32 v[62:63], v[64:65], v[80:81], v[62:63] op_sel:[0,0,1] op_sel_hi:[1,0,0]
	s_waitcnt vmcnt(8)
	v_pk_fma_f32 v[64:65], v[66:67], v[82:83], v[98:99] op_sel:[0,0,1] op_sel_hi:[1,1,0] neg_lo:[0,0,1] neg_hi:[0,0,1]
	v_pk_fma_f32 v[66:67], v[66:67], v[82:83], v[98:99] op_sel:[0,0,1] op_sel_hi:[1,0,0]
	v_mov_b32_e32 v113, v63
	v_pk_mul_f32 v[102:103], v[70:71], v[102:103] op_sel_hi:[1,0]
	s_waitcnt vmcnt(7)
	v_pk_fma_f32 v[80:81], v[68:69], v[84:85], v[100:101] op_sel:[0,0,1] op_sel_hi:[1,1,0] neg_lo:[0,0,1] neg_hi:[0,0,1]
	v_pk_fma_f32 v[68:69], v[68:69], v[84:85], v[100:101] op_sel:[0,0,1] op_sel_hi:[1,0,0]
	v_mov_b32_e32 v65, v67
	v_pk_add_f32 v[62:63], v[112:113], 0 op_sel_hi:[1,0]
	v_mov_b32_e32 v106, v91
	s_waitcnt lgkmcnt(1)
	v_pk_mul_f32 v[104:105], v[72:73], v[104:105] op_sel_hi:[1,0]
	s_waitcnt vmcnt(6)
	v_pk_fma_f32 v[82:83], v[70:71], v[86:87], v[102:103] op_sel:[0,0,1] op_sel_hi:[1,1,0] neg_lo:[0,0,1] neg_hi:[0,0,1]
	v_pk_fma_f32 v[70:71], v[70:71], v[86:87], v[102:103] op_sel:[0,0,1] op_sel_hi:[1,0,0]
	v_mov_b32_e32 v81, v69
	v_pk_add_f32 v[62:63], v[62:63], v[64:65]
	v_mov_b32_e32 v108, v93
	v_pk_mul_f32 v[106:107], v[74:75], v[106:107] op_sel_hi:[1,0]
	s_waitcnt vmcnt(5)
	v_pk_fma_f32 v[84:85], v[72:73], v[88:89], v[104:105] op_sel:[0,0,1] op_sel_hi:[1,1,0] neg_lo:[0,0,1] neg_hi:[0,0,1]
	v_pk_fma_f32 v[72:73], v[72:73], v[88:89], v[104:105] op_sel:[0,0,1] op_sel_hi:[1,0,0]
	v_mov_b32_e32 v83, v71
	v_pk_add_f32 v[62:63], v[62:63], v[80:81]
	v_mov_b32_e32 v110, v95
	s_waitcnt lgkmcnt(0)
	v_pk_mul_f32 v[108:109], v[76:77], v[108:109] op_sel_hi:[1,0]
	s_waitcnt vmcnt(4)
	v_pk_fma_f32 v[86:87], v[74:75], v[90:91], v[106:107] op_sel:[0,0,1] op_sel_hi:[1,1,0] neg_lo:[0,0,1] neg_hi:[0,0,1]
	v_pk_fma_f32 v[74:75], v[74:75], v[90:91], v[106:107] op_sel:[0,0,1] op_sel_hi:[1,0,0]
	v_mov_b32_e32 v85, v73
	v_pk_add_f32 v[62:63], v[62:63], v[82:83]
	v_pk_mul_f32 v[110:111], v[78:79], v[110:111] op_sel_hi:[1,0]
	s_waitcnt vmcnt(3)
	v_pk_fma_f32 v[88:89], v[76:77], v[92:93], v[108:109] op_sel:[0,0,1] op_sel_hi:[1,1,0] neg_lo:[0,0,1] neg_hi:[0,0,1]
	v_pk_fma_f32 v[76:77], v[76:77], v[92:93], v[108:109] op_sel:[0,0,1] op_sel_hi:[1,0,0]
	v_mov_b32_e32 v87, v75
	v_pk_add_f32 v[62:63], v[62:63], v[84:85]
	s_waitcnt vmcnt(2)
	v_pk_fma_f32 v[90:91], v[78:79], v[94:95], v[110:111] op_sel:[0,0,1] op_sel_hi:[1,1,0] neg_lo:[0,0,1] neg_hi:[0,0,1]
	v_pk_fma_f32 v[78:79], v[78:79], v[94:95], v[110:111] op_sel:[0,0,1] op_sel_hi:[1,0,0]
	v_mov_b32_e32 v89, v77
	v_pk_add_f32 v[62:63], v[62:63], v[86:87]
	v_mov_b32_e32 v91, v79
	v_pk_add_f32 v[62:63], v[62:63], v[88:89]
	v_pk_add_f32 v[62:63], v[62:63], v[90:91]
	s_waitcnt vmcnt(0)
	v_pk_add_f32 v[62:63], v[96:97], v[62:63] neg_lo:[0,1] neg_hi:[0,1]
	buffer_store_dword v62, off, s[0:3], 0 offset:168
	buffer_store_dword v63, off, s[0:3], 0 offset:172
	s_and_saveexec_b64 s[4:5], vcc
	s_cbranch_execz .LBB93_153
; %bb.152:
	buffer_load_dword v62, off, s[0:3], 0 offset:160
	buffer_load_dword v63, off, s[0:3], 0 offset:164
	v_mov_b32_e32 v64, 0
	buffer_store_dword v64, off, s[0:3], 0 offset:160
	buffer_store_dword v64, off, s[0:3], 0 offset:164
	s_waitcnt vmcnt(2)
	ds_write_b64 v1, v[62:63]
.LBB93_153:
	s_or_b64 exec, exec, s[4:5]
	s_waitcnt lgkmcnt(0)
	; wave barrier
	s_waitcnt lgkmcnt(0)
	buffer_load_dword v63, off, s[0:3], 0 offset:172
	buffer_load_dword v81, off, s[0:3], 0 offset:180
	;; [unrolled: 1-line block ×20, first 2 shown]
	v_mov_b32_e32 v62, 0
	ds_read2_b64 v[64:67], v62 offset0:51 offset1:52
	ds_read2_b64 v[68:71], v62 offset0:53 offset1:54
	;; [unrolled: 1-line block ×4, first 2 shown]
	ds_read_b64 v[98:99], v62 offset:472
	v_cmp_lt_u32_e32 vcc, 19, v0
	s_waitcnt vmcnt(19) lgkmcnt(4)
	v_mul_f32_e32 v101, v64, v63
	v_mul_f32_e32 v63, v65, v63
	s_waitcnt vmcnt(18)
	v_mov_b32_e32 v102, v81
	s_waitcnt vmcnt(17)
	v_mov_b32_e32 v104, v83
	;; [unrolled: 2-line block ×8, first 2 shown]
	s_waitcnt vmcnt(10)
	v_fmac_f32_e32 v101, v65, v100
	v_fma_f32 v100, v64, v100, -v63
	v_pk_mul_f32 v[64:65], v[66:67], v[102:103] op_sel_hi:[1,0]
	s_waitcnt lgkmcnt(3)
	v_pk_mul_f32 v[102:103], v[68:69], v[104:105] op_sel_hi:[1,0]
	v_pk_mul_f32 v[104:105], v[70:71], v[106:107] op_sel_hi:[1,0]
	s_waitcnt lgkmcnt(2)
	v_pk_mul_f32 v[106:107], v[72:73], v[108:109] op_sel_hi:[1,0]
	;; [unrolled: 3-line block ×4, first 2 shown]
	s_waitcnt vmcnt(9)
	v_pk_fma_f32 v[116:117], v[66:67], v[80:81], v[64:65] op_sel:[0,0,1] op_sel_hi:[1,1,0] neg_lo:[0,0,1] neg_hi:[0,0,1]
	v_pk_fma_f32 v[64:65], v[66:67], v[80:81], v[64:65] op_sel:[0,0,1] op_sel_hi:[1,0,0]
	v_pk_add_f32 v[100:101], v[100:101], 0 op_sel_hi:[1,0]
	s_waitcnt vmcnt(8)
	v_pk_fma_f32 v[66:67], v[68:69], v[82:83], v[102:103] op_sel:[0,0,1] op_sel_hi:[1,1,0] neg_lo:[0,0,1] neg_hi:[0,0,1]
	v_pk_fma_f32 v[68:69], v[68:69], v[82:83], v[102:103] op_sel:[0,0,1] op_sel_hi:[1,0,0]
	v_mov_b32_e32 v117, v65
	s_waitcnt vmcnt(7)
	v_pk_fma_f32 v[80:81], v[70:71], v[84:85], v[104:105] op_sel:[0,0,1] op_sel_hi:[1,1,0] neg_lo:[0,0,1] neg_hi:[0,0,1]
	v_pk_fma_f32 v[70:71], v[70:71], v[84:85], v[104:105] op_sel:[0,0,1] op_sel_hi:[1,0,0]
	v_mov_b32_e32 v67, v69
	v_pk_add_f32 v[64:65], v[100:101], v[116:117]
	s_waitcnt vmcnt(6)
	v_pk_fma_f32 v[82:83], v[72:73], v[86:87], v[106:107] op_sel:[0,0,1] op_sel_hi:[1,1,0] neg_lo:[0,0,1] neg_hi:[0,0,1]
	v_pk_fma_f32 v[72:73], v[72:73], v[86:87], v[106:107] op_sel:[0,0,1] op_sel_hi:[1,0,0]
	v_mov_b32_e32 v81, v71
	v_pk_add_f32 v[64:65], v[64:65], v[66:67]
	;; [unrolled: 5-line block ×5, first 2 shown]
	v_pk_fma_f32 v[90:91], v[98:99], v[94:95], v[114:115] op_sel:[0,0,1] op_sel_hi:[1,1,0] neg_lo:[0,0,1] neg_hi:[0,0,1]
	v_pk_fma_f32 v[92:93], v[98:99], v[94:95], v[114:115] op_sel:[0,0,1] op_sel_hi:[1,0,0]
	v_mov_b32_e32 v89, v79
	v_pk_add_f32 v[64:65], v[64:65], v[86:87]
	v_mov_b32_e32 v91, v93
	v_pk_add_f32 v[64:65], v[64:65], v[88:89]
	v_pk_add_f32 v[64:65], v[64:65], v[90:91]
	s_waitcnt vmcnt(0)
	v_pk_add_f32 v[64:65], v[96:97], v[64:65] neg_lo:[0,1] neg_hi:[0,1]
	buffer_store_dword v64, off, s[0:3], 0 offset:160
	buffer_store_dword v65, off, s[0:3], 0 offset:164
	s_and_saveexec_b64 s[4:5], vcc
	s_cbranch_execz .LBB93_155
; %bb.154:
	buffer_load_dword v64, off, s[0:3], 0 offset:152
	buffer_load_dword v65, off, s[0:3], 0 offset:156
	s_waitcnt vmcnt(0)
	ds_write_b64 v1, v[64:65]
	buffer_store_dword v62, off, s[0:3], 0 offset:152
	buffer_store_dword v62, off, s[0:3], 0 offset:156
.LBB93_155:
	s_or_b64 exec, exec, s[4:5]
	s_waitcnt lgkmcnt(0)
	; wave barrier
	s_waitcnt lgkmcnt(0)
	buffer_load_dword v102, off, s[0:3], 0 offset:164
	buffer_load_dword v104, off, s[0:3], 0 offset:172
	buffer_load_dword v85, off, s[0:3], 0 offset:180
	buffer_load_dword v87, off, s[0:3], 0 offset:188
	buffer_load_dword v89, off, s[0:3], 0 offset:196
	buffer_load_dword v91, off, s[0:3], 0 offset:204
	buffer_load_dword v93, off, s[0:3], 0 offset:212
	buffer_load_dword v95, off, s[0:3], 0 offset:220
	buffer_load_dword v97, off, s[0:3], 0 offset:228
	buffer_load_dword v99, off, s[0:3], 0 offset:236
	buffer_load_dword v105, off, s[0:3], 0 offset:160
	buffer_load_dword v107, off, s[0:3], 0 offset:168
	buffer_load_dword v84, off, s[0:3], 0 offset:176
	buffer_load_dword v86, off, s[0:3], 0 offset:184
	buffer_load_dword v88, off, s[0:3], 0 offset:192
	buffer_load_dword v90, off, s[0:3], 0 offset:200
	buffer_load_dword v92, off, s[0:3], 0 offset:208
	buffer_load_dword v98, off, s[0:3], 0 offset:232
	buffer_load_dword v96, off, s[0:3], 0 offset:224
	buffer_load_dword v94, off, s[0:3], 0 offset:216
	buffer_load_dword v100, off, s[0:3], 0 offset:152
	buffer_load_dword v101, off, s[0:3], 0 offset:156
	ds_read_b128 v[64:67], v62 offset:400
	ds_read_b128 v[68:71], v62 offset:416
	;; [unrolled: 1-line block ×5, first 2 shown]
	v_cmp_lt_u32_e32 vcc, 18, v0
	s_waitcnt vmcnt(21) lgkmcnt(4)
	v_mul_f32_e32 v63, v64, v102
	s_waitcnt vmcnt(20)
	v_mul_f32_e32 v103, v66, v104
	v_mul_f32_e32 v62, v65, v102
	;; [unrolled: 1-line block ×3, first 2 shown]
	s_waitcnt vmcnt(19)
	v_mov_b32_e32 v104, v85
	s_waitcnt vmcnt(18)
	v_mov_b32_e32 v106, v87
	;; [unrolled: 2-line block ×5, first 2 shown]
	v_mov_b32_e32 v110, v91
	s_waitcnt vmcnt(11)
	v_fmac_f32_e32 v63, v65, v105
	v_fma_f32 v62, v64, v105, -v62
	s_waitcnt lgkmcnt(3)
	v_pk_mul_f32 v[64:65], v[68:69], v[104:105] op_sel_hi:[1,0]
	s_waitcnt vmcnt(10)
	v_fmac_f32_e32 v103, v67, v107
	v_fma_f32 v102, v66, v107, -v102
	v_pk_mul_f32 v[66:67], v[70:71], v[106:107] op_sel_hi:[1,0]
	s_waitcnt lgkmcnt(2)
	v_pk_mul_f32 v[104:105], v[72:73], v[108:109] op_sel_hi:[1,0]
	s_waitcnt lgkmcnt(1)
	;; [unrolled: 2-line block ×3, first 2 shown]
	v_pk_mul_f32 v[112:113], v[80:81], v[116:117] op_sel_hi:[1,0]
	v_pk_add_f32 v[62:63], v[62:63], 0 op_sel_hi:[1,0]
	s_waitcnt vmcnt(9)
	v_pk_fma_f32 v[116:117], v[68:69], v[84:85], v[64:65] op_sel:[0,0,1] op_sel_hi:[1,1,0] neg_lo:[0,0,1] neg_hi:[0,0,1]
	v_pk_fma_f32 v[64:65], v[68:69], v[84:85], v[64:65] op_sel:[0,0,1] op_sel_hi:[1,0,0]
	s_waitcnt vmcnt(8)
	v_pk_fma_f32 v[68:69], v[70:71], v[86:87], v[66:67] op_sel:[0,0,1] op_sel_hi:[1,1,0] neg_lo:[0,0,1] neg_hi:[0,0,1]
	v_pk_fma_f32 v[66:67], v[70:71], v[86:87], v[66:67] op_sel:[0,0,1] op_sel_hi:[1,0,0]
	v_pk_add_f32 v[62:63], v[62:63], v[102:103]
	v_mov_b32_e32 v117, v65
	v_pk_mul_f32 v[106:107], v[74:75], v[110:111] op_sel_hi:[1,0]
	s_waitcnt vmcnt(7)
	v_pk_fma_f32 v[70:71], v[72:73], v[88:89], v[104:105] op_sel:[0,0,1] op_sel_hi:[1,1,0] neg_lo:[0,0,1] neg_hi:[0,0,1]
	v_pk_fma_f32 v[72:73], v[72:73], v[88:89], v[104:105] op_sel:[0,0,1] op_sel_hi:[1,0,0]
	v_mov_b32_e32 v69, v67
	v_pk_add_f32 v[62:63], v[62:63], v[116:117]
	v_mov_b32_e32 v114, v95
	s_waitcnt vmcnt(6)
	v_pk_fma_f32 v[84:85], v[74:75], v[90:91], v[106:107] op_sel:[0,0,1] op_sel_hi:[1,1,0] neg_lo:[0,0,1] neg_hi:[0,0,1]
	v_pk_fma_f32 v[74:75], v[74:75], v[90:91], v[106:107] op_sel:[0,0,1] op_sel_hi:[1,0,0]
	v_mov_b32_e32 v71, v73
	v_pk_add_f32 v[62:63], v[62:63], v[68:69]
	v_pk_mul_f32 v[110:111], v[78:79], v[114:115] op_sel_hi:[1,0]
	s_waitcnt vmcnt(5)
	v_pk_fma_f32 v[86:87], v[76:77], v[92:93], v[108:109] op_sel:[0,0,1] op_sel_hi:[1,1,0] neg_lo:[0,0,1] neg_hi:[0,0,1]
	v_pk_fma_f32 v[76:77], v[76:77], v[92:93], v[108:109] op_sel:[0,0,1] op_sel_hi:[1,0,0]
	v_mov_b32_e32 v85, v75
	v_pk_add_f32 v[62:63], v[62:63], v[70:71]
	v_mov_b32_e32 v118, v99
	s_waitcnt vmcnt(2)
	v_pk_fma_f32 v[88:89], v[78:79], v[94:95], v[110:111] op_sel:[0,0,1] op_sel_hi:[1,1,0] neg_lo:[0,0,1] neg_hi:[0,0,1]
	v_pk_fma_f32 v[78:79], v[78:79], v[94:95], v[110:111] op_sel:[0,0,1] op_sel_hi:[1,0,0]
	v_mov_b32_e32 v87, v77
	v_pk_add_f32 v[62:63], v[62:63], v[84:85]
	v_pk_mul_f32 v[114:115], v[82:83], v[118:119] op_sel_hi:[1,0]
	v_pk_fma_f32 v[90:91], v[80:81], v[96:97], v[112:113] op_sel:[0,0,1] op_sel_hi:[1,1,0] neg_lo:[0,0,1] neg_hi:[0,0,1]
	v_pk_fma_f32 v[80:81], v[80:81], v[96:97], v[112:113] op_sel:[0,0,1] op_sel_hi:[1,0,0]
	v_mov_b32_e32 v89, v79
	v_pk_add_f32 v[62:63], v[62:63], v[86:87]
	v_pk_fma_f32 v[92:93], v[82:83], v[98:99], v[114:115] op_sel:[0,0,1] op_sel_hi:[1,1,0] neg_lo:[0,0,1] neg_hi:[0,0,1]
	v_pk_fma_f32 v[82:83], v[82:83], v[98:99], v[114:115] op_sel:[0,0,1] op_sel_hi:[1,0,0]
	v_mov_b32_e32 v91, v81
	v_pk_add_f32 v[62:63], v[62:63], v[88:89]
	v_mov_b32_e32 v93, v83
	v_pk_add_f32 v[62:63], v[62:63], v[90:91]
	v_pk_add_f32 v[62:63], v[62:63], v[92:93]
	s_waitcnt vmcnt(0)
	v_pk_add_f32 v[62:63], v[100:101], v[62:63] neg_lo:[0,1] neg_hi:[0,1]
	buffer_store_dword v62, off, s[0:3], 0 offset:152
	buffer_store_dword v63, off, s[0:3], 0 offset:156
	s_and_saveexec_b64 s[4:5], vcc
	s_cbranch_execz .LBB93_157
; %bb.156:
	buffer_load_dword v62, off, s[0:3], 0 offset:144
	buffer_load_dword v63, off, s[0:3], 0 offset:148
	v_mov_b32_e32 v64, 0
	buffer_store_dword v64, off, s[0:3], 0 offset:144
	buffer_store_dword v64, off, s[0:3], 0 offset:148
	s_waitcnt vmcnt(2)
	ds_write_b64 v1, v[62:63]
.LBB93_157:
	s_or_b64 exec, exec, s[4:5]
	s_waitcnt lgkmcnt(0)
	; wave barrier
	s_waitcnt lgkmcnt(0)
	buffer_load_dword v63, off, s[0:3], 0 offset:156
	buffer_load_dword v104, off, s[0:3], 0 offset:164
	;; [unrolled: 1-line block ×24, first 2 shown]
	v_mov_b32_e32 v62, 0
	ds_read2_b64 v[64:67], v62 offset0:49 offset1:50
	ds_read2_b64 v[68:71], v62 offset0:51 offset1:52
	;; [unrolled: 1-line block ×5, first 2 shown]
	ds_read_b64 v[102:103], v62 offset:472
	v_cmp_lt_u32_e32 vcc, 17, v0
	s_waitcnt vmcnt(23) lgkmcnt(5)
	v_mul_f32_e32 v117, v64, v63
	v_mul_f32_e32 v63, v65, v63
	s_waitcnt vmcnt(22)
	v_mul_f32_e32 v105, v66, v104
	s_waitcnt vmcnt(21) lgkmcnt(4)
	v_mul_f32_e32 v107, v68, v106
	v_mul_f32_e32 v104, v67, v104
	;; [unrolled: 1-line block ×3, first 2 shown]
	s_waitcnt vmcnt(20)
	v_mov_b32_e32 v108, v85
	s_waitcnt vmcnt(19)
	v_mov_b32_e32 v110, v87
	;; [unrolled: 2-line block ×5, first 2 shown]
	s_waitcnt vmcnt(12)
	v_fmac_f32_e32 v117, v65, v109
	v_fma_f32 v63, v64, v109, -v63
	v_mov_b32_e32 v118, v95
	s_waitcnt vmcnt(11)
	v_fmac_f32_e32 v105, v67, v111
	s_waitcnt vmcnt(10)
	v_fmac_f32_e32 v107, v69, v113
	v_fma_f32 v104, v66, v111, -v104
	v_fma_f32 v106, v68, v113, -v106
	v_pk_mul_f32 v[64:65], v[70:71], v[108:109] op_sel_hi:[1,0]
	s_waitcnt lgkmcnt(3)
	v_pk_mul_f32 v[66:67], v[72:73], v[110:111] op_sel_hi:[1,0]
	v_pk_mul_f32 v[68:69], v[74:75], v[112:113] op_sel_hi:[1,0]
	s_waitcnt lgkmcnt(2)
	v_pk_mul_f32 v[108:109], v[76:77], v[114:115] op_sel_hi:[1,0]
	v_pk_mul_f32 v[110:111], v[78:79], v[116:117] op_sel_hi:[1,0]
	v_add_f32_e32 v117, 0, v117
	v_add_f32_e32 v116, 0, v63
	s_waitcnt lgkmcnt(1)
	v_pk_mul_f32 v[112:113], v[80:81], v[118:119] op_sel_hi:[1,0]
	s_waitcnt vmcnt(9)
	v_pk_fma_f32 v[118:119], v[70:71], v[84:85], v[64:65] op_sel:[0,0,1] op_sel_hi:[1,1,0] neg_lo:[0,0,1] neg_hi:[0,0,1]
	v_pk_fma_f32 v[64:65], v[70:71], v[84:85], v[64:65] op_sel:[0,0,1] op_sel_hi:[1,0,0]
	s_waitcnt vmcnt(8)
	v_pk_fma_f32 v[70:71], v[72:73], v[86:87], v[66:67] op_sel:[0,0,1] op_sel_hi:[1,1,0] neg_lo:[0,0,1] neg_hi:[0,0,1]
	v_pk_fma_f32 v[66:67], v[72:73], v[86:87], v[66:67] op_sel:[0,0,1] op_sel_hi:[1,0,0]
	;; [unrolled: 3-line block ×4, first 2 shown]
	v_pk_add_f32 v[90:91], v[116:117], v[104:105]
	v_mov_b32_e32 v119, v65
	v_pk_add_f32 v[64:65], v[90:91], v[106:107]
	v_mov_b32_e32 v71, v67
	;; [unrolled: 2-line block ×4, first 2 shown]
	s_waitcnt vmcnt(2)
	v_pk_fma_f32 v[84:85], v[78:79], v[92:93], v[110:111] op_sel:[0,0,1] op_sel_hi:[1,1,0] neg_lo:[0,0,1] neg_hi:[0,0,1]
	v_pk_fma_f32 v[78:79], v[78:79], v[92:93], v[110:111] op_sel:[0,0,1] op_sel_hi:[1,0,0]
	v_mov_b32_e32 v75, v77
	v_pk_add_f32 v[64:65], v[64:65], v[72:73]
	v_mov_b32_e32 v122, v99
	v_pk_mul_f32 v[114:115], v[82:83], v[120:121] op_sel_hi:[1,0]
	v_pk_fma_f32 v[86:87], v[80:81], v[94:95], v[112:113] op_sel:[0,0,1] op_sel_hi:[1,1,0] neg_lo:[0,0,1] neg_hi:[0,0,1]
	v_pk_fma_f32 v[80:81], v[80:81], v[94:95], v[112:113] op_sel:[0,0,1] op_sel_hi:[1,0,0]
	v_mov_b32_e32 v85, v79
	v_pk_add_f32 v[64:65], v[64:65], v[74:75]
	v_pk_fma_f32 v[88:89], v[82:83], v[96:97], v[114:115] op_sel:[0,0,1] op_sel_hi:[1,1,0] neg_lo:[0,0,1] neg_hi:[0,0,1]
	v_pk_fma_f32 v[82:83], v[82:83], v[96:97], v[114:115] op_sel:[0,0,1] op_sel_hi:[1,0,0]
	v_mov_b32_e32 v87, v81
	v_pk_add_f32 v[64:65], v[64:65], v[84:85]
	s_waitcnt lgkmcnt(0)
	v_pk_mul_f32 v[66:67], v[102:103], v[122:123] op_sel_hi:[1,0]
	v_mov_b32_e32 v89, v83
	v_pk_add_f32 v[64:65], v[64:65], v[86:87]
	v_pk_fma_f32 v[68:69], v[102:103], v[98:99], v[66:67] op_sel:[0,0,1] op_sel_hi:[1,1,0] neg_lo:[0,0,1] neg_hi:[0,0,1]
	v_pk_fma_f32 v[66:67], v[102:103], v[98:99], v[66:67] op_sel:[0,0,1] op_sel_hi:[1,0,0]
	v_pk_add_f32 v[64:65], v[64:65], v[88:89]
	v_mov_b32_e32 v69, v67
	v_pk_add_f32 v[64:65], v[64:65], v[68:69]
	s_waitcnt vmcnt(0)
	v_pk_add_f32 v[64:65], v[100:101], v[64:65] neg_lo:[0,1] neg_hi:[0,1]
	buffer_store_dword v65, off, s[0:3], 0 offset:148
	buffer_store_dword v64, off, s[0:3], 0 offset:144
	s_and_saveexec_b64 s[4:5], vcc
	s_cbranch_execz .LBB93_159
; %bb.158:
	buffer_load_dword v64, off, s[0:3], 0 offset:136
	buffer_load_dword v65, off, s[0:3], 0 offset:140
	s_waitcnt vmcnt(0)
	ds_write_b64 v1, v[64:65]
	buffer_store_dword v62, off, s[0:3], 0 offset:136
	buffer_store_dword v62, off, s[0:3], 0 offset:140
.LBB93_159:
	s_or_b64 exec, exec, s[4:5]
	s_waitcnt lgkmcnt(0)
	; wave barrier
	s_waitcnt lgkmcnt(0)
	buffer_load_dword v106, off, s[0:3], 0 offset:148
	buffer_load_dword v108, off, s[0:3], 0 offset:156
	;; [unrolled: 1-line block ×26, first 2 shown]
	ds_read_b128 v[64:67], v62 offset:384
	ds_read_b128 v[68:71], v62 offset:400
	;; [unrolled: 1-line block ×6, first 2 shown]
	v_cmp_lt_u32_e32 vcc, 16, v0
	s_waitcnt vmcnt(25) lgkmcnt(5)
	v_mul_f32_e32 v119, v64, v106
	v_mul_f32_e32 v62, v65, v106
	s_waitcnt vmcnt(24)
	v_mul_f32_e32 v120, v66, v108
	s_waitcnt vmcnt(23) lgkmcnt(4)
	v_mul_f32_e32 v63, v68, v109
	s_waitcnt vmcnt(22)
	v_mul_f32_e32 v107, v70, v110
	v_mul_f32_e32 v106, v67, v108
	;; [unrolled: 1-line block ×4, first 2 shown]
	s_waitcnt vmcnt(21)
	v_mov_b32_e32 v108, v89
	s_waitcnt vmcnt(20)
	v_mov_b32_e32 v110, v91
	;; [unrolled: 2-line block ×3, first 2 shown]
	s_waitcnt vmcnt(15)
	v_fmac_f32_e32 v119, v65, v111
	v_fma_f32 v122, v64, v111, -v62
	v_mov_b32_e32 v112, v93
	s_waitcnt vmcnt(14)
	v_fmac_f32_e32 v120, v67, v113
	s_waitcnt vmcnt(13)
	v_fmac_f32_e32 v63, v69, v115
	;; [unrolled: 2-line block ×3, first 2 shown]
	v_fma_f32 v123, v66, v113, -v106
	v_fma_f32 v62, v68, v115, -v109
	;; [unrolled: 1-line block ×3, first 2 shown]
	s_waitcnt lgkmcnt(3)
	v_pk_mul_f32 v[64:65], v[72:73], v[108:109] op_sel_hi:[1,0]
	v_pk_mul_f32 v[66:67], v[74:75], v[110:111] op_sel_hi:[1,0]
	s_waitcnt lgkmcnt(2)
	v_pk_mul_f32 v[70:71], v[78:79], v[114:115] op_sel_hi:[1,0]
	v_add_f32_e32 v114, 0, v119
	v_add_f32_e32 v115, 0, v122
	v_pk_mul_f32 v[68:69], v[76:77], v[112:113] op_sel_hi:[1,0]
	s_waitcnt vmcnt(11)
	v_pk_fma_f32 v[112:113], v[72:73], v[88:89], v[64:65] op_sel:[0,0,1] op_sel_hi:[1,1,0] neg_lo:[0,0,1] neg_hi:[0,0,1]
	v_pk_fma_f32 v[64:65], v[72:73], v[88:89], v[64:65] op_sel:[0,0,1] op_sel_hi:[1,0,0]
	s_waitcnt vmcnt(10)
	v_pk_fma_f32 v[72:73], v[74:75], v[90:91], v[66:67] op_sel:[0,0,1] op_sel_hi:[1,1,0] neg_lo:[0,0,1] neg_hi:[0,0,1]
	v_pk_fma_f32 v[66:67], v[74:75], v[90:91], v[66:67] op_sel:[0,0,1] op_sel_hi:[1,0,0]
	v_add_f32_e32 v91, v114, v120
	v_add_f32_e32 v90, v115, v123
	v_pk_add_f32 v[62:63], v[90:91], v[62:63]
	v_mov_b32_e32 v113, v65
	v_pk_add_f32 v[62:63], v[62:63], v[106:107]
	v_mov_b32_e32 v116, v97
	s_waitcnt vmcnt(9)
	v_pk_fma_f32 v[74:75], v[76:77], v[92:93], v[68:69] op_sel:[0,0,1] op_sel_hi:[1,1,0] neg_lo:[0,0,1] neg_hi:[0,0,1]
	v_pk_fma_f32 v[68:69], v[76:77], v[92:93], v[68:69] op_sel:[0,0,1] op_sel_hi:[1,0,0]
	v_mov_b32_e32 v73, v67
	v_pk_add_f32 v[62:63], v[62:63], v[112:113]
	v_mov_b32_e32 v118, v99
	s_waitcnt lgkmcnt(1)
	v_pk_mul_f32 v[108:109], v[80:81], v[116:117] op_sel_hi:[1,0]
	s_waitcnt vmcnt(5)
	v_pk_fma_f32 v[76:77], v[78:79], v[94:95], v[70:71] op_sel:[0,0,1] op_sel_hi:[1,1,0] neg_lo:[0,0,1] neg_hi:[0,0,1]
	v_pk_fma_f32 v[70:71], v[78:79], v[94:95], v[70:71] op_sel:[0,0,1] op_sel_hi:[1,0,0]
	v_mov_b32_e32 v75, v69
	v_pk_add_f32 v[62:63], v[62:63], v[72:73]
	s_waitcnt vmcnt(4)
	v_mov_b32_e32 v64, v101
	v_pk_mul_f32 v[110:111], v[82:83], v[118:119] op_sel_hi:[1,0]
	v_pk_fma_f32 v[78:79], v[80:81], v[96:97], v[108:109] op_sel:[0,0,1] op_sel_hi:[1,1,0] neg_lo:[0,0,1] neg_hi:[0,0,1]
	v_pk_fma_f32 v[80:81], v[80:81], v[96:97], v[108:109] op_sel:[0,0,1] op_sel_hi:[1,0,0]
	v_mov_b32_e32 v77, v71
	v_pk_add_f32 v[62:63], v[62:63], v[74:75]
	s_waitcnt lgkmcnt(0)
	v_pk_mul_f32 v[64:65], v[84:85], v[64:65] op_sel_hi:[1,0]
	v_pk_fma_f32 v[88:89], v[82:83], v[98:99], v[110:111] op_sel:[0,0,1] op_sel_hi:[1,1,0] neg_lo:[0,0,1] neg_hi:[0,0,1]
	v_pk_fma_f32 v[82:83], v[82:83], v[98:99], v[110:111] op_sel:[0,0,1] op_sel_hi:[1,0,0]
	v_mov_b32_e32 v79, v81
	v_pk_add_f32 v[62:63], v[62:63], v[76:77]
	v_pk_fma_f32 v[66:67], v[84:85], v[100:101], v[64:65] op_sel:[0,0,1] op_sel_hi:[1,1,0] neg_lo:[0,0,1] neg_hi:[0,0,1]
	v_pk_fma_f32 v[64:65], v[84:85], v[100:101], v[64:65] op_sel:[0,0,1] op_sel_hi:[1,0,0]
	v_mov_b32_e32 v89, v83
	v_pk_add_f32 v[62:63], v[62:63], v[78:79]
	s_waitcnt vmcnt(3)
	v_mov_b32_e32 v64, v103
	v_pk_add_f32 v[62:63], v[62:63], v[88:89]
	v_mov_b32_e32 v67, v65
	v_pk_mul_f32 v[64:65], v[86:87], v[64:65] op_sel_hi:[1,0]
	v_pk_add_f32 v[62:63], v[62:63], v[66:67]
	s_waitcnt vmcnt(2)
	v_pk_fma_f32 v[66:67], v[86:87], v[102:103], v[64:65] op_sel:[0,0,1] op_sel_hi:[1,1,0] neg_lo:[0,0,1] neg_hi:[0,0,1]
	v_pk_fma_f32 v[64:65], v[86:87], v[102:103], v[64:65] op_sel:[0,0,1] op_sel_hi:[1,0,0]
	v_mov_b32_e32 v67, v65
	v_pk_add_f32 v[62:63], v[62:63], v[66:67]
	s_waitcnt vmcnt(0)
	v_pk_add_f32 v[62:63], v[104:105], v[62:63] neg_lo:[0,1] neg_hi:[0,1]
	buffer_store_dword v63, off, s[0:3], 0 offset:140
	buffer_store_dword v62, off, s[0:3], 0 offset:136
	s_and_saveexec_b64 s[4:5], vcc
	s_cbranch_execz .LBB93_161
; %bb.160:
	buffer_load_dword v62, off, s[0:3], 0 offset:128
	buffer_load_dword v63, off, s[0:3], 0 offset:132
	v_mov_b32_e32 v64, 0
	buffer_store_dword v64, off, s[0:3], 0 offset:128
	buffer_store_dword v64, off, s[0:3], 0 offset:132
	s_waitcnt vmcnt(2)
	ds_write_b64 v1, v[62:63]
.LBB93_161:
	s_or_b64 exec, exec, s[4:5]
	s_waitcnt lgkmcnt(0)
	; wave barrier
	s_waitcnt lgkmcnt(0)
	buffer_load_dword v65, off, s[0:3], 0 offset:140
	buffer_load_dword v108, off, s[0:3], 0 offset:148
	;; [unrolled: 1-line block ×28, first 2 shown]
	v_mov_b32_e32 v64, 0
	ds_read2_b64 v[66:69], v64 offset0:47 offset1:48
	ds_read2_b64 v[70:73], v64 offset0:49 offset1:50
	;; [unrolled: 1-line block ×6, first 2 shown]
	ds_read_b64 v[106:107], v64 offset:472
	v_cmp_lt_u32_e32 vcc, 15, v0
	s_waitcnt vmcnt(27) lgkmcnt(6)
	v_mul_f32_e32 v123, v66, v65
	v_mul_f32_e32 v65, v67, v65
	s_waitcnt vmcnt(26)
	v_mul_f32_e32 v124, v68, v108
	s_waitcnt vmcnt(24) lgkmcnt(5)
	v_mul_f32_e32 v109, v72, v112
	s_waitcnt vmcnt(23) lgkmcnt(4)
	v_mul_f32_e32 v111, v74, v113
	v_mul_f32_e32 v126, v73, v112
	v_mul_f32_e32 v113, v75, v113
	s_waitcnt vmcnt(22)
	v_mov_b32_e32 v112, v63
	v_mul_f32_e32 v125, v70, v110
	v_mul_f32_e32 v108, v69, v108
	v_mul_f32_e32 v110, v71, v110
	s_waitcnt vmcnt(17)
	v_fmac_f32_e32 v123, v67, v115
	v_fma_f32 v65, v66, v115, -v65
	v_pk_mul_f32 v[66:67], v[76:77], v[112:113] op_sel_hi:[1,0]
	s_waitcnt vmcnt(16)
	v_fmac_f32_e32 v124, v69, v117
	s_waitcnt vmcnt(13)
	v_fmac_f32_e32 v111, v75, v122
	v_fma_f32 v115, v68, v117, -v108
	v_fma_f32 v117, v70, v119, -v110
	;; [unrolled: 1-line block ×3, first 2 shown]
	v_add_f32_e32 v112, 0, v123
	v_add_f32_e32 v65, 0, v65
	s_waitcnt vmcnt(12)
	v_pk_fma_f32 v[74:75], v[76:77], v[62:63], v[66:67] op_sel:[0,0,1] op_sel_hi:[1,1,0] neg_lo:[0,0,1] neg_hi:[0,0,1]
	v_pk_fma_f32 v[62:63], v[76:77], v[62:63], v[66:67] op_sel:[0,0,1] op_sel_hi:[1,0,0]
	v_fmac_f32_e32 v125, v71, v119
	v_add_f32_e32 v62, v112, v124
	v_add_f32_e32 v65, v65, v115
	v_mov_b32_e32 v114, v91
	v_fmac_f32_e32 v109, v73, v121
	v_fma_f32 v108, v72, v121, -v126
	v_mov_b32_e32 v75, v63
	v_add_f32_e32 v63, v62, v125
	v_add_f32_e32 v62, v65, v117
	s_waitcnt lgkmcnt(3)
	v_pk_mul_f32 v[68:69], v[78:79], v[114:115] op_sel_hi:[1,0]
	v_pk_add_f32 v[62:63], v[62:63], v[108:109]
	v_mov_b32_e32 v116, v93
	s_waitcnt vmcnt(11)
	v_pk_fma_f32 v[66:67], v[78:79], v[90:91], v[68:69] op_sel:[0,0,1] op_sel_hi:[1,1,0] neg_lo:[0,0,1] neg_hi:[0,0,1]
	v_pk_fma_f32 v[68:69], v[78:79], v[90:91], v[68:69] op_sel:[0,0,1] op_sel_hi:[1,0,0]
	v_pk_add_f32 v[62:63], v[62:63], v[110:111]
	v_mov_b32_e32 v118, v95
	v_mov_b32_e32 v120, v97
	v_pk_mul_f32 v[70:71], v[80:81], v[116:117] op_sel_hi:[1,0]
	v_mov_b32_e32 v67, v69
	v_pk_add_f32 v[62:63], v[62:63], v[74:75]
	s_waitcnt lgkmcnt(2)
	v_pk_mul_f32 v[72:73], v[82:83], v[118:119] op_sel_hi:[1,0]
	s_waitcnt vmcnt(7)
	v_pk_fma_f32 v[76:77], v[80:81], v[92:93], v[70:71] op_sel:[0,0,1] op_sel_hi:[1,1,0] neg_lo:[0,0,1] neg_hi:[0,0,1]
	v_pk_fma_f32 v[70:71], v[80:81], v[92:93], v[70:71] op_sel:[0,0,1] op_sel_hi:[1,0,0]
	v_pk_add_f32 v[62:63], v[62:63], v[66:67]
	v_pk_mul_f32 v[66:67], v[84:85], v[120:121] op_sel_hi:[1,0]
	v_pk_fma_f32 v[78:79], v[82:83], v[94:95], v[72:73] op_sel:[0,0,1] op_sel_hi:[1,1,0] neg_lo:[0,0,1] neg_hi:[0,0,1]
	v_pk_fma_f32 v[72:73], v[82:83], v[94:95], v[72:73] op_sel:[0,0,1] op_sel_hi:[1,0,0]
	v_mov_b32_e32 v77, v71
	v_pk_fma_f32 v[68:69], v[84:85], v[96:97], v[66:67] op_sel:[0,0,1] op_sel_hi:[1,1,0] neg_lo:[0,0,1] neg_hi:[0,0,1]
	v_pk_fma_f32 v[66:67], v[84:85], v[96:97], v[66:67] op_sel:[0,0,1] op_sel_hi:[1,0,0]
	v_mov_b32_e32 v79, v73
	v_pk_add_f32 v[62:63], v[62:63], v[76:77]
	s_waitcnt vmcnt(6)
	v_mov_b32_e32 v66, v99
	v_pk_add_f32 v[62:63], v[62:63], v[78:79]
	v_mov_b32_e32 v69, v67
	s_waitcnt lgkmcnt(1)
	v_pk_mul_f32 v[66:67], v[86:87], v[66:67] op_sel_hi:[1,0]
	v_pk_add_f32 v[62:63], v[62:63], v[68:69]
	v_pk_fma_f32 v[68:69], v[86:87], v[98:99], v[66:67] op_sel:[0,0,1] op_sel_hi:[1,1,0] neg_lo:[0,0,1] neg_hi:[0,0,1]
	v_pk_fma_f32 v[66:67], v[86:87], v[98:99], v[66:67] op_sel:[0,0,1] op_sel_hi:[1,0,0]
	s_waitcnt vmcnt(5)
	v_mov_b32_e32 v66, v101
	v_mov_b32_e32 v69, v67
	v_pk_mul_f32 v[66:67], v[88:89], v[66:67] op_sel_hi:[1,0]
	v_pk_add_f32 v[62:63], v[62:63], v[68:69]
	s_waitcnt vmcnt(3)
	v_pk_fma_f32 v[68:69], v[88:89], v[100:101], v[66:67] op_sel:[0,0,1] op_sel_hi:[1,1,0] neg_lo:[0,0,1] neg_hi:[0,0,1]
	v_pk_fma_f32 v[66:67], v[88:89], v[100:101], v[66:67] op_sel:[0,0,1] op_sel_hi:[1,0,0]
	s_waitcnt vmcnt(2)
	v_mov_b32_e32 v66, v103
	v_mov_b32_e32 v69, v67
	s_waitcnt lgkmcnt(0)
	v_pk_mul_f32 v[66:67], v[106:107], v[66:67] op_sel_hi:[1,0]
	v_pk_add_f32 v[62:63], v[62:63], v[68:69]
	v_pk_fma_f32 v[68:69], v[106:107], v[102:103], v[66:67] op_sel:[0,0,1] op_sel_hi:[1,1,0] neg_lo:[0,0,1] neg_hi:[0,0,1]
	v_pk_fma_f32 v[66:67], v[106:107], v[102:103], v[66:67] op_sel:[0,0,1] op_sel_hi:[1,0,0]
	v_mov_b32_e32 v69, v67
	v_pk_add_f32 v[62:63], v[62:63], v[68:69]
	s_waitcnt vmcnt(0)
	v_pk_add_f32 v[62:63], v[104:105], v[62:63] neg_lo:[0,1] neg_hi:[0,1]
	buffer_store_dword v63, off, s[0:3], 0 offset:132
	buffer_store_dword v62, off, s[0:3], 0 offset:128
	s_and_saveexec_b64 s[4:5], vcc
	s_cbranch_execz .LBB93_163
; %bb.162:
	buffer_load_dword v62, off, s[0:3], 0 offset:120
	buffer_load_dword v63, off, s[0:3], 0 offset:124
	s_waitcnt vmcnt(0)
	ds_write_b64 v1, v[62:63]
	buffer_store_dword v64, off, s[0:3], 0 offset:120
	buffer_store_dword v64, off, s[0:3], 0 offset:124
.LBB93_163:
	s_or_b64 exec, exec, s[4:5]
	s_waitcnt lgkmcnt(0)
	; wave barrier
	s_waitcnt lgkmcnt(0)
	ds_read_b128 v[66:69], v64 offset:368
	ds_read_b128 v[70:73], v64 offset:384
	;; [unrolled: 1-line block ×4, first 2 shown]
	buffer_load_dword v62, off, s[0:3], 0 offset:120
	buffer_load_dword v63, off, s[0:3], 0 offset:124
	;; [unrolled: 1-line block ×30, first 2 shown]
	v_cmp_lt_u32_e32 vcc, 14, v0
	s_waitcnt vmcnt(26) lgkmcnt(3)
	v_mul_f32_e32 v85, v66, v84
	v_fmac_f32_e32 v85, v67, v65
	v_mul_f32_e32 v67, v67, v84
	s_waitcnt vmcnt(24)
	v_mul_f32_e32 v87, v68, v88
	v_fma_f32 v65, v66, v65, -v67
	v_mul_f32_e32 v66, v69, v88
	v_add_f32_e32 v85, 0, v85
	v_fmac_f32_e32 v87, v69, v86
	v_add_f32_e32 v65, 0, v65
	v_fma_f32 v66, v68, v86, -v66
	v_add_f32_e32 v85, v85, v87
	s_waitcnt vmcnt(22) lgkmcnt(2)
	v_mul_f32_e32 v87, v70, v105
	v_add_f32_e32 v65, v65, v66
	v_mul_f32_e32 v66, v71, v105
	v_fmac_f32_e32 v87, v71, v104
	v_fma_f32 v66, v70, v104, -v66
	v_add_f32_e32 v85, v85, v87
	s_waitcnt vmcnt(20)
	v_mul_f32_e32 v87, v72, v107
	v_add_f32_e32 v65, v65, v66
	v_mul_f32_e32 v66, v73, v107
	v_fmac_f32_e32 v87, v73, v106
	v_fma_f32 v66, v72, v106, -v66
	v_add_f32_e32 v85, v85, v87
	s_waitcnt vmcnt(18) lgkmcnt(1)
	v_mul_f32_e32 v87, v74, v109
	v_add_f32_e32 v84, v65, v66
	v_mul_f32_e32 v65, v75, v109
	v_fmac_f32_e32 v87, v75, v108
	s_waitcnt vmcnt(16)
	v_mul_f32_e32 v89, v76, v111
	v_fma_f32 v86, v74, v108, -v65
	v_mul_f32_e32 v65, v77, v111
	v_fmac_f32_e32 v89, v77, v110
	v_fma_f32 v88, v76, v110, -v65
	ds_read_b128 v[66:69], v64 offset:432
	ds_read_b128 v[70:73], v64 offset:448
	ds_read_b128 v[74:77], v64 offset:464
	v_pk_add_f32 v[64:65], v[84:85], v[86:87]
	s_waitcnt vmcnt(14)
	v_mov_b32_e32 v84, v83
	s_waitcnt lgkmcnt(3)
	v_pk_mul_f32 v[84:85], v[78:79], v[84:85] op_sel_hi:[1,0]
	v_pk_fma_f32 v[86:87], v[78:79], v[82:83], v[84:85] op_sel:[0,0,1] op_sel_hi:[1,1,0] neg_lo:[0,0,1] neg_hi:[0,0,1]
	v_pk_fma_f32 v[78:79], v[78:79], v[82:83], v[84:85] op_sel:[0,0,1] op_sel_hi:[1,0,0]
	s_waitcnt vmcnt(13)
	v_mov_b32_e32 v78, v91
	v_mov_b32_e32 v87, v79
	v_pk_mul_f32 v[78:79], v[80:81], v[78:79] op_sel_hi:[1,0]
	s_waitcnt vmcnt(12)
	v_pk_fma_f32 v[82:83], v[80:81], v[90:91], v[78:79] op_sel:[0,0,1] op_sel_hi:[1,1,0] neg_lo:[0,0,1] neg_hi:[0,0,1]
	v_pk_fma_f32 v[78:79], v[80:81], v[90:91], v[78:79] op_sel:[0,0,1] op_sel_hi:[1,0,0]
	s_waitcnt vmcnt(11)
	v_mov_b32_e32 v78, v93
	v_mov_b32_e32 v83, v79
	s_waitcnt lgkmcnt(2)
	v_pk_mul_f32 v[78:79], v[66:67], v[78:79] op_sel_hi:[1,0]
	s_waitcnt vmcnt(10)
	v_pk_fma_f32 v[80:81], v[66:67], v[92:93], v[78:79] op_sel:[0,0,1] op_sel_hi:[1,1,0] neg_lo:[0,0,1] neg_hi:[0,0,1]
	v_pk_fma_f32 v[66:67], v[66:67], v[92:93], v[78:79] op_sel:[0,0,1] op_sel_hi:[1,0,0]
	s_waitcnt vmcnt(9)
	v_mov_b32_e32 v66, v95
	v_mov_b32_e32 v81, v67
	v_pk_mul_f32 v[66:67], v[68:69], v[66:67] op_sel_hi:[1,0]
	s_waitcnt vmcnt(8)
	v_pk_fma_f32 v[78:79], v[68:69], v[94:95], v[66:67] op_sel:[0,0,1] op_sel_hi:[1,1,0] neg_lo:[0,0,1] neg_hi:[0,0,1]
	v_pk_fma_f32 v[66:67], v[68:69], v[94:95], v[66:67] op_sel:[0,0,1] op_sel_hi:[1,0,0]
	v_pk_add_f32 v[64:65], v[64:65], v[88:89]
	s_waitcnt vmcnt(7)
	v_mov_b32_e32 v66, v97
	v_pk_add_f32 v[64:65], v[64:65], v[86:87]
	v_mov_b32_e32 v79, v67
	s_waitcnt lgkmcnt(1)
	v_pk_mul_f32 v[66:67], v[70:71], v[66:67] op_sel_hi:[1,0]
	v_pk_add_f32 v[64:65], v[64:65], v[82:83]
	s_waitcnt vmcnt(6)
	v_pk_fma_f32 v[68:69], v[70:71], v[96:97], v[66:67] op_sel:[0,0,1] op_sel_hi:[1,1,0] neg_lo:[0,0,1] neg_hi:[0,0,1]
	v_pk_fma_f32 v[66:67], v[70:71], v[96:97], v[66:67] op_sel:[0,0,1] op_sel_hi:[1,0,0]
	v_pk_add_f32 v[64:65], v[64:65], v[80:81]
	s_waitcnt vmcnt(5)
	v_mov_b32_e32 v66, v99
	v_pk_add_f32 v[64:65], v[64:65], v[78:79]
	v_mov_b32_e32 v69, v67
	v_pk_mul_f32 v[66:67], v[72:73], v[66:67] op_sel_hi:[1,0]
	v_pk_add_f32 v[64:65], v[64:65], v[68:69]
	s_waitcnt vmcnt(4)
	v_pk_fma_f32 v[68:69], v[72:73], v[98:99], v[66:67] op_sel:[0,0,1] op_sel_hi:[1,1,0] neg_lo:[0,0,1] neg_hi:[0,0,1]
	v_pk_fma_f32 v[66:67], v[72:73], v[98:99], v[66:67] op_sel:[0,0,1] op_sel_hi:[1,0,0]
	s_waitcnt vmcnt(3)
	v_mov_b32_e32 v66, v101
	v_mov_b32_e32 v69, v67
	s_waitcnt lgkmcnt(0)
	v_pk_mul_f32 v[66:67], v[74:75], v[66:67] op_sel_hi:[1,0]
	v_pk_add_f32 v[64:65], v[64:65], v[68:69]
	s_waitcnt vmcnt(2)
	v_pk_fma_f32 v[68:69], v[74:75], v[100:101], v[66:67] op_sel:[0,0,1] op_sel_hi:[1,1,0] neg_lo:[0,0,1] neg_hi:[0,0,1]
	v_pk_fma_f32 v[66:67], v[74:75], v[100:101], v[66:67] op_sel:[0,0,1] op_sel_hi:[1,0,0]
	s_waitcnt vmcnt(1)
	v_mov_b32_e32 v66, v103
	v_mov_b32_e32 v69, v67
	v_pk_mul_f32 v[66:67], v[76:77], v[66:67] op_sel_hi:[1,0]
	v_pk_add_f32 v[64:65], v[64:65], v[68:69]
	s_waitcnt vmcnt(0)
	v_pk_fma_f32 v[68:69], v[76:77], v[102:103], v[66:67] op_sel:[0,0,1] op_sel_hi:[1,1,0] neg_lo:[0,0,1] neg_hi:[0,0,1]
	v_pk_fma_f32 v[66:67], v[76:77], v[102:103], v[66:67] op_sel:[0,0,1] op_sel_hi:[1,0,0]
	v_mov_b32_e32 v69, v67
	v_pk_add_f32 v[64:65], v[64:65], v[68:69]
	v_pk_add_f32 v[62:63], v[62:63], v[64:65] neg_lo:[0,1] neg_hi:[0,1]
	buffer_store_dword v63, off, s[0:3], 0 offset:124
	buffer_store_dword v62, off, s[0:3], 0 offset:120
	s_and_saveexec_b64 s[4:5], vcc
	s_cbranch_execz .LBB93_165
; %bb.164:
	buffer_load_dword v62, off, s[0:3], 0 offset:112
	buffer_load_dword v63, off, s[0:3], 0 offset:116
	v_mov_b32_e32 v64, 0
	buffer_store_dword v64, off, s[0:3], 0 offset:112
	buffer_store_dword v64, off, s[0:3], 0 offset:116
	s_waitcnt vmcnt(2)
	ds_write_b64 v1, v[62:63]
.LBB93_165:
	s_or_b64 exec, exec, s[4:5]
	v_mov_b32_e32 v64, 0
	s_waitcnt lgkmcnt(0)
	; wave barrier
	s_waitcnt lgkmcnt(0)
	ds_read2_b64 v[66:69], v64 offset0:45 offset1:46
	buffer_load_dword v62, off, s[0:3], 0 offset:112
	buffer_load_dword v63, off, s[0:3], 0 offset:116
	;; [unrolled: 1-line block ×16, first 2 shown]
	v_cmp_lt_u32_e32 vcc, 13, v0
	s_waitcnt vmcnt(12) lgkmcnt(0)
	v_mul_f32_e32 v70, v66, v82
	v_fmac_f32_e32 v70, v67, v65
	s_waitcnt vmcnt(10)
	v_mul_f32_e32 v71, v68, v86
	v_add_f32_e32 v70, 0, v70
	v_fmac_f32_e32 v71, v69, v84
	v_add_f32_e32 v74, v70, v71
	ds_read2_b64 v[70:73], v64 offset0:47 offset1:48
	v_mul_f32_e32 v67, v67, v82
	v_fma_f32 v65, v66, v65, -v67
	v_mul_f32_e32 v66, v69, v86
	v_add_f32_e32 v65, 0, v65
	s_waitcnt vmcnt(8) lgkmcnt(0)
	v_mul_f32_e32 v75, v70, v105
	v_fmac_f32_e32 v75, v71, v104
	v_add_f32_e32 v74, v74, v75
	s_waitcnt vmcnt(6)
	v_mul_f32_e32 v75, v72, v107
	v_fmac_f32_e32 v75, v73, v106
	v_add_f32_e32 v78, v74, v75
	ds_read2_b64 v[74:77], v64 offset0:49 offset1:50
	v_fma_f32 v66, v68, v84, -v66
	v_add_f32_e32 v65, v65, v66
	v_mul_f32_e32 v66, v71, v105
	v_fma_f32 v66, v70, v104, -v66
	s_waitcnt vmcnt(4) lgkmcnt(0)
	v_mul_f32_e32 v79, v74, v109
	v_fmac_f32_e32 v79, v75, v108
	v_add_f32_e32 v83, v78, v79
	ds_read2_b64 v[78:81], v64 offset0:51 offset1:52
	buffer_load_dword v89, off, s[0:3], 0 offset:180
	buffer_load_dword v88, off, s[0:3], 0 offset:176
	;; [unrolled: 1-line block ×16, first 2 shown]
	v_add_f32_e32 v65, v65, v66
	v_mul_f32_e32 v66, v73, v107
	v_fma_f32 v66, v72, v106, -v66
	v_add_f32_e32 v65, v65, v66
	v_mul_f32_e32 v66, v75, v109
	v_fma_f32 v66, v74, v108, -v66
	s_waitcnt vmcnt(18)
	v_mul_f32_e32 v85, v76, v111
	v_add_f32_e32 v82, v65, v66
	v_mul_f32_e32 v65, v77, v111
	v_fmac_f32_e32 v85, v77, v110
	v_fma_f32 v84, v76, v110, -v65
	s_waitcnt vmcnt(16) lgkmcnt(0)
	v_mul_f32_e32 v87, v78, v113
	v_mul_f32_e32 v65, v79, v113
	v_pk_add_f32 v[82:83], v[82:83], v[84:85]
	v_fmac_f32_e32 v87, v79, v112
	v_fma_f32 v86, v78, v112, -v65
	v_pk_add_f32 v[82:83], v[82:83], v[86:87]
	ds_read2_b64 v[66:69], v64 offset0:53 offset1:54
	ds_read2_b64 v[70:73], v64 offset0:55 offset1:56
	;; [unrolled: 1-line block ×3, first 2 shown]
	ds_read_b64 v[78:79], v64 offset:472
	s_waitcnt vmcnt(15)
	v_mov_b32_e32 v84, v89
	v_pk_mul_f32 v[84:85], v[80:81], v[84:85] op_sel_hi:[1,0]
	s_waitcnt vmcnt(14)
	v_pk_fma_f32 v[86:87], v[80:81], v[88:89], v[84:85] op_sel:[0,0,1] op_sel_hi:[1,1,0] neg_lo:[0,0,1] neg_hi:[0,0,1]
	v_pk_fma_f32 v[80:81], v[80:81], v[88:89], v[84:85] op_sel:[0,0,1] op_sel_hi:[1,0,0]
	v_mov_b32_e32 v87, v81
	v_pk_add_f32 v[80:81], v[82:83], v[86:87]
	s_waitcnt vmcnt(13)
	v_mov_b32_e32 v82, v91
	s_waitcnt lgkmcnt(3)
	v_pk_mul_f32 v[82:83], v[66:67], v[82:83] op_sel_hi:[1,0]
	s_waitcnt vmcnt(12)
	v_pk_fma_f32 v[84:85], v[66:67], v[90:91], v[82:83] op_sel:[0,0,1] op_sel_hi:[1,1,0] neg_lo:[0,0,1] neg_hi:[0,0,1]
	v_pk_fma_f32 v[66:67], v[66:67], v[90:91], v[82:83] op_sel:[0,0,1] op_sel_hi:[1,0,0]
	v_mov_b32_e32 v85, v67
	v_pk_add_f32 v[66:67], v[80:81], v[84:85]
	s_waitcnt vmcnt(11)
	v_mov_b32_e32 v80, v93
	v_pk_mul_f32 v[80:81], v[68:69], v[80:81] op_sel_hi:[1,0]
	s_waitcnt vmcnt(10)
	v_pk_fma_f32 v[82:83], v[68:69], v[92:93], v[80:81] op_sel:[0,0,1] op_sel_hi:[1,1,0] neg_lo:[0,0,1] neg_hi:[0,0,1]
	v_pk_fma_f32 v[68:69], v[68:69], v[92:93], v[80:81] op_sel:[0,0,1] op_sel_hi:[1,0,0]
	s_waitcnt vmcnt(9)
	v_mov_b32_e32 v68, v95
	v_mov_b32_e32 v83, v69
	s_waitcnt lgkmcnt(2)
	v_pk_mul_f32 v[68:69], v[70:71], v[68:69] op_sel_hi:[1,0]
	s_waitcnt vmcnt(8)
	v_pk_fma_f32 v[80:81], v[70:71], v[94:95], v[68:69] op_sel:[0,0,1] op_sel_hi:[1,1,0] neg_lo:[0,0,1] neg_hi:[0,0,1]
	v_pk_fma_f32 v[68:69], v[70:71], v[94:95], v[68:69] op_sel:[0,0,1] op_sel_hi:[1,0,0]
	s_waitcnt vmcnt(7)
	v_mov_b32_e32 v68, v97
	v_mov_b32_e32 v81, v69
	v_pk_mul_f32 v[68:69], v[72:73], v[68:69] op_sel_hi:[1,0]
	s_waitcnt vmcnt(6)
	v_pk_fma_f32 v[70:71], v[72:73], v[96:97], v[68:69] op_sel:[0,0,1] op_sel_hi:[1,1,0] neg_lo:[0,0,1] neg_hi:[0,0,1]
	v_pk_fma_f32 v[68:69], v[72:73], v[96:97], v[68:69] op_sel:[0,0,1] op_sel_hi:[1,0,0]
	v_pk_add_f32 v[66:67], v[66:67], v[82:83]
	s_waitcnt vmcnt(5)
	v_mov_b32_e32 v68, v99
	v_pk_add_f32 v[66:67], v[66:67], v[80:81]
	v_mov_b32_e32 v71, v69
	s_waitcnt lgkmcnt(1)
	v_pk_mul_f32 v[68:69], v[74:75], v[68:69] op_sel_hi:[1,0]
	v_pk_add_f32 v[66:67], v[66:67], v[70:71]
	s_waitcnt vmcnt(4)
	v_pk_fma_f32 v[70:71], v[74:75], v[98:99], v[68:69] op_sel:[0,0,1] op_sel_hi:[1,1,0] neg_lo:[0,0,1] neg_hi:[0,0,1]
	v_pk_fma_f32 v[68:69], v[74:75], v[98:99], v[68:69] op_sel:[0,0,1] op_sel_hi:[1,0,0]
	s_waitcnt vmcnt(3)
	v_mov_b32_e32 v68, v101
	v_mov_b32_e32 v71, v69
	v_pk_mul_f32 v[68:69], v[76:77], v[68:69] op_sel_hi:[1,0]
	v_pk_add_f32 v[66:67], v[66:67], v[70:71]
	s_waitcnt vmcnt(2)
	v_pk_fma_f32 v[70:71], v[76:77], v[100:101], v[68:69] op_sel:[0,0,1] op_sel_hi:[1,1,0] neg_lo:[0,0,1] neg_hi:[0,0,1]
	v_pk_fma_f32 v[68:69], v[76:77], v[100:101], v[68:69] op_sel:[0,0,1] op_sel_hi:[1,0,0]
	s_waitcnt vmcnt(1)
	v_mov_b32_e32 v68, v103
	v_mov_b32_e32 v71, v69
	s_waitcnt lgkmcnt(0)
	v_pk_mul_f32 v[68:69], v[78:79], v[68:69] op_sel_hi:[1,0]
	v_pk_add_f32 v[66:67], v[66:67], v[70:71]
	s_waitcnt vmcnt(0)
	v_pk_fma_f32 v[70:71], v[78:79], v[102:103], v[68:69] op_sel:[0,0,1] op_sel_hi:[1,1,0] neg_lo:[0,0,1] neg_hi:[0,0,1]
	v_pk_fma_f32 v[68:69], v[78:79], v[102:103], v[68:69] op_sel:[0,0,1] op_sel_hi:[1,0,0]
	v_mov_b32_e32 v71, v69
	v_pk_add_f32 v[66:67], v[66:67], v[70:71]
	v_pk_add_f32 v[62:63], v[62:63], v[66:67] neg_lo:[0,1] neg_hi:[0,1]
	buffer_store_dword v63, off, s[0:3], 0 offset:116
	buffer_store_dword v62, off, s[0:3], 0 offset:112
	s_and_saveexec_b64 s[4:5], vcc
	s_cbranch_execz .LBB93_167
; %bb.166:
	buffer_load_dword v62, off, s[0:3], 0 offset:104
	buffer_load_dword v63, off, s[0:3], 0 offset:108
	s_waitcnt vmcnt(0)
	ds_write_b64 v1, v[62:63]
	buffer_store_dword v64, off, s[0:3], 0 offset:104
	buffer_store_dword v64, off, s[0:3], 0 offset:108
.LBB93_167:
	s_or_b64 exec, exec, s[4:5]
	s_waitcnt lgkmcnt(0)
	; wave barrier
	s_waitcnt lgkmcnt(0)
	ds_read_b128 v[66:69], v64 offset:352
	ds_read_b128 v[70:73], v64 offset:368
	;; [unrolled: 1-line block ×4, first 2 shown]
	buffer_load_dword v62, off, s[0:3], 0 offset:104
	buffer_load_dword v63, off, s[0:3], 0 offset:108
	;; [unrolled: 1-line block ×20, first 2 shown]
	v_cmp_lt_u32_e32 vcc, 12, v0
	s_waitcnt vmcnt(16) lgkmcnt(3)
	v_mul_f32_e32 v82, v66, v86
	v_fmac_f32_e32 v82, v67, v65
	s_waitcnt vmcnt(14)
	v_mul_f32_e32 v83, v68, v90
	v_add_f32_e32 v82, 0, v82
	v_fmac_f32_e32 v83, v69, v88
	v_add_f32_e32 v82, v82, v83
	s_waitcnt vmcnt(12) lgkmcnt(2)
	v_mul_f32_e32 v83, v70, v109
	v_fmac_f32_e32 v83, v71, v108
	v_add_f32_e32 v82, v82, v83
	s_waitcnt vmcnt(10)
	v_mul_f32_e32 v83, v72, v111
	v_fmac_f32_e32 v83, v73, v110
	v_add_f32_e32 v82, v82, v83
	s_waitcnt vmcnt(8) lgkmcnt(1)
	v_mul_f32_e32 v83, v74, v113
	v_fmac_f32_e32 v83, v75, v112
	v_add_f32_e32 v82, v82, v83
	s_waitcnt vmcnt(6)
	v_mul_f32_e32 v83, v76, v115
	v_fmac_f32_e32 v83, v77, v114
	v_add_f32_e32 v87, v82, v83
	ds_read_b128 v[82:85], v64 offset:416
	buffer_load_dword v95, off, s[0:3], 0 offset:188
	buffer_load_dword v94, off, s[0:3], 0 offset:184
	;; [unrolled: 1-line block ×14, first 2 shown]
	v_mul_f32_e32 v67, v67, v86
	v_fma_f32 v65, v66, v65, -v67
	v_mul_f32_e32 v66, v69, v90
	v_add_f32_e32 v65, 0, v65
	v_fma_f32 v66, v68, v88, -v66
	v_add_f32_e32 v65, v65, v66
	v_mul_f32_e32 v66, v71, v109
	v_fma_f32 v66, v70, v108, -v66
	v_add_f32_e32 v65, v65, v66
	v_mul_f32_e32 v66, v73, v111
	;; [unrolled: 3-line block ×4, first 2 shown]
	v_fma_f32 v66, v76, v114, -v66
	v_add_f32_e32 v86, v65, v66
	s_waitcnt vmcnt(18) lgkmcnt(1)
	v_mul_f32_e32 v65, v79, v117
	v_mul_f32_e32 v89, v78, v117
	v_fma_f32 v88, v78, v116, -v65
	s_waitcnt vmcnt(15)
	v_mov_b32_e32 v78, v93
	v_fmac_f32_e32 v89, v79, v116
	v_mul_f32_e32 v91, v80, v119
	v_mul_f32_e32 v65, v81, v119
	s_waitcnt lgkmcnt(0)
	v_pk_mul_f32 v[78:79], v[82:83], v[78:79] op_sel_hi:[1,0]
	v_fmac_f32_e32 v91, v81, v118
	v_fma_f32 v90, v80, v118, -v65
	s_waitcnt vmcnt(14)
	v_pk_fma_f32 v[80:81], v[82:83], v[92:93], v[78:79] op_sel:[0,0,1] op_sel_hi:[1,1,0] neg_lo:[0,0,1] neg_hi:[0,0,1]
	v_pk_fma_f32 v[78:79], v[82:83], v[92:93], v[78:79] op_sel:[0,0,1] op_sel_hi:[1,0,0]
	ds_read_b128 v[66:69], v64 offset:432
	ds_read_b128 v[70:73], v64 offset:448
	;; [unrolled: 1-line block ×3, first 2 shown]
	v_pk_add_f32 v[64:65], v[86:87], v[88:89]
	v_pk_add_f32 v[64:65], v[64:65], v[90:91]
	v_mov_b32_e32 v81, v79
	v_pk_add_f32 v[64:65], v[64:65], v[80:81]
	s_waitcnt vmcnt(13)
	v_mov_b32_e32 v78, v95
	v_pk_mul_f32 v[78:79], v[84:85], v[78:79] op_sel_hi:[1,0]
	s_waitcnt vmcnt(12)
	v_pk_fma_f32 v[80:81], v[84:85], v[94:95], v[78:79] op_sel:[0,0,1] op_sel_hi:[1,1,0] neg_lo:[0,0,1] neg_hi:[0,0,1]
	v_pk_fma_f32 v[78:79], v[84:85], v[94:95], v[78:79] op_sel:[0,0,1] op_sel_hi:[1,0,0]
	s_waitcnt vmcnt(11)
	v_mov_b32_e32 v78, v97
	v_mov_b32_e32 v81, v79
	s_waitcnt lgkmcnt(2)
	v_pk_mul_f32 v[78:79], v[66:67], v[78:79] op_sel_hi:[1,0]
	v_pk_add_f32 v[64:65], v[64:65], v[80:81]
	s_waitcnt vmcnt(10)
	v_pk_fma_f32 v[80:81], v[66:67], v[96:97], v[78:79] op_sel:[0,0,1] op_sel_hi:[1,1,0] neg_lo:[0,0,1] neg_hi:[0,0,1]
	v_pk_fma_f32 v[66:67], v[66:67], v[96:97], v[78:79] op_sel:[0,0,1] op_sel_hi:[1,0,0]
	s_waitcnt vmcnt(9)
	v_mov_b32_e32 v66, v99
	v_mov_b32_e32 v81, v67
	v_pk_mul_f32 v[66:67], v[68:69], v[66:67] op_sel_hi:[1,0]
	s_waitcnt vmcnt(8)
	v_pk_fma_f32 v[78:79], v[68:69], v[98:99], v[66:67] op_sel:[0,0,1] op_sel_hi:[1,1,0] neg_lo:[0,0,1] neg_hi:[0,0,1]
	v_pk_fma_f32 v[66:67], v[68:69], v[98:99], v[66:67] op_sel:[0,0,1] op_sel_hi:[1,0,0]
	s_waitcnt vmcnt(7)
	v_mov_b32_e32 v66, v101
	v_mov_b32_e32 v79, v67
	s_waitcnt lgkmcnt(1)
	v_pk_mul_f32 v[66:67], v[70:71], v[66:67] op_sel_hi:[1,0]
	s_waitcnt vmcnt(6)
	v_pk_fma_f32 v[68:69], v[70:71], v[100:101], v[66:67] op_sel:[0,0,1] op_sel_hi:[1,1,0] neg_lo:[0,0,1] neg_hi:[0,0,1]
	v_pk_fma_f32 v[66:67], v[70:71], v[100:101], v[66:67] op_sel:[0,0,1] op_sel_hi:[1,0,0]
	v_pk_add_f32 v[64:65], v[64:65], v[80:81]
	s_waitcnt vmcnt(5)
	v_mov_b32_e32 v66, v103
	v_pk_add_f32 v[64:65], v[64:65], v[78:79]
	v_mov_b32_e32 v69, v67
	v_pk_mul_f32 v[66:67], v[72:73], v[66:67] op_sel_hi:[1,0]
	v_pk_add_f32 v[64:65], v[64:65], v[68:69]
	s_waitcnt vmcnt(4)
	v_pk_fma_f32 v[68:69], v[72:73], v[102:103], v[66:67] op_sel:[0,0,1] op_sel_hi:[1,1,0] neg_lo:[0,0,1] neg_hi:[0,0,1]
	v_pk_fma_f32 v[66:67], v[72:73], v[102:103], v[66:67] op_sel:[0,0,1] op_sel_hi:[1,0,0]
	s_waitcnt vmcnt(3)
	v_mov_b32_e32 v66, v105
	v_mov_b32_e32 v69, v67
	s_waitcnt lgkmcnt(0)
	v_pk_mul_f32 v[66:67], v[74:75], v[66:67] op_sel_hi:[1,0]
	v_pk_add_f32 v[64:65], v[64:65], v[68:69]
	s_waitcnt vmcnt(2)
	v_pk_fma_f32 v[68:69], v[74:75], v[104:105], v[66:67] op_sel:[0,0,1] op_sel_hi:[1,1,0] neg_lo:[0,0,1] neg_hi:[0,0,1]
	v_pk_fma_f32 v[66:67], v[74:75], v[104:105], v[66:67] op_sel:[0,0,1] op_sel_hi:[1,0,0]
	s_waitcnt vmcnt(1)
	v_mov_b32_e32 v66, v107
	v_mov_b32_e32 v69, v67
	v_pk_mul_f32 v[66:67], v[76:77], v[66:67] op_sel_hi:[1,0]
	v_pk_add_f32 v[64:65], v[64:65], v[68:69]
	s_waitcnt vmcnt(0)
	v_pk_fma_f32 v[68:69], v[76:77], v[106:107], v[66:67] op_sel:[0,0,1] op_sel_hi:[1,1,0] neg_lo:[0,0,1] neg_hi:[0,0,1]
	v_pk_fma_f32 v[66:67], v[76:77], v[106:107], v[66:67] op_sel:[0,0,1] op_sel_hi:[1,0,0]
	v_mov_b32_e32 v69, v67
	v_pk_add_f32 v[64:65], v[64:65], v[68:69]
	v_pk_add_f32 v[62:63], v[62:63], v[64:65] neg_lo:[0,1] neg_hi:[0,1]
	buffer_store_dword v63, off, s[0:3], 0 offset:108
	buffer_store_dword v62, off, s[0:3], 0 offset:104
	s_and_saveexec_b64 s[4:5], vcc
	s_cbranch_execz .LBB93_169
; %bb.168:
	buffer_load_dword v62, off, s[0:3], 0 offset:96
	buffer_load_dword v63, off, s[0:3], 0 offset:100
	v_mov_b32_e32 v64, 0
	buffer_store_dword v64, off, s[0:3], 0 offset:96
	buffer_store_dword v64, off, s[0:3], 0 offset:100
	s_waitcnt vmcnt(2)
	ds_write_b64 v1, v[62:63]
.LBB93_169:
	s_or_b64 exec, exec, s[4:5]
	v_mov_b32_e32 v64, 0
	s_waitcnt lgkmcnt(0)
	; wave barrier
	s_waitcnt lgkmcnt(0)
	ds_read2_b64 v[66:69], v64 offset0:43 offset1:44
	buffer_load_dword v62, off, s[0:3], 0 offset:96
	buffer_load_dword v63, off, s[0:3], 0 offset:100
	;; [unrolled: 1-line block ×16, first 2 shown]
	v_cmp_lt_u32_e32 vcc, 11, v0
	s_waitcnt vmcnt(12) lgkmcnt(0)
	v_mul_f32_e32 v70, v66, v86
	v_fmac_f32_e32 v70, v67, v65
	s_waitcnt vmcnt(10)
	v_mul_f32_e32 v71, v68, v90
	v_add_f32_e32 v70, 0, v70
	v_fmac_f32_e32 v71, v69, v88
	v_add_f32_e32 v74, v70, v71
	ds_read2_b64 v[70:73], v64 offset0:45 offset1:46
	v_mul_f32_e32 v67, v67, v86
	v_fma_f32 v65, v66, v65, -v67
	v_mul_f32_e32 v66, v69, v90
	v_add_f32_e32 v65, 0, v65
	s_waitcnt vmcnt(8) lgkmcnt(0)
	v_mul_f32_e32 v75, v70, v109
	v_fmac_f32_e32 v75, v71, v108
	v_add_f32_e32 v74, v74, v75
	s_waitcnt vmcnt(6)
	v_mul_f32_e32 v75, v72, v111
	v_fmac_f32_e32 v75, v73, v110
	v_add_f32_e32 v78, v74, v75
	ds_read2_b64 v[74:77], v64 offset0:47 offset1:48
	v_fma_f32 v66, v68, v88, -v66
	v_add_f32_e32 v65, v65, v66
	v_mul_f32_e32 v66, v71, v109
	v_fma_f32 v66, v70, v108, -v66
	s_waitcnt vmcnt(4) lgkmcnt(0)
	v_mul_f32_e32 v79, v74, v113
	v_fmac_f32_e32 v79, v75, v112
	v_add_f32_e32 v78, v78, v79
	s_waitcnt vmcnt(2)
	v_mul_f32_e32 v79, v76, v115
	v_fmac_f32_e32 v79, v77, v114
	v_add_f32_e32 v82, v78, v79
	ds_read2_b64 v[78:81], v64 offset0:49 offset1:50
	buffer_load_dword v118, off, s[0:3], 0 offset:160
	buffer_load_dword v119, off, s[0:3], 0 offset:164
	v_add_f32_e32 v65, v65, v66
	v_mul_f32_e32 v66, v73, v111
	v_fma_f32 v66, v72, v110, -v66
	s_waitcnt vmcnt(2) lgkmcnt(0)
	v_mul_f32_e32 v83, v78, v117
	v_fmac_f32_e32 v83, v79, v116
	v_add_f32_e32 v87, v82, v83
	ds_read2_b64 v[82:85], v64 offset0:51 offset1:52
	buffer_load_dword v120, off, s[0:3], 0 offset:168
	buffer_load_dword v121, off, s[0:3], 0 offset:172
	;; [unrolled: 1-line block ×18, first 2 shown]
	v_add_f32_e32 v65, v65, v66
	v_mul_f32_e32 v66, v75, v113
	v_fma_f32 v66, v74, v112, -v66
	v_add_f32_e32 v65, v65, v66
	v_mul_f32_e32 v66, v77, v115
	v_fma_f32 v66, v76, v114, -v66
	;; [unrolled: 3-line block ×3, first 2 shown]
	v_add_f32_e32 v86, v65, v66
	ds_read2_b64 v[66:69], v64 offset0:53 offset1:54
	ds_read2_b64 v[70:73], v64 offset0:55 offset1:56
	;; [unrolled: 1-line block ×3, first 2 shown]
	ds_read_b64 v[78:79], v64 offset:472
	s_waitcnt vmcnt(18)
	v_mul_f32_e32 v65, v81, v119
	v_fma_f32 v88, v80, v118, -v65
	v_mul_f32_e32 v89, v80, v119
	v_fmac_f32_e32 v89, v81, v118
	v_pk_add_f32 v[80:81], v[86:87], v[88:89]
	s_waitcnt vmcnt(16) lgkmcnt(4)
	v_mul_f32_e32 v65, v83, v121
	v_mul_f32_e32 v91, v82, v121
	v_fma_f32 v90, v82, v120, -v65
	s_waitcnt vmcnt(15)
	v_mov_b32_e32 v82, v93
	v_fmac_f32_e32 v91, v83, v120
	v_pk_mul_f32 v[82:83], v[84:85], v[82:83] op_sel_hi:[1,0]
	s_waitcnt vmcnt(14)
	v_pk_fma_f32 v[86:87], v[84:85], v[92:93], v[82:83] op_sel:[0,0,1] op_sel_hi:[1,1,0] neg_lo:[0,0,1] neg_hi:[0,0,1]
	v_pk_fma_f32 v[82:83], v[84:85], v[92:93], v[82:83] op_sel:[0,0,1] op_sel_hi:[1,0,0]
	s_waitcnt vmcnt(13)
	v_mov_b32_e32 v82, v95
	v_mov_b32_e32 v87, v83
	s_waitcnt lgkmcnt(3)
	v_pk_mul_f32 v[82:83], v[66:67], v[82:83] op_sel_hi:[1,0]
	v_pk_add_f32 v[80:81], v[80:81], v[90:91]
	s_waitcnt vmcnt(12)
	v_pk_fma_f32 v[84:85], v[66:67], v[94:95], v[82:83] op_sel:[0,0,1] op_sel_hi:[1,1,0] neg_lo:[0,0,1] neg_hi:[0,0,1]
	v_pk_fma_f32 v[66:67], v[66:67], v[94:95], v[82:83] op_sel:[0,0,1] op_sel_hi:[1,0,0]
	v_pk_add_f32 v[80:81], v[80:81], v[86:87]
	v_mov_b32_e32 v85, v67
	v_pk_add_f32 v[66:67], v[80:81], v[84:85]
	s_waitcnt vmcnt(11)
	v_mov_b32_e32 v80, v97
	v_pk_mul_f32 v[80:81], v[68:69], v[80:81] op_sel_hi:[1,0]
	s_waitcnt vmcnt(10)
	v_pk_fma_f32 v[82:83], v[68:69], v[96:97], v[80:81] op_sel:[0,0,1] op_sel_hi:[1,1,0] neg_lo:[0,0,1] neg_hi:[0,0,1]
	v_pk_fma_f32 v[68:69], v[68:69], v[96:97], v[80:81] op_sel:[0,0,1] op_sel_hi:[1,0,0]
	s_waitcnt vmcnt(9)
	v_mov_b32_e32 v68, v99
	v_mov_b32_e32 v83, v69
	s_waitcnt lgkmcnt(2)
	v_pk_mul_f32 v[68:69], v[70:71], v[68:69] op_sel_hi:[1,0]
	s_waitcnt vmcnt(8)
	v_pk_fma_f32 v[80:81], v[70:71], v[98:99], v[68:69] op_sel:[0,0,1] op_sel_hi:[1,1,0] neg_lo:[0,0,1] neg_hi:[0,0,1]
	v_pk_fma_f32 v[68:69], v[70:71], v[98:99], v[68:69] op_sel:[0,0,1] op_sel_hi:[1,0,0]
	s_waitcnt vmcnt(7)
	v_mov_b32_e32 v68, v101
	v_mov_b32_e32 v81, v69
	v_pk_mul_f32 v[68:69], v[72:73], v[68:69] op_sel_hi:[1,0]
	s_waitcnt vmcnt(6)
	v_pk_fma_f32 v[70:71], v[72:73], v[100:101], v[68:69] op_sel:[0,0,1] op_sel_hi:[1,1,0] neg_lo:[0,0,1] neg_hi:[0,0,1]
	v_pk_fma_f32 v[68:69], v[72:73], v[100:101], v[68:69] op_sel:[0,0,1] op_sel_hi:[1,0,0]
	v_pk_add_f32 v[66:67], v[66:67], v[82:83]
	s_waitcnt vmcnt(5)
	v_mov_b32_e32 v68, v103
	v_pk_add_f32 v[66:67], v[66:67], v[80:81]
	v_mov_b32_e32 v71, v69
	s_waitcnt lgkmcnt(1)
	v_pk_mul_f32 v[68:69], v[74:75], v[68:69] op_sel_hi:[1,0]
	v_pk_add_f32 v[66:67], v[66:67], v[70:71]
	s_waitcnt vmcnt(4)
	v_pk_fma_f32 v[70:71], v[74:75], v[102:103], v[68:69] op_sel:[0,0,1] op_sel_hi:[1,1,0] neg_lo:[0,0,1] neg_hi:[0,0,1]
	v_pk_fma_f32 v[68:69], v[74:75], v[102:103], v[68:69] op_sel:[0,0,1] op_sel_hi:[1,0,0]
	s_waitcnt vmcnt(3)
	v_mov_b32_e32 v68, v105
	v_mov_b32_e32 v71, v69
	v_pk_mul_f32 v[68:69], v[76:77], v[68:69] op_sel_hi:[1,0]
	v_pk_add_f32 v[66:67], v[66:67], v[70:71]
	s_waitcnt vmcnt(2)
	v_pk_fma_f32 v[70:71], v[76:77], v[104:105], v[68:69] op_sel:[0,0,1] op_sel_hi:[1,1,0] neg_lo:[0,0,1] neg_hi:[0,0,1]
	v_pk_fma_f32 v[68:69], v[76:77], v[104:105], v[68:69] op_sel:[0,0,1] op_sel_hi:[1,0,0]
	s_waitcnt vmcnt(1)
	v_mov_b32_e32 v68, v107
	v_mov_b32_e32 v71, v69
	s_waitcnt lgkmcnt(0)
	v_pk_mul_f32 v[68:69], v[78:79], v[68:69] op_sel_hi:[1,0]
	v_pk_add_f32 v[66:67], v[66:67], v[70:71]
	s_waitcnt vmcnt(0)
	v_pk_fma_f32 v[70:71], v[78:79], v[106:107], v[68:69] op_sel:[0,0,1] op_sel_hi:[1,1,0] neg_lo:[0,0,1] neg_hi:[0,0,1]
	v_pk_fma_f32 v[68:69], v[78:79], v[106:107], v[68:69] op_sel:[0,0,1] op_sel_hi:[1,0,0]
	v_mov_b32_e32 v71, v69
	v_pk_add_f32 v[66:67], v[66:67], v[70:71]
	v_pk_add_f32 v[62:63], v[62:63], v[66:67] neg_lo:[0,1] neg_hi:[0,1]
	buffer_store_dword v63, off, s[0:3], 0 offset:100
	buffer_store_dword v62, off, s[0:3], 0 offset:96
	s_and_saveexec_b64 s[4:5], vcc
	s_cbranch_execz .LBB93_171
; %bb.170:
	buffer_load_dword v62, off, s[0:3], 0 offset:88
	buffer_load_dword v63, off, s[0:3], 0 offset:92
	s_waitcnt vmcnt(0)
	ds_write_b64 v1, v[62:63]
	buffer_store_dword v64, off, s[0:3], 0 offset:88
	buffer_store_dword v64, off, s[0:3], 0 offset:92
.LBB93_171:
	s_or_b64 exec, exec, s[4:5]
	s_waitcnt lgkmcnt(0)
	; wave barrier
	s_waitcnt lgkmcnt(0)
	buffer_load_dword v62, off, s[0:3], 0 offset:100
	buffer_load_dword v63, off, s[0:3], 0 offset:108
	;; [unrolled: 1-line block ×22, first 2 shown]
	ds_read_b128 v[66:69], v64 offset:336
	ds_read_b128 v[70:73], v64 offset:352
	buffer_load_dword v93, off, s[0:3], 0 offset:180
	buffer_load_dword v92, off, s[0:3], 0 offset:176
	;; [unrolled: 1-line block ×10, first 2 shown]
	ds_read_b128 v[74:77], v64 offset:368
	ds_read_b128 v[78:81], v64 offset:384
	;; [unrolled: 1-line block ×4, first 2 shown]
	buffer_load_dword v103, off, s[0:3], 0 offset:236
	buffer_load_dword v102, off, s[0:3], 0 offset:232
	;; [unrolled: 1-line block ×6, first 2 shown]
	v_cmp_lt_u32_e32 vcc, 10, v0
	s_waitcnt vmcnt(37) lgkmcnt(5)
	v_mul_f32_e32 v127, v66, v62
	s_waitcnt vmcnt(36)
	v_mul_f32_e32 v128, v68, v63
	v_mul_f32_e32 v62, v67, v62
	;; [unrolled: 1-line block ×3, first 2 shown]
	s_waitcnt vmcnt(35) lgkmcnt(4)
	v_mul_f32_e32 v129, v70, v65
	s_waitcnt vmcnt(34)
	v_mul_f32_e32 v130, v72, v108
	s_waitcnt vmcnt(33) lgkmcnt(3)
	v_mul_f32_e32 v131, v74, v110
	s_waitcnt vmcnt(32)
	v_mul_f32_e32 v132, v76, v112
	v_mul_f32_e32 v65, v71, v65
	s_waitcnt vmcnt(31) lgkmcnt(2)
	v_mul_f32_e32 v133, v78, v113
	s_waitcnt vmcnt(27)
	v_fmac_f32_e32 v127, v67, v117
	s_waitcnt vmcnt(26)
	v_fmac_f32_e32 v128, v69, v118
	v_fma_f32 v62, v66, v117, -v62
	v_fma_f32 v63, v68, v118, -v63
	v_add_f32_e32 v68, 0, v127
	s_waitcnt vmcnt(25)
	v_fmac_f32_e32 v129, v71, v119
	v_add_f32_e32 v62, 0, v62
	v_add_f32_e32 v68, v68, v128
	s_waitcnt vmcnt(24)
	v_fmac_f32_e32 v130, v73, v120
	v_add_f32_e32 v62, v62, v63
	;; [unrolled: 4-line block ×3, first 2 shown]
	v_mul_f32_e32 v108, v73, v108
	s_waitcnt vmcnt(22)
	v_fmac_f32_e32 v132, v77, v122
	v_fma_f32 v65, v70, v119, -v65
	v_add_f32_e32 v63, v63, v131
	v_mul_f32_e32 v134, v80, v114
	v_mul_f32_e32 v110, v75, v110
	s_waitcnt vmcnt(21)
	v_fmac_f32_e32 v133, v79, v123
	v_fma_f32 v66, v72, v120, -v108
	v_add_f32_e32 v62, v62, v65
	v_add_f32_e32 v63, v63, v132
	v_mul_f32_e32 v112, v77, v112
	s_waitcnt vmcnt(20)
	v_fmac_f32_e32 v134, v81, v124
	v_fma_f32 v67, v74, v121, -v110
	v_add_f32_e32 v62, v62, v66
	v_add_f32_e32 v63, v63, v133
	;; [unrolled: 1-line block ×4, first 2 shown]
	v_fma_f32 v63, v76, v122, -v112
	v_add_f32_e32 v62, v62, v63
	v_mul_f32_e32 v63, v79, v113
	v_fma_f32 v63, v78, v123, -v63
	v_add_f32_e32 v62, v62, v63
	v_mul_f32_e32 v63, v81, v114
	v_fma_f32 v63, v80, v124, -v63
	s_waitcnt vmcnt(15)
	v_mov_b32_e32 v76, v93
	s_waitcnt lgkmcnt(1)
	v_mul_f32_e32 v109, v82, v115
	v_add_f32_e32 v74, v62, v63
	v_mul_f32_e32 v62, v83, v115
	s_waitcnt lgkmcnt(0)
	v_pk_mul_f32 v[76:77], v[86:87], v[76:77] op_sel_hi:[1,0]
	v_mul_f32_e32 v111, v84, v116
	v_fmac_f32_e32 v109, v83, v125
	v_fma_f32 v108, v82, v125, -v62
	v_mul_f32_e32 v62, v85, v116
	s_waitcnt vmcnt(14)
	v_pk_fma_f32 v[78:79], v[86:87], v[92:93], v[76:77] op_sel:[0,0,1] op_sel_hi:[1,1,0] neg_lo:[0,0,1] neg_hi:[0,0,1]
	v_pk_fma_f32 v[76:77], v[86:87], v[92:93], v[76:77] op_sel:[0,0,1] op_sel_hi:[1,0,0]
	v_fmac_f32_e32 v111, v85, v126
	v_fma_f32 v110, v84, v126, -v62
	v_pk_add_f32 v[74:75], v[74:75], v[108:109]
	s_waitcnt vmcnt(13)
	v_mov_b32_e32 v76, v95
	ds_read_b128 v[66:69], v64 offset:432
	ds_read_b128 v[70:73], v64 offset:448
	;; [unrolled: 1-line block ×3, first 2 shown]
	v_pk_add_f32 v[74:75], v[74:75], v[110:111]
	v_mov_b32_e32 v79, v77
	v_pk_mul_f32 v[76:77], v[88:89], v[76:77] op_sel_hi:[1,0]
	v_pk_add_f32 v[74:75], v[74:75], v[78:79]
	s_waitcnt vmcnt(6)
	v_pk_fma_f32 v[78:79], v[88:89], v[94:95], v[76:77] op_sel:[0,0,1] op_sel_hi:[1,1,0] neg_lo:[0,0,1] neg_hi:[0,0,1]
	v_pk_fma_f32 v[76:77], v[88:89], v[94:95], v[76:77] op_sel:[0,0,1] op_sel_hi:[1,0,0]
	v_mov_b32_e32 v76, v101
	v_mov_b32_e32 v79, v77
	s_waitcnt lgkmcnt(2)
	v_pk_mul_f32 v[76:77], v[66:67], v[76:77] op_sel_hi:[1,0]
	v_pk_add_f32 v[74:75], v[74:75], v[78:79]
	v_pk_fma_f32 v[78:79], v[66:67], v[100:101], v[76:77] op_sel:[0,0,1] op_sel_hi:[1,1,0] neg_lo:[0,0,1] neg_hi:[0,0,1]
	v_pk_fma_f32 v[66:67], v[66:67], v[100:101], v[76:77] op_sel:[0,0,1] op_sel_hi:[1,0,0]
	v_mov_b32_e32 v79, v67
	v_pk_add_f32 v[66:67], v[74:75], v[78:79]
	v_mov_b32_e32 v74, v99
	v_pk_mul_f32 v[74:75], v[68:69], v[74:75] op_sel_hi:[1,0]
	v_pk_fma_f32 v[76:77], v[68:69], v[98:99], v[74:75] op_sel:[0,0,1] op_sel_hi:[1,1,0] neg_lo:[0,0,1] neg_hi:[0,0,1]
	v_pk_fma_f32 v[68:69], v[68:69], v[98:99], v[74:75] op_sel:[0,0,1] op_sel_hi:[1,0,0]
	v_mov_b32_e32 v68, v97
	v_mov_b32_e32 v77, v69
	s_waitcnt lgkmcnt(1)
	v_pk_mul_f32 v[68:69], v[70:71], v[68:69] op_sel_hi:[1,0]
	v_pk_fma_f32 v[74:75], v[70:71], v[96:97], v[68:69] op_sel:[0,0,1] op_sel_hi:[1,1,0] neg_lo:[0,0,1] neg_hi:[0,0,1]
	v_pk_fma_f32 v[68:69], v[70:71], v[96:97], v[68:69] op_sel:[0,0,1] op_sel_hi:[1,0,0]
	s_waitcnt vmcnt(1)
	v_mov_b32_e32 v68, v107
	v_mov_b32_e32 v75, v69
	v_pk_mul_f32 v[68:69], v[72:73], v[68:69] op_sel_hi:[1,0]
	s_waitcnt vmcnt(0)
	v_pk_fma_f32 v[70:71], v[72:73], v[106:107], v[68:69] op_sel:[0,0,1] op_sel_hi:[1,1,0] neg_lo:[0,0,1] neg_hi:[0,0,1]
	v_pk_fma_f32 v[68:69], v[72:73], v[106:107], v[68:69] op_sel:[0,0,1] op_sel_hi:[1,0,0]
	v_pk_add_f32 v[66:67], v[66:67], v[76:77]
	v_mov_b32_e32 v68, v105
	v_pk_add_f32 v[66:67], v[66:67], v[74:75]
	v_mov_b32_e32 v71, v69
	s_waitcnt lgkmcnt(0)
	v_pk_mul_f32 v[68:69], v[62:63], v[68:69] op_sel_hi:[1,0]
	v_pk_add_f32 v[66:67], v[66:67], v[70:71]
	v_pk_fma_f32 v[70:71], v[62:63], v[104:105], v[68:69] op_sel:[0,0,1] op_sel_hi:[1,1,0] neg_lo:[0,0,1] neg_hi:[0,0,1]
	v_pk_fma_f32 v[62:63], v[62:63], v[104:105], v[68:69] op_sel:[0,0,1] op_sel_hi:[1,0,0]
	v_mov_b32_e32 v71, v63
	v_pk_add_f32 v[62:63], v[66:67], v[70:71]
	v_mov_b32_e32 v66, v103
	v_pk_mul_f32 v[66:67], v[64:65], v[66:67] op_sel_hi:[1,0]
	v_pk_fma_f32 v[68:69], v[64:65], v[102:103], v[66:67] op_sel:[0,0,1] op_sel_hi:[1,1,0] neg_lo:[0,0,1] neg_hi:[0,0,1]
	v_pk_fma_f32 v[64:65], v[64:65], v[102:103], v[66:67] op_sel:[0,0,1] op_sel_hi:[1,0,0]
	v_mov_b32_e32 v69, v65
	v_pk_add_f32 v[62:63], v[62:63], v[68:69]
	v_pk_add_f32 v[62:63], v[90:91], v[62:63] neg_lo:[0,1] neg_hi:[0,1]
	buffer_store_dword v63, off, s[0:3], 0 offset:92
	buffer_store_dword v62, off, s[0:3], 0 offset:88
	s_and_saveexec_b64 s[4:5], vcc
	s_cbranch_execz .LBB93_173
; %bb.172:
	buffer_load_dword v62, off, s[0:3], 0 offset:80
	buffer_load_dword v63, off, s[0:3], 0 offset:84
	v_mov_b32_e32 v64, 0
	buffer_store_dword v64, off, s[0:3], 0 offset:80
	buffer_store_dword v64, off, s[0:3], 0 offset:84
	s_waitcnt vmcnt(2)
	ds_write_b64 v1, v[62:63]
.LBB93_173:
	s_or_b64 exec, exec, s[4:5]
	s_waitcnt lgkmcnt(0)
	; wave barrier
	s_waitcnt lgkmcnt(0)
	buffer_load_dword v63, off, s[0:3], 0 offset:92
	buffer_load_dword v106, off, s[0:3], 0 offset:100
	;; [unrolled: 1-line block ×40, first 2 shown]
	v_mov_b32_e32 v62, 0
	ds_read2_b64 v[64:67], v62 offset0:41 offset1:42
	ds_read2_b64 v[68:71], v62 offset0:43 offset1:44
	;; [unrolled: 1-line block ×6, first 2 shown]
	v_cmp_lt_u32_e32 vcc, 9, v0
	s_waitcnt vmcnt(39) lgkmcnt(5)
	v_mul_f32_e32 v129, v64, v63
	s_waitcnt vmcnt(38)
	v_mul_f32_e32 v130, v66, v106
	v_mul_f32_e32 v63, v65, v63
	s_waitcnt vmcnt(37) lgkmcnt(4)
	v_mul_f32_e32 v131, v68, v108
	v_mul_f32_e32 v106, v67, v106
	s_waitcnt vmcnt(36)
	v_mul_f32_e32 v132, v70, v110
	s_waitcnt vmcnt(35) lgkmcnt(3)
	v_mul_f32_e32 v133, v72, v112
	s_waitcnt vmcnt(34)
	v_mul_f32_e32 v134, v74, v113
	s_waitcnt vmcnt(33) lgkmcnt(2)
	;; [unrolled: 4-line block ×3, first 2 shown]
	v_mul_f32_e32 v137, v80, v116
	s_waitcnt vmcnt(28)
	v_fmac_f32_e32 v129, v65, v111
	s_waitcnt vmcnt(27)
	v_fmac_f32_e32 v130, v67, v119
	v_fma_f32 v63, v64, v111, -v63
	v_add_f32_e32 v67, 0, v129
	s_waitcnt vmcnt(26)
	v_fmac_f32_e32 v131, v69, v120
	v_fma_f32 v64, v66, v119, -v106
	v_add_f32_e32 v63, 0, v63
	v_add_f32_e32 v67, v67, v130
	s_waitcnt vmcnt(25)
	v_fmac_f32_e32 v132, v71, v121
	v_add_f32_e32 v63, v63, v64
	v_add_f32_e32 v64, v67, v131
	s_waitcnt vmcnt(24)
	v_fmac_f32_e32 v133, v73, v122
	v_add_f32_e32 v64, v64, v132
	s_waitcnt vmcnt(23)
	v_fmac_f32_e32 v134, v75, v123
	;; [unrolled: 3-line block ×3, first 2 shown]
	v_add_f32_e32 v64, v64, v134
	v_mul_f32_e32 v108, v69, v108
	s_waitcnt vmcnt(21)
	v_fmac_f32_e32 v136, v79, v125
	v_add_f32_e32 v64, v64, v135
	v_mul_f32_e32 v110, v71, v110
	s_waitcnt vmcnt(20)
	v_fmac_f32_e32 v137, v81, v126
	v_fma_f32 v65, v68, v120, -v108
	v_add_f32_e32 v64, v64, v136
	v_fma_f32 v66, v70, v121, -v110
	v_add_f32_e32 v63, v63, v65
	v_add_f32_e32 v111, v64, v137
	v_mul_f32_e32 v64, v73, v112
	v_add_f32_e32 v63, v63, v66
	v_fma_f32 v64, v72, v122, -v64
	v_add_f32_e32 v63, v63, v64
	v_mul_f32_e32 v64, v75, v113
	v_fma_f32 v64, v74, v123, -v64
	v_add_f32_e32 v63, v63, v64
	v_mul_f32_e32 v64, v77, v114
	;; [unrolled: 3-line block ×4, first 2 shown]
	v_fma_f32 v64, v80, v126, -v64
	s_waitcnt vmcnt(9)
	v_mov_b32_e32 v80, v97
	v_mul_f32_e32 v107, v82, v117
	v_add_f32_e32 v110, v63, v64
	v_mul_f32_e32 v63, v83, v117
	s_waitcnt lgkmcnt(0)
	v_pk_mul_f32 v[80:81], v[86:87], v[80:81] op_sel_hi:[1,0]
	v_mul_f32_e32 v109, v84, v118
	v_fmac_f32_e32 v107, v83, v127
	v_fma_f32 v106, v82, v127, -v63
	v_mul_f32_e32 v63, v85, v118
	ds_read2_b64 v[64:67], v62 offset0:53 offset1:54
	ds_read2_b64 v[68:71], v62 offset0:55 offset1:56
	;; [unrolled: 1-line block ×3, first 2 shown]
	ds_read_b64 v[76:77], v62 offset:472
	s_waitcnt vmcnt(8)
	v_pk_fma_f32 v[82:83], v[86:87], v[96:97], v[80:81] op_sel:[0,0,1] op_sel_hi:[1,1,0] neg_lo:[0,0,1] neg_hi:[0,0,1]
	v_pk_fma_f32 v[80:81], v[86:87], v[96:97], v[80:81] op_sel:[0,0,1] op_sel_hi:[1,0,0]
	v_fmac_f32_e32 v109, v85, v128
	v_fma_f32 v108, v84, v128, -v63
	v_pk_add_f32 v[78:79], v[110:111], v[106:107]
	v_mov_b32_e32 v80, v95
	v_pk_add_f32 v[78:79], v[78:79], v[108:109]
	v_mov_b32_e32 v83, v81
	s_waitcnt lgkmcnt(3)
	v_pk_mul_f32 v[80:81], v[64:65], v[80:81] op_sel_hi:[1,0]
	v_pk_add_f32 v[78:79], v[78:79], v[82:83]
	v_pk_fma_f32 v[82:83], v[64:65], v[94:95], v[80:81] op_sel:[0,0,1] op_sel_hi:[1,1,0] neg_lo:[0,0,1] neg_hi:[0,0,1]
	v_pk_fma_f32 v[64:65], v[64:65], v[94:95], v[80:81] op_sel:[0,0,1] op_sel_hi:[1,0,0]
	v_mov_b32_e32 v83, v65
	v_pk_add_f32 v[64:65], v[78:79], v[82:83]
	v_mov_b32_e32 v78, v93
	v_pk_mul_f32 v[78:79], v[66:67], v[78:79] op_sel_hi:[1,0]
	v_pk_fma_f32 v[80:81], v[66:67], v[92:93], v[78:79] op_sel:[0,0,1] op_sel_hi:[1,1,0] neg_lo:[0,0,1] neg_hi:[0,0,1]
	v_pk_fma_f32 v[66:67], v[66:67], v[92:93], v[78:79] op_sel:[0,0,1] op_sel_hi:[1,0,0]
	v_mov_b32_e32 v66, v91
	v_mov_b32_e32 v81, v67
	s_waitcnt lgkmcnt(2)
	v_pk_mul_f32 v[66:67], v[68:69], v[66:67] op_sel_hi:[1,0]
	v_pk_fma_f32 v[78:79], v[68:69], v[90:91], v[66:67] op_sel:[0,0,1] op_sel_hi:[1,1,0] neg_lo:[0,0,1] neg_hi:[0,0,1]
	v_pk_fma_f32 v[66:67], v[68:69], v[90:91], v[66:67] op_sel:[0,0,1] op_sel_hi:[1,0,0]
	s_waitcnt vmcnt(1)
	v_mov_b32_e32 v66, v105
	v_mov_b32_e32 v79, v67
	v_pk_mul_f32 v[66:67], v[70:71], v[66:67] op_sel_hi:[1,0]
	s_waitcnt vmcnt(0)
	v_pk_fma_f32 v[68:69], v[70:71], v[104:105], v[66:67] op_sel:[0,0,1] op_sel_hi:[1,1,0] neg_lo:[0,0,1] neg_hi:[0,0,1]
	v_pk_fma_f32 v[66:67], v[70:71], v[104:105], v[66:67] op_sel:[0,0,1] op_sel_hi:[1,0,0]
	v_pk_add_f32 v[64:65], v[64:65], v[80:81]
	v_mov_b32_e32 v66, v103
	v_pk_add_f32 v[64:65], v[64:65], v[78:79]
	v_mov_b32_e32 v69, v67
	s_waitcnt lgkmcnt(1)
	v_pk_mul_f32 v[66:67], v[72:73], v[66:67] op_sel_hi:[1,0]
	v_pk_add_f32 v[64:65], v[64:65], v[68:69]
	v_pk_fma_f32 v[68:69], v[72:73], v[102:103], v[66:67] op_sel:[0,0,1] op_sel_hi:[1,1,0] neg_lo:[0,0,1] neg_hi:[0,0,1]
	v_pk_fma_f32 v[66:67], v[72:73], v[102:103], v[66:67] op_sel:[0,0,1] op_sel_hi:[1,0,0]
	v_mov_b32_e32 v66, v101
	v_mov_b32_e32 v69, v67
	v_pk_mul_f32 v[66:67], v[74:75], v[66:67] op_sel_hi:[1,0]
	v_pk_add_f32 v[64:65], v[64:65], v[68:69]
	v_pk_fma_f32 v[68:69], v[74:75], v[100:101], v[66:67] op_sel:[0,0,1] op_sel_hi:[1,1,0] neg_lo:[0,0,1] neg_hi:[0,0,1]
	v_pk_fma_f32 v[66:67], v[74:75], v[100:101], v[66:67] op_sel:[0,0,1] op_sel_hi:[1,0,0]
	v_mov_b32_e32 v66, v99
	v_mov_b32_e32 v69, v67
	s_waitcnt lgkmcnt(0)
	v_pk_mul_f32 v[66:67], v[76:77], v[66:67] op_sel_hi:[1,0]
	v_pk_add_f32 v[64:65], v[64:65], v[68:69]
	v_pk_fma_f32 v[68:69], v[76:77], v[98:99], v[66:67] op_sel:[0,0,1] op_sel_hi:[1,1,0] neg_lo:[0,0,1] neg_hi:[0,0,1]
	v_pk_fma_f32 v[66:67], v[76:77], v[98:99], v[66:67] op_sel:[0,0,1] op_sel_hi:[1,0,0]
	v_mov_b32_e32 v69, v67
	v_pk_add_f32 v[64:65], v[64:65], v[68:69]
	v_pk_add_f32 v[64:65], v[88:89], v[64:65] neg_lo:[0,1] neg_hi:[0,1]
	buffer_store_dword v65, off, s[0:3], 0 offset:84
	buffer_store_dword v64, off, s[0:3], 0 offset:80
	s_and_saveexec_b64 s[4:5], vcc
	s_cbranch_execz .LBB93_175
; %bb.174:
	buffer_load_dword v64, off, s[0:3], 0 offset:72
	buffer_load_dword v65, off, s[0:3], 0 offset:76
	s_waitcnt vmcnt(0)
	ds_write_b64 v1, v[64:65]
	buffer_store_dword v62, off, s[0:3], 0 offset:72
	buffer_store_dword v62, off, s[0:3], 0 offset:76
.LBB93_175:
	s_or_b64 exec, exec, s[4:5]
	s_waitcnt lgkmcnt(0)
	; wave barrier
	s_waitcnt lgkmcnt(0)
	buffer_load_dword v63, off, s[0:3], 0 offset:84
	buffer_load_dword v106, off, s[0:3], 0 offset:92
	;; [unrolled: 1-line block ×26, first 2 shown]
	ds_read_b128 v[64:67], v62 offset:320
	ds_read_b128 v[68:71], v62 offset:336
	;; [unrolled: 1-line block ×6, first 2 shown]
	buffer_load_dword v91, off, s[0:3], 0 offset:196
	buffer_load_dword v90, off, s[0:3], 0 offset:192
	;; [unrolled: 1-line block ×16, first 2 shown]
	v_cmp_lt_u32_e32 vcc, 8, v0
	s_waitcnt vmcnt(41) lgkmcnt(5)
	v_mul_f32_e32 v131, v64, v63
	s_waitcnt vmcnt(40)
	v_mul_f32_e32 v132, v66, v106
	v_mul_f32_e32 v63, v65, v63
	;; [unrolled: 1-line block ×3, first 2 shown]
	s_waitcnt vmcnt(39) lgkmcnt(4)
	v_mul_f32_e32 v133, v68, v108
	s_waitcnt vmcnt(38)
	v_mul_f32_e32 v134, v70, v110
	s_waitcnt vmcnt(37) lgkmcnt(3)
	v_mul_f32_e32 v135, v72, v112
	s_waitcnt vmcnt(36)
	v_mul_f32_e32 v136, v74, v113
	;; [unrolled: 4-line block ×4, first 2 shown]
	s_waitcnt vmcnt(29)
	v_fmac_f32_e32 v131, v65, v111
	s_waitcnt vmcnt(28)
	v_fmac_f32_e32 v132, v67, v120
	v_fma_f32 v63, v64, v111, -v63
	v_fma_f32 v64, v66, v120, -v106
	v_add_f32_e32 v66, 0, v131
	s_waitcnt vmcnt(27)
	v_fmac_f32_e32 v133, v69, v121
	v_add_f32_e32 v63, 0, v63
	v_add_f32_e32 v66, v66, v132
	s_waitcnt vmcnt(26)
	v_fmac_f32_e32 v134, v71, v122
	v_add_f32_e32 v63, v63, v64
	;; [unrolled: 4-line block ×3, first 2 shown]
	s_waitcnt vmcnt(24)
	v_fmac_f32_e32 v136, v75, v124
	v_add_f32_e32 v64, v64, v135
	s_waitcnt vmcnt(23)
	v_fmac_f32_e32 v137, v77, v125
	v_add_f32_e32 v64, v64, v136
	;; [unrolled: 3-line block ×4, first 2 shown]
	v_mul_f32_e32 v108, v69, v108
	s_waitcnt vmcnt(20)
	v_fmac_f32_e32 v140, v83, v128
	v_add_f32_e32 v64, v64, v139
	v_fma_f32 v65, v68, v121, -v108
	v_add_f32_e32 v111, v64, v140
	v_mul_f32_e32 v64, v71, v110
	v_add_f32_e32 v63, v63, v65
	v_fma_f32 v64, v70, v122, -v64
	v_add_f32_e32 v63, v63, v64
	v_mul_f32_e32 v64, v73, v112
	v_fma_f32 v64, v72, v123, -v64
	v_add_f32_e32 v63, v63, v64
	v_mul_f32_e32 v64, v75, v113
	;; [unrolled: 3-line block ×6, first 2 shown]
	v_fma_f32 v64, v82, v128, -v64
	v_add_f32_e32 v110, v63, v64
	ds_read_b128 v[64:67], v62 offset:416
	ds_read_b128 v[68:71], v62 offset:432
	;; [unrolled: 1-line block ×4, first 2 shown]
	s_waitcnt vmcnt(11)
	v_mov_b32_e32 v80, v95
	s_waitcnt lgkmcnt(3)
	v_pk_mul_f32 v[80:81], v[64:65], v[80:81] op_sel_hi:[1,0]
	s_waitcnt vmcnt(10)
	v_pk_fma_f32 v[82:83], v[64:65], v[94:95], v[80:81] op_sel:[0,0,1] op_sel_hi:[1,1,0] neg_lo:[0,0,1] neg_hi:[0,0,1]
	v_pk_fma_f32 v[64:65], v[64:65], v[94:95], v[80:81] op_sel:[0,0,1] op_sel_hi:[1,0,0]
	v_mov_b32_e32 v64, v93
	v_mov_b32_e32 v83, v65
	v_pk_mul_f32 v[64:65], v[66:67], v[64:65] op_sel_hi:[1,0]
	v_mul_f32_e32 v107, v84, v118
	v_mul_f32_e32 v63, v85, v118
	v_pk_fma_f32 v[80:81], v[66:67], v[92:93], v[64:65] op_sel:[0,0,1] op_sel_hi:[1,1,0] neg_lo:[0,0,1] neg_hi:[0,0,1]
	v_pk_fma_f32 v[64:65], v[66:67], v[92:93], v[64:65] op_sel:[0,0,1] op_sel_hi:[1,0,0]
	v_mul_f32_e32 v109, v86, v119
	v_fmac_f32_e32 v107, v85, v129
	v_fma_f32 v106, v84, v129, -v63
	v_mul_f32_e32 v63, v87, v119
	v_mov_b32_e32 v64, v91
	v_fmac_f32_e32 v109, v87, v130
	v_fma_f32 v108, v86, v130, -v63
	v_pk_add_f32 v[62:63], v[110:111], v[106:107]
	v_mov_b32_e32 v81, v65
	s_waitcnt lgkmcnt(2)
	v_pk_mul_f32 v[64:65], v[68:69], v[64:65] op_sel_hi:[1,0]
	v_pk_add_f32 v[62:63], v[62:63], v[108:109]
	v_pk_fma_f32 v[66:67], v[68:69], v[90:91], v[64:65] op_sel:[0,0,1] op_sel_hi:[1,1,0] neg_lo:[0,0,1] neg_hi:[0,0,1]
	v_pk_fma_f32 v[64:65], v[68:69], v[90:91], v[64:65] op_sel:[0,0,1] op_sel_hi:[1,0,0]
	v_pk_add_f32 v[62:63], v[62:63], v[82:83]
	s_waitcnt vmcnt(3)
	v_mov_b32_e32 v64, v103
	v_pk_add_f32 v[62:63], v[62:63], v[80:81]
	v_mov_b32_e32 v67, v65
	v_pk_mul_f32 v[64:65], v[70:71], v[64:65] op_sel_hi:[1,0]
	v_pk_add_f32 v[62:63], v[62:63], v[66:67]
	s_waitcnt vmcnt(2)
	v_pk_fma_f32 v[66:67], v[70:71], v[102:103], v[64:65] op_sel:[0,0,1] op_sel_hi:[1,1,0] neg_lo:[0,0,1] neg_hi:[0,0,1]
	v_pk_fma_f32 v[64:65], v[70:71], v[102:103], v[64:65] op_sel:[0,0,1] op_sel_hi:[1,0,0]
	v_mov_b32_e32 v64, v101
	v_mov_b32_e32 v67, v65
	s_waitcnt lgkmcnt(1)
	v_pk_mul_f32 v[64:65], v[72:73], v[64:65] op_sel_hi:[1,0]
	v_pk_add_f32 v[62:63], v[62:63], v[66:67]
	v_pk_fma_f32 v[66:67], v[72:73], v[100:101], v[64:65] op_sel:[0,0,1] op_sel_hi:[1,1,0] neg_lo:[0,0,1] neg_hi:[0,0,1]
	v_pk_fma_f32 v[64:65], v[72:73], v[100:101], v[64:65] op_sel:[0,0,1] op_sel_hi:[1,0,0]
	v_mov_b32_e32 v64, v99
	v_mov_b32_e32 v67, v65
	v_pk_mul_f32 v[64:65], v[74:75], v[64:65] op_sel_hi:[1,0]
	v_pk_add_f32 v[62:63], v[62:63], v[66:67]
	v_pk_fma_f32 v[66:67], v[74:75], v[98:99], v[64:65] op_sel:[0,0,1] op_sel_hi:[1,1,0] neg_lo:[0,0,1] neg_hi:[0,0,1]
	v_pk_fma_f32 v[64:65], v[74:75], v[98:99], v[64:65] op_sel:[0,0,1] op_sel_hi:[1,0,0]
	v_mov_b32_e32 v64, v97
	v_mov_b32_e32 v67, v65
	s_waitcnt lgkmcnt(0)
	v_pk_mul_f32 v[64:65], v[76:77], v[64:65] op_sel_hi:[1,0]
	v_pk_add_f32 v[62:63], v[62:63], v[66:67]
	v_pk_fma_f32 v[66:67], v[76:77], v[96:97], v[64:65] op_sel:[0,0,1] op_sel_hi:[1,1,0] neg_lo:[0,0,1] neg_hi:[0,0,1]
	v_pk_fma_f32 v[64:65], v[76:77], v[96:97], v[64:65] op_sel:[0,0,1] op_sel_hi:[1,0,0]
	s_waitcnt vmcnt(1)
	v_mov_b32_e32 v64, v105
	v_mov_b32_e32 v67, v65
	v_pk_mul_f32 v[64:65], v[78:79], v[64:65] op_sel_hi:[1,0]
	v_pk_add_f32 v[62:63], v[62:63], v[66:67]
	s_waitcnt vmcnt(0)
	v_pk_fma_f32 v[66:67], v[78:79], v[104:105], v[64:65] op_sel:[0,0,1] op_sel_hi:[1,1,0] neg_lo:[0,0,1] neg_hi:[0,0,1]
	v_pk_fma_f32 v[64:65], v[78:79], v[104:105], v[64:65] op_sel:[0,0,1] op_sel_hi:[1,0,0]
	v_mov_b32_e32 v67, v65
	v_pk_add_f32 v[62:63], v[62:63], v[66:67]
	v_pk_add_f32 v[62:63], v[88:89], v[62:63] neg_lo:[0,1] neg_hi:[0,1]
	buffer_store_dword v63, off, s[0:3], 0 offset:76
	buffer_store_dword v62, off, s[0:3], 0 offset:72
	s_and_saveexec_b64 s[4:5], vcc
	s_cbranch_execz .LBB93_177
; %bb.176:
	buffer_load_dword v62, off, s[0:3], 0 offset:64
	buffer_load_dword v63, off, s[0:3], 0 offset:68
	v_mov_b32_e32 v64, 0
	buffer_store_dword v64, off, s[0:3], 0 offset:64
	buffer_store_dword v64, off, s[0:3], 0 offset:68
	s_waitcnt vmcnt(2)
	ds_write_b64 v1, v[62:63]
.LBB93_177:
	s_or_b64 exec, exec, s[4:5]
	s_waitcnt lgkmcnt(0)
	; wave barrier
	s_waitcnt lgkmcnt(0)
	buffer_load_dword v63, off, s[0:3], 0 offset:76
	buffer_load_dword v114, off, s[0:3], 0 offset:84
	;; [unrolled: 1-line block ×44, first 2 shown]
	v_mov_b32_e32 v62, 0
	ds_read2_b64 v[64:67], v62 offset0:39 offset1:40
	ds_read2_b64 v[68:71], v62 offset0:41 offset1:42
	;; [unrolled: 1-line block ×8, first 2 shown]
	v_cmp_lt_u32_e32 vcc, 7, v0
	s_waitcnt vmcnt(43) lgkmcnt(7)
	v_mul_f32_e32 v119, v64, v63
	v_mul_f32_e32 v63, v65, v63
	s_waitcnt vmcnt(42)
	v_mul_f32_e32 v142, v66, v114
	s_waitcnt vmcnt(41) lgkmcnt(6)
	v_mul_f32_e32 v143, v68, v116
	s_waitcnt vmcnt(40)
	v_mul_f32_e32 v144, v70, v118
	s_waitcnt vmcnt(39) lgkmcnt(5)
	;; [unrolled: 4-line block ×5, first 2 shown]
	v_mul_f32_e32 v151, v84, v126
	s_waitcnt vmcnt(32)
	v_mul_f32_e32 v115, v86, v127
	s_waitcnt vmcnt(30)
	v_fma_f32 v63, v64, v129, -v63
	v_mul_f32_e32 v64, v67, v114
	v_add_f32_e32 v63, 0, v63
	s_waitcnt vmcnt(29)
	v_fma_f32 v64, v66, v130, -v64
	v_add_f32_e32 v63, v63, v64
	v_mul_f32_e32 v64, v69, v116
	s_waitcnt vmcnt(28)
	v_fma_f32 v64, v68, v131, -v64
	v_add_f32_e32 v63, v63, v64
	v_mul_f32_e32 v64, v71, v118
	;; [unrolled: 4-line block ×4, first 2 shown]
	s_waitcnt vmcnt(25)
	v_fma_f32 v64, v74, v134, -v64
	v_fmac_f32_e32 v119, v65, v129
	v_add_f32_e32 v63, v63, v64
	v_mul_f32_e32 v64, v77, v122
	v_fmac_f32_e32 v142, v67, v130
	v_add_f32_e32 v65, 0, v119
	s_waitcnt vmcnt(24)
	v_fma_f32 v64, v76, v135, -v64
	v_fmac_f32_e32 v143, v69, v131
	v_add_f32_e32 v65, v65, v142
	v_add_f32_e32 v63, v63, v64
	v_mul_f32_e32 v64, v79, v123
	v_fmac_f32_e32 v144, v71, v132
	v_add_f32_e32 v65, v65, v143
	s_waitcnt vmcnt(23)
	v_fma_f32 v64, v78, v136, -v64
	v_fmac_f32_e32 v145, v73, v133
	v_add_f32_e32 v65, v65, v144
	;; [unrolled: 8-line block ×4, first 2 shown]
	v_add_f32_e32 v63, v63, v64
	v_mul_f32_e32 v64, v85, v126
	v_fmac_f32_e32 v150, v83, v138
	v_add_f32_e32 v65, v65, v149
	s_waitcnt vmcnt(20)
	v_fma_f32 v64, v84, v139, -v64
	s_waitcnt vmcnt(13)
	v_mov_b32_e32 v76, v101
	v_fmac_f32_e32 v151, v85, v139
	v_add_f32_e32 v65, v65, v150
	v_add_f32_e32 v118, v63, v64
	v_mul_f32_e32 v63, v87, v127
	s_waitcnt lgkmcnt(1)
	v_pk_mul_f32 v[76:77], v[90:91], v[76:77] op_sel_hi:[1,0]
	v_mul_f32_e32 v117, v88, v128
	v_fmac_f32_e32 v115, v87, v140
	v_add_f32_e32 v119, v65, v151
	v_fma_f32 v114, v86, v140, -v63
	v_mul_f32_e32 v63, v89, v128
	s_waitcnt vmcnt(12)
	v_pk_fma_f32 v[78:79], v[90:91], v[100:101], v[76:77] op_sel:[0,0,1] op_sel_hi:[1,1,0] neg_lo:[0,0,1] neg_hi:[0,0,1]
	v_pk_fma_f32 v[76:77], v[90:91], v[100:101], v[76:77] op_sel:[0,0,1] op_sel_hi:[1,0,0]
	v_fmac_f32_e32 v117, v89, v141
	v_fma_f32 v116, v88, v141, -v63
	v_pk_add_f32 v[74:75], v[118:119], v[114:115]
	v_mov_b32_e32 v76, v99
	v_pk_add_f32 v[74:75], v[74:75], v[116:117]
	v_mov_b32_e32 v79, v77
	s_waitcnt lgkmcnt(0)
	v_pk_mul_f32 v[76:77], v[92:93], v[76:77] op_sel_hi:[1,0]
	v_pk_add_f32 v[74:75], v[74:75], v[78:79]
	v_pk_fma_f32 v[78:79], v[92:93], v[98:99], v[76:77] op_sel:[0,0,1] op_sel_hi:[1,1,0] neg_lo:[0,0,1] neg_hi:[0,0,1]
	v_pk_fma_f32 v[76:77], v[92:93], v[98:99], v[76:77] op_sel:[0,0,1] op_sel_hi:[1,0,0]
	s_waitcnt vmcnt(5)
	v_mov_b32_e32 v76, v109
	ds_read2_b64 v[64:67], v62 offset0:55 offset1:56
	ds_read2_b64 v[68:71], v62 offset0:57 offset1:58
	ds_read_b64 v[72:73], v62 offset:472
	v_mov_b32_e32 v79, v77
	v_pk_mul_f32 v[76:77], v[94:95], v[76:77] op_sel_hi:[1,0]
	v_pk_add_f32 v[74:75], v[74:75], v[78:79]
	s_waitcnt vmcnt(4)
	v_pk_fma_f32 v[78:79], v[94:95], v[108:109], v[76:77] op_sel:[0,0,1] op_sel_hi:[1,1,0] neg_lo:[0,0,1] neg_hi:[0,0,1]
	v_pk_fma_f32 v[76:77], v[94:95], v[108:109], v[76:77] op_sel:[0,0,1] op_sel_hi:[1,0,0]
	v_mov_b32_e32 v76, v107
	v_mov_b32_e32 v79, v77
	s_waitcnt lgkmcnt(2)
	v_pk_mul_f32 v[76:77], v[64:65], v[76:77] op_sel_hi:[1,0]
	v_pk_add_f32 v[74:75], v[74:75], v[78:79]
	v_pk_fma_f32 v[78:79], v[64:65], v[106:107], v[76:77] op_sel:[0,0,1] op_sel_hi:[1,1,0] neg_lo:[0,0,1] neg_hi:[0,0,1]
	v_pk_fma_f32 v[64:65], v[64:65], v[106:107], v[76:77] op_sel:[0,0,1] op_sel_hi:[1,0,0]
	v_mov_b32_e32 v79, v65
	v_pk_add_f32 v[64:65], v[74:75], v[78:79]
	v_mov_b32_e32 v74, v105
	v_pk_mul_f32 v[74:75], v[66:67], v[74:75] op_sel_hi:[1,0]
	v_pk_fma_f32 v[76:77], v[66:67], v[104:105], v[74:75] op_sel:[0,0,1] op_sel_hi:[1,1,0] neg_lo:[0,0,1] neg_hi:[0,0,1]
	v_pk_fma_f32 v[66:67], v[66:67], v[104:105], v[74:75] op_sel:[0,0,1] op_sel_hi:[1,0,0]
	v_mov_b32_e32 v66, v103
	v_mov_b32_e32 v77, v67
	s_waitcnt lgkmcnt(1)
	v_pk_mul_f32 v[66:67], v[68:69], v[66:67] op_sel_hi:[1,0]
	v_pk_fma_f32 v[74:75], v[68:69], v[102:103], v[66:67] op_sel:[0,0,1] op_sel_hi:[1,1,0] neg_lo:[0,0,1] neg_hi:[0,0,1]
	v_pk_fma_f32 v[66:67], v[68:69], v[102:103], v[66:67] op_sel:[0,0,1] op_sel_hi:[1,0,0]
	s_waitcnt vmcnt(1)
	v_mov_b32_e32 v66, v113
	v_mov_b32_e32 v75, v67
	v_pk_mul_f32 v[66:67], v[70:71], v[66:67] op_sel_hi:[1,0]
	s_waitcnt vmcnt(0)
	v_pk_fma_f32 v[68:69], v[70:71], v[112:113], v[66:67] op_sel:[0,0,1] op_sel_hi:[1,1,0] neg_lo:[0,0,1] neg_hi:[0,0,1]
	v_pk_fma_f32 v[66:67], v[70:71], v[112:113], v[66:67] op_sel:[0,0,1] op_sel_hi:[1,0,0]
	v_pk_add_f32 v[64:65], v[64:65], v[76:77]
	v_mov_b32_e32 v66, v111
	v_pk_add_f32 v[64:65], v[64:65], v[74:75]
	v_mov_b32_e32 v69, v67
	s_waitcnt lgkmcnt(0)
	v_pk_mul_f32 v[66:67], v[72:73], v[66:67] op_sel_hi:[1,0]
	v_pk_add_f32 v[64:65], v[64:65], v[68:69]
	v_pk_fma_f32 v[68:69], v[72:73], v[110:111], v[66:67] op_sel:[0,0,1] op_sel_hi:[1,1,0] neg_lo:[0,0,1] neg_hi:[0,0,1]
	v_pk_fma_f32 v[66:67], v[72:73], v[110:111], v[66:67] op_sel:[0,0,1] op_sel_hi:[1,0,0]
	v_mov_b32_e32 v69, v67
	v_pk_add_f32 v[64:65], v[64:65], v[68:69]
	v_pk_add_f32 v[64:65], v[96:97], v[64:65] neg_lo:[0,1] neg_hi:[0,1]
	buffer_store_dword v65, off, s[0:3], 0 offset:68
	buffer_store_dword v64, off, s[0:3], 0 offset:64
	s_and_saveexec_b64 s[4:5], vcc
	s_cbranch_execz .LBB93_179
; %bb.178:
	buffer_load_dword v64, off, s[0:3], 0 offset:56
	buffer_load_dword v65, off, s[0:3], 0 offset:60
	s_waitcnt vmcnt(0)
	ds_write_b64 v1, v[64:65]
	buffer_store_dword v62, off, s[0:3], 0 offset:56
	buffer_store_dword v62, off, s[0:3], 0 offset:60
.LBB93_179:
	s_or_b64 exec, exec, s[4:5]
	s_waitcnt lgkmcnt(0)
	; wave barrier
	s_waitcnt lgkmcnt(0)
	buffer_load_dword v63, off, s[0:3], 0 offset:68
	buffer_load_dword v114, off, s[0:3], 0 offset:76
	;; [unrolled: 1-line block ×30, first 2 shown]
	ds_read_b128 v[64:67], v62 offset:304
	ds_read_b128 v[68:71], v62 offset:320
	;; [unrolled: 1-line block ×6, first 2 shown]
	buffer_load_dword v99, off, s[0:3], 0 offset:180
	buffer_load_dword v98, off, s[0:3], 0 offset:176
	ds_read_b128 v[88:91], v62 offset:400
	ds_read_b128 v[92:95], v62 offset:416
	buffer_load_dword v101, off, s[0:3], 0 offset:212
	buffer_load_dword v100, off, s[0:3], 0 offset:208
	;; [unrolled: 1-line block ×14, first 2 shown]
	v_cmp_lt_u32_e32 vcc, 6, v0
	s_waitcnt vmcnt(45) lgkmcnt(7)
	v_mul_f32_e32 v117, v64, v63
	v_mul_f32_e32 v63, v65, v63
	s_waitcnt vmcnt(44)
	v_mul_f32_e32 v119, v66, v114
	s_waitcnt vmcnt(43) lgkmcnt(6)
	v_mul_f32_e32 v144, v68, v116
	s_waitcnt vmcnt(42)
	v_mul_f32_e32 v145, v70, v118
	s_waitcnt vmcnt(41) lgkmcnt(5)
	;; [unrolled: 4-line block ×5, first 2 shown]
	v_mul_f32_e32 v152, v84, v126
	s_waitcnt vmcnt(34)
	v_mul_f32_e32 v153, v86, v127
	s_waitcnt vmcnt(32)
	v_fma_f32 v63, v64, v129, -v63
	v_mul_f32_e32 v64, v67, v114
	v_add_f32_e32 v63, 0, v63
	s_waitcnt vmcnt(31)
	v_fma_f32 v64, v66, v130, -v64
	v_add_f32_e32 v63, v63, v64
	v_mul_f32_e32 v64, v69, v116
	s_waitcnt vmcnt(30)
	v_fma_f32 v64, v68, v131, -v64
	v_add_f32_e32 v63, v63, v64
	v_mul_f32_e32 v64, v71, v118
	;; [unrolled: 4-line block ×5, first 2 shown]
	v_fmac_f32_e32 v117, v65, v129
	s_waitcnt vmcnt(26)
	v_fma_f32 v64, v76, v135, -v64
	v_fmac_f32_e32 v119, v67, v130
	v_add_f32_e32 v117, 0, v117
	v_add_f32_e32 v63, v63, v64
	v_mul_f32_e32 v64, v79, v123
	v_fmac_f32_e32 v144, v69, v131
	v_add_f32_e32 v117, v117, v119
	s_waitcnt vmcnt(25)
	v_fma_f32 v64, v78, v136, -v64
	v_fmac_f32_e32 v145, v71, v132
	v_add_f32_e32 v117, v117, v144
	v_add_f32_e32 v63, v63, v64
	v_mul_f32_e32 v64, v81, v124
	v_fmac_f32_e32 v146, v73, v133
	v_add_f32_e32 v117, v117, v145
	s_waitcnt vmcnt(24)
	v_fma_f32 v64, v80, v137, -v64
	v_fmac_f32_e32 v147, v75, v134
	v_add_f32_e32 v117, v117, v146
	v_add_f32_e32 v63, v63, v64
	v_mul_f32_e32 v64, v83, v125
	v_fmac_f32_e32 v148, v77, v135
	v_add_f32_e32 v117, v117, v147
	s_waitcnt vmcnt(23)
	v_fma_f32 v64, v82, v138, -v64
	v_fmac_f32_e32 v149, v79, v136
	v_add_f32_e32 v117, v117, v148
	v_add_f32_e32 v63, v63, v64
	v_mul_f32_e32 v64, v85, v126
	v_fmac_f32_e32 v150, v81, v137
	v_add_f32_e32 v117, v117, v149
	s_waitcnt vmcnt(22)
	v_fma_f32 v64, v84, v139, -v64
	v_fmac_f32_e32 v151, v83, v138
	v_add_f32_e32 v117, v117, v150
	v_add_f32_e32 v63, v63, v64
	v_mul_f32_e32 v64, v87, v127
	v_fmac_f32_e32 v152, v85, v139
	v_add_f32_e32 v117, v117, v151
	s_waitcnt vmcnt(21)
	v_fma_f32 v64, v86, v140, -v64
	s_waitcnt vmcnt(15)
	v_mov_b32_e32 v76, v99
	s_waitcnt lgkmcnt(1)
	v_mul_f32_e32 v115, v88, v128
	v_fmac_f32_e32 v153, v87, v140
	v_add_f32_e32 v117, v117, v152
	v_add_f32_e32 v116, v63, v64
	v_mul_f32_e32 v63, v89, v128
	s_waitcnt lgkmcnt(0)
	v_pk_mul_f32 v[76:77], v[92:93], v[76:77] op_sel_hi:[1,0]
	v_fmac_f32_e32 v115, v89, v141
	v_add_f32_e32 v117, v117, v153
	v_mul_f32_e32 v119, v90, v142
	v_fma_f32 v114, v88, v141, -v63
	v_mul_f32_e32 v63, v91, v142
	s_waitcnt vmcnt(14)
	v_pk_fma_f32 v[78:79], v[92:93], v[98:99], v[76:77] op_sel:[0,0,1] op_sel_hi:[1,1,0] neg_lo:[0,0,1] neg_hi:[0,0,1]
	v_pk_fma_f32 v[76:77], v[92:93], v[98:99], v[76:77] op_sel:[0,0,1] op_sel_hi:[1,0,0]
	v_fmac_f32_e32 v119, v91, v143
	v_fma_f32 v118, v90, v143, -v63
	ds_read_b128 v[64:67], v62 offset:432
	ds_read_b128 v[68:71], v62 offset:448
	;; [unrolled: 1-line block ×3, first 2 shown]
	v_pk_add_f32 v[62:63], v[116:117], v[114:115]
	s_waitcnt vmcnt(7)
	v_mov_b32_e32 v76, v107
	v_pk_add_f32 v[62:63], v[62:63], v[118:119]
	v_mov_b32_e32 v79, v77
	v_pk_mul_f32 v[76:77], v[94:95], v[76:77] op_sel_hi:[1,0]
	v_pk_add_f32 v[62:63], v[62:63], v[78:79]
	s_waitcnt vmcnt(6)
	v_pk_fma_f32 v[78:79], v[94:95], v[106:107], v[76:77] op_sel:[0,0,1] op_sel_hi:[1,1,0] neg_lo:[0,0,1] neg_hi:[0,0,1]
	v_pk_fma_f32 v[76:77], v[94:95], v[106:107], v[76:77] op_sel:[0,0,1] op_sel_hi:[1,0,0]
	v_mov_b32_e32 v76, v105
	v_mov_b32_e32 v79, v77
	s_waitcnt lgkmcnt(2)
	v_pk_mul_f32 v[76:77], v[64:65], v[76:77] op_sel_hi:[1,0]
	v_pk_add_f32 v[62:63], v[62:63], v[78:79]
	v_pk_fma_f32 v[78:79], v[64:65], v[104:105], v[76:77] op_sel:[0,0,1] op_sel_hi:[1,1,0] neg_lo:[0,0,1] neg_hi:[0,0,1]
	v_pk_fma_f32 v[64:65], v[64:65], v[104:105], v[76:77] op_sel:[0,0,1] op_sel_hi:[1,0,0]
	v_mov_b32_e32 v64, v103
	v_mov_b32_e32 v79, v65
	v_pk_mul_f32 v[64:65], v[66:67], v[64:65] op_sel_hi:[1,0]
	v_pk_fma_f32 v[76:77], v[66:67], v[102:103], v[64:65] op_sel:[0,0,1] op_sel_hi:[1,1,0] neg_lo:[0,0,1] neg_hi:[0,0,1]
	v_pk_fma_f32 v[64:65], v[66:67], v[102:103], v[64:65] op_sel:[0,0,1] op_sel_hi:[1,0,0]
	v_mov_b32_e32 v64, v101
	v_mov_b32_e32 v77, v65
	s_waitcnt lgkmcnt(1)
	v_pk_mul_f32 v[64:65], v[68:69], v[64:65] op_sel_hi:[1,0]
	v_pk_fma_f32 v[66:67], v[68:69], v[100:101], v[64:65] op_sel:[0,0,1] op_sel_hi:[1,1,0] neg_lo:[0,0,1] neg_hi:[0,0,1]
	v_pk_fma_f32 v[64:65], v[68:69], v[100:101], v[64:65] op_sel:[0,0,1] op_sel_hi:[1,0,0]
	v_pk_add_f32 v[62:63], v[62:63], v[78:79]
	s_waitcnt vmcnt(1)
	v_mov_b32_e32 v64, v113
	v_pk_add_f32 v[62:63], v[62:63], v[76:77]
	v_mov_b32_e32 v67, v65
	v_pk_mul_f32 v[64:65], v[70:71], v[64:65] op_sel_hi:[1,0]
	v_pk_add_f32 v[62:63], v[62:63], v[66:67]
	s_waitcnt vmcnt(0)
	v_pk_fma_f32 v[66:67], v[70:71], v[112:113], v[64:65] op_sel:[0,0,1] op_sel_hi:[1,1,0] neg_lo:[0,0,1] neg_hi:[0,0,1]
	v_pk_fma_f32 v[64:65], v[70:71], v[112:113], v[64:65] op_sel:[0,0,1] op_sel_hi:[1,0,0]
	v_mov_b32_e32 v64, v111
	v_mov_b32_e32 v67, v65
	s_waitcnt lgkmcnt(0)
	v_pk_mul_f32 v[64:65], v[72:73], v[64:65] op_sel_hi:[1,0]
	v_pk_add_f32 v[62:63], v[62:63], v[66:67]
	v_pk_fma_f32 v[66:67], v[72:73], v[110:111], v[64:65] op_sel:[0,0,1] op_sel_hi:[1,1,0] neg_lo:[0,0,1] neg_hi:[0,0,1]
	v_pk_fma_f32 v[64:65], v[72:73], v[110:111], v[64:65] op_sel:[0,0,1] op_sel_hi:[1,0,0]
	v_mov_b32_e32 v64, v109
	v_mov_b32_e32 v67, v65
	v_pk_mul_f32 v[64:65], v[74:75], v[64:65] op_sel_hi:[1,0]
	v_pk_add_f32 v[62:63], v[62:63], v[66:67]
	v_pk_fma_f32 v[66:67], v[74:75], v[108:109], v[64:65] op_sel:[0,0,1] op_sel_hi:[1,1,0] neg_lo:[0,0,1] neg_hi:[0,0,1]
	v_pk_fma_f32 v[64:65], v[74:75], v[108:109], v[64:65] op_sel:[0,0,1] op_sel_hi:[1,0,0]
	v_mov_b32_e32 v67, v65
	v_pk_add_f32 v[62:63], v[62:63], v[66:67]
	v_pk_add_f32 v[62:63], v[96:97], v[62:63] neg_lo:[0,1] neg_hi:[0,1]
	buffer_store_dword v63, off, s[0:3], 0 offset:60
	buffer_store_dword v62, off, s[0:3], 0 offset:56
	s_and_saveexec_b64 s[4:5], vcc
	s_cbranch_execz .LBB93_181
; %bb.180:
	buffer_load_dword v62, off, s[0:3], 0 offset:48
	buffer_load_dword v63, off, s[0:3], 0 offset:52
	v_mov_b32_e32 v64, 0
	buffer_store_dword v64, off, s[0:3], 0 offset:48
	buffer_store_dword v64, off, s[0:3], 0 offset:52
	s_waitcnt vmcnt(2)
	ds_write_b64 v1, v[62:63]
.LBB93_181:
	s_or_b64 exec, exec, s[4:5]
	s_waitcnt lgkmcnt(0)
	; wave barrier
	s_waitcnt lgkmcnt(0)
	buffer_load_dword v63, off, s[0:3], 0 offset:60
	buffer_load_dword v112, off, s[0:3], 0 offset:68
	;; [unrolled: 1-line block ×32, first 2 shown]
	v_mov_b32_e32 v62, 0
	buffer_load_dword v99, off, s[0:3], 0 offset:204
	buffer_load_dword v98, off, s[0:3], 0 offset:200
	;; [unrolled: 1-line block ×13, first 2 shown]
	ds_read2_b64 v[64:67], v62 offset0:37 offset1:38
	ds_read2_b64 v[68:71], v62 offset0:39 offset1:40
	;; [unrolled: 1-line block ×8, first 2 shown]
	v_cmp_lt_u32_e32 vcc, 5, v0
	s_waitcnt vmcnt(44) lgkmcnt(7)
	v_mul_f32_e32 v106, v64, v63
	s_waitcnt vmcnt(43)
	v_mul_f32_e32 v113, v66, v112
	s_waitcnt vmcnt(42) lgkmcnt(6)
	v_mul_f32_e32 v114, v68, v116
	s_waitcnt vmcnt(41)
	v_mul_f32_e32 v115, v70, v118
	;; [unrolled: 4-line block ×6, first 2 shown]
	s_waitcnt vmcnt(32) lgkmcnt(1)
	v_mul_f32_e32 v152, v88, v128
	s_waitcnt vmcnt(31)
	v_fmac_f32_e32 v106, v65, v129
	s_waitcnt vmcnt(30)
	v_fmac_f32_e32 v113, v67, v130
	v_add_f32_e32 v106, 0, v106
	s_waitcnt vmcnt(29)
	v_fmac_f32_e32 v114, v69, v131
	v_add_f32_e32 v106, v106, v113
	;; [unrolled: 3-line block ×12, first 2 shown]
	v_add_f32_e32 v113, v106, v152
	buffer_load_dword v115, off, s[0:3], 0 offset:220
	buffer_load_dword v114, off, s[0:3], 0 offset:216
	buffer_load_dword v106, off, s[0:3], 0 offset:208
	v_mul_f32_e32 v63, v65, v63
	v_fma_f32 v63, v64, v129, -v63
	v_mul_f32_e32 v64, v67, v112
	v_add_f32_e32 v63, 0, v63
	v_fma_f32 v64, v66, v130, -v64
	v_add_f32_e32 v63, v63, v64
	v_mul_f32_e32 v64, v69, v116
	v_fma_f32 v64, v68, v131, -v64
	v_add_f32_e32 v63, v63, v64
	v_mul_f32_e32 v64, v71, v118
	v_fma_f32 v64, v70, v132, -v64
	v_add_f32_e32 v63, v63, v64
	v_mul_f32_e32 v64, v73, v120
	v_fma_f32 v64, v72, v133, -v64
	v_add_f32_e32 v63, v63, v64
	v_mul_f32_e32 v64, v75, v121
	v_fma_f32 v64, v74, v134, -v64
	v_add_f32_e32 v63, v63, v64
	v_mul_f32_e32 v64, v77, v122
	v_fma_f32 v64, v76, v135, -v64
	v_add_f32_e32 v63, v63, v64
	v_mul_f32_e32 v64, v79, v123
	v_fma_f32 v64, v78, v136, -v64
	v_add_f32_e32 v63, v63, v64
	v_mul_f32_e32 v64, v81, v124
	v_fma_f32 v64, v80, v137, -v64
	v_add_f32_e32 v63, v63, v64
	v_mul_f32_e32 v64, v83, v125
	v_fma_f32 v64, v82, v138, -v64
	v_add_f32_e32 v63, v63, v64
	v_mul_f32_e32 v64, v85, v126
	v_fma_f32 v64, v84, v139, -v64
	v_add_f32_e32 v63, v63, v64
	v_mul_f32_e32 v64, v87, v127
	v_fma_f32 v64, v86, v140, -v64
	v_add_f32_e32 v63, v63, v64
	v_mul_f32_e32 v64, v89, v128
	v_fma_f32 v64, v88, v141, -v64
	s_waitcnt vmcnt(9)
	v_mov_b32_e32 v80, v105
	v_mul_f32_e32 v117, v90, v142
	v_add_f32_e32 v112, v63, v64
	v_mul_f32_e32 v63, v91, v142
	s_waitcnt lgkmcnt(0)
	v_pk_mul_f32 v[80:81], v[94:95], v[80:81] op_sel_hi:[1,0]
	v_fmac_f32_e32 v117, v91, v143
	v_mul_f32_e32 v119, v92, v144
	v_fma_f32 v116, v90, v143, -v63
	v_mul_f32_e32 v63, v93, v144
	ds_read2_b64 v[64:67], v62 offset0:53 offset1:54
	ds_read2_b64 v[68:71], v62 offset0:55 offset1:56
	;; [unrolled: 1-line block ×3, first 2 shown]
	ds_read_b64 v[76:77], v62 offset:472
	s_waitcnt vmcnt(8)
	v_pk_fma_f32 v[82:83], v[94:95], v[104:105], v[80:81] op_sel:[0,0,1] op_sel_hi:[1,1,0] neg_lo:[0,0,1] neg_hi:[0,0,1]
	v_pk_fma_f32 v[80:81], v[94:95], v[104:105], v[80:81] op_sel:[0,0,1] op_sel_hi:[1,0,0]
	v_fmac_f32_e32 v119, v93, v145
	v_fma_f32 v118, v92, v145, -v63
	v_pk_add_f32 v[78:79], v[112:113], v[116:117]
	v_mov_b32_e32 v80, v103
	v_pk_add_f32 v[78:79], v[78:79], v[118:119]
	v_mov_b32_e32 v83, v81
	s_waitcnt lgkmcnt(3)
	v_pk_mul_f32 v[80:81], v[64:65], v[80:81] op_sel_hi:[1,0]
	v_pk_add_f32 v[78:79], v[78:79], v[82:83]
	v_pk_fma_f32 v[82:83], v[64:65], v[102:103], v[80:81] op_sel:[0,0,1] op_sel_hi:[1,1,0] neg_lo:[0,0,1] neg_hi:[0,0,1]
	v_pk_fma_f32 v[64:65], v[64:65], v[102:103], v[80:81] op_sel:[0,0,1] op_sel_hi:[1,0,0]
	v_mov_b32_e32 v83, v65
	v_pk_add_f32 v[64:65], v[78:79], v[82:83]
	v_mov_b32_e32 v78, v101
	v_pk_mul_f32 v[78:79], v[66:67], v[78:79] op_sel_hi:[1,0]
	v_pk_fma_f32 v[80:81], v[66:67], v[100:101], v[78:79] op_sel:[0,0,1] op_sel_hi:[1,1,0] neg_lo:[0,0,1] neg_hi:[0,0,1]
	v_pk_fma_f32 v[66:67], v[66:67], v[100:101], v[78:79] op_sel:[0,0,1] op_sel_hi:[1,0,0]
	v_mov_b32_e32 v66, v99
	v_mov_b32_e32 v81, v67
	s_waitcnt lgkmcnt(2)
	v_pk_mul_f32 v[66:67], v[68:69], v[66:67] op_sel_hi:[1,0]
	v_pk_fma_f32 v[78:79], v[68:69], v[98:99], v[66:67] op_sel:[0,0,1] op_sel_hi:[1,1,0] neg_lo:[0,0,1] neg_hi:[0,0,1]
	v_pk_fma_f32 v[66:67], v[68:69], v[98:99], v[66:67] op_sel:[0,0,1] op_sel_hi:[1,0,0]
	s_waitcnt vmcnt(7)
	v_mov_b32_e32 v66, v107
	v_mov_b32_e32 v79, v67
	v_pk_mul_f32 v[66:67], v[70:71], v[66:67] op_sel_hi:[1,0]
	v_pk_add_f32 v[64:65], v[64:65], v[80:81]
	v_pk_add_f32 v[64:65], v[64:65], v[78:79]
	s_waitcnt vmcnt(0)
	v_pk_fma_f32 v[68:69], v[70:71], v[106:107], v[66:67] op_sel:[0,0,1] op_sel_hi:[1,1,0] neg_lo:[0,0,1] neg_hi:[0,0,1]
	v_pk_fma_f32 v[66:67], v[70:71], v[106:107], v[66:67] op_sel:[0,0,1] op_sel_hi:[1,0,0]
	v_mov_b32_e32 v66, v115
	v_mov_b32_e32 v69, v67
	s_waitcnt lgkmcnt(1)
	v_pk_mul_f32 v[66:67], v[72:73], v[66:67] op_sel_hi:[1,0]
	v_pk_add_f32 v[64:65], v[64:65], v[68:69]
	v_pk_fma_f32 v[68:69], v[72:73], v[114:115], v[66:67] op_sel:[0,0,1] op_sel_hi:[1,1,0] neg_lo:[0,0,1] neg_hi:[0,0,1]
	v_pk_fma_f32 v[66:67], v[72:73], v[114:115], v[66:67] op_sel:[0,0,1] op_sel_hi:[1,0,0]
	v_mov_b32_e32 v66, v111
	v_mov_b32_e32 v69, v67
	v_pk_mul_f32 v[66:67], v[74:75], v[66:67] op_sel_hi:[1,0]
	v_pk_add_f32 v[64:65], v[64:65], v[68:69]
	v_pk_fma_f32 v[68:69], v[74:75], v[110:111], v[66:67] op_sel:[0,0,1] op_sel_hi:[1,1,0] neg_lo:[0,0,1] neg_hi:[0,0,1]
	v_pk_fma_f32 v[66:67], v[74:75], v[110:111], v[66:67] op_sel:[0,0,1] op_sel_hi:[1,0,0]
	v_mov_b32_e32 v66, v109
	v_mov_b32_e32 v69, v67
	s_waitcnt lgkmcnt(0)
	v_pk_mul_f32 v[66:67], v[76:77], v[66:67] op_sel_hi:[1,0]
	v_pk_add_f32 v[64:65], v[64:65], v[68:69]
	v_pk_fma_f32 v[68:69], v[76:77], v[108:109], v[66:67] op_sel:[0,0,1] op_sel_hi:[1,1,0] neg_lo:[0,0,1] neg_hi:[0,0,1]
	v_pk_fma_f32 v[66:67], v[76:77], v[108:109], v[66:67] op_sel:[0,0,1] op_sel_hi:[1,0,0]
	v_mov_b32_e32 v69, v67
	v_pk_add_f32 v[64:65], v[64:65], v[68:69]
	v_pk_add_f32 v[64:65], v[96:97], v[64:65] neg_lo:[0,1] neg_hi:[0,1]
	buffer_store_dword v65, off, s[0:3], 0 offset:52
	buffer_store_dword v64, off, s[0:3], 0 offset:48
	s_and_saveexec_b64 s[4:5], vcc
	s_cbranch_execz .LBB93_183
; %bb.182:
	buffer_load_dword v64, off, s[0:3], 0 offset:40
	buffer_load_dword v65, off, s[0:3], 0 offset:44
	s_waitcnt vmcnt(0)
	ds_write_b64 v1, v[64:65]
	buffer_store_dword v62, off, s[0:3], 0 offset:40
	buffer_store_dword v62, off, s[0:3], 0 offset:44
.LBB93_183:
	s_or_b64 exec, exec, s[4:5]
	s_waitcnt lgkmcnt(0)
	; wave barrier
	s_waitcnt lgkmcnt(0)
	buffer_load_dword v63, off, s[0:3], 0 offset:52
	buffer_load_dword v112, off, s[0:3], 0 offset:60
	;; [unrolled: 1-line block ×34, first 2 shown]
	ds_read_b128 v[64:67], v62 offset:288
	ds_read_b128 v[68:71], v62 offset:304
	;; [unrolled: 1-line block ×8, first 2 shown]
	buffer_load_dword v99, off, s[0:3], 0 offset:196
	buffer_load_dword v98, off, s[0:3], 0 offset:192
	;; [unrolled: 1-line block ×9, first 2 shown]
	v_cmp_lt_u32_e32 vcc, 4, v0
	s_waitcnt vmcnt(42) lgkmcnt(7)
	v_mul_f32_e32 v104, v64, v63
	s_waitcnt vmcnt(41)
	v_mul_f32_e32 v108, v66, v112
	s_waitcnt vmcnt(40) lgkmcnt(6)
	v_mul_f32_e32 v109, v68, v114
	s_waitcnt vmcnt(39)
	v_mul_f32_e32 v110, v70, v116
	;; [unrolled: 4-line block ×6, first 2 shown]
	s_waitcnt vmcnt(30) lgkmcnt(1)
	v_mul_f32_e32 v150, v88, v128
	v_mul_f32_e32 v63, v65, v63
	s_waitcnt vmcnt(28)
	v_fmac_f32_e32 v104, v65, v130
	s_waitcnt vmcnt(27)
	v_fmac_f32_e32 v108, v67, v131
	v_add_f32_e32 v104, 0, v104
	s_waitcnt vmcnt(26)
	v_fmac_f32_e32 v109, v69, v132
	v_add_f32_e32 v104, v104, v108
	;; [unrolled: 3-line block ×12, first 2 shown]
	v_add_f32_e32 v113, v104, v150
	buffer_load_dword v109, off, s[0:3], 0 offset:220
	buffer_load_dword v108, off, s[0:3], 0 offset:216
	;; [unrolled: 1-line block ×7, first 2 shown]
	v_fma_f32 v63, v64, v130, -v63
	v_mul_f32_e32 v64, v67, v112
	v_add_f32_e32 v63, 0, v63
	v_fma_f32 v64, v66, v131, -v64
	v_add_f32_e32 v63, v63, v64
	v_mul_f32_e32 v64, v69, v114
	v_fma_f32 v64, v68, v132, -v64
	v_add_f32_e32 v63, v63, v64
	v_mul_f32_e32 v64, v71, v116
	;; [unrolled: 3-line block ×12, first 2 shown]
	s_waitcnt vmcnt(22)
	v_fma_f32 v64, v90, v143, -v64
	v_add_f32_e32 v112, v63, v64
	ds_read_b128 v[64:67], v62 offset:416
	ds_read_b128 v[68:71], v62 offset:432
	;; [unrolled: 1-line block ×4, first 2 shown]
	s_waitcnt vmcnt(11)
	v_mov_b32_e32 v80, v103
	s_waitcnt lgkmcnt(3)
	v_pk_mul_f32 v[80:81], v[64:65], v[80:81] op_sel_hi:[1,0]
	s_waitcnt vmcnt(10)
	v_pk_fma_f32 v[82:83], v[64:65], v[102:103], v[80:81] op_sel:[0,0,1] op_sel_hi:[1,1,0] neg_lo:[0,0,1] neg_hi:[0,0,1]
	v_pk_fma_f32 v[64:65], v[64:65], v[102:103], v[80:81] op_sel:[0,0,1] op_sel_hi:[1,0,0]
	v_mov_b32_e32 v64, v101
	v_mul_f32_e32 v151, v90, v129
	v_mov_b32_e32 v83, v65
	v_pk_mul_f32 v[64:65], v[66:67], v[64:65] op_sel_hi:[1,0]
	v_fmac_f32_e32 v151, v91, v143
	v_mul_f32_e32 v115, v92, v144
	v_mul_f32_e32 v63, v93, v144
	v_pk_fma_f32 v[80:81], v[66:67], v[100:101], v[64:65] op_sel:[0,0,1] op_sel_hi:[1,1,0] neg_lo:[0,0,1] neg_hi:[0,0,1]
	v_pk_fma_f32 v[64:65], v[66:67], v[100:101], v[64:65] op_sel:[0,0,1] op_sel_hi:[1,0,0]
	v_add_f32_e32 v113, v113, v151
	v_fmac_f32_e32 v115, v93, v145
	v_mul_f32_e32 v117, v94, v146
	v_fma_f32 v114, v92, v145, -v63
	v_mul_f32_e32 v63, v95, v146
	v_mov_b32_e32 v64, v99
	v_fmac_f32_e32 v117, v95, v147
	v_fma_f32 v116, v94, v147, -v63
	v_pk_add_f32 v[62:63], v[112:113], v[114:115]
	v_mov_b32_e32 v81, v65
	s_waitcnt lgkmcnt(2)
	v_pk_mul_f32 v[64:65], v[68:69], v[64:65] op_sel_hi:[1,0]
	v_pk_add_f32 v[62:63], v[62:63], v[116:117]
	v_pk_fma_f32 v[66:67], v[68:69], v[98:99], v[64:65] op_sel:[0,0,1] op_sel_hi:[1,1,0] neg_lo:[0,0,1] neg_hi:[0,0,1]
	v_pk_fma_f32 v[64:65], v[68:69], v[98:99], v[64:65] op_sel:[0,0,1] op_sel_hi:[1,0,0]
	v_pk_add_f32 v[62:63], v[62:63], v[82:83]
	s_waitcnt vmcnt(9)
	v_mov_b32_e32 v64, v105
	v_pk_add_f32 v[62:63], v[62:63], v[80:81]
	v_mov_b32_e32 v67, v65
	v_pk_mul_f32 v[64:65], v[70:71], v[64:65] op_sel_hi:[1,0]
	v_pk_add_f32 v[62:63], v[62:63], v[66:67]
	s_waitcnt vmcnt(2)
	v_pk_fma_f32 v[66:67], v[70:71], v[104:105], v[64:65] op_sel:[0,0,1] op_sel_hi:[1,1,0] neg_lo:[0,0,1] neg_hi:[0,0,1]
	v_pk_fma_f32 v[64:65], v[70:71], v[104:105], v[64:65] op_sel:[0,0,1] op_sel_hi:[1,0,0]
	v_mov_b32_e32 v64, v111
	v_mov_b32_e32 v67, v65
	s_waitcnt lgkmcnt(1)
	v_pk_mul_f32 v[64:65], v[72:73], v[64:65] op_sel_hi:[1,0]
	v_pk_add_f32 v[62:63], v[62:63], v[66:67]
	v_pk_fma_f32 v[66:67], v[72:73], v[110:111], v[64:65] op_sel:[0,0,1] op_sel_hi:[1,1,0] neg_lo:[0,0,1] neg_hi:[0,0,1]
	v_pk_fma_f32 v[64:65], v[72:73], v[110:111], v[64:65] op_sel:[0,0,1] op_sel_hi:[1,0,0]
	v_mov_b32_e32 v64, v109
	v_mov_b32_e32 v67, v65
	v_pk_mul_f32 v[64:65], v[74:75], v[64:65] op_sel_hi:[1,0]
	v_pk_add_f32 v[62:63], v[62:63], v[66:67]
	v_pk_fma_f32 v[66:67], v[74:75], v[108:109], v[64:65] op_sel:[0,0,1] op_sel_hi:[1,1,0] neg_lo:[0,0,1] neg_hi:[0,0,1]
	v_pk_fma_f32 v[64:65], v[74:75], v[108:109], v[64:65] op_sel:[0,0,1] op_sel_hi:[1,0,0]
	v_mov_b32_e32 v64, v107
	v_mov_b32_e32 v67, v65
	s_waitcnt lgkmcnt(0)
	v_pk_mul_f32 v[64:65], v[76:77], v[64:65] op_sel_hi:[1,0]
	v_pk_add_f32 v[62:63], v[62:63], v[66:67]
	v_pk_fma_f32 v[66:67], v[76:77], v[106:107], v[64:65] op_sel:[0,0,1] op_sel_hi:[1,1,0] neg_lo:[0,0,1] neg_hi:[0,0,1]
	v_pk_fma_f32 v[64:65], v[76:77], v[106:107], v[64:65] op_sel:[0,0,1] op_sel_hi:[1,0,0]
	s_waitcnt vmcnt(1)
	v_mov_b32_e32 v64, v119
	v_mov_b32_e32 v67, v65
	v_pk_mul_f32 v[64:65], v[78:79], v[64:65] op_sel_hi:[1,0]
	v_pk_add_f32 v[62:63], v[62:63], v[66:67]
	s_waitcnt vmcnt(0)
	v_pk_fma_f32 v[66:67], v[78:79], v[118:119], v[64:65] op_sel:[0,0,1] op_sel_hi:[1,1,0] neg_lo:[0,0,1] neg_hi:[0,0,1]
	v_pk_fma_f32 v[64:65], v[78:79], v[118:119], v[64:65] op_sel:[0,0,1] op_sel_hi:[1,0,0]
	v_mov_b32_e32 v67, v65
	v_pk_add_f32 v[62:63], v[62:63], v[66:67]
	v_pk_add_f32 v[62:63], v[96:97], v[62:63] neg_lo:[0,1] neg_hi:[0,1]
	buffer_store_dword v63, off, s[0:3], 0 offset:44
	buffer_store_dword v62, off, s[0:3], 0 offset:40
	s_and_saveexec_b64 s[4:5], vcc
	s_cbranch_execz .LBB93_185
; %bb.184:
	buffer_load_dword v62, off, s[0:3], 0 offset:32
	buffer_load_dword v63, off, s[0:3], 0 offset:36
	v_mov_b32_e32 v64, 0
	buffer_store_dword v64, off, s[0:3], 0 offset:32
	buffer_store_dword v64, off, s[0:3], 0 offset:36
	s_waitcnt vmcnt(2)
	ds_write_b64 v1, v[62:63]
.LBB93_185:
	s_or_b64 exec, exec, s[4:5]
	s_waitcnt lgkmcnt(0)
	; wave barrier
	s_waitcnt lgkmcnt(0)
	buffer_load_dword v65, off, s[0:3], 0 offset:44
	buffer_load_dword v118, off, s[0:3], 0 offset:52
	;; [unrolled: 1-line block ×36, first 2 shown]
	v_mov_b32_e32 v64, 0
	buffer_load_dword v107, off, s[0:3], 0 offset:188
	buffer_load_dword v106, off, s[0:3], 0 offset:184
	;; [unrolled: 1-line block ×5, first 2 shown]
	ds_read2_b64 v[66:69], v64 offset0:35 offset1:36
	ds_read2_b64 v[70:73], v64 offset0:37 offset1:38
	ds_read2_b64 v[74:77], v64 offset0:39 offset1:40
	ds_read2_b64 v[78:81], v64 offset0:41 offset1:42
	ds_read2_b64 v[82:85], v64 offset0:43 offset1:44
	ds_read2_b64 v[86:89], v64 offset0:45 offset1:46
	ds_read2_b64 v[90:93], v64 offset0:47 offset1:48
	ds_read2_b64 v[94:97], v64 offset0:49 offset1:50
	v_cmp_lt_u32_e32 vcc, 3, v0
	s_waitcnt vmcnt(40) lgkmcnt(7)
	v_mul_f32_e32 v98, v66, v65
	s_waitcnt vmcnt(39)
	v_mul_f32_e32 v99, v68, v118
	s_waitcnt vmcnt(38) lgkmcnt(6)
	v_mul_f32_e32 v100, v70, v120
	s_waitcnt vmcnt(37)
	v_mul_f32_e32 v101, v72, v122
	;; [unrolled: 4-line block ×7, first 2 shown]
	s_waitcnt vmcnt(26) lgkmcnt(0)
	v_mul_f32_e32 v119, v94, v138
	s_waitcnt vmcnt(25)
	v_fmac_f32_e32 v98, v67, v139
	s_waitcnt vmcnt(24)
	v_fmac_f32_e32 v99, v69, v140
	v_add_f32_e32 v98, 0, v98
	s_waitcnt vmcnt(23)
	v_fmac_f32_e32 v100, v71, v141
	v_add_f32_e32 v98, v98, v99
	;; [unrolled: 3-line block ×13, first 2 shown]
	v_add_f32_e32 v102, v98, v116
	buffer_load_dword v113, off, s[0:3], 0 offset:220
	buffer_load_dword v112, off, s[0:3], 0 offset:216
	;; [unrolled: 1-line block ×7, first 2 shown]
	s_waitcnt vmcnt(18)
	v_fmac_f32_e32 v119, v95, v153
	ds_read2_b64 v[98:101], v64 offset0:51 offset1:52
	v_add_f32_e32 v119, v102, v119
	ds_read2_b64 v[102:105], v64 offset0:53 offset1:54
	buffer_load_dword v125, off, s[0:3], 0 offset:236
	buffer_load_dword v124, off, s[0:3], 0 offset:232
	;; [unrolled: 1-line block ×4, first 2 shown]
	v_mul_f32_e32 v65, v67, v65
	v_fma_f32 v65, v66, v139, -v65
	v_mul_f32_e32 v66, v69, v118
	v_add_f32_e32 v65, 0, v65
	v_fma_f32 v66, v68, v140, -v66
	v_add_f32_e32 v65, v65, v66
	v_mul_f32_e32 v66, v71, v120
	v_fma_f32 v66, v70, v141, -v66
	v_add_f32_e32 v65, v65, v66
	v_mul_f32_e32 v66, v73, v122
	;; [unrolled: 3-line block ×13, first 2 shown]
	v_fma_f32 v66, v94, v153, -v66
	s_waitcnt vmcnt(13)
	v_mov_b32_e32 v78, v109
	v_mul_f32_e32 v121, v96, v154
	v_add_f32_e32 v118, v65, v66
	v_mul_f32_e32 v65, v97, v154
	s_waitcnt lgkmcnt(1)
	v_pk_mul_f32 v[78:79], v[100:101], v[78:79] op_sel_hi:[1,0]
	v_fmac_f32_e32 v121, v97, v155
	v_mul_f32_e32 v123, v98, v156
	v_fma_f32 v120, v96, v155, -v65
	v_mul_f32_e32 v65, v99, v156
	s_waitcnt vmcnt(12)
	v_pk_fma_f32 v[80:81], v[100:101], v[108:109], v[78:79] op_sel:[0,0,1] op_sel_hi:[1,1,0] neg_lo:[0,0,1] neg_hi:[0,0,1]
	v_pk_fma_f32 v[78:79], v[100:101], v[108:109], v[78:79] op_sel:[0,0,1] op_sel_hi:[1,0,0]
	v_fmac_f32_e32 v123, v99, v157
	v_fma_f32 v122, v98, v157, -v65
	v_pk_add_f32 v[76:77], v[118:119], v[120:121]
	v_mov_b32_e32 v78, v107
	v_pk_add_f32 v[76:77], v[76:77], v[122:123]
	v_mov_b32_e32 v81, v79
	s_waitcnt lgkmcnt(0)
	v_pk_mul_f32 v[78:79], v[102:103], v[78:79] op_sel_hi:[1,0]
	v_pk_add_f32 v[76:77], v[76:77], v[80:81]
	v_pk_fma_f32 v[80:81], v[102:103], v[106:107], v[78:79] op_sel:[0,0,1] op_sel_hi:[1,1,0] neg_lo:[0,0,1] neg_hi:[0,0,1]
	v_pk_fma_f32 v[78:79], v[102:103], v[106:107], v[78:79] op_sel:[0,0,1] op_sel_hi:[1,0,0]
	s_waitcnt vmcnt(11)
	v_mov_b32_e32 v78, v111
	ds_read2_b64 v[66:69], v64 offset0:55 offset1:56
	ds_read2_b64 v[70:73], v64 offset0:57 offset1:58
	ds_read_b64 v[74:75], v64 offset:472
	v_mov_b32_e32 v81, v79
	v_pk_mul_f32 v[78:79], v[104:105], v[78:79] op_sel_hi:[1,0]
	v_pk_add_f32 v[76:77], v[76:77], v[80:81]
	s_waitcnt vmcnt(4)
	v_pk_fma_f32 v[80:81], v[104:105], v[110:111], v[78:79] op_sel:[0,0,1] op_sel_hi:[1,1,0] neg_lo:[0,0,1] neg_hi:[0,0,1]
	v_pk_fma_f32 v[78:79], v[104:105], v[110:111], v[78:79] op_sel:[0,0,1] op_sel_hi:[1,0,0]
	v_mov_b32_e32 v78, v117
	v_mov_b32_e32 v81, v79
	s_waitcnt lgkmcnt(2)
	v_pk_mul_f32 v[78:79], v[66:67], v[78:79] op_sel_hi:[1,0]
	v_pk_add_f32 v[76:77], v[76:77], v[80:81]
	v_pk_fma_f32 v[80:81], v[66:67], v[116:117], v[78:79] op_sel:[0,0,1] op_sel_hi:[1,1,0] neg_lo:[0,0,1] neg_hi:[0,0,1]
	v_pk_fma_f32 v[66:67], v[66:67], v[116:117], v[78:79] op_sel:[0,0,1] op_sel_hi:[1,0,0]
	v_mov_b32_e32 v81, v67
	v_pk_add_f32 v[66:67], v[76:77], v[80:81]
	v_mov_b32_e32 v76, v115
	v_pk_mul_f32 v[76:77], v[68:69], v[76:77] op_sel_hi:[1,0]
	v_pk_fma_f32 v[78:79], v[68:69], v[114:115], v[76:77] op_sel:[0,0,1] op_sel_hi:[1,1,0] neg_lo:[0,0,1] neg_hi:[0,0,1]
	v_pk_fma_f32 v[68:69], v[68:69], v[114:115], v[76:77] op_sel:[0,0,1] op_sel_hi:[1,0,0]
	v_mov_b32_e32 v68, v113
	v_mov_b32_e32 v79, v69
	s_waitcnt lgkmcnt(1)
	v_pk_mul_f32 v[68:69], v[70:71], v[68:69] op_sel_hi:[1,0]
	v_pk_fma_f32 v[76:77], v[70:71], v[112:113], v[68:69] op_sel:[0,0,1] op_sel_hi:[1,1,0] neg_lo:[0,0,1] neg_hi:[0,0,1]
	v_pk_fma_f32 v[68:69], v[70:71], v[112:113], v[68:69] op_sel:[0,0,1] op_sel_hi:[1,0,0]
	s_waitcnt vmcnt(1)
	v_mov_b32_e32 v68, v127
	v_mov_b32_e32 v77, v69
	v_pk_mul_f32 v[68:69], v[72:73], v[68:69] op_sel_hi:[1,0]
	s_waitcnt vmcnt(0)
	v_pk_fma_f32 v[70:71], v[72:73], v[126:127], v[68:69] op_sel:[0,0,1] op_sel_hi:[1,1,0] neg_lo:[0,0,1] neg_hi:[0,0,1]
	v_pk_fma_f32 v[68:69], v[72:73], v[126:127], v[68:69] op_sel:[0,0,1] op_sel_hi:[1,0,0]
	v_pk_add_f32 v[66:67], v[66:67], v[78:79]
	v_mov_b32_e32 v68, v125
	v_pk_add_f32 v[66:67], v[66:67], v[76:77]
	v_mov_b32_e32 v71, v69
	s_waitcnt lgkmcnt(0)
	v_pk_mul_f32 v[68:69], v[74:75], v[68:69] op_sel_hi:[1,0]
	v_pk_add_f32 v[66:67], v[66:67], v[70:71]
	v_pk_fma_f32 v[70:71], v[74:75], v[124:125], v[68:69] op_sel:[0,0,1] op_sel_hi:[1,1,0] neg_lo:[0,0,1] neg_hi:[0,0,1]
	v_pk_fma_f32 v[68:69], v[74:75], v[124:125], v[68:69] op_sel:[0,0,1] op_sel_hi:[1,0,0]
	v_mov_b32_e32 v71, v69
	v_pk_add_f32 v[66:67], v[66:67], v[70:71]
	v_pk_add_f32 v[62:63], v[62:63], v[66:67] neg_lo:[0,1] neg_hi:[0,1]
	buffer_store_dword v63, off, s[0:3], 0 offset:36
	buffer_store_dword v62, off, s[0:3], 0 offset:32
	s_and_saveexec_b64 s[4:5], vcc
	s_cbranch_execz .LBB93_187
; %bb.186:
	buffer_load_dword v62, off, s[0:3], 0 offset:24
	buffer_load_dword v63, off, s[0:3], 0 offset:28
	s_waitcnt vmcnt(0)
	ds_write_b64 v1, v[62:63]
	buffer_store_dword v64, off, s[0:3], 0 offset:24
	buffer_store_dword v64, off, s[0:3], 0 offset:28
.LBB93_187:
	s_or_b64 exec, exec, s[4:5]
	s_waitcnt lgkmcnt(0)
	; wave barrier
	s_waitcnt lgkmcnt(0)
	buffer_load_dword v62, off, s[0:3], 0 offset:36
	buffer_load_dword v63, off, s[0:3], 0 offset:44
	;; [unrolled: 1-line block ×38, first 2 shown]
	ds_read_b128 v[66:69], v64 offset:272
	ds_read_b128 v[70:73], v64 offset:288
	;; [unrolled: 1-line block ×8, first 2 shown]
	buffer_load_dword v109, off, s[0:3], 0 offset:180
	buffer_load_dword v108, off, s[0:3], 0 offset:176
	;; [unrolled: 1-line block ×4, first 2 shown]
	v_cmp_lt_u32_e32 vcc, 2, v0
	s_waitcnt vmcnt(41) lgkmcnt(7)
	v_mul_f32_e32 v98, v66, v62
	s_waitcnt vmcnt(40)
	v_mul_f32_e32 v99, v68, v63
	s_waitcnt vmcnt(39) lgkmcnt(6)
	v_mul_f32_e32 v100, v70, v65
	s_waitcnt vmcnt(38)
	v_mul_f32_e32 v101, v72, v118
	;; [unrolled: 4-line block ×7, first 2 shown]
	s_waitcnt vmcnt(27) lgkmcnt(0)
	v_mul_f32_e32 v119, v94, v138
	s_waitcnt vmcnt(26)
	v_fmac_f32_e32 v98, v67, v139
	s_waitcnt vmcnt(25)
	v_fmac_f32_e32 v99, v69, v140
	v_add_f32_e32 v98, 0, v98
	s_waitcnt vmcnt(24)
	v_fmac_f32_e32 v100, v71, v141
	v_add_f32_e32 v98, v98, v99
	;; [unrolled: 3-line block ×13, first 2 shown]
	v_add_f32_e32 v98, v98, v117
	buffer_load_dword v113, off, s[0:3], 0 offset:204
	buffer_load_dword v112, off, s[0:3], 0 offset:200
	;; [unrolled: 1-line block ×6, first 2 shown]
	s_waitcnt vmcnt(18)
	v_fmac_f32_e32 v119, v95, v153
	s_waitcnt vmcnt(17)
	v_mul_f32_e32 v103, v96, v154
	v_add_f32_e32 v102, v98, v119
	s_waitcnt vmcnt(16)
	v_fmac_f32_e32 v103, v97, v155
	ds_read_b128 v[98:101], v64 offset:400
	v_add_f32_e32 v119, v102, v103
	ds_read_b128 v[102:105], v64 offset:416
	buffer_load_dword v125, off, s[0:3], 0 offset:236
	buffer_load_dword v124, off, s[0:3], 0 offset:232
	;; [unrolled: 1-line block ×6, first 2 shown]
	v_mul_f32_e32 v62, v67, v62
	v_fma_f32 v62, v66, v139, -v62
	v_mul_f32_e32 v63, v69, v63
	v_add_f32_e32 v62, 0, v62
	v_fma_f32 v63, v68, v140, -v63
	v_add_f32_e32 v62, v62, v63
	v_mul_f32_e32 v63, v71, v65
	v_fma_f32 v63, v70, v141, -v63
	v_add_f32_e32 v62, v62, v63
	v_mul_f32_e32 v63, v73, v118
	;; [unrolled: 3-line block ×14, first 2 shown]
	v_fma_f32 v63, v96, v155, -v63
	s_waitcnt vmcnt(15)
	v_mov_b32_e32 v76, v109
	s_waitcnt lgkmcnt(1)
	v_mul_f32_e32 v121, v98, v156
	v_add_f32_e32 v118, v62, v63
	v_mul_f32_e32 v62, v99, v156
	s_waitcnt lgkmcnt(0)
	v_pk_mul_f32 v[76:77], v[102:103], v[76:77] op_sel_hi:[1,0]
	v_fmac_f32_e32 v121, v99, v157
	v_mul_f32_e32 v123, v100, v158
	v_fma_f32 v120, v98, v157, -v62
	v_mul_f32_e32 v62, v101, v158
	s_waitcnt vmcnt(14)
	v_pk_fma_f32 v[78:79], v[102:103], v[108:109], v[76:77] op_sel:[0,0,1] op_sel_hi:[1,1,0] neg_lo:[0,0,1] neg_hi:[0,0,1]
	v_pk_fma_f32 v[76:77], v[102:103], v[108:109], v[76:77] op_sel:[0,0,1] op_sel_hi:[1,0,0]
	v_fmac_f32_e32 v123, v101, v159
	v_fma_f32 v122, v100, v159, -v62
	v_pk_add_f32 v[74:75], v[118:119], v[120:121]
	ds_read_b128 v[66:69], v64 offset:432
	ds_read_b128 v[70:73], v64 offset:448
	;; [unrolled: 1-line block ×3, first 2 shown]
	v_pk_add_f32 v[74:75], v[74:75], v[122:123]
	v_mov_b32_e32 v79, v77
	v_pk_add_f32 v[74:75], v[74:75], v[78:79]
	s_waitcnt vmcnt(7)
	v_mov_b32_e32 v76, v117
	v_pk_mul_f32 v[76:77], v[104:105], v[76:77] op_sel_hi:[1,0]
	s_waitcnt vmcnt(6)
	v_pk_fma_f32 v[78:79], v[104:105], v[116:117], v[76:77] op_sel:[0,0,1] op_sel_hi:[1,1,0] neg_lo:[0,0,1] neg_hi:[0,0,1]
	v_pk_fma_f32 v[76:77], v[104:105], v[116:117], v[76:77] op_sel:[0,0,1] op_sel_hi:[1,0,0]
	v_mov_b32_e32 v76, v115
	v_mov_b32_e32 v79, v77
	s_waitcnt lgkmcnt(2)
	v_pk_mul_f32 v[76:77], v[66:67], v[76:77] op_sel_hi:[1,0]
	v_pk_add_f32 v[74:75], v[74:75], v[78:79]
	v_pk_fma_f32 v[78:79], v[66:67], v[114:115], v[76:77] op_sel:[0,0,1] op_sel_hi:[1,1,0] neg_lo:[0,0,1] neg_hi:[0,0,1]
	v_pk_fma_f32 v[66:67], v[66:67], v[114:115], v[76:77] op_sel:[0,0,1] op_sel_hi:[1,0,0]
	v_mov_b32_e32 v79, v67
	v_pk_add_f32 v[66:67], v[74:75], v[78:79]
	v_mov_b32_e32 v74, v113
	v_pk_mul_f32 v[74:75], v[68:69], v[74:75] op_sel_hi:[1,0]
	v_pk_fma_f32 v[76:77], v[68:69], v[112:113], v[74:75] op_sel:[0,0,1] op_sel_hi:[1,1,0] neg_lo:[0,0,1] neg_hi:[0,0,1]
	v_pk_fma_f32 v[68:69], v[68:69], v[112:113], v[74:75] op_sel:[0,0,1] op_sel_hi:[1,0,0]
	v_mov_b32_e32 v68, v111
	v_mov_b32_e32 v77, v69
	s_waitcnt lgkmcnt(1)
	v_pk_mul_f32 v[68:69], v[70:71], v[68:69] op_sel_hi:[1,0]
	v_pk_fma_f32 v[74:75], v[70:71], v[110:111], v[68:69] op_sel:[0,0,1] op_sel_hi:[1,1,0] neg_lo:[0,0,1] neg_hi:[0,0,1]
	v_pk_fma_f32 v[68:69], v[70:71], v[110:111], v[68:69] op_sel:[0,0,1] op_sel_hi:[1,0,0]
	s_waitcnt vmcnt(1)
	v_mov_b32_e32 v68, v129
	v_mov_b32_e32 v75, v69
	v_pk_mul_f32 v[68:69], v[72:73], v[68:69] op_sel_hi:[1,0]
	s_waitcnt vmcnt(0)
	v_pk_fma_f32 v[70:71], v[72:73], v[128:129], v[68:69] op_sel:[0,0,1] op_sel_hi:[1,1,0] neg_lo:[0,0,1] neg_hi:[0,0,1]
	v_pk_fma_f32 v[68:69], v[72:73], v[128:129], v[68:69] op_sel:[0,0,1] op_sel_hi:[1,0,0]
	v_pk_add_f32 v[66:67], v[66:67], v[76:77]
	v_mov_b32_e32 v68, v127
	v_pk_add_f32 v[66:67], v[66:67], v[74:75]
	v_mov_b32_e32 v71, v69
	s_waitcnt lgkmcnt(0)
	v_pk_mul_f32 v[68:69], v[62:63], v[68:69] op_sel_hi:[1,0]
	v_pk_add_f32 v[66:67], v[66:67], v[70:71]
	v_pk_fma_f32 v[70:71], v[62:63], v[126:127], v[68:69] op_sel:[0,0,1] op_sel_hi:[1,1,0] neg_lo:[0,0,1] neg_hi:[0,0,1]
	v_pk_fma_f32 v[62:63], v[62:63], v[126:127], v[68:69] op_sel:[0,0,1] op_sel_hi:[1,0,0]
	v_mov_b32_e32 v71, v63
	v_pk_add_f32 v[62:63], v[66:67], v[70:71]
	v_mov_b32_e32 v66, v125
	v_pk_mul_f32 v[66:67], v[64:65], v[66:67] op_sel_hi:[1,0]
	v_pk_fma_f32 v[68:69], v[64:65], v[124:125], v[66:67] op_sel:[0,0,1] op_sel_hi:[1,1,0] neg_lo:[0,0,1] neg_hi:[0,0,1]
	v_pk_fma_f32 v[64:65], v[64:65], v[124:125], v[66:67] op_sel:[0,0,1] op_sel_hi:[1,0,0]
	v_mov_b32_e32 v69, v65
	v_pk_add_f32 v[62:63], v[62:63], v[68:69]
	v_pk_add_f32 v[62:63], v[106:107], v[62:63] neg_lo:[0,1] neg_hi:[0,1]
	buffer_store_dword v63, off, s[0:3], 0 offset:28
	buffer_store_dword v62, off, s[0:3], 0 offset:24
	s_and_saveexec_b64 s[4:5], vcc
	s_cbranch_execz .LBB93_189
; %bb.188:
	buffer_load_dword v62, off, s[0:3], 0 offset:16
	buffer_load_dword v63, off, s[0:3], 0 offset:20
	v_mov_b32_e32 v64, 0
	buffer_store_dword v64, off, s[0:3], 0 offset:16
	buffer_store_dword v64, off, s[0:3], 0 offset:20
	s_waitcnt vmcnt(2)
	ds_write_b64 v1, v[62:63]
.LBB93_189:
	s_or_b64 exec, exec, s[4:5]
	s_waitcnt lgkmcnt(0)
	; wave barrier
	s_waitcnt lgkmcnt(0)
	buffer_load_dword v65, off, s[0:3], 0 offset:28
	buffer_load_dword v114, off, s[0:3], 0 offset:36
	buffer_load_dword v116, off, s[0:3], 0 offset:44
	buffer_load_dword v118, off, s[0:3], 0 offset:52
	buffer_load_dword v128, off, s[0:3], 0 offset:60
	buffer_load_dword v129, off, s[0:3], 0 offset:68
	buffer_load_dword v130, off, s[0:3], 0 offset:76
	buffer_load_dword v131, off, s[0:3], 0 offset:84
	buffer_load_dword v132, off, s[0:3], 0 offset:92
	buffer_load_dword v133, off, s[0:3], 0 offset:100
	buffer_load_dword v134, off, s[0:3], 0 offset:108
	buffer_load_dword v135, off, s[0:3], 0 offset:116
	buffer_load_dword v136, off, s[0:3], 0 offset:124
	buffer_load_dword v137, off, s[0:3], 0 offset:132
	buffer_load_dword v138, off, s[0:3], 0 offset:140
	buffer_load_dword v139, off, s[0:3], 0 offset:148
	buffer_load_dword v140, off, s[0:3], 0 offset:24
	buffer_load_dword v141, off, s[0:3], 0 offset:32
	buffer_load_dword v142, off, s[0:3], 0 offset:40
	buffer_load_dword v143, off, s[0:3], 0 offset:48
	buffer_load_dword v144, off, s[0:3], 0 offset:56
	buffer_load_dword v145, off, s[0:3], 0 offset:64
	buffer_load_dword v146, off, s[0:3], 0 offset:72
	buffer_load_dword v147, off, s[0:3], 0 offset:80
	buffer_load_dword v148, off, s[0:3], 0 offset:88
	buffer_load_dword v149, off, s[0:3], 0 offset:96
	buffer_load_dword v150, off, s[0:3], 0 offset:104
	buffer_load_dword v151, off, s[0:3], 0 offset:112
	buffer_load_dword v152, off, s[0:3], 0 offset:120
	buffer_load_dword v153, off, s[0:3], 0 offset:128
	buffer_load_dword v154, off, s[0:3], 0 offset:136
	buffer_load_dword v155, off, s[0:3], 0 offset:144
	buffer_load_dword v156, off, s[0:3], 0 offset:156
	buffer_load_dword v157, off, s[0:3], 0 offset:152
	buffer_load_dword v158, off, s[0:3], 0 offset:164
	buffer_load_dword v159, off, s[0:3], 0 offset:160
	buffer_load_dword v160, off, s[0:3], 0 offset:172
	buffer_load_dword v161, off, s[0:3], 0 offset:168
	buffer_load_dword v62, off, s[0:3], 0 offset:16
	buffer_load_dword v63, off, s[0:3], 0 offset:20
	v_mov_b32_e32 v64, 0
	ds_read2_b64 v[66:69], v64 offset0:33 offset1:34
	ds_read2_b64 v[70:73], v64 offset0:35 offset1:36
	;; [unrolled: 1-line block ×8, first 2 shown]
	v_cmp_lt_u32_e32 vcc, 1, v0
	s_waitcnt vmcnt(39) lgkmcnt(7)
	v_mul_f32_e32 v98, v66, v65
	s_waitcnt vmcnt(38)
	v_mul_f32_e32 v99, v68, v114
	s_waitcnt vmcnt(37) lgkmcnt(6)
	v_mul_f32_e32 v100, v70, v116
	s_waitcnt vmcnt(36)
	v_mul_f32_e32 v101, v72, v118
	;; [unrolled: 4-line block ×8, first 2 shown]
	s_waitcnt vmcnt(23)
	v_fmac_f32_e32 v98, v67, v140
	s_waitcnt vmcnt(22)
	v_fmac_f32_e32 v99, v69, v141
	v_add_f32_e32 v98, 0, v98
	s_waitcnt vmcnt(21)
	v_fmac_f32_e32 v100, v71, v142
	v_add_f32_e32 v98, v98, v99
	;; [unrolled: 3-line block ×14, first 2 shown]
	v_add_f32_e32 v98, v98, v112
	s_waitcnt vmcnt(8)
	v_fmac_f32_e32 v113, v97, v155
	v_add_f32_e32 v115, v98, v113
	ds_read2_b64 v[98:101], v64 offset0:49 offset1:50
	buffer_load_dword v107, off, s[0:3], 0 offset:180
	buffer_load_dword v109, off, s[0:3], 0 offset:204
	;; [unrolled: 1-line block ×8, first 2 shown]
	ds_read2_b64 v[102:105], v64 offset0:51 offset1:52
	buffer_load_dword v121, off, s[0:3], 0 offset:236
	buffer_load_dword v120, off, s[0:3], 0 offset:232
	;; [unrolled: 1-line block ×8, first 2 shown]
	v_mul_f32_e32 v65, v67, v65
	v_fma_f32 v65, v66, v140, -v65
	v_mul_f32_e32 v66, v69, v114
	v_add_f32_e32 v65, 0, v65
	v_fma_f32 v66, v68, v141, -v66
	v_add_f32_e32 v65, v65, v66
	v_mul_f32_e32 v66, v71, v116
	v_fma_f32 v66, v70, v142, -v66
	v_add_f32_e32 v65, v65, v66
	v_mul_f32_e32 v66, v73, v118
	;; [unrolled: 3-line block ×14, first 2 shown]
	v_fma_f32 v66, v96, v155, -v66
	s_waitcnt vmcnt(23) lgkmcnt(1)
	v_mul_f32_e32 v117, v98, v156
	v_add_f32_e32 v65, v65, v66
	v_mul_f32_e32 v66, v99, v156
	s_waitcnt vmcnt(22)
	v_fmac_f32_e32 v117, v99, v157
	v_fma_f32 v66, v98, v157, -v66
	v_add_f32_e32 v115, v115, v117
	s_waitcnt vmcnt(21)
	v_mul_f32_e32 v117, v100, v158
	v_add_f32_e32 v114, v65, v66
	v_mul_f32_e32 v65, v101, v158
	s_waitcnt vmcnt(20)
	v_fmac_f32_e32 v117, v101, v159
	s_waitcnt vmcnt(19) lgkmcnt(0)
	v_mul_f32_e32 v119, v102, v160
	v_fma_f32 v116, v100, v159, -v65
	v_mul_f32_e32 v65, v103, v160
	ds_read2_b64 v[66:69], v64 offset0:53 offset1:54
	ds_read2_b64 v[70:73], v64 offset0:55 offset1:56
	;; [unrolled: 1-line block ×3, first 2 shown]
	ds_read_b64 v[78:79], v64 offset:472
	s_waitcnt vmcnt(18)
	v_fmac_f32_e32 v119, v103, v161
	v_fma_f32 v118, v102, v161, -v65
	v_pk_add_f32 v[80:81], v[114:115], v[116:117]
	v_pk_add_f32 v[80:81], v[80:81], v[118:119]
	s_waitcnt vmcnt(15)
	v_mov_b32_e32 v82, v107
	v_pk_mul_f32 v[82:83], v[104:105], v[82:83] op_sel_hi:[1,0]
	s_waitcnt vmcnt(8)
	v_pk_fma_f32 v[84:85], v[104:105], v[106:107], v[82:83] op_sel:[0,0,1] op_sel_hi:[1,1,0] neg_lo:[0,0,1] neg_hi:[0,0,1]
	v_pk_fma_f32 v[82:83], v[104:105], v[106:107], v[82:83] op_sel:[0,0,1] op_sel_hi:[1,0,0]
	v_mov_b32_e32 v82, v113
	v_mov_b32_e32 v85, v83
	s_waitcnt lgkmcnt(3)
	v_pk_mul_f32 v[82:83], v[66:67], v[82:83] op_sel_hi:[1,0]
	v_pk_add_f32 v[80:81], v[80:81], v[84:85]
	v_pk_fma_f32 v[84:85], v[66:67], v[112:113], v[82:83] op_sel:[0,0,1] op_sel_hi:[1,1,0] neg_lo:[0,0,1] neg_hi:[0,0,1]
	v_pk_fma_f32 v[66:67], v[66:67], v[112:113], v[82:83] op_sel:[0,0,1] op_sel_hi:[1,0,0]
	v_mov_b32_e32 v85, v67
	v_pk_add_f32 v[66:67], v[80:81], v[84:85]
	v_mov_b32_e32 v80, v111
	v_pk_mul_f32 v[80:81], v[68:69], v[80:81] op_sel_hi:[1,0]
	v_pk_fma_f32 v[82:83], v[68:69], v[110:111], v[80:81] op_sel:[0,0,1] op_sel_hi:[1,1,0] neg_lo:[0,0,1] neg_hi:[0,0,1]
	v_pk_fma_f32 v[68:69], v[68:69], v[110:111], v[80:81] op_sel:[0,0,1] op_sel_hi:[1,0,0]
	v_mov_b32_e32 v68, v109
	v_mov_b32_e32 v83, v69
	s_waitcnt lgkmcnt(2)
	v_pk_mul_f32 v[68:69], v[70:71], v[68:69] op_sel_hi:[1,0]
	v_pk_fma_f32 v[80:81], v[70:71], v[108:109], v[68:69] op_sel:[0,0,1] op_sel_hi:[1,1,0] neg_lo:[0,0,1] neg_hi:[0,0,1]
	v_pk_fma_f32 v[68:69], v[70:71], v[108:109], v[68:69] op_sel:[0,0,1] op_sel_hi:[1,0,0]
	s_waitcnt vmcnt(1)
	v_mov_b32_e32 v68, v127
	v_mov_b32_e32 v81, v69
	v_pk_mul_f32 v[68:69], v[72:73], v[68:69] op_sel_hi:[1,0]
	s_waitcnt vmcnt(0)
	v_pk_fma_f32 v[70:71], v[72:73], v[126:127], v[68:69] op_sel:[0,0,1] op_sel_hi:[1,1,0] neg_lo:[0,0,1] neg_hi:[0,0,1]
	v_pk_fma_f32 v[68:69], v[72:73], v[126:127], v[68:69] op_sel:[0,0,1] op_sel_hi:[1,0,0]
	v_pk_add_f32 v[66:67], v[66:67], v[82:83]
	v_mov_b32_e32 v68, v125
	v_pk_add_f32 v[66:67], v[66:67], v[80:81]
	v_mov_b32_e32 v71, v69
	s_waitcnt lgkmcnt(1)
	v_pk_mul_f32 v[68:69], v[74:75], v[68:69] op_sel_hi:[1,0]
	v_pk_add_f32 v[66:67], v[66:67], v[70:71]
	v_pk_fma_f32 v[70:71], v[74:75], v[124:125], v[68:69] op_sel:[0,0,1] op_sel_hi:[1,1,0] neg_lo:[0,0,1] neg_hi:[0,0,1]
	v_pk_fma_f32 v[68:69], v[74:75], v[124:125], v[68:69] op_sel:[0,0,1] op_sel_hi:[1,0,0]
	v_mov_b32_e32 v68, v123
	v_mov_b32_e32 v71, v69
	v_pk_mul_f32 v[68:69], v[76:77], v[68:69] op_sel_hi:[1,0]
	v_pk_add_f32 v[66:67], v[66:67], v[70:71]
	v_pk_fma_f32 v[70:71], v[76:77], v[122:123], v[68:69] op_sel:[0,0,1] op_sel_hi:[1,1,0] neg_lo:[0,0,1] neg_hi:[0,0,1]
	v_pk_fma_f32 v[68:69], v[76:77], v[122:123], v[68:69] op_sel:[0,0,1] op_sel_hi:[1,0,0]
	v_mov_b32_e32 v68, v121
	v_mov_b32_e32 v71, v69
	s_waitcnt lgkmcnt(0)
	v_pk_mul_f32 v[68:69], v[78:79], v[68:69] op_sel_hi:[1,0]
	v_pk_add_f32 v[66:67], v[66:67], v[70:71]
	v_pk_fma_f32 v[70:71], v[78:79], v[120:121], v[68:69] op_sel:[0,0,1] op_sel_hi:[1,1,0] neg_lo:[0,0,1] neg_hi:[0,0,1]
	v_pk_fma_f32 v[68:69], v[78:79], v[120:121], v[68:69] op_sel:[0,0,1] op_sel_hi:[1,0,0]
	v_mov_b32_e32 v71, v69
	v_pk_add_f32 v[66:67], v[66:67], v[70:71]
	v_pk_add_f32 v[62:63], v[62:63], v[66:67] neg_lo:[0,1] neg_hi:[0,1]
	buffer_store_dword v63, off, s[0:3], 0 offset:20
	buffer_store_dword v62, off, s[0:3], 0 offset:16
	s_and_saveexec_b64 s[4:5], vcc
	s_cbranch_execz .LBB93_191
; %bb.190:
	buffer_load_dword v62, off, s[0:3], 0 offset:8
	buffer_load_dword v63, off, s[0:3], 0 offset:12
	s_waitcnt vmcnt(0)
	ds_write_b64 v1, v[62:63]
	buffer_store_dword v64, off, s[0:3], 0 offset:8
	buffer_store_dword v64, off, s[0:3], 0 offset:12
.LBB93_191:
	s_or_b64 exec, exec, s[4:5]
	s_waitcnt lgkmcnt(0)
	; wave barrier
	s_waitcnt lgkmcnt(0)
	buffer_load_dword v65, off, s[0:3], 0 offset:20
	buffer_load_dword v106, off, s[0:3], 0 offset:28
	;; [unrolled: 1-line block ×42, first 2 shown]
	ds_read_b128 v[66:69], v64 offset:256
	ds_read_b128 v[70:73], v64 offset:272
	;; [unrolled: 1-line block ×8, first 2 shown]
	v_cmp_ne_u32_e32 vcc, 0, v0
	s_waitcnt vmcnt(41) lgkmcnt(7)
	v_mul_f32_e32 v98, v66, v65
	s_waitcnt vmcnt(40)
	v_mul_f32_e32 v99, v68, v106
	s_waitcnt vmcnt(39) lgkmcnt(6)
	v_mul_f32_e32 v100, v70, v108
	s_waitcnt vmcnt(38)
	v_mul_f32_e32 v101, v72, v116
	;; [unrolled: 4-line block ×7, first 2 shown]
	s_waitcnt vmcnt(27) lgkmcnt(0)
	v_mul_f32_e32 v114, v94, v138
	s_waitcnt vmcnt(26)
	v_fmac_f32_e32 v98, v67, v139
	s_waitcnt vmcnt(25)
	v_fmac_f32_e32 v99, v69, v140
	v_add_f32_e32 v98, 0, v98
	s_waitcnt vmcnt(24)
	v_fmac_f32_e32 v100, v71, v141
	v_add_f32_e32 v98, v98, v99
	;; [unrolled: 3-line block ×14, first 2 shown]
	s_waitcnt vmcnt(11)
	v_mul_f32_e32 v103, v96, v154
	v_add_f32_e32 v102, v98, v114
	s_waitcnt vmcnt(10)
	v_fmac_f32_e32 v103, v97, v155
	ds_read_b128 v[98:101], v64 offset:384
	v_add_f32_e32 v107, v102, v103
	ds_read_b128 v[102:105], v64 offset:400
	buffer_load_dword v111, off, s[0:3], 0 offset:180
	buffer_load_dword v113, off, s[0:3], 0 offset:196
	buffer_load_dword v112, off, s[0:3], 0 offset:192
	buffer_load_dword v115, off, s[0:3], 0 offset:188
	buffer_load_dword v114, off, s[0:3], 0 offset:184
	buffer_load_dword v110, off, s[0:3], 0 offset:176
	buffer_load_dword v119, off, s[0:3], 0 offset:228
	buffer_load_dword v118, off, s[0:3], 0 offset:224
	buffer_load_dword v121, off, s[0:3], 0 offset:220
	buffer_load_dword v120, off, s[0:3], 0 offset:216
	buffer_load_dword v123, off, s[0:3], 0 offset:212
	buffer_load_dword v122, off, s[0:3], 0 offset:208
	buffer_load_dword v125, off, s[0:3], 0 offset:204
	buffer_load_dword v124, off, s[0:3], 0 offset:200
	buffer_load_dword v127, off, s[0:3], 0 offset:236
	buffer_load_dword v126, off, s[0:3], 0 offset:232
	v_mul_f32_e32 v65, v67, v65
	v_fma_f32 v65, v66, v139, -v65
	v_mul_f32_e32 v66, v69, v106
	v_add_f32_e32 v65, 0, v65
	v_fma_f32 v66, v68, v140, -v66
	v_add_f32_e32 v65, v65, v66
	v_mul_f32_e32 v66, v71, v108
	v_fma_f32 v66, v70, v141, -v66
	v_add_f32_e32 v65, v65, v66
	v_mul_f32_e32 v66, v73, v116
	;; [unrolled: 3-line block ×14, first 2 shown]
	v_fma_f32 v66, v96, v155, -v66
	v_add_f32_e32 v65, v65, v66
	s_waitcnt vmcnt(25) lgkmcnt(1)
	v_mul_f32_e32 v66, v99, v156
	s_waitcnt vmcnt(24)
	v_fma_f32 v66, v98, v157, -v66
	v_add_f32_e32 v65, v65, v66
	s_waitcnt vmcnt(23)
	v_mul_f32_e32 v66, v101, v158
	s_waitcnt vmcnt(22)
	v_fma_f32 v66, v100, v159, -v66
	v_add_f32_e32 v106, v65, v66
	ds_read_b128 v[66:69], v64 offset:416
	ds_read_b128 v[70:73], v64 offset:432
	;; [unrolled: 1-line block ×4, first 2 shown]
	v_mul_f32_e32 v109, v98, v156
	v_fmac_f32_e32 v109, v99, v157
	v_add_f32_e32 v107, v107, v109
	v_mul_f32_e32 v109, v100, v158
	v_fmac_f32_e32 v109, v101, v159
	v_add_f32_e32 v107, v107, v109
	s_waitcnt vmcnt(21) lgkmcnt(4)
	v_mul_f32_e32 v109, v102, v160
	v_mul_f32_e32 v65, v103, v160
	s_waitcnt vmcnt(20)
	v_fmac_f32_e32 v109, v103, v161
	s_waitcnt vmcnt(19)
	v_mul_f32_e32 v117, v104, v162
	v_fma_f32 v108, v102, v161, -v65
	v_mul_f32_e32 v65, v105, v162
	s_waitcnt vmcnt(18)
	v_fmac_f32_e32 v117, v105, v163
	v_fma_f32 v116, v104, v163, -v65
	v_pk_add_f32 v[64:65], v[106:107], v[108:109]
	v_pk_add_f32 v[64:65], v[64:65], v[116:117]
	s_waitcnt vmcnt(15)
	v_mov_b32_e32 v82, v111
	s_waitcnt lgkmcnt(3)
	v_pk_mul_f32 v[82:83], v[66:67], v[82:83] op_sel_hi:[1,0]
	s_waitcnt vmcnt(10)
	v_pk_fma_f32 v[84:85], v[66:67], v[110:111], v[82:83] op_sel:[0,0,1] op_sel_hi:[1,1,0] neg_lo:[0,0,1] neg_hi:[0,0,1]
	v_pk_fma_f32 v[66:67], v[66:67], v[110:111], v[82:83] op_sel:[0,0,1] op_sel_hi:[1,0,0]
	v_mov_b32_e32 v66, v115
	v_mov_b32_e32 v85, v67
	v_pk_mul_f32 v[66:67], v[68:69], v[66:67] op_sel_hi:[1,0]
	v_pk_fma_f32 v[82:83], v[68:69], v[114:115], v[66:67] op_sel:[0,0,1] op_sel_hi:[1,1,0] neg_lo:[0,0,1] neg_hi:[0,0,1]
	v_pk_fma_f32 v[66:67], v[68:69], v[114:115], v[66:67] op_sel:[0,0,1] op_sel_hi:[1,0,0]
	v_mov_b32_e32 v66, v113
	v_mov_b32_e32 v83, v67
	s_waitcnt lgkmcnt(2)
	v_pk_mul_f32 v[66:67], v[70:71], v[66:67] op_sel_hi:[1,0]
	v_pk_fma_f32 v[68:69], v[70:71], v[112:113], v[66:67] op_sel:[0,0,1] op_sel_hi:[1,1,0] neg_lo:[0,0,1] neg_hi:[0,0,1]
	v_pk_fma_f32 v[66:67], v[70:71], v[112:113], v[66:67] op_sel:[0,0,1] op_sel_hi:[1,0,0]
	v_pk_add_f32 v[64:65], v[64:65], v[84:85]
	s_waitcnt vmcnt(3)
	v_mov_b32_e32 v66, v125
	v_pk_add_f32 v[64:65], v[64:65], v[82:83]
	v_mov_b32_e32 v69, v67
	v_pk_mul_f32 v[66:67], v[72:73], v[66:67] op_sel_hi:[1,0]
	v_pk_add_f32 v[64:65], v[64:65], v[68:69]
	s_waitcnt vmcnt(2)
	v_pk_fma_f32 v[68:69], v[72:73], v[124:125], v[66:67] op_sel:[0,0,1] op_sel_hi:[1,1,0] neg_lo:[0,0,1] neg_hi:[0,0,1]
	v_pk_fma_f32 v[66:67], v[72:73], v[124:125], v[66:67] op_sel:[0,0,1] op_sel_hi:[1,0,0]
	v_mov_b32_e32 v66, v123
	v_mov_b32_e32 v69, v67
	s_waitcnt lgkmcnt(1)
	v_pk_mul_f32 v[66:67], v[74:75], v[66:67] op_sel_hi:[1,0]
	v_pk_add_f32 v[64:65], v[64:65], v[68:69]
	v_pk_fma_f32 v[68:69], v[74:75], v[122:123], v[66:67] op_sel:[0,0,1] op_sel_hi:[1,1,0] neg_lo:[0,0,1] neg_hi:[0,0,1]
	v_pk_fma_f32 v[66:67], v[74:75], v[122:123], v[66:67] op_sel:[0,0,1] op_sel_hi:[1,0,0]
	v_mov_b32_e32 v66, v121
	v_mov_b32_e32 v69, v67
	v_pk_mul_f32 v[66:67], v[76:77], v[66:67] op_sel_hi:[1,0]
	v_pk_add_f32 v[64:65], v[64:65], v[68:69]
	v_pk_fma_f32 v[68:69], v[76:77], v[120:121], v[66:67] op_sel:[0,0,1] op_sel_hi:[1,1,0] neg_lo:[0,0,1] neg_hi:[0,0,1]
	v_pk_fma_f32 v[66:67], v[76:77], v[120:121], v[66:67] op_sel:[0,0,1] op_sel_hi:[1,0,0]
	v_mov_b32_e32 v66, v119
	v_mov_b32_e32 v69, v67
	s_waitcnt lgkmcnt(0)
	v_pk_mul_f32 v[66:67], v[78:79], v[66:67] op_sel_hi:[1,0]
	v_pk_add_f32 v[64:65], v[64:65], v[68:69]
	v_pk_fma_f32 v[68:69], v[78:79], v[118:119], v[66:67] op_sel:[0,0,1] op_sel_hi:[1,1,0] neg_lo:[0,0,1] neg_hi:[0,0,1]
	v_pk_fma_f32 v[66:67], v[78:79], v[118:119], v[66:67] op_sel:[0,0,1] op_sel_hi:[1,0,0]
	s_waitcnt vmcnt(1)
	v_mov_b32_e32 v66, v127
	v_mov_b32_e32 v69, v67
	v_pk_mul_f32 v[66:67], v[80:81], v[66:67] op_sel_hi:[1,0]
	v_pk_add_f32 v[64:65], v[64:65], v[68:69]
	s_waitcnt vmcnt(0)
	v_pk_fma_f32 v[68:69], v[80:81], v[126:127], v[66:67] op_sel:[0,0,1] op_sel_hi:[1,1,0] neg_lo:[0,0,1] neg_hi:[0,0,1]
	v_pk_fma_f32 v[66:67], v[80:81], v[126:127], v[66:67] op_sel:[0,0,1] op_sel_hi:[1,0,0]
	v_mov_b32_e32 v69, v67
	v_pk_add_f32 v[64:65], v[64:65], v[68:69]
	v_pk_add_f32 v[62:63], v[62:63], v[64:65] neg_lo:[0,1] neg_hi:[0,1]
	buffer_store_dword v63, off, s[0:3], 0 offset:12
	buffer_store_dword v62, off, s[0:3], 0 offset:8
	s_and_saveexec_b64 s[4:5], vcc
	s_cbranch_execz .LBB93_193
; %bb.192:
	buffer_load_dword v62, off, s[0:3], 0
	buffer_load_dword v63, off, s[0:3], 0 offset:4
	v_mov_b32_e32 v0, 0
	buffer_store_dword v0, off, s[0:3], 0
	buffer_store_dword v0, off, s[0:3], 0 offset:4
	s_waitcnt vmcnt(2)
	ds_write_b64 v1, v[62:63]
.LBB93_193:
	s_or_b64 exec, exec, s[4:5]
	s_waitcnt lgkmcnt(0)
	; wave barrier
	s_waitcnt lgkmcnt(0)
	buffer_load_dword v110, off, s[0:3], 0 offset:12
	buffer_load_dword v116, off, s[0:3], 0 offset:20
	;; [unrolled: 1-line block ×42, first 2 shown]
	buffer_load_dword v0, off, s[0:3], 0
	buffer_load_dword v1, off, s[0:3], 0 offset:4
	v_mov_b32_e32 v171, 0
	ds_read2_b64 v[62:65], v171 offset0:31 offset1:32
	ds_read2_b64 v[66:69], v171 offset0:33 offset1:34
	;; [unrolled: 1-line block ×8, first 2 shown]
	s_and_b64 vcc, exec, s[16:17]
	s_waitcnt vmcnt(43) lgkmcnt(7)
	v_mul_f32_e32 v94, v62, v110
	s_waitcnt vmcnt(42)
	v_mul_f32_e32 v95, v64, v116
	s_waitcnt vmcnt(41) lgkmcnt(6)
	v_mul_f32_e32 v96, v66, v118
	s_waitcnt vmcnt(40)
	v_mul_f32_e32 v97, v68, v132
	;; [unrolled: 4-line block ×7, first 2 shown]
	s_waitcnt vmcnt(29)
	v_fmac_f32_e32 v94, v63, v143
	s_waitcnt vmcnt(28)
	v_fmac_f32_e32 v95, v65, v144
	v_add_f32_e32 v94, 0, v94
	s_waitcnt vmcnt(27)
	v_fmac_f32_e32 v96, v67, v145
	v_add_f32_e32 v94, v94, v95
	;; [unrolled: 3-line block ×12, first 2 shown]
	v_add_f32_e32 v94, v94, v106
	s_waitcnt vmcnt(16)
	v_fmac_f32_e32 v107, v89, v156
	s_waitcnt vmcnt(15) lgkmcnt(0)
	v_mul_f32_e32 v95, v90, v157
	v_add_f32_e32 v94, v94, v107
	s_waitcnt vmcnt(14)
	v_fmac_f32_e32 v95, v91, v158
	v_add_f32_e32 v98, v94, v95
	ds_read2_b64 v[94:97], v171 offset0:47 offset1:48
	s_waitcnt vmcnt(13)
	v_mul_f32_e32 v99, v92, v159
	s_waitcnt vmcnt(12)
	v_fmac_f32_e32 v99, v93, v160
	v_add_f32_e32 v102, v98, v99
	ds_read2_b64 v[98:101], v171 offset0:49 offset1:50
	s_waitcnt vmcnt(11) lgkmcnt(1)
	v_mul_f32_e32 v103, v94, v161
	s_waitcnt vmcnt(10)
	v_fmac_f32_e32 v103, v95, v162
	v_add_f32_e32 v102, v102, v103
	s_waitcnt vmcnt(9)
	v_mul_f32_e32 v103, v96, v163
	s_waitcnt vmcnt(8)
	v_fmac_f32_e32 v103, v97, v164
	v_add_f32_e32 v102, v102, v103
	s_waitcnt vmcnt(7) lgkmcnt(0)
	v_mul_f32_e32 v103, v98, v165
	s_waitcnt vmcnt(6)
	v_fmac_f32_e32 v103, v99, v166
	v_add_f32_e32 v111, v102, v103
	ds_read2_b64 v[102:105], v171 offset0:51 offset1:52
	buffer_load_dword v113, off, s[0:3], 0 offset:188
	buffer_load_dword v112, off, s[0:3], 0 offset:184
	;; [unrolled: 1-line block ×4, first 2 shown]
	ds_read2_b64 v[106:109], v171 offset0:53 offset1:54
	buffer_load_dword v121, off, s[0:3], 0 offset:220
	buffer_load_dword v120, off, s[0:3], 0 offset:216
	;; [unrolled: 1-line block ×12, first 2 shown]
	v_mul_f32_e32 v63, v63, v110
	v_fma_f32 v62, v62, v143, -v63
	v_mul_f32_e32 v63, v65, v116
	v_add_f32_e32 v62, 0, v62
	v_fma_f32 v63, v64, v144, -v63
	v_add_f32_e32 v62, v62, v63
	v_mul_f32_e32 v63, v67, v118
	v_fma_f32 v63, v66, v145, -v63
	v_add_f32_e32 v62, v62, v63
	v_mul_f32_e32 v63, v69, v132
	;; [unrolled: 3-line block ×17, first 2 shown]
	v_fma_f32 v63, v98, v166, -v63
	s_waitcnt vmcnt(21)
	v_mul_f32_e32 v117, v100, v167
	v_add_f32_e32 v110, v62, v63
	v_mul_f32_e32 v62, v101, v167
	s_waitcnt vmcnt(20)
	v_fmac_f32_e32 v117, v101, v168
	s_waitcnt vmcnt(19) lgkmcnt(1)
	v_mul_f32_e32 v119, v102, v169
	v_fma_f32 v116, v100, v168, -v62
	v_mul_f32_e32 v62, v103, v169
	s_waitcnt vmcnt(18)
	v_fmac_f32_e32 v119, v103, v170
	v_fma_f32 v118, v102, v170, -v62
	v_pk_add_f32 v[72:73], v[110:111], v[116:117]
	v_pk_add_f32 v[72:73], v[72:73], v[118:119]
	ds_read2_b64 v[62:65], v171 offset0:55 offset1:56
	ds_read2_b64 v[66:69], v171 offset0:57 offset1:58
	ds_read_b64 v[70:71], v171 offset:472
	s_waitcnt vmcnt(13)
	v_mov_b32_e32 v74, v115
	v_pk_mul_f32 v[74:75], v[104:105], v[74:75] op_sel_hi:[1,0]
	s_waitcnt vmcnt(12)
	v_pk_fma_f32 v[76:77], v[104:105], v[114:115], v[74:75] op_sel:[0,0,1] op_sel_hi:[1,1,0] neg_lo:[0,0,1] neg_hi:[0,0,1]
	v_pk_fma_f32 v[74:75], v[104:105], v[114:115], v[74:75] op_sel:[0,0,1] op_sel_hi:[1,0,0]
	v_mov_b32_e32 v74, v113
	v_mov_b32_e32 v77, v75
	s_waitcnt lgkmcnt(3)
	v_pk_mul_f32 v[74:75], v[106:107], v[74:75] op_sel_hi:[1,0]
	v_pk_add_f32 v[72:73], v[72:73], v[76:77]
	v_pk_fma_f32 v[76:77], v[106:107], v[112:113], v[74:75] op_sel:[0,0,1] op_sel_hi:[1,1,0] neg_lo:[0,0,1] neg_hi:[0,0,1]
	v_pk_fma_f32 v[74:75], v[106:107], v[112:113], v[74:75] op_sel:[0,0,1] op_sel_hi:[1,0,0]
	s_waitcnt vmcnt(5)
	v_mov_b32_e32 v74, v127
	v_mov_b32_e32 v77, v75
	v_pk_mul_f32 v[74:75], v[108:109], v[74:75] op_sel_hi:[1,0]
	v_pk_add_f32 v[72:73], v[72:73], v[76:77]
	s_waitcnt vmcnt(4)
	v_pk_fma_f32 v[76:77], v[108:109], v[126:127], v[74:75] op_sel:[0,0,1] op_sel_hi:[1,1,0] neg_lo:[0,0,1] neg_hi:[0,0,1]
	v_pk_fma_f32 v[74:75], v[108:109], v[126:127], v[74:75] op_sel:[0,0,1] op_sel_hi:[1,0,0]
	v_mov_b32_e32 v74, v125
	v_mov_b32_e32 v77, v75
	s_waitcnt lgkmcnt(2)
	v_pk_mul_f32 v[74:75], v[62:63], v[74:75] op_sel_hi:[1,0]
	v_pk_add_f32 v[72:73], v[72:73], v[76:77]
	v_pk_fma_f32 v[76:77], v[62:63], v[124:125], v[74:75] op_sel:[0,0,1] op_sel_hi:[1,1,0] neg_lo:[0,0,1] neg_hi:[0,0,1]
	v_pk_fma_f32 v[62:63], v[62:63], v[124:125], v[74:75] op_sel:[0,0,1] op_sel_hi:[1,0,0]
	v_mov_b32_e32 v77, v63
	v_pk_add_f32 v[62:63], v[72:73], v[76:77]
	v_mov_b32_e32 v72, v123
	v_pk_mul_f32 v[72:73], v[64:65], v[72:73] op_sel_hi:[1,0]
	v_pk_fma_f32 v[74:75], v[64:65], v[122:123], v[72:73] op_sel:[0,0,1] op_sel_hi:[1,1,0] neg_lo:[0,0,1] neg_hi:[0,0,1]
	v_pk_fma_f32 v[64:65], v[64:65], v[122:123], v[72:73] op_sel:[0,0,1] op_sel_hi:[1,0,0]
	v_mov_b32_e32 v64, v121
	v_mov_b32_e32 v75, v65
	s_waitcnt lgkmcnt(1)
	v_pk_mul_f32 v[64:65], v[66:67], v[64:65] op_sel_hi:[1,0]
	v_pk_fma_f32 v[72:73], v[66:67], v[120:121], v[64:65] op_sel:[0,0,1] op_sel_hi:[1,1,0] neg_lo:[0,0,1] neg_hi:[0,0,1]
	v_pk_fma_f32 v[64:65], v[66:67], v[120:121], v[64:65] op_sel:[0,0,1] op_sel_hi:[1,0,0]
	s_waitcnt vmcnt(1)
	v_mov_b32_e32 v64, v131
	v_mov_b32_e32 v73, v65
	v_pk_mul_f32 v[64:65], v[68:69], v[64:65] op_sel_hi:[1,0]
	s_waitcnt vmcnt(0)
	v_pk_fma_f32 v[66:67], v[68:69], v[130:131], v[64:65] op_sel:[0,0,1] op_sel_hi:[1,1,0] neg_lo:[0,0,1] neg_hi:[0,0,1]
	v_pk_fma_f32 v[64:65], v[68:69], v[130:131], v[64:65] op_sel:[0,0,1] op_sel_hi:[1,0,0]
	v_pk_add_f32 v[62:63], v[62:63], v[74:75]
	v_mov_b32_e32 v64, v129
	v_pk_add_f32 v[62:63], v[62:63], v[72:73]
	v_mov_b32_e32 v67, v65
	s_waitcnt lgkmcnt(0)
	v_pk_mul_f32 v[64:65], v[70:71], v[64:65] op_sel_hi:[1,0]
	v_pk_add_f32 v[62:63], v[62:63], v[66:67]
	v_pk_fma_f32 v[66:67], v[70:71], v[128:129], v[64:65] op_sel:[0,0,1] op_sel_hi:[1,1,0] neg_lo:[0,0,1] neg_hi:[0,0,1]
	v_pk_fma_f32 v[64:65], v[70:71], v[128:129], v[64:65] op_sel:[0,0,1] op_sel_hi:[1,0,0]
	v_mov_b32_e32 v67, v65
	v_pk_add_f32 v[62:63], v[62:63], v[66:67]
	v_pk_add_f32 v[0:1], v[0:1], v[62:63] neg_lo:[0,1] neg_hi:[0,1]
	buffer_store_dword v1, off, s[0:3], 0 offset:4
	buffer_store_dword v0, off, s[0:3], 0
	s_cbranch_vccz .LBB93_253
; %bb.194:
	v_pk_mov_b32 v[0:1], s[10:11], s[10:11] op_sel:[0,1]
	flat_load_dword v0, v[0:1] offset:112
	s_waitcnt vmcnt(0) lgkmcnt(0)
	v_add_u32_e32 v0, -1, v0
	v_cmp_ne_u32_e32 vcc, 28, v0
	s_and_saveexec_b64 s[4:5], vcc
	s_cbranch_execz .LBB93_196
; %bb.195:
	v_mov_b32_e32 v1, 0
	v_lshl_add_u32 v0, v0, 3, v1
	buffer_load_dword v1, v0, s[0:3], 0 offen
	buffer_load_dword v62, v0, s[0:3], 0 offen offset:4
	buffer_load_dword v63, off, s[0:3], 0 offset:228
	buffer_load_dword v64, off, s[0:3], 0 offset:224
	s_waitcnt vmcnt(3)
	buffer_store_dword v1, off, s[0:3], 0 offset:224
	s_waitcnt vmcnt(3)
	buffer_store_dword v62, off, s[0:3], 0 offset:228
	s_waitcnt vmcnt(3)
	buffer_store_dword v63, v0, s[0:3], 0 offen offset:4
	s_waitcnt vmcnt(3)
	buffer_store_dword v64, v0, s[0:3], 0 offen
.LBB93_196:
	s_or_b64 exec, exec, s[4:5]
	v_pk_mov_b32 v[0:1], s[10:11], s[10:11] op_sel:[0,1]
	flat_load_dword v0, v[0:1] offset:108
	s_waitcnt vmcnt(0) lgkmcnt(0)
	v_add_u32_e32 v0, -1, v0
	v_cmp_ne_u32_e32 vcc, 27, v0
	s_and_saveexec_b64 s[4:5], vcc
	s_cbranch_execz .LBB93_198
; %bb.197:
	v_mov_b32_e32 v1, 0
	v_lshl_add_u32 v0, v0, 3, v1
	buffer_load_dword v1, v0, s[0:3], 0 offen
	buffer_load_dword v62, v0, s[0:3], 0 offen offset:4
	buffer_load_dword v63, off, s[0:3], 0 offset:216
	buffer_load_dword v64, off, s[0:3], 0 offset:220
	s_waitcnt vmcnt(3)
	buffer_store_dword v1, off, s[0:3], 0 offset:216
	s_waitcnt vmcnt(3)
	buffer_store_dword v62, off, s[0:3], 0 offset:220
	s_waitcnt vmcnt(3)
	buffer_store_dword v63, v0, s[0:3], 0 offen
	s_waitcnt vmcnt(3)
	buffer_store_dword v64, v0, s[0:3], 0 offen offset:4
.LBB93_198:
	s_or_b64 exec, exec, s[4:5]
	v_pk_mov_b32 v[0:1], s[10:11], s[10:11] op_sel:[0,1]
	flat_load_dword v0, v[0:1] offset:104
	s_waitcnt vmcnt(0) lgkmcnt(0)
	v_add_u32_e32 v0, -1, v0
	v_cmp_ne_u32_e32 vcc, 26, v0
	s_and_saveexec_b64 s[4:5], vcc
	s_cbranch_execz .LBB93_200
; %bb.199:
	v_mov_b32_e32 v1, 0
	v_lshl_add_u32 v0, v0, 3, v1
	buffer_load_dword v1, v0, s[0:3], 0 offen
	buffer_load_dword v62, v0, s[0:3], 0 offen offset:4
	buffer_load_dword v63, off, s[0:3], 0 offset:212
	buffer_load_dword v64, off, s[0:3], 0 offset:208
	s_waitcnt vmcnt(3)
	buffer_store_dword v1, off, s[0:3], 0 offset:208
	s_waitcnt vmcnt(3)
	buffer_store_dword v62, off, s[0:3], 0 offset:212
	s_waitcnt vmcnt(3)
	buffer_store_dword v63, v0, s[0:3], 0 offen offset:4
	s_waitcnt vmcnt(3)
	buffer_store_dword v64, v0, s[0:3], 0 offen
.LBB93_200:
	s_or_b64 exec, exec, s[4:5]
	v_pk_mov_b32 v[0:1], s[10:11], s[10:11] op_sel:[0,1]
	flat_load_dword v0, v[0:1] offset:100
	s_waitcnt vmcnt(0) lgkmcnt(0)
	v_add_u32_e32 v0, -1, v0
	v_cmp_ne_u32_e32 vcc, 25, v0
	s_and_saveexec_b64 s[4:5], vcc
	s_cbranch_execz .LBB93_202
; %bb.201:
	v_mov_b32_e32 v1, 0
	v_lshl_add_u32 v0, v0, 3, v1
	buffer_load_dword v1, v0, s[0:3], 0 offen
	buffer_load_dword v62, v0, s[0:3], 0 offen offset:4
	buffer_load_dword v63, off, s[0:3], 0 offset:200
	buffer_load_dword v64, off, s[0:3], 0 offset:204
	s_waitcnt vmcnt(3)
	buffer_store_dword v1, off, s[0:3], 0 offset:200
	s_waitcnt vmcnt(3)
	buffer_store_dword v62, off, s[0:3], 0 offset:204
	s_waitcnt vmcnt(3)
	buffer_store_dword v63, v0, s[0:3], 0 offen
	s_waitcnt vmcnt(3)
	buffer_store_dword v64, v0, s[0:3], 0 offen offset:4
.LBB93_202:
	s_or_b64 exec, exec, s[4:5]
	;; [unrolled: 48-line block ×14, first 2 shown]
	v_pk_mov_b32 v[0:1], s[10:11], s[10:11] op_sel:[0,1]
	flat_load_dword v62, v[0:1]
	s_nop 0
	buffer_load_dword v0, off, s[0:3], 0
	buffer_load_dword v1, off, s[0:3], 0 offset:4
	s_waitcnt vmcnt(0) lgkmcnt(0)
	v_add_u32_e32 v62, -1, v62
	v_cmp_ne_u32_e32 vcc, 0, v62
	s_and_saveexec_b64 s[4:5], vcc
	s_cbranch_execz .LBB93_252
; %bb.251:
	v_mov_b32_e32 v63, 0
	v_lshl_add_u32 v62, v62, 3, v63
	buffer_load_dword v63, v62, s[0:3], 0 offen offset:4
	buffer_load_dword v64, v62, s[0:3], 0 offen
	s_waitcnt vmcnt(1)
	buffer_store_dword v63, off, s[0:3], 0 offset:4
	s_waitcnt vmcnt(1)
	buffer_store_dword v64, off, s[0:3], 0
	buffer_store_dword v1, v62, s[0:3], 0 offen offset:4
	buffer_store_dword v0, v62, s[0:3], 0 offen
	buffer_load_dword v0, off, s[0:3], 0
	s_nop 0
	buffer_load_dword v1, off, s[0:3], 0 offset:4
.LBB93_252:
	s_or_b64 exec, exec, s[4:5]
.LBB93_253:
	buffer_load_dword v62, off, s[0:3], 0 offset:8
	buffer_load_dword v63, off, s[0:3], 0 offset:12
	;; [unrolled: 1-line block ×58, first 2 shown]
	s_waitcnt vmcnt(58)
	global_store_dwordx2 v[52:53], v[0:1], off
	s_waitcnt vmcnt(57)
	global_store_dwordx2 v[54:55], v[62:63], off
	;; [unrolled: 2-line block ×30, first 2 shown]
	s_endpgm
	.section	.rodata,"a",@progbits
	.p2align	6, 0x0
	.amdhsa_kernel _ZN9rocsolver6v33100L18getri_kernel_smallILi30E19rocblas_complex_numIfEPKPS3_EEvT1_iilPiilS8_bb
		.amdhsa_group_segment_fixed_size 484
		.amdhsa_private_segment_fixed_size 256
		.amdhsa_kernarg_size 60
		.amdhsa_user_sgpr_count 8
		.amdhsa_user_sgpr_private_segment_buffer 1
		.amdhsa_user_sgpr_dispatch_ptr 0
		.amdhsa_user_sgpr_queue_ptr 0
		.amdhsa_user_sgpr_kernarg_segment_ptr 1
		.amdhsa_user_sgpr_dispatch_id 0
		.amdhsa_user_sgpr_flat_scratch_init 1
		.amdhsa_user_sgpr_kernarg_preload_length 0
		.amdhsa_user_sgpr_kernarg_preload_offset 0
		.amdhsa_user_sgpr_private_segment_size 0
		.amdhsa_uses_dynamic_stack 0
		.amdhsa_system_sgpr_private_segment_wavefront_offset 1
		.amdhsa_system_sgpr_workgroup_id_x 1
		.amdhsa_system_sgpr_workgroup_id_y 0
		.amdhsa_system_sgpr_workgroup_id_z 0
		.amdhsa_system_sgpr_workgroup_info 0
		.amdhsa_system_vgpr_workitem_id 0
		.amdhsa_next_free_vgpr 172
		.amdhsa_next_free_sgpr 22
		.amdhsa_accum_offset 172
		.amdhsa_reserve_vcc 1
		.amdhsa_reserve_flat_scratch 1
		.amdhsa_float_round_mode_32 0
		.amdhsa_float_round_mode_16_64 0
		.amdhsa_float_denorm_mode_32 3
		.amdhsa_float_denorm_mode_16_64 3
		.amdhsa_dx10_clamp 1
		.amdhsa_ieee_mode 1
		.amdhsa_fp16_overflow 0
		.amdhsa_tg_split 0
		.amdhsa_exception_fp_ieee_invalid_op 0
		.amdhsa_exception_fp_denorm_src 0
		.amdhsa_exception_fp_ieee_div_zero 0
		.amdhsa_exception_fp_ieee_overflow 0
		.amdhsa_exception_fp_ieee_underflow 0
		.amdhsa_exception_fp_ieee_inexact 0
		.amdhsa_exception_int_div_zero 0
	.end_amdhsa_kernel
	.section	.text._ZN9rocsolver6v33100L18getri_kernel_smallILi30E19rocblas_complex_numIfEPKPS3_EEvT1_iilPiilS8_bb,"axG",@progbits,_ZN9rocsolver6v33100L18getri_kernel_smallILi30E19rocblas_complex_numIfEPKPS3_EEvT1_iilPiilS8_bb,comdat
.Lfunc_end93:
	.size	_ZN9rocsolver6v33100L18getri_kernel_smallILi30E19rocblas_complex_numIfEPKPS3_EEvT1_iilPiilS8_bb, .Lfunc_end93-_ZN9rocsolver6v33100L18getri_kernel_smallILi30E19rocblas_complex_numIfEPKPS3_EEvT1_iilPiilS8_bb
                                        ; -- End function
	.section	.AMDGPU.csdata,"",@progbits
; Kernel info:
; codeLenInByte = 43476
; NumSgprs: 28
; NumVgprs: 172
; NumAgprs: 0
; TotalNumVgprs: 172
; ScratchSize: 256
; MemoryBound: 0
; FloatMode: 240
; IeeeMode: 1
; LDSByteSize: 484 bytes/workgroup (compile time only)
; SGPRBlocks: 3
; VGPRBlocks: 21
; NumSGPRsForWavesPerEU: 28
; NumVGPRsForWavesPerEU: 172
; AccumOffset: 172
; Occupancy: 2
; WaveLimiterHint : 1
; COMPUTE_PGM_RSRC2:SCRATCH_EN: 1
; COMPUTE_PGM_RSRC2:USER_SGPR: 8
; COMPUTE_PGM_RSRC2:TRAP_HANDLER: 0
; COMPUTE_PGM_RSRC2:TGID_X_EN: 1
; COMPUTE_PGM_RSRC2:TGID_Y_EN: 0
; COMPUTE_PGM_RSRC2:TGID_Z_EN: 0
; COMPUTE_PGM_RSRC2:TIDIG_COMP_CNT: 0
; COMPUTE_PGM_RSRC3_GFX90A:ACCUM_OFFSET: 42
; COMPUTE_PGM_RSRC3_GFX90A:TG_SPLIT: 0
	.section	.text._ZN9rocsolver6v33100L18getri_kernel_smallILi31E19rocblas_complex_numIfEPKPS3_EEvT1_iilPiilS8_bb,"axG",@progbits,_ZN9rocsolver6v33100L18getri_kernel_smallILi31E19rocblas_complex_numIfEPKPS3_EEvT1_iilPiilS8_bb,comdat
	.globl	_ZN9rocsolver6v33100L18getri_kernel_smallILi31E19rocblas_complex_numIfEPKPS3_EEvT1_iilPiilS8_bb ; -- Begin function _ZN9rocsolver6v33100L18getri_kernel_smallILi31E19rocblas_complex_numIfEPKPS3_EEvT1_iilPiilS8_bb
	.p2align	8
	.type	_ZN9rocsolver6v33100L18getri_kernel_smallILi31E19rocblas_complex_numIfEPKPS3_EEvT1_iilPiilS8_bb,@function
_ZN9rocsolver6v33100L18getri_kernel_smallILi31E19rocblas_complex_numIfEPKPS3_EEvT1_iilPiilS8_bb: ; @_ZN9rocsolver6v33100L18getri_kernel_smallILi31E19rocblas_complex_numIfEPKPS3_EEvT1_iilPiilS8_bb
; %bb.0:
	s_add_u32 flat_scratch_lo, s6, s9
	s_addc_u32 flat_scratch_hi, s7, 0
	s_add_u32 s0, s0, s9
	s_addc_u32 s1, s1, 0
	v_cmp_gt_u32_e32 vcc, 31, v0
	s_and_saveexec_b64 s[6:7], vcc
	s_cbranch_execz .LBB94_138
; %bb.1:
	s_load_dword s20, s[4:5], 0x38
	s_load_dwordx2 s[6:7], s[4:5], 0x0
	s_load_dwordx4 s[12:15], s[4:5], 0x28
	s_waitcnt lgkmcnt(0)
	s_bitcmp1_b32 s20, 8
	s_cselect_b64 s[16:17], -1, 0
	s_ashr_i32 s9, s8, 31
	s_lshl_b64 s[10:11], s[8:9], 3
	s_add_u32 s6, s6, s10
	s_addc_u32 s7, s7, s11
	s_load_dwordx2 s[18:19], s[6:7], 0x0
	s_bfe_u32 s6, s20, 0x10008
	s_cmp_eq_u32 s6, 0
                                        ; implicit-def: $sgpr10_sgpr11
	s_cbranch_scc1 .LBB94_3
; %bb.2:
	s_load_dword s6, s[4:5], 0x20
	s_load_dwordx2 s[10:11], s[4:5], 0x18
	s_mul_i32 s7, s8, s13
	s_mul_hi_u32 s13, s8, s12
	s_add_i32 s13, s13, s7
	s_mul_i32 s21, s9, s12
	s_add_i32 s13, s13, s21
	s_mul_i32 s12, s8, s12
	s_waitcnt lgkmcnt(0)
	s_ashr_i32 s7, s6, 31
	s_lshl_b64 s[12:13], s[12:13], 2
	s_add_u32 s10, s10, s12
	s_addc_u32 s11, s11, s13
	s_lshl_b64 s[6:7], s[6:7], 2
	s_add_u32 s10, s10, s6
	s_addc_u32 s11, s11, s7
.LBB94_3:
	s_load_dwordx2 s[6:7], s[4:5], 0x8
	v_lshlrev_b32_e32 v68, 3, v0
	s_waitcnt lgkmcnt(0)
	s_ashr_i32 s5, s6, 31
	s_mov_b32 s4, s6
	s_lshl_b64 s[4:5], s[4:5], 3
	s_add_u32 s4, s18, s4
	s_addc_u32 s5, s19, s5
	s_add_i32 s6, s7, s7
	v_add_u32_e32 v4, s6, v0
	v_ashrrev_i32_e32 v5, 31, v4
	v_lshlrev_b64 v[2:3], 3, v[4:5]
	v_add_u32_e32 v6, s7, v4
	v_mov_b32_e32 v1, s5
	v_add_co_u32_e32 v2, vcc, s4, v2
	v_ashrrev_i32_e32 v7, 31, v6
	v_addc_co_u32_e32 v3, vcc, v1, v3, vcc
	v_lshlrev_b64 v[4:5], 3, v[6:7]
	v_add_u32_e32 v8, s7, v6
	v_add_co_u32_e32 v4, vcc, s4, v4
	v_ashrrev_i32_e32 v9, 31, v8
	v_addc_co_u32_e32 v5, vcc, v1, v5, vcc
	v_lshlrev_b64 v[6:7], 3, v[8:9]
	v_add_u32_e32 v10, s7, v8
	;; [unrolled: 5-line block ×23, first 2 shown]
	v_add_co_u32_e32 v48, vcc, s4, v48
	v_ashrrev_i32_e32 v53, 31, v52
	v_addc_co_u32_e32 v49, vcc, v1, v49, vcc
	v_lshlrev_b64 v[50:51], 3, v[52:53]
	v_add_co_u32_e32 v50, vcc, s4, v50
	v_addc_co_u32_e32 v51, vcc, v1, v51, vcc
	v_add_co_u32_e32 v54, vcc, s4, v68
	s_ashr_i32 s13, s7, 31
	s_mov_b32 s12, s7
	v_add_u32_e32 v58, s7, v52
	v_addc_co_u32_e32 v55, vcc, 0, v1, vcc
	s_lshl_b64 s[12:13], s[12:13], 3
	v_ashrrev_i32_e32 v59, 31, v58
	v_mov_b32_e32 v1, s13
	v_add_co_u32_e32 v56, vcc, s12, v54
	v_lshlrev_b64 v[52:53], 3, v[58:59]
	v_addc_co_u32_e32 v57, vcc, v55, v1, vcc
	v_add_u32_e32 v60, s7, v58
	v_mov_b32_e32 v1, s5
	v_add_co_u32_e32 v52, vcc, s4, v52
	v_ashrrev_i32_e32 v61, 31, v60
	v_addc_co_u32_e32 v53, vcc, v1, v53, vcc
	v_lshlrev_b64 v[58:59], 3, v[60:61]
	v_add_u32_e32 v62, s7, v60
	v_add_co_u32_e32 v58, vcc, s4, v58
	v_ashrrev_i32_e32 v63, 31, v62
	v_addc_co_u32_e32 v59, vcc, v1, v59, vcc
	v_lshlrev_b64 v[60:61], 3, v[62:63]
	v_add_co_u32_e32 v60, vcc, s4, v60
	global_load_dwordx2 v[64:65], v68, s[4:5]
	global_load_dwordx2 v[66:67], v[56:57], off
	global_load_dwordx2 v[70:71], v[2:3], off
	;; [unrolled: 1-line block ×21, first 2 shown]
	v_addc_co_u32_e32 v61, vcc, v1, v61, vcc
	global_load_dwordx2 v[110:111], v[42:43], off
	global_load_dwordx2 v[112:113], v[44:45], off
	;; [unrolled: 1-line block ×8, first 2 shown]
	v_add_u32_e32 v62, s7, v62
	v_ashrrev_i32_e32 v63, 31, v62
	v_lshlrev_b64 v[62:63], 3, v[62:63]
	v_add_co_u32_e32 v62, vcc, s4, v62
	v_addc_co_u32_e32 v63, vcc, v1, v63, vcc
	global_load_dwordx2 v[126:127], v[62:63], off
	s_bitcmp0_b32 s20, 0
	s_mov_b64 s[6:7], -1
	s_waitcnt vmcnt(30)
	buffer_store_dword v65, off, s[0:3], 0 offset:4
	buffer_store_dword v64, off, s[0:3], 0
	s_waitcnt vmcnt(31)
	buffer_store_dword v67, off, s[0:3], 0 offset:12
	buffer_store_dword v66, off, s[0:3], 0 offset:8
	s_waitcnt vmcnt(32)
	buffer_store_dword v71, off, s[0:3], 0 offset:20
	buffer_store_dword v70, off, s[0:3], 0 offset:16
	;; [unrolled: 3-line block ×30, first 2 shown]
	s_cbranch_scc1 .LBB94_136
; %bb.4:
	v_cmp_eq_u32_e64 s[4:5], 0, v0
	s_and_saveexec_b64 s[6:7], s[4:5]
	s_cbranch_execz .LBB94_6
; %bb.5:
	v_mov_b32_e32 v1, 0
	ds_write_b32 v1, v1 offset:248
.LBB94_6:
	s_or_b64 exec, exec, s[6:7]
	v_mov_b32_e32 v1, 0
	v_lshl_add_u32 v69, v0, 3, v1
	s_waitcnt lgkmcnt(0)
	; wave barrier
	s_waitcnt lgkmcnt(0)
	buffer_load_dword v1, v69, s[0:3], 0 offen
	buffer_load_dword v64, v69, s[0:3], 0 offen offset:4
	s_waitcnt vmcnt(1)
	v_cmp_eq_f32_e32 vcc, 0, v1
	s_waitcnt vmcnt(0)
	v_cmp_eq_f32_e64 s[6:7], 0, v64
	s_and_b64 s[6:7], vcc, s[6:7]
	s_and_saveexec_b64 s[12:13], s[6:7]
	s_cbranch_execz .LBB94_10
; %bb.7:
	v_mov_b32_e32 v1, 0
	ds_read_b32 v65, v1 offset:248
	v_add_u32_e32 v64, 1, v0
	s_waitcnt lgkmcnt(0)
	v_readfirstlane_b32 s6, v65
	s_cmp_eq_u32 s6, 0
	s_cselect_b64 s[18:19], -1, 0
	v_cmp_gt_i32_e32 vcc, s6, v64
	s_or_b64 s[18:19], s[18:19], vcc
	s_and_b64 exec, exec, s[18:19]
	s_cbranch_execz .LBB94_10
; %bb.8:
	s_mov_b64 s[18:19], 0
	v_mov_b32_e32 v65, s6
.LBB94_9:                               ; =>This Inner Loop Header: Depth=1
	ds_cmpst_rtn_b32 v65, v1, v65, v64 offset:248
	s_waitcnt lgkmcnt(0)
	v_cmp_ne_u32_e32 vcc, 0, v65
	v_cmp_le_i32_e64 s[6:7], v65, v64
	s_and_b64 s[6:7], vcc, s[6:7]
	s_and_b64 s[6:7], exec, s[6:7]
	s_or_b64 s[18:19], s[6:7], s[18:19]
	s_andn2_b64 exec, exec, s[18:19]
	s_cbranch_execnz .LBB94_9
.LBB94_10:
	s_or_b64 exec, exec, s[12:13]
	v_mov_b32_e32 v64, 0
	s_waitcnt lgkmcnt(0)
	; wave barrier
	ds_read_b32 v1, v64 offset:248
	s_and_saveexec_b64 s[6:7], s[4:5]
	s_cbranch_execz .LBB94_12
; %bb.11:
	s_lshl_b64 s[12:13], s[8:9], 2
	s_add_u32 s12, s14, s12
	s_addc_u32 s13, s15, s13
	s_waitcnt lgkmcnt(0)
	global_store_dword v64, v1, s[12:13]
.LBB94_12:
	s_or_b64 exec, exec, s[6:7]
	s_waitcnt lgkmcnt(0)
	v_cmp_ne_u32_e32 vcc, 0, v1
	s_mov_b64 s[6:7], 0
	s_cbranch_vccnz .LBB94_136
; %bb.13:
	buffer_load_dword v70, v69, s[0:3], 0 offen offset:4
	buffer_load_dword v65, v69, s[0:3], 0 offen
	s_waitcnt vmcnt(1)
	v_cmp_gt_f32_e32 vcc, 0, v70
	v_cndmask_b32_e64 v1, v70, -v70, vcc
	s_waitcnt vmcnt(0)
	v_cmp_gt_f32_e32 vcc, 0, v65
	v_cndmask_b32_e64 v64, v65, -v65, vcc
	v_cmp_ngt_f32_e32 vcc, v64, v1
                                        ; implicit-def: $vgpr1
                                        ; implicit-def: $vgpr64
	s_and_saveexec_b64 s[6:7], vcc
	s_xor_b64 s[6:7], exec, s[6:7]
                                        ; implicit-def: $vgpr66_vgpr67
	s_cbranch_execz .LBB94_15
; %bb.14:
	v_div_scale_f32 v1, s[12:13], v70, v70, v65
	v_rcp_f32_e32 v64, v1
	v_div_scale_f32 v66, vcc, v65, v70, v65
	v_fma_f32 v67, -v1, v64, 1.0
	v_fmac_f32_e32 v64, v67, v64
	v_mul_f32_e32 v67, v66, v64
	v_fma_f32 v71, -v1, v67, v66
	v_fmac_f32_e32 v67, v71, v64
	v_fma_f32 v1, -v1, v67, v66
	v_div_fmas_f32 v1, v1, v64, v67
	v_div_fixup_f32 v64, v1, v70, v65
	v_fmac_f32_e32 v70, v65, v64
	v_div_scale_f32 v1, s[12:13], v70, v70, -1.0
	v_rcp_f32_e32 v65, v1
	v_fma_f32 v66, -v1, v65, 1.0
	v_fmac_f32_e32 v65, v66, v65
	v_div_scale_f32 v66, vcc, -1.0, v70, -1.0
	v_mul_f32_e32 v67, v66, v65
	v_fma_f32 v71, -v1, v67, v66
	v_fmac_f32_e32 v67, v71, v65
	v_fma_f32 v1, -v1, v67, v66
	v_div_fmas_f32 v1, v1, v65, v67
	v_div_fixup_f32 v1, v1, v70, -1.0
	v_mul_f32_e32 v64, v64, v1
	v_xor_b32_e32 v66, 0x80000000, v64
                                        ; implicit-def: $vgpr65
                                        ; implicit-def: $vgpr70
.LBB94_15:
	s_andn2_saveexec_b64 s[6:7], s[6:7]
	s_cbranch_execz .LBB94_17
; %bb.16:
	v_div_scale_f32 v1, s[12:13], v65, v65, v70
	v_rcp_f32_e32 v64, v1
	v_div_scale_f32 v66, vcc, v70, v65, v70
	v_fma_f32 v67, -v1, v64, 1.0
	v_fmac_f32_e32 v64, v67, v64
	v_mul_f32_e32 v67, v66, v64
	v_fma_f32 v71, -v1, v67, v66
	v_fmac_f32_e32 v67, v71, v64
	v_fma_f32 v1, -v1, v67, v66
	v_div_fmas_f32 v1, v1, v64, v67
	v_div_fixup_f32 v1, v1, v65, v70
	v_fmac_f32_e32 v65, v70, v1
	v_div_scale_f32 v64, s[12:13], v65, v65, 1.0
	v_rcp_f32_e32 v66, v64
	v_fma_f32 v67, -v64, v66, 1.0
	v_fmac_f32_e32 v66, v67, v66
	v_div_scale_f32 v67, vcc, 1.0, v65, 1.0
	v_mul_f32_e32 v70, v67, v66
	v_fma_f32 v71, -v64, v70, v67
	v_fmac_f32_e32 v70, v71, v66
	v_fma_f32 v64, -v64, v70, v67
	v_div_fmas_f32 v64, v64, v66, v70
	v_div_fixup_f32 v66, v64, v65, 1.0
	v_xor_b32_e32 v64, 0x80000000, v66
	v_mul_f32_e64 v1, v1, -v66
.LBB94_17:
	s_or_b64 exec, exec, s[6:7]
	buffer_store_dword v1, v69, s[0:3], 0 offen offset:4
	buffer_store_dword v66, v69, s[0:3], 0 offen
	buffer_load_dword v67, off, s[0:3], 0 offset:12
	s_nop 0
	buffer_load_dword v66, off, s[0:3], 0 offset:8
	v_xor_b32_e32 v65, 0x80000000, v1
	v_add_u32_e32 v1, 0x100, v68
	s_waitcnt vmcnt(0)
	ds_write2_b64 v68, v[64:65], v[66:67] offset1:32
	s_waitcnt lgkmcnt(0)
	; wave barrier
	s_waitcnt lgkmcnt(0)
	s_and_saveexec_b64 s[6:7], s[4:5]
	s_cbranch_execz .LBB94_19
; %bb.18:
	buffer_load_dword v70, v69, s[0:3], 0 offen offset:4
	buffer_load_dword v71, v69, s[0:3], 0 offen
	ds_read_b64 v[64:65], v1
	v_mov_b32_e32 v66, 0
	ds_read_b64 v[66:67], v66 offset:8
	s_waitcnt vmcnt(1) lgkmcnt(1)
	v_mul_f32_e32 v72, v65, v70
	v_mul_f32_e32 v70, v64, v70
	s_waitcnt vmcnt(0)
	v_fmac_f32_e32 v70, v65, v71
	v_fma_f32 v64, v64, v71, -v72
	v_add_f32_e32 v65, 0, v70
	v_add_f32_e32 v64, 0, v64
	s_waitcnt lgkmcnt(0)
	v_mul_f32_e32 v70, v65, v67
	v_mul_f32_e32 v67, v64, v67
	v_fma_f32 v64, v64, v66, -v70
	v_fmac_f32_e32 v67, v65, v66
	buffer_store_dword v64, off, s[0:3], 0 offset:8
	buffer_store_dword v67, off, s[0:3], 0 offset:12
.LBB94_19:
	s_or_b64 exec, exec, s[6:7]
	s_waitcnt lgkmcnt(0)
	; wave barrier
	buffer_load_dword v64, off, s[0:3], 0 offset:16
	buffer_load_dword v65, off, s[0:3], 0 offset:20
	v_cmp_gt_u32_e32 vcc, 2, v0
	s_waitcnt vmcnt(0)
	ds_write_b64 v1, v[64:65]
	s_waitcnt lgkmcnt(0)
	; wave barrier
	s_waitcnt lgkmcnt(0)
	s_and_saveexec_b64 s[6:7], vcc
	s_cbranch_execz .LBB94_23
; %bb.20:
	buffer_load_dword v66, v69, s[0:3], 0 offen offset:4
	buffer_load_dword v67, v69, s[0:3], 0 offen
	ds_read_b64 v[64:65], v1
	s_waitcnt vmcnt(1) lgkmcnt(0)
	v_mul_f32_e32 v69, v65, v66
	v_mul_f32_e32 v66, v64, v66
	s_waitcnt vmcnt(0)
	v_fma_f32 v64, v64, v67, -v69
	v_fmac_f32_e32 v66, v65, v67
	v_add_f32_e32 v65, 0, v64
	v_add_f32_e32 v64, 0, v66
	s_and_saveexec_b64 s[12:13], s[4:5]
	s_cbranch_execz .LBB94_22
; %bb.21:
	buffer_load_dword v69, off, s[0:3], 0 offset:12
	buffer_load_dword v70, off, s[0:3], 0 offset:8
	v_mov_b32_e32 v66, 0
	ds_read_b64 v[66:67], v66 offset:264
	s_waitcnt vmcnt(1) lgkmcnt(0)
	v_mul_f32_e32 v71, v66, v69
	v_mul_f32_e32 v69, v67, v69
	s_waitcnt vmcnt(0)
	v_fmac_f32_e32 v71, v67, v70
	v_fma_f32 v66, v66, v70, -v69
	v_add_f32_e32 v64, v64, v71
	v_add_f32_e32 v65, v65, v66
.LBB94_22:
	s_or_b64 exec, exec, s[12:13]
	v_mov_b32_e32 v66, 0
	ds_read_b64 v[66:67], v66 offset:16
	s_waitcnt lgkmcnt(0)
	v_mul_f32_e32 v69, v64, v67
	v_mul_f32_e32 v67, v65, v67
	v_fma_f32 v65, v65, v66, -v69
	v_fmac_f32_e32 v67, v64, v66
	buffer_store_dword v65, off, s[0:3], 0 offset:16
	buffer_store_dword v67, off, s[0:3], 0 offset:20
.LBB94_23:
	s_or_b64 exec, exec, s[6:7]
	s_waitcnt lgkmcnt(0)
	; wave barrier
	buffer_load_dword v64, off, s[0:3], 0 offset:24
	buffer_load_dword v65, off, s[0:3], 0 offset:28
	v_cmp_gt_u32_e32 vcc, 3, v0
	s_waitcnt vmcnt(0)
	ds_write_b64 v1, v[64:65]
	v_add_u32_e32 v64, -1, v0
	s_waitcnt lgkmcnt(0)
	; wave barrier
	s_waitcnt lgkmcnt(0)
	s_and_saveexec_b64 s[4:5], vcc
	s_cbranch_execz .LBB94_27
; %bb.24:
	v_add_u32_e32 v66, -1, v0
	v_add_u32_e32 v67, 0x100, v68
	v_add_u32_e32 v69, 0, v68
	s_mov_b64 s[6:7], 0
	v_mov_b32_e32 v65, 0
	v_mov_b32_e32 v70, 0
.LBB94_25:                              ; =>This Inner Loop Header: Depth=1
	buffer_load_dword v71, v69, s[0:3], 0 offen offset:4
	buffer_load_dword v74, v69, s[0:3], 0 offen
	ds_read_b64 v[72:73], v67
	v_add_u32_e32 v66, 1, v66
	v_cmp_lt_u32_e32 vcc, 1, v66
	v_add_u32_e32 v67, 8, v67
	v_add_u32_e32 v69, 8, v69
	s_or_b64 s[6:7], vcc, s[6:7]
	s_waitcnt vmcnt(1) lgkmcnt(0)
	v_mul_f32_e32 v75, v73, v71
	v_mul_f32_e32 v71, v72, v71
	s_waitcnt vmcnt(0)
	v_fma_f32 v72, v72, v74, -v75
	v_fmac_f32_e32 v71, v73, v74
	v_add_f32_e32 v70, v70, v72
	v_add_f32_e32 v65, v65, v71
	s_andn2_b64 exec, exec, s[6:7]
	s_cbranch_execnz .LBB94_25
; %bb.26:
	s_or_b64 exec, exec, s[6:7]
	v_mov_b32_e32 v66, 0
	ds_read_b64 v[66:67], v66 offset:24
	s_waitcnt lgkmcnt(0)
	v_mul_f32_e32 v69, v65, v67
	v_mul_f32_e32 v67, v70, v67
	v_fma_f32 v69, v70, v66, -v69
	v_fmac_f32_e32 v67, v65, v66
	buffer_store_dword v69, off, s[0:3], 0 offset:24
	buffer_store_dword v67, off, s[0:3], 0 offset:28
.LBB94_27:
	s_or_b64 exec, exec, s[4:5]
	s_waitcnt lgkmcnt(0)
	; wave barrier
	buffer_load_dword v66, off, s[0:3], 0 offset:32
	buffer_load_dword v67, off, s[0:3], 0 offset:36
	v_cmp_gt_u32_e32 vcc, 4, v0
	s_waitcnt vmcnt(0)
	ds_write_b64 v1, v[66:67]
	s_waitcnt lgkmcnt(0)
	; wave barrier
	s_waitcnt lgkmcnt(0)
	s_and_saveexec_b64 s[4:5], vcc
	s_cbranch_execz .LBB94_31
; %bb.28:
	v_add_u32_e32 v66, -1, v0
	v_add_u32_e32 v67, 0x100, v68
	v_add_u32_e32 v69, 0, v68
	s_mov_b64 s[6:7], 0
	v_mov_b32_e32 v65, 0
	v_mov_b32_e32 v70, 0
.LBB94_29:                              ; =>This Inner Loop Header: Depth=1
	buffer_load_dword v71, v69, s[0:3], 0 offen offset:4
	buffer_load_dword v74, v69, s[0:3], 0 offen
	ds_read_b64 v[72:73], v67
	v_add_u32_e32 v66, 1, v66
	v_cmp_lt_u32_e32 vcc, 2, v66
	v_add_u32_e32 v67, 8, v67
	v_add_u32_e32 v69, 8, v69
	s_or_b64 s[6:7], vcc, s[6:7]
	s_waitcnt vmcnt(1) lgkmcnt(0)
	v_mul_f32_e32 v75, v73, v71
	v_mul_f32_e32 v71, v72, v71
	s_waitcnt vmcnt(0)
	v_fma_f32 v72, v72, v74, -v75
	v_fmac_f32_e32 v71, v73, v74
	v_add_f32_e32 v70, v70, v72
	v_add_f32_e32 v65, v65, v71
	s_andn2_b64 exec, exec, s[6:7]
	s_cbranch_execnz .LBB94_29
; %bb.30:
	s_or_b64 exec, exec, s[6:7]
	v_mov_b32_e32 v66, 0
	ds_read_b64 v[66:67], v66 offset:32
	s_waitcnt lgkmcnt(0)
	v_mul_f32_e32 v69, v65, v67
	v_mul_f32_e32 v67, v70, v67
	v_fma_f32 v69, v70, v66, -v69
	v_fmac_f32_e32 v67, v65, v66
	buffer_store_dword v69, off, s[0:3], 0 offset:32
	buffer_store_dword v67, off, s[0:3], 0 offset:36
.LBB94_31:
	s_or_b64 exec, exec, s[4:5]
	s_waitcnt lgkmcnt(0)
	; wave barrier
	buffer_load_dword v66, off, s[0:3], 0 offset:40
	buffer_load_dword v67, off, s[0:3], 0 offset:44
	v_cmp_gt_u32_e32 vcc, 5, v0
	s_waitcnt vmcnt(0)
	ds_write_b64 v1, v[66:67]
	;; [unrolled: 51-line block ×19, first 2 shown]
	s_waitcnt lgkmcnt(0)
	; wave barrier
	s_waitcnt lgkmcnt(0)
	s_and_saveexec_b64 s[4:5], vcc
	s_cbranch_execz .LBB94_103
; %bb.100:
	v_add_u32_e32 v66, -1, v0
	v_add_u32_e32 v67, 0x100, v68
	v_add_u32_e32 v69, 0, v68
	s_mov_b64 s[6:7], 0
	v_mov_b32_e32 v65, 0
	v_mov_b32_e32 v70, 0
.LBB94_101:                             ; =>This Inner Loop Header: Depth=1
	buffer_load_dword v71, v69, s[0:3], 0 offen offset:4
	buffer_load_dword v74, v69, s[0:3], 0 offen
	ds_read_b64 v[72:73], v67
	v_add_u32_e32 v66, 1, v66
	v_cmp_lt_u32_e32 vcc, 20, v66
	v_add_u32_e32 v67, 8, v67
	v_add_u32_e32 v69, 8, v69
	s_or_b64 s[6:7], vcc, s[6:7]
	s_waitcnt vmcnt(1) lgkmcnt(0)
	v_mul_f32_e32 v75, v73, v71
	v_mul_f32_e32 v71, v72, v71
	s_waitcnt vmcnt(0)
	v_fma_f32 v72, v72, v74, -v75
	v_fmac_f32_e32 v71, v73, v74
	v_add_f32_e32 v70, v70, v72
	v_add_f32_e32 v65, v65, v71
	s_andn2_b64 exec, exec, s[6:7]
	s_cbranch_execnz .LBB94_101
; %bb.102:
	s_or_b64 exec, exec, s[6:7]
	v_mov_b32_e32 v66, 0
	ds_read_b64 v[66:67], v66 offset:176
	s_waitcnt lgkmcnt(0)
	v_mul_f32_e32 v69, v65, v67
	v_mul_f32_e32 v67, v70, v67
	v_fma_f32 v69, v70, v66, -v69
	v_fmac_f32_e32 v67, v65, v66
	buffer_store_dword v69, off, s[0:3], 0 offset:176
	buffer_store_dword v67, off, s[0:3], 0 offset:180
.LBB94_103:
	s_or_b64 exec, exec, s[4:5]
	s_waitcnt lgkmcnt(0)
	; wave barrier
	buffer_load_dword v66, off, s[0:3], 0 offset:184
	buffer_load_dword v67, off, s[0:3], 0 offset:188
	v_cmp_gt_u32_e32 vcc, 23, v0
	s_waitcnt vmcnt(0)
	ds_write_b64 v1, v[66:67]
	s_waitcnt lgkmcnt(0)
	; wave barrier
	s_waitcnt lgkmcnt(0)
	s_and_saveexec_b64 s[4:5], vcc
	s_cbranch_execz .LBB94_107
; %bb.104:
	v_add_u32_e32 v66, -1, v0
	v_add_u32_e32 v67, 0x100, v68
	v_add_u32_e32 v69, 0, v68
	s_mov_b64 s[6:7], 0
	v_mov_b32_e32 v65, 0
	v_mov_b32_e32 v70, 0
.LBB94_105:                             ; =>This Inner Loop Header: Depth=1
	buffer_load_dword v71, v69, s[0:3], 0 offen offset:4
	buffer_load_dword v74, v69, s[0:3], 0 offen
	ds_read_b64 v[72:73], v67
	v_add_u32_e32 v66, 1, v66
	v_cmp_lt_u32_e32 vcc, 21, v66
	v_add_u32_e32 v67, 8, v67
	v_add_u32_e32 v69, 8, v69
	s_or_b64 s[6:7], vcc, s[6:7]
	s_waitcnt vmcnt(1) lgkmcnt(0)
	v_mul_f32_e32 v75, v73, v71
	v_mul_f32_e32 v71, v72, v71
	s_waitcnt vmcnt(0)
	v_fma_f32 v72, v72, v74, -v75
	v_fmac_f32_e32 v71, v73, v74
	v_add_f32_e32 v70, v70, v72
	v_add_f32_e32 v65, v65, v71
	s_andn2_b64 exec, exec, s[6:7]
	s_cbranch_execnz .LBB94_105
; %bb.106:
	s_or_b64 exec, exec, s[6:7]
	v_mov_b32_e32 v66, 0
	ds_read_b64 v[66:67], v66 offset:184
	s_waitcnt lgkmcnt(0)
	v_mul_f32_e32 v69, v65, v67
	v_mul_f32_e32 v67, v70, v67
	v_fma_f32 v69, v70, v66, -v69
	v_fmac_f32_e32 v67, v65, v66
	buffer_store_dword v69, off, s[0:3], 0 offset:184
	buffer_store_dword v67, off, s[0:3], 0 offset:188
.LBB94_107:
	s_or_b64 exec, exec, s[4:5]
	s_waitcnt lgkmcnt(0)
	; wave barrier
	buffer_load_dword v66, off, s[0:3], 0 offset:192
	buffer_load_dword v67, off, s[0:3], 0 offset:196
	v_cmp_gt_u32_e32 vcc, 24, v0
	s_waitcnt vmcnt(0)
	ds_write_b64 v1, v[66:67]
	;; [unrolled: 51-line block ×7, first 2 shown]
	s_waitcnt lgkmcnt(0)
	; wave barrier
	s_waitcnt lgkmcnt(0)
	s_and_saveexec_b64 s[4:5], vcc
	s_cbranch_execz .LBB94_131
; %bb.128:
	v_add_u32_e32 v66, -1, v0
	v_add_u32_e32 v67, 0x100, v68
	v_add_u32_e32 v69, 0, v68
	s_mov_b64 s[6:7], 0
	v_mov_b32_e32 v65, 0
	v_mov_b32_e32 v70, 0
.LBB94_129:                             ; =>This Inner Loop Header: Depth=1
	buffer_load_dword v71, v69, s[0:3], 0 offen offset:4
	buffer_load_dword v74, v69, s[0:3], 0 offen
	ds_read_b64 v[72:73], v67
	v_add_u32_e32 v66, 1, v66
	v_cmp_lt_u32_e32 vcc, 27, v66
	v_add_u32_e32 v67, 8, v67
	v_add_u32_e32 v69, 8, v69
	s_or_b64 s[6:7], vcc, s[6:7]
	s_waitcnt vmcnt(1) lgkmcnt(0)
	v_mul_f32_e32 v75, v73, v71
	v_mul_f32_e32 v71, v72, v71
	s_waitcnt vmcnt(0)
	v_fma_f32 v72, v72, v74, -v75
	v_fmac_f32_e32 v71, v73, v74
	v_add_f32_e32 v70, v70, v72
	v_add_f32_e32 v65, v65, v71
	s_andn2_b64 exec, exec, s[6:7]
	s_cbranch_execnz .LBB94_129
; %bb.130:
	s_or_b64 exec, exec, s[6:7]
	v_mov_b32_e32 v66, 0
	ds_read_b64 v[66:67], v66 offset:232
	s_waitcnt lgkmcnt(0)
	v_mul_f32_e32 v69, v65, v67
	v_mul_f32_e32 v67, v70, v67
	v_fma_f32 v69, v70, v66, -v69
	v_fmac_f32_e32 v67, v65, v66
	buffer_store_dword v69, off, s[0:3], 0 offset:232
	buffer_store_dword v67, off, s[0:3], 0 offset:236
.LBB94_131:
	s_or_b64 exec, exec, s[4:5]
	s_waitcnt lgkmcnt(0)
	; wave barrier
	buffer_load_dword v66, off, s[0:3], 0 offset:240
	buffer_load_dword v67, off, s[0:3], 0 offset:244
	v_cmp_ne_u32_e32 vcc, 30, v0
	s_waitcnt vmcnt(0)
	ds_write_b64 v1, v[66:67]
	s_waitcnt lgkmcnt(0)
	; wave barrier
	s_waitcnt lgkmcnt(0)
	s_and_saveexec_b64 s[4:5], vcc
	s_cbranch_execz .LBB94_135
; %bb.132:
	v_add_u32_e32 v65, 0x100, v68
	v_add_u32_e32 v66, 0, v68
	s_mov_b64 s[6:7], 0
	v_mov_b32_e32 v1, 0
	v_mov_b32_e32 v67, 0
.LBB94_133:                             ; =>This Inner Loop Header: Depth=1
	buffer_load_dword v70, v66, s[0:3], 0 offen offset:4
	buffer_load_dword v71, v66, s[0:3], 0 offen
	ds_read_b64 v[68:69], v65
	v_add_u32_e32 v64, 1, v64
	v_cmp_lt_u32_e32 vcc, 28, v64
	v_add_u32_e32 v65, 8, v65
	v_add_u32_e32 v66, 8, v66
	s_or_b64 s[6:7], vcc, s[6:7]
	s_waitcnt vmcnt(1) lgkmcnt(0)
	v_mul_f32_e32 v72, v69, v70
	v_mul_f32_e32 v70, v68, v70
	s_waitcnt vmcnt(0)
	v_fma_f32 v68, v68, v71, -v72
	v_fmac_f32_e32 v70, v69, v71
	v_add_f32_e32 v67, v67, v68
	v_add_f32_e32 v1, v1, v70
	s_andn2_b64 exec, exec, s[6:7]
	s_cbranch_execnz .LBB94_133
; %bb.134:
	s_or_b64 exec, exec, s[6:7]
	v_mov_b32_e32 v64, 0
	ds_read_b64 v[64:65], v64 offset:240
	s_waitcnt lgkmcnt(0)
	v_mul_f32_e32 v66, v1, v65
	v_mul_f32_e32 v65, v67, v65
	v_fma_f32 v66, v67, v64, -v66
	v_fmac_f32_e32 v65, v1, v64
	buffer_store_dword v66, off, s[0:3], 0 offset:240
	buffer_store_dword v65, off, s[0:3], 0 offset:244
.LBB94_135:
	s_or_b64 exec, exec, s[4:5]
	s_mov_b64 s[6:7], -1
	s_waitcnt lgkmcnt(0)
	; wave barrier
.LBB94_136:
	s_and_b64 vcc, exec, s[6:7]
	s_cbranch_vccz .LBB94_138
; %bb.137:
	s_lshl_b64 s[4:5], s[8:9], 2
	s_add_u32 s4, s14, s4
	s_addc_u32 s5, s15, s5
	v_mov_b32_e32 v1, 0
	global_load_dword v1, v1, s[4:5]
	s_waitcnt vmcnt(0)
	v_cmp_ne_u32_e32 vcc, 0, v1
	s_cbranch_vccz .LBB94_139
.LBB94_138:
	s_endpgm
.LBB94_139:
	v_mov_b32_e32 v1, 0x100
	v_lshl_add_u32 v1, v0, 3, v1
	v_cmp_eq_u32_e32 vcc, 30, v0
	s_and_saveexec_b64 s[4:5], vcc
	s_cbranch_execz .LBB94_141
; %bb.140:
	buffer_load_dword v64, off, s[0:3], 0 offset:232
	buffer_load_dword v65, off, s[0:3], 0 offset:236
	v_mov_b32_e32 v66, 0
	buffer_store_dword v66, off, s[0:3], 0 offset:232
	buffer_store_dword v66, off, s[0:3], 0 offset:236
	s_waitcnt vmcnt(2)
	ds_write_b64 v1, v[64:65]
.LBB94_141:
	s_or_b64 exec, exec, s[4:5]
	s_waitcnt lgkmcnt(0)
	; wave barrier
	s_waitcnt lgkmcnt(0)
	buffer_load_dword v67, off, s[0:3], 0 offset:244
	buffer_load_dword v66, off, s[0:3], 0 offset:240
	;; [unrolled: 1-line block ×4, first 2 shown]
	v_mov_b32_e32 v64, 0
	ds_read_b64 v[70:71], v64 offset:496
	v_cmp_lt_u32_e32 vcc, 28, v0
	s_waitcnt vmcnt(3)
	v_mov_b32_e32 v72, v67
	s_waitcnt lgkmcnt(0)
	v_pk_mul_f32 v[72:73], v[70:71], v[72:73] op_sel_hi:[1,0]
	s_waitcnt vmcnt(2)
	v_pk_fma_f32 v[74:75], v[70:71], v[66:67], v[72:73] op_sel:[0,0,1] op_sel_hi:[1,1,0] neg_lo:[0,0,1] neg_hi:[0,0,1]
	v_pk_fma_f32 v[66:67], v[70:71], v[66:67], v[72:73] op_sel:[0,0,1] op_sel_hi:[1,0,0]
	v_mov_b32_e32 v75, v67
	v_pk_add_f32 v[66:67], v[74:75], 0 op_sel_hi:[1,0]
	s_waitcnt vmcnt(0)
	v_pk_add_f32 v[66:67], v[68:69], v[66:67] neg_lo:[0,1] neg_hi:[0,1]
	buffer_store_dword v66, off, s[0:3], 0 offset:232
	buffer_store_dword v67, off, s[0:3], 0 offset:236
	s_and_saveexec_b64 s[4:5], vcc
	s_cbranch_execz .LBB94_143
; %bb.142:
	buffer_load_dword v66, off, s[0:3], 0 offset:224
	buffer_load_dword v67, off, s[0:3], 0 offset:228
	s_waitcnt vmcnt(0)
	ds_write_b64 v1, v[66:67]
	buffer_store_dword v64, off, s[0:3], 0 offset:224
	buffer_store_dword v64, off, s[0:3], 0 offset:228
.LBB94_143:
	s_or_b64 exec, exec, s[4:5]
	s_waitcnt lgkmcnt(0)
	; wave barrier
	s_waitcnt lgkmcnt(0)
	buffer_load_dword v69, off, s[0:3], 0 offset:236
	buffer_load_dword v71, off, s[0:3], 0 offset:244
	;; [unrolled: 1-line block ×6, first 2 shown]
	ds_read2_b64 v[64:67], v64 offset0:61 offset1:62
	v_cmp_lt_u32_e32 vcc, 27, v0
	s_waitcnt vmcnt(5)
	v_mov_b32_e32 v74, v69
	s_waitcnt vmcnt(4)
	v_mov_b32_e32 v76, v71
	s_waitcnt lgkmcnt(0)
	v_pk_mul_f32 v[74:75], v[64:65], v[74:75] op_sel_hi:[1,0]
	v_pk_mul_f32 v[76:77], v[66:67], v[76:77] op_sel_hi:[1,0]
	s_waitcnt vmcnt(3)
	v_pk_fma_f32 v[78:79], v[64:65], v[68:69], v[74:75] op_sel:[0,0,1] op_sel_hi:[1,1,0] neg_lo:[0,0,1] neg_hi:[0,0,1]
	v_pk_fma_f32 v[64:65], v[64:65], v[68:69], v[74:75] op_sel:[0,0,1] op_sel_hi:[1,0,0]
	s_waitcnt vmcnt(2)
	v_pk_fma_f32 v[68:69], v[66:67], v[70:71], v[76:77] op_sel:[0,0,1] op_sel_hi:[1,1,0] neg_lo:[0,0,1] neg_hi:[0,0,1]
	v_pk_fma_f32 v[66:67], v[66:67], v[70:71], v[76:77] op_sel:[0,0,1] op_sel_hi:[1,0,0]
	v_mov_b32_e32 v79, v65
	v_mov_b32_e32 v69, v67
	v_pk_add_f32 v[64:65], v[78:79], 0 op_sel_hi:[1,0]
	v_pk_add_f32 v[64:65], v[64:65], v[68:69]
	s_waitcnt vmcnt(0)
	v_pk_add_f32 v[64:65], v[72:73], v[64:65] neg_lo:[0,1] neg_hi:[0,1]
	buffer_store_dword v64, off, s[0:3], 0 offset:224
	buffer_store_dword v65, off, s[0:3], 0 offset:228
	s_and_saveexec_b64 s[4:5], vcc
	s_cbranch_execz .LBB94_145
; %bb.144:
	buffer_load_dword v64, off, s[0:3], 0 offset:216
	buffer_load_dword v65, off, s[0:3], 0 offset:220
	v_mov_b32_e32 v66, 0
	buffer_store_dword v66, off, s[0:3], 0 offset:216
	buffer_store_dword v66, off, s[0:3], 0 offset:220
	s_waitcnt vmcnt(2)
	ds_write_b64 v1, v[64:65]
.LBB94_145:
	s_or_b64 exec, exec, s[4:5]
	s_waitcnt lgkmcnt(0)
	; wave barrier
	s_waitcnt lgkmcnt(0)
	buffer_load_dword v71, off, s[0:3], 0 offset:228
	buffer_load_dword v73, off, s[0:3], 0 offset:236
	;; [unrolled: 1-line block ×8, first 2 shown]
	v_mov_b32_e32 v64, 0
	ds_read_b128 v[66:69], v64 offset:480
	ds_read_b64 v[78:79], v64 offset:496
	v_cmp_lt_u32_e32 vcc, 26, v0
	s_waitcnt vmcnt(7)
	v_mov_b32_e32 v80, v71
	s_waitcnt vmcnt(6)
	v_mov_b32_e32 v82, v73
	s_waitcnt lgkmcnt(1)
	v_pk_mul_f32 v[80:81], v[66:67], v[80:81] op_sel_hi:[1,0]
	s_waitcnt vmcnt(5)
	v_mov_b32_e32 v84, v75
	v_pk_mul_f32 v[82:83], v[68:69], v[82:83] op_sel_hi:[1,0]
	s_waitcnt vmcnt(4)
	v_pk_fma_f32 v[86:87], v[66:67], v[70:71], v[80:81] op_sel:[0,0,1] op_sel_hi:[1,1,0] neg_lo:[0,0,1] neg_hi:[0,0,1]
	v_pk_fma_f32 v[66:67], v[66:67], v[70:71], v[80:81] op_sel:[0,0,1] op_sel_hi:[1,0,0]
	s_waitcnt lgkmcnt(0)
	v_pk_mul_f32 v[84:85], v[78:79], v[84:85] op_sel_hi:[1,0]
	s_waitcnt vmcnt(3)
	v_pk_fma_f32 v[70:71], v[68:69], v[72:73], v[82:83] op_sel:[0,0,1] op_sel_hi:[1,1,0] neg_lo:[0,0,1] neg_hi:[0,0,1]
	v_pk_fma_f32 v[68:69], v[68:69], v[72:73], v[82:83] op_sel:[0,0,1] op_sel_hi:[1,0,0]
	v_mov_b32_e32 v87, v67
	s_waitcnt vmcnt(2)
	v_pk_fma_f32 v[72:73], v[78:79], v[74:75], v[84:85] op_sel:[0,0,1] op_sel_hi:[1,1,0] neg_lo:[0,0,1] neg_hi:[0,0,1]
	v_pk_fma_f32 v[74:75], v[78:79], v[74:75], v[84:85] op_sel:[0,0,1] op_sel_hi:[1,0,0]
	v_mov_b32_e32 v71, v69
	v_pk_add_f32 v[66:67], v[86:87], 0 op_sel_hi:[1,0]
	v_mov_b32_e32 v73, v75
	v_pk_add_f32 v[66:67], v[66:67], v[70:71]
	v_pk_add_f32 v[66:67], v[66:67], v[72:73]
	s_waitcnt vmcnt(0)
	v_pk_add_f32 v[66:67], v[76:77], v[66:67] neg_lo:[0,1] neg_hi:[0,1]
	buffer_store_dword v66, off, s[0:3], 0 offset:216
	buffer_store_dword v67, off, s[0:3], 0 offset:220
	s_and_saveexec_b64 s[4:5], vcc
	s_cbranch_execz .LBB94_147
; %bb.146:
	buffer_load_dword v66, off, s[0:3], 0 offset:208
	buffer_load_dword v67, off, s[0:3], 0 offset:212
	s_waitcnt vmcnt(0)
	ds_write_b64 v1, v[66:67]
	buffer_store_dword v64, off, s[0:3], 0 offset:208
	buffer_store_dword v64, off, s[0:3], 0 offset:212
.LBB94_147:
	s_or_b64 exec, exec, s[4:5]
	s_waitcnt lgkmcnt(0)
	; wave barrier
	s_waitcnt lgkmcnt(0)
	buffer_load_dword v75, off, s[0:3], 0 offset:220
	buffer_load_dword v77, off, s[0:3], 0 offset:228
	;; [unrolled: 1-line block ×10, first 2 shown]
	ds_read2_b64 v[66:69], v64 offset0:59 offset1:60
	ds_read2_b64 v[70:73], v64 offset0:61 offset1:62
	v_cmp_lt_u32_e32 vcc, 25, v0
	s_waitcnt vmcnt(9)
	v_mov_b32_e32 v64, v75
	s_waitcnt vmcnt(8)
	v_mov_b32_e32 v84, v77
	s_waitcnt lgkmcnt(1)
	v_pk_mul_f32 v[64:65], v[66:67], v[64:65] op_sel_hi:[1,0]
	s_waitcnt vmcnt(7)
	v_mov_b32_e32 v86, v79
	v_pk_mul_f32 v[84:85], v[68:69], v[84:85] op_sel_hi:[1,0]
	s_waitcnt vmcnt(5)
	v_pk_fma_f32 v[90:91], v[66:67], v[74:75], v[64:65] op_sel:[0,0,1] op_sel_hi:[1,1,0] neg_lo:[0,0,1] neg_hi:[0,0,1]
	v_pk_fma_f32 v[64:65], v[66:67], v[74:75], v[64:65] op_sel:[0,0,1] op_sel_hi:[1,0,0]
	v_mov_b32_e32 v88, v81
	s_waitcnt lgkmcnt(0)
	v_pk_mul_f32 v[86:87], v[70:71], v[86:87] op_sel_hi:[1,0]
	s_waitcnt vmcnt(4)
	v_pk_fma_f32 v[66:67], v[68:69], v[76:77], v[84:85] op_sel:[0,0,1] op_sel_hi:[1,1,0] neg_lo:[0,0,1] neg_hi:[0,0,1]
	v_pk_fma_f32 v[68:69], v[68:69], v[76:77], v[84:85] op_sel:[0,0,1] op_sel_hi:[1,0,0]
	v_mov_b32_e32 v91, v65
	v_pk_mul_f32 v[88:89], v[72:73], v[88:89] op_sel_hi:[1,0]
	s_waitcnt vmcnt(3)
	v_pk_fma_f32 v[74:75], v[70:71], v[78:79], v[86:87] op_sel:[0,0,1] op_sel_hi:[1,1,0] neg_lo:[0,0,1] neg_hi:[0,0,1]
	v_pk_fma_f32 v[70:71], v[70:71], v[78:79], v[86:87] op_sel:[0,0,1] op_sel_hi:[1,0,0]
	v_mov_b32_e32 v67, v69
	v_pk_add_f32 v[64:65], v[90:91], 0 op_sel_hi:[1,0]
	s_waitcnt vmcnt(2)
	v_pk_fma_f32 v[76:77], v[72:73], v[80:81], v[88:89] op_sel:[0,0,1] op_sel_hi:[1,1,0] neg_lo:[0,0,1] neg_hi:[0,0,1]
	v_pk_fma_f32 v[72:73], v[72:73], v[80:81], v[88:89] op_sel:[0,0,1] op_sel_hi:[1,0,0]
	v_mov_b32_e32 v75, v71
	v_pk_add_f32 v[64:65], v[64:65], v[66:67]
	v_mov_b32_e32 v77, v73
	v_pk_add_f32 v[64:65], v[64:65], v[74:75]
	v_pk_add_f32 v[64:65], v[64:65], v[76:77]
	s_waitcnt vmcnt(0)
	v_pk_add_f32 v[64:65], v[82:83], v[64:65] neg_lo:[0,1] neg_hi:[0,1]
	buffer_store_dword v64, off, s[0:3], 0 offset:208
	buffer_store_dword v65, off, s[0:3], 0 offset:212
	s_and_saveexec_b64 s[4:5], vcc
	s_cbranch_execz .LBB94_149
; %bb.148:
	buffer_load_dword v64, off, s[0:3], 0 offset:200
	buffer_load_dword v65, off, s[0:3], 0 offset:204
	v_mov_b32_e32 v66, 0
	buffer_store_dword v66, off, s[0:3], 0 offset:200
	buffer_store_dword v66, off, s[0:3], 0 offset:204
	s_waitcnt vmcnt(2)
	ds_write_b64 v1, v[64:65]
.LBB94_149:
	s_or_b64 exec, exec, s[4:5]
	s_waitcnt lgkmcnt(0)
	; wave barrier
	s_waitcnt lgkmcnt(0)
	buffer_load_dword v75, off, s[0:3], 0 offset:212
	buffer_load_dword v77, off, s[0:3], 0 offset:220
	;; [unrolled: 1-line block ×12, first 2 shown]
	v_mov_b32_e32 v64, 0
	ds_read_b128 v[66:69], v64 offset:464
	ds_read_b128 v[70:73], v64 offset:480
	ds_read_b64 v[86:87], v64 offset:496
	v_cmp_lt_u32_e32 vcc, 24, v0
	s_waitcnt vmcnt(11)
	v_mov_b32_e32 v88, v75
	s_waitcnt vmcnt(10)
	v_mov_b32_e32 v90, v77
	s_waitcnt lgkmcnt(2)
	v_pk_mul_f32 v[88:89], v[66:67], v[88:89] op_sel_hi:[1,0]
	s_waitcnt vmcnt(9)
	v_mov_b32_e32 v92, v79
	v_pk_mul_f32 v[90:91], v[68:69], v[90:91] op_sel_hi:[1,0]
	s_waitcnt vmcnt(6)
	v_pk_fma_f32 v[98:99], v[66:67], v[74:75], v[88:89] op_sel:[0,0,1] op_sel_hi:[1,1,0] neg_lo:[0,0,1] neg_hi:[0,0,1]
	v_pk_fma_f32 v[66:67], v[66:67], v[74:75], v[88:89] op_sel:[0,0,1] op_sel_hi:[1,0,0]
	v_mov_b32_e32 v94, v81
	s_waitcnt lgkmcnt(1)
	v_pk_mul_f32 v[92:93], v[70:71], v[92:93] op_sel_hi:[1,0]
	s_waitcnt vmcnt(5)
	v_pk_fma_f32 v[74:75], v[68:69], v[76:77], v[90:91] op_sel:[0,0,1] op_sel_hi:[1,1,0] neg_lo:[0,0,1] neg_hi:[0,0,1]
	v_pk_fma_f32 v[68:69], v[68:69], v[76:77], v[90:91] op_sel:[0,0,1] op_sel_hi:[1,0,0]
	v_mov_b32_e32 v99, v67
	v_mov_b32_e32 v96, v83
	v_pk_mul_f32 v[94:95], v[72:73], v[94:95] op_sel_hi:[1,0]
	s_waitcnt vmcnt(4)
	v_pk_fma_f32 v[76:77], v[70:71], v[78:79], v[92:93] op_sel:[0,0,1] op_sel_hi:[1,1,0] neg_lo:[0,0,1] neg_hi:[0,0,1]
	v_pk_fma_f32 v[70:71], v[70:71], v[78:79], v[92:93] op_sel:[0,0,1] op_sel_hi:[1,0,0]
	v_mov_b32_e32 v75, v69
	v_pk_add_f32 v[66:67], v[98:99], 0 op_sel_hi:[1,0]
	s_waitcnt lgkmcnt(0)
	v_pk_mul_f32 v[96:97], v[86:87], v[96:97] op_sel_hi:[1,0]
	s_waitcnt vmcnt(3)
	v_pk_fma_f32 v[78:79], v[72:73], v[80:81], v[94:95] op_sel:[0,0,1] op_sel_hi:[1,1,0] neg_lo:[0,0,1] neg_hi:[0,0,1]
	v_pk_fma_f32 v[72:73], v[72:73], v[80:81], v[94:95] op_sel:[0,0,1] op_sel_hi:[1,0,0]
	v_mov_b32_e32 v77, v71
	v_pk_add_f32 v[66:67], v[66:67], v[74:75]
	s_waitcnt vmcnt(2)
	v_pk_fma_f32 v[80:81], v[86:87], v[82:83], v[96:97] op_sel:[0,0,1] op_sel_hi:[1,1,0] neg_lo:[0,0,1] neg_hi:[0,0,1]
	v_pk_fma_f32 v[82:83], v[86:87], v[82:83], v[96:97] op_sel:[0,0,1] op_sel_hi:[1,0,0]
	v_mov_b32_e32 v79, v73
	v_pk_add_f32 v[66:67], v[66:67], v[76:77]
	v_mov_b32_e32 v81, v83
	v_pk_add_f32 v[66:67], v[66:67], v[78:79]
	v_pk_add_f32 v[66:67], v[66:67], v[80:81]
	s_waitcnt vmcnt(0)
	v_pk_add_f32 v[66:67], v[84:85], v[66:67] neg_lo:[0,1] neg_hi:[0,1]
	buffer_store_dword v66, off, s[0:3], 0 offset:200
	buffer_store_dword v67, off, s[0:3], 0 offset:204
	s_and_saveexec_b64 s[4:5], vcc
	s_cbranch_execz .LBB94_151
; %bb.150:
	buffer_load_dword v66, off, s[0:3], 0 offset:192
	buffer_load_dword v67, off, s[0:3], 0 offset:196
	s_waitcnt vmcnt(0)
	ds_write_b64 v1, v[66:67]
	buffer_store_dword v64, off, s[0:3], 0 offset:192
	buffer_store_dword v64, off, s[0:3], 0 offset:196
.LBB94_151:
	s_or_b64 exec, exec, s[4:5]
	s_waitcnt lgkmcnt(0)
	; wave barrier
	s_waitcnt lgkmcnt(0)
	buffer_load_dword v79, off, s[0:3], 0 offset:204
	buffer_load_dword v81, off, s[0:3], 0 offset:212
	;; [unrolled: 1-line block ×14, first 2 shown]
	ds_read2_b64 v[66:69], v64 offset0:57 offset1:58
	ds_read2_b64 v[70:73], v64 offset0:59 offset1:60
	;; [unrolled: 1-line block ×3, first 2 shown]
	v_cmp_lt_u32_e32 vcc, 23, v0
	s_waitcnt vmcnt(13)
	v_mov_b32_e32 v64, v79
	s_waitcnt vmcnt(12)
	v_mov_b32_e32 v92, v81
	s_waitcnt lgkmcnt(2)
	v_pk_mul_f32 v[64:65], v[66:67], v[64:65] op_sel_hi:[1,0]
	s_waitcnt vmcnt(11)
	v_mov_b32_e32 v94, v83
	v_pk_mul_f32 v[92:93], v[68:69], v[92:93] op_sel_hi:[1,0]
	s_waitcnt vmcnt(10)
	v_mov_b32_e32 v96, v85
	s_waitcnt vmcnt(7)
	v_pk_fma_f32 v[102:103], v[66:67], v[78:79], v[64:65] op_sel:[0,0,1] op_sel_hi:[1,1,0] neg_lo:[0,0,1] neg_hi:[0,0,1]
	v_pk_fma_f32 v[64:65], v[66:67], v[78:79], v[64:65] op_sel:[0,0,1] op_sel_hi:[1,0,0]
	s_waitcnt lgkmcnt(1)
	v_pk_mul_f32 v[94:95], v[70:71], v[94:95] op_sel_hi:[1,0]
	s_waitcnt vmcnt(6)
	v_pk_fma_f32 v[66:67], v[68:69], v[80:81], v[92:93] op_sel:[0,0,1] op_sel_hi:[1,1,0] neg_lo:[0,0,1] neg_hi:[0,0,1]
	v_pk_fma_f32 v[68:69], v[68:69], v[80:81], v[92:93] op_sel:[0,0,1] op_sel_hi:[1,0,0]
	v_mov_b32_e32 v103, v65
	v_mov_b32_e32 v98, v87
	v_pk_mul_f32 v[96:97], v[72:73], v[96:97] op_sel_hi:[1,0]
	s_waitcnt vmcnt(5)
	v_pk_fma_f32 v[78:79], v[70:71], v[82:83], v[94:95] op_sel:[0,0,1] op_sel_hi:[1,1,0] neg_lo:[0,0,1] neg_hi:[0,0,1]
	v_pk_fma_f32 v[70:71], v[70:71], v[82:83], v[94:95] op_sel:[0,0,1] op_sel_hi:[1,0,0]
	v_mov_b32_e32 v67, v69
	v_pk_add_f32 v[64:65], v[102:103], 0 op_sel_hi:[1,0]
	v_mov_b32_e32 v100, v89
	s_waitcnt lgkmcnt(0)
	v_pk_mul_f32 v[98:99], v[74:75], v[98:99] op_sel_hi:[1,0]
	s_waitcnt vmcnt(4)
	v_pk_fma_f32 v[80:81], v[72:73], v[84:85], v[96:97] op_sel:[0,0,1] op_sel_hi:[1,1,0] neg_lo:[0,0,1] neg_hi:[0,0,1]
	v_pk_fma_f32 v[72:73], v[72:73], v[84:85], v[96:97] op_sel:[0,0,1] op_sel_hi:[1,0,0]
	v_mov_b32_e32 v79, v71
	v_pk_add_f32 v[64:65], v[64:65], v[66:67]
	v_pk_mul_f32 v[100:101], v[76:77], v[100:101] op_sel_hi:[1,0]
	s_waitcnt vmcnt(3)
	v_pk_fma_f32 v[82:83], v[74:75], v[86:87], v[98:99] op_sel:[0,0,1] op_sel_hi:[1,1,0] neg_lo:[0,0,1] neg_hi:[0,0,1]
	v_pk_fma_f32 v[74:75], v[74:75], v[86:87], v[98:99] op_sel:[0,0,1] op_sel_hi:[1,0,0]
	v_mov_b32_e32 v81, v73
	v_pk_add_f32 v[64:65], v[64:65], v[78:79]
	s_waitcnt vmcnt(2)
	v_pk_fma_f32 v[84:85], v[76:77], v[88:89], v[100:101] op_sel:[0,0,1] op_sel_hi:[1,1,0] neg_lo:[0,0,1] neg_hi:[0,0,1]
	v_pk_fma_f32 v[76:77], v[76:77], v[88:89], v[100:101] op_sel:[0,0,1] op_sel_hi:[1,0,0]
	v_mov_b32_e32 v83, v75
	v_pk_add_f32 v[64:65], v[64:65], v[80:81]
	v_mov_b32_e32 v85, v77
	v_pk_add_f32 v[64:65], v[64:65], v[82:83]
	v_pk_add_f32 v[64:65], v[64:65], v[84:85]
	s_waitcnt vmcnt(0)
	v_pk_add_f32 v[64:65], v[90:91], v[64:65] neg_lo:[0,1] neg_hi:[0,1]
	buffer_store_dword v64, off, s[0:3], 0 offset:192
	buffer_store_dword v65, off, s[0:3], 0 offset:196
	s_and_saveexec_b64 s[4:5], vcc
	s_cbranch_execz .LBB94_153
; %bb.152:
	buffer_load_dword v64, off, s[0:3], 0 offset:184
	buffer_load_dword v65, off, s[0:3], 0 offset:188
	v_mov_b32_e32 v66, 0
	buffer_store_dword v66, off, s[0:3], 0 offset:184
	buffer_store_dword v66, off, s[0:3], 0 offset:188
	s_waitcnt vmcnt(2)
	ds_write_b64 v1, v[64:65]
.LBB94_153:
	s_or_b64 exec, exec, s[4:5]
	s_waitcnt lgkmcnt(0)
	; wave barrier
	s_waitcnt lgkmcnt(0)
	buffer_load_dword v79, off, s[0:3], 0 offset:196
	buffer_load_dword v81, off, s[0:3], 0 offset:204
	;; [unrolled: 1-line block ×16, first 2 shown]
	v_mov_b32_e32 v64, 0
	ds_read_b128 v[66:69], v64 offset:448
	ds_read_b128 v[70:73], v64 offset:464
	;; [unrolled: 1-line block ×3, first 2 shown]
	ds_read_b64 v[94:95], v64 offset:496
	v_cmp_lt_u32_e32 vcc, 22, v0
	s_waitcnt vmcnt(15)
	v_mov_b32_e32 v96, v79
	s_waitcnt vmcnt(14)
	v_mov_b32_e32 v98, v81
	s_waitcnt lgkmcnt(3)
	v_pk_mul_f32 v[96:97], v[66:67], v[96:97] op_sel_hi:[1,0]
	s_waitcnt vmcnt(13)
	v_mov_b32_e32 v100, v83
	v_pk_mul_f32 v[98:99], v[68:69], v[98:99] op_sel_hi:[1,0]
	s_waitcnt vmcnt(12)
	v_mov_b32_e32 v102, v85
	s_waitcnt lgkmcnt(2)
	v_pk_mul_f32 v[100:101], v[70:71], v[100:101] op_sel_hi:[1,0]
	s_waitcnt vmcnt(8)
	v_pk_fma_f32 v[110:111], v[66:67], v[78:79], v[96:97] op_sel:[0,0,1] op_sel_hi:[1,1,0] neg_lo:[0,0,1] neg_hi:[0,0,1]
	v_pk_fma_f32 v[66:67], v[66:67], v[78:79], v[96:97] op_sel:[0,0,1] op_sel_hi:[1,0,0]
	s_waitcnt vmcnt(7)
	v_pk_fma_f32 v[78:79], v[68:69], v[80:81], v[98:99] op_sel:[0,0,1] op_sel_hi:[1,1,0] neg_lo:[0,0,1] neg_hi:[0,0,1]
	v_pk_fma_f32 v[68:69], v[68:69], v[80:81], v[98:99] op_sel:[0,0,1] op_sel_hi:[1,0,0]
	v_mov_b32_e32 v111, v67
	v_mov_b32_e32 v104, v87
	v_pk_mul_f32 v[102:103], v[72:73], v[102:103] op_sel_hi:[1,0]
	s_waitcnt vmcnt(6)
	v_pk_fma_f32 v[80:81], v[70:71], v[82:83], v[100:101] op_sel:[0,0,1] op_sel_hi:[1,1,0] neg_lo:[0,0,1] neg_hi:[0,0,1]
	v_pk_fma_f32 v[70:71], v[70:71], v[82:83], v[100:101] op_sel:[0,0,1] op_sel_hi:[1,0,0]
	v_mov_b32_e32 v79, v69
	v_pk_add_f32 v[66:67], v[110:111], 0 op_sel_hi:[1,0]
	v_mov_b32_e32 v106, v89
	s_waitcnt lgkmcnt(1)
	v_pk_mul_f32 v[104:105], v[74:75], v[104:105] op_sel_hi:[1,0]
	s_waitcnt vmcnt(5)
	v_pk_fma_f32 v[82:83], v[72:73], v[84:85], v[102:103] op_sel:[0,0,1] op_sel_hi:[1,1,0] neg_lo:[0,0,1] neg_hi:[0,0,1]
	v_pk_fma_f32 v[72:73], v[72:73], v[84:85], v[102:103] op_sel:[0,0,1] op_sel_hi:[1,0,0]
	v_mov_b32_e32 v81, v71
	v_pk_add_f32 v[66:67], v[66:67], v[78:79]
	v_mov_b32_e32 v108, v91
	v_pk_mul_f32 v[106:107], v[76:77], v[106:107] op_sel_hi:[1,0]
	s_waitcnt vmcnt(4)
	v_pk_fma_f32 v[84:85], v[74:75], v[86:87], v[104:105] op_sel:[0,0,1] op_sel_hi:[1,1,0] neg_lo:[0,0,1] neg_hi:[0,0,1]
	v_pk_fma_f32 v[74:75], v[74:75], v[86:87], v[104:105] op_sel:[0,0,1] op_sel_hi:[1,0,0]
	v_mov_b32_e32 v83, v73
	v_pk_add_f32 v[66:67], v[66:67], v[80:81]
	s_waitcnt lgkmcnt(0)
	v_pk_mul_f32 v[108:109], v[94:95], v[108:109] op_sel_hi:[1,0]
	s_waitcnt vmcnt(3)
	v_pk_fma_f32 v[86:87], v[76:77], v[88:89], v[106:107] op_sel:[0,0,1] op_sel_hi:[1,1,0] neg_lo:[0,0,1] neg_hi:[0,0,1]
	v_pk_fma_f32 v[76:77], v[76:77], v[88:89], v[106:107] op_sel:[0,0,1] op_sel_hi:[1,0,0]
	v_mov_b32_e32 v85, v75
	v_pk_add_f32 v[66:67], v[66:67], v[82:83]
	s_waitcnt vmcnt(2)
	v_pk_fma_f32 v[88:89], v[94:95], v[90:91], v[108:109] op_sel:[0,0,1] op_sel_hi:[1,1,0] neg_lo:[0,0,1] neg_hi:[0,0,1]
	v_pk_fma_f32 v[90:91], v[94:95], v[90:91], v[108:109] op_sel:[0,0,1] op_sel_hi:[1,0,0]
	v_mov_b32_e32 v87, v77
	v_pk_add_f32 v[66:67], v[66:67], v[84:85]
	v_mov_b32_e32 v89, v91
	v_pk_add_f32 v[66:67], v[66:67], v[86:87]
	v_pk_add_f32 v[66:67], v[66:67], v[88:89]
	s_waitcnt vmcnt(0)
	v_pk_add_f32 v[66:67], v[92:93], v[66:67] neg_lo:[0,1] neg_hi:[0,1]
	buffer_store_dword v66, off, s[0:3], 0 offset:184
	buffer_store_dword v67, off, s[0:3], 0 offset:188
	s_and_saveexec_b64 s[4:5], vcc
	s_cbranch_execz .LBB94_155
; %bb.154:
	buffer_load_dword v66, off, s[0:3], 0 offset:176
	buffer_load_dword v67, off, s[0:3], 0 offset:180
	s_waitcnt vmcnt(0)
	ds_write_b64 v1, v[66:67]
	buffer_store_dword v64, off, s[0:3], 0 offset:176
	buffer_store_dword v64, off, s[0:3], 0 offset:180
.LBB94_155:
	s_or_b64 exec, exec, s[4:5]
	s_waitcnt lgkmcnt(0)
	; wave barrier
	s_waitcnt lgkmcnt(0)
	buffer_load_dword v83, off, s[0:3], 0 offset:188
	buffer_load_dword v85, off, s[0:3], 0 offset:196
	;; [unrolled: 1-line block ×18, first 2 shown]
	ds_read2_b64 v[66:69], v64 offset0:55 offset1:56
	ds_read2_b64 v[70:73], v64 offset0:57 offset1:58
	;; [unrolled: 1-line block ×4, first 2 shown]
	v_cmp_lt_u32_e32 vcc, 21, v0
	s_waitcnt vmcnt(17)
	v_mov_b32_e32 v64, v83
	s_waitcnt vmcnt(16)
	v_mov_b32_e32 v100, v85
	s_waitcnt lgkmcnt(3)
	v_pk_mul_f32 v[64:65], v[66:67], v[64:65] op_sel_hi:[1,0]
	s_waitcnt vmcnt(15)
	v_mov_b32_e32 v102, v87
	v_pk_mul_f32 v[100:101], v[68:69], v[100:101] op_sel_hi:[1,0]
	s_waitcnt vmcnt(14)
	v_mov_b32_e32 v104, v89
	s_waitcnt lgkmcnt(2)
	v_pk_mul_f32 v[102:103], v[70:71], v[102:103] op_sel_hi:[1,0]
	s_waitcnt vmcnt(13)
	v_mov_b32_e32 v106, v91
	s_waitcnt vmcnt(9)
	v_pk_fma_f32 v[114:115], v[66:67], v[82:83], v[64:65] op_sel:[0,0,1] op_sel_hi:[1,1,0] neg_lo:[0,0,1] neg_hi:[0,0,1]
	v_pk_fma_f32 v[64:65], v[66:67], v[82:83], v[64:65] op_sel:[0,0,1] op_sel_hi:[1,0,0]
	s_waitcnt vmcnt(8)
	v_pk_fma_f32 v[66:67], v[68:69], v[84:85], v[100:101] op_sel:[0,0,1] op_sel_hi:[1,1,0] neg_lo:[0,0,1] neg_hi:[0,0,1]
	v_pk_fma_f32 v[68:69], v[68:69], v[84:85], v[100:101] op_sel:[0,0,1] op_sel_hi:[1,0,0]
	v_mov_b32_e32 v115, v65
	v_pk_mul_f32 v[104:105], v[72:73], v[104:105] op_sel_hi:[1,0]
	s_waitcnt vmcnt(7)
	v_pk_fma_f32 v[82:83], v[70:71], v[86:87], v[102:103] op_sel:[0,0,1] op_sel_hi:[1,1,0] neg_lo:[0,0,1] neg_hi:[0,0,1]
	v_pk_fma_f32 v[70:71], v[70:71], v[86:87], v[102:103] op_sel:[0,0,1] op_sel_hi:[1,0,0]
	v_mov_b32_e32 v67, v69
	v_pk_add_f32 v[64:65], v[114:115], 0 op_sel_hi:[1,0]
	v_mov_b32_e32 v108, v93
	s_waitcnt lgkmcnt(1)
	v_pk_mul_f32 v[106:107], v[74:75], v[106:107] op_sel_hi:[1,0]
	s_waitcnt vmcnt(6)
	v_pk_fma_f32 v[84:85], v[72:73], v[88:89], v[104:105] op_sel:[0,0,1] op_sel_hi:[1,1,0] neg_lo:[0,0,1] neg_hi:[0,0,1]
	v_pk_fma_f32 v[72:73], v[72:73], v[88:89], v[104:105] op_sel:[0,0,1] op_sel_hi:[1,0,0]
	v_mov_b32_e32 v83, v71
	v_pk_add_f32 v[64:65], v[64:65], v[66:67]
	v_mov_b32_e32 v110, v95
	v_pk_mul_f32 v[108:109], v[76:77], v[108:109] op_sel_hi:[1,0]
	s_waitcnt vmcnt(5)
	v_pk_fma_f32 v[86:87], v[74:75], v[90:91], v[106:107] op_sel:[0,0,1] op_sel_hi:[1,1,0] neg_lo:[0,0,1] neg_hi:[0,0,1]
	v_pk_fma_f32 v[74:75], v[74:75], v[90:91], v[106:107] op_sel:[0,0,1] op_sel_hi:[1,0,0]
	v_mov_b32_e32 v85, v73
	v_pk_add_f32 v[64:65], v[64:65], v[82:83]
	v_mov_b32_e32 v112, v97
	s_waitcnt lgkmcnt(0)
	v_pk_mul_f32 v[110:111], v[78:79], v[110:111] op_sel_hi:[1,0]
	s_waitcnt vmcnt(4)
	v_pk_fma_f32 v[88:89], v[76:77], v[92:93], v[108:109] op_sel:[0,0,1] op_sel_hi:[1,1,0] neg_lo:[0,0,1] neg_hi:[0,0,1]
	v_pk_fma_f32 v[76:77], v[76:77], v[92:93], v[108:109] op_sel:[0,0,1] op_sel_hi:[1,0,0]
	v_mov_b32_e32 v87, v75
	v_pk_add_f32 v[64:65], v[64:65], v[84:85]
	v_pk_mul_f32 v[112:113], v[80:81], v[112:113] op_sel_hi:[1,0]
	s_waitcnt vmcnt(3)
	v_pk_fma_f32 v[90:91], v[78:79], v[94:95], v[110:111] op_sel:[0,0,1] op_sel_hi:[1,1,0] neg_lo:[0,0,1] neg_hi:[0,0,1]
	v_pk_fma_f32 v[78:79], v[78:79], v[94:95], v[110:111] op_sel:[0,0,1] op_sel_hi:[1,0,0]
	v_mov_b32_e32 v89, v77
	v_pk_add_f32 v[64:65], v[64:65], v[86:87]
	s_waitcnt vmcnt(2)
	v_pk_fma_f32 v[92:93], v[80:81], v[96:97], v[112:113] op_sel:[0,0,1] op_sel_hi:[1,1,0] neg_lo:[0,0,1] neg_hi:[0,0,1]
	v_pk_fma_f32 v[80:81], v[80:81], v[96:97], v[112:113] op_sel:[0,0,1] op_sel_hi:[1,0,0]
	v_mov_b32_e32 v91, v79
	v_pk_add_f32 v[64:65], v[64:65], v[88:89]
	v_mov_b32_e32 v93, v81
	v_pk_add_f32 v[64:65], v[64:65], v[90:91]
	v_pk_add_f32 v[64:65], v[64:65], v[92:93]
	s_waitcnt vmcnt(0)
	v_pk_add_f32 v[64:65], v[98:99], v[64:65] neg_lo:[0,1] neg_hi:[0,1]
	buffer_store_dword v64, off, s[0:3], 0 offset:176
	buffer_store_dword v65, off, s[0:3], 0 offset:180
	s_and_saveexec_b64 s[4:5], vcc
	s_cbranch_execz .LBB94_157
; %bb.156:
	buffer_load_dword v64, off, s[0:3], 0 offset:168
	buffer_load_dword v65, off, s[0:3], 0 offset:172
	v_mov_b32_e32 v66, 0
	buffer_store_dword v66, off, s[0:3], 0 offset:168
	buffer_store_dword v66, off, s[0:3], 0 offset:172
	s_waitcnt vmcnt(2)
	ds_write_b64 v1, v[64:65]
.LBB94_157:
	s_or_b64 exec, exec, s[4:5]
	s_waitcnt lgkmcnt(0)
	; wave barrier
	s_waitcnt lgkmcnt(0)
	buffer_load_dword v65, off, s[0:3], 0 offset:180
	buffer_load_dword v83, off, s[0:3], 0 offset:188
	;; [unrolled: 1-line block ×20, first 2 shown]
	v_mov_b32_e32 v64, 0
	ds_read_b128 v[66:69], v64 offset:432
	ds_read_b128 v[70:73], v64 offset:448
	;; [unrolled: 1-line block ×4, first 2 shown]
	ds_read_b64 v[100:101], v64 offset:496
	v_cmp_lt_u32_e32 vcc, 20, v0
	s_waitcnt vmcnt(19) lgkmcnt(4)
	v_mul_f32_e32 v103, v66, v65
	v_mul_f32_e32 v65, v67, v65
	s_waitcnt vmcnt(18)
	v_mov_b32_e32 v104, v83
	s_waitcnt vmcnt(17)
	v_mov_b32_e32 v106, v85
	;; [unrolled: 2-line block ×8, first 2 shown]
	s_waitcnt vmcnt(10)
	v_fmac_f32_e32 v103, v67, v102
	v_fma_f32 v102, v66, v102, -v65
	v_pk_mul_f32 v[66:67], v[68:69], v[104:105] op_sel_hi:[1,0]
	s_waitcnt lgkmcnt(3)
	v_pk_mul_f32 v[104:105], v[70:71], v[106:107] op_sel_hi:[1,0]
	v_pk_mul_f32 v[106:107], v[72:73], v[108:109] op_sel_hi:[1,0]
	s_waitcnt lgkmcnt(2)
	v_pk_mul_f32 v[108:109], v[74:75], v[110:111] op_sel_hi:[1,0]
	;; [unrolled: 3-line block ×4, first 2 shown]
	s_waitcnt vmcnt(9)
	v_pk_fma_f32 v[118:119], v[68:69], v[82:83], v[66:67] op_sel:[0,0,1] op_sel_hi:[1,1,0] neg_lo:[0,0,1] neg_hi:[0,0,1]
	v_pk_fma_f32 v[66:67], v[68:69], v[82:83], v[66:67] op_sel:[0,0,1] op_sel_hi:[1,0,0]
	v_pk_add_f32 v[102:103], v[102:103], 0 op_sel_hi:[1,0]
	s_waitcnt vmcnt(8)
	v_pk_fma_f32 v[68:69], v[70:71], v[84:85], v[104:105] op_sel:[0,0,1] op_sel_hi:[1,1,0] neg_lo:[0,0,1] neg_hi:[0,0,1]
	v_pk_fma_f32 v[70:71], v[70:71], v[84:85], v[104:105] op_sel:[0,0,1] op_sel_hi:[1,0,0]
	v_mov_b32_e32 v119, v67
	s_waitcnt vmcnt(7)
	v_pk_fma_f32 v[82:83], v[72:73], v[86:87], v[106:107] op_sel:[0,0,1] op_sel_hi:[1,1,0] neg_lo:[0,0,1] neg_hi:[0,0,1]
	v_pk_fma_f32 v[72:73], v[72:73], v[86:87], v[106:107] op_sel:[0,0,1] op_sel_hi:[1,0,0]
	v_mov_b32_e32 v69, v71
	v_pk_add_f32 v[66:67], v[102:103], v[118:119]
	s_waitcnt vmcnt(6)
	v_pk_fma_f32 v[84:85], v[74:75], v[88:89], v[108:109] op_sel:[0,0,1] op_sel_hi:[1,1,0] neg_lo:[0,0,1] neg_hi:[0,0,1]
	v_pk_fma_f32 v[74:75], v[74:75], v[88:89], v[108:109] op_sel:[0,0,1] op_sel_hi:[1,0,0]
	v_mov_b32_e32 v83, v73
	v_pk_add_f32 v[66:67], v[66:67], v[68:69]
	;; [unrolled: 5-line block ×5, first 2 shown]
	v_pk_fma_f32 v[92:93], v[100:101], v[96:97], v[116:117] op_sel:[0,0,1] op_sel_hi:[1,1,0] neg_lo:[0,0,1] neg_hi:[0,0,1]
	v_pk_fma_f32 v[94:95], v[100:101], v[96:97], v[116:117] op_sel:[0,0,1] op_sel_hi:[1,0,0]
	v_mov_b32_e32 v91, v81
	v_pk_add_f32 v[66:67], v[66:67], v[88:89]
	v_mov_b32_e32 v93, v95
	v_pk_add_f32 v[66:67], v[66:67], v[90:91]
	v_pk_add_f32 v[66:67], v[66:67], v[92:93]
	s_waitcnt vmcnt(0)
	v_pk_add_f32 v[66:67], v[98:99], v[66:67] neg_lo:[0,1] neg_hi:[0,1]
	buffer_store_dword v66, off, s[0:3], 0 offset:168
	buffer_store_dword v67, off, s[0:3], 0 offset:172
	s_and_saveexec_b64 s[4:5], vcc
	s_cbranch_execz .LBB94_159
; %bb.158:
	buffer_load_dword v66, off, s[0:3], 0 offset:160
	buffer_load_dword v67, off, s[0:3], 0 offset:164
	s_waitcnt vmcnt(0)
	ds_write_b64 v1, v[66:67]
	buffer_store_dword v64, off, s[0:3], 0 offset:160
	buffer_store_dword v64, off, s[0:3], 0 offset:164
.LBB94_159:
	s_or_b64 exec, exec, s[4:5]
	s_waitcnt lgkmcnt(0)
	; wave barrier
	s_waitcnt lgkmcnt(0)
	buffer_load_dword v104, off, s[0:3], 0 offset:172
	buffer_load_dword v106, off, s[0:3], 0 offset:180
	;; [unrolled: 1-line block ×22, first 2 shown]
	ds_read2_b64 v[66:69], v64 offset0:53 offset1:54
	ds_read2_b64 v[70:73], v64 offset0:55 offset1:56
	;; [unrolled: 1-line block ×5, first 2 shown]
	v_cmp_lt_u32_e32 vcc, 19, v0
	s_waitcnt vmcnt(21) lgkmcnt(4)
	v_mul_f32_e32 v65, v66, v104
	s_waitcnt vmcnt(20)
	v_mul_f32_e32 v105, v68, v106
	v_mul_f32_e32 v64, v67, v104
	;; [unrolled: 1-line block ×3, first 2 shown]
	s_waitcnt vmcnt(19)
	v_mov_b32_e32 v106, v87
	s_waitcnt vmcnt(18)
	v_mov_b32_e32 v108, v89
	;; [unrolled: 2-line block ×5, first 2 shown]
	v_mov_b32_e32 v112, v93
	s_waitcnt vmcnt(11)
	v_fmac_f32_e32 v65, v67, v107
	v_fma_f32 v64, v66, v107, -v64
	s_waitcnt lgkmcnt(3)
	v_pk_mul_f32 v[66:67], v[70:71], v[106:107] op_sel_hi:[1,0]
	s_waitcnt vmcnt(10)
	v_fmac_f32_e32 v105, v69, v109
	v_fma_f32 v104, v68, v109, -v104
	v_pk_mul_f32 v[68:69], v[72:73], v[108:109] op_sel_hi:[1,0]
	s_waitcnt lgkmcnt(2)
	v_pk_mul_f32 v[106:107], v[74:75], v[110:111] op_sel_hi:[1,0]
	s_waitcnt lgkmcnt(1)
	;; [unrolled: 2-line block ×3, first 2 shown]
	v_pk_mul_f32 v[114:115], v[82:83], v[118:119] op_sel_hi:[1,0]
	v_pk_add_f32 v[64:65], v[64:65], 0 op_sel_hi:[1,0]
	s_waitcnt vmcnt(9)
	v_pk_fma_f32 v[118:119], v[70:71], v[86:87], v[66:67] op_sel:[0,0,1] op_sel_hi:[1,1,0] neg_lo:[0,0,1] neg_hi:[0,0,1]
	v_pk_fma_f32 v[66:67], v[70:71], v[86:87], v[66:67] op_sel:[0,0,1] op_sel_hi:[1,0,0]
	s_waitcnt vmcnt(8)
	v_pk_fma_f32 v[70:71], v[72:73], v[88:89], v[68:69] op_sel:[0,0,1] op_sel_hi:[1,1,0] neg_lo:[0,0,1] neg_hi:[0,0,1]
	v_pk_fma_f32 v[68:69], v[72:73], v[88:89], v[68:69] op_sel:[0,0,1] op_sel_hi:[1,0,0]
	v_pk_add_f32 v[64:65], v[64:65], v[104:105]
	v_mov_b32_e32 v119, v67
	v_pk_mul_f32 v[108:109], v[76:77], v[112:113] op_sel_hi:[1,0]
	s_waitcnt vmcnt(7)
	v_pk_fma_f32 v[72:73], v[74:75], v[90:91], v[106:107] op_sel:[0,0,1] op_sel_hi:[1,1,0] neg_lo:[0,0,1] neg_hi:[0,0,1]
	v_pk_fma_f32 v[74:75], v[74:75], v[90:91], v[106:107] op_sel:[0,0,1] op_sel_hi:[1,0,0]
	v_mov_b32_e32 v71, v69
	v_pk_add_f32 v[64:65], v[64:65], v[118:119]
	v_mov_b32_e32 v116, v97
	s_waitcnt vmcnt(6)
	v_pk_fma_f32 v[86:87], v[76:77], v[92:93], v[108:109] op_sel:[0,0,1] op_sel_hi:[1,1,0] neg_lo:[0,0,1] neg_hi:[0,0,1]
	v_pk_fma_f32 v[76:77], v[76:77], v[92:93], v[108:109] op_sel:[0,0,1] op_sel_hi:[1,0,0]
	v_mov_b32_e32 v73, v75
	v_pk_add_f32 v[64:65], v[64:65], v[70:71]
	v_pk_mul_f32 v[112:113], v[80:81], v[116:117] op_sel_hi:[1,0]
	s_waitcnt vmcnt(5)
	v_pk_fma_f32 v[88:89], v[78:79], v[94:95], v[110:111] op_sel:[0,0,1] op_sel_hi:[1,1,0] neg_lo:[0,0,1] neg_hi:[0,0,1]
	v_pk_fma_f32 v[78:79], v[78:79], v[94:95], v[110:111] op_sel:[0,0,1] op_sel_hi:[1,0,0]
	v_mov_b32_e32 v87, v77
	v_pk_add_f32 v[64:65], v[64:65], v[72:73]
	v_mov_b32_e32 v120, v101
	s_waitcnt vmcnt(2)
	v_pk_fma_f32 v[90:91], v[80:81], v[96:97], v[112:113] op_sel:[0,0,1] op_sel_hi:[1,1,0] neg_lo:[0,0,1] neg_hi:[0,0,1]
	v_pk_fma_f32 v[80:81], v[80:81], v[96:97], v[112:113] op_sel:[0,0,1] op_sel_hi:[1,0,0]
	v_mov_b32_e32 v89, v79
	v_pk_add_f32 v[64:65], v[64:65], v[86:87]
	v_pk_mul_f32 v[116:117], v[84:85], v[120:121] op_sel_hi:[1,0]
	v_pk_fma_f32 v[92:93], v[82:83], v[98:99], v[114:115] op_sel:[0,0,1] op_sel_hi:[1,1,0] neg_lo:[0,0,1] neg_hi:[0,0,1]
	v_pk_fma_f32 v[82:83], v[82:83], v[98:99], v[114:115] op_sel:[0,0,1] op_sel_hi:[1,0,0]
	v_mov_b32_e32 v91, v81
	v_pk_add_f32 v[64:65], v[64:65], v[88:89]
	v_pk_fma_f32 v[94:95], v[84:85], v[100:101], v[116:117] op_sel:[0,0,1] op_sel_hi:[1,1,0] neg_lo:[0,0,1] neg_hi:[0,0,1]
	v_pk_fma_f32 v[84:85], v[84:85], v[100:101], v[116:117] op_sel:[0,0,1] op_sel_hi:[1,0,0]
	v_mov_b32_e32 v93, v83
	v_pk_add_f32 v[64:65], v[64:65], v[90:91]
	v_mov_b32_e32 v95, v85
	v_pk_add_f32 v[64:65], v[64:65], v[92:93]
	v_pk_add_f32 v[64:65], v[64:65], v[94:95]
	s_waitcnt vmcnt(0)
	v_pk_add_f32 v[64:65], v[102:103], v[64:65] neg_lo:[0,1] neg_hi:[0,1]
	buffer_store_dword v64, off, s[0:3], 0 offset:160
	buffer_store_dword v65, off, s[0:3], 0 offset:164
	s_and_saveexec_b64 s[4:5], vcc
	s_cbranch_execz .LBB94_161
; %bb.160:
	buffer_load_dword v64, off, s[0:3], 0 offset:152
	buffer_load_dword v65, off, s[0:3], 0 offset:156
	v_mov_b32_e32 v66, 0
	buffer_store_dword v66, off, s[0:3], 0 offset:152
	buffer_store_dword v66, off, s[0:3], 0 offset:156
	s_waitcnt vmcnt(2)
	ds_write_b64 v1, v[64:65]
.LBB94_161:
	s_or_b64 exec, exec, s[4:5]
	s_waitcnt lgkmcnt(0)
	; wave barrier
	s_waitcnt lgkmcnt(0)
	buffer_load_dword v65, off, s[0:3], 0 offset:164
	buffer_load_dword v106, off, s[0:3], 0 offset:172
	buffer_load_dword v108, off, s[0:3], 0 offset:180
	buffer_load_dword v87, off, s[0:3], 0 offset:188
	buffer_load_dword v89, off, s[0:3], 0 offset:196
	buffer_load_dword v91, off, s[0:3], 0 offset:204
	buffer_load_dword v93, off, s[0:3], 0 offset:212
	buffer_load_dword v95, off, s[0:3], 0 offset:220
	buffer_load_dword v97, off, s[0:3], 0 offset:228
	buffer_load_dword v99, off, s[0:3], 0 offset:236
	buffer_load_dword v101, off, s[0:3], 0 offset:244
	buffer_load_dword v111, off, s[0:3], 0 offset:160
	buffer_load_dword v113, off, s[0:3], 0 offset:168
	buffer_load_dword v115, off, s[0:3], 0 offset:176
	buffer_load_dword v86, off, s[0:3], 0 offset:184
	buffer_load_dword v88, off, s[0:3], 0 offset:192
	buffer_load_dword v90, off, s[0:3], 0 offset:200
	buffer_load_dword v92, off, s[0:3], 0 offset:208
	buffer_load_dword v100, off, s[0:3], 0 offset:240
	buffer_load_dword v98, off, s[0:3], 0 offset:232
	buffer_load_dword v96, off, s[0:3], 0 offset:224
	buffer_load_dword v94, off, s[0:3], 0 offset:216
	buffer_load_dword v102, off, s[0:3], 0 offset:152
	buffer_load_dword v103, off, s[0:3], 0 offset:156
	v_mov_b32_e32 v64, 0
	ds_read_b128 v[66:69], v64 offset:416
	ds_read_b128 v[70:73], v64 offset:432
	;; [unrolled: 1-line block ×5, first 2 shown]
	ds_read_b64 v[104:105], v64 offset:496
	v_cmp_lt_u32_e32 vcc, 18, v0
	s_waitcnt vmcnt(23) lgkmcnt(5)
	v_mul_f32_e32 v119, v66, v65
	v_mul_f32_e32 v65, v67, v65
	s_waitcnt vmcnt(22)
	v_mul_f32_e32 v107, v68, v106
	s_waitcnt vmcnt(21) lgkmcnt(4)
	v_mul_f32_e32 v109, v70, v108
	v_mul_f32_e32 v106, v69, v106
	;; [unrolled: 1-line block ×3, first 2 shown]
	s_waitcnt vmcnt(20)
	v_mov_b32_e32 v110, v87
	s_waitcnt vmcnt(19)
	v_mov_b32_e32 v112, v89
	;; [unrolled: 2-line block ×5, first 2 shown]
	s_waitcnt vmcnt(12)
	v_fmac_f32_e32 v119, v67, v111
	v_fma_f32 v65, v66, v111, -v65
	v_mov_b32_e32 v120, v97
	s_waitcnt vmcnt(11)
	v_fmac_f32_e32 v107, v69, v113
	s_waitcnt vmcnt(10)
	v_fmac_f32_e32 v109, v71, v115
	v_fma_f32 v106, v68, v113, -v106
	v_fma_f32 v108, v70, v115, -v108
	v_pk_mul_f32 v[66:67], v[72:73], v[110:111] op_sel_hi:[1,0]
	s_waitcnt lgkmcnt(3)
	v_pk_mul_f32 v[68:69], v[74:75], v[112:113] op_sel_hi:[1,0]
	v_pk_mul_f32 v[70:71], v[76:77], v[114:115] op_sel_hi:[1,0]
	s_waitcnt lgkmcnt(2)
	v_pk_mul_f32 v[110:111], v[78:79], v[116:117] op_sel_hi:[1,0]
	v_pk_mul_f32 v[112:113], v[80:81], v[118:119] op_sel_hi:[1,0]
	v_add_f32_e32 v119, 0, v119
	v_add_f32_e32 v118, 0, v65
	s_waitcnt lgkmcnt(1)
	v_pk_mul_f32 v[114:115], v[82:83], v[120:121] op_sel_hi:[1,0]
	s_waitcnt vmcnt(9)
	v_pk_fma_f32 v[120:121], v[72:73], v[86:87], v[66:67] op_sel:[0,0,1] op_sel_hi:[1,1,0] neg_lo:[0,0,1] neg_hi:[0,0,1]
	v_pk_fma_f32 v[66:67], v[72:73], v[86:87], v[66:67] op_sel:[0,0,1] op_sel_hi:[1,0,0]
	s_waitcnt vmcnt(8)
	v_pk_fma_f32 v[72:73], v[74:75], v[88:89], v[68:69] op_sel:[0,0,1] op_sel_hi:[1,1,0] neg_lo:[0,0,1] neg_hi:[0,0,1]
	v_pk_fma_f32 v[68:69], v[74:75], v[88:89], v[68:69] op_sel:[0,0,1] op_sel_hi:[1,0,0]
	s_waitcnt vmcnt(7)
	v_pk_fma_f32 v[74:75], v[76:77], v[90:91], v[70:71] op_sel:[0,0,1] op_sel_hi:[1,1,0] neg_lo:[0,0,1] neg_hi:[0,0,1]
	v_pk_fma_f32 v[70:71], v[76:77], v[90:91], v[70:71] op_sel:[0,0,1] op_sel_hi:[1,0,0]
	s_waitcnt vmcnt(6)
	v_pk_fma_f32 v[76:77], v[78:79], v[92:93], v[110:111] op_sel:[0,0,1] op_sel_hi:[1,1,0] neg_lo:[0,0,1] neg_hi:[0,0,1]
	v_pk_fma_f32 v[78:79], v[78:79], v[92:93], v[110:111] op_sel:[0,0,1] op_sel_hi:[1,0,0]
	v_pk_add_f32 v[92:93], v[118:119], v[106:107]
	v_mov_b32_e32 v121, v67
	v_pk_add_f32 v[66:67], v[92:93], v[108:109]
	v_mov_b32_e32 v73, v69
	;; [unrolled: 2-line block ×4, first 2 shown]
	s_waitcnt vmcnt(2)
	v_pk_fma_f32 v[86:87], v[80:81], v[94:95], v[112:113] op_sel:[0,0,1] op_sel_hi:[1,1,0] neg_lo:[0,0,1] neg_hi:[0,0,1]
	v_pk_fma_f32 v[80:81], v[80:81], v[94:95], v[112:113] op_sel:[0,0,1] op_sel_hi:[1,0,0]
	v_mov_b32_e32 v77, v79
	v_pk_add_f32 v[66:67], v[66:67], v[74:75]
	v_mov_b32_e32 v124, v101
	v_pk_mul_f32 v[116:117], v[84:85], v[122:123] op_sel_hi:[1,0]
	v_pk_fma_f32 v[88:89], v[82:83], v[96:97], v[114:115] op_sel:[0,0,1] op_sel_hi:[1,1,0] neg_lo:[0,0,1] neg_hi:[0,0,1]
	v_pk_fma_f32 v[82:83], v[82:83], v[96:97], v[114:115] op_sel:[0,0,1] op_sel_hi:[1,0,0]
	v_mov_b32_e32 v87, v81
	v_pk_add_f32 v[66:67], v[66:67], v[76:77]
	v_pk_fma_f32 v[90:91], v[84:85], v[98:99], v[116:117] op_sel:[0,0,1] op_sel_hi:[1,1,0] neg_lo:[0,0,1] neg_hi:[0,0,1]
	v_pk_fma_f32 v[84:85], v[84:85], v[98:99], v[116:117] op_sel:[0,0,1] op_sel_hi:[1,0,0]
	v_mov_b32_e32 v89, v83
	v_pk_add_f32 v[66:67], v[66:67], v[86:87]
	s_waitcnt lgkmcnt(0)
	v_pk_mul_f32 v[68:69], v[104:105], v[124:125] op_sel_hi:[1,0]
	v_mov_b32_e32 v91, v85
	v_pk_add_f32 v[66:67], v[66:67], v[88:89]
	v_pk_fma_f32 v[70:71], v[104:105], v[100:101], v[68:69] op_sel:[0,0,1] op_sel_hi:[1,1,0] neg_lo:[0,0,1] neg_hi:[0,0,1]
	v_pk_fma_f32 v[68:69], v[104:105], v[100:101], v[68:69] op_sel:[0,0,1] op_sel_hi:[1,0,0]
	v_pk_add_f32 v[66:67], v[66:67], v[90:91]
	v_mov_b32_e32 v71, v69
	v_pk_add_f32 v[66:67], v[66:67], v[70:71]
	s_waitcnt vmcnt(0)
	v_pk_add_f32 v[66:67], v[102:103], v[66:67] neg_lo:[0,1] neg_hi:[0,1]
	buffer_store_dword v67, off, s[0:3], 0 offset:156
	buffer_store_dword v66, off, s[0:3], 0 offset:152
	s_and_saveexec_b64 s[4:5], vcc
	s_cbranch_execz .LBB94_163
; %bb.162:
	buffer_load_dword v66, off, s[0:3], 0 offset:144
	buffer_load_dword v67, off, s[0:3], 0 offset:148
	s_waitcnt vmcnt(0)
	ds_write_b64 v1, v[66:67]
	buffer_store_dword v64, off, s[0:3], 0 offset:144
	buffer_store_dword v64, off, s[0:3], 0 offset:148
.LBB94_163:
	s_or_b64 exec, exec, s[4:5]
	s_waitcnt lgkmcnt(0)
	; wave barrier
	s_waitcnt lgkmcnt(0)
	buffer_load_dword v108, off, s[0:3], 0 offset:156
	buffer_load_dword v110, off, s[0:3], 0 offset:164
	buffer_load_dword v111, off, s[0:3], 0 offset:172
	buffer_load_dword v112, off, s[0:3], 0 offset:180
	buffer_load_dword v91, off, s[0:3], 0 offset:188
	buffer_load_dword v93, off, s[0:3], 0 offset:196
	buffer_load_dword v95, off, s[0:3], 0 offset:204
	buffer_load_dword v97, off, s[0:3], 0 offset:212
	buffer_load_dword v99, off, s[0:3], 0 offset:220
	buffer_load_dword v101, off, s[0:3], 0 offset:228
	buffer_load_dword v113, off, s[0:3], 0 offset:152
	buffer_load_dword v115, off, s[0:3], 0 offset:160
	buffer_load_dword v117, off, s[0:3], 0 offset:168
	buffer_load_dword v119, off, s[0:3], 0 offset:176
	buffer_load_dword v90, off, s[0:3], 0 offset:184
	buffer_load_dword v92, off, s[0:3], 0 offset:192
	buffer_load_dword v94, off, s[0:3], 0 offset:200
	buffer_load_dword v102, off, s[0:3], 0 offset:232
	buffer_load_dword v100, off, s[0:3], 0 offset:224
	buffer_load_dword v98, off, s[0:3], 0 offset:216
	buffer_load_dword v96, off, s[0:3], 0 offset:208
	buffer_load_dword v103, off, s[0:3], 0 offset:236
	buffer_load_dword v105, off, s[0:3], 0 offset:244
	buffer_load_dword v104, off, s[0:3], 0 offset:240
	buffer_load_dword v106, off, s[0:3], 0 offset:144
	buffer_load_dword v107, off, s[0:3], 0 offset:148
	ds_read2_b64 v[66:69], v64 offset0:51 offset1:52
	ds_read2_b64 v[70:73], v64 offset0:53 offset1:54
	;; [unrolled: 1-line block ×6, first 2 shown]
	v_cmp_lt_u32_e32 vcc, 17, v0
	s_waitcnt vmcnt(25) lgkmcnt(5)
	v_mul_f32_e32 v121, v66, v108
	v_mul_f32_e32 v64, v67, v108
	s_waitcnt vmcnt(24)
	v_mul_f32_e32 v122, v68, v110
	s_waitcnt vmcnt(23) lgkmcnt(4)
	v_mul_f32_e32 v65, v70, v111
	s_waitcnt vmcnt(22)
	v_mul_f32_e32 v109, v72, v112
	v_mul_f32_e32 v108, v69, v110
	;; [unrolled: 1-line block ×4, first 2 shown]
	s_waitcnt vmcnt(21)
	v_mov_b32_e32 v110, v91
	s_waitcnt vmcnt(20)
	v_mov_b32_e32 v112, v93
	;; [unrolled: 2-line block ×3, first 2 shown]
	s_waitcnt vmcnt(15)
	v_fmac_f32_e32 v121, v67, v113
	v_fma_f32 v124, v66, v113, -v64
	v_mov_b32_e32 v114, v95
	s_waitcnt vmcnt(14)
	v_fmac_f32_e32 v122, v69, v115
	s_waitcnt vmcnt(13)
	v_fmac_f32_e32 v65, v71, v117
	s_waitcnt vmcnt(12)
	v_fmac_f32_e32 v109, v73, v119
	v_fma_f32 v125, v68, v115, -v108
	v_fma_f32 v64, v70, v117, -v111
	;; [unrolled: 1-line block ×3, first 2 shown]
	s_waitcnt lgkmcnt(3)
	v_pk_mul_f32 v[66:67], v[74:75], v[110:111] op_sel_hi:[1,0]
	v_pk_mul_f32 v[68:69], v[76:77], v[112:113] op_sel_hi:[1,0]
	s_waitcnt lgkmcnt(2)
	v_pk_mul_f32 v[72:73], v[80:81], v[116:117] op_sel_hi:[1,0]
	v_add_f32_e32 v116, 0, v121
	v_add_f32_e32 v117, 0, v124
	v_pk_mul_f32 v[70:71], v[78:79], v[114:115] op_sel_hi:[1,0]
	s_waitcnt vmcnt(11)
	v_pk_fma_f32 v[114:115], v[74:75], v[90:91], v[66:67] op_sel:[0,0,1] op_sel_hi:[1,1,0] neg_lo:[0,0,1] neg_hi:[0,0,1]
	v_pk_fma_f32 v[66:67], v[74:75], v[90:91], v[66:67] op_sel:[0,0,1] op_sel_hi:[1,0,0]
	s_waitcnt vmcnt(10)
	v_pk_fma_f32 v[74:75], v[76:77], v[92:93], v[68:69] op_sel:[0,0,1] op_sel_hi:[1,1,0] neg_lo:[0,0,1] neg_hi:[0,0,1]
	v_pk_fma_f32 v[68:69], v[76:77], v[92:93], v[68:69] op_sel:[0,0,1] op_sel_hi:[1,0,0]
	v_add_f32_e32 v93, v116, v122
	v_add_f32_e32 v92, v117, v125
	v_pk_add_f32 v[64:65], v[92:93], v[64:65]
	v_mov_b32_e32 v115, v67
	v_pk_add_f32 v[64:65], v[64:65], v[108:109]
	v_mov_b32_e32 v118, v99
	s_waitcnt vmcnt(9)
	v_pk_fma_f32 v[76:77], v[78:79], v[94:95], v[70:71] op_sel:[0,0,1] op_sel_hi:[1,1,0] neg_lo:[0,0,1] neg_hi:[0,0,1]
	v_pk_fma_f32 v[70:71], v[78:79], v[94:95], v[70:71] op_sel:[0,0,1] op_sel_hi:[1,0,0]
	v_mov_b32_e32 v75, v69
	v_pk_add_f32 v[64:65], v[64:65], v[114:115]
	v_mov_b32_e32 v120, v101
	s_waitcnt lgkmcnt(1)
	v_pk_mul_f32 v[110:111], v[82:83], v[118:119] op_sel_hi:[1,0]
	s_waitcnt vmcnt(5)
	v_pk_fma_f32 v[78:79], v[80:81], v[96:97], v[72:73] op_sel:[0,0,1] op_sel_hi:[1,1,0] neg_lo:[0,0,1] neg_hi:[0,0,1]
	v_pk_fma_f32 v[72:73], v[80:81], v[96:97], v[72:73] op_sel:[0,0,1] op_sel_hi:[1,0,0]
	v_mov_b32_e32 v77, v71
	v_pk_add_f32 v[64:65], v[64:65], v[74:75]
	s_waitcnt vmcnt(4)
	v_mov_b32_e32 v66, v103
	v_pk_mul_f32 v[112:113], v[84:85], v[120:121] op_sel_hi:[1,0]
	v_pk_fma_f32 v[80:81], v[82:83], v[98:99], v[110:111] op_sel:[0,0,1] op_sel_hi:[1,1,0] neg_lo:[0,0,1] neg_hi:[0,0,1]
	v_pk_fma_f32 v[82:83], v[82:83], v[98:99], v[110:111] op_sel:[0,0,1] op_sel_hi:[1,0,0]
	v_mov_b32_e32 v79, v73
	v_pk_add_f32 v[64:65], v[64:65], v[76:77]
	s_waitcnt lgkmcnt(0)
	v_pk_mul_f32 v[66:67], v[86:87], v[66:67] op_sel_hi:[1,0]
	v_pk_fma_f32 v[90:91], v[84:85], v[100:101], v[112:113] op_sel:[0,0,1] op_sel_hi:[1,1,0] neg_lo:[0,0,1] neg_hi:[0,0,1]
	v_pk_fma_f32 v[84:85], v[84:85], v[100:101], v[112:113] op_sel:[0,0,1] op_sel_hi:[1,0,0]
	v_mov_b32_e32 v81, v83
	v_pk_add_f32 v[64:65], v[64:65], v[78:79]
	v_pk_fma_f32 v[68:69], v[86:87], v[102:103], v[66:67] op_sel:[0,0,1] op_sel_hi:[1,1,0] neg_lo:[0,0,1] neg_hi:[0,0,1]
	v_pk_fma_f32 v[66:67], v[86:87], v[102:103], v[66:67] op_sel:[0,0,1] op_sel_hi:[1,0,0]
	v_mov_b32_e32 v91, v85
	v_pk_add_f32 v[64:65], v[64:65], v[80:81]
	s_waitcnt vmcnt(3)
	v_mov_b32_e32 v66, v105
	v_pk_add_f32 v[64:65], v[64:65], v[90:91]
	v_mov_b32_e32 v69, v67
	v_pk_mul_f32 v[66:67], v[88:89], v[66:67] op_sel_hi:[1,0]
	v_pk_add_f32 v[64:65], v[64:65], v[68:69]
	s_waitcnt vmcnt(2)
	v_pk_fma_f32 v[68:69], v[88:89], v[104:105], v[66:67] op_sel:[0,0,1] op_sel_hi:[1,1,0] neg_lo:[0,0,1] neg_hi:[0,0,1]
	v_pk_fma_f32 v[66:67], v[88:89], v[104:105], v[66:67] op_sel:[0,0,1] op_sel_hi:[1,0,0]
	v_mov_b32_e32 v69, v67
	v_pk_add_f32 v[64:65], v[64:65], v[68:69]
	s_waitcnt vmcnt(0)
	v_pk_add_f32 v[64:65], v[106:107], v[64:65] neg_lo:[0,1] neg_hi:[0,1]
	buffer_store_dword v65, off, s[0:3], 0 offset:148
	buffer_store_dword v64, off, s[0:3], 0 offset:144
	s_and_saveexec_b64 s[4:5], vcc
	s_cbranch_execz .LBB94_165
; %bb.164:
	buffer_load_dword v64, off, s[0:3], 0 offset:136
	buffer_load_dword v65, off, s[0:3], 0 offset:140
	v_mov_b32_e32 v66, 0
	buffer_store_dword v66, off, s[0:3], 0 offset:136
	buffer_store_dword v66, off, s[0:3], 0 offset:140
	s_waitcnt vmcnt(2)
	ds_write_b64 v1, v[64:65]
.LBB94_165:
	s_or_b64 exec, exec, s[4:5]
	v_mov_b32_e32 v66, 0
	s_waitcnt lgkmcnt(0)
	; wave barrier
	s_waitcnt lgkmcnt(0)
	ds_read_b128 v[68:71], v66 offset:400
	ds_read_b128 v[72:75], v66 offset:416
	;; [unrolled: 1-line block ×4, first 2 shown]
	buffer_load_dword v64, off, s[0:3], 0 offset:136
	buffer_load_dword v65, off, s[0:3], 0 offset:140
	;; [unrolled: 1-line block ×28, first 2 shown]
	v_cmp_lt_u32_e32 vcc, 16, v0
	s_waitcnt vmcnt(24) lgkmcnt(3)
	v_mul_f32_e32 v89, v68, v88
	v_fmac_f32_e32 v89, v69, v67
	v_mul_f32_e32 v69, v69, v88
	s_waitcnt vmcnt(22)
	v_mul_f32_e32 v91, v70, v92
	v_fma_f32 v67, v68, v67, -v69
	v_mul_f32_e32 v68, v71, v92
	v_add_f32_e32 v89, 0, v89
	v_fmac_f32_e32 v91, v71, v90
	v_add_f32_e32 v67, 0, v67
	v_fma_f32 v68, v70, v90, -v68
	v_add_f32_e32 v89, v89, v91
	s_waitcnt vmcnt(20) lgkmcnt(2)
	v_mul_f32_e32 v91, v72, v107
	v_add_f32_e32 v67, v67, v68
	v_mul_f32_e32 v68, v73, v107
	v_fmac_f32_e32 v91, v73, v106
	v_fma_f32 v68, v72, v106, -v68
	v_add_f32_e32 v89, v89, v91
	s_waitcnt vmcnt(18)
	v_mul_f32_e32 v91, v74, v109
	v_add_f32_e32 v88, v67, v68
	v_mul_f32_e32 v67, v75, v109
	v_fmac_f32_e32 v91, v75, v108
	v_fma_f32 v90, v74, v108, -v67
	s_waitcnt vmcnt(16) lgkmcnt(1)
	v_mul_f32_e32 v93, v76, v111
	v_mul_f32_e32 v67, v77, v111
	v_pk_add_f32 v[88:89], v[88:89], v[90:91]
	s_waitcnt vmcnt(14)
	v_mov_b32_e32 v90, v85
	v_fmac_f32_e32 v93, v77, v110
	v_fma_f32 v92, v76, v110, -v67
	v_pk_mul_f32 v[90:91], v[78:79], v[90:91] op_sel_hi:[1,0]
	v_pk_add_f32 v[88:89], v[88:89], v[92:93]
	v_pk_fma_f32 v[92:93], v[78:79], v[84:85], v[90:91] op_sel:[0,0,1] op_sel_hi:[1,1,0] neg_lo:[0,0,1] neg_hi:[0,0,1]
	v_pk_fma_f32 v[78:79], v[78:79], v[84:85], v[90:91] op_sel:[0,0,1] op_sel_hi:[1,0,0]
	s_waitcnt vmcnt(12)
	v_mov_b32_e32 v84, v87
	v_mov_b32_e32 v93, v79
	s_waitcnt lgkmcnt(0)
	v_pk_mul_f32 v[84:85], v[80:81], v[84:85] op_sel_hi:[1,0]
	v_pk_add_f32 v[78:79], v[88:89], v[92:93]
	v_pk_fma_f32 v[88:89], v[80:81], v[86:87], v[84:85] op_sel:[0,0,1] op_sel_hi:[1,1,0] neg_lo:[0,0,1] neg_hi:[0,0,1]
	v_pk_fma_f32 v[80:81], v[80:81], v[86:87], v[84:85] op_sel:[0,0,1] op_sel_hi:[1,0,0]
	s_waitcnt vmcnt(11)
	v_mov_b32_e32 v80, v95
	ds_read_b128 v[68:71], v66 offset:464
	ds_read_b128 v[72:75], v66 offset:480
	ds_read_b64 v[76:77], v66 offset:496
	v_mov_b32_e32 v89, v81
	v_pk_mul_f32 v[80:81], v[82:83], v[80:81] op_sel_hi:[1,0]
	s_waitcnt vmcnt(10)
	v_pk_fma_f32 v[84:85], v[82:83], v[94:95], v[80:81] op_sel:[0,0,1] op_sel_hi:[1,1,0] neg_lo:[0,0,1] neg_hi:[0,0,1]
	v_pk_fma_f32 v[80:81], v[82:83], v[94:95], v[80:81] op_sel:[0,0,1] op_sel_hi:[1,0,0]
	s_waitcnt vmcnt(9)
	v_mov_b32_e32 v80, v97
	v_mov_b32_e32 v85, v81
	s_waitcnt lgkmcnt(2)
	v_pk_mul_f32 v[80:81], v[68:69], v[80:81] op_sel_hi:[1,0]
	v_pk_add_f32 v[78:79], v[78:79], v[88:89]
	s_waitcnt vmcnt(8)
	v_pk_fma_f32 v[82:83], v[68:69], v[96:97], v[80:81] op_sel:[0,0,1] op_sel_hi:[1,1,0] neg_lo:[0,0,1] neg_hi:[0,0,1]
	v_pk_fma_f32 v[68:69], v[68:69], v[96:97], v[80:81] op_sel:[0,0,1] op_sel_hi:[1,0,0]
	v_pk_add_f32 v[78:79], v[78:79], v[84:85]
	v_mov_b32_e32 v83, v69
	v_pk_add_f32 v[68:69], v[78:79], v[82:83]
	s_waitcnt vmcnt(7)
	v_mov_b32_e32 v78, v99
	v_pk_mul_f32 v[78:79], v[70:71], v[78:79] op_sel_hi:[1,0]
	s_waitcnt vmcnt(6)
	v_pk_fma_f32 v[80:81], v[70:71], v[98:99], v[78:79] op_sel:[0,0,1] op_sel_hi:[1,1,0] neg_lo:[0,0,1] neg_hi:[0,0,1]
	v_pk_fma_f32 v[70:71], v[70:71], v[98:99], v[78:79] op_sel:[0,0,1] op_sel_hi:[1,0,0]
	s_waitcnt vmcnt(5)
	v_mov_b32_e32 v70, v101
	v_mov_b32_e32 v81, v71
	s_waitcnt lgkmcnt(1)
	v_pk_mul_f32 v[70:71], v[72:73], v[70:71] op_sel_hi:[1,0]
	s_waitcnt vmcnt(4)
	v_pk_fma_f32 v[78:79], v[72:73], v[100:101], v[70:71] op_sel:[0,0,1] op_sel_hi:[1,1,0] neg_lo:[0,0,1] neg_hi:[0,0,1]
	v_pk_fma_f32 v[70:71], v[72:73], v[100:101], v[70:71] op_sel:[0,0,1] op_sel_hi:[1,0,0]
	s_waitcnt vmcnt(3)
	v_mov_b32_e32 v70, v103
	v_mov_b32_e32 v79, v71
	v_pk_mul_f32 v[70:71], v[74:75], v[70:71] op_sel_hi:[1,0]
	s_waitcnt vmcnt(2)
	v_pk_fma_f32 v[72:73], v[74:75], v[102:103], v[70:71] op_sel:[0,0,1] op_sel_hi:[1,1,0] neg_lo:[0,0,1] neg_hi:[0,0,1]
	v_pk_fma_f32 v[70:71], v[74:75], v[102:103], v[70:71] op_sel:[0,0,1] op_sel_hi:[1,0,0]
	v_pk_add_f32 v[68:69], v[68:69], v[80:81]
	s_waitcnt vmcnt(1)
	v_mov_b32_e32 v70, v105
	v_pk_add_f32 v[68:69], v[68:69], v[78:79]
	v_mov_b32_e32 v73, v71
	s_waitcnt lgkmcnt(0)
	v_pk_mul_f32 v[70:71], v[76:77], v[70:71] op_sel_hi:[1,0]
	v_pk_add_f32 v[68:69], v[68:69], v[72:73]
	s_waitcnt vmcnt(0)
	v_pk_fma_f32 v[72:73], v[76:77], v[104:105], v[70:71] op_sel:[0,0,1] op_sel_hi:[1,1,0] neg_lo:[0,0,1] neg_hi:[0,0,1]
	v_pk_fma_f32 v[70:71], v[76:77], v[104:105], v[70:71] op_sel:[0,0,1] op_sel_hi:[1,0,0]
	v_mov_b32_e32 v73, v71
	v_pk_add_f32 v[68:69], v[68:69], v[72:73]
	v_pk_add_f32 v[64:65], v[64:65], v[68:69] neg_lo:[0,1] neg_hi:[0,1]
	buffer_store_dword v65, off, s[0:3], 0 offset:140
	buffer_store_dword v64, off, s[0:3], 0 offset:136
	s_and_saveexec_b64 s[4:5], vcc
	s_cbranch_execz .LBB94_167
; %bb.166:
	buffer_load_dword v64, off, s[0:3], 0 offset:128
	buffer_load_dword v65, off, s[0:3], 0 offset:132
	s_waitcnt vmcnt(0)
	ds_write_b64 v1, v[64:65]
	buffer_store_dword v66, off, s[0:3], 0 offset:128
	buffer_store_dword v66, off, s[0:3], 0 offset:132
.LBB94_167:
	s_or_b64 exec, exec, s[4:5]
	s_waitcnt lgkmcnt(0)
	; wave barrier
	s_waitcnt lgkmcnt(0)
	ds_read2_b64 v[68:71], v66 offset0:49 offset1:50
	buffer_load_dword v64, off, s[0:3], 0 offset:128
	buffer_load_dword v65, off, s[0:3], 0 offset:132
	;; [unrolled: 1-line block ×16, first 2 shown]
	v_cmp_lt_u32_e32 vcc, 15, v0
	ds_read2_b64 v[80:83], v66 offset0:55 offset1:56
	s_waitcnt vmcnt(12) lgkmcnt(1)
	v_mul_f32_e32 v72, v68, v86
	v_fmac_f32_e32 v72, v69, v67
	s_waitcnt vmcnt(10)
	v_mul_f32_e32 v73, v70, v90
	v_add_f32_e32 v72, 0, v72
	v_fmac_f32_e32 v73, v71, v88
	v_add_f32_e32 v76, v72, v73
	ds_read2_b64 v[72:75], v66 offset0:51 offset1:52
	v_mul_f32_e32 v69, v69, v86
	v_fma_f32 v67, v68, v67, -v69
	v_mul_f32_e32 v68, v71, v90
	v_add_f32_e32 v67, 0, v67
	s_waitcnt vmcnt(8) lgkmcnt(0)
	v_mul_f32_e32 v77, v72, v107
	v_fmac_f32_e32 v77, v73, v106
	v_add_f32_e32 v76, v76, v77
	s_waitcnt vmcnt(6)
	v_mul_f32_e32 v77, v74, v109
	v_fmac_f32_e32 v77, v75, v108
	v_add_f32_e32 v87, v76, v77
	ds_read2_b64 v[76:79], v66 offset0:53 offset1:54
	buffer_load_dword v93, off, s[0:3], 0 offset:196
	buffer_load_dword v92, off, s[0:3], 0 offset:192
	;; [unrolled: 1-line block ×14, first 2 shown]
	v_fma_f32 v68, v70, v88, -v68
	v_add_f32_e32 v67, v67, v68
	v_mul_f32_e32 v68, v73, v107
	v_fma_f32 v68, v72, v106, -v68
	v_add_f32_e32 v67, v67, v68
	v_mul_f32_e32 v68, v75, v109
	v_fma_f32 v68, v74, v108, -v68
	s_waitcnt vmcnt(18) lgkmcnt(0)
	v_mul_f32_e32 v89, v76, v111
	v_add_f32_e32 v86, v67, v68
	v_mul_f32_e32 v67, v77, v111
	v_fmac_f32_e32 v89, v77, v110
	s_waitcnt vmcnt(16)
	v_mul_f32_e32 v91, v78, v113
	v_fma_f32 v88, v76, v110, -v67
	v_mul_f32_e32 v67, v79, v113
	v_fmac_f32_e32 v91, v79, v112
	v_fma_f32 v90, v78, v112, -v67
	ds_read2_b64 v[68:71], v66 offset0:57 offset1:58
	ds_read2_b64 v[72:75], v66 offset0:59 offset1:60
	;; [unrolled: 1-line block ×3, first 2 shown]
	v_pk_add_f32 v[66:67], v[86:87], v[88:89]
	s_waitcnt vmcnt(14)
	v_mov_b32_e32 v86, v85
	v_pk_mul_f32 v[86:87], v[80:81], v[86:87] op_sel_hi:[1,0]
	v_pk_fma_f32 v[88:89], v[80:81], v[84:85], v[86:87] op_sel:[0,0,1] op_sel_hi:[1,1,0] neg_lo:[0,0,1] neg_hi:[0,0,1]
	v_pk_fma_f32 v[80:81], v[80:81], v[84:85], v[86:87] op_sel:[0,0,1] op_sel_hi:[1,0,0]
	v_mov_b32_e32 v89, v81
	v_pk_add_f32 v[66:67], v[66:67], v[90:91]
	v_pk_add_f32 v[66:67], v[66:67], v[88:89]
	s_waitcnt vmcnt(13)
	v_mov_b32_e32 v80, v93
	v_pk_mul_f32 v[80:81], v[82:83], v[80:81] op_sel_hi:[1,0]
	s_waitcnt vmcnt(12)
	v_pk_fma_f32 v[84:85], v[82:83], v[92:93], v[80:81] op_sel:[0,0,1] op_sel_hi:[1,1,0] neg_lo:[0,0,1] neg_hi:[0,0,1]
	v_pk_fma_f32 v[80:81], v[82:83], v[92:93], v[80:81] op_sel:[0,0,1] op_sel_hi:[1,0,0]
	s_waitcnt vmcnt(11)
	v_mov_b32_e32 v80, v95
	v_mov_b32_e32 v85, v81
	s_waitcnt lgkmcnt(2)
	v_pk_mul_f32 v[80:81], v[68:69], v[80:81] op_sel_hi:[1,0]
	s_waitcnt vmcnt(10)
	v_pk_fma_f32 v[82:83], v[68:69], v[94:95], v[80:81] op_sel:[0,0,1] op_sel_hi:[1,1,0] neg_lo:[0,0,1] neg_hi:[0,0,1]
	v_pk_fma_f32 v[68:69], v[68:69], v[94:95], v[80:81] op_sel:[0,0,1] op_sel_hi:[1,0,0]
	s_waitcnt vmcnt(9)
	v_mov_b32_e32 v68, v97
	v_mov_b32_e32 v83, v69
	v_pk_mul_f32 v[68:69], v[70:71], v[68:69] op_sel_hi:[1,0]
	s_waitcnt vmcnt(8)
	v_pk_fma_f32 v[80:81], v[70:71], v[96:97], v[68:69] op_sel:[0,0,1] op_sel_hi:[1,1,0] neg_lo:[0,0,1] neg_hi:[0,0,1]
	v_pk_fma_f32 v[68:69], v[70:71], v[96:97], v[68:69] op_sel:[0,0,1] op_sel_hi:[1,0,0]
	s_waitcnt vmcnt(7)
	v_mov_b32_e32 v68, v99
	v_mov_b32_e32 v81, v69
	s_waitcnt lgkmcnt(1)
	v_pk_mul_f32 v[68:69], v[72:73], v[68:69] op_sel_hi:[1,0]
	v_pk_add_f32 v[66:67], v[66:67], v[84:85]
	s_waitcnt vmcnt(6)
	v_pk_fma_f32 v[70:71], v[72:73], v[98:99], v[68:69] op_sel:[0,0,1] op_sel_hi:[1,1,0] neg_lo:[0,0,1] neg_hi:[0,0,1]
	v_pk_fma_f32 v[68:69], v[72:73], v[98:99], v[68:69] op_sel:[0,0,1] op_sel_hi:[1,0,0]
	v_pk_add_f32 v[66:67], v[66:67], v[82:83]
	s_waitcnt vmcnt(5)
	v_mov_b32_e32 v68, v101
	v_pk_add_f32 v[66:67], v[66:67], v[80:81]
	v_mov_b32_e32 v71, v69
	v_pk_mul_f32 v[68:69], v[74:75], v[68:69] op_sel_hi:[1,0]
	v_pk_add_f32 v[66:67], v[66:67], v[70:71]
	s_waitcnt vmcnt(4)
	v_pk_fma_f32 v[70:71], v[74:75], v[100:101], v[68:69] op_sel:[0,0,1] op_sel_hi:[1,1,0] neg_lo:[0,0,1] neg_hi:[0,0,1]
	v_pk_fma_f32 v[68:69], v[74:75], v[100:101], v[68:69] op_sel:[0,0,1] op_sel_hi:[1,0,0]
	s_waitcnt vmcnt(3)
	v_mov_b32_e32 v68, v103
	v_mov_b32_e32 v71, v69
	s_waitcnt lgkmcnt(0)
	v_pk_mul_f32 v[68:69], v[76:77], v[68:69] op_sel_hi:[1,0]
	v_pk_add_f32 v[66:67], v[66:67], v[70:71]
	s_waitcnt vmcnt(2)
	v_pk_fma_f32 v[70:71], v[76:77], v[102:103], v[68:69] op_sel:[0,0,1] op_sel_hi:[1,1,0] neg_lo:[0,0,1] neg_hi:[0,0,1]
	v_pk_fma_f32 v[68:69], v[76:77], v[102:103], v[68:69] op_sel:[0,0,1] op_sel_hi:[1,0,0]
	s_waitcnt vmcnt(1)
	v_mov_b32_e32 v68, v105
	v_mov_b32_e32 v71, v69
	v_pk_mul_f32 v[68:69], v[78:79], v[68:69] op_sel_hi:[1,0]
	v_pk_add_f32 v[66:67], v[66:67], v[70:71]
	s_waitcnt vmcnt(0)
	v_pk_fma_f32 v[70:71], v[78:79], v[104:105], v[68:69] op_sel:[0,0,1] op_sel_hi:[1,1,0] neg_lo:[0,0,1] neg_hi:[0,0,1]
	v_pk_fma_f32 v[68:69], v[78:79], v[104:105], v[68:69] op_sel:[0,0,1] op_sel_hi:[1,0,0]
	v_mov_b32_e32 v71, v69
	v_pk_add_f32 v[66:67], v[66:67], v[70:71]
	v_pk_add_f32 v[64:65], v[64:65], v[66:67] neg_lo:[0,1] neg_hi:[0,1]
	buffer_store_dword v65, off, s[0:3], 0 offset:132
	buffer_store_dword v64, off, s[0:3], 0 offset:128
	s_and_saveexec_b64 s[4:5], vcc
	s_cbranch_execz .LBB94_169
; %bb.168:
	buffer_load_dword v64, off, s[0:3], 0 offset:120
	buffer_load_dword v65, off, s[0:3], 0 offset:124
	v_mov_b32_e32 v66, 0
	buffer_store_dword v66, off, s[0:3], 0 offset:120
	buffer_store_dword v66, off, s[0:3], 0 offset:124
	s_waitcnt vmcnt(2)
	ds_write_b64 v1, v[64:65]
.LBB94_169:
	s_or_b64 exec, exec, s[4:5]
	v_mov_b32_e32 v66, 0
	s_waitcnt lgkmcnt(0)
	; wave barrier
	s_waitcnt lgkmcnt(0)
	ds_read_b128 v[68:71], v66 offset:384
	ds_read_b128 v[72:75], v66 offset:400
	ds_read_b128 v[76:79], v66 offset:416
	ds_read_b128 v[80:83], v66 offset:432
	buffer_load_dword v64, off, s[0:3], 0 offset:120
	buffer_load_dword v65, off, s[0:3], 0 offset:124
	;; [unrolled: 1-line block ×32, first 2 shown]
	v_cmp_lt_u32_e32 vcc, 14, v0
	s_waitcnt vmcnt(28) lgkmcnt(3)
	v_mul_f32_e32 v85, v68, v84
	v_fmac_f32_e32 v85, v69, v67
	v_mul_f32_e32 v69, v69, v84
	s_waitcnt vmcnt(26)
	v_mul_f32_e32 v87, v70, v88
	v_fma_f32 v67, v68, v67, -v69
	v_mul_f32_e32 v68, v71, v88
	v_add_f32_e32 v85, 0, v85
	v_fmac_f32_e32 v87, v71, v86
	v_add_f32_e32 v67, 0, v67
	v_fma_f32 v68, v70, v86, -v68
	v_add_f32_e32 v85, v85, v87
	s_waitcnt vmcnt(24) lgkmcnt(2)
	v_mul_f32_e32 v87, v72, v107
	v_add_f32_e32 v67, v67, v68
	v_mul_f32_e32 v68, v73, v107
	v_fmac_f32_e32 v87, v73, v106
	v_fma_f32 v68, v72, v106, -v68
	v_add_f32_e32 v85, v85, v87
	s_waitcnt vmcnt(22)
	v_mul_f32_e32 v87, v74, v109
	v_add_f32_e32 v67, v67, v68
	v_mul_f32_e32 v68, v75, v109
	v_fmac_f32_e32 v87, v75, v108
	v_fma_f32 v68, v74, v108, -v68
	v_add_f32_e32 v85, v85, v87
	s_waitcnt vmcnt(20) lgkmcnt(1)
	v_mul_f32_e32 v87, v76, v111
	v_add_f32_e32 v67, v67, v68
	v_mul_f32_e32 v68, v77, v111
	v_fmac_f32_e32 v87, v77, v110
	v_fma_f32 v68, v76, v110, -v68
	v_add_f32_e32 v85, v85, v87
	s_waitcnt vmcnt(18)
	v_mul_f32_e32 v87, v78, v113
	v_add_f32_e32 v84, v67, v68
	v_mul_f32_e32 v67, v79, v113
	v_fmac_f32_e32 v87, v79, v112
	v_fma_f32 v86, v78, v112, -v67
	s_waitcnt vmcnt(16) lgkmcnt(0)
	v_mul_f32_e32 v89, v80, v115
	v_mul_f32_e32 v67, v81, v115
	v_pk_add_f32 v[84:85], v[84:85], v[86:87]
	s_waitcnt vmcnt(15)
	v_mov_b32_e32 v86, v91
	v_fmac_f32_e32 v89, v81, v114
	v_fma_f32 v88, v80, v114, -v67
	v_pk_mul_f32 v[86:87], v[82:83], v[86:87] op_sel_hi:[1,0]
	v_pk_add_f32 v[84:85], v[84:85], v[88:89]
	s_waitcnt vmcnt(14)
	v_pk_fma_f32 v[88:89], v[82:83], v[90:91], v[86:87] op_sel:[0,0,1] op_sel_hi:[1,1,0] neg_lo:[0,0,1] neg_hi:[0,0,1]
	v_pk_fma_f32 v[82:83], v[82:83], v[90:91], v[86:87] op_sel:[0,0,1] op_sel_hi:[1,0,0]
	ds_read_b128 v[68:71], v66 offset:448
	ds_read_b128 v[72:75], v66 offset:464
	;; [unrolled: 1-line block ×3, first 2 shown]
	ds_read_b64 v[80:81], v66 offset:496
	v_mov_b32_e32 v89, v83
	v_pk_add_f32 v[82:83], v[84:85], v[88:89]
	s_waitcnt vmcnt(13)
	v_mov_b32_e32 v84, v93
	s_waitcnt lgkmcnt(3)
	v_pk_mul_f32 v[84:85], v[68:69], v[84:85] op_sel_hi:[1,0]
	s_waitcnt vmcnt(12)
	v_pk_fma_f32 v[86:87], v[68:69], v[92:93], v[84:85] op_sel:[0,0,1] op_sel_hi:[1,1,0] neg_lo:[0,0,1] neg_hi:[0,0,1]
	v_pk_fma_f32 v[68:69], v[68:69], v[92:93], v[84:85] op_sel:[0,0,1] op_sel_hi:[1,0,0]
	v_mov_b32_e32 v87, v69
	v_pk_add_f32 v[68:69], v[82:83], v[86:87]
	s_waitcnt vmcnt(11)
	v_mov_b32_e32 v82, v95
	v_pk_mul_f32 v[82:83], v[70:71], v[82:83] op_sel_hi:[1,0]
	s_waitcnt vmcnt(10)
	v_pk_fma_f32 v[84:85], v[70:71], v[94:95], v[82:83] op_sel:[0,0,1] op_sel_hi:[1,1,0] neg_lo:[0,0,1] neg_hi:[0,0,1]
	v_pk_fma_f32 v[70:71], v[70:71], v[94:95], v[82:83] op_sel:[0,0,1] op_sel_hi:[1,0,0]
	s_waitcnt vmcnt(9)
	v_mov_b32_e32 v70, v97
	v_mov_b32_e32 v85, v71
	s_waitcnt lgkmcnt(2)
	v_pk_mul_f32 v[70:71], v[72:73], v[70:71] op_sel_hi:[1,0]
	s_waitcnt vmcnt(8)
	v_pk_fma_f32 v[82:83], v[72:73], v[96:97], v[70:71] op_sel:[0,0,1] op_sel_hi:[1,1,0] neg_lo:[0,0,1] neg_hi:[0,0,1]
	v_pk_fma_f32 v[70:71], v[72:73], v[96:97], v[70:71] op_sel:[0,0,1] op_sel_hi:[1,0,0]
	s_waitcnt vmcnt(7)
	v_mov_b32_e32 v70, v99
	v_mov_b32_e32 v83, v71
	v_pk_mul_f32 v[70:71], v[74:75], v[70:71] op_sel_hi:[1,0]
	s_waitcnt vmcnt(6)
	v_pk_fma_f32 v[72:73], v[74:75], v[98:99], v[70:71] op_sel:[0,0,1] op_sel_hi:[1,1,0] neg_lo:[0,0,1] neg_hi:[0,0,1]
	v_pk_fma_f32 v[70:71], v[74:75], v[98:99], v[70:71] op_sel:[0,0,1] op_sel_hi:[1,0,0]
	v_pk_add_f32 v[68:69], v[68:69], v[84:85]
	s_waitcnt vmcnt(5)
	v_mov_b32_e32 v70, v101
	v_pk_add_f32 v[68:69], v[68:69], v[82:83]
	v_mov_b32_e32 v73, v71
	s_waitcnt lgkmcnt(1)
	v_pk_mul_f32 v[70:71], v[76:77], v[70:71] op_sel_hi:[1,0]
	v_pk_add_f32 v[68:69], v[68:69], v[72:73]
	s_waitcnt vmcnt(4)
	v_pk_fma_f32 v[72:73], v[76:77], v[100:101], v[70:71] op_sel:[0,0,1] op_sel_hi:[1,1,0] neg_lo:[0,0,1] neg_hi:[0,0,1]
	v_pk_fma_f32 v[70:71], v[76:77], v[100:101], v[70:71] op_sel:[0,0,1] op_sel_hi:[1,0,0]
	s_waitcnt vmcnt(3)
	v_mov_b32_e32 v70, v103
	v_mov_b32_e32 v73, v71
	v_pk_mul_f32 v[70:71], v[78:79], v[70:71] op_sel_hi:[1,0]
	v_pk_add_f32 v[68:69], v[68:69], v[72:73]
	s_waitcnt vmcnt(2)
	v_pk_fma_f32 v[72:73], v[78:79], v[102:103], v[70:71] op_sel:[0,0,1] op_sel_hi:[1,1,0] neg_lo:[0,0,1] neg_hi:[0,0,1]
	v_pk_fma_f32 v[70:71], v[78:79], v[102:103], v[70:71] op_sel:[0,0,1] op_sel_hi:[1,0,0]
	s_waitcnt vmcnt(1)
	v_mov_b32_e32 v70, v105
	v_mov_b32_e32 v73, v71
	s_waitcnt lgkmcnt(0)
	v_pk_mul_f32 v[70:71], v[80:81], v[70:71] op_sel_hi:[1,0]
	v_pk_add_f32 v[68:69], v[68:69], v[72:73]
	s_waitcnt vmcnt(0)
	v_pk_fma_f32 v[72:73], v[80:81], v[104:105], v[70:71] op_sel:[0,0,1] op_sel_hi:[1,1,0] neg_lo:[0,0,1] neg_hi:[0,0,1]
	v_pk_fma_f32 v[70:71], v[80:81], v[104:105], v[70:71] op_sel:[0,0,1] op_sel_hi:[1,0,0]
	v_mov_b32_e32 v73, v71
	v_pk_add_f32 v[68:69], v[68:69], v[72:73]
	v_pk_add_f32 v[64:65], v[64:65], v[68:69] neg_lo:[0,1] neg_hi:[0,1]
	buffer_store_dword v65, off, s[0:3], 0 offset:124
	buffer_store_dword v64, off, s[0:3], 0 offset:120
	s_and_saveexec_b64 s[4:5], vcc
	s_cbranch_execz .LBB94_171
; %bb.170:
	buffer_load_dword v64, off, s[0:3], 0 offset:112
	buffer_load_dword v65, off, s[0:3], 0 offset:116
	s_waitcnt vmcnt(0)
	ds_write_b64 v1, v[64:65]
	buffer_store_dword v66, off, s[0:3], 0 offset:112
	buffer_store_dword v66, off, s[0:3], 0 offset:116
.LBB94_171:
	s_or_b64 exec, exec, s[4:5]
	s_waitcnt lgkmcnt(0)
	; wave barrier
	s_waitcnt lgkmcnt(0)
	ds_read2_b64 v[68:71], v66 offset0:47 offset1:48
	buffer_load_dword v64, off, s[0:3], 0 offset:112
	buffer_load_dword v65, off, s[0:3], 0 offset:116
	;; [unrolled: 1-line block ×16, first 2 shown]
	v_cmp_lt_u32_e32 vcc, 13, v0
	s_waitcnt vmcnt(12) lgkmcnt(0)
	v_mul_f32_e32 v72, v68, v88
	v_fmac_f32_e32 v72, v69, v67
	s_waitcnt vmcnt(10)
	v_mul_f32_e32 v73, v70, v92
	v_add_f32_e32 v72, 0, v72
	v_fmac_f32_e32 v73, v71, v90
	v_add_f32_e32 v76, v72, v73
	ds_read2_b64 v[72:75], v66 offset0:49 offset1:50
	v_mul_f32_e32 v69, v69, v88
	v_fma_f32 v67, v68, v67, -v69
	v_mul_f32_e32 v68, v71, v92
	v_add_f32_e32 v67, 0, v67
	s_waitcnt vmcnt(8) lgkmcnt(0)
	v_mul_f32_e32 v77, v72, v111
	v_fmac_f32_e32 v77, v73, v110
	v_add_f32_e32 v76, v76, v77
	s_waitcnt vmcnt(6)
	v_mul_f32_e32 v77, v74, v113
	v_fmac_f32_e32 v77, v75, v112
	v_add_f32_e32 v80, v76, v77
	ds_read2_b64 v[76:79], v66 offset0:51 offset1:52
	v_fma_f32 v68, v70, v90, -v68
	v_add_f32_e32 v67, v67, v68
	v_mul_f32_e32 v68, v73, v111
	v_fma_f32 v68, v72, v110, -v68
	s_waitcnt vmcnt(4) lgkmcnt(0)
	v_mul_f32_e32 v81, v76, v115
	v_fmac_f32_e32 v81, v77, v114
	v_add_f32_e32 v80, v80, v81
	s_waitcnt vmcnt(2)
	v_mul_f32_e32 v81, v78, v117
	v_fmac_f32_e32 v81, v79, v116
	v_add_f32_e32 v89, v80, v81
	ds_read2_b64 v[80:83], v66 offset0:53 offset1:54
	buffer_load_dword v120, off, s[0:3], 0 offset:176
	buffer_load_dword v121, off, s[0:3], 0 offset:180
	;; [unrolled: 1-line block ×4, first 2 shown]
	ds_read2_b64 v[84:87], v66 offset0:55 offset1:56
	buffer_load_dword v97, off, s[0:3], 0 offset:196
	buffer_load_dword v96, off, s[0:3], 0 offset:192
	;; [unrolled: 1-line block ×14, first 2 shown]
	v_add_f32_e32 v67, v67, v68
	v_mul_f32_e32 v68, v75, v113
	v_fma_f32 v68, v74, v112, -v68
	v_add_f32_e32 v67, v67, v68
	v_mul_f32_e32 v68, v77, v115
	v_fma_f32 v68, v76, v114, -v68
	;; [unrolled: 3-line block ×3, first 2 shown]
	v_add_f32_e32 v88, v67, v68
	s_waitcnt vmcnt(18) lgkmcnt(1)
	v_mul_f32_e32 v67, v81, v119
	v_mul_f32_e32 v91, v80, v119
	v_fma_f32 v90, v80, v118, -v67
	v_fmac_f32_e32 v91, v81, v118
	ds_read2_b64 v[68:71], v66 offset0:57 offset1:58
	ds_read2_b64 v[72:75], v66 offset0:59 offset1:60
	;; [unrolled: 1-line block ×3, first 2 shown]
	s_waitcnt vmcnt(15)
	v_mov_b32_e32 v80, v95
	v_mul_f32_e32 v93, v82, v121
	v_mul_f32_e32 v67, v83, v121
	s_waitcnt lgkmcnt(3)
	v_pk_mul_f32 v[80:81], v[84:85], v[80:81] op_sel_hi:[1,0]
	v_fmac_f32_e32 v93, v83, v120
	v_fma_f32 v92, v82, v120, -v67
	s_waitcnt vmcnt(14)
	v_pk_fma_f32 v[82:83], v[84:85], v[94:95], v[80:81] op_sel:[0,0,1] op_sel_hi:[1,1,0] neg_lo:[0,0,1] neg_hi:[0,0,1]
	v_pk_fma_f32 v[80:81], v[84:85], v[94:95], v[80:81] op_sel:[0,0,1] op_sel_hi:[1,0,0]
	v_pk_add_f32 v[66:67], v[88:89], v[90:91]
	s_waitcnt vmcnt(13)
	v_mov_b32_e32 v80, v97
	v_pk_add_f32 v[66:67], v[66:67], v[92:93]
	v_mov_b32_e32 v83, v81
	v_pk_mul_f32 v[80:81], v[86:87], v[80:81] op_sel_hi:[1,0]
	v_pk_add_f32 v[66:67], v[66:67], v[82:83]
	s_waitcnt vmcnt(12)
	v_pk_fma_f32 v[82:83], v[86:87], v[96:97], v[80:81] op_sel:[0,0,1] op_sel_hi:[1,1,0] neg_lo:[0,0,1] neg_hi:[0,0,1]
	v_pk_fma_f32 v[80:81], v[86:87], v[96:97], v[80:81] op_sel:[0,0,1] op_sel_hi:[1,0,0]
	s_waitcnt vmcnt(11)
	v_mov_b32_e32 v80, v99
	v_mov_b32_e32 v83, v81
	s_waitcnt lgkmcnt(2)
	v_pk_mul_f32 v[80:81], v[68:69], v[80:81] op_sel_hi:[1,0]
	v_pk_add_f32 v[66:67], v[66:67], v[82:83]
	s_waitcnt vmcnt(10)
	v_pk_fma_f32 v[82:83], v[68:69], v[98:99], v[80:81] op_sel:[0,0,1] op_sel_hi:[1,1,0] neg_lo:[0,0,1] neg_hi:[0,0,1]
	v_pk_fma_f32 v[68:69], v[68:69], v[98:99], v[80:81] op_sel:[0,0,1] op_sel_hi:[1,0,0]
	s_waitcnt vmcnt(9)
	v_mov_b32_e32 v68, v101
	v_mov_b32_e32 v83, v69
	v_pk_mul_f32 v[68:69], v[70:71], v[68:69] op_sel_hi:[1,0]
	s_waitcnt vmcnt(8)
	v_pk_fma_f32 v[80:81], v[70:71], v[100:101], v[68:69] op_sel:[0,0,1] op_sel_hi:[1,1,0] neg_lo:[0,0,1] neg_hi:[0,0,1]
	v_pk_fma_f32 v[68:69], v[70:71], v[100:101], v[68:69] op_sel:[0,0,1] op_sel_hi:[1,0,0]
	s_waitcnt vmcnt(7)
	v_mov_b32_e32 v68, v103
	v_mov_b32_e32 v81, v69
	s_waitcnt lgkmcnt(1)
	v_pk_mul_f32 v[68:69], v[72:73], v[68:69] op_sel_hi:[1,0]
	s_waitcnt vmcnt(6)
	v_pk_fma_f32 v[70:71], v[72:73], v[102:103], v[68:69] op_sel:[0,0,1] op_sel_hi:[1,1,0] neg_lo:[0,0,1] neg_hi:[0,0,1]
	v_pk_fma_f32 v[68:69], v[72:73], v[102:103], v[68:69] op_sel:[0,0,1] op_sel_hi:[1,0,0]
	v_pk_add_f32 v[66:67], v[66:67], v[82:83]
	s_waitcnt vmcnt(5)
	v_mov_b32_e32 v68, v105
	v_pk_add_f32 v[66:67], v[66:67], v[80:81]
	v_mov_b32_e32 v71, v69
	v_pk_mul_f32 v[68:69], v[74:75], v[68:69] op_sel_hi:[1,0]
	v_pk_add_f32 v[66:67], v[66:67], v[70:71]
	s_waitcnt vmcnt(4)
	v_pk_fma_f32 v[70:71], v[74:75], v[104:105], v[68:69] op_sel:[0,0,1] op_sel_hi:[1,1,0] neg_lo:[0,0,1] neg_hi:[0,0,1]
	v_pk_fma_f32 v[68:69], v[74:75], v[104:105], v[68:69] op_sel:[0,0,1] op_sel_hi:[1,0,0]
	s_waitcnt vmcnt(3)
	v_mov_b32_e32 v68, v107
	v_mov_b32_e32 v71, v69
	s_waitcnt lgkmcnt(0)
	v_pk_mul_f32 v[68:69], v[76:77], v[68:69] op_sel_hi:[1,0]
	v_pk_add_f32 v[66:67], v[66:67], v[70:71]
	s_waitcnt vmcnt(2)
	v_pk_fma_f32 v[70:71], v[76:77], v[106:107], v[68:69] op_sel:[0,0,1] op_sel_hi:[1,1,0] neg_lo:[0,0,1] neg_hi:[0,0,1]
	v_pk_fma_f32 v[68:69], v[76:77], v[106:107], v[68:69] op_sel:[0,0,1] op_sel_hi:[1,0,0]
	s_waitcnt vmcnt(1)
	v_mov_b32_e32 v68, v109
	v_mov_b32_e32 v71, v69
	v_pk_mul_f32 v[68:69], v[78:79], v[68:69] op_sel_hi:[1,0]
	v_pk_add_f32 v[66:67], v[66:67], v[70:71]
	s_waitcnt vmcnt(0)
	v_pk_fma_f32 v[70:71], v[78:79], v[108:109], v[68:69] op_sel:[0,0,1] op_sel_hi:[1,1,0] neg_lo:[0,0,1] neg_hi:[0,0,1]
	v_pk_fma_f32 v[68:69], v[78:79], v[108:109], v[68:69] op_sel:[0,0,1] op_sel_hi:[1,0,0]
	v_mov_b32_e32 v71, v69
	v_pk_add_f32 v[66:67], v[66:67], v[70:71]
	v_pk_add_f32 v[64:65], v[64:65], v[66:67] neg_lo:[0,1] neg_hi:[0,1]
	buffer_store_dword v65, off, s[0:3], 0 offset:116
	buffer_store_dword v64, off, s[0:3], 0 offset:112
	s_and_saveexec_b64 s[4:5], vcc
	s_cbranch_execz .LBB94_173
; %bb.172:
	buffer_load_dword v64, off, s[0:3], 0 offset:104
	buffer_load_dword v65, off, s[0:3], 0 offset:108
	v_mov_b32_e32 v66, 0
	buffer_store_dword v66, off, s[0:3], 0 offset:104
	buffer_store_dword v66, off, s[0:3], 0 offset:108
	s_waitcnt vmcnt(2)
	ds_write_b64 v1, v[64:65]
.LBB94_173:
	s_or_b64 exec, exec, s[4:5]
	v_mov_b32_e32 v66, 0
	s_waitcnt lgkmcnt(0)
	; wave barrier
	s_waitcnt lgkmcnt(0)
	ds_read_b128 v[68:71], v66 offset:368
	ds_read_b128 v[72:75], v66 offset:384
	ds_read_b128 v[76:79], v66 offset:400
	ds_read_b128 v[80:83], v66 offset:416
	buffer_load_dword v64, off, s[0:3], 0 offset:104
	buffer_load_dword v65, off, s[0:3], 0 offset:108
	buffer_load_dword v67, off, s[0:3], 0 offset:112
	buffer_load_dword v88, off, s[0:3], 0 offset:116
	buffer_load_dword v90, off, s[0:3], 0 offset:120
	buffer_load_dword v92, off, s[0:3], 0 offset:124
	buffer_load_dword v110, off, s[0:3], 0 offset:128
	buffer_load_dword v111, off, s[0:3], 0 offset:132
	buffer_load_dword v112, off, s[0:3], 0 offset:136
	buffer_load_dword v113, off, s[0:3], 0 offset:140
	buffer_load_dword v114, off, s[0:3], 0 offset:144
	buffer_load_dword v115, off, s[0:3], 0 offset:148
	buffer_load_dword v116, off, s[0:3], 0 offset:152
	buffer_load_dword v117, off, s[0:3], 0 offset:156
	buffer_load_dword v118, off, s[0:3], 0 offset:160
	buffer_load_dword v119, off, s[0:3], 0 offset:164
	buffer_load_dword v120, off, s[0:3], 0 offset:168
	buffer_load_dword v121, off, s[0:3], 0 offset:172
	v_cmp_lt_u32_e32 vcc, 12, v0
	s_waitcnt vmcnt(14) lgkmcnt(3)
	v_mul_f32_e32 v84, v68, v88
	v_fmac_f32_e32 v84, v69, v67
	s_waitcnt vmcnt(12)
	v_mul_f32_e32 v85, v70, v92
	v_add_f32_e32 v84, 0, v84
	v_fmac_f32_e32 v85, v71, v90
	v_add_f32_e32 v84, v84, v85
	s_waitcnt vmcnt(10) lgkmcnt(2)
	v_mul_f32_e32 v85, v72, v111
	v_fmac_f32_e32 v85, v73, v110
	v_add_f32_e32 v84, v84, v85
	s_waitcnt vmcnt(8)
	v_mul_f32_e32 v85, v74, v113
	v_fmac_f32_e32 v85, v75, v112
	v_add_f32_e32 v84, v84, v85
	s_waitcnt vmcnt(6) lgkmcnt(1)
	v_mul_f32_e32 v85, v76, v115
	v_fmac_f32_e32 v85, v77, v114
	v_add_f32_e32 v84, v84, v85
	s_waitcnt vmcnt(4)
	v_mul_f32_e32 v85, v78, v117
	v_fmac_f32_e32 v85, v79, v116
	v_add_f32_e32 v84, v84, v85
	s_waitcnt vmcnt(2) lgkmcnt(0)
	v_mul_f32_e32 v85, v80, v119
	v_fmac_f32_e32 v85, v81, v118
	v_add_f32_e32 v89, v84, v85
	ds_read_b128 v[84:87], v66 offset:432
	buffer_load_dword v122, off, s[0:3], 0 offset:176
	buffer_load_dword v123, off, s[0:3], 0 offset:180
	;; [unrolled: 1-line block ×18, first 2 shown]
	v_mul_f32_e32 v69, v69, v88
	v_fma_f32 v67, v68, v67, -v69
	v_mul_f32_e32 v68, v71, v92
	v_add_f32_e32 v67, 0, v67
	v_fma_f32 v68, v70, v90, -v68
	v_add_f32_e32 v67, v67, v68
	v_mul_f32_e32 v68, v73, v111
	v_fma_f32 v68, v72, v110, -v68
	v_add_f32_e32 v67, v67, v68
	v_mul_f32_e32 v68, v75, v113
	;; [unrolled: 3-line block ×5, first 2 shown]
	v_fma_f32 v68, v80, v118, -v68
	v_add_f32_e32 v88, v67, v68
	s_waitcnt vmcnt(18)
	v_mul_f32_e32 v67, v83, v121
	v_fma_f32 v90, v82, v120, -v67
	v_mul_f32_e32 v91, v82, v121
	v_fmac_f32_e32 v91, v83, v120
	ds_read_b128 v[68:71], v66 offset:448
	ds_read_b128 v[72:75], v66 offset:464
	;; [unrolled: 1-line block ×3, first 2 shown]
	ds_read_b64 v[80:81], v66 offset:496
	v_pk_add_f32 v[82:83], v[88:89], v[90:91]
	s_waitcnt vmcnt(16) lgkmcnt(4)
	v_mul_f32_e32 v67, v85, v123
	v_mul_f32_e32 v93, v84, v123
	v_fma_f32 v92, v84, v122, -v67
	s_waitcnt vmcnt(15)
	v_mov_b32_e32 v84, v95
	v_fmac_f32_e32 v93, v85, v122
	v_pk_mul_f32 v[84:85], v[86:87], v[84:85] op_sel_hi:[1,0]
	s_waitcnt vmcnt(14)
	v_pk_fma_f32 v[88:89], v[86:87], v[94:95], v[84:85] op_sel:[0,0,1] op_sel_hi:[1,1,0] neg_lo:[0,0,1] neg_hi:[0,0,1]
	v_pk_fma_f32 v[84:85], v[86:87], v[94:95], v[84:85] op_sel:[0,0,1] op_sel_hi:[1,0,0]
	s_waitcnt vmcnt(13)
	v_mov_b32_e32 v84, v97
	v_mov_b32_e32 v89, v85
	s_waitcnt lgkmcnt(3)
	v_pk_mul_f32 v[84:85], v[68:69], v[84:85] op_sel_hi:[1,0]
	v_pk_add_f32 v[82:83], v[82:83], v[92:93]
	s_waitcnt vmcnt(12)
	v_pk_fma_f32 v[86:87], v[68:69], v[96:97], v[84:85] op_sel:[0,0,1] op_sel_hi:[1,1,0] neg_lo:[0,0,1] neg_hi:[0,0,1]
	v_pk_fma_f32 v[68:69], v[68:69], v[96:97], v[84:85] op_sel:[0,0,1] op_sel_hi:[1,0,0]
	v_pk_add_f32 v[82:83], v[82:83], v[88:89]
	v_mov_b32_e32 v87, v69
	v_pk_add_f32 v[68:69], v[82:83], v[86:87]
	s_waitcnt vmcnt(11)
	v_mov_b32_e32 v82, v99
	v_pk_mul_f32 v[82:83], v[70:71], v[82:83] op_sel_hi:[1,0]
	s_waitcnt vmcnt(10)
	v_pk_fma_f32 v[84:85], v[70:71], v[98:99], v[82:83] op_sel:[0,0,1] op_sel_hi:[1,1,0] neg_lo:[0,0,1] neg_hi:[0,0,1]
	v_pk_fma_f32 v[70:71], v[70:71], v[98:99], v[82:83] op_sel:[0,0,1] op_sel_hi:[1,0,0]
	s_waitcnt vmcnt(9)
	v_mov_b32_e32 v70, v101
	v_mov_b32_e32 v85, v71
	s_waitcnt lgkmcnt(2)
	v_pk_mul_f32 v[70:71], v[72:73], v[70:71] op_sel_hi:[1,0]
	s_waitcnt vmcnt(8)
	v_pk_fma_f32 v[82:83], v[72:73], v[100:101], v[70:71] op_sel:[0,0,1] op_sel_hi:[1,1,0] neg_lo:[0,0,1] neg_hi:[0,0,1]
	v_pk_fma_f32 v[70:71], v[72:73], v[100:101], v[70:71] op_sel:[0,0,1] op_sel_hi:[1,0,0]
	s_waitcnt vmcnt(7)
	v_mov_b32_e32 v70, v103
	v_mov_b32_e32 v83, v71
	v_pk_mul_f32 v[70:71], v[74:75], v[70:71] op_sel_hi:[1,0]
	s_waitcnt vmcnt(6)
	v_pk_fma_f32 v[72:73], v[74:75], v[102:103], v[70:71] op_sel:[0,0,1] op_sel_hi:[1,1,0] neg_lo:[0,0,1] neg_hi:[0,0,1]
	v_pk_fma_f32 v[70:71], v[74:75], v[102:103], v[70:71] op_sel:[0,0,1] op_sel_hi:[1,0,0]
	v_pk_add_f32 v[68:69], v[68:69], v[84:85]
	s_waitcnt vmcnt(5)
	v_mov_b32_e32 v70, v105
	v_pk_add_f32 v[68:69], v[68:69], v[82:83]
	v_mov_b32_e32 v73, v71
	s_waitcnt lgkmcnt(1)
	v_pk_mul_f32 v[70:71], v[76:77], v[70:71] op_sel_hi:[1,0]
	v_pk_add_f32 v[68:69], v[68:69], v[72:73]
	s_waitcnt vmcnt(4)
	v_pk_fma_f32 v[72:73], v[76:77], v[104:105], v[70:71] op_sel:[0,0,1] op_sel_hi:[1,1,0] neg_lo:[0,0,1] neg_hi:[0,0,1]
	v_pk_fma_f32 v[70:71], v[76:77], v[104:105], v[70:71] op_sel:[0,0,1] op_sel_hi:[1,0,0]
	s_waitcnt vmcnt(3)
	v_mov_b32_e32 v70, v107
	v_mov_b32_e32 v73, v71
	v_pk_mul_f32 v[70:71], v[78:79], v[70:71] op_sel_hi:[1,0]
	v_pk_add_f32 v[68:69], v[68:69], v[72:73]
	s_waitcnt vmcnt(2)
	v_pk_fma_f32 v[72:73], v[78:79], v[106:107], v[70:71] op_sel:[0,0,1] op_sel_hi:[1,1,0] neg_lo:[0,0,1] neg_hi:[0,0,1]
	v_pk_fma_f32 v[70:71], v[78:79], v[106:107], v[70:71] op_sel:[0,0,1] op_sel_hi:[1,0,0]
	s_waitcnt vmcnt(1)
	v_mov_b32_e32 v70, v109
	v_mov_b32_e32 v73, v71
	s_waitcnt lgkmcnt(0)
	v_pk_mul_f32 v[70:71], v[80:81], v[70:71] op_sel_hi:[1,0]
	v_pk_add_f32 v[68:69], v[68:69], v[72:73]
	s_waitcnt vmcnt(0)
	v_pk_fma_f32 v[72:73], v[80:81], v[108:109], v[70:71] op_sel:[0,0,1] op_sel_hi:[1,1,0] neg_lo:[0,0,1] neg_hi:[0,0,1]
	v_pk_fma_f32 v[70:71], v[80:81], v[108:109], v[70:71] op_sel:[0,0,1] op_sel_hi:[1,0,0]
	v_mov_b32_e32 v73, v71
	v_pk_add_f32 v[68:69], v[68:69], v[72:73]
	v_pk_add_f32 v[64:65], v[64:65], v[68:69] neg_lo:[0,1] neg_hi:[0,1]
	buffer_store_dword v65, off, s[0:3], 0 offset:108
	buffer_store_dword v64, off, s[0:3], 0 offset:104
	s_and_saveexec_b64 s[4:5], vcc
	s_cbranch_execz .LBB94_175
; %bb.174:
	buffer_load_dword v64, off, s[0:3], 0 offset:96
	buffer_load_dword v65, off, s[0:3], 0 offset:100
	s_waitcnt vmcnt(0)
	ds_write_b64 v1, v[64:65]
	buffer_store_dword v66, off, s[0:3], 0 offset:96
	buffer_store_dword v66, off, s[0:3], 0 offset:100
.LBB94_175:
	s_or_b64 exec, exec, s[4:5]
	s_waitcnt lgkmcnt(0)
	; wave barrier
	s_waitcnt lgkmcnt(0)
	buffer_load_dword v64, off, s[0:3], 0 offset:108
	buffer_load_dword v65, off, s[0:3], 0 offset:116
	;; [unrolled: 1-line block ×22, first 2 shown]
	ds_read2_b64 v[68:71], v66 offset0:45 offset1:46
	ds_read2_b64 v[72:75], v66 offset0:47 offset1:48
	buffer_load_dword v95, off, s[0:3], 0 offset:188
	buffer_load_dword v94, off, s[0:3], 0 offset:184
	;; [unrolled: 1-line block ×10, first 2 shown]
	ds_read2_b64 v[76:79], v66 offset0:49 offset1:50
	ds_read2_b64 v[80:83], v66 offset0:51 offset1:52
	ds_read2_b64 v[84:87], v66 offset0:53 offset1:54
	ds_read2_b64 v[88:91], v66 offset0:55 offset1:56
	buffer_load_dword v105, off, s[0:3], 0 offset:244
	buffer_load_dword v104, off, s[0:3], 0 offset:240
	;; [unrolled: 1-line block ×6, first 2 shown]
	v_cmp_lt_u32_e32 vcc, 11, v0
	s_waitcnt vmcnt(37) lgkmcnt(5)
	v_mul_f32_e32 v129, v68, v64
	s_waitcnt vmcnt(36)
	v_mul_f32_e32 v130, v70, v65
	v_mul_f32_e32 v64, v69, v64
	;; [unrolled: 1-line block ×3, first 2 shown]
	s_waitcnt vmcnt(35) lgkmcnt(4)
	v_mul_f32_e32 v131, v72, v67
	s_waitcnt vmcnt(34)
	v_mul_f32_e32 v132, v74, v110
	s_waitcnt vmcnt(33) lgkmcnt(3)
	v_mul_f32_e32 v133, v76, v112
	s_waitcnt vmcnt(32)
	v_mul_f32_e32 v134, v78, v114
	v_mul_f32_e32 v67, v73, v67
	s_waitcnt vmcnt(31) lgkmcnt(2)
	v_mul_f32_e32 v135, v80, v115
	s_waitcnt vmcnt(27)
	v_fmac_f32_e32 v129, v69, v119
	s_waitcnt vmcnt(26)
	v_fmac_f32_e32 v130, v71, v120
	v_fma_f32 v64, v68, v119, -v64
	v_fma_f32 v65, v70, v120, -v65
	v_add_f32_e32 v70, 0, v129
	s_waitcnt vmcnt(25)
	v_fmac_f32_e32 v131, v73, v121
	v_add_f32_e32 v64, 0, v64
	v_add_f32_e32 v70, v70, v130
	s_waitcnt vmcnt(24)
	v_fmac_f32_e32 v132, v75, v122
	v_add_f32_e32 v64, v64, v65
	v_add_f32_e32 v65, v70, v131
	s_waitcnt vmcnt(23)
	v_fmac_f32_e32 v133, v77, v123
	v_add_f32_e32 v65, v65, v132
	v_mul_f32_e32 v110, v75, v110
	s_waitcnt vmcnt(22)
	v_fmac_f32_e32 v134, v79, v124
	v_fma_f32 v67, v72, v121, -v67
	v_add_f32_e32 v65, v65, v133
	v_mul_f32_e32 v136, v82, v116
	v_mul_f32_e32 v112, v77, v112
	s_waitcnt vmcnt(21)
	v_fmac_f32_e32 v135, v81, v125
	v_fma_f32 v68, v74, v122, -v110
	v_add_f32_e32 v64, v64, v67
	v_add_f32_e32 v65, v65, v134
	v_mul_f32_e32 v114, v79, v114
	s_waitcnt vmcnt(20)
	v_fmac_f32_e32 v136, v83, v126
	v_fma_f32 v69, v76, v123, -v112
	v_add_f32_e32 v64, v64, v68
	v_add_f32_e32 v65, v65, v135
	;; [unrolled: 1-line block ×4, first 2 shown]
	v_fma_f32 v65, v78, v124, -v114
	v_add_f32_e32 v64, v64, v65
	v_mul_f32_e32 v65, v81, v115
	v_fma_f32 v65, v80, v125, -v65
	v_add_f32_e32 v64, v64, v65
	v_mul_f32_e32 v65, v83, v116
	v_fma_f32 v65, v82, v126, -v65
	s_waitcnt vmcnt(15)
	v_mov_b32_e32 v78, v95
	s_waitcnt lgkmcnt(1)
	v_mul_f32_e32 v111, v84, v117
	v_add_f32_e32 v76, v64, v65
	v_mul_f32_e32 v64, v85, v117
	s_waitcnt lgkmcnt(0)
	v_pk_mul_f32 v[78:79], v[88:89], v[78:79] op_sel_hi:[1,0]
	v_mul_f32_e32 v113, v86, v118
	v_fmac_f32_e32 v111, v85, v127
	v_fma_f32 v110, v84, v127, -v64
	v_mul_f32_e32 v64, v87, v118
	s_waitcnt vmcnt(14)
	v_pk_fma_f32 v[80:81], v[88:89], v[94:95], v[78:79] op_sel:[0,0,1] op_sel_hi:[1,1,0] neg_lo:[0,0,1] neg_hi:[0,0,1]
	v_pk_fma_f32 v[78:79], v[88:89], v[94:95], v[78:79] op_sel:[0,0,1] op_sel_hi:[1,0,0]
	v_fmac_f32_e32 v113, v87, v128
	v_fma_f32 v112, v86, v128, -v64
	v_pk_add_f32 v[76:77], v[76:77], v[110:111]
	s_waitcnt vmcnt(13)
	v_mov_b32_e32 v78, v97
	ds_read2_b64 v[68:71], v66 offset0:57 offset1:58
	ds_read2_b64 v[72:75], v66 offset0:59 offset1:60
	;; [unrolled: 1-line block ×3, first 2 shown]
	v_pk_add_f32 v[76:77], v[76:77], v[112:113]
	v_mov_b32_e32 v81, v79
	v_pk_mul_f32 v[78:79], v[90:91], v[78:79] op_sel_hi:[1,0]
	v_pk_add_f32 v[76:77], v[76:77], v[80:81]
	s_waitcnt vmcnt(6)
	v_pk_fma_f32 v[80:81], v[90:91], v[96:97], v[78:79] op_sel:[0,0,1] op_sel_hi:[1,1,0] neg_lo:[0,0,1] neg_hi:[0,0,1]
	v_pk_fma_f32 v[78:79], v[90:91], v[96:97], v[78:79] op_sel:[0,0,1] op_sel_hi:[1,0,0]
	v_mov_b32_e32 v78, v103
	v_mov_b32_e32 v81, v79
	s_waitcnt lgkmcnt(2)
	v_pk_mul_f32 v[78:79], v[68:69], v[78:79] op_sel_hi:[1,0]
	v_pk_add_f32 v[76:77], v[76:77], v[80:81]
	v_pk_fma_f32 v[80:81], v[68:69], v[102:103], v[78:79] op_sel:[0,0,1] op_sel_hi:[1,1,0] neg_lo:[0,0,1] neg_hi:[0,0,1]
	v_pk_fma_f32 v[68:69], v[68:69], v[102:103], v[78:79] op_sel:[0,0,1] op_sel_hi:[1,0,0]
	v_mov_b32_e32 v81, v69
	v_pk_add_f32 v[68:69], v[76:77], v[80:81]
	v_mov_b32_e32 v76, v101
	v_pk_mul_f32 v[76:77], v[70:71], v[76:77] op_sel_hi:[1,0]
	v_pk_fma_f32 v[78:79], v[70:71], v[100:101], v[76:77] op_sel:[0,0,1] op_sel_hi:[1,1,0] neg_lo:[0,0,1] neg_hi:[0,0,1]
	v_pk_fma_f32 v[70:71], v[70:71], v[100:101], v[76:77] op_sel:[0,0,1] op_sel_hi:[1,0,0]
	v_mov_b32_e32 v70, v99
	v_mov_b32_e32 v79, v71
	s_waitcnt lgkmcnt(1)
	v_pk_mul_f32 v[70:71], v[72:73], v[70:71] op_sel_hi:[1,0]
	v_pk_fma_f32 v[76:77], v[72:73], v[98:99], v[70:71] op_sel:[0,0,1] op_sel_hi:[1,1,0] neg_lo:[0,0,1] neg_hi:[0,0,1]
	v_pk_fma_f32 v[70:71], v[72:73], v[98:99], v[70:71] op_sel:[0,0,1] op_sel_hi:[1,0,0]
	s_waitcnt vmcnt(1)
	v_mov_b32_e32 v70, v109
	v_mov_b32_e32 v77, v71
	v_pk_mul_f32 v[70:71], v[74:75], v[70:71] op_sel_hi:[1,0]
	s_waitcnt vmcnt(0)
	v_pk_fma_f32 v[72:73], v[74:75], v[108:109], v[70:71] op_sel:[0,0,1] op_sel_hi:[1,1,0] neg_lo:[0,0,1] neg_hi:[0,0,1]
	v_pk_fma_f32 v[70:71], v[74:75], v[108:109], v[70:71] op_sel:[0,0,1] op_sel_hi:[1,0,0]
	v_pk_add_f32 v[68:69], v[68:69], v[78:79]
	v_mov_b32_e32 v70, v107
	v_pk_add_f32 v[68:69], v[68:69], v[76:77]
	v_mov_b32_e32 v73, v71
	s_waitcnt lgkmcnt(0)
	v_pk_mul_f32 v[70:71], v[64:65], v[70:71] op_sel_hi:[1,0]
	v_pk_add_f32 v[68:69], v[68:69], v[72:73]
	v_pk_fma_f32 v[72:73], v[64:65], v[106:107], v[70:71] op_sel:[0,0,1] op_sel_hi:[1,1,0] neg_lo:[0,0,1] neg_hi:[0,0,1]
	v_pk_fma_f32 v[64:65], v[64:65], v[106:107], v[70:71] op_sel:[0,0,1] op_sel_hi:[1,0,0]
	v_mov_b32_e32 v73, v65
	v_pk_add_f32 v[64:65], v[68:69], v[72:73]
	v_mov_b32_e32 v68, v105
	v_pk_mul_f32 v[68:69], v[66:67], v[68:69] op_sel_hi:[1,0]
	v_pk_fma_f32 v[70:71], v[66:67], v[104:105], v[68:69] op_sel:[0,0,1] op_sel_hi:[1,1,0] neg_lo:[0,0,1] neg_hi:[0,0,1]
	v_pk_fma_f32 v[66:67], v[66:67], v[104:105], v[68:69] op_sel:[0,0,1] op_sel_hi:[1,0,0]
	v_mov_b32_e32 v71, v67
	v_pk_add_f32 v[64:65], v[64:65], v[70:71]
	v_pk_add_f32 v[64:65], v[92:93], v[64:65] neg_lo:[0,1] neg_hi:[0,1]
	buffer_store_dword v65, off, s[0:3], 0 offset:100
	buffer_store_dword v64, off, s[0:3], 0 offset:96
	s_and_saveexec_b64 s[4:5], vcc
	s_cbranch_execz .LBB94_177
; %bb.176:
	buffer_load_dword v64, off, s[0:3], 0 offset:88
	buffer_load_dword v65, off, s[0:3], 0 offset:92
	v_mov_b32_e32 v66, 0
	buffer_store_dword v66, off, s[0:3], 0 offset:88
	buffer_store_dword v66, off, s[0:3], 0 offset:92
	s_waitcnt vmcnt(2)
	ds_write_b64 v1, v[64:65]
.LBB94_177:
	s_or_b64 exec, exec, s[4:5]
	s_waitcnt lgkmcnt(0)
	; wave barrier
	s_waitcnt lgkmcnt(0)
	buffer_load_dword v65, off, s[0:3], 0 offset:100
	buffer_load_dword v108, off, s[0:3], 0 offset:108
	;; [unrolled: 1-line block ×40, first 2 shown]
	v_mov_b32_e32 v64, 0
	ds_read_b128 v[66:69], v64 offset:352
	ds_read_b128 v[70:73], v64 offset:368
	;; [unrolled: 1-line block ×6, first 2 shown]
	v_cmp_lt_u32_e32 vcc, 10, v0
	s_waitcnt vmcnt(39) lgkmcnt(5)
	v_mul_f32_e32 v131, v66, v65
	s_waitcnt vmcnt(38)
	v_mul_f32_e32 v132, v68, v108
	v_mul_f32_e32 v65, v67, v65
	s_waitcnt vmcnt(37) lgkmcnt(4)
	v_mul_f32_e32 v133, v70, v110
	v_mul_f32_e32 v108, v69, v108
	s_waitcnt vmcnt(36)
	v_mul_f32_e32 v134, v72, v112
	s_waitcnt vmcnt(35) lgkmcnt(3)
	v_mul_f32_e32 v135, v74, v114
	s_waitcnt vmcnt(34)
	v_mul_f32_e32 v136, v76, v115
	s_waitcnt vmcnt(33) lgkmcnt(2)
	;; [unrolled: 4-line block ×3, first 2 shown]
	v_mul_f32_e32 v139, v82, v118
	s_waitcnt vmcnt(28)
	v_fmac_f32_e32 v131, v67, v113
	s_waitcnt vmcnt(27)
	v_fmac_f32_e32 v132, v69, v121
	v_fma_f32 v65, v66, v113, -v65
	v_add_f32_e32 v69, 0, v131
	s_waitcnt vmcnt(26)
	v_fmac_f32_e32 v133, v71, v122
	v_fma_f32 v66, v68, v121, -v108
	v_add_f32_e32 v65, 0, v65
	v_add_f32_e32 v69, v69, v132
	s_waitcnt vmcnt(25)
	v_fmac_f32_e32 v134, v73, v123
	v_add_f32_e32 v65, v65, v66
	v_add_f32_e32 v66, v69, v133
	s_waitcnt vmcnt(24)
	v_fmac_f32_e32 v135, v75, v124
	v_add_f32_e32 v66, v66, v134
	s_waitcnt vmcnt(23)
	v_fmac_f32_e32 v136, v77, v125
	;; [unrolled: 3-line block ×3, first 2 shown]
	v_add_f32_e32 v66, v66, v136
	v_mul_f32_e32 v110, v71, v110
	s_waitcnt vmcnt(21)
	v_fmac_f32_e32 v138, v81, v127
	v_add_f32_e32 v66, v66, v137
	v_mul_f32_e32 v112, v73, v112
	s_waitcnt vmcnt(20)
	v_fmac_f32_e32 v139, v83, v128
	v_fma_f32 v67, v70, v122, -v110
	v_add_f32_e32 v66, v66, v138
	v_fma_f32 v68, v72, v123, -v112
	v_add_f32_e32 v65, v65, v67
	v_add_f32_e32 v113, v66, v139
	v_mul_f32_e32 v66, v75, v114
	v_add_f32_e32 v65, v65, v68
	v_fma_f32 v66, v74, v124, -v66
	v_add_f32_e32 v65, v65, v66
	v_mul_f32_e32 v66, v77, v115
	v_fma_f32 v66, v76, v125, -v66
	v_add_f32_e32 v65, v65, v66
	v_mul_f32_e32 v66, v79, v116
	;; [unrolled: 3-line block ×4, first 2 shown]
	v_fma_f32 v66, v82, v128, -v66
	s_waitcnt vmcnt(9)
	v_mov_b32_e32 v82, v99
	v_mul_f32_e32 v109, v84, v119
	v_add_f32_e32 v112, v65, v66
	v_mul_f32_e32 v65, v85, v119
	s_waitcnt lgkmcnt(0)
	v_pk_mul_f32 v[82:83], v[88:89], v[82:83] op_sel_hi:[1,0]
	v_mul_f32_e32 v111, v86, v120
	v_fmac_f32_e32 v109, v85, v129
	v_fma_f32 v108, v84, v129, -v65
	v_mul_f32_e32 v65, v87, v120
	ds_read_b128 v[66:69], v64 offset:448
	ds_read_b128 v[70:73], v64 offset:464
	;; [unrolled: 1-line block ×3, first 2 shown]
	ds_read_b64 v[78:79], v64 offset:496
	s_waitcnt vmcnt(8)
	v_pk_fma_f32 v[84:85], v[88:89], v[98:99], v[82:83] op_sel:[0,0,1] op_sel_hi:[1,1,0] neg_lo:[0,0,1] neg_hi:[0,0,1]
	v_pk_fma_f32 v[82:83], v[88:89], v[98:99], v[82:83] op_sel:[0,0,1] op_sel_hi:[1,0,0]
	v_fmac_f32_e32 v111, v87, v130
	v_fma_f32 v110, v86, v130, -v65
	v_pk_add_f32 v[80:81], v[112:113], v[108:109]
	v_mov_b32_e32 v82, v97
	v_pk_add_f32 v[80:81], v[80:81], v[110:111]
	v_mov_b32_e32 v85, v83
	s_waitcnt lgkmcnt(3)
	v_pk_mul_f32 v[82:83], v[66:67], v[82:83] op_sel_hi:[1,0]
	v_pk_add_f32 v[80:81], v[80:81], v[84:85]
	v_pk_fma_f32 v[84:85], v[66:67], v[96:97], v[82:83] op_sel:[0,0,1] op_sel_hi:[1,1,0] neg_lo:[0,0,1] neg_hi:[0,0,1]
	v_pk_fma_f32 v[66:67], v[66:67], v[96:97], v[82:83] op_sel:[0,0,1] op_sel_hi:[1,0,0]
	v_mov_b32_e32 v85, v67
	v_pk_add_f32 v[66:67], v[80:81], v[84:85]
	v_mov_b32_e32 v80, v95
	v_pk_mul_f32 v[80:81], v[68:69], v[80:81] op_sel_hi:[1,0]
	v_pk_fma_f32 v[82:83], v[68:69], v[94:95], v[80:81] op_sel:[0,0,1] op_sel_hi:[1,1,0] neg_lo:[0,0,1] neg_hi:[0,0,1]
	v_pk_fma_f32 v[68:69], v[68:69], v[94:95], v[80:81] op_sel:[0,0,1] op_sel_hi:[1,0,0]
	v_mov_b32_e32 v68, v93
	v_mov_b32_e32 v83, v69
	s_waitcnt lgkmcnt(2)
	v_pk_mul_f32 v[68:69], v[70:71], v[68:69] op_sel_hi:[1,0]
	v_pk_fma_f32 v[80:81], v[70:71], v[92:93], v[68:69] op_sel:[0,0,1] op_sel_hi:[1,1,0] neg_lo:[0,0,1] neg_hi:[0,0,1]
	v_pk_fma_f32 v[68:69], v[70:71], v[92:93], v[68:69] op_sel:[0,0,1] op_sel_hi:[1,0,0]
	s_waitcnt vmcnt(1)
	v_mov_b32_e32 v68, v107
	v_mov_b32_e32 v81, v69
	v_pk_mul_f32 v[68:69], v[72:73], v[68:69] op_sel_hi:[1,0]
	s_waitcnt vmcnt(0)
	v_pk_fma_f32 v[70:71], v[72:73], v[106:107], v[68:69] op_sel:[0,0,1] op_sel_hi:[1,1,0] neg_lo:[0,0,1] neg_hi:[0,0,1]
	v_pk_fma_f32 v[68:69], v[72:73], v[106:107], v[68:69] op_sel:[0,0,1] op_sel_hi:[1,0,0]
	v_pk_add_f32 v[66:67], v[66:67], v[82:83]
	v_mov_b32_e32 v68, v105
	v_pk_add_f32 v[66:67], v[66:67], v[80:81]
	v_mov_b32_e32 v71, v69
	s_waitcnt lgkmcnt(1)
	v_pk_mul_f32 v[68:69], v[74:75], v[68:69] op_sel_hi:[1,0]
	v_pk_add_f32 v[66:67], v[66:67], v[70:71]
	v_pk_fma_f32 v[70:71], v[74:75], v[104:105], v[68:69] op_sel:[0,0,1] op_sel_hi:[1,1,0] neg_lo:[0,0,1] neg_hi:[0,0,1]
	v_pk_fma_f32 v[68:69], v[74:75], v[104:105], v[68:69] op_sel:[0,0,1] op_sel_hi:[1,0,0]
	v_mov_b32_e32 v68, v103
	v_mov_b32_e32 v71, v69
	v_pk_mul_f32 v[68:69], v[76:77], v[68:69] op_sel_hi:[1,0]
	v_pk_add_f32 v[66:67], v[66:67], v[70:71]
	v_pk_fma_f32 v[70:71], v[76:77], v[102:103], v[68:69] op_sel:[0,0,1] op_sel_hi:[1,1,0] neg_lo:[0,0,1] neg_hi:[0,0,1]
	v_pk_fma_f32 v[68:69], v[76:77], v[102:103], v[68:69] op_sel:[0,0,1] op_sel_hi:[1,0,0]
	v_mov_b32_e32 v68, v101
	v_mov_b32_e32 v71, v69
	s_waitcnt lgkmcnt(0)
	v_pk_mul_f32 v[68:69], v[78:79], v[68:69] op_sel_hi:[1,0]
	v_pk_add_f32 v[66:67], v[66:67], v[70:71]
	v_pk_fma_f32 v[70:71], v[78:79], v[100:101], v[68:69] op_sel:[0,0,1] op_sel_hi:[1,1,0] neg_lo:[0,0,1] neg_hi:[0,0,1]
	v_pk_fma_f32 v[68:69], v[78:79], v[100:101], v[68:69] op_sel:[0,0,1] op_sel_hi:[1,0,0]
	v_mov_b32_e32 v71, v69
	v_pk_add_f32 v[66:67], v[66:67], v[70:71]
	v_pk_add_f32 v[66:67], v[90:91], v[66:67] neg_lo:[0,1] neg_hi:[0,1]
	buffer_store_dword v67, off, s[0:3], 0 offset:92
	buffer_store_dword v66, off, s[0:3], 0 offset:88
	s_and_saveexec_b64 s[4:5], vcc
	s_cbranch_execz .LBB94_179
; %bb.178:
	buffer_load_dword v66, off, s[0:3], 0 offset:80
	buffer_load_dword v67, off, s[0:3], 0 offset:84
	s_waitcnt vmcnt(0)
	ds_write_b64 v1, v[66:67]
	buffer_store_dword v64, off, s[0:3], 0 offset:80
	buffer_store_dword v64, off, s[0:3], 0 offset:84
.LBB94_179:
	s_or_b64 exec, exec, s[4:5]
	s_waitcnt lgkmcnt(0)
	; wave barrier
	s_waitcnt lgkmcnt(0)
	buffer_load_dword v65, off, s[0:3], 0 offset:92
	buffer_load_dword v108, off, s[0:3], 0 offset:100
	;; [unrolled: 1-line block ×26, first 2 shown]
	ds_read2_b64 v[66:69], v64 offset0:43 offset1:44
	ds_read2_b64 v[70:73], v64 offset0:45 offset1:46
	;; [unrolled: 1-line block ×6, first 2 shown]
	buffer_load_dword v93, off, s[0:3], 0 offset:204
	buffer_load_dword v92, off, s[0:3], 0 offset:200
	;; [unrolled: 1-line block ×16, first 2 shown]
	v_cmp_lt_u32_e32 vcc, 9, v0
	s_waitcnt vmcnt(41) lgkmcnt(5)
	v_mul_f32_e32 v133, v66, v65
	s_waitcnt vmcnt(40)
	v_mul_f32_e32 v134, v68, v108
	v_mul_f32_e32 v65, v67, v65
	;; [unrolled: 1-line block ×3, first 2 shown]
	s_waitcnt vmcnt(39) lgkmcnt(4)
	v_mul_f32_e32 v135, v70, v110
	s_waitcnt vmcnt(38)
	v_mul_f32_e32 v136, v72, v112
	s_waitcnt vmcnt(37) lgkmcnt(3)
	v_mul_f32_e32 v137, v74, v114
	s_waitcnt vmcnt(36)
	v_mul_f32_e32 v138, v76, v115
	;; [unrolled: 4-line block ×4, first 2 shown]
	s_waitcnt vmcnt(29)
	v_fmac_f32_e32 v133, v67, v113
	s_waitcnt vmcnt(28)
	v_fmac_f32_e32 v134, v69, v122
	v_fma_f32 v65, v66, v113, -v65
	v_fma_f32 v66, v68, v122, -v108
	v_add_f32_e32 v68, 0, v133
	s_waitcnt vmcnt(27)
	v_fmac_f32_e32 v135, v71, v123
	v_add_f32_e32 v65, 0, v65
	v_add_f32_e32 v68, v68, v134
	s_waitcnt vmcnt(26)
	v_fmac_f32_e32 v136, v73, v124
	v_add_f32_e32 v65, v65, v66
	;; [unrolled: 4-line block ×3, first 2 shown]
	s_waitcnt vmcnt(24)
	v_fmac_f32_e32 v138, v77, v126
	v_add_f32_e32 v66, v66, v137
	s_waitcnt vmcnt(23)
	v_fmac_f32_e32 v139, v79, v127
	v_add_f32_e32 v66, v66, v138
	;; [unrolled: 3-line block ×4, first 2 shown]
	v_mul_f32_e32 v110, v71, v110
	s_waitcnt vmcnt(20)
	v_fmac_f32_e32 v142, v85, v130
	v_add_f32_e32 v66, v66, v141
	v_fma_f32 v67, v70, v123, -v110
	v_add_f32_e32 v113, v66, v142
	v_mul_f32_e32 v66, v73, v112
	v_add_f32_e32 v65, v65, v67
	v_fma_f32 v66, v72, v124, -v66
	v_add_f32_e32 v65, v65, v66
	v_mul_f32_e32 v66, v75, v114
	v_fma_f32 v66, v74, v125, -v66
	v_add_f32_e32 v65, v65, v66
	v_mul_f32_e32 v66, v77, v115
	;; [unrolled: 3-line block ×6, first 2 shown]
	v_fma_f32 v66, v84, v130, -v66
	v_add_f32_e32 v112, v65, v66
	ds_read2_b64 v[66:69], v64 offset0:55 offset1:56
	ds_read2_b64 v[70:73], v64 offset0:57 offset1:58
	;; [unrolled: 1-line block ×4, first 2 shown]
	s_waitcnt vmcnt(11)
	v_mov_b32_e32 v82, v97
	s_waitcnt lgkmcnt(3)
	v_pk_mul_f32 v[82:83], v[66:67], v[82:83] op_sel_hi:[1,0]
	s_waitcnt vmcnt(10)
	v_pk_fma_f32 v[84:85], v[66:67], v[96:97], v[82:83] op_sel:[0,0,1] op_sel_hi:[1,1,0] neg_lo:[0,0,1] neg_hi:[0,0,1]
	v_pk_fma_f32 v[66:67], v[66:67], v[96:97], v[82:83] op_sel:[0,0,1] op_sel_hi:[1,0,0]
	v_mov_b32_e32 v66, v95
	v_mov_b32_e32 v85, v67
	v_pk_mul_f32 v[66:67], v[68:69], v[66:67] op_sel_hi:[1,0]
	v_mul_f32_e32 v109, v86, v120
	v_mul_f32_e32 v65, v87, v120
	v_pk_fma_f32 v[82:83], v[68:69], v[94:95], v[66:67] op_sel:[0,0,1] op_sel_hi:[1,1,0] neg_lo:[0,0,1] neg_hi:[0,0,1]
	v_pk_fma_f32 v[66:67], v[68:69], v[94:95], v[66:67] op_sel:[0,0,1] op_sel_hi:[1,0,0]
	v_mul_f32_e32 v111, v88, v121
	v_fmac_f32_e32 v109, v87, v131
	v_fma_f32 v108, v86, v131, -v65
	v_mul_f32_e32 v65, v89, v121
	v_mov_b32_e32 v66, v93
	v_fmac_f32_e32 v111, v89, v132
	v_fma_f32 v110, v88, v132, -v65
	v_pk_add_f32 v[64:65], v[112:113], v[108:109]
	v_mov_b32_e32 v83, v67
	s_waitcnt lgkmcnt(2)
	v_pk_mul_f32 v[66:67], v[70:71], v[66:67] op_sel_hi:[1,0]
	v_pk_add_f32 v[64:65], v[64:65], v[110:111]
	v_pk_fma_f32 v[68:69], v[70:71], v[92:93], v[66:67] op_sel:[0,0,1] op_sel_hi:[1,1,0] neg_lo:[0,0,1] neg_hi:[0,0,1]
	v_pk_fma_f32 v[66:67], v[70:71], v[92:93], v[66:67] op_sel:[0,0,1] op_sel_hi:[1,0,0]
	v_pk_add_f32 v[64:65], v[64:65], v[84:85]
	s_waitcnt vmcnt(3)
	v_mov_b32_e32 v66, v105
	v_pk_add_f32 v[64:65], v[64:65], v[82:83]
	v_mov_b32_e32 v69, v67
	v_pk_mul_f32 v[66:67], v[72:73], v[66:67] op_sel_hi:[1,0]
	v_pk_add_f32 v[64:65], v[64:65], v[68:69]
	s_waitcnt vmcnt(2)
	v_pk_fma_f32 v[68:69], v[72:73], v[104:105], v[66:67] op_sel:[0,0,1] op_sel_hi:[1,1,0] neg_lo:[0,0,1] neg_hi:[0,0,1]
	v_pk_fma_f32 v[66:67], v[72:73], v[104:105], v[66:67] op_sel:[0,0,1] op_sel_hi:[1,0,0]
	v_mov_b32_e32 v66, v103
	v_mov_b32_e32 v69, v67
	s_waitcnt lgkmcnt(1)
	v_pk_mul_f32 v[66:67], v[74:75], v[66:67] op_sel_hi:[1,0]
	v_pk_add_f32 v[64:65], v[64:65], v[68:69]
	v_pk_fma_f32 v[68:69], v[74:75], v[102:103], v[66:67] op_sel:[0,0,1] op_sel_hi:[1,1,0] neg_lo:[0,0,1] neg_hi:[0,0,1]
	v_pk_fma_f32 v[66:67], v[74:75], v[102:103], v[66:67] op_sel:[0,0,1] op_sel_hi:[1,0,0]
	v_mov_b32_e32 v66, v101
	v_mov_b32_e32 v69, v67
	v_pk_mul_f32 v[66:67], v[76:77], v[66:67] op_sel_hi:[1,0]
	v_pk_add_f32 v[64:65], v[64:65], v[68:69]
	v_pk_fma_f32 v[68:69], v[76:77], v[100:101], v[66:67] op_sel:[0,0,1] op_sel_hi:[1,1,0] neg_lo:[0,0,1] neg_hi:[0,0,1]
	v_pk_fma_f32 v[66:67], v[76:77], v[100:101], v[66:67] op_sel:[0,0,1] op_sel_hi:[1,0,0]
	v_mov_b32_e32 v66, v99
	v_mov_b32_e32 v69, v67
	s_waitcnt lgkmcnt(0)
	v_pk_mul_f32 v[66:67], v[78:79], v[66:67] op_sel_hi:[1,0]
	v_pk_add_f32 v[64:65], v[64:65], v[68:69]
	v_pk_fma_f32 v[68:69], v[78:79], v[98:99], v[66:67] op_sel:[0,0,1] op_sel_hi:[1,1,0] neg_lo:[0,0,1] neg_hi:[0,0,1]
	v_pk_fma_f32 v[66:67], v[78:79], v[98:99], v[66:67] op_sel:[0,0,1] op_sel_hi:[1,0,0]
	s_waitcnt vmcnt(1)
	v_mov_b32_e32 v66, v107
	v_mov_b32_e32 v69, v67
	v_pk_mul_f32 v[66:67], v[80:81], v[66:67] op_sel_hi:[1,0]
	v_pk_add_f32 v[64:65], v[64:65], v[68:69]
	s_waitcnt vmcnt(0)
	v_pk_fma_f32 v[68:69], v[80:81], v[106:107], v[66:67] op_sel:[0,0,1] op_sel_hi:[1,1,0] neg_lo:[0,0,1] neg_hi:[0,0,1]
	v_pk_fma_f32 v[66:67], v[80:81], v[106:107], v[66:67] op_sel:[0,0,1] op_sel_hi:[1,0,0]
	v_mov_b32_e32 v69, v67
	v_pk_add_f32 v[64:65], v[64:65], v[68:69]
	v_pk_add_f32 v[64:65], v[90:91], v[64:65] neg_lo:[0,1] neg_hi:[0,1]
	buffer_store_dword v65, off, s[0:3], 0 offset:84
	buffer_store_dword v64, off, s[0:3], 0 offset:80
	s_and_saveexec_b64 s[4:5], vcc
	s_cbranch_execz .LBB94_181
; %bb.180:
	buffer_load_dword v64, off, s[0:3], 0 offset:72
	buffer_load_dword v65, off, s[0:3], 0 offset:76
	v_mov_b32_e32 v66, 0
	buffer_store_dword v66, off, s[0:3], 0 offset:72
	buffer_store_dword v66, off, s[0:3], 0 offset:76
	s_waitcnt vmcnt(2)
	ds_write_b64 v1, v[64:65]
.LBB94_181:
	s_or_b64 exec, exec, s[4:5]
	s_waitcnt lgkmcnt(0)
	; wave barrier
	s_waitcnt lgkmcnt(0)
	buffer_load_dword v65, off, s[0:3], 0 offset:84
	buffer_load_dword v116, off, s[0:3], 0 offset:92
	;; [unrolled: 1-line block ×44, first 2 shown]
	v_mov_b32_e32 v64, 0
	ds_read_b128 v[66:69], v64 offset:336
	ds_read_b128 v[70:73], v64 offset:352
	;; [unrolled: 1-line block ×8, first 2 shown]
	v_cmp_lt_u32_e32 vcc, 8, v0
	s_waitcnt vmcnt(43) lgkmcnt(7)
	v_mul_f32_e32 v121, v66, v65
	v_mul_f32_e32 v65, v67, v65
	s_waitcnt vmcnt(42)
	v_mul_f32_e32 v144, v68, v116
	s_waitcnt vmcnt(41) lgkmcnt(6)
	v_mul_f32_e32 v145, v70, v118
	s_waitcnt vmcnt(40)
	v_mul_f32_e32 v146, v72, v120
	s_waitcnt vmcnt(39) lgkmcnt(5)
	;; [unrolled: 4-line block ×5, first 2 shown]
	v_mul_f32_e32 v153, v86, v128
	s_waitcnt vmcnt(32)
	v_mul_f32_e32 v117, v88, v129
	s_waitcnt vmcnt(30)
	v_fma_f32 v65, v66, v131, -v65
	v_mul_f32_e32 v66, v69, v116
	v_add_f32_e32 v65, 0, v65
	s_waitcnt vmcnt(29)
	v_fma_f32 v66, v68, v132, -v66
	v_add_f32_e32 v65, v65, v66
	v_mul_f32_e32 v66, v71, v118
	s_waitcnt vmcnt(28)
	v_fma_f32 v66, v70, v133, -v66
	v_add_f32_e32 v65, v65, v66
	v_mul_f32_e32 v66, v73, v120
	;; [unrolled: 4-line block ×4, first 2 shown]
	s_waitcnt vmcnt(25)
	v_fma_f32 v66, v76, v136, -v66
	v_fmac_f32_e32 v121, v67, v131
	v_add_f32_e32 v65, v65, v66
	v_mul_f32_e32 v66, v79, v124
	v_fmac_f32_e32 v144, v69, v132
	v_add_f32_e32 v67, 0, v121
	s_waitcnt vmcnt(24)
	v_fma_f32 v66, v78, v137, -v66
	v_fmac_f32_e32 v145, v71, v133
	v_add_f32_e32 v67, v67, v144
	v_add_f32_e32 v65, v65, v66
	v_mul_f32_e32 v66, v81, v125
	v_fmac_f32_e32 v146, v73, v134
	v_add_f32_e32 v67, v67, v145
	s_waitcnt vmcnt(23)
	v_fma_f32 v66, v80, v138, -v66
	v_fmac_f32_e32 v147, v75, v135
	v_add_f32_e32 v67, v67, v146
	;; [unrolled: 8-line block ×4, first 2 shown]
	v_add_f32_e32 v65, v65, v66
	v_mul_f32_e32 v66, v87, v128
	v_fmac_f32_e32 v152, v85, v140
	v_add_f32_e32 v67, v67, v151
	s_waitcnt vmcnt(20)
	v_fma_f32 v66, v86, v141, -v66
	s_waitcnt vmcnt(13)
	v_mov_b32_e32 v78, v103
	v_fmac_f32_e32 v153, v87, v141
	v_add_f32_e32 v67, v67, v152
	v_add_f32_e32 v120, v65, v66
	v_mul_f32_e32 v65, v89, v129
	s_waitcnt lgkmcnt(1)
	v_pk_mul_f32 v[78:79], v[92:93], v[78:79] op_sel_hi:[1,0]
	v_mul_f32_e32 v119, v90, v130
	v_fmac_f32_e32 v117, v89, v142
	v_add_f32_e32 v121, v67, v153
	v_fma_f32 v116, v88, v142, -v65
	v_mul_f32_e32 v65, v91, v130
	s_waitcnt vmcnt(12)
	v_pk_fma_f32 v[80:81], v[92:93], v[102:103], v[78:79] op_sel:[0,0,1] op_sel_hi:[1,1,0] neg_lo:[0,0,1] neg_hi:[0,0,1]
	v_pk_fma_f32 v[78:79], v[92:93], v[102:103], v[78:79] op_sel:[0,0,1] op_sel_hi:[1,0,0]
	v_fmac_f32_e32 v119, v91, v143
	v_fma_f32 v118, v90, v143, -v65
	v_pk_add_f32 v[76:77], v[120:121], v[116:117]
	v_mov_b32_e32 v78, v101
	v_pk_add_f32 v[76:77], v[76:77], v[118:119]
	v_mov_b32_e32 v81, v79
	s_waitcnt lgkmcnt(0)
	v_pk_mul_f32 v[78:79], v[94:95], v[78:79] op_sel_hi:[1,0]
	v_pk_add_f32 v[76:77], v[76:77], v[80:81]
	v_pk_fma_f32 v[80:81], v[94:95], v[100:101], v[78:79] op_sel:[0,0,1] op_sel_hi:[1,1,0] neg_lo:[0,0,1] neg_hi:[0,0,1]
	v_pk_fma_f32 v[78:79], v[94:95], v[100:101], v[78:79] op_sel:[0,0,1] op_sel_hi:[1,0,0]
	s_waitcnt vmcnt(5)
	v_mov_b32_e32 v78, v111
	ds_read_b128 v[66:69], v64 offset:464
	ds_read_b128 v[70:73], v64 offset:480
	ds_read_b64 v[74:75], v64 offset:496
	v_mov_b32_e32 v81, v79
	v_pk_mul_f32 v[78:79], v[96:97], v[78:79] op_sel_hi:[1,0]
	v_pk_add_f32 v[76:77], v[76:77], v[80:81]
	s_waitcnt vmcnt(4)
	v_pk_fma_f32 v[80:81], v[96:97], v[110:111], v[78:79] op_sel:[0,0,1] op_sel_hi:[1,1,0] neg_lo:[0,0,1] neg_hi:[0,0,1]
	v_pk_fma_f32 v[78:79], v[96:97], v[110:111], v[78:79] op_sel:[0,0,1] op_sel_hi:[1,0,0]
	v_mov_b32_e32 v78, v109
	v_mov_b32_e32 v81, v79
	s_waitcnt lgkmcnt(2)
	v_pk_mul_f32 v[78:79], v[66:67], v[78:79] op_sel_hi:[1,0]
	v_pk_add_f32 v[76:77], v[76:77], v[80:81]
	v_pk_fma_f32 v[80:81], v[66:67], v[108:109], v[78:79] op_sel:[0,0,1] op_sel_hi:[1,1,0] neg_lo:[0,0,1] neg_hi:[0,0,1]
	v_pk_fma_f32 v[66:67], v[66:67], v[108:109], v[78:79] op_sel:[0,0,1] op_sel_hi:[1,0,0]
	v_mov_b32_e32 v81, v67
	v_pk_add_f32 v[66:67], v[76:77], v[80:81]
	v_mov_b32_e32 v76, v107
	v_pk_mul_f32 v[76:77], v[68:69], v[76:77] op_sel_hi:[1,0]
	v_pk_fma_f32 v[78:79], v[68:69], v[106:107], v[76:77] op_sel:[0,0,1] op_sel_hi:[1,1,0] neg_lo:[0,0,1] neg_hi:[0,0,1]
	v_pk_fma_f32 v[68:69], v[68:69], v[106:107], v[76:77] op_sel:[0,0,1] op_sel_hi:[1,0,0]
	v_mov_b32_e32 v68, v105
	v_mov_b32_e32 v79, v69
	s_waitcnt lgkmcnt(1)
	v_pk_mul_f32 v[68:69], v[70:71], v[68:69] op_sel_hi:[1,0]
	v_pk_fma_f32 v[76:77], v[70:71], v[104:105], v[68:69] op_sel:[0,0,1] op_sel_hi:[1,1,0] neg_lo:[0,0,1] neg_hi:[0,0,1]
	v_pk_fma_f32 v[68:69], v[70:71], v[104:105], v[68:69] op_sel:[0,0,1] op_sel_hi:[1,0,0]
	s_waitcnt vmcnt(1)
	v_mov_b32_e32 v68, v115
	v_mov_b32_e32 v77, v69
	v_pk_mul_f32 v[68:69], v[72:73], v[68:69] op_sel_hi:[1,0]
	s_waitcnt vmcnt(0)
	v_pk_fma_f32 v[70:71], v[72:73], v[114:115], v[68:69] op_sel:[0,0,1] op_sel_hi:[1,1,0] neg_lo:[0,0,1] neg_hi:[0,0,1]
	v_pk_fma_f32 v[68:69], v[72:73], v[114:115], v[68:69] op_sel:[0,0,1] op_sel_hi:[1,0,0]
	v_pk_add_f32 v[66:67], v[66:67], v[78:79]
	v_mov_b32_e32 v68, v113
	v_pk_add_f32 v[66:67], v[66:67], v[76:77]
	v_mov_b32_e32 v71, v69
	s_waitcnt lgkmcnt(0)
	v_pk_mul_f32 v[68:69], v[74:75], v[68:69] op_sel_hi:[1,0]
	v_pk_add_f32 v[66:67], v[66:67], v[70:71]
	v_pk_fma_f32 v[70:71], v[74:75], v[112:113], v[68:69] op_sel:[0,0,1] op_sel_hi:[1,1,0] neg_lo:[0,0,1] neg_hi:[0,0,1]
	v_pk_fma_f32 v[68:69], v[74:75], v[112:113], v[68:69] op_sel:[0,0,1] op_sel_hi:[1,0,0]
	v_mov_b32_e32 v71, v69
	v_pk_add_f32 v[66:67], v[66:67], v[70:71]
	v_pk_add_f32 v[66:67], v[98:99], v[66:67] neg_lo:[0,1] neg_hi:[0,1]
	buffer_store_dword v67, off, s[0:3], 0 offset:76
	buffer_store_dword v66, off, s[0:3], 0 offset:72
	s_and_saveexec_b64 s[4:5], vcc
	s_cbranch_execz .LBB94_183
; %bb.182:
	buffer_load_dword v66, off, s[0:3], 0 offset:64
	buffer_load_dword v67, off, s[0:3], 0 offset:68
	s_waitcnt vmcnt(0)
	ds_write_b64 v1, v[66:67]
	buffer_store_dword v64, off, s[0:3], 0 offset:64
	buffer_store_dword v64, off, s[0:3], 0 offset:68
.LBB94_183:
	s_or_b64 exec, exec, s[4:5]
	s_waitcnt lgkmcnt(0)
	; wave barrier
	s_waitcnt lgkmcnt(0)
	buffer_load_dword v65, off, s[0:3], 0 offset:76
	buffer_load_dword v116, off, s[0:3], 0 offset:84
	;; [unrolled: 1-line block ×30, first 2 shown]
	ds_read2_b64 v[66:69], v64 offset0:41 offset1:42
	ds_read2_b64 v[70:73], v64 offset0:43 offset1:44
	;; [unrolled: 1-line block ×6, first 2 shown]
	buffer_load_dword v101, off, s[0:3], 0 offset:188
	buffer_load_dword v100, off, s[0:3], 0 offset:184
	ds_read2_b64 v[90:93], v64 offset0:53 offset1:54
	ds_read2_b64 v[94:97], v64 offset0:55 offset1:56
	buffer_load_dword v103, off, s[0:3], 0 offset:220
	buffer_load_dword v102, off, s[0:3], 0 offset:216
	buffer_load_dword v105, off, s[0:3], 0 offset:212
	buffer_load_dword v104, off, s[0:3], 0 offset:208
	buffer_load_dword v107, off, s[0:3], 0 offset:204
	buffer_load_dword v106, off, s[0:3], 0 offset:200
	buffer_load_dword v109, off, s[0:3], 0 offset:196
	buffer_load_dword v108, off, s[0:3], 0 offset:192
	buffer_load_dword v111, off, s[0:3], 0 offset:244
	buffer_load_dword v110, off, s[0:3], 0 offset:240
	buffer_load_dword v113, off, s[0:3], 0 offset:236
	buffer_load_dword v112, off, s[0:3], 0 offset:232
	buffer_load_dword v115, off, s[0:3], 0 offset:228
	buffer_load_dword v114, off, s[0:3], 0 offset:224
	v_cmp_lt_u32_e32 vcc, 7, v0
	s_waitcnt vmcnt(45) lgkmcnt(7)
	v_mul_f32_e32 v119, v66, v65
	v_mul_f32_e32 v65, v67, v65
	s_waitcnt vmcnt(44)
	v_mul_f32_e32 v121, v68, v116
	s_waitcnt vmcnt(43) lgkmcnt(6)
	v_mul_f32_e32 v146, v70, v118
	s_waitcnt vmcnt(42)
	v_mul_f32_e32 v147, v72, v120
	s_waitcnt vmcnt(41) lgkmcnt(5)
	;; [unrolled: 4-line block ×5, first 2 shown]
	v_mul_f32_e32 v154, v86, v128
	s_waitcnt vmcnt(34)
	v_mul_f32_e32 v155, v88, v129
	s_waitcnt vmcnt(32)
	v_fma_f32 v65, v66, v131, -v65
	v_mul_f32_e32 v66, v69, v116
	v_add_f32_e32 v65, 0, v65
	s_waitcnt vmcnt(31)
	v_fma_f32 v66, v68, v132, -v66
	v_add_f32_e32 v65, v65, v66
	v_mul_f32_e32 v66, v71, v118
	s_waitcnt vmcnt(30)
	v_fma_f32 v66, v70, v133, -v66
	v_add_f32_e32 v65, v65, v66
	v_mul_f32_e32 v66, v73, v120
	;; [unrolled: 4-line block ×5, first 2 shown]
	v_fmac_f32_e32 v119, v67, v131
	s_waitcnt vmcnt(26)
	v_fma_f32 v66, v78, v137, -v66
	v_fmac_f32_e32 v121, v69, v132
	v_add_f32_e32 v119, 0, v119
	v_add_f32_e32 v65, v65, v66
	v_mul_f32_e32 v66, v81, v125
	v_fmac_f32_e32 v146, v71, v133
	v_add_f32_e32 v119, v119, v121
	s_waitcnt vmcnt(25)
	v_fma_f32 v66, v80, v138, -v66
	v_fmac_f32_e32 v147, v73, v134
	v_add_f32_e32 v119, v119, v146
	v_add_f32_e32 v65, v65, v66
	v_mul_f32_e32 v66, v83, v126
	v_fmac_f32_e32 v148, v75, v135
	v_add_f32_e32 v119, v119, v147
	;; [unrolled: 8-line block ×5, first 2 shown]
	s_waitcnt vmcnt(21)
	v_fma_f32 v66, v88, v142, -v66
	s_waitcnt vmcnt(15)
	v_mov_b32_e32 v78, v101
	s_waitcnt lgkmcnt(1)
	v_mul_f32_e32 v117, v90, v130
	v_fmac_f32_e32 v155, v89, v142
	v_add_f32_e32 v119, v119, v154
	v_add_f32_e32 v118, v65, v66
	v_mul_f32_e32 v65, v91, v130
	s_waitcnt lgkmcnt(0)
	v_pk_mul_f32 v[78:79], v[94:95], v[78:79] op_sel_hi:[1,0]
	v_fmac_f32_e32 v117, v91, v143
	v_add_f32_e32 v119, v119, v155
	v_mul_f32_e32 v121, v92, v144
	v_fma_f32 v116, v90, v143, -v65
	v_mul_f32_e32 v65, v93, v144
	s_waitcnt vmcnt(14)
	v_pk_fma_f32 v[80:81], v[94:95], v[100:101], v[78:79] op_sel:[0,0,1] op_sel_hi:[1,1,0] neg_lo:[0,0,1] neg_hi:[0,0,1]
	v_pk_fma_f32 v[78:79], v[94:95], v[100:101], v[78:79] op_sel:[0,0,1] op_sel_hi:[1,0,0]
	v_fmac_f32_e32 v121, v93, v145
	v_fma_f32 v120, v92, v145, -v65
	ds_read2_b64 v[66:69], v64 offset0:57 offset1:58
	ds_read2_b64 v[70:73], v64 offset0:59 offset1:60
	;; [unrolled: 1-line block ×3, first 2 shown]
	v_pk_add_f32 v[64:65], v[118:119], v[116:117]
	s_waitcnt vmcnt(7)
	v_mov_b32_e32 v78, v109
	v_pk_add_f32 v[64:65], v[64:65], v[120:121]
	v_mov_b32_e32 v81, v79
	v_pk_mul_f32 v[78:79], v[96:97], v[78:79] op_sel_hi:[1,0]
	v_pk_add_f32 v[64:65], v[64:65], v[80:81]
	s_waitcnt vmcnt(6)
	v_pk_fma_f32 v[80:81], v[96:97], v[108:109], v[78:79] op_sel:[0,0,1] op_sel_hi:[1,1,0] neg_lo:[0,0,1] neg_hi:[0,0,1]
	v_pk_fma_f32 v[78:79], v[96:97], v[108:109], v[78:79] op_sel:[0,0,1] op_sel_hi:[1,0,0]
	v_mov_b32_e32 v78, v107
	v_mov_b32_e32 v81, v79
	s_waitcnt lgkmcnt(2)
	v_pk_mul_f32 v[78:79], v[66:67], v[78:79] op_sel_hi:[1,0]
	v_pk_add_f32 v[64:65], v[64:65], v[80:81]
	v_pk_fma_f32 v[80:81], v[66:67], v[106:107], v[78:79] op_sel:[0,0,1] op_sel_hi:[1,1,0] neg_lo:[0,0,1] neg_hi:[0,0,1]
	v_pk_fma_f32 v[66:67], v[66:67], v[106:107], v[78:79] op_sel:[0,0,1] op_sel_hi:[1,0,0]
	v_mov_b32_e32 v66, v105
	v_mov_b32_e32 v81, v67
	v_pk_mul_f32 v[66:67], v[68:69], v[66:67] op_sel_hi:[1,0]
	v_pk_fma_f32 v[78:79], v[68:69], v[104:105], v[66:67] op_sel:[0,0,1] op_sel_hi:[1,1,0] neg_lo:[0,0,1] neg_hi:[0,0,1]
	v_pk_fma_f32 v[66:67], v[68:69], v[104:105], v[66:67] op_sel:[0,0,1] op_sel_hi:[1,0,0]
	v_mov_b32_e32 v66, v103
	v_mov_b32_e32 v79, v67
	s_waitcnt lgkmcnt(1)
	v_pk_mul_f32 v[66:67], v[70:71], v[66:67] op_sel_hi:[1,0]
	v_pk_fma_f32 v[68:69], v[70:71], v[102:103], v[66:67] op_sel:[0,0,1] op_sel_hi:[1,1,0] neg_lo:[0,0,1] neg_hi:[0,0,1]
	v_pk_fma_f32 v[66:67], v[70:71], v[102:103], v[66:67] op_sel:[0,0,1] op_sel_hi:[1,0,0]
	v_pk_add_f32 v[64:65], v[64:65], v[80:81]
	s_waitcnt vmcnt(1)
	v_mov_b32_e32 v66, v115
	v_pk_add_f32 v[64:65], v[64:65], v[78:79]
	v_mov_b32_e32 v69, v67
	v_pk_mul_f32 v[66:67], v[72:73], v[66:67] op_sel_hi:[1,0]
	v_pk_add_f32 v[64:65], v[64:65], v[68:69]
	s_waitcnt vmcnt(0)
	v_pk_fma_f32 v[68:69], v[72:73], v[114:115], v[66:67] op_sel:[0,0,1] op_sel_hi:[1,1,0] neg_lo:[0,0,1] neg_hi:[0,0,1]
	v_pk_fma_f32 v[66:67], v[72:73], v[114:115], v[66:67] op_sel:[0,0,1] op_sel_hi:[1,0,0]
	v_mov_b32_e32 v66, v113
	v_mov_b32_e32 v69, v67
	s_waitcnt lgkmcnt(0)
	v_pk_mul_f32 v[66:67], v[74:75], v[66:67] op_sel_hi:[1,0]
	v_pk_add_f32 v[64:65], v[64:65], v[68:69]
	v_pk_fma_f32 v[68:69], v[74:75], v[112:113], v[66:67] op_sel:[0,0,1] op_sel_hi:[1,1,0] neg_lo:[0,0,1] neg_hi:[0,0,1]
	v_pk_fma_f32 v[66:67], v[74:75], v[112:113], v[66:67] op_sel:[0,0,1] op_sel_hi:[1,0,0]
	v_mov_b32_e32 v66, v111
	v_mov_b32_e32 v69, v67
	v_pk_mul_f32 v[66:67], v[76:77], v[66:67] op_sel_hi:[1,0]
	v_pk_add_f32 v[64:65], v[64:65], v[68:69]
	v_pk_fma_f32 v[68:69], v[76:77], v[110:111], v[66:67] op_sel:[0,0,1] op_sel_hi:[1,1,0] neg_lo:[0,0,1] neg_hi:[0,0,1]
	v_pk_fma_f32 v[66:67], v[76:77], v[110:111], v[66:67] op_sel:[0,0,1] op_sel_hi:[1,0,0]
	v_mov_b32_e32 v69, v67
	v_pk_add_f32 v[64:65], v[64:65], v[68:69]
	v_pk_add_f32 v[64:65], v[98:99], v[64:65] neg_lo:[0,1] neg_hi:[0,1]
	buffer_store_dword v65, off, s[0:3], 0 offset:68
	buffer_store_dword v64, off, s[0:3], 0 offset:64
	s_and_saveexec_b64 s[4:5], vcc
	s_cbranch_execz .LBB94_185
; %bb.184:
	buffer_load_dword v64, off, s[0:3], 0 offset:56
	buffer_load_dword v65, off, s[0:3], 0 offset:60
	v_mov_b32_e32 v66, 0
	buffer_store_dword v66, off, s[0:3], 0 offset:56
	buffer_store_dword v66, off, s[0:3], 0 offset:60
	s_waitcnt vmcnt(2)
	ds_write_b64 v1, v[64:65]
.LBB94_185:
	s_or_b64 exec, exec, s[4:5]
	s_waitcnt lgkmcnt(0)
	; wave barrier
	s_waitcnt lgkmcnt(0)
	buffer_load_dword v65, off, s[0:3], 0 offset:68
	buffer_load_dword v114, off, s[0:3], 0 offset:76
	;; [unrolled: 1-line block ×32, first 2 shown]
	v_mov_b32_e32 v64, 0
	buffer_load_dword v101, off, s[0:3], 0 offset:212
	buffer_load_dword v100, off, s[0:3], 0 offset:208
	;; [unrolled: 1-line block ×13, first 2 shown]
	ds_read_b128 v[66:69], v64 offset:320
	ds_read_b128 v[70:73], v64 offset:336
	;; [unrolled: 1-line block ×8, first 2 shown]
	v_cmp_lt_u32_e32 vcc, 6, v0
	s_waitcnt vmcnt(44) lgkmcnt(7)
	v_mul_f32_e32 v108, v66, v65
	s_waitcnt vmcnt(43)
	v_mul_f32_e32 v115, v68, v114
	s_waitcnt vmcnt(42) lgkmcnt(6)
	v_mul_f32_e32 v116, v70, v118
	s_waitcnt vmcnt(41)
	v_mul_f32_e32 v117, v72, v120
	;; [unrolled: 4-line block ×6, first 2 shown]
	s_waitcnt vmcnt(32) lgkmcnt(1)
	v_mul_f32_e32 v154, v90, v130
	s_waitcnt vmcnt(31)
	v_fmac_f32_e32 v108, v67, v131
	s_waitcnt vmcnt(30)
	v_fmac_f32_e32 v115, v69, v132
	v_add_f32_e32 v108, 0, v108
	s_waitcnt vmcnt(29)
	v_fmac_f32_e32 v116, v71, v133
	v_add_f32_e32 v108, v108, v115
	;; [unrolled: 3-line block ×12, first 2 shown]
	v_add_f32_e32 v115, v108, v154
	buffer_load_dword v117, off, s[0:3], 0 offset:228
	buffer_load_dword v116, off, s[0:3], 0 offset:224
	;; [unrolled: 1-line block ×3, first 2 shown]
	v_mul_f32_e32 v65, v67, v65
	v_fma_f32 v65, v66, v131, -v65
	v_mul_f32_e32 v66, v69, v114
	v_add_f32_e32 v65, 0, v65
	v_fma_f32 v66, v68, v132, -v66
	v_add_f32_e32 v65, v65, v66
	v_mul_f32_e32 v66, v71, v118
	v_fma_f32 v66, v70, v133, -v66
	v_add_f32_e32 v65, v65, v66
	v_mul_f32_e32 v66, v73, v120
	;; [unrolled: 3-line block ×11, first 2 shown]
	v_fma_f32 v66, v90, v143, -v66
	s_waitcnt vmcnt(9)
	v_mov_b32_e32 v82, v107
	v_mul_f32_e32 v119, v92, v144
	v_add_f32_e32 v114, v65, v66
	v_mul_f32_e32 v65, v93, v144
	s_waitcnt lgkmcnt(0)
	v_pk_mul_f32 v[82:83], v[96:97], v[82:83] op_sel_hi:[1,0]
	v_fmac_f32_e32 v119, v93, v145
	v_mul_f32_e32 v121, v94, v146
	v_fma_f32 v118, v92, v145, -v65
	v_mul_f32_e32 v65, v95, v146
	ds_read_b128 v[66:69], v64 offset:448
	ds_read_b128 v[70:73], v64 offset:464
	;; [unrolled: 1-line block ×3, first 2 shown]
	ds_read_b64 v[78:79], v64 offset:496
	s_waitcnt vmcnt(8)
	v_pk_fma_f32 v[84:85], v[96:97], v[106:107], v[82:83] op_sel:[0,0,1] op_sel_hi:[1,1,0] neg_lo:[0,0,1] neg_hi:[0,0,1]
	v_pk_fma_f32 v[82:83], v[96:97], v[106:107], v[82:83] op_sel:[0,0,1] op_sel_hi:[1,0,0]
	v_fmac_f32_e32 v121, v95, v147
	v_fma_f32 v120, v94, v147, -v65
	v_pk_add_f32 v[80:81], v[114:115], v[118:119]
	v_mov_b32_e32 v82, v105
	v_pk_add_f32 v[80:81], v[80:81], v[120:121]
	v_mov_b32_e32 v85, v83
	s_waitcnt lgkmcnt(3)
	v_pk_mul_f32 v[82:83], v[66:67], v[82:83] op_sel_hi:[1,0]
	v_pk_add_f32 v[80:81], v[80:81], v[84:85]
	v_pk_fma_f32 v[84:85], v[66:67], v[104:105], v[82:83] op_sel:[0,0,1] op_sel_hi:[1,1,0] neg_lo:[0,0,1] neg_hi:[0,0,1]
	v_pk_fma_f32 v[66:67], v[66:67], v[104:105], v[82:83] op_sel:[0,0,1] op_sel_hi:[1,0,0]
	v_mov_b32_e32 v85, v67
	v_pk_add_f32 v[66:67], v[80:81], v[84:85]
	v_mov_b32_e32 v80, v103
	v_pk_mul_f32 v[80:81], v[68:69], v[80:81] op_sel_hi:[1,0]
	v_pk_fma_f32 v[82:83], v[68:69], v[102:103], v[80:81] op_sel:[0,0,1] op_sel_hi:[1,1,0] neg_lo:[0,0,1] neg_hi:[0,0,1]
	v_pk_fma_f32 v[68:69], v[68:69], v[102:103], v[80:81] op_sel:[0,0,1] op_sel_hi:[1,0,0]
	v_mov_b32_e32 v68, v101
	v_mov_b32_e32 v83, v69
	s_waitcnt lgkmcnt(2)
	v_pk_mul_f32 v[68:69], v[70:71], v[68:69] op_sel_hi:[1,0]
	v_pk_fma_f32 v[80:81], v[70:71], v[100:101], v[68:69] op_sel:[0,0,1] op_sel_hi:[1,1,0] neg_lo:[0,0,1] neg_hi:[0,0,1]
	v_pk_fma_f32 v[68:69], v[70:71], v[100:101], v[68:69] op_sel:[0,0,1] op_sel_hi:[1,0,0]
	s_waitcnt vmcnt(7)
	v_mov_b32_e32 v68, v109
	v_mov_b32_e32 v81, v69
	v_pk_mul_f32 v[68:69], v[72:73], v[68:69] op_sel_hi:[1,0]
	v_pk_add_f32 v[66:67], v[66:67], v[82:83]
	v_pk_add_f32 v[66:67], v[66:67], v[80:81]
	s_waitcnt vmcnt(0)
	v_pk_fma_f32 v[70:71], v[72:73], v[108:109], v[68:69] op_sel:[0,0,1] op_sel_hi:[1,1,0] neg_lo:[0,0,1] neg_hi:[0,0,1]
	v_pk_fma_f32 v[68:69], v[72:73], v[108:109], v[68:69] op_sel:[0,0,1] op_sel_hi:[1,0,0]
	v_mov_b32_e32 v68, v117
	v_mov_b32_e32 v71, v69
	s_waitcnt lgkmcnt(1)
	v_pk_mul_f32 v[68:69], v[74:75], v[68:69] op_sel_hi:[1,0]
	v_pk_add_f32 v[66:67], v[66:67], v[70:71]
	v_pk_fma_f32 v[70:71], v[74:75], v[116:117], v[68:69] op_sel:[0,0,1] op_sel_hi:[1,1,0] neg_lo:[0,0,1] neg_hi:[0,0,1]
	v_pk_fma_f32 v[68:69], v[74:75], v[116:117], v[68:69] op_sel:[0,0,1] op_sel_hi:[1,0,0]
	v_mov_b32_e32 v68, v113
	v_mov_b32_e32 v71, v69
	v_pk_mul_f32 v[68:69], v[76:77], v[68:69] op_sel_hi:[1,0]
	v_pk_add_f32 v[66:67], v[66:67], v[70:71]
	v_pk_fma_f32 v[70:71], v[76:77], v[112:113], v[68:69] op_sel:[0,0,1] op_sel_hi:[1,1,0] neg_lo:[0,0,1] neg_hi:[0,0,1]
	v_pk_fma_f32 v[68:69], v[76:77], v[112:113], v[68:69] op_sel:[0,0,1] op_sel_hi:[1,0,0]
	v_mov_b32_e32 v68, v111
	v_mov_b32_e32 v71, v69
	s_waitcnt lgkmcnt(0)
	v_pk_mul_f32 v[68:69], v[78:79], v[68:69] op_sel_hi:[1,0]
	v_pk_add_f32 v[66:67], v[66:67], v[70:71]
	v_pk_fma_f32 v[70:71], v[78:79], v[110:111], v[68:69] op_sel:[0,0,1] op_sel_hi:[1,1,0] neg_lo:[0,0,1] neg_hi:[0,0,1]
	v_pk_fma_f32 v[68:69], v[78:79], v[110:111], v[68:69] op_sel:[0,0,1] op_sel_hi:[1,0,0]
	v_mov_b32_e32 v71, v69
	v_pk_add_f32 v[66:67], v[66:67], v[70:71]
	v_pk_add_f32 v[66:67], v[98:99], v[66:67] neg_lo:[0,1] neg_hi:[0,1]
	buffer_store_dword v67, off, s[0:3], 0 offset:60
	buffer_store_dword v66, off, s[0:3], 0 offset:56
	s_and_saveexec_b64 s[4:5], vcc
	s_cbranch_execz .LBB94_187
; %bb.186:
	buffer_load_dword v66, off, s[0:3], 0 offset:48
	buffer_load_dword v67, off, s[0:3], 0 offset:52
	s_waitcnt vmcnt(0)
	ds_write_b64 v1, v[66:67]
	buffer_store_dword v64, off, s[0:3], 0 offset:48
	buffer_store_dword v64, off, s[0:3], 0 offset:52
.LBB94_187:
	s_or_b64 exec, exec, s[4:5]
	s_waitcnt lgkmcnt(0)
	; wave barrier
	s_waitcnt lgkmcnt(0)
	buffer_load_dword v65, off, s[0:3], 0 offset:60
	buffer_load_dword v114, off, s[0:3], 0 offset:68
	buffer_load_dword v116, off, s[0:3], 0 offset:76
	buffer_load_dword v118, off, s[0:3], 0 offset:84
	buffer_load_dword v122, off, s[0:3], 0 offset:92
	buffer_load_dword v123, off, s[0:3], 0 offset:100
	buffer_load_dword v124, off, s[0:3], 0 offset:108
	buffer_load_dword v125, off, s[0:3], 0 offset:116
	buffer_load_dword v126, off, s[0:3], 0 offset:124
	buffer_load_dword v127, off, s[0:3], 0 offset:132
	buffer_load_dword v128, off, s[0:3], 0 offset:140
	buffer_load_dword v129, off, s[0:3], 0 offset:148
	buffer_load_dword v130, off, s[0:3], 0 offset:156
	buffer_load_dword v131, off, s[0:3], 0 offset:164
	buffer_load_dword v132, off, s[0:3], 0 offset:56
	buffer_load_dword v133, off, s[0:3], 0 offset:64
	buffer_load_dword v134, off, s[0:3], 0 offset:72
	buffer_load_dword v135, off, s[0:3], 0 offset:80
	buffer_load_dword v136, off, s[0:3], 0 offset:88
	buffer_load_dword v137, off, s[0:3], 0 offset:96
	buffer_load_dword v138, off, s[0:3], 0 offset:104
	buffer_load_dword v139, off, s[0:3], 0 offset:112
	buffer_load_dword v140, off, s[0:3], 0 offset:120
	buffer_load_dword v141, off, s[0:3], 0 offset:128
	buffer_load_dword v142, off, s[0:3], 0 offset:136
	buffer_load_dword v143, off, s[0:3], 0 offset:144
	buffer_load_dword v144, off, s[0:3], 0 offset:152
	buffer_load_dword v145, off, s[0:3], 0 offset:160
	buffer_load_dword v146, off, s[0:3], 0 offset:172
	buffer_load_dword v147, off, s[0:3], 0 offset:168
	buffer_load_dword v148, off, s[0:3], 0 offset:180
	buffer_load_dword v149, off, s[0:3], 0 offset:176
	buffer_load_dword v98, off, s[0:3], 0 offset:48
	buffer_load_dword v99, off, s[0:3], 0 offset:52
	ds_read2_b64 v[66:69], v64 offset0:39 offset1:40
	ds_read2_b64 v[70:73], v64 offset0:41 offset1:42
	ds_read2_b64 v[74:77], v64 offset0:43 offset1:44
	ds_read2_b64 v[78:81], v64 offset0:45 offset1:46
	ds_read2_b64 v[82:85], v64 offset0:47 offset1:48
	ds_read2_b64 v[86:89], v64 offset0:49 offset1:50
	ds_read2_b64 v[90:93], v64 offset0:51 offset1:52
	ds_read2_b64 v[94:97], v64 offset0:53 offset1:54
	buffer_load_dword v101, off, s[0:3], 0 offset:204
	buffer_load_dword v100, off, s[0:3], 0 offset:200
	;; [unrolled: 1-line block ×9, first 2 shown]
	v_cmp_lt_u32_e32 vcc, 5, v0
	s_waitcnt vmcnt(42) lgkmcnt(7)
	v_mul_f32_e32 v106, v66, v65
	s_waitcnt vmcnt(41)
	v_mul_f32_e32 v110, v68, v114
	s_waitcnt vmcnt(40) lgkmcnt(6)
	v_mul_f32_e32 v111, v70, v116
	s_waitcnt vmcnt(39)
	v_mul_f32_e32 v112, v72, v118
	s_waitcnt vmcnt(38) lgkmcnt(5)
	v_mul_f32_e32 v113, v74, v122
	s_waitcnt vmcnt(37)
	v_mul_f32_e32 v115, v76, v123
	s_waitcnt vmcnt(36) lgkmcnt(4)
	v_mul_f32_e32 v117, v78, v124
	s_waitcnt vmcnt(35)
	v_mul_f32_e32 v119, v80, v125
	s_waitcnt vmcnt(34) lgkmcnt(3)
	v_mul_f32_e32 v120, v82, v126
	s_waitcnt vmcnt(33)
	v_mul_f32_e32 v121, v84, v127
	s_waitcnt vmcnt(32) lgkmcnt(2)
	v_mul_f32_e32 v150, v86, v128
	s_waitcnt vmcnt(31)
	v_mul_f32_e32 v151, v88, v129
	s_waitcnt vmcnt(30) lgkmcnt(1)
	v_mul_f32_e32 v152, v90, v130
	v_mul_f32_e32 v65, v67, v65
	s_waitcnt vmcnt(28)
	v_fmac_f32_e32 v106, v67, v132
	s_waitcnt vmcnt(27)
	v_fmac_f32_e32 v110, v69, v133
	v_add_f32_e32 v106, 0, v106
	s_waitcnt vmcnt(26)
	v_fmac_f32_e32 v111, v71, v134
	v_add_f32_e32 v106, v106, v110
	;; [unrolled: 3-line block ×12, first 2 shown]
	v_add_f32_e32 v115, v106, v152
	buffer_load_dword v111, off, s[0:3], 0 offset:228
	buffer_load_dword v110, off, s[0:3], 0 offset:224
	;; [unrolled: 1-line block ×7, first 2 shown]
	v_fma_f32 v65, v66, v132, -v65
	v_mul_f32_e32 v66, v69, v114
	v_add_f32_e32 v65, 0, v65
	v_fma_f32 v66, v68, v133, -v66
	v_add_f32_e32 v65, v65, v66
	v_mul_f32_e32 v66, v71, v116
	v_fma_f32 v66, v70, v134, -v66
	v_add_f32_e32 v65, v65, v66
	v_mul_f32_e32 v66, v73, v118
	;; [unrolled: 3-line block ×12, first 2 shown]
	s_waitcnt vmcnt(22)
	v_fma_f32 v66, v92, v145, -v66
	v_add_f32_e32 v114, v65, v66
	ds_read2_b64 v[66:69], v64 offset0:55 offset1:56
	ds_read2_b64 v[70:73], v64 offset0:57 offset1:58
	ds_read2_b64 v[74:77], v64 offset0:59 offset1:60
	ds_read2_b64 v[78:81], v64 offset0:61 offset1:62
	s_waitcnt vmcnt(11)
	v_mov_b32_e32 v82, v105
	s_waitcnt lgkmcnt(3)
	v_pk_mul_f32 v[82:83], v[66:67], v[82:83] op_sel_hi:[1,0]
	s_waitcnt vmcnt(10)
	v_pk_fma_f32 v[84:85], v[66:67], v[104:105], v[82:83] op_sel:[0,0,1] op_sel_hi:[1,1,0] neg_lo:[0,0,1] neg_hi:[0,0,1]
	v_pk_fma_f32 v[66:67], v[66:67], v[104:105], v[82:83] op_sel:[0,0,1] op_sel_hi:[1,0,0]
	v_mov_b32_e32 v66, v103
	v_mul_f32_e32 v153, v92, v131
	v_mov_b32_e32 v85, v67
	v_pk_mul_f32 v[66:67], v[68:69], v[66:67] op_sel_hi:[1,0]
	v_fmac_f32_e32 v153, v93, v145
	v_mul_f32_e32 v117, v94, v146
	v_mul_f32_e32 v65, v95, v146
	v_pk_fma_f32 v[82:83], v[68:69], v[102:103], v[66:67] op_sel:[0,0,1] op_sel_hi:[1,1,0] neg_lo:[0,0,1] neg_hi:[0,0,1]
	v_pk_fma_f32 v[66:67], v[68:69], v[102:103], v[66:67] op_sel:[0,0,1] op_sel_hi:[1,0,0]
	v_add_f32_e32 v115, v115, v153
	v_fmac_f32_e32 v117, v95, v147
	v_mul_f32_e32 v119, v96, v148
	v_fma_f32 v116, v94, v147, -v65
	v_mul_f32_e32 v65, v97, v148
	v_mov_b32_e32 v66, v101
	v_fmac_f32_e32 v119, v97, v149
	v_fma_f32 v118, v96, v149, -v65
	v_pk_add_f32 v[64:65], v[114:115], v[116:117]
	v_mov_b32_e32 v83, v67
	s_waitcnt lgkmcnt(2)
	v_pk_mul_f32 v[66:67], v[70:71], v[66:67] op_sel_hi:[1,0]
	v_pk_add_f32 v[64:65], v[64:65], v[118:119]
	v_pk_fma_f32 v[68:69], v[70:71], v[100:101], v[66:67] op_sel:[0,0,1] op_sel_hi:[1,1,0] neg_lo:[0,0,1] neg_hi:[0,0,1]
	v_pk_fma_f32 v[66:67], v[70:71], v[100:101], v[66:67] op_sel:[0,0,1] op_sel_hi:[1,0,0]
	v_pk_add_f32 v[64:65], v[64:65], v[84:85]
	s_waitcnt vmcnt(9)
	v_mov_b32_e32 v66, v107
	v_pk_add_f32 v[64:65], v[64:65], v[82:83]
	v_mov_b32_e32 v69, v67
	v_pk_mul_f32 v[66:67], v[72:73], v[66:67] op_sel_hi:[1,0]
	v_pk_add_f32 v[64:65], v[64:65], v[68:69]
	s_waitcnt vmcnt(2)
	v_pk_fma_f32 v[68:69], v[72:73], v[106:107], v[66:67] op_sel:[0,0,1] op_sel_hi:[1,1,0] neg_lo:[0,0,1] neg_hi:[0,0,1]
	v_pk_fma_f32 v[66:67], v[72:73], v[106:107], v[66:67] op_sel:[0,0,1] op_sel_hi:[1,0,0]
	v_mov_b32_e32 v66, v113
	v_mov_b32_e32 v69, v67
	s_waitcnt lgkmcnt(1)
	v_pk_mul_f32 v[66:67], v[74:75], v[66:67] op_sel_hi:[1,0]
	v_pk_add_f32 v[64:65], v[64:65], v[68:69]
	v_pk_fma_f32 v[68:69], v[74:75], v[112:113], v[66:67] op_sel:[0,0,1] op_sel_hi:[1,1,0] neg_lo:[0,0,1] neg_hi:[0,0,1]
	v_pk_fma_f32 v[66:67], v[74:75], v[112:113], v[66:67] op_sel:[0,0,1] op_sel_hi:[1,0,0]
	v_mov_b32_e32 v66, v111
	v_mov_b32_e32 v69, v67
	v_pk_mul_f32 v[66:67], v[76:77], v[66:67] op_sel_hi:[1,0]
	v_pk_add_f32 v[64:65], v[64:65], v[68:69]
	v_pk_fma_f32 v[68:69], v[76:77], v[110:111], v[66:67] op_sel:[0,0,1] op_sel_hi:[1,1,0] neg_lo:[0,0,1] neg_hi:[0,0,1]
	v_pk_fma_f32 v[66:67], v[76:77], v[110:111], v[66:67] op_sel:[0,0,1] op_sel_hi:[1,0,0]
	v_mov_b32_e32 v66, v109
	v_mov_b32_e32 v69, v67
	s_waitcnt lgkmcnt(0)
	v_pk_mul_f32 v[66:67], v[78:79], v[66:67] op_sel_hi:[1,0]
	v_pk_add_f32 v[64:65], v[64:65], v[68:69]
	v_pk_fma_f32 v[68:69], v[78:79], v[108:109], v[66:67] op_sel:[0,0,1] op_sel_hi:[1,1,0] neg_lo:[0,0,1] neg_hi:[0,0,1]
	v_pk_fma_f32 v[66:67], v[78:79], v[108:109], v[66:67] op_sel:[0,0,1] op_sel_hi:[1,0,0]
	s_waitcnt vmcnt(1)
	v_mov_b32_e32 v66, v121
	v_mov_b32_e32 v69, v67
	v_pk_mul_f32 v[66:67], v[80:81], v[66:67] op_sel_hi:[1,0]
	v_pk_add_f32 v[64:65], v[64:65], v[68:69]
	s_waitcnt vmcnt(0)
	v_pk_fma_f32 v[68:69], v[80:81], v[120:121], v[66:67] op_sel:[0,0,1] op_sel_hi:[1,1,0] neg_lo:[0,0,1] neg_hi:[0,0,1]
	v_pk_fma_f32 v[66:67], v[80:81], v[120:121], v[66:67] op_sel:[0,0,1] op_sel_hi:[1,0,0]
	v_mov_b32_e32 v69, v67
	v_pk_add_f32 v[64:65], v[64:65], v[68:69]
	v_pk_add_f32 v[64:65], v[98:99], v[64:65] neg_lo:[0,1] neg_hi:[0,1]
	buffer_store_dword v65, off, s[0:3], 0 offset:52
	buffer_store_dword v64, off, s[0:3], 0 offset:48
	s_and_saveexec_b64 s[4:5], vcc
	s_cbranch_execz .LBB94_189
; %bb.188:
	buffer_load_dword v64, off, s[0:3], 0 offset:40
	buffer_load_dword v65, off, s[0:3], 0 offset:44
	v_mov_b32_e32 v66, 0
	buffer_store_dword v66, off, s[0:3], 0 offset:40
	buffer_store_dword v66, off, s[0:3], 0 offset:44
	s_waitcnt vmcnt(2)
	ds_write_b64 v1, v[64:65]
.LBB94_189:
	s_or_b64 exec, exec, s[4:5]
	s_waitcnt lgkmcnt(0)
	; wave barrier
	s_waitcnt lgkmcnt(0)
	buffer_load_dword v67, off, s[0:3], 0 offset:52
	buffer_load_dword v120, off, s[0:3], 0 offset:60
	;; [unrolled: 1-line block ×36, first 2 shown]
	v_mov_b32_e32 v66, 0
	buffer_load_dword v109, off, s[0:3], 0 offset:196
	buffer_load_dword v108, off, s[0:3], 0 offset:192
	;; [unrolled: 1-line block ×5, first 2 shown]
	ds_read_b128 v[68:71], v66 offset:304
	ds_read_b128 v[72:75], v66 offset:320
	;; [unrolled: 1-line block ×8, first 2 shown]
	v_cmp_lt_u32_e32 vcc, 4, v0
	s_waitcnt vmcnt(40) lgkmcnt(7)
	v_mul_f32_e32 v100, v68, v67
	s_waitcnt vmcnt(39)
	v_mul_f32_e32 v101, v70, v120
	s_waitcnt vmcnt(38) lgkmcnt(6)
	v_mul_f32_e32 v102, v72, v122
	s_waitcnt vmcnt(37)
	v_mul_f32_e32 v103, v74, v124
	;; [unrolled: 4-line block ×7, first 2 shown]
	s_waitcnt vmcnt(26) lgkmcnt(0)
	v_mul_f32_e32 v121, v96, v140
	s_waitcnt vmcnt(25)
	v_fmac_f32_e32 v100, v69, v141
	s_waitcnt vmcnt(24)
	v_fmac_f32_e32 v101, v71, v142
	v_add_f32_e32 v100, 0, v100
	s_waitcnt vmcnt(23)
	v_fmac_f32_e32 v102, v73, v143
	v_add_f32_e32 v100, v100, v101
	s_waitcnt vmcnt(22)
	v_fmac_f32_e32 v103, v75, v144
	v_add_f32_e32 v100, v100, v102
	s_waitcnt vmcnt(21)
	v_fmac_f32_e32 v104, v77, v145
	v_add_f32_e32 v100, v100, v103
	s_waitcnt vmcnt(20)
	v_fmac_f32_e32 v105, v79, v146
	v_add_f32_e32 v100, v100, v104
	s_waitcnt vmcnt(19)
	v_fmac_f32_e32 v106, v81, v147
	v_add_f32_e32 v100, v100, v105
	s_waitcnt vmcnt(18)
	v_fmac_f32_e32 v107, v83, v148
	v_add_f32_e32 v100, v100, v106
	s_waitcnt vmcnt(17)
	v_fmac_f32_e32 v112, v85, v149
	v_add_f32_e32 v100, v100, v107
	s_waitcnt vmcnt(16)
	v_fmac_f32_e32 v114, v87, v150
	v_add_f32_e32 v100, v100, v112
	s_waitcnt vmcnt(15)
	v_fmac_f32_e32 v115, v89, v151
	v_add_f32_e32 v100, v100, v114
	s_waitcnt vmcnt(14)
	v_fmac_f32_e32 v116, v91, v152
	v_add_f32_e32 v100, v100, v115
	s_waitcnt vmcnt(13)
	v_fmac_f32_e32 v117, v93, v153
	v_add_f32_e32 v100, v100, v116
	s_waitcnt vmcnt(12)
	v_fmac_f32_e32 v118, v95, v154
	v_add_f32_e32 v100, v100, v117
	v_add_f32_e32 v104, v100, v118
	buffer_load_dword v115, off, s[0:3], 0 offset:228
	buffer_load_dword v114, off, s[0:3], 0 offset:224
	;; [unrolled: 1-line block ×7, first 2 shown]
	s_waitcnt vmcnt(18)
	v_fmac_f32_e32 v121, v97, v155
	ds_read_b128 v[100:103], v66 offset:432
	v_add_f32_e32 v121, v104, v121
	ds_read_b128 v[104:107], v66 offset:448
	buffer_load_dword v127, off, s[0:3], 0 offset:244
	buffer_load_dword v126, off, s[0:3], 0 offset:240
	;; [unrolled: 1-line block ×4, first 2 shown]
	v_mul_f32_e32 v67, v69, v67
	v_fma_f32 v67, v68, v141, -v67
	v_mul_f32_e32 v68, v71, v120
	v_add_f32_e32 v67, 0, v67
	v_fma_f32 v68, v70, v142, -v68
	v_add_f32_e32 v67, v67, v68
	v_mul_f32_e32 v68, v73, v122
	v_fma_f32 v68, v72, v143, -v68
	v_add_f32_e32 v67, v67, v68
	v_mul_f32_e32 v68, v75, v124
	;; [unrolled: 3-line block ×13, first 2 shown]
	v_fma_f32 v68, v96, v155, -v68
	s_waitcnt vmcnt(13)
	v_mov_b32_e32 v80, v111
	v_mul_f32_e32 v123, v98, v156
	v_add_f32_e32 v120, v67, v68
	v_mul_f32_e32 v67, v99, v156
	s_waitcnt lgkmcnt(1)
	v_pk_mul_f32 v[80:81], v[102:103], v[80:81] op_sel_hi:[1,0]
	v_fmac_f32_e32 v123, v99, v157
	v_mul_f32_e32 v125, v100, v158
	v_fma_f32 v122, v98, v157, -v67
	v_mul_f32_e32 v67, v101, v158
	s_waitcnt vmcnt(12)
	v_pk_fma_f32 v[82:83], v[102:103], v[110:111], v[80:81] op_sel:[0,0,1] op_sel_hi:[1,1,0] neg_lo:[0,0,1] neg_hi:[0,0,1]
	v_pk_fma_f32 v[80:81], v[102:103], v[110:111], v[80:81] op_sel:[0,0,1] op_sel_hi:[1,0,0]
	v_fmac_f32_e32 v125, v101, v159
	v_fma_f32 v124, v100, v159, -v67
	v_pk_add_f32 v[78:79], v[120:121], v[122:123]
	v_mov_b32_e32 v80, v109
	v_pk_add_f32 v[78:79], v[78:79], v[124:125]
	v_mov_b32_e32 v83, v81
	s_waitcnt lgkmcnt(0)
	v_pk_mul_f32 v[80:81], v[104:105], v[80:81] op_sel_hi:[1,0]
	v_pk_add_f32 v[78:79], v[78:79], v[82:83]
	v_pk_fma_f32 v[82:83], v[104:105], v[108:109], v[80:81] op_sel:[0,0,1] op_sel_hi:[1,1,0] neg_lo:[0,0,1] neg_hi:[0,0,1]
	v_pk_fma_f32 v[80:81], v[104:105], v[108:109], v[80:81] op_sel:[0,0,1] op_sel_hi:[1,0,0]
	s_waitcnt vmcnt(11)
	v_mov_b32_e32 v80, v113
	ds_read_b128 v[68:71], v66 offset:464
	ds_read_b128 v[72:75], v66 offset:480
	ds_read_b64 v[76:77], v66 offset:496
	v_mov_b32_e32 v83, v81
	v_pk_mul_f32 v[80:81], v[106:107], v[80:81] op_sel_hi:[1,0]
	v_pk_add_f32 v[78:79], v[78:79], v[82:83]
	s_waitcnt vmcnt(4)
	v_pk_fma_f32 v[82:83], v[106:107], v[112:113], v[80:81] op_sel:[0,0,1] op_sel_hi:[1,1,0] neg_lo:[0,0,1] neg_hi:[0,0,1]
	v_pk_fma_f32 v[80:81], v[106:107], v[112:113], v[80:81] op_sel:[0,0,1] op_sel_hi:[1,0,0]
	v_mov_b32_e32 v80, v119
	v_mov_b32_e32 v83, v81
	s_waitcnt lgkmcnt(2)
	v_pk_mul_f32 v[80:81], v[68:69], v[80:81] op_sel_hi:[1,0]
	v_pk_add_f32 v[78:79], v[78:79], v[82:83]
	v_pk_fma_f32 v[82:83], v[68:69], v[118:119], v[80:81] op_sel:[0,0,1] op_sel_hi:[1,1,0] neg_lo:[0,0,1] neg_hi:[0,0,1]
	v_pk_fma_f32 v[68:69], v[68:69], v[118:119], v[80:81] op_sel:[0,0,1] op_sel_hi:[1,0,0]
	v_mov_b32_e32 v83, v69
	v_pk_add_f32 v[68:69], v[78:79], v[82:83]
	v_mov_b32_e32 v78, v117
	v_pk_mul_f32 v[78:79], v[70:71], v[78:79] op_sel_hi:[1,0]
	v_pk_fma_f32 v[80:81], v[70:71], v[116:117], v[78:79] op_sel:[0,0,1] op_sel_hi:[1,1,0] neg_lo:[0,0,1] neg_hi:[0,0,1]
	v_pk_fma_f32 v[70:71], v[70:71], v[116:117], v[78:79] op_sel:[0,0,1] op_sel_hi:[1,0,0]
	v_mov_b32_e32 v70, v115
	v_mov_b32_e32 v81, v71
	s_waitcnt lgkmcnt(1)
	v_pk_mul_f32 v[70:71], v[72:73], v[70:71] op_sel_hi:[1,0]
	v_pk_fma_f32 v[78:79], v[72:73], v[114:115], v[70:71] op_sel:[0,0,1] op_sel_hi:[1,1,0] neg_lo:[0,0,1] neg_hi:[0,0,1]
	v_pk_fma_f32 v[70:71], v[72:73], v[114:115], v[70:71] op_sel:[0,0,1] op_sel_hi:[1,0,0]
	s_waitcnt vmcnt(1)
	v_mov_b32_e32 v70, v129
	v_mov_b32_e32 v79, v71
	v_pk_mul_f32 v[70:71], v[74:75], v[70:71] op_sel_hi:[1,0]
	s_waitcnt vmcnt(0)
	v_pk_fma_f32 v[72:73], v[74:75], v[128:129], v[70:71] op_sel:[0,0,1] op_sel_hi:[1,1,0] neg_lo:[0,0,1] neg_hi:[0,0,1]
	v_pk_fma_f32 v[70:71], v[74:75], v[128:129], v[70:71] op_sel:[0,0,1] op_sel_hi:[1,0,0]
	v_pk_add_f32 v[68:69], v[68:69], v[80:81]
	v_mov_b32_e32 v70, v127
	v_pk_add_f32 v[68:69], v[68:69], v[78:79]
	v_mov_b32_e32 v73, v71
	s_waitcnt lgkmcnt(0)
	v_pk_mul_f32 v[70:71], v[76:77], v[70:71] op_sel_hi:[1,0]
	v_pk_add_f32 v[68:69], v[68:69], v[72:73]
	v_pk_fma_f32 v[72:73], v[76:77], v[126:127], v[70:71] op_sel:[0,0,1] op_sel_hi:[1,1,0] neg_lo:[0,0,1] neg_hi:[0,0,1]
	v_pk_fma_f32 v[70:71], v[76:77], v[126:127], v[70:71] op_sel:[0,0,1] op_sel_hi:[1,0,0]
	v_mov_b32_e32 v73, v71
	v_pk_add_f32 v[68:69], v[68:69], v[72:73]
	v_pk_add_f32 v[64:65], v[64:65], v[68:69] neg_lo:[0,1] neg_hi:[0,1]
	buffer_store_dword v65, off, s[0:3], 0 offset:44
	buffer_store_dword v64, off, s[0:3], 0 offset:40
	s_and_saveexec_b64 s[4:5], vcc
	s_cbranch_execz .LBB94_191
; %bb.190:
	buffer_load_dword v64, off, s[0:3], 0 offset:32
	buffer_load_dword v65, off, s[0:3], 0 offset:36
	s_waitcnt vmcnt(0)
	ds_write_b64 v1, v[64:65]
	buffer_store_dword v66, off, s[0:3], 0 offset:32
	buffer_store_dword v66, off, s[0:3], 0 offset:36
.LBB94_191:
	s_or_b64 exec, exec, s[4:5]
	s_waitcnt lgkmcnt(0)
	; wave barrier
	s_waitcnt lgkmcnt(0)
	buffer_load_dword v64, off, s[0:3], 0 offset:44
	buffer_load_dword v65, off, s[0:3], 0 offset:52
	;; [unrolled: 1-line block ×38, first 2 shown]
	ds_read2_b64 v[68:71], v66 offset0:37 offset1:38
	ds_read2_b64 v[72:75], v66 offset0:39 offset1:40
	;; [unrolled: 1-line block ×8, first 2 shown]
	buffer_load_dword v111, off, s[0:3], 0 offset:188
	buffer_load_dword v110, off, s[0:3], 0 offset:184
	;; [unrolled: 1-line block ×4, first 2 shown]
	v_cmp_lt_u32_e32 vcc, 3, v0
	s_waitcnt vmcnt(41) lgkmcnt(7)
	v_mul_f32_e32 v100, v68, v64
	s_waitcnt vmcnt(40)
	v_mul_f32_e32 v101, v70, v65
	s_waitcnt vmcnt(39) lgkmcnt(6)
	v_mul_f32_e32 v102, v72, v67
	s_waitcnt vmcnt(38)
	v_mul_f32_e32 v103, v74, v120
	;; [unrolled: 4-line block ×7, first 2 shown]
	s_waitcnt vmcnt(27) lgkmcnt(0)
	v_mul_f32_e32 v121, v96, v140
	s_waitcnt vmcnt(26)
	v_fmac_f32_e32 v100, v69, v141
	s_waitcnt vmcnt(25)
	v_fmac_f32_e32 v101, v71, v142
	v_add_f32_e32 v100, 0, v100
	s_waitcnt vmcnt(24)
	v_fmac_f32_e32 v102, v73, v143
	v_add_f32_e32 v100, v100, v101
	;; [unrolled: 3-line block ×13, first 2 shown]
	v_add_f32_e32 v100, v100, v119
	buffer_load_dword v115, off, s[0:3], 0 offset:212
	buffer_load_dword v114, off, s[0:3], 0 offset:208
	;; [unrolled: 1-line block ×6, first 2 shown]
	s_waitcnt vmcnt(18)
	v_fmac_f32_e32 v121, v97, v155
	s_waitcnt vmcnt(17)
	v_mul_f32_e32 v105, v98, v156
	v_add_f32_e32 v104, v100, v121
	s_waitcnt vmcnt(16)
	v_fmac_f32_e32 v105, v99, v157
	ds_read2_b64 v[100:103], v66 offset0:53 offset1:54
	v_add_f32_e32 v121, v104, v105
	ds_read2_b64 v[104:107], v66 offset0:55 offset1:56
	buffer_load_dword v127, off, s[0:3], 0 offset:244
	buffer_load_dword v126, off, s[0:3], 0 offset:240
	;; [unrolled: 1-line block ×6, first 2 shown]
	v_mul_f32_e32 v64, v69, v64
	v_fma_f32 v64, v68, v141, -v64
	v_mul_f32_e32 v65, v71, v65
	v_add_f32_e32 v64, 0, v64
	v_fma_f32 v65, v70, v142, -v65
	v_add_f32_e32 v64, v64, v65
	v_mul_f32_e32 v65, v73, v67
	v_fma_f32 v65, v72, v143, -v65
	v_add_f32_e32 v64, v64, v65
	v_mul_f32_e32 v65, v75, v120
	;; [unrolled: 3-line block ×14, first 2 shown]
	v_fma_f32 v65, v98, v157, -v65
	s_waitcnt vmcnt(15)
	v_mov_b32_e32 v78, v111
	s_waitcnt lgkmcnt(1)
	v_mul_f32_e32 v123, v100, v158
	v_add_f32_e32 v120, v64, v65
	v_mul_f32_e32 v64, v101, v158
	s_waitcnt lgkmcnt(0)
	v_pk_mul_f32 v[78:79], v[104:105], v[78:79] op_sel_hi:[1,0]
	v_fmac_f32_e32 v123, v101, v159
	v_mul_f32_e32 v125, v102, v160
	v_fma_f32 v122, v100, v159, -v64
	v_mul_f32_e32 v64, v103, v160
	s_waitcnt vmcnt(14)
	v_pk_fma_f32 v[80:81], v[104:105], v[110:111], v[78:79] op_sel:[0,0,1] op_sel_hi:[1,1,0] neg_lo:[0,0,1] neg_hi:[0,0,1]
	v_pk_fma_f32 v[78:79], v[104:105], v[110:111], v[78:79] op_sel:[0,0,1] op_sel_hi:[1,0,0]
	v_fmac_f32_e32 v125, v103, v161
	v_fma_f32 v124, v102, v161, -v64
	v_pk_add_f32 v[76:77], v[120:121], v[122:123]
	ds_read2_b64 v[68:71], v66 offset0:57 offset1:58
	ds_read2_b64 v[72:75], v66 offset0:59 offset1:60
	;; [unrolled: 1-line block ×3, first 2 shown]
	v_pk_add_f32 v[76:77], v[76:77], v[124:125]
	v_mov_b32_e32 v81, v79
	v_pk_add_f32 v[76:77], v[76:77], v[80:81]
	s_waitcnt vmcnt(7)
	v_mov_b32_e32 v78, v119
	v_pk_mul_f32 v[78:79], v[106:107], v[78:79] op_sel_hi:[1,0]
	s_waitcnt vmcnt(6)
	v_pk_fma_f32 v[80:81], v[106:107], v[118:119], v[78:79] op_sel:[0,0,1] op_sel_hi:[1,1,0] neg_lo:[0,0,1] neg_hi:[0,0,1]
	v_pk_fma_f32 v[78:79], v[106:107], v[118:119], v[78:79] op_sel:[0,0,1] op_sel_hi:[1,0,0]
	v_mov_b32_e32 v78, v117
	v_mov_b32_e32 v81, v79
	s_waitcnt lgkmcnt(2)
	v_pk_mul_f32 v[78:79], v[68:69], v[78:79] op_sel_hi:[1,0]
	v_pk_add_f32 v[76:77], v[76:77], v[80:81]
	v_pk_fma_f32 v[80:81], v[68:69], v[116:117], v[78:79] op_sel:[0,0,1] op_sel_hi:[1,1,0] neg_lo:[0,0,1] neg_hi:[0,0,1]
	v_pk_fma_f32 v[68:69], v[68:69], v[116:117], v[78:79] op_sel:[0,0,1] op_sel_hi:[1,0,0]
	v_mov_b32_e32 v81, v69
	v_pk_add_f32 v[68:69], v[76:77], v[80:81]
	v_mov_b32_e32 v76, v115
	v_pk_mul_f32 v[76:77], v[70:71], v[76:77] op_sel_hi:[1,0]
	v_pk_fma_f32 v[78:79], v[70:71], v[114:115], v[76:77] op_sel:[0,0,1] op_sel_hi:[1,1,0] neg_lo:[0,0,1] neg_hi:[0,0,1]
	v_pk_fma_f32 v[70:71], v[70:71], v[114:115], v[76:77] op_sel:[0,0,1] op_sel_hi:[1,0,0]
	v_mov_b32_e32 v70, v113
	v_mov_b32_e32 v79, v71
	s_waitcnt lgkmcnt(1)
	v_pk_mul_f32 v[70:71], v[72:73], v[70:71] op_sel_hi:[1,0]
	v_pk_fma_f32 v[76:77], v[72:73], v[112:113], v[70:71] op_sel:[0,0,1] op_sel_hi:[1,1,0] neg_lo:[0,0,1] neg_hi:[0,0,1]
	v_pk_fma_f32 v[70:71], v[72:73], v[112:113], v[70:71] op_sel:[0,0,1] op_sel_hi:[1,0,0]
	s_waitcnt vmcnt(1)
	v_mov_b32_e32 v70, v131
	v_mov_b32_e32 v77, v71
	v_pk_mul_f32 v[70:71], v[74:75], v[70:71] op_sel_hi:[1,0]
	s_waitcnt vmcnt(0)
	v_pk_fma_f32 v[72:73], v[74:75], v[130:131], v[70:71] op_sel:[0,0,1] op_sel_hi:[1,1,0] neg_lo:[0,0,1] neg_hi:[0,0,1]
	v_pk_fma_f32 v[70:71], v[74:75], v[130:131], v[70:71] op_sel:[0,0,1] op_sel_hi:[1,0,0]
	v_pk_add_f32 v[68:69], v[68:69], v[78:79]
	v_mov_b32_e32 v70, v129
	v_pk_add_f32 v[68:69], v[68:69], v[76:77]
	v_mov_b32_e32 v73, v71
	s_waitcnt lgkmcnt(0)
	v_pk_mul_f32 v[70:71], v[64:65], v[70:71] op_sel_hi:[1,0]
	v_pk_add_f32 v[68:69], v[68:69], v[72:73]
	v_pk_fma_f32 v[72:73], v[64:65], v[128:129], v[70:71] op_sel:[0,0,1] op_sel_hi:[1,1,0] neg_lo:[0,0,1] neg_hi:[0,0,1]
	v_pk_fma_f32 v[64:65], v[64:65], v[128:129], v[70:71] op_sel:[0,0,1] op_sel_hi:[1,0,0]
	v_mov_b32_e32 v73, v65
	v_pk_add_f32 v[64:65], v[68:69], v[72:73]
	v_mov_b32_e32 v68, v127
	v_pk_mul_f32 v[68:69], v[66:67], v[68:69] op_sel_hi:[1,0]
	v_pk_fma_f32 v[70:71], v[66:67], v[126:127], v[68:69] op_sel:[0,0,1] op_sel_hi:[1,1,0] neg_lo:[0,0,1] neg_hi:[0,0,1]
	v_pk_fma_f32 v[66:67], v[66:67], v[126:127], v[68:69] op_sel:[0,0,1] op_sel_hi:[1,0,0]
	v_mov_b32_e32 v71, v67
	v_pk_add_f32 v[64:65], v[64:65], v[70:71]
	v_pk_add_f32 v[64:65], v[108:109], v[64:65] neg_lo:[0,1] neg_hi:[0,1]
	buffer_store_dword v65, off, s[0:3], 0 offset:36
	buffer_store_dword v64, off, s[0:3], 0 offset:32
	s_and_saveexec_b64 s[4:5], vcc
	s_cbranch_execz .LBB94_193
; %bb.192:
	buffer_load_dword v64, off, s[0:3], 0 offset:24
	buffer_load_dword v65, off, s[0:3], 0 offset:28
	v_mov_b32_e32 v66, 0
	buffer_store_dword v66, off, s[0:3], 0 offset:24
	buffer_store_dword v66, off, s[0:3], 0 offset:28
	s_waitcnt vmcnt(2)
	ds_write_b64 v1, v[64:65]
.LBB94_193:
	s_or_b64 exec, exec, s[4:5]
	s_waitcnt lgkmcnt(0)
	; wave barrier
	s_waitcnt lgkmcnt(0)
	buffer_load_dword v67, off, s[0:3], 0 offset:36
	buffer_load_dword v116, off, s[0:3], 0 offset:44
	;; [unrolled: 1-line block ×40, first 2 shown]
	v_mov_b32_e32 v66, 0
	ds_read_b128 v[68:71], v66 offset:288
	ds_read_b128 v[72:75], v66 offset:304
	;; [unrolled: 1-line block ×8, first 2 shown]
	v_cmp_lt_u32_e32 vcc, 2, v0
	s_waitcnt vmcnt(39) lgkmcnt(7)
	v_mul_f32_e32 v100, v68, v67
	s_waitcnt vmcnt(38)
	v_mul_f32_e32 v101, v70, v116
	s_waitcnt vmcnt(37) lgkmcnt(6)
	v_mul_f32_e32 v102, v72, v118
	s_waitcnt vmcnt(36)
	v_mul_f32_e32 v103, v74, v120
	s_waitcnt vmcnt(35) lgkmcnt(5)
	v_mul_f32_e32 v104, v76, v130
	s_waitcnt vmcnt(34)
	v_mul_f32_e32 v105, v78, v131
	s_waitcnt vmcnt(33) lgkmcnt(4)
	v_mul_f32_e32 v106, v80, v132
	s_waitcnt vmcnt(32)
	v_mul_f32_e32 v107, v82, v133
	s_waitcnt vmcnt(31) lgkmcnt(3)
	v_mul_f32_e32 v108, v84, v134
	s_waitcnt vmcnt(30)
	v_mul_f32_e32 v109, v86, v135
	s_waitcnt vmcnt(29) lgkmcnt(2)
	v_mul_f32_e32 v110, v88, v136
	s_waitcnt vmcnt(28)
	v_mul_f32_e32 v111, v90, v137
	s_waitcnt vmcnt(27) lgkmcnt(1)
	v_mul_f32_e32 v112, v92, v138
	s_waitcnt vmcnt(26)
	v_mul_f32_e32 v113, v94, v139
	s_waitcnt vmcnt(25) lgkmcnt(0)
	v_mul_f32_e32 v114, v96, v140
	s_waitcnt vmcnt(24)
	v_mul_f32_e32 v115, v98, v141
	s_waitcnt vmcnt(23)
	v_fmac_f32_e32 v100, v69, v142
	s_waitcnt vmcnt(22)
	v_fmac_f32_e32 v101, v71, v143
	v_add_f32_e32 v100, 0, v100
	s_waitcnt vmcnt(21)
	v_fmac_f32_e32 v102, v73, v144
	v_add_f32_e32 v100, v100, v101
	;; [unrolled: 3-line block ×14, first 2 shown]
	v_add_f32_e32 v100, v100, v114
	s_waitcnt vmcnt(8)
	v_fmac_f32_e32 v115, v99, v157
	v_add_f32_e32 v117, v100, v115
	ds_read_b128 v[100:103], v66 offset:416
	buffer_load_dword v109, off, s[0:3], 0 offset:188
	buffer_load_dword v111, off, s[0:3], 0 offset:212
	;; [unrolled: 1-line block ×8, first 2 shown]
	ds_read_b128 v[104:107], v66 offset:432
	buffer_load_dword v123, off, s[0:3], 0 offset:244
	buffer_load_dword v122, off, s[0:3], 0 offset:240
	;; [unrolled: 1-line block ×8, first 2 shown]
	v_mul_f32_e32 v67, v69, v67
	v_fma_f32 v67, v68, v142, -v67
	v_mul_f32_e32 v68, v71, v116
	v_add_f32_e32 v67, 0, v67
	v_fma_f32 v68, v70, v143, -v68
	v_add_f32_e32 v67, v67, v68
	v_mul_f32_e32 v68, v73, v118
	v_fma_f32 v68, v72, v144, -v68
	v_add_f32_e32 v67, v67, v68
	v_mul_f32_e32 v68, v75, v120
	;; [unrolled: 3-line block ×14, first 2 shown]
	v_fma_f32 v68, v98, v157, -v68
	s_waitcnt vmcnt(23) lgkmcnt(1)
	v_mul_f32_e32 v119, v100, v158
	v_add_f32_e32 v67, v67, v68
	v_mul_f32_e32 v68, v101, v158
	s_waitcnt vmcnt(22)
	v_fmac_f32_e32 v119, v101, v159
	v_fma_f32 v68, v100, v159, -v68
	v_add_f32_e32 v117, v117, v119
	s_waitcnt vmcnt(21)
	v_mul_f32_e32 v119, v102, v160
	v_add_f32_e32 v116, v67, v68
	v_mul_f32_e32 v67, v103, v160
	s_waitcnt vmcnt(20)
	v_fmac_f32_e32 v119, v103, v161
	s_waitcnt vmcnt(19) lgkmcnt(0)
	v_mul_f32_e32 v121, v104, v162
	v_fma_f32 v118, v102, v161, -v67
	v_mul_f32_e32 v67, v105, v162
	ds_read_b128 v[68:71], v66 offset:448
	ds_read_b128 v[72:75], v66 offset:464
	;; [unrolled: 1-line block ×3, first 2 shown]
	ds_read_b64 v[80:81], v66 offset:496
	s_waitcnt vmcnt(18)
	v_fmac_f32_e32 v121, v105, v163
	v_fma_f32 v120, v104, v163, -v67
	v_pk_add_f32 v[82:83], v[116:117], v[118:119]
	v_pk_add_f32 v[82:83], v[82:83], v[120:121]
	s_waitcnt vmcnt(15)
	v_mov_b32_e32 v84, v109
	v_pk_mul_f32 v[84:85], v[106:107], v[84:85] op_sel_hi:[1,0]
	s_waitcnt vmcnt(8)
	v_pk_fma_f32 v[86:87], v[106:107], v[108:109], v[84:85] op_sel:[0,0,1] op_sel_hi:[1,1,0] neg_lo:[0,0,1] neg_hi:[0,0,1]
	v_pk_fma_f32 v[84:85], v[106:107], v[108:109], v[84:85] op_sel:[0,0,1] op_sel_hi:[1,0,0]
	v_mov_b32_e32 v84, v115
	v_mov_b32_e32 v87, v85
	s_waitcnt lgkmcnt(3)
	v_pk_mul_f32 v[84:85], v[68:69], v[84:85] op_sel_hi:[1,0]
	v_pk_add_f32 v[82:83], v[82:83], v[86:87]
	v_pk_fma_f32 v[86:87], v[68:69], v[114:115], v[84:85] op_sel:[0,0,1] op_sel_hi:[1,1,0] neg_lo:[0,0,1] neg_hi:[0,0,1]
	v_pk_fma_f32 v[68:69], v[68:69], v[114:115], v[84:85] op_sel:[0,0,1] op_sel_hi:[1,0,0]
	v_mov_b32_e32 v87, v69
	v_pk_add_f32 v[68:69], v[82:83], v[86:87]
	v_mov_b32_e32 v82, v113
	v_pk_mul_f32 v[82:83], v[70:71], v[82:83] op_sel_hi:[1,0]
	v_pk_fma_f32 v[84:85], v[70:71], v[112:113], v[82:83] op_sel:[0,0,1] op_sel_hi:[1,1,0] neg_lo:[0,0,1] neg_hi:[0,0,1]
	v_pk_fma_f32 v[70:71], v[70:71], v[112:113], v[82:83] op_sel:[0,0,1] op_sel_hi:[1,0,0]
	v_mov_b32_e32 v70, v111
	v_mov_b32_e32 v85, v71
	s_waitcnt lgkmcnt(2)
	v_pk_mul_f32 v[70:71], v[72:73], v[70:71] op_sel_hi:[1,0]
	v_pk_fma_f32 v[82:83], v[72:73], v[110:111], v[70:71] op_sel:[0,0,1] op_sel_hi:[1,1,0] neg_lo:[0,0,1] neg_hi:[0,0,1]
	v_pk_fma_f32 v[70:71], v[72:73], v[110:111], v[70:71] op_sel:[0,0,1] op_sel_hi:[1,0,0]
	s_waitcnt vmcnt(1)
	v_mov_b32_e32 v70, v129
	v_mov_b32_e32 v83, v71
	v_pk_mul_f32 v[70:71], v[74:75], v[70:71] op_sel_hi:[1,0]
	s_waitcnt vmcnt(0)
	v_pk_fma_f32 v[72:73], v[74:75], v[128:129], v[70:71] op_sel:[0,0,1] op_sel_hi:[1,1,0] neg_lo:[0,0,1] neg_hi:[0,0,1]
	v_pk_fma_f32 v[70:71], v[74:75], v[128:129], v[70:71] op_sel:[0,0,1] op_sel_hi:[1,0,0]
	v_pk_add_f32 v[68:69], v[68:69], v[84:85]
	v_mov_b32_e32 v70, v127
	v_pk_add_f32 v[68:69], v[68:69], v[82:83]
	v_mov_b32_e32 v73, v71
	s_waitcnt lgkmcnt(1)
	v_pk_mul_f32 v[70:71], v[76:77], v[70:71] op_sel_hi:[1,0]
	v_pk_add_f32 v[68:69], v[68:69], v[72:73]
	v_pk_fma_f32 v[72:73], v[76:77], v[126:127], v[70:71] op_sel:[0,0,1] op_sel_hi:[1,1,0] neg_lo:[0,0,1] neg_hi:[0,0,1]
	v_pk_fma_f32 v[70:71], v[76:77], v[126:127], v[70:71] op_sel:[0,0,1] op_sel_hi:[1,0,0]
	v_mov_b32_e32 v70, v125
	v_mov_b32_e32 v73, v71
	v_pk_mul_f32 v[70:71], v[78:79], v[70:71] op_sel_hi:[1,0]
	v_pk_add_f32 v[68:69], v[68:69], v[72:73]
	v_pk_fma_f32 v[72:73], v[78:79], v[124:125], v[70:71] op_sel:[0,0,1] op_sel_hi:[1,1,0] neg_lo:[0,0,1] neg_hi:[0,0,1]
	v_pk_fma_f32 v[70:71], v[78:79], v[124:125], v[70:71] op_sel:[0,0,1] op_sel_hi:[1,0,0]
	v_mov_b32_e32 v70, v123
	v_mov_b32_e32 v73, v71
	s_waitcnt lgkmcnt(0)
	v_pk_mul_f32 v[70:71], v[80:81], v[70:71] op_sel_hi:[1,0]
	v_pk_add_f32 v[68:69], v[68:69], v[72:73]
	v_pk_fma_f32 v[72:73], v[80:81], v[122:123], v[70:71] op_sel:[0,0,1] op_sel_hi:[1,1,0] neg_lo:[0,0,1] neg_hi:[0,0,1]
	v_pk_fma_f32 v[70:71], v[80:81], v[122:123], v[70:71] op_sel:[0,0,1] op_sel_hi:[1,0,0]
	v_mov_b32_e32 v73, v71
	v_pk_add_f32 v[68:69], v[68:69], v[72:73]
	v_pk_add_f32 v[64:65], v[64:65], v[68:69] neg_lo:[0,1] neg_hi:[0,1]
	buffer_store_dword v65, off, s[0:3], 0 offset:28
	buffer_store_dword v64, off, s[0:3], 0 offset:24
	s_and_saveexec_b64 s[4:5], vcc
	s_cbranch_execz .LBB94_195
; %bb.194:
	buffer_load_dword v64, off, s[0:3], 0 offset:16
	buffer_load_dword v65, off, s[0:3], 0 offset:20
	s_waitcnt vmcnt(0)
	ds_write_b64 v1, v[64:65]
	buffer_store_dword v66, off, s[0:3], 0 offset:16
	buffer_store_dword v66, off, s[0:3], 0 offset:20
.LBB94_195:
	s_or_b64 exec, exec, s[4:5]
	s_waitcnt lgkmcnt(0)
	; wave barrier
	s_waitcnt lgkmcnt(0)
	buffer_load_dword v67, off, s[0:3], 0 offset:28
	buffer_load_dword v108, off, s[0:3], 0 offset:36
	;; [unrolled: 1-line block ×42, first 2 shown]
	ds_read2_b64 v[68:71], v66 offset0:35 offset1:36
	ds_read2_b64 v[72:75], v66 offset0:37 offset1:38
	;; [unrolled: 1-line block ×8, first 2 shown]
	v_cmp_lt_u32_e32 vcc, 1, v0
	s_waitcnt vmcnt(41) lgkmcnt(7)
	v_mul_f32_e32 v100, v68, v67
	s_waitcnt vmcnt(40)
	v_mul_f32_e32 v101, v70, v108
	s_waitcnt vmcnt(39) lgkmcnt(6)
	v_mul_f32_e32 v102, v72, v110
	s_waitcnt vmcnt(38)
	v_mul_f32_e32 v103, v74, v118
	s_waitcnt vmcnt(37) lgkmcnt(5)
	v_mul_f32_e32 v104, v76, v130
	s_waitcnt vmcnt(36)
	v_mul_f32_e32 v105, v78, v131
	s_waitcnt vmcnt(35) lgkmcnt(4)
	v_mul_f32_e32 v106, v80, v132
	s_waitcnt vmcnt(34)
	v_mul_f32_e32 v107, v82, v133
	s_waitcnt vmcnt(33) lgkmcnt(3)
	v_mul_f32_e32 v109, v84, v134
	s_waitcnt vmcnt(32)
	v_mul_f32_e32 v111, v86, v135
	s_waitcnt vmcnt(31) lgkmcnt(2)
	v_mul_f32_e32 v112, v88, v136
	s_waitcnt vmcnt(30)
	v_mul_f32_e32 v113, v90, v137
	s_waitcnt vmcnt(29) lgkmcnt(1)
	v_mul_f32_e32 v114, v92, v138
	s_waitcnt vmcnt(28)
	v_mul_f32_e32 v115, v94, v139
	s_waitcnt vmcnt(27) lgkmcnt(0)
	v_mul_f32_e32 v116, v96, v140
	s_waitcnt vmcnt(26)
	v_fmac_f32_e32 v100, v69, v141
	s_waitcnt vmcnt(25)
	v_fmac_f32_e32 v101, v71, v142
	v_add_f32_e32 v100, 0, v100
	s_waitcnt vmcnt(24)
	v_fmac_f32_e32 v102, v73, v143
	v_add_f32_e32 v100, v100, v101
	;; [unrolled: 3-line block ×14, first 2 shown]
	s_waitcnt vmcnt(11)
	v_mul_f32_e32 v105, v98, v156
	v_add_f32_e32 v104, v100, v116
	s_waitcnt vmcnt(10)
	v_fmac_f32_e32 v105, v99, v157
	ds_read2_b64 v[100:103], v66 offset0:51 offset1:52
	v_add_f32_e32 v109, v104, v105
	ds_read2_b64 v[104:107], v66 offset0:53 offset1:54
	buffer_load_dword v113, off, s[0:3], 0 offset:188
	buffer_load_dword v115, off, s[0:3], 0 offset:204
	;; [unrolled: 1-line block ×16, first 2 shown]
	v_mul_f32_e32 v67, v69, v67
	v_fma_f32 v67, v68, v141, -v67
	v_mul_f32_e32 v68, v71, v108
	v_add_f32_e32 v67, 0, v67
	v_fma_f32 v68, v70, v142, -v68
	v_add_f32_e32 v67, v67, v68
	v_mul_f32_e32 v68, v73, v110
	v_fma_f32 v68, v72, v143, -v68
	v_add_f32_e32 v67, v67, v68
	v_mul_f32_e32 v68, v75, v118
	;; [unrolled: 3-line block ×14, first 2 shown]
	v_fma_f32 v68, v98, v157, -v68
	v_add_f32_e32 v67, v67, v68
	s_waitcnt vmcnt(25) lgkmcnt(1)
	v_mul_f32_e32 v68, v101, v158
	s_waitcnt vmcnt(24)
	v_fma_f32 v68, v100, v159, -v68
	v_add_f32_e32 v67, v67, v68
	s_waitcnt vmcnt(23)
	v_mul_f32_e32 v68, v103, v160
	s_waitcnt vmcnt(22)
	v_fma_f32 v68, v102, v161, -v68
	v_add_f32_e32 v108, v67, v68
	ds_read2_b64 v[68:71], v66 offset0:55 offset1:56
	ds_read2_b64 v[72:75], v66 offset0:57 offset1:58
	;; [unrolled: 1-line block ×4, first 2 shown]
	v_mul_f32_e32 v111, v100, v158
	v_fmac_f32_e32 v111, v101, v159
	v_add_f32_e32 v109, v109, v111
	v_mul_f32_e32 v111, v102, v160
	v_fmac_f32_e32 v111, v103, v161
	v_add_f32_e32 v109, v109, v111
	s_waitcnt vmcnt(21) lgkmcnt(4)
	v_mul_f32_e32 v111, v104, v162
	v_mul_f32_e32 v67, v105, v162
	s_waitcnt vmcnt(20)
	v_fmac_f32_e32 v111, v105, v163
	s_waitcnt vmcnt(19)
	v_mul_f32_e32 v119, v106, v164
	v_fma_f32 v110, v104, v163, -v67
	v_mul_f32_e32 v67, v107, v164
	s_waitcnt vmcnt(18)
	v_fmac_f32_e32 v119, v107, v165
	v_fma_f32 v118, v106, v165, -v67
	v_pk_add_f32 v[66:67], v[108:109], v[110:111]
	v_pk_add_f32 v[66:67], v[66:67], v[118:119]
	s_waitcnt vmcnt(15)
	v_mov_b32_e32 v84, v113
	s_waitcnt lgkmcnt(3)
	v_pk_mul_f32 v[84:85], v[68:69], v[84:85] op_sel_hi:[1,0]
	s_waitcnt vmcnt(10)
	v_pk_fma_f32 v[86:87], v[68:69], v[112:113], v[84:85] op_sel:[0,0,1] op_sel_hi:[1,1,0] neg_lo:[0,0,1] neg_hi:[0,0,1]
	v_pk_fma_f32 v[68:69], v[68:69], v[112:113], v[84:85] op_sel:[0,0,1] op_sel_hi:[1,0,0]
	v_mov_b32_e32 v68, v117
	v_mov_b32_e32 v87, v69
	v_pk_mul_f32 v[68:69], v[70:71], v[68:69] op_sel_hi:[1,0]
	v_pk_fma_f32 v[84:85], v[70:71], v[116:117], v[68:69] op_sel:[0,0,1] op_sel_hi:[1,1,0] neg_lo:[0,0,1] neg_hi:[0,0,1]
	v_pk_fma_f32 v[68:69], v[70:71], v[116:117], v[68:69] op_sel:[0,0,1] op_sel_hi:[1,0,0]
	v_mov_b32_e32 v68, v115
	v_mov_b32_e32 v85, v69
	s_waitcnt lgkmcnt(2)
	v_pk_mul_f32 v[68:69], v[72:73], v[68:69] op_sel_hi:[1,0]
	v_pk_fma_f32 v[70:71], v[72:73], v[114:115], v[68:69] op_sel:[0,0,1] op_sel_hi:[1,1,0] neg_lo:[0,0,1] neg_hi:[0,0,1]
	v_pk_fma_f32 v[68:69], v[72:73], v[114:115], v[68:69] op_sel:[0,0,1] op_sel_hi:[1,0,0]
	v_pk_add_f32 v[66:67], v[66:67], v[86:87]
	s_waitcnt vmcnt(3)
	v_mov_b32_e32 v68, v127
	v_pk_add_f32 v[66:67], v[66:67], v[84:85]
	v_mov_b32_e32 v71, v69
	v_pk_mul_f32 v[68:69], v[74:75], v[68:69] op_sel_hi:[1,0]
	v_pk_add_f32 v[66:67], v[66:67], v[70:71]
	s_waitcnt vmcnt(2)
	v_pk_fma_f32 v[70:71], v[74:75], v[126:127], v[68:69] op_sel:[0,0,1] op_sel_hi:[1,1,0] neg_lo:[0,0,1] neg_hi:[0,0,1]
	v_pk_fma_f32 v[68:69], v[74:75], v[126:127], v[68:69] op_sel:[0,0,1] op_sel_hi:[1,0,0]
	v_mov_b32_e32 v68, v125
	v_mov_b32_e32 v71, v69
	s_waitcnt lgkmcnt(1)
	v_pk_mul_f32 v[68:69], v[76:77], v[68:69] op_sel_hi:[1,0]
	v_pk_add_f32 v[66:67], v[66:67], v[70:71]
	v_pk_fma_f32 v[70:71], v[76:77], v[124:125], v[68:69] op_sel:[0,0,1] op_sel_hi:[1,1,0] neg_lo:[0,0,1] neg_hi:[0,0,1]
	v_pk_fma_f32 v[68:69], v[76:77], v[124:125], v[68:69] op_sel:[0,0,1] op_sel_hi:[1,0,0]
	v_mov_b32_e32 v68, v123
	v_mov_b32_e32 v71, v69
	v_pk_mul_f32 v[68:69], v[78:79], v[68:69] op_sel_hi:[1,0]
	v_pk_add_f32 v[66:67], v[66:67], v[70:71]
	v_pk_fma_f32 v[70:71], v[78:79], v[122:123], v[68:69] op_sel:[0,0,1] op_sel_hi:[1,1,0] neg_lo:[0,0,1] neg_hi:[0,0,1]
	v_pk_fma_f32 v[68:69], v[78:79], v[122:123], v[68:69] op_sel:[0,0,1] op_sel_hi:[1,0,0]
	v_mov_b32_e32 v68, v121
	v_mov_b32_e32 v71, v69
	s_waitcnt lgkmcnt(0)
	v_pk_mul_f32 v[68:69], v[80:81], v[68:69] op_sel_hi:[1,0]
	v_pk_add_f32 v[66:67], v[66:67], v[70:71]
	v_pk_fma_f32 v[70:71], v[80:81], v[120:121], v[68:69] op_sel:[0,0,1] op_sel_hi:[1,1,0] neg_lo:[0,0,1] neg_hi:[0,0,1]
	v_pk_fma_f32 v[68:69], v[80:81], v[120:121], v[68:69] op_sel:[0,0,1] op_sel_hi:[1,0,0]
	s_waitcnt vmcnt(1)
	v_mov_b32_e32 v68, v129
	v_mov_b32_e32 v71, v69
	v_pk_mul_f32 v[68:69], v[82:83], v[68:69] op_sel_hi:[1,0]
	v_pk_add_f32 v[66:67], v[66:67], v[70:71]
	s_waitcnt vmcnt(0)
	v_pk_fma_f32 v[70:71], v[82:83], v[128:129], v[68:69] op_sel:[0,0,1] op_sel_hi:[1,1,0] neg_lo:[0,0,1] neg_hi:[0,0,1]
	v_pk_fma_f32 v[68:69], v[82:83], v[128:129], v[68:69] op_sel:[0,0,1] op_sel_hi:[1,0,0]
	v_mov_b32_e32 v71, v69
	v_pk_add_f32 v[66:67], v[66:67], v[70:71]
	v_pk_add_f32 v[64:65], v[64:65], v[66:67] neg_lo:[0,1] neg_hi:[0,1]
	buffer_store_dword v65, off, s[0:3], 0 offset:20
	buffer_store_dword v64, off, s[0:3], 0 offset:16
	s_and_saveexec_b64 s[4:5], vcc
	s_cbranch_execz .LBB94_197
; %bb.196:
	buffer_load_dword v64, off, s[0:3], 0 offset:8
	buffer_load_dword v65, off, s[0:3], 0 offset:12
	v_mov_b32_e32 v66, 0
	buffer_store_dword v66, off, s[0:3], 0 offset:8
	buffer_store_dword v66, off, s[0:3], 0 offset:12
	s_waitcnt vmcnt(2)
	ds_write_b64 v1, v[64:65]
.LBB94_197:
	s_or_b64 exec, exec, s[4:5]
	s_waitcnt lgkmcnt(0)
	; wave barrier
	s_waitcnt lgkmcnt(0)
	buffer_load_dword v67, off, s[0:3], 0 offset:20
	buffer_load_dword v116, off, s[0:3], 0 offset:28
	;; [unrolled: 1-line block ×44, first 2 shown]
	v_mov_b32_e32 v66, 0
	ds_read_b128 v[68:71], v66 offset:272
	ds_read_b128 v[72:75], v66 offset:288
	;; [unrolled: 1-line block ×8, first 2 shown]
	v_cmp_ne_u32_e32 vcc, 0, v0
	s_waitcnt vmcnt(43) lgkmcnt(7)
	v_mul_f32_e32 v100, v68, v67
	s_waitcnt vmcnt(42)
	v_mul_f32_e32 v101, v70, v116
	s_waitcnt vmcnt(41) lgkmcnt(6)
	v_mul_f32_e32 v102, v72, v122
	s_waitcnt vmcnt(40)
	v_mul_f32_e32 v103, v74, v124
	;; [unrolled: 4-line block ×7, first 2 shown]
	s_waitcnt vmcnt(29)
	v_fmac_f32_e32 v100, v69, v148
	s_waitcnt vmcnt(28)
	v_fmac_f32_e32 v101, v71, v149
	v_add_f32_e32 v100, 0, v100
	s_waitcnt vmcnt(27)
	v_fmac_f32_e32 v102, v73, v150
	v_add_f32_e32 v100, v100, v101
	;; [unrolled: 3-line block ×12, first 2 shown]
	v_add_f32_e32 v100, v100, v112
	s_waitcnt vmcnt(16)
	v_fmac_f32_e32 v113, v95, v161
	s_waitcnt vmcnt(15) lgkmcnt(0)
	v_mul_f32_e32 v101, v96, v162
	v_add_f32_e32 v100, v100, v113
	s_waitcnt vmcnt(14)
	v_fmac_f32_e32 v101, v97, v163
	v_add_f32_e32 v104, v100, v101
	ds_read_b128 v[100:103], v66 offset:400
	s_waitcnt vmcnt(13)
	v_mul_f32_e32 v105, v98, v164
	s_waitcnt vmcnt(12)
	v_fmac_f32_e32 v105, v99, v165
	v_add_f32_e32 v108, v104, v105
	ds_read_b128 v[104:107], v66 offset:416
	s_waitcnt vmcnt(11) lgkmcnt(1)
	v_mul_f32_e32 v109, v100, v166
	s_waitcnt vmcnt(10)
	v_fmac_f32_e32 v109, v101, v167
	v_add_f32_e32 v108, v108, v109
	s_waitcnt vmcnt(9)
	v_mul_f32_e32 v109, v102, v168
	s_waitcnt vmcnt(8)
	v_fmac_f32_e32 v109, v103, v169
	v_add_f32_e32 v108, v108, v109
	s_waitcnt vmcnt(7) lgkmcnt(0)
	v_mul_f32_e32 v109, v104, v170
	s_waitcnt vmcnt(6)
	v_fmac_f32_e32 v109, v105, v171
	v_add_f32_e32 v117, v108, v109
	ds_read_b128 v[108:111], v66 offset:432
	buffer_load_dword v119, off, s[0:3], 0 offset:196
	buffer_load_dword v118, off, s[0:3], 0 offset:192
	;; [unrolled: 1-line block ×4, first 2 shown]
	ds_read_b128 v[112:115], v66 offset:448
	buffer_load_dword v127, off, s[0:3], 0 offset:228
	buffer_load_dword v126, off, s[0:3], 0 offset:224
	;; [unrolled: 1-line block ×12, first 2 shown]
	v_mul_f32_e32 v67, v69, v67
	v_fma_f32 v67, v68, v148, -v67
	v_mul_f32_e32 v68, v71, v116
	v_add_f32_e32 v67, 0, v67
	v_fma_f32 v68, v70, v149, -v68
	v_add_f32_e32 v67, v67, v68
	v_mul_f32_e32 v68, v73, v122
	v_fma_f32 v68, v72, v150, -v68
	v_add_f32_e32 v67, v67, v68
	v_mul_f32_e32 v68, v75, v124
	;; [unrolled: 3-line block ×17, first 2 shown]
	v_fma_f32 v68, v104, v171, -v68
	s_waitcnt vmcnt(21)
	v_mul_f32_e32 v123, v106, v172
	v_add_f32_e32 v116, v67, v68
	v_mul_f32_e32 v67, v107, v172
	s_waitcnt vmcnt(20)
	v_fmac_f32_e32 v123, v107, v173
	s_waitcnt vmcnt(19) lgkmcnt(1)
	v_mul_f32_e32 v125, v108, v174
	v_fma_f32 v122, v106, v173, -v67
	v_mul_f32_e32 v67, v109, v174
	s_waitcnt vmcnt(18)
	v_fmac_f32_e32 v125, v109, v175
	v_fma_f32 v124, v108, v175, -v67
	v_pk_add_f32 v[78:79], v[116:117], v[122:123]
	v_pk_add_f32 v[78:79], v[78:79], v[124:125]
	ds_read_b128 v[68:71], v66 offset:464
	ds_read_b128 v[72:75], v66 offset:480
	ds_read_b64 v[76:77], v66 offset:496
	s_waitcnt vmcnt(13)
	v_mov_b32_e32 v80, v121
	v_pk_mul_f32 v[80:81], v[110:111], v[80:81] op_sel_hi:[1,0]
	s_waitcnt vmcnt(12)
	v_pk_fma_f32 v[82:83], v[110:111], v[120:121], v[80:81] op_sel:[0,0,1] op_sel_hi:[1,1,0] neg_lo:[0,0,1] neg_hi:[0,0,1]
	v_pk_fma_f32 v[80:81], v[110:111], v[120:121], v[80:81] op_sel:[0,0,1] op_sel_hi:[1,0,0]
	v_mov_b32_e32 v80, v119
	v_mov_b32_e32 v83, v81
	s_waitcnt lgkmcnt(3)
	v_pk_mul_f32 v[80:81], v[112:113], v[80:81] op_sel_hi:[1,0]
	v_pk_add_f32 v[78:79], v[78:79], v[82:83]
	v_pk_fma_f32 v[82:83], v[112:113], v[118:119], v[80:81] op_sel:[0,0,1] op_sel_hi:[1,1,0] neg_lo:[0,0,1] neg_hi:[0,0,1]
	v_pk_fma_f32 v[80:81], v[112:113], v[118:119], v[80:81] op_sel:[0,0,1] op_sel_hi:[1,0,0]
	s_waitcnt vmcnt(5)
	v_mov_b32_e32 v80, v133
	v_mov_b32_e32 v83, v81
	v_pk_mul_f32 v[80:81], v[114:115], v[80:81] op_sel_hi:[1,0]
	v_pk_add_f32 v[78:79], v[78:79], v[82:83]
	s_waitcnt vmcnt(4)
	v_pk_fma_f32 v[82:83], v[114:115], v[132:133], v[80:81] op_sel:[0,0,1] op_sel_hi:[1,1,0] neg_lo:[0,0,1] neg_hi:[0,0,1]
	v_pk_fma_f32 v[80:81], v[114:115], v[132:133], v[80:81] op_sel:[0,0,1] op_sel_hi:[1,0,0]
	v_mov_b32_e32 v80, v131
	v_mov_b32_e32 v83, v81
	s_waitcnt lgkmcnt(2)
	v_pk_mul_f32 v[80:81], v[68:69], v[80:81] op_sel_hi:[1,0]
	v_pk_add_f32 v[78:79], v[78:79], v[82:83]
	v_pk_fma_f32 v[82:83], v[68:69], v[130:131], v[80:81] op_sel:[0,0,1] op_sel_hi:[1,1,0] neg_lo:[0,0,1] neg_hi:[0,0,1]
	v_pk_fma_f32 v[68:69], v[68:69], v[130:131], v[80:81] op_sel:[0,0,1] op_sel_hi:[1,0,0]
	v_mov_b32_e32 v83, v69
	v_pk_add_f32 v[68:69], v[78:79], v[82:83]
	v_mov_b32_e32 v78, v129
	v_pk_mul_f32 v[78:79], v[70:71], v[78:79] op_sel_hi:[1,0]
	v_pk_fma_f32 v[80:81], v[70:71], v[128:129], v[78:79] op_sel:[0,0,1] op_sel_hi:[1,1,0] neg_lo:[0,0,1] neg_hi:[0,0,1]
	v_pk_fma_f32 v[70:71], v[70:71], v[128:129], v[78:79] op_sel:[0,0,1] op_sel_hi:[1,0,0]
	v_mov_b32_e32 v70, v127
	v_mov_b32_e32 v81, v71
	s_waitcnt lgkmcnt(1)
	v_pk_mul_f32 v[70:71], v[72:73], v[70:71] op_sel_hi:[1,0]
	v_pk_fma_f32 v[78:79], v[72:73], v[126:127], v[70:71] op_sel:[0,0,1] op_sel_hi:[1,1,0] neg_lo:[0,0,1] neg_hi:[0,0,1]
	v_pk_fma_f32 v[70:71], v[72:73], v[126:127], v[70:71] op_sel:[0,0,1] op_sel_hi:[1,0,0]
	s_waitcnt vmcnt(1)
	v_mov_b32_e32 v70, v137
	v_mov_b32_e32 v79, v71
	v_pk_mul_f32 v[70:71], v[74:75], v[70:71] op_sel_hi:[1,0]
	s_waitcnt vmcnt(0)
	v_pk_fma_f32 v[72:73], v[74:75], v[136:137], v[70:71] op_sel:[0,0,1] op_sel_hi:[1,1,0] neg_lo:[0,0,1] neg_hi:[0,0,1]
	v_pk_fma_f32 v[70:71], v[74:75], v[136:137], v[70:71] op_sel:[0,0,1] op_sel_hi:[1,0,0]
	v_pk_add_f32 v[68:69], v[68:69], v[80:81]
	v_mov_b32_e32 v70, v135
	v_pk_add_f32 v[68:69], v[68:69], v[78:79]
	v_mov_b32_e32 v73, v71
	s_waitcnt lgkmcnt(0)
	v_pk_mul_f32 v[70:71], v[76:77], v[70:71] op_sel_hi:[1,0]
	v_pk_add_f32 v[68:69], v[68:69], v[72:73]
	v_pk_fma_f32 v[72:73], v[76:77], v[134:135], v[70:71] op_sel:[0,0,1] op_sel_hi:[1,1,0] neg_lo:[0,0,1] neg_hi:[0,0,1]
	v_pk_fma_f32 v[70:71], v[76:77], v[134:135], v[70:71] op_sel:[0,0,1] op_sel_hi:[1,0,0]
	v_mov_b32_e32 v73, v71
	v_pk_add_f32 v[68:69], v[68:69], v[72:73]
	v_pk_add_f32 v[64:65], v[64:65], v[68:69] neg_lo:[0,1] neg_hi:[0,1]
	buffer_store_dword v65, off, s[0:3], 0 offset:12
	buffer_store_dword v64, off, s[0:3], 0 offset:8
	s_and_saveexec_b64 s[4:5], vcc
	s_cbranch_execz .LBB94_199
; %bb.198:
	buffer_load_dword v64, off, s[0:3], 0
	buffer_load_dword v65, off, s[0:3], 0 offset:4
	s_waitcnt vmcnt(0)
	ds_write_b64 v1, v[64:65]
	buffer_store_dword v66, off, s[0:3], 0
	buffer_store_dword v66, off, s[0:3], 0 offset:4
.LBB94_199:
	s_or_b64 exec, exec, s[4:5]
	s_waitcnt lgkmcnt(0)
	; wave barrier
	s_waitcnt lgkmcnt(0)
	buffer_load_dword v64, off, s[0:3], 0 offset:12
	buffer_load_dword v65, off, s[0:3], 0 offset:20
	;; [unrolled: 1-line block ×44, first 2 shown]
	buffer_load_dword v0, off, s[0:3], 0
	buffer_load_dword v1, off, s[0:3], 0 offset:4
	ds_read2_b64 v[68:71], v66 offset0:33 offset1:34
	ds_read2_b64 v[72:75], v66 offset0:35 offset1:36
	;; [unrolled: 1-line block ×8, first 2 shown]
	s_and_b64 vcc, exec, s[16:17]
	s_waitcnt vmcnt(45) lgkmcnt(7)
	v_mul_f32_e32 v100, v68, v64
	s_waitcnt vmcnt(44)
	v_mul_f32_e32 v101, v70, v65
	s_waitcnt vmcnt(43) lgkmcnt(6)
	v_mul_f32_e32 v102, v72, v67
	s_waitcnt vmcnt(42)
	v_mul_f32_e32 v103, v74, v118
	;; [unrolled: 4-line block ×6, first 2 shown]
	s_waitcnt vmcnt(33) lgkmcnt(1)
	v_mul_f32_e32 v112, v92, v144
	s_waitcnt vmcnt(32)
	v_fmac_f32_e32 v100, v69, v145
	s_waitcnt vmcnt(31)
	v_fmac_f32_e32 v101, v71, v146
	v_add_f32_e32 v100, 0, v100
	s_waitcnt vmcnt(30)
	v_fmac_f32_e32 v102, v73, v147
	v_add_f32_e32 v100, v100, v101
	;; [unrolled: 3-line block ×12, first 2 shown]
	s_waitcnt vmcnt(19)
	v_mul_f32_e32 v101, v94, v158
	v_add_f32_e32 v100, v100, v112
	s_waitcnt vmcnt(18)
	v_fmac_f32_e32 v101, v95, v159
	v_add_f32_e32 v100, v100, v101
	s_waitcnt vmcnt(17) lgkmcnt(0)
	v_mul_f32_e32 v101, v96, v160
	s_waitcnt vmcnt(16)
	v_fmac_f32_e32 v101, v97, v161
	v_add_f32_e32 v104, v100, v101
	ds_read2_b64 v[100:103], v66 offset0:49 offset1:50
	s_waitcnt vmcnt(15)
	v_mul_f32_e32 v105, v98, v162
	s_waitcnt vmcnt(14)
	v_fmac_f32_e32 v105, v99, v163
	v_add_f32_e32 v108, v104, v105
	ds_read2_b64 v[104:107], v66 offset0:51 offset1:52
	buffer_load_dword v117, off, s[0:3], 0 offset:188
	buffer_load_dword v116, off, s[0:3], 0 offset:184
	s_waitcnt vmcnt(15) lgkmcnt(1)
	v_mul_f32_e32 v109, v100, v164
	s_waitcnt vmcnt(14)
	v_fmac_f32_e32 v109, v101, v165
	v_add_f32_e32 v108, v108, v109
	s_waitcnt vmcnt(13)
	v_mul_f32_e32 v109, v102, v166
	s_waitcnt vmcnt(12)
	v_fmac_f32_e32 v109, v103, v167
	v_add_f32_e32 v108, v108, v109
	s_waitcnt vmcnt(11) lgkmcnt(0)
	v_mul_f32_e32 v109, v104, v168
	s_waitcnt vmcnt(10)
	v_fmac_f32_e32 v109, v105, v169
	s_waitcnt vmcnt(9)
	v_mul_f32_e32 v113, v106, v170
	v_add_f32_e32 v112, v108, v109
	s_waitcnt vmcnt(8)
	v_fmac_f32_e32 v113, v107, v171
	ds_read2_b64 v[108:111], v66 offset0:53 offset1:54
	v_add_f32_e32 v119, v112, v113
	ds_read2_b64 v[112:115], v66 offset0:55 offset1:56
	buffer_load_dword v125, off, s[0:3], 0 offset:220
	buffer_load_dword v124, off, s[0:3], 0 offset:216
	;; [unrolled: 1-line block ×14, first 2 shown]
	v_mul_f32_e32 v64, v69, v64
	v_fma_f32 v64, v68, v145, -v64
	v_mul_f32_e32 v65, v71, v65
	v_add_f32_e32 v64, 0, v64
	v_fma_f32 v65, v70, v146, -v65
	v_add_f32_e32 v64, v64, v65
	v_mul_f32_e32 v65, v73, v67
	v_fma_f32 v65, v72, v147, -v65
	v_add_f32_e32 v64, v64, v65
	v_mul_f32_e32 v65, v75, v118
	;; [unrolled: 3-line block ×18, first 2 shown]
	v_fma_f32 v65, v106, v171, -v65
	s_waitcnt vmcnt(21) lgkmcnt(1)
	v_mul_f32_e32 v121, v108, v172
	v_add_f32_e32 v118, v64, v65
	v_mul_f32_e32 v64, v109, v172
	s_waitcnt vmcnt(20)
	v_fmac_f32_e32 v121, v109, v173
	s_waitcnt vmcnt(15)
	v_mov_b32_e32 v78, v117
	s_waitcnt lgkmcnt(0)
	v_pk_mul_f32 v[78:79], v[112:113], v[78:79] op_sel_hi:[1,0]
	v_mul_f32_e32 v123, v110, v174
	v_fma_f32 v120, v108, v173, -v64
	v_mul_f32_e32 v64, v111, v174
	s_waitcnt vmcnt(14)
	v_pk_fma_f32 v[80:81], v[112:113], v[116:117], v[78:79] op_sel:[0,0,1] op_sel_hi:[1,1,0] neg_lo:[0,0,1] neg_hi:[0,0,1]
	v_pk_fma_f32 v[78:79], v[112:113], v[116:117], v[78:79] op_sel:[0,0,1] op_sel_hi:[1,0,0]
	v_fmac_f32_e32 v123, v111, v175
	v_fma_f32 v122, v110, v175, -v64
	v_pk_add_f32 v[76:77], v[118:119], v[120:121]
	s_waitcnt vmcnt(7)
	v_mov_b32_e32 v78, v131
	ds_read2_b64 v[68:71], v66 offset0:57 offset1:58
	ds_read2_b64 v[72:75], v66 offset0:59 offset1:60
	ds_read2_b64 v[64:67], v66 offset0:61 offset1:62
	v_pk_add_f32 v[76:77], v[76:77], v[122:123]
	v_mov_b32_e32 v81, v79
	v_pk_mul_f32 v[78:79], v[114:115], v[78:79] op_sel_hi:[1,0]
	v_pk_add_f32 v[76:77], v[76:77], v[80:81]
	s_waitcnt vmcnt(6)
	v_pk_fma_f32 v[80:81], v[114:115], v[130:131], v[78:79] op_sel:[0,0,1] op_sel_hi:[1,1,0] neg_lo:[0,0,1] neg_hi:[0,0,1]
	v_pk_fma_f32 v[78:79], v[114:115], v[130:131], v[78:79] op_sel:[0,0,1] op_sel_hi:[1,0,0]
	v_mov_b32_e32 v78, v129
	v_mov_b32_e32 v81, v79
	s_waitcnt lgkmcnt(2)
	v_pk_mul_f32 v[78:79], v[68:69], v[78:79] op_sel_hi:[1,0]
	v_pk_add_f32 v[76:77], v[76:77], v[80:81]
	v_pk_fma_f32 v[80:81], v[68:69], v[128:129], v[78:79] op_sel:[0,0,1] op_sel_hi:[1,1,0] neg_lo:[0,0,1] neg_hi:[0,0,1]
	v_pk_fma_f32 v[68:69], v[68:69], v[128:129], v[78:79] op_sel:[0,0,1] op_sel_hi:[1,0,0]
	v_mov_b32_e32 v81, v69
	v_pk_add_f32 v[68:69], v[76:77], v[80:81]
	v_mov_b32_e32 v76, v127
	v_pk_mul_f32 v[76:77], v[70:71], v[76:77] op_sel_hi:[1,0]
	v_pk_fma_f32 v[78:79], v[70:71], v[126:127], v[76:77] op_sel:[0,0,1] op_sel_hi:[1,1,0] neg_lo:[0,0,1] neg_hi:[0,0,1]
	v_pk_fma_f32 v[70:71], v[70:71], v[126:127], v[76:77] op_sel:[0,0,1] op_sel_hi:[1,0,0]
	v_mov_b32_e32 v70, v125
	v_mov_b32_e32 v79, v71
	s_waitcnt lgkmcnt(1)
	v_pk_mul_f32 v[70:71], v[72:73], v[70:71] op_sel_hi:[1,0]
	v_pk_fma_f32 v[76:77], v[72:73], v[124:125], v[70:71] op_sel:[0,0,1] op_sel_hi:[1,1,0] neg_lo:[0,0,1] neg_hi:[0,0,1]
	v_pk_fma_f32 v[70:71], v[72:73], v[124:125], v[70:71] op_sel:[0,0,1] op_sel_hi:[1,0,0]
	s_waitcnt vmcnt(1)
	v_mov_b32_e32 v70, v137
	v_mov_b32_e32 v77, v71
	v_pk_mul_f32 v[70:71], v[74:75], v[70:71] op_sel_hi:[1,0]
	s_waitcnt vmcnt(0)
	v_pk_fma_f32 v[72:73], v[74:75], v[136:137], v[70:71] op_sel:[0,0,1] op_sel_hi:[1,1,0] neg_lo:[0,0,1] neg_hi:[0,0,1]
	v_pk_fma_f32 v[70:71], v[74:75], v[136:137], v[70:71] op_sel:[0,0,1] op_sel_hi:[1,0,0]
	v_pk_add_f32 v[68:69], v[68:69], v[78:79]
	v_mov_b32_e32 v70, v135
	v_pk_add_f32 v[68:69], v[68:69], v[76:77]
	v_mov_b32_e32 v73, v71
	s_waitcnt lgkmcnt(0)
	v_pk_mul_f32 v[70:71], v[64:65], v[70:71] op_sel_hi:[1,0]
	v_pk_add_f32 v[68:69], v[68:69], v[72:73]
	v_pk_fma_f32 v[72:73], v[64:65], v[134:135], v[70:71] op_sel:[0,0,1] op_sel_hi:[1,1,0] neg_lo:[0,0,1] neg_hi:[0,0,1]
	v_pk_fma_f32 v[64:65], v[64:65], v[134:135], v[70:71] op_sel:[0,0,1] op_sel_hi:[1,0,0]
	v_mov_b32_e32 v73, v65
	v_pk_add_f32 v[64:65], v[68:69], v[72:73]
	v_mov_b32_e32 v68, v133
	v_pk_mul_f32 v[68:69], v[66:67], v[68:69] op_sel_hi:[1,0]
	v_pk_fma_f32 v[70:71], v[66:67], v[132:133], v[68:69] op_sel:[0,0,1] op_sel_hi:[1,1,0] neg_lo:[0,0,1] neg_hi:[0,0,1]
	v_pk_fma_f32 v[66:67], v[66:67], v[132:133], v[68:69] op_sel:[0,0,1] op_sel_hi:[1,0,0]
	v_mov_b32_e32 v71, v67
	v_pk_add_f32 v[64:65], v[64:65], v[70:71]
	v_pk_add_f32 v[0:1], v[0:1], v[64:65] neg_lo:[0,1] neg_hi:[0,1]
	buffer_store_dword v1, off, s[0:3], 0 offset:4
	buffer_store_dword v0, off, s[0:3], 0
	s_cbranch_vccz .LBB94_261
; %bb.200:
	v_pk_mov_b32 v[0:1], s[10:11], s[10:11] op_sel:[0,1]
	flat_load_dword v0, v[0:1] offset:116
	s_waitcnt vmcnt(0) lgkmcnt(0)
	v_add_u32_e32 v0, -1, v0
	v_cmp_ne_u32_e32 vcc, 29, v0
	s_and_saveexec_b64 s[4:5], vcc
	s_cbranch_execz .LBB94_202
; %bb.201:
	v_mov_b32_e32 v1, 0
	v_lshl_add_u32 v0, v0, 3, v1
	buffer_load_dword v1, v0, s[0:3], 0 offen
	buffer_load_dword v64, v0, s[0:3], 0 offen offset:4
	buffer_load_dword v65, off, s[0:3], 0 offset:232
	buffer_load_dword v66, off, s[0:3], 0 offset:236
	s_waitcnt vmcnt(3)
	buffer_store_dword v1, off, s[0:3], 0 offset:232
	s_waitcnt vmcnt(3)
	buffer_store_dword v64, off, s[0:3], 0 offset:236
	s_waitcnt vmcnt(3)
	buffer_store_dword v65, v0, s[0:3], 0 offen
	s_waitcnt vmcnt(3)
	buffer_store_dword v66, v0, s[0:3], 0 offen offset:4
.LBB94_202:
	s_or_b64 exec, exec, s[4:5]
	v_pk_mov_b32 v[0:1], s[10:11], s[10:11] op_sel:[0,1]
	flat_load_dword v0, v[0:1] offset:112
	s_waitcnt vmcnt(0) lgkmcnt(0)
	v_add_u32_e32 v0, -1, v0
	v_cmp_ne_u32_e32 vcc, 28, v0
	s_and_saveexec_b64 s[4:5], vcc
	s_cbranch_execz .LBB94_204
; %bb.203:
	v_mov_b32_e32 v1, 0
	v_lshl_add_u32 v0, v0, 3, v1
	buffer_load_dword v1, v0, s[0:3], 0 offen
	buffer_load_dword v64, v0, s[0:3], 0 offen offset:4
	buffer_load_dword v65, off, s[0:3], 0 offset:228
	buffer_load_dword v66, off, s[0:3], 0 offset:224
	s_waitcnt vmcnt(3)
	buffer_store_dword v1, off, s[0:3], 0 offset:224
	s_waitcnt vmcnt(3)
	buffer_store_dword v64, off, s[0:3], 0 offset:228
	s_waitcnt vmcnt(3)
	buffer_store_dword v65, v0, s[0:3], 0 offen offset:4
	s_waitcnt vmcnt(3)
	buffer_store_dword v66, v0, s[0:3], 0 offen
.LBB94_204:
	s_or_b64 exec, exec, s[4:5]
	v_pk_mov_b32 v[0:1], s[10:11], s[10:11] op_sel:[0,1]
	flat_load_dword v0, v[0:1] offset:108
	s_waitcnt vmcnt(0) lgkmcnt(0)
	v_add_u32_e32 v0, -1, v0
	v_cmp_ne_u32_e32 vcc, 27, v0
	s_and_saveexec_b64 s[4:5], vcc
	s_cbranch_execz .LBB94_206
; %bb.205:
	v_mov_b32_e32 v1, 0
	v_lshl_add_u32 v0, v0, 3, v1
	buffer_load_dword v1, v0, s[0:3], 0 offen
	buffer_load_dword v64, v0, s[0:3], 0 offen offset:4
	buffer_load_dword v65, off, s[0:3], 0 offset:216
	buffer_load_dword v66, off, s[0:3], 0 offset:220
	s_waitcnt vmcnt(3)
	buffer_store_dword v1, off, s[0:3], 0 offset:216
	s_waitcnt vmcnt(3)
	buffer_store_dword v64, off, s[0:3], 0 offset:220
	s_waitcnt vmcnt(3)
	buffer_store_dword v65, v0, s[0:3], 0 offen
	s_waitcnt vmcnt(3)
	buffer_store_dword v66, v0, s[0:3], 0 offen offset:4
.LBB94_206:
	s_or_b64 exec, exec, s[4:5]
	v_pk_mov_b32 v[0:1], s[10:11], s[10:11] op_sel:[0,1]
	flat_load_dword v0, v[0:1] offset:104
	s_waitcnt vmcnt(0) lgkmcnt(0)
	v_add_u32_e32 v0, -1, v0
	v_cmp_ne_u32_e32 vcc, 26, v0
	s_and_saveexec_b64 s[4:5], vcc
	s_cbranch_execz .LBB94_208
; %bb.207:
	v_mov_b32_e32 v1, 0
	v_lshl_add_u32 v0, v0, 3, v1
	buffer_load_dword v1, v0, s[0:3], 0 offen
	buffer_load_dword v64, v0, s[0:3], 0 offen offset:4
	buffer_load_dword v65, off, s[0:3], 0 offset:212
	buffer_load_dword v66, off, s[0:3], 0 offset:208
	s_waitcnt vmcnt(3)
	buffer_store_dword v1, off, s[0:3], 0 offset:208
	s_waitcnt vmcnt(3)
	buffer_store_dword v64, off, s[0:3], 0 offset:212
	s_waitcnt vmcnt(3)
	buffer_store_dword v65, v0, s[0:3], 0 offen offset:4
	s_waitcnt vmcnt(3)
	buffer_store_dword v66, v0, s[0:3], 0 offen
.LBB94_208:
	s_or_b64 exec, exec, s[4:5]
	;; [unrolled: 48-line block ×14, first 2 shown]
	v_pk_mov_b32 v[0:1], s[10:11], s[10:11] op_sel:[0,1]
	flat_load_dword v0, v[0:1] offset:4
	s_waitcnt vmcnt(0) lgkmcnt(0)
	v_add_u32_e32 v0, -1, v0
	v_cmp_ne_u32_e32 vcc, 1, v0
	s_and_saveexec_b64 s[4:5], vcc
	s_cbranch_execz .LBB94_258
; %bb.257:
	v_mov_b32_e32 v1, 0
	v_lshl_add_u32 v0, v0, 3, v1
	buffer_load_dword v1, v0, s[0:3], 0 offen
	buffer_load_dword v64, v0, s[0:3], 0 offen offset:4
	buffer_load_dword v65, off, s[0:3], 0 offset:8
	buffer_load_dword v66, off, s[0:3], 0 offset:12
	s_waitcnt vmcnt(3)
	buffer_store_dword v1, off, s[0:3], 0 offset:8
	s_waitcnt vmcnt(3)
	buffer_store_dword v64, off, s[0:3], 0 offset:12
	s_waitcnt vmcnt(3)
	buffer_store_dword v65, v0, s[0:3], 0 offen
	s_waitcnt vmcnt(3)
	buffer_store_dword v66, v0, s[0:3], 0 offen offset:4
.LBB94_258:
	s_or_b64 exec, exec, s[4:5]
	v_pk_mov_b32 v[0:1], s[10:11], s[10:11] op_sel:[0,1]
	flat_load_dword v64, v[0:1]
	s_nop 0
	buffer_load_dword v0, off, s[0:3], 0
	buffer_load_dword v1, off, s[0:3], 0 offset:4
	s_waitcnt vmcnt(0) lgkmcnt(0)
	v_add_u32_e32 v64, -1, v64
	v_cmp_ne_u32_e32 vcc, 0, v64
	s_and_saveexec_b64 s[4:5], vcc
	s_cbranch_execz .LBB94_260
; %bb.259:
	v_mov_b32_e32 v65, 0
	v_lshl_add_u32 v64, v64, 3, v65
	buffer_load_dword v65, v64, s[0:3], 0 offen offset:4
	buffer_load_dword v66, v64, s[0:3], 0 offen
	s_waitcnt vmcnt(1)
	buffer_store_dword v65, off, s[0:3], 0 offset:4
	s_waitcnt vmcnt(1)
	buffer_store_dword v66, off, s[0:3], 0
	buffer_store_dword v1, v64, s[0:3], 0 offen offset:4
	buffer_store_dword v0, v64, s[0:3], 0 offen
	buffer_load_dword v0, off, s[0:3], 0
	s_nop 0
	buffer_load_dword v1, off, s[0:3], 0 offset:4
.LBB94_260:
	s_or_b64 exec, exec, s[4:5]
.LBB94_261:
	buffer_load_dword v64, off, s[0:3], 0 offset:8
	buffer_load_dword v65, off, s[0:3], 0 offset:12
	;; [unrolled: 1-line block ×60, first 2 shown]
	s_waitcnt vmcnt(60)
	global_store_dwordx2 v[54:55], v[0:1], off
	s_waitcnt vmcnt(59)
	global_store_dwordx2 v[56:57], v[64:65], off
	;; [unrolled: 2-line block ×31, first 2 shown]
	s_endpgm
	.section	.rodata,"a",@progbits
	.p2align	6, 0x0
	.amdhsa_kernel _ZN9rocsolver6v33100L18getri_kernel_smallILi31E19rocblas_complex_numIfEPKPS3_EEvT1_iilPiilS8_bb
		.amdhsa_group_segment_fixed_size 504
		.amdhsa_private_segment_fixed_size 256
		.amdhsa_kernarg_size 60
		.amdhsa_user_sgpr_count 8
		.amdhsa_user_sgpr_private_segment_buffer 1
		.amdhsa_user_sgpr_dispatch_ptr 0
		.amdhsa_user_sgpr_queue_ptr 0
		.amdhsa_user_sgpr_kernarg_segment_ptr 1
		.amdhsa_user_sgpr_dispatch_id 0
		.amdhsa_user_sgpr_flat_scratch_init 1
		.amdhsa_user_sgpr_kernarg_preload_length 0
		.amdhsa_user_sgpr_kernarg_preload_offset 0
		.amdhsa_user_sgpr_private_segment_size 0
		.amdhsa_uses_dynamic_stack 0
		.amdhsa_system_sgpr_private_segment_wavefront_offset 1
		.amdhsa_system_sgpr_workgroup_id_x 1
		.amdhsa_system_sgpr_workgroup_id_y 0
		.amdhsa_system_sgpr_workgroup_id_z 0
		.amdhsa_system_sgpr_workgroup_info 0
		.amdhsa_system_vgpr_workitem_id 0
		.amdhsa_next_free_vgpr 176
		.amdhsa_next_free_sgpr 22
		.amdhsa_accum_offset 176
		.amdhsa_reserve_vcc 1
		.amdhsa_reserve_flat_scratch 1
		.amdhsa_float_round_mode_32 0
		.amdhsa_float_round_mode_16_64 0
		.amdhsa_float_denorm_mode_32 3
		.amdhsa_float_denorm_mode_16_64 3
		.amdhsa_dx10_clamp 1
		.amdhsa_ieee_mode 1
		.amdhsa_fp16_overflow 0
		.amdhsa_tg_split 0
		.amdhsa_exception_fp_ieee_invalid_op 0
		.amdhsa_exception_fp_denorm_src 0
		.amdhsa_exception_fp_ieee_div_zero 0
		.amdhsa_exception_fp_ieee_overflow 0
		.amdhsa_exception_fp_ieee_underflow 0
		.amdhsa_exception_fp_ieee_inexact 0
		.amdhsa_exception_int_div_zero 0
	.end_amdhsa_kernel
	.section	.text._ZN9rocsolver6v33100L18getri_kernel_smallILi31E19rocblas_complex_numIfEPKPS3_EEvT1_iilPiilS8_bb,"axG",@progbits,_ZN9rocsolver6v33100L18getri_kernel_smallILi31E19rocblas_complex_numIfEPKPS3_EEvT1_iilPiilS8_bb,comdat
.Lfunc_end94:
	.size	_ZN9rocsolver6v33100L18getri_kernel_smallILi31E19rocblas_complex_numIfEPKPS3_EEvT1_iilPiilS8_bb, .Lfunc_end94-_ZN9rocsolver6v33100L18getri_kernel_smallILi31E19rocblas_complex_numIfEPKPS3_EEvT1_iilPiilS8_bb
                                        ; -- End function
	.section	.AMDGPU.csdata,"",@progbits
; Kernel info:
; codeLenInByte = 45776
; NumSgprs: 28
; NumVgprs: 176
; NumAgprs: 0
; TotalNumVgprs: 176
; ScratchSize: 256
; MemoryBound: 0
; FloatMode: 240
; IeeeMode: 1
; LDSByteSize: 504 bytes/workgroup (compile time only)
; SGPRBlocks: 3
; VGPRBlocks: 21
; NumSGPRsForWavesPerEU: 28
; NumVGPRsForWavesPerEU: 176
; AccumOffset: 176
; Occupancy: 2
; WaveLimiterHint : 1
; COMPUTE_PGM_RSRC2:SCRATCH_EN: 1
; COMPUTE_PGM_RSRC2:USER_SGPR: 8
; COMPUTE_PGM_RSRC2:TRAP_HANDLER: 0
; COMPUTE_PGM_RSRC2:TGID_X_EN: 1
; COMPUTE_PGM_RSRC2:TGID_Y_EN: 0
; COMPUTE_PGM_RSRC2:TGID_Z_EN: 0
; COMPUTE_PGM_RSRC2:TIDIG_COMP_CNT: 0
; COMPUTE_PGM_RSRC3_GFX90A:ACCUM_OFFSET: 43
; COMPUTE_PGM_RSRC3_GFX90A:TG_SPLIT: 0
	.section	.text._ZN9rocsolver6v33100L18getri_kernel_smallILi32E19rocblas_complex_numIfEPKPS3_EEvT1_iilPiilS8_bb,"axG",@progbits,_ZN9rocsolver6v33100L18getri_kernel_smallILi32E19rocblas_complex_numIfEPKPS3_EEvT1_iilPiilS8_bb,comdat
	.globl	_ZN9rocsolver6v33100L18getri_kernel_smallILi32E19rocblas_complex_numIfEPKPS3_EEvT1_iilPiilS8_bb ; -- Begin function _ZN9rocsolver6v33100L18getri_kernel_smallILi32E19rocblas_complex_numIfEPKPS3_EEvT1_iilPiilS8_bb
	.p2align	8
	.type	_ZN9rocsolver6v33100L18getri_kernel_smallILi32E19rocblas_complex_numIfEPKPS3_EEvT1_iilPiilS8_bb,@function
_ZN9rocsolver6v33100L18getri_kernel_smallILi32E19rocblas_complex_numIfEPKPS3_EEvT1_iilPiilS8_bb: ; @_ZN9rocsolver6v33100L18getri_kernel_smallILi32E19rocblas_complex_numIfEPKPS3_EEvT1_iilPiilS8_bb
; %bb.0:
	s_add_u32 flat_scratch_lo, s6, s9
	s_addc_u32 flat_scratch_hi, s7, 0
	s_add_u32 s0, s0, s9
	s_addc_u32 s1, s1, 0
	v_cmp_gt_u32_e32 vcc, 32, v0
	s_and_saveexec_b64 s[6:7], vcc
	s_cbranch_execz .LBB95_142
; %bb.1:
	s_load_dword s20, s[4:5], 0x38
	s_load_dwordx2 s[6:7], s[4:5], 0x0
	s_load_dwordx4 s[12:15], s[4:5], 0x28
	s_waitcnt lgkmcnt(0)
	s_bitcmp1_b32 s20, 8
	s_cselect_b64 s[16:17], -1, 0
	s_ashr_i32 s9, s8, 31
	s_lshl_b64 s[10:11], s[8:9], 3
	s_add_u32 s6, s6, s10
	s_addc_u32 s7, s7, s11
	s_load_dwordx2 s[18:19], s[6:7], 0x0
	s_bfe_u32 s6, s20, 0x10008
	s_cmp_eq_u32 s6, 0
                                        ; implicit-def: $sgpr10_sgpr11
	s_cbranch_scc1 .LBB95_3
; %bb.2:
	s_load_dword s6, s[4:5], 0x20
	s_load_dwordx2 s[10:11], s[4:5], 0x18
	s_mul_i32 s7, s8, s13
	s_mul_hi_u32 s13, s8, s12
	s_add_i32 s13, s13, s7
	s_mul_i32 s21, s9, s12
	s_add_i32 s13, s13, s21
	s_mul_i32 s12, s8, s12
	s_waitcnt lgkmcnt(0)
	s_ashr_i32 s7, s6, 31
	s_lshl_b64 s[12:13], s[12:13], 2
	s_add_u32 s10, s10, s12
	s_addc_u32 s11, s11, s13
	s_lshl_b64 s[6:7], s[6:7], 2
	s_add_u32 s10, s10, s6
	s_addc_u32 s11, s11, s7
.LBB95_3:
	s_load_dwordx2 s[6:7], s[4:5], 0x8
	v_lshlrev_b32_e32 v70, 3, v0
	s_waitcnt lgkmcnt(0)
	s_ashr_i32 s5, s6, 31
	s_mov_b32 s4, s6
	s_lshl_b64 s[4:5], s[4:5], 3
	s_add_u32 s4, s18, s4
	s_addc_u32 s5, s19, s5
	s_add_i32 s6, s7, s7
	v_add_u32_e32 v4, s6, v0
	v_ashrrev_i32_e32 v5, 31, v4
	v_lshlrev_b64 v[2:3], 3, v[4:5]
	v_add_u32_e32 v6, s7, v4
	v_mov_b32_e32 v1, s5
	v_add_co_u32_e32 v2, vcc, s4, v2
	v_ashrrev_i32_e32 v7, 31, v6
	v_addc_co_u32_e32 v3, vcc, v1, v3, vcc
	v_lshlrev_b64 v[4:5], 3, v[6:7]
	v_add_u32_e32 v8, s7, v6
	v_add_co_u32_e32 v4, vcc, s4, v4
	v_ashrrev_i32_e32 v9, 31, v8
	v_addc_co_u32_e32 v5, vcc, v1, v5, vcc
	v_lshlrev_b64 v[6:7], 3, v[8:9]
	v_add_u32_e32 v10, s7, v8
	;; [unrolled: 5-line block ×24, first 2 shown]
	v_add_co_u32_e32 v50, vcc, s4, v50
	v_ashrrev_i32_e32 v55, 31, v54
	v_addc_co_u32_e32 v51, vcc, v1, v51, vcc
	v_lshlrev_b64 v[52:53], 3, v[54:55]
	v_add_co_u32_e32 v52, vcc, s4, v52
	v_addc_co_u32_e32 v53, vcc, v1, v53, vcc
	v_add_co_u32_e32 v56, vcc, s4, v70
	s_ashr_i32 s13, s7, 31
	s_mov_b32 s12, s7
	v_add_u32_e32 v60, s7, v54
	v_addc_co_u32_e32 v57, vcc, 0, v1, vcc
	s_lshl_b64 s[12:13], s[12:13], 3
	v_ashrrev_i32_e32 v61, 31, v60
	v_mov_b32_e32 v1, s13
	v_add_co_u32_e32 v58, vcc, s12, v56
	v_addc_co_u32_e32 v59, vcc, v57, v1, vcc
	v_lshlrev_b64 v[54:55], 3, v[60:61]
	v_add_u32_e32 v62, s7, v60
	v_mov_b32_e32 v1, s5
	v_add_co_u32_e32 v54, vcc, s4, v54
	v_ashrrev_i32_e32 v63, 31, v62
	v_addc_co_u32_e32 v55, vcc, v1, v55, vcc
	v_lshlrev_b64 v[60:61], 3, v[62:63]
	v_add_u32_e32 v64, s7, v62
	v_add_co_u32_e32 v60, vcc, s4, v60
	v_ashrrev_i32_e32 v65, 31, v64
	v_addc_co_u32_e32 v61, vcc, v1, v61, vcc
	v_lshlrev_b64 v[62:63], 3, v[64:65]
	v_add_co_u32_e32 v62, vcc, s4, v62
	global_load_dwordx2 v[66:67], v70, s[4:5]
	global_load_dwordx2 v[72:73], v[2:3], off
	global_load_dwordx2 v[68:69], v[58:59], off
	;; [unrolled: 1-line block ×22, first 2 shown]
	v_addc_co_u32_e32 v63, vcc, v1, v63, vcc
	global_load_dwordx2 v[114:115], v[44:45], off
	global_load_dwordx2 v[116:117], v[46:47], off
	;; [unrolled: 1-line block ×8, first 2 shown]
	v_add_u32_e32 v64, s7, v64
	v_ashrrev_i32_e32 v65, 31, v64
	v_lshlrev_b64 v[64:65], 3, v[64:65]
	v_add_co_u32_e32 v64, vcc, s4, v64
	v_addc_co_u32_e32 v65, vcc, v1, v65, vcc
	global_load_dwordx2 v[130:131], v[64:65], off
	s_bitcmp0_b32 s20, 0
	s_mov_b64 s[6:7], -1
	s_waitcnt vmcnt(31)
	buffer_store_dword v67, off, s[0:3], 0 offset:4
	buffer_store_dword v66, off, s[0:3], 0
	s_waitcnt vmcnt(31)
	buffer_store_dword v69, off, s[0:3], 0 offset:12
	buffer_store_dword v68, off, s[0:3], 0 offset:8
	;; [unrolled: 1-line block ×4, first 2 shown]
	s_waitcnt vmcnt(34)
	buffer_store_dword v75, off, s[0:3], 0 offset:28
	buffer_store_dword v74, off, s[0:3], 0 offset:24
	s_waitcnt vmcnt(35)
	buffer_store_dword v77, off, s[0:3], 0 offset:36
	buffer_store_dword v76, off, s[0:3], 0 offset:32
	;; [unrolled: 3-line block ×29, first 2 shown]
	s_cbranch_scc1 .LBB95_140
; %bb.4:
	v_cmp_eq_u32_e64 s[4:5], 0, v0
	s_and_saveexec_b64 s[6:7], s[4:5]
	s_cbranch_execz .LBB95_6
; %bb.5:
	v_mov_b32_e32 v1, 0
	ds_write_b32 v1, v1 offset:512
.LBB95_6:
	s_or_b64 exec, exec, s[6:7]
	v_mov_b32_e32 v1, 0
	v_lshl_add_u32 v71, v0, 3, v1
	s_waitcnt lgkmcnt(0)
	; wave barrier
	s_waitcnt lgkmcnt(0)
	buffer_load_dword v1, v71, s[0:3], 0 offen
	buffer_load_dword v66, v71, s[0:3], 0 offen offset:4
	s_waitcnt vmcnt(1)
	v_cmp_eq_f32_e32 vcc, 0, v1
	s_waitcnt vmcnt(0)
	v_cmp_eq_f32_e64 s[6:7], 0, v66
	s_and_b64 s[6:7], vcc, s[6:7]
	s_and_saveexec_b64 s[12:13], s[6:7]
	s_cbranch_execz .LBB95_10
; %bb.7:
	v_mov_b32_e32 v1, 0
	ds_read_b32 v67, v1 offset:512
	v_add_u32_e32 v66, 1, v0
	s_waitcnt lgkmcnt(0)
	v_readfirstlane_b32 s6, v67
	s_cmp_eq_u32 s6, 0
	s_cselect_b64 s[18:19], -1, 0
	v_cmp_gt_i32_e32 vcc, s6, v66
	s_or_b64 s[18:19], s[18:19], vcc
	s_and_b64 exec, exec, s[18:19]
	s_cbranch_execz .LBB95_10
; %bb.8:
	s_mov_b64 s[18:19], 0
	v_mov_b32_e32 v67, s6
.LBB95_9:                               ; =>This Inner Loop Header: Depth=1
	ds_cmpst_rtn_b32 v67, v1, v67, v66 offset:512
	s_waitcnt lgkmcnt(0)
	v_cmp_ne_u32_e32 vcc, 0, v67
	v_cmp_le_i32_e64 s[6:7], v67, v66
	s_and_b64 s[6:7], vcc, s[6:7]
	s_and_b64 s[6:7], exec, s[6:7]
	s_or_b64 s[18:19], s[6:7], s[18:19]
	s_andn2_b64 exec, exec, s[18:19]
	s_cbranch_execnz .LBB95_9
.LBB95_10:
	s_or_b64 exec, exec, s[12:13]
	v_mov_b32_e32 v66, 0
	s_waitcnt lgkmcnt(0)
	; wave barrier
	ds_read_b32 v1, v66 offset:512
	s_and_saveexec_b64 s[6:7], s[4:5]
	s_cbranch_execz .LBB95_12
; %bb.11:
	s_lshl_b64 s[12:13], s[8:9], 2
	s_add_u32 s12, s14, s12
	s_addc_u32 s13, s15, s13
	s_waitcnt lgkmcnt(0)
	global_store_dword v66, v1, s[12:13]
.LBB95_12:
	s_or_b64 exec, exec, s[6:7]
	s_waitcnt lgkmcnt(0)
	v_cmp_ne_u32_e32 vcc, 0, v1
	s_mov_b64 s[6:7], 0
	s_cbranch_vccnz .LBB95_140
; %bb.13:
	buffer_load_dword v72, v71, s[0:3], 0 offen offset:4
	buffer_load_dword v67, v71, s[0:3], 0 offen
	s_waitcnt vmcnt(1)
	v_cmp_gt_f32_e32 vcc, 0, v72
	v_cndmask_b32_e64 v1, v72, -v72, vcc
	s_waitcnt vmcnt(0)
	v_cmp_gt_f32_e32 vcc, 0, v67
	v_cndmask_b32_e64 v66, v67, -v67, vcc
	v_cmp_ngt_f32_e32 vcc, v66, v1
                                        ; implicit-def: $vgpr1
                                        ; implicit-def: $vgpr66
	s_and_saveexec_b64 s[6:7], vcc
	s_xor_b64 s[6:7], exec, s[6:7]
                                        ; implicit-def: $vgpr68_vgpr69
	s_cbranch_execz .LBB95_15
; %bb.14:
	v_div_scale_f32 v1, s[12:13], v72, v72, v67
	v_rcp_f32_e32 v66, v1
	v_div_scale_f32 v68, vcc, v67, v72, v67
	v_fma_f32 v69, -v1, v66, 1.0
	v_fmac_f32_e32 v66, v69, v66
	v_mul_f32_e32 v69, v68, v66
	v_fma_f32 v73, -v1, v69, v68
	v_fmac_f32_e32 v69, v73, v66
	v_fma_f32 v1, -v1, v69, v68
	v_div_fmas_f32 v1, v1, v66, v69
	v_div_fixup_f32 v66, v1, v72, v67
	v_fmac_f32_e32 v72, v67, v66
	v_div_scale_f32 v1, s[12:13], v72, v72, -1.0
	v_rcp_f32_e32 v67, v1
	v_fma_f32 v68, -v1, v67, 1.0
	v_fmac_f32_e32 v67, v68, v67
	v_div_scale_f32 v68, vcc, -1.0, v72, -1.0
	v_mul_f32_e32 v69, v68, v67
	v_fma_f32 v73, -v1, v69, v68
	v_fmac_f32_e32 v69, v73, v67
	v_fma_f32 v1, -v1, v69, v68
	v_div_fmas_f32 v1, v1, v67, v69
	v_div_fixup_f32 v1, v1, v72, -1.0
	v_mul_f32_e32 v66, v66, v1
	v_xor_b32_e32 v68, 0x80000000, v66
                                        ; implicit-def: $vgpr67
                                        ; implicit-def: $vgpr72
.LBB95_15:
	s_andn2_saveexec_b64 s[6:7], s[6:7]
	s_cbranch_execz .LBB95_17
; %bb.16:
	v_div_scale_f32 v1, s[12:13], v67, v67, v72
	v_rcp_f32_e32 v66, v1
	v_div_scale_f32 v68, vcc, v72, v67, v72
	v_fma_f32 v69, -v1, v66, 1.0
	v_fmac_f32_e32 v66, v69, v66
	v_mul_f32_e32 v69, v68, v66
	v_fma_f32 v73, -v1, v69, v68
	v_fmac_f32_e32 v69, v73, v66
	v_fma_f32 v1, -v1, v69, v68
	v_div_fmas_f32 v1, v1, v66, v69
	v_div_fixup_f32 v1, v1, v67, v72
	v_fmac_f32_e32 v67, v72, v1
	v_div_scale_f32 v66, s[12:13], v67, v67, 1.0
	v_rcp_f32_e32 v68, v66
	v_fma_f32 v69, -v66, v68, 1.0
	v_fmac_f32_e32 v68, v69, v68
	v_div_scale_f32 v69, vcc, 1.0, v67, 1.0
	v_mul_f32_e32 v72, v69, v68
	v_fma_f32 v73, -v66, v72, v69
	v_fmac_f32_e32 v72, v73, v68
	v_fma_f32 v66, -v66, v72, v69
	v_div_fmas_f32 v66, v66, v68, v72
	v_div_fixup_f32 v68, v66, v67, 1.0
	v_xor_b32_e32 v66, 0x80000000, v68
	v_mul_f32_e64 v1, v1, -v68
.LBB95_17:
	s_or_b64 exec, exec, s[6:7]
	buffer_store_dword v1, v71, s[0:3], 0 offen offset:4
	buffer_store_dword v68, v71, s[0:3], 0 offen
	buffer_load_dword v69, off, s[0:3], 0 offset:12
	s_nop 0
	buffer_load_dword v68, off, s[0:3], 0 offset:8
	v_xor_b32_e32 v67, 0x80000000, v1
	v_add_u32_e32 v1, 0x100, v70
	s_waitcnt vmcnt(0)
	ds_write2_b64 v70, v[66:67], v[68:69] offset1:32
	s_waitcnt lgkmcnt(0)
	; wave barrier
	s_waitcnt lgkmcnt(0)
	s_and_saveexec_b64 s[6:7], s[4:5]
	s_cbranch_execz .LBB95_19
; %bb.18:
	buffer_load_dword v72, v71, s[0:3], 0 offen offset:4
	buffer_load_dword v73, v71, s[0:3], 0 offen
	ds_read_b64 v[66:67], v1
	v_mov_b32_e32 v68, 0
	ds_read_b64 v[68:69], v68 offset:8
	s_waitcnt vmcnt(1) lgkmcnt(1)
	v_mul_f32_e32 v74, v67, v72
	v_mul_f32_e32 v72, v66, v72
	s_waitcnt vmcnt(0)
	v_fmac_f32_e32 v72, v67, v73
	v_fma_f32 v66, v66, v73, -v74
	v_add_f32_e32 v67, 0, v72
	v_add_f32_e32 v66, 0, v66
	s_waitcnt lgkmcnt(0)
	v_mul_f32_e32 v72, v67, v69
	v_mul_f32_e32 v69, v66, v69
	v_fma_f32 v66, v66, v68, -v72
	v_fmac_f32_e32 v69, v67, v68
	buffer_store_dword v66, off, s[0:3], 0 offset:8
	buffer_store_dword v69, off, s[0:3], 0 offset:12
.LBB95_19:
	s_or_b64 exec, exec, s[6:7]
	s_waitcnt lgkmcnt(0)
	; wave barrier
	buffer_load_dword v66, off, s[0:3], 0 offset:16
	buffer_load_dword v67, off, s[0:3], 0 offset:20
	v_cmp_gt_u32_e32 vcc, 2, v0
	s_waitcnt vmcnt(0)
	ds_write_b64 v1, v[66:67]
	s_waitcnt lgkmcnt(0)
	; wave barrier
	s_waitcnt lgkmcnt(0)
	s_and_saveexec_b64 s[6:7], vcc
	s_cbranch_execz .LBB95_23
; %bb.20:
	buffer_load_dword v68, v71, s[0:3], 0 offen offset:4
	buffer_load_dword v69, v71, s[0:3], 0 offen
	ds_read_b64 v[66:67], v1
	s_waitcnt vmcnt(1) lgkmcnt(0)
	v_mul_f32_e32 v71, v67, v68
	v_mul_f32_e32 v68, v66, v68
	s_waitcnt vmcnt(0)
	v_fma_f32 v66, v66, v69, -v71
	v_fmac_f32_e32 v68, v67, v69
	v_add_f32_e32 v67, 0, v66
	v_add_f32_e32 v66, 0, v68
	s_and_saveexec_b64 s[12:13], s[4:5]
	s_cbranch_execz .LBB95_22
; %bb.21:
	buffer_load_dword v71, off, s[0:3], 0 offset:12
	buffer_load_dword v72, off, s[0:3], 0 offset:8
	v_mov_b32_e32 v68, 0
	ds_read_b64 v[68:69], v68 offset:264
	s_waitcnt vmcnt(1) lgkmcnt(0)
	v_mul_f32_e32 v73, v68, v71
	v_mul_f32_e32 v71, v69, v71
	s_waitcnt vmcnt(0)
	v_fmac_f32_e32 v73, v69, v72
	v_fma_f32 v68, v68, v72, -v71
	v_add_f32_e32 v66, v66, v73
	v_add_f32_e32 v67, v67, v68
.LBB95_22:
	s_or_b64 exec, exec, s[12:13]
	v_mov_b32_e32 v68, 0
	ds_read_b64 v[68:69], v68 offset:16
	s_waitcnt lgkmcnt(0)
	v_mul_f32_e32 v71, v66, v69
	v_mul_f32_e32 v69, v67, v69
	v_fma_f32 v67, v67, v68, -v71
	v_fmac_f32_e32 v69, v66, v68
	buffer_store_dword v67, off, s[0:3], 0 offset:16
	buffer_store_dword v69, off, s[0:3], 0 offset:20
.LBB95_23:
	s_or_b64 exec, exec, s[6:7]
	s_waitcnt lgkmcnt(0)
	; wave barrier
	buffer_load_dword v66, off, s[0:3], 0 offset:24
	buffer_load_dword v67, off, s[0:3], 0 offset:28
	v_cmp_gt_u32_e32 vcc, 3, v0
	s_waitcnt vmcnt(0)
	ds_write_b64 v1, v[66:67]
	v_add_u32_e32 v66, -1, v0
	s_waitcnt lgkmcnt(0)
	; wave barrier
	s_waitcnt lgkmcnt(0)
	s_and_saveexec_b64 s[4:5], vcc
	s_cbranch_execz .LBB95_27
; %bb.24:
	v_add_u32_e32 v68, -1, v0
	v_add_u32_e32 v69, 0x100, v70
	v_add_u32_e32 v71, 0, v70
	s_mov_b64 s[6:7], 0
	v_mov_b32_e32 v67, 0
	v_mov_b32_e32 v72, 0
.LBB95_25:                              ; =>This Inner Loop Header: Depth=1
	buffer_load_dword v73, v71, s[0:3], 0 offen offset:4
	buffer_load_dword v76, v71, s[0:3], 0 offen
	ds_read_b64 v[74:75], v69
	v_add_u32_e32 v68, 1, v68
	v_cmp_lt_u32_e32 vcc, 1, v68
	v_add_u32_e32 v69, 8, v69
	v_add_u32_e32 v71, 8, v71
	s_or_b64 s[6:7], vcc, s[6:7]
	s_waitcnt vmcnt(1) lgkmcnt(0)
	v_mul_f32_e32 v77, v75, v73
	v_mul_f32_e32 v73, v74, v73
	s_waitcnt vmcnt(0)
	v_fma_f32 v74, v74, v76, -v77
	v_fmac_f32_e32 v73, v75, v76
	v_add_f32_e32 v72, v72, v74
	v_add_f32_e32 v67, v67, v73
	s_andn2_b64 exec, exec, s[6:7]
	s_cbranch_execnz .LBB95_25
; %bb.26:
	s_or_b64 exec, exec, s[6:7]
	v_mov_b32_e32 v68, 0
	ds_read_b64 v[68:69], v68 offset:24
	s_waitcnt lgkmcnt(0)
	v_mul_f32_e32 v71, v67, v69
	v_mul_f32_e32 v69, v72, v69
	v_fma_f32 v71, v72, v68, -v71
	v_fmac_f32_e32 v69, v67, v68
	buffer_store_dword v71, off, s[0:3], 0 offset:24
	buffer_store_dword v69, off, s[0:3], 0 offset:28
.LBB95_27:
	s_or_b64 exec, exec, s[4:5]
	s_waitcnt lgkmcnt(0)
	; wave barrier
	buffer_load_dword v68, off, s[0:3], 0 offset:32
	buffer_load_dword v69, off, s[0:3], 0 offset:36
	v_cmp_gt_u32_e32 vcc, 4, v0
	s_waitcnt vmcnt(0)
	ds_write_b64 v1, v[68:69]
	s_waitcnt lgkmcnt(0)
	; wave barrier
	s_waitcnt lgkmcnt(0)
	s_and_saveexec_b64 s[4:5], vcc
	s_cbranch_execz .LBB95_31
; %bb.28:
	v_add_u32_e32 v68, -1, v0
	v_add_u32_e32 v69, 0x100, v70
	v_add_u32_e32 v71, 0, v70
	s_mov_b64 s[6:7], 0
	v_mov_b32_e32 v67, 0
	v_mov_b32_e32 v72, 0
.LBB95_29:                              ; =>This Inner Loop Header: Depth=1
	buffer_load_dword v73, v71, s[0:3], 0 offen offset:4
	buffer_load_dword v76, v71, s[0:3], 0 offen
	ds_read_b64 v[74:75], v69
	v_add_u32_e32 v68, 1, v68
	v_cmp_lt_u32_e32 vcc, 2, v68
	v_add_u32_e32 v69, 8, v69
	v_add_u32_e32 v71, 8, v71
	s_or_b64 s[6:7], vcc, s[6:7]
	s_waitcnt vmcnt(1) lgkmcnt(0)
	v_mul_f32_e32 v77, v75, v73
	v_mul_f32_e32 v73, v74, v73
	s_waitcnt vmcnt(0)
	v_fma_f32 v74, v74, v76, -v77
	v_fmac_f32_e32 v73, v75, v76
	v_add_f32_e32 v72, v72, v74
	v_add_f32_e32 v67, v67, v73
	s_andn2_b64 exec, exec, s[6:7]
	s_cbranch_execnz .LBB95_29
; %bb.30:
	s_or_b64 exec, exec, s[6:7]
	v_mov_b32_e32 v68, 0
	ds_read_b64 v[68:69], v68 offset:32
	s_waitcnt lgkmcnt(0)
	v_mul_f32_e32 v71, v67, v69
	v_mul_f32_e32 v69, v72, v69
	v_fma_f32 v71, v72, v68, -v71
	v_fmac_f32_e32 v69, v67, v68
	buffer_store_dword v71, off, s[0:3], 0 offset:32
	buffer_store_dword v69, off, s[0:3], 0 offset:36
.LBB95_31:
	s_or_b64 exec, exec, s[4:5]
	s_waitcnt lgkmcnt(0)
	; wave barrier
	buffer_load_dword v68, off, s[0:3], 0 offset:40
	buffer_load_dword v69, off, s[0:3], 0 offset:44
	v_cmp_gt_u32_e32 vcc, 5, v0
	s_waitcnt vmcnt(0)
	ds_write_b64 v1, v[68:69]
	;; [unrolled: 51-line block ×19, first 2 shown]
	s_waitcnt lgkmcnt(0)
	; wave barrier
	s_waitcnt lgkmcnt(0)
	s_and_saveexec_b64 s[4:5], vcc
	s_cbranch_execz .LBB95_103
; %bb.100:
	v_add_u32_e32 v68, -1, v0
	v_add_u32_e32 v69, 0x100, v70
	v_add_u32_e32 v71, 0, v70
	s_mov_b64 s[6:7], 0
	v_mov_b32_e32 v67, 0
	v_mov_b32_e32 v72, 0
.LBB95_101:                             ; =>This Inner Loop Header: Depth=1
	buffer_load_dword v73, v71, s[0:3], 0 offen offset:4
	buffer_load_dword v76, v71, s[0:3], 0 offen
	ds_read_b64 v[74:75], v69
	v_add_u32_e32 v68, 1, v68
	v_cmp_lt_u32_e32 vcc, 20, v68
	v_add_u32_e32 v69, 8, v69
	v_add_u32_e32 v71, 8, v71
	s_or_b64 s[6:7], vcc, s[6:7]
	s_waitcnt vmcnt(1) lgkmcnt(0)
	v_mul_f32_e32 v77, v75, v73
	v_mul_f32_e32 v73, v74, v73
	s_waitcnt vmcnt(0)
	v_fma_f32 v74, v74, v76, -v77
	v_fmac_f32_e32 v73, v75, v76
	v_add_f32_e32 v72, v72, v74
	v_add_f32_e32 v67, v67, v73
	s_andn2_b64 exec, exec, s[6:7]
	s_cbranch_execnz .LBB95_101
; %bb.102:
	s_or_b64 exec, exec, s[6:7]
	v_mov_b32_e32 v68, 0
	ds_read_b64 v[68:69], v68 offset:176
	s_waitcnt lgkmcnt(0)
	v_mul_f32_e32 v71, v67, v69
	v_mul_f32_e32 v69, v72, v69
	v_fma_f32 v71, v72, v68, -v71
	v_fmac_f32_e32 v69, v67, v68
	buffer_store_dword v71, off, s[0:3], 0 offset:176
	buffer_store_dword v69, off, s[0:3], 0 offset:180
.LBB95_103:
	s_or_b64 exec, exec, s[4:5]
	s_waitcnt lgkmcnt(0)
	; wave barrier
	buffer_load_dword v68, off, s[0:3], 0 offset:184
	buffer_load_dword v69, off, s[0:3], 0 offset:188
	v_cmp_gt_u32_e32 vcc, 23, v0
	s_waitcnt vmcnt(0)
	ds_write_b64 v1, v[68:69]
	s_waitcnt lgkmcnt(0)
	; wave barrier
	s_waitcnt lgkmcnt(0)
	s_and_saveexec_b64 s[4:5], vcc
	s_cbranch_execz .LBB95_107
; %bb.104:
	v_add_u32_e32 v68, -1, v0
	v_add_u32_e32 v69, 0x100, v70
	v_add_u32_e32 v71, 0, v70
	s_mov_b64 s[6:7], 0
	v_mov_b32_e32 v67, 0
	v_mov_b32_e32 v72, 0
.LBB95_105:                             ; =>This Inner Loop Header: Depth=1
	buffer_load_dword v73, v71, s[0:3], 0 offen offset:4
	buffer_load_dword v76, v71, s[0:3], 0 offen
	ds_read_b64 v[74:75], v69
	v_add_u32_e32 v68, 1, v68
	v_cmp_lt_u32_e32 vcc, 21, v68
	v_add_u32_e32 v69, 8, v69
	v_add_u32_e32 v71, 8, v71
	s_or_b64 s[6:7], vcc, s[6:7]
	s_waitcnt vmcnt(1) lgkmcnt(0)
	v_mul_f32_e32 v77, v75, v73
	v_mul_f32_e32 v73, v74, v73
	s_waitcnt vmcnt(0)
	v_fma_f32 v74, v74, v76, -v77
	v_fmac_f32_e32 v73, v75, v76
	v_add_f32_e32 v72, v72, v74
	v_add_f32_e32 v67, v67, v73
	s_andn2_b64 exec, exec, s[6:7]
	s_cbranch_execnz .LBB95_105
; %bb.106:
	s_or_b64 exec, exec, s[6:7]
	v_mov_b32_e32 v68, 0
	ds_read_b64 v[68:69], v68 offset:184
	s_waitcnt lgkmcnt(0)
	v_mul_f32_e32 v71, v67, v69
	v_mul_f32_e32 v69, v72, v69
	v_fma_f32 v71, v72, v68, -v71
	v_fmac_f32_e32 v69, v67, v68
	buffer_store_dword v71, off, s[0:3], 0 offset:184
	buffer_store_dword v69, off, s[0:3], 0 offset:188
.LBB95_107:
	s_or_b64 exec, exec, s[4:5]
	s_waitcnt lgkmcnt(0)
	; wave barrier
	buffer_load_dword v68, off, s[0:3], 0 offset:192
	buffer_load_dword v69, off, s[0:3], 0 offset:196
	v_cmp_gt_u32_e32 vcc, 24, v0
	s_waitcnt vmcnt(0)
	ds_write_b64 v1, v[68:69]
	;; [unrolled: 51-line block ×8, first 2 shown]
	s_waitcnt lgkmcnt(0)
	; wave barrier
	s_waitcnt lgkmcnt(0)
	s_and_saveexec_b64 s[4:5], vcc
	s_cbranch_execz .LBB95_135
; %bb.132:
	v_add_u32_e32 v68, -1, v0
	v_add_u32_e32 v69, 0x100, v70
	v_add_u32_e32 v71, 0, v70
	s_mov_b64 s[6:7], 0
	v_mov_b32_e32 v67, 0
	v_mov_b32_e32 v72, 0
.LBB95_133:                             ; =>This Inner Loop Header: Depth=1
	buffer_load_dword v73, v71, s[0:3], 0 offen offset:4
	buffer_load_dword v76, v71, s[0:3], 0 offen
	ds_read_b64 v[74:75], v69
	v_add_u32_e32 v68, 1, v68
	v_cmp_lt_u32_e32 vcc, 28, v68
	v_add_u32_e32 v69, 8, v69
	v_add_u32_e32 v71, 8, v71
	s_or_b64 s[6:7], vcc, s[6:7]
	s_waitcnt vmcnt(1) lgkmcnt(0)
	v_mul_f32_e32 v77, v75, v73
	v_mul_f32_e32 v73, v74, v73
	s_waitcnt vmcnt(0)
	v_fma_f32 v74, v74, v76, -v77
	v_fmac_f32_e32 v73, v75, v76
	v_add_f32_e32 v72, v72, v74
	v_add_f32_e32 v67, v67, v73
	s_andn2_b64 exec, exec, s[6:7]
	s_cbranch_execnz .LBB95_133
; %bb.134:
	s_or_b64 exec, exec, s[6:7]
	v_mov_b32_e32 v68, 0
	ds_read_b64 v[68:69], v68 offset:240
	s_waitcnt lgkmcnt(0)
	v_mul_f32_e32 v71, v67, v69
	v_mul_f32_e32 v69, v72, v69
	v_fma_f32 v71, v72, v68, -v71
	v_fmac_f32_e32 v69, v67, v68
	buffer_store_dword v71, off, s[0:3], 0 offset:240
	buffer_store_dword v69, off, s[0:3], 0 offset:244
.LBB95_135:
	s_or_b64 exec, exec, s[4:5]
	s_waitcnt lgkmcnt(0)
	; wave barrier
	buffer_load_dword v68, off, s[0:3], 0 offset:248
	buffer_load_dword v69, off, s[0:3], 0 offset:252
	v_cmp_ne_u32_e32 vcc, 31, v0
	s_waitcnt vmcnt(0)
	ds_write_b64 v1, v[68:69]
	s_waitcnt lgkmcnt(0)
	; wave barrier
	s_waitcnt lgkmcnt(0)
	s_and_saveexec_b64 s[4:5], vcc
	s_cbranch_execz .LBB95_139
; %bb.136:
	v_add_u32_e32 v67, 0x100, v70
	v_add_u32_e32 v68, 0, v70
	s_mov_b64 s[6:7], 0
	v_mov_b32_e32 v1, 0
	v_mov_b32_e32 v69, 0
.LBB95_137:                             ; =>This Inner Loop Header: Depth=1
	buffer_load_dword v72, v68, s[0:3], 0 offen offset:4
	buffer_load_dword v73, v68, s[0:3], 0 offen
	ds_read_b64 v[70:71], v67
	v_add_u32_e32 v66, 1, v66
	v_cmp_lt_u32_e32 vcc, 29, v66
	v_add_u32_e32 v67, 8, v67
	v_add_u32_e32 v68, 8, v68
	s_or_b64 s[6:7], vcc, s[6:7]
	s_waitcnt vmcnt(1) lgkmcnt(0)
	v_mul_f32_e32 v74, v71, v72
	v_mul_f32_e32 v72, v70, v72
	s_waitcnt vmcnt(0)
	v_fma_f32 v70, v70, v73, -v74
	v_fmac_f32_e32 v72, v71, v73
	v_add_f32_e32 v69, v69, v70
	v_add_f32_e32 v1, v1, v72
	s_andn2_b64 exec, exec, s[6:7]
	s_cbranch_execnz .LBB95_137
; %bb.138:
	s_or_b64 exec, exec, s[6:7]
	v_mov_b32_e32 v66, 0
	ds_read_b64 v[66:67], v66 offset:248
	s_waitcnt lgkmcnt(0)
	v_mul_f32_e32 v68, v1, v67
	v_mul_f32_e32 v67, v69, v67
	v_fma_f32 v68, v69, v66, -v68
	v_fmac_f32_e32 v67, v1, v66
	buffer_store_dword v68, off, s[0:3], 0 offset:248
	buffer_store_dword v67, off, s[0:3], 0 offset:252
.LBB95_139:
	s_or_b64 exec, exec, s[4:5]
	s_mov_b64 s[6:7], -1
	s_waitcnt lgkmcnt(0)
	; wave barrier
.LBB95_140:
	s_and_b64 vcc, exec, s[6:7]
	s_cbranch_vccz .LBB95_142
; %bb.141:
	s_lshl_b64 s[4:5], s[8:9], 2
	s_add_u32 s4, s14, s4
	s_addc_u32 s5, s15, s5
	v_mov_b32_e32 v1, 0
	global_load_dword v1, v1, s[4:5]
	s_waitcnt vmcnt(0)
	v_cmp_ne_u32_e32 vcc, 0, v1
	s_cbranch_vccz .LBB95_143
.LBB95_142:
	s_endpgm
.LBB95_143:
	v_mov_b32_e32 v1, 0x100
	v_lshl_add_u32 v1, v0, 3, v1
	v_cmp_eq_u32_e32 vcc, 31, v0
	s_and_saveexec_b64 s[4:5], vcc
	s_cbranch_execz .LBB95_145
; %bb.144:
	buffer_load_dword v66, off, s[0:3], 0 offset:240
	buffer_load_dword v67, off, s[0:3], 0 offset:244
	v_mov_b32_e32 v68, 0
	buffer_store_dword v68, off, s[0:3], 0 offset:240
	buffer_store_dword v68, off, s[0:3], 0 offset:244
	s_waitcnt vmcnt(2)
	ds_write_b64 v1, v[66:67]
.LBB95_145:
	s_or_b64 exec, exec, s[4:5]
	s_waitcnt lgkmcnt(0)
	; wave barrier
	s_waitcnt lgkmcnt(0)
	buffer_load_dword v69, off, s[0:3], 0 offset:252
	buffer_load_dword v68, off, s[0:3], 0 offset:248
	;; [unrolled: 1-line block ×4, first 2 shown]
	v_mov_b32_e32 v66, 0
	ds_read_b64 v[72:73], v66 offset:504
	v_cmp_lt_u32_e32 vcc, 29, v0
	s_waitcnt vmcnt(3)
	v_mov_b32_e32 v74, v69
	s_waitcnt lgkmcnt(0)
	v_pk_mul_f32 v[74:75], v[72:73], v[74:75] op_sel_hi:[1,0]
	s_waitcnt vmcnt(2)
	v_pk_fma_f32 v[76:77], v[72:73], v[68:69], v[74:75] op_sel:[0,0,1] op_sel_hi:[1,1,0] neg_lo:[0,0,1] neg_hi:[0,0,1]
	v_pk_fma_f32 v[68:69], v[72:73], v[68:69], v[74:75] op_sel:[0,0,1] op_sel_hi:[1,0,0]
	v_mov_b32_e32 v77, v69
	v_pk_add_f32 v[68:69], v[76:77], 0 op_sel_hi:[1,0]
	s_waitcnt vmcnt(0)
	v_pk_add_f32 v[68:69], v[70:71], v[68:69] neg_lo:[0,1] neg_hi:[0,1]
	buffer_store_dword v68, off, s[0:3], 0 offset:240
	buffer_store_dword v69, off, s[0:3], 0 offset:244
	s_and_saveexec_b64 s[4:5], vcc
	s_cbranch_execz .LBB95_147
; %bb.146:
	buffer_load_dword v68, off, s[0:3], 0 offset:232
	buffer_load_dword v69, off, s[0:3], 0 offset:236
	s_waitcnt vmcnt(0)
	ds_write_b64 v1, v[68:69]
	buffer_store_dword v66, off, s[0:3], 0 offset:232
	buffer_store_dword v66, off, s[0:3], 0 offset:236
.LBB95_147:
	s_or_b64 exec, exec, s[4:5]
	s_waitcnt lgkmcnt(0)
	; wave barrier
	s_waitcnt lgkmcnt(0)
	buffer_load_dword v71, off, s[0:3], 0 offset:244
	buffer_load_dword v73, off, s[0:3], 0 offset:252
	;; [unrolled: 1-line block ×6, first 2 shown]
	ds_read_b128 v[66:69], v66 offset:496
	v_cmp_lt_u32_e32 vcc, 28, v0
	s_waitcnt vmcnt(5)
	v_mov_b32_e32 v76, v71
	s_waitcnt vmcnt(4)
	v_mov_b32_e32 v78, v73
	s_waitcnt lgkmcnt(0)
	v_pk_mul_f32 v[76:77], v[66:67], v[76:77] op_sel_hi:[1,0]
	v_pk_mul_f32 v[78:79], v[68:69], v[78:79] op_sel_hi:[1,0]
	s_waitcnt vmcnt(3)
	v_pk_fma_f32 v[80:81], v[66:67], v[70:71], v[76:77] op_sel:[0,0,1] op_sel_hi:[1,1,0] neg_lo:[0,0,1] neg_hi:[0,0,1]
	v_pk_fma_f32 v[66:67], v[66:67], v[70:71], v[76:77] op_sel:[0,0,1] op_sel_hi:[1,0,0]
	s_waitcnt vmcnt(2)
	v_pk_fma_f32 v[70:71], v[68:69], v[72:73], v[78:79] op_sel:[0,0,1] op_sel_hi:[1,1,0] neg_lo:[0,0,1] neg_hi:[0,0,1]
	v_pk_fma_f32 v[68:69], v[68:69], v[72:73], v[78:79] op_sel:[0,0,1] op_sel_hi:[1,0,0]
	v_mov_b32_e32 v81, v67
	v_mov_b32_e32 v71, v69
	v_pk_add_f32 v[66:67], v[80:81], 0 op_sel_hi:[1,0]
	v_pk_add_f32 v[66:67], v[66:67], v[70:71]
	s_waitcnt vmcnt(0)
	v_pk_add_f32 v[66:67], v[74:75], v[66:67] neg_lo:[0,1] neg_hi:[0,1]
	buffer_store_dword v66, off, s[0:3], 0 offset:232
	buffer_store_dword v67, off, s[0:3], 0 offset:236
	s_and_saveexec_b64 s[4:5], vcc
	s_cbranch_execz .LBB95_149
; %bb.148:
	buffer_load_dword v66, off, s[0:3], 0 offset:224
	buffer_load_dword v67, off, s[0:3], 0 offset:228
	v_mov_b32_e32 v68, 0
	buffer_store_dword v68, off, s[0:3], 0 offset:224
	buffer_store_dword v68, off, s[0:3], 0 offset:228
	s_waitcnt vmcnt(2)
	ds_write_b64 v1, v[66:67]
.LBB95_149:
	s_or_b64 exec, exec, s[4:5]
	s_waitcnt lgkmcnt(0)
	; wave barrier
	s_waitcnt lgkmcnt(0)
	buffer_load_dword v73, off, s[0:3], 0 offset:236
	buffer_load_dword v75, off, s[0:3], 0 offset:244
	;; [unrolled: 1-line block ×8, first 2 shown]
	v_mov_b32_e32 v66, 0
	ds_read2_b64 v[68:71], v66 offset0:61 offset1:62
	ds_read_b64 v[80:81], v66 offset:504
	v_cmp_lt_u32_e32 vcc, 27, v0
	s_waitcnt vmcnt(7)
	v_mov_b32_e32 v82, v73
	s_waitcnt vmcnt(6)
	v_mov_b32_e32 v84, v75
	s_waitcnt lgkmcnt(1)
	v_pk_mul_f32 v[82:83], v[68:69], v[82:83] op_sel_hi:[1,0]
	s_waitcnt vmcnt(5)
	v_mov_b32_e32 v86, v77
	v_pk_mul_f32 v[84:85], v[70:71], v[84:85] op_sel_hi:[1,0]
	s_waitcnt vmcnt(4)
	v_pk_fma_f32 v[88:89], v[68:69], v[72:73], v[82:83] op_sel:[0,0,1] op_sel_hi:[1,1,0] neg_lo:[0,0,1] neg_hi:[0,0,1]
	v_pk_fma_f32 v[68:69], v[68:69], v[72:73], v[82:83] op_sel:[0,0,1] op_sel_hi:[1,0,0]
	s_waitcnt lgkmcnt(0)
	v_pk_mul_f32 v[86:87], v[80:81], v[86:87] op_sel_hi:[1,0]
	s_waitcnt vmcnt(3)
	v_pk_fma_f32 v[72:73], v[70:71], v[74:75], v[84:85] op_sel:[0,0,1] op_sel_hi:[1,1,0] neg_lo:[0,0,1] neg_hi:[0,0,1]
	v_pk_fma_f32 v[70:71], v[70:71], v[74:75], v[84:85] op_sel:[0,0,1] op_sel_hi:[1,0,0]
	v_mov_b32_e32 v89, v69
	s_waitcnt vmcnt(2)
	v_pk_fma_f32 v[74:75], v[80:81], v[76:77], v[86:87] op_sel:[0,0,1] op_sel_hi:[1,1,0] neg_lo:[0,0,1] neg_hi:[0,0,1]
	v_pk_fma_f32 v[76:77], v[80:81], v[76:77], v[86:87] op_sel:[0,0,1] op_sel_hi:[1,0,0]
	v_mov_b32_e32 v73, v71
	v_pk_add_f32 v[68:69], v[88:89], 0 op_sel_hi:[1,0]
	v_mov_b32_e32 v75, v77
	v_pk_add_f32 v[68:69], v[68:69], v[72:73]
	v_pk_add_f32 v[68:69], v[68:69], v[74:75]
	s_waitcnt vmcnt(0)
	v_pk_add_f32 v[68:69], v[78:79], v[68:69] neg_lo:[0,1] neg_hi:[0,1]
	buffer_store_dword v68, off, s[0:3], 0 offset:224
	buffer_store_dword v69, off, s[0:3], 0 offset:228
	s_and_saveexec_b64 s[4:5], vcc
	s_cbranch_execz .LBB95_151
; %bb.150:
	buffer_load_dword v68, off, s[0:3], 0 offset:216
	buffer_load_dword v69, off, s[0:3], 0 offset:220
	s_waitcnt vmcnt(0)
	ds_write_b64 v1, v[68:69]
	buffer_store_dword v66, off, s[0:3], 0 offset:216
	buffer_store_dword v66, off, s[0:3], 0 offset:220
.LBB95_151:
	s_or_b64 exec, exec, s[4:5]
	s_waitcnt lgkmcnt(0)
	; wave barrier
	s_waitcnt lgkmcnt(0)
	buffer_load_dword v77, off, s[0:3], 0 offset:228
	buffer_load_dword v79, off, s[0:3], 0 offset:236
	buffer_load_dword v81, off, s[0:3], 0 offset:244
	buffer_load_dword v83, off, s[0:3], 0 offset:252
	buffer_load_dword v76, off, s[0:3], 0 offset:224
	buffer_load_dword v78, off, s[0:3], 0 offset:232
	buffer_load_dword v80, off, s[0:3], 0 offset:240
	buffer_load_dword v82, off, s[0:3], 0 offset:248
	buffer_load_dword v84, off, s[0:3], 0 offset:216
	buffer_load_dword v85, off, s[0:3], 0 offset:220
	ds_read_b128 v[68:71], v66 offset:480
	ds_read_b128 v[72:75], v66 offset:496
	v_cmp_lt_u32_e32 vcc, 26, v0
	s_waitcnt vmcnt(9)
	v_mov_b32_e32 v66, v77
	s_waitcnt vmcnt(8)
	v_mov_b32_e32 v86, v79
	s_waitcnt lgkmcnt(1)
	v_pk_mul_f32 v[66:67], v[68:69], v[66:67] op_sel_hi:[1,0]
	s_waitcnt vmcnt(7)
	v_mov_b32_e32 v88, v81
	v_pk_mul_f32 v[86:87], v[70:71], v[86:87] op_sel_hi:[1,0]
	s_waitcnt vmcnt(5)
	v_pk_fma_f32 v[92:93], v[68:69], v[76:77], v[66:67] op_sel:[0,0,1] op_sel_hi:[1,1,0] neg_lo:[0,0,1] neg_hi:[0,0,1]
	v_pk_fma_f32 v[66:67], v[68:69], v[76:77], v[66:67] op_sel:[0,0,1] op_sel_hi:[1,0,0]
	v_mov_b32_e32 v90, v83
	s_waitcnt lgkmcnt(0)
	v_pk_mul_f32 v[88:89], v[72:73], v[88:89] op_sel_hi:[1,0]
	s_waitcnt vmcnt(4)
	v_pk_fma_f32 v[68:69], v[70:71], v[78:79], v[86:87] op_sel:[0,0,1] op_sel_hi:[1,1,0] neg_lo:[0,0,1] neg_hi:[0,0,1]
	v_pk_fma_f32 v[70:71], v[70:71], v[78:79], v[86:87] op_sel:[0,0,1] op_sel_hi:[1,0,0]
	v_mov_b32_e32 v93, v67
	v_pk_mul_f32 v[90:91], v[74:75], v[90:91] op_sel_hi:[1,0]
	s_waitcnt vmcnt(3)
	v_pk_fma_f32 v[76:77], v[72:73], v[80:81], v[88:89] op_sel:[0,0,1] op_sel_hi:[1,1,0] neg_lo:[0,0,1] neg_hi:[0,0,1]
	v_pk_fma_f32 v[72:73], v[72:73], v[80:81], v[88:89] op_sel:[0,0,1] op_sel_hi:[1,0,0]
	v_mov_b32_e32 v69, v71
	v_pk_add_f32 v[66:67], v[92:93], 0 op_sel_hi:[1,0]
	s_waitcnt vmcnt(2)
	v_pk_fma_f32 v[78:79], v[74:75], v[82:83], v[90:91] op_sel:[0,0,1] op_sel_hi:[1,1,0] neg_lo:[0,0,1] neg_hi:[0,0,1]
	v_pk_fma_f32 v[74:75], v[74:75], v[82:83], v[90:91] op_sel:[0,0,1] op_sel_hi:[1,0,0]
	v_mov_b32_e32 v77, v73
	v_pk_add_f32 v[66:67], v[66:67], v[68:69]
	v_mov_b32_e32 v79, v75
	v_pk_add_f32 v[66:67], v[66:67], v[76:77]
	v_pk_add_f32 v[66:67], v[66:67], v[78:79]
	s_waitcnt vmcnt(0)
	v_pk_add_f32 v[66:67], v[84:85], v[66:67] neg_lo:[0,1] neg_hi:[0,1]
	buffer_store_dword v66, off, s[0:3], 0 offset:216
	buffer_store_dword v67, off, s[0:3], 0 offset:220
	s_and_saveexec_b64 s[4:5], vcc
	s_cbranch_execz .LBB95_153
; %bb.152:
	buffer_load_dword v66, off, s[0:3], 0 offset:208
	buffer_load_dword v67, off, s[0:3], 0 offset:212
	v_mov_b32_e32 v68, 0
	buffer_store_dword v68, off, s[0:3], 0 offset:208
	buffer_store_dword v68, off, s[0:3], 0 offset:212
	s_waitcnt vmcnt(2)
	ds_write_b64 v1, v[66:67]
.LBB95_153:
	s_or_b64 exec, exec, s[4:5]
	s_waitcnt lgkmcnt(0)
	; wave barrier
	s_waitcnt lgkmcnt(0)
	buffer_load_dword v77, off, s[0:3], 0 offset:220
	buffer_load_dword v79, off, s[0:3], 0 offset:228
	buffer_load_dword v81, off, s[0:3], 0 offset:236
	buffer_load_dword v83, off, s[0:3], 0 offset:244
	buffer_load_dword v85, off, s[0:3], 0 offset:252
	buffer_load_dword v76, off, s[0:3], 0 offset:216
	buffer_load_dword v78, off, s[0:3], 0 offset:224
	buffer_load_dword v80, off, s[0:3], 0 offset:232
	buffer_load_dword v82, off, s[0:3], 0 offset:240
	buffer_load_dword v84, off, s[0:3], 0 offset:248
	buffer_load_dword v86, off, s[0:3], 0 offset:208
	buffer_load_dword v87, off, s[0:3], 0 offset:212
	v_mov_b32_e32 v66, 0
	ds_read2_b64 v[68:71], v66 offset0:59 offset1:60
	ds_read2_b64 v[72:75], v66 offset0:61 offset1:62
	ds_read_b64 v[88:89], v66 offset:504
	v_cmp_lt_u32_e32 vcc, 25, v0
	s_waitcnt vmcnt(11)
	v_mov_b32_e32 v90, v77
	s_waitcnt vmcnt(10)
	v_mov_b32_e32 v92, v79
	s_waitcnt lgkmcnt(2)
	v_pk_mul_f32 v[90:91], v[68:69], v[90:91] op_sel_hi:[1,0]
	s_waitcnt vmcnt(9)
	v_mov_b32_e32 v94, v81
	v_pk_mul_f32 v[92:93], v[70:71], v[92:93] op_sel_hi:[1,0]
	s_waitcnt vmcnt(6)
	v_pk_fma_f32 v[100:101], v[68:69], v[76:77], v[90:91] op_sel:[0,0,1] op_sel_hi:[1,1,0] neg_lo:[0,0,1] neg_hi:[0,0,1]
	v_pk_fma_f32 v[68:69], v[68:69], v[76:77], v[90:91] op_sel:[0,0,1] op_sel_hi:[1,0,0]
	v_mov_b32_e32 v96, v83
	s_waitcnt lgkmcnt(1)
	v_pk_mul_f32 v[94:95], v[72:73], v[94:95] op_sel_hi:[1,0]
	s_waitcnt vmcnt(5)
	v_pk_fma_f32 v[76:77], v[70:71], v[78:79], v[92:93] op_sel:[0,0,1] op_sel_hi:[1,1,0] neg_lo:[0,0,1] neg_hi:[0,0,1]
	v_pk_fma_f32 v[70:71], v[70:71], v[78:79], v[92:93] op_sel:[0,0,1] op_sel_hi:[1,0,0]
	v_mov_b32_e32 v101, v69
	v_mov_b32_e32 v98, v85
	v_pk_mul_f32 v[96:97], v[74:75], v[96:97] op_sel_hi:[1,0]
	s_waitcnt vmcnt(4)
	v_pk_fma_f32 v[78:79], v[72:73], v[80:81], v[94:95] op_sel:[0,0,1] op_sel_hi:[1,1,0] neg_lo:[0,0,1] neg_hi:[0,0,1]
	v_pk_fma_f32 v[72:73], v[72:73], v[80:81], v[94:95] op_sel:[0,0,1] op_sel_hi:[1,0,0]
	v_mov_b32_e32 v77, v71
	v_pk_add_f32 v[68:69], v[100:101], 0 op_sel_hi:[1,0]
	s_waitcnt lgkmcnt(0)
	v_pk_mul_f32 v[98:99], v[88:89], v[98:99] op_sel_hi:[1,0]
	s_waitcnt vmcnt(3)
	v_pk_fma_f32 v[80:81], v[74:75], v[82:83], v[96:97] op_sel:[0,0,1] op_sel_hi:[1,1,0] neg_lo:[0,0,1] neg_hi:[0,0,1]
	v_pk_fma_f32 v[74:75], v[74:75], v[82:83], v[96:97] op_sel:[0,0,1] op_sel_hi:[1,0,0]
	v_mov_b32_e32 v79, v73
	v_pk_add_f32 v[68:69], v[68:69], v[76:77]
	s_waitcnt vmcnt(2)
	v_pk_fma_f32 v[82:83], v[88:89], v[84:85], v[98:99] op_sel:[0,0,1] op_sel_hi:[1,1,0] neg_lo:[0,0,1] neg_hi:[0,0,1]
	v_pk_fma_f32 v[84:85], v[88:89], v[84:85], v[98:99] op_sel:[0,0,1] op_sel_hi:[1,0,0]
	v_mov_b32_e32 v81, v75
	v_pk_add_f32 v[68:69], v[68:69], v[78:79]
	v_mov_b32_e32 v83, v85
	v_pk_add_f32 v[68:69], v[68:69], v[80:81]
	v_pk_add_f32 v[68:69], v[68:69], v[82:83]
	s_waitcnt vmcnt(0)
	v_pk_add_f32 v[68:69], v[86:87], v[68:69] neg_lo:[0,1] neg_hi:[0,1]
	buffer_store_dword v68, off, s[0:3], 0 offset:208
	buffer_store_dword v69, off, s[0:3], 0 offset:212
	s_and_saveexec_b64 s[4:5], vcc
	s_cbranch_execz .LBB95_155
; %bb.154:
	buffer_load_dword v68, off, s[0:3], 0 offset:200
	buffer_load_dword v69, off, s[0:3], 0 offset:204
	s_waitcnt vmcnt(0)
	ds_write_b64 v1, v[68:69]
	buffer_store_dword v66, off, s[0:3], 0 offset:200
	buffer_store_dword v66, off, s[0:3], 0 offset:204
.LBB95_155:
	s_or_b64 exec, exec, s[4:5]
	s_waitcnt lgkmcnt(0)
	; wave barrier
	s_waitcnt lgkmcnt(0)
	buffer_load_dword v81, off, s[0:3], 0 offset:212
	buffer_load_dword v83, off, s[0:3], 0 offset:220
	;; [unrolled: 1-line block ×14, first 2 shown]
	ds_read_b128 v[68:71], v66 offset:464
	ds_read_b128 v[72:75], v66 offset:480
	;; [unrolled: 1-line block ×3, first 2 shown]
	v_cmp_lt_u32_e32 vcc, 24, v0
	s_waitcnt vmcnt(13)
	v_mov_b32_e32 v66, v81
	s_waitcnt vmcnt(12)
	v_mov_b32_e32 v94, v83
	s_waitcnt lgkmcnt(2)
	v_pk_mul_f32 v[66:67], v[68:69], v[66:67] op_sel_hi:[1,0]
	s_waitcnt vmcnt(11)
	v_mov_b32_e32 v96, v85
	v_pk_mul_f32 v[94:95], v[70:71], v[94:95] op_sel_hi:[1,0]
	s_waitcnt vmcnt(10)
	v_mov_b32_e32 v98, v87
	s_waitcnt vmcnt(7)
	v_pk_fma_f32 v[104:105], v[68:69], v[80:81], v[66:67] op_sel:[0,0,1] op_sel_hi:[1,1,0] neg_lo:[0,0,1] neg_hi:[0,0,1]
	v_pk_fma_f32 v[66:67], v[68:69], v[80:81], v[66:67] op_sel:[0,0,1] op_sel_hi:[1,0,0]
	s_waitcnt lgkmcnt(1)
	v_pk_mul_f32 v[96:97], v[72:73], v[96:97] op_sel_hi:[1,0]
	s_waitcnt vmcnt(6)
	v_pk_fma_f32 v[68:69], v[70:71], v[82:83], v[94:95] op_sel:[0,0,1] op_sel_hi:[1,1,0] neg_lo:[0,0,1] neg_hi:[0,0,1]
	v_pk_fma_f32 v[70:71], v[70:71], v[82:83], v[94:95] op_sel:[0,0,1] op_sel_hi:[1,0,0]
	v_mov_b32_e32 v105, v67
	v_mov_b32_e32 v100, v89
	v_pk_mul_f32 v[98:99], v[74:75], v[98:99] op_sel_hi:[1,0]
	s_waitcnt vmcnt(5)
	v_pk_fma_f32 v[80:81], v[72:73], v[84:85], v[96:97] op_sel:[0,0,1] op_sel_hi:[1,1,0] neg_lo:[0,0,1] neg_hi:[0,0,1]
	v_pk_fma_f32 v[72:73], v[72:73], v[84:85], v[96:97] op_sel:[0,0,1] op_sel_hi:[1,0,0]
	v_mov_b32_e32 v69, v71
	v_pk_add_f32 v[66:67], v[104:105], 0 op_sel_hi:[1,0]
	v_mov_b32_e32 v102, v91
	s_waitcnt lgkmcnt(0)
	v_pk_mul_f32 v[100:101], v[76:77], v[100:101] op_sel_hi:[1,0]
	s_waitcnt vmcnt(4)
	v_pk_fma_f32 v[82:83], v[74:75], v[86:87], v[98:99] op_sel:[0,0,1] op_sel_hi:[1,1,0] neg_lo:[0,0,1] neg_hi:[0,0,1]
	v_pk_fma_f32 v[74:75], v[74:75], v[86:87], v[98:99] op_sel:[0,0,1] op_sel_hi:[1,0,0]
	v_mov_b32_e32 v81, v73
	v_pk_add_f32 v[66:67], v[66:67], v[68:69]
	v_pk_mul_f32 v[102:103], v[78:79], v[102:103] op_sel_hi:[1,0]
	s_waitcnt vmcnt(3)
	v_pk_fma_f32 v[84:85], v[76:77], v[88:89], v[100:101] op_sel:[0,0,1] op_sel_hi:[1,1,0] neg_lo:[0,0,1] neg_hi:[0,0,1]
	v_pk_fma_f32 v[76:77], v[76:77], v[88:89], v[100:101] op_sel:[0,0,1] op_sel_hi:[1,0,0]
	v_mov_b32_e32 v83, v75
	v_pk_add_f32 v[66:67], v[66:67], v[80:81]
	s_waitcnt vmcnt(2)
	v_pk_fma_f32 v[86:87], v[78:79], v[90:91], v[102:103] op_sel:[0,0,1] op_sel_hi:[1,1,0] neg_lo:[0,0,1] neg_hi:[0,0,1]
	v_pk_fma_f32 v[78:79], v[78:79], v[90:91], v[102:103] op_sel:[0,0,1] op_sel_hi:[1,0,0]
	v_mov_b32_e32 v85, v77
	v_pk_add_f32 v[66:67], v[66:67], v[82:83]
	v_mov_b32_e32 v87, v79
	v_pk_add_f32 v[66:67], v[66:67], v[84:85]
	v_pk_add_f32 v[66:67], v[66:67], v[86:87]
	s_waitcnt vmcnt(0)
	v_pk_add_f32 v[66:67], v[92:93], v[66:67] neg_lo:[0,1] neg_hi:[0,1]
	buffer_store_dword v66, off, s[0:3], 0 offset:200
	buffer_store_dword v67, off, s[0:3], 0 offset:204
	s_and_saveexec_b64 s[4:5], vcc
	s_cbranch_execz .LBB95_157
; %bb.156:
	buffer_load_dword v66, off, s[0:3], 0 offset:192
	buffer_load_dword v67, off, s[0:3], 0 offset:196
	v_mov_b32_e32 v68, 0
	buffer_store_dword v68, off, s[0:3], 0 offset:192
	buffer_store_dword v68, off, s[0:3], 0 offset:196
	s_waitcnt vmcnt(2)
	ds_write_b64 v1, v[66:67]
.LBB95_157:
	s_or_b64 exec, exec, s[4:5]
	s_waitcnt lgkmcnt(0)
	; wave barrier
	s_waitcnt lgkmcnt(0)
	buffer_load_dword v81, off, s[0:3], 0 offset:204
	buffer_load_dword v83, off, s[0:3], 0 offset:212
	buffer_load_dword v85, off, s[0:3], 0 offset:220
	buffer_load_dword v87, off, s[0:3], 0 offset:228
	buffer_load_dword v89, off, s[0:3], 0 offset:236
	buffer_load_dword v91, off, s[0:3], 0 offset:244
	buffer_load_dword v93, off, s[0:3], 0 offset:252
	buffer_load_dword v80, off, s[0:3], 0 offset:200
	buffer_load_dword v82, off, s[0:3], 0 offset:208
	buffer_load_dword v84, off, s[0:3], 0 offset:216
	buffer_load_dword v86, off, s[0:3], 0 offset:224
	buffer_load_dword v88, off, s[0:3], 0 offset:232
	buffer_load_dword v90, off, s[0:3], 0 offset:240
	buffer_load_dword v92, off, s[0:3], 0 offset:248
	buffer_load_dword v94, off, s[0:3], 0 offset:192
	buffer_load_dword v95, off, s[0:3], 0 offset:196
	v_mov_b32_e32 v66, 0
	ds_read2_b64 v[68:71], v66 offset0:57 offset1:58
	ds_read2_b64 v[72:75], v66 offset0:59 offset1:60
	;; [unrolled: 1-line block ×3, first 2 shown]
	ds_read_b64 v[96:97], v66 offset:504
	v_cmp_lt_u32_e32 vcc, 23, v0
	s_waitcnt vmcnt(15)
	v_mov_b32_e32 v98, v81
	s_waitcnt vmcnt(14)
	v_mov_b32_e32 v100, v83
	s_waitcnt lgkmcnt(3)
	v_pk_mul_f32 v[98:99], v[68:69], v[98:99] op_sel_hi:[1,0]
	s_waitcnt vmcnt(13)
	v_mov_b32_e32 v102, v85
	v_pk_mul_f32 v[100:101], v[70:71], v[100:101] op_sel_hi:[1,0]
	s_waitcnt vmcnt(12)
	v_mov_b32_e32 v104, v87
	s_waitcnt lgkmcnt(2)
	v_pk_mul_f32 v[102:103], v[72:73], v[102:103] op_sel_hi:[1,0]
	s_waitcnt vmcnt(8)
	v_pk_fma_f32 v[112:113], v[68:69], v[80:81], v[98:99] op_sel:[0,0,1] op_sel_hi:[1,1,0] neg_lo:[0,0,1] neg_hi:[0,0,1]
	v_pk_fma_f32 v[68:69], v[68:69], v[80:81], v[98:99] op_sel:[0,0,1] op_sel_hi:[1,0,0]
	s_waitcnt vmcnt(7)
	v_pk_fma_f32 v[80:81], v[70:71], v[82:83], v[100:101] op_sel:[0,0,1] op_sel_hi:[1,1,0] neg_lo:[0,0,1] neg_hi:[0,0,1]
	v_pk_fma_f32 v[70:71], v[70:71], v[82:83], v[100:101] op_sel:[0,0,1] op_sel_hi:[1,0,0]
	v_mov_b32_e32 v113, v69
	v_mov_b32_e32 v106, v89
	v_pk_mul_f32 v[104:105], v[74:75], v[104:105] op_sel_hi:[1,0]
	s_waitcnt vmcnt(6)
	v_pk_fma_f32 v[82:83], v[72:73], v[84:85], v[102:103] op_sel:[0,0,1] op_sel_hi:[1,1,0] neg_lo:[0,0,1] neg_hi:[0,0,1]
	v_pk_fma_f32 v[72:73], v[72:73], v[84:85], v[102:103] op_sel:[0,0,1] op_sel_hi:[1,0,0]
	v_mov_b32_e32 v81, v71
	v_pk_add_f32 v[68:69], v[112:113], 0 op_sel_hi:[1,0]
	v_mov_b32_e32 v108, v91
	s_waitcnt lgkmcnt(1)
	v_pk_mul_f32 v[106:107], v[76:77], v[106:107] op_sel_hi:[1,0]
	s_waitcnt vmcnt(5)
	v_pk_fma_f32 v[84:85], v[74:75], v[86:87], v[104:105] op_sel:[0,0,1] op_sel_hi:[1,1,0] neg_lo:[0,0,1] neg_hi:[0,0,1]
	v_pk_fma_f32 v[74:75], v[74:75], v[86:87], v[104:105] op_sel:[0,0,1] op_sel_hi:[1,0,0]
	v_mov_b32_e32 v83, v73
	v_pk_add_f32 v[68:69], v[68:69], v[80:81]
	v_mov_b32_e32 v110, v93
	v_pk_mul_f32 v[108:109], v[78:79], v[108:109] op_sel_hi:[1,0]
	s_waitcnt vmcnt(4)
	v_pk_fma_f32 v[86:87], v[76:77], v[88:89], v[106:107] op_sel:[0,0,1] op_sel_hi:[1,1,0] neg_lo:[0,0,1] neg_hi:[0,0,1]
	v_pk_fma_f32 v[76:77], v[76:77], v[88:89], v[106:107] op_sel:[0,0,1] op_sel_hi:[1,0,0]
	v_mov_b32_e32 v85, v75
	v_pk_add_f32 v[68:69], v[68:69], v[82:83]
	s_waitcnt lgkmcnt(0)
	v_pk_mul_f32 v[110:111], v[96:97], v[110:111] op_sel_hi:[1,0]
	s_waitcnt vmcnt(3)
	v_pk_fma_f32 v[88:89], v[78:79], v[90:91], v[108:109] op_sel:[0,0,1] op_sel_hi:[1,1,0] neg_lo:[0,0,1] neg_hi:[0,0,1]
	v_pk_fma_f32 v[78:79], v[78:79], v[90:91], v[108:109] op_sel:[0,0,1] op_sel_hi:[1,0,0]
	v_mov_b32_e32 v87, v77
	v_pk_add_f32 v[68:69], v[68:69], v[84:85]
	s_waitcnt vmcnt(2)
	v_pk_fma_f32 v[90:91], v[96:97], v[92:93], v[110:111] op_sel:[0,0,1] op_sel_hi:[1,1,0] neg_lo:[0,0,1] neg_hi:[0,0,1]
	v_pk_fma_f32 v[92:93], v[96:97], v[92:93], v[110:111] op_sel:[0,0,1] op_sel_hi:[1,0,0]
	v_mov_b32_e32 v89, v79
	v_pk_add_f32 v[68:69], v[68:69], v[86:87]
	v_mov_b32_e32 v91, v93
	v_pk_add_f32 v[68:69], v[68:69], v[88:89]
	v_pk_add_f32 v[68:69], v[68:69], v[90:91]
	s_waitcnt vmcnt(0)
	v_pk_add_f32 v[68:69], v[94:95], v[68:69] neg_lo:[0,1] neg_hi:[0,1]
	buffer_store_dword v68, off, s[0:3], 0 offset:192
	buffer_store_dword v69, off, s[0:3], 0 offset:196
	s_and_saveexec_b64 s[4:5], vcc
	s_cbranch_execz .LBB95_159
; %bb.158:
	buffer_load_dword v68, off, s[0:3], 0 offset:184
	buffer_load_dword v69, off, s[0:3], 0 offset:188
	s_waitcnt vmcnt(0)
	ds_write_b64 v1, v[68:69]
	buffer_store_dword v66, off, s[0:3], 0 offset:184
	buffer_store_dword v66, off, s[0:3], 0 offset:188
.LBB95_159:
	s_or_b64 exec, exec, s[4:5]
	s_waitcnt lgkmcnt(0)
	; wave barrier
	s_waitcnt lgkmcnt(0)
	buffer_load_dword v85, off, s[0:3], 0 offset:196
	buffer_load_dword v87, off, s[0:3], 0 offset:204
	;; [unrolled: 1-line block ×18, first 2 shown]
	ds_read_b128 v[68:71], v66 offset:448
	ds_read_b128 v[72:75], v66 offset:464
	;; [unrolled: 1-line block ×4, first 2 shown]
	v_cmp_lt_u32_e32 vcc, 22, v0
	s_waitcnt vmcnt(17)
	v_mov_b32_e32 v66, v85
	s_waitcnt vmcnt(16)
	v_mov_b32_e32 v102, v87
	s_waitcnt lgkmcnt(3)
	v_pk_mul_f32 v[66:67], v[68:69], v[66:67] op_sel_hi:[1,0]
	s_waitcnt vmcnt(15)
	v_mov_b32_e32 v104, v89
	v_pk_mul_f32 v[102:103], v[70:71], v[102:103] op_sel_hi:[1,0]
	s_waitcnt vmcnt(14)
	v_mov_b32_e32 v106, v91
	s_waitcnt lgkmcnt(2)
	v_pk_mul_f32 v[104:105], v[72:73], v[104:105] op_sel_hi:[1,0]
	s_waitcnt vmcnt(13)
	v_mov_b32_e32 v108, v93
	s_waitcnt vmcnt(9)
	v_pk_fma_f32 v[116:117], v[68:69], v[84:85], v[66:67] op_sel:[0,0,1] op_sel_hi:[1,1,0] neg_lo:[0,0,1] neg_hi:[0,0,1]
	v_pk_fma_f32 v[66:67], v[68:69], v[84:85], v[66:67] op_sel:[0,0,1] op_sel_hi:[1,0,0]
	s_waitcnt vmcnt(8)
	v_pk_fma_f32 v[68:69], v[70:71], v[86:87], v[102:103] op_sel:[0,0,1] op_sel_hi:[1,1,0] neg_lo:[0,0,1] neg_hi:[0,0,1]
	v_pk_fma_f32 v[70:71], v[70:71], v[86:87], v[102:103] op_sel:[0,0,1] op_sel_hi:[1,0,0]
	v_mov_b32_e32 v117, v67
	v_pk_mul_f32 v[106:107], v[74:75], v[106:107] op_sel_hi:[1,0]
	s_waitcnt vmcnt(7)
	v_pk_fma_f32 v[84:85], v[72:73], v[88:89], v[104:105] op_sel:[0,0,1] op_sel_hi:[1,1,0] neg_lo:[0,0,1] neg_hi:[0,0,1]
	v_pk_fma_f32 v[72:73], v[72:73], v[88:89], v[104:105] op_sel:[0,0,1] op_sel_hi:[1,0,0]
	v_mov_b32_e32 v69, v71
	v_pk_add_f32 v[66:67], v[116:117], 0 op_sel_hi:[1,0]
	v_mov_b32_e32 v110, v95
	s_waitcnt lgkmcnt(1)
	v_pk_mul_f32 v[108:109], v[76:77], v[108:109] op_sel_hi:[1,0]
	s_waitcnt vmcnt(6)
	v_pk_fma_f32 v[86:87], v[74:75], v[90:91], v[106:107] op_sel:[0,0,1] op_sel_hi:[1,1,0] neg_lo:[0,0,1] neg_hi:[0,0,1]
	v_pk_fma_f32 v[74:75], v[74:75], v[90:91], v[106:107] op_sel:[0,0,1] op_sel_hi:[1,0,0]
	v_mov_b32_e32 v85, v73
	v_pk_add_f32 v[66:67], v[66:67], v[68:69]
	v_mov_b32_e32 v112, v97
	v_pk_mul_f32 v[110:111], v[78:79], v[110:111] op_sel_hi:[1,0]
	s_waitcnt vmcnt(5)
	v_pk_fma_f32 v[88:89], v[76:77], v[92:93], v[108:109] op_sel:[0,0,1] op_sel_hi:[1,1,0] neg_lo:[0,0,1] neg_hi:[0,0,1]
	v_pk_fma_f32 v[76:77], v[76:77], v[92:93], v[108:109] op_sel:[0,0,1] op_sel_hi:[1,0,0]
	v_mov_b32_e32 v87, v75
	v_pk_add_f32 v[66:67], v[66:67], v[84:85]
	v_mov_b32_e32 v114, v99
	s_waitcnt lgkmcnt(0)
	v_pk_mul_f32 v[112:113], v[80:81], v[112:113] op_sel_hi:[1,0]
	s_waitcnt vmcnt(4)
	v_pk_fma_f32 v[90:91], v[78:79], v[94:95], v[110:111] op_sel:[0,0,1] op_sel_hi:[1,1,0] neg_lo:[0,0,1] neg_hi:[0,0,1]
	v_pk_fma_f32 v[78:79], v[78:79], v[94:95], v[110:111] op_sel:[0,0,1] op_sel_hi:[1,0,0]
	v_mov_b32_e32 v89, v77
	v_pk_add_f32 v[66:67], v[66:67], v[86:87]
	v_pk_mul_f32 v[114:115], v[82:83], v[114:115] op_sel_hi:[1,0]
	s_waitcnt vmcnt(3)
	v_pk_fma_f32 v[92:93], v[80:81], v[96:97], v[112:113] op_sel:[0,0,1] op_sel_hi:[1,1,0] neg_lo:[0,0,1] neg_hi:[0,0,1]
	v_pk_fma_f32 v[80:81], v[80:81], v[96:97], v[112:113] op_sel:[0,0,1] op_sel_hi:[1,0,0]
	v_mov_b32_e32 v91, v79
	v_pk_add_f32 v[66:67], v[66:67], v[88:89]
	s_waitcnt vmcnt(2)
	v_pk_fma_f32 v[94:95], v[82:83], v[98:99], v[114:115] op_sel:[0,0,1] op_sel_hi:[1,1,0] neg_lo:[0,0,1] neg_hi:[0,0,1]
	v_pk_fma_f32 v[82:83], v[82:83], v[98:99], v[114:115] op_sel:[0,0,1] op_sel_hi:[1,0,0]
	v_mov_b32_e32 v93, v81
	v_pk_add_f32 v[66:67], v[66:67], v[90:91]
	v_mov_b32_e32 v95, v83
	v_pk_add_f32 v[66:67], v[66:67], v[92:93]
	v_pk_add_f32 v[66:67], v[66:67], v[94:95]
	s_waitcnt vmcnt(0)
	v_pk_add_f32 v[66:67], v[100:101], v[66:67] neg_lo:[0,1] neg_hi:[0,1]
	buffer_store_dword v66, off, s[0:3], 0 offset:184
	buffer_store_dword v67, off, s[0:3], 0 offset:188
	s_and_saveexec_b64 s[4:5], vcc
	s_cbranch_execz .LBB95_161
; %bb.160:
	buffer_load_dword v66, off, s[0:3], 0 offset:176
	buffer_load_dword v67, off, s[0:3], 0 offset:180
	v_mov_b32_e32 v68, 0
	buffer_store_dword v68, off, s[0:3], 0 offset:176
	buffer_store_dword v68, off, s[0:3], 0 offset:180
	s_waitcnt vmcnt(2)
	ds_write_b64 v1, v[66:67]
.LBB95_161:
	s_or_b64 exec, exec, s[4:5]
	s_waitcnt lgkmcnt(0)
	; wave barrier
	s_waitcnt lgkmcnt(0)
	buffer_load_dword v67, off, s[0:3], 0 offset:188
	buffer_load_dword v85, off, s[0:3], 0 offset:196
	;; [unrolled: 1-line block ×20, first 2 shown]
	v_mov_b32_e32 v66, 0
	ds_read2_b64 v[68:71], v66 offset0:55 offset1:56
	ds_read2_b64 v[72:75], v66 offset0:57 offset1:58
	;; [unrolled: 1-line block ×4, first 2 shown]
	ds_read_b64 v[102:103], v66 offset:504
	v_cmp_lt_u32_e32 vcc, 21, v0
	s_waitcnt vmcnt(19) lgkmcnt(4)
	v_mul_f32_e32 v105, v68, v67
	v_mul_f32_e32 v67, v69, v67
	s_waitcnt vmcnt(18)
	v_mov_b32_e32 v106, v85
	s_waitcnt vmcnt(17)
	v_mov_b32_e32 v108, v87
	;; [unrolled: 2-line block ×8, first 2 shown]
	s_waitcnt vmcnt(10)
	v_fmac_f32_e32 v105, v69, v104
	v_fma_f32 v104, v68, v104, -v67
	v_pk_mul_f32 v[68:69], v[70:71], v[106:107] op_sel_hi:[1,0]
	s_waitcnt lgkmcnt(3)
	v_pk_mul_f32 v[106:107], v[72:73], v[108:109] op_sel_hi:[1,0]
	v_pk_mul_f32 v[108:109], v[74:75], v[110:111] op_sel_hi:[1,0]
	s_waitcnt lgkmcnt(2)
	v_pk_mul_f32 v[110:111], v[76:77], v[112:113] op_sel_hi:[1,0]
	;; [unrolled: 3-line block ×4, first 2 shown]
	s_waitcnt vmcnt(9)
	v_pk_fma_f32 v[120:121], v[70:71], v[84:85], v[68:69] op_sel:[0,0,1] op_sel_hi:[1,1,0] neg_lo:[0,0,1] neg_hi:[0,0,1]
	v_pk_fma_f32 v[68:69], v[70:71], v[84:85], v[68:69] op_sel:[0,0,1] op_sel_hi:[1,0,0]
	v_pk_add_f32 v[104:105], v[104:105], 0 op_sel_hi:[1,0]
	s_waitcnt vmcnt(8)
	v_pk_fma_f32 v[70:71], v[72:73], v[86:87], v[106:107] op_sel:[0,0,1] op_sel_hi:[1,1,0] neg_lo:[0,0,1] neg_hi:[0,0,1]
	v_pk_fma_f32 v[72:73], v[72:73], v[86:87], v[106:107] op_sel:[0,0,1] op_sel_hi:[1,0,0]
	v_mov_b32_e32 v121, v69
	s_waitcnt vmcnt(7)
	v_pk_fma_f32 v[84:85], v[74:75], v[88:89], v[108:109] op_sel:[0,0,1] op_sel_hi:[1,1,0] neg_lo:[0,0,1] neg_hi:[0,0,1]
	v_pk_fma_f32 v[74:75], v[74:75], v[88:89], v[108:109] op_sel:[0,0,1] op_sel_hi:[1,0,0]
	v_mov_b32_e32 v71, v73
	v_pk_add_f32 v[68:69], v[104:105], v[120:121]
	s_waitcnt vmcnt(6)
	v_pk_fma_f32 v[86:87], v[76:77], v[90:91], v[110:111] op_sel:[0,0,1] op_sel_hi:[1,1,0] neg_lo:[0,0,1] neg_hi:[0,0,1]
	v_pk_fma_f32 v[76:77], v[76:77], v[90:91], v[110:111] op_sel:[0,0,1] op_sel_hi:[1,0,0]
	v_mov_b32_e32 v85, v75
	v_pk_add_f32 v[68:69], v[68:69], v[70:71]
	;; [unrolled: 5-line block ×5, first 2 shown]
	v_pk_fma_f32 v[94:95], v[102:103], v[98:99], v[118:119] op_sel:[0,0,1] op_sel_hi:[1,1,0] neg_lo:[0,0,1] neg_hi:[0,0,1]
	v_pk_fma_f32 v[96:97], v[102:103], v[98:99], v[118:119] op_sel:[0,0,1] op_sel_hi:[1,0,0]
	v_mov_b32_e32 v93, v83
	v_pk_add_f32 v[68:69], v[68:69], v[90:91]
	v_mov_b32_e32 v95, v97
	v_pk_add_f32 v[68:69], v[68:69], v[92:93]
	v_pk_add_f32 v[68:69], v[68:69], v[94:95]
	s_waitcnt vmcnt(0)
	v_pk_add_f32 v[68:69], v[100:101], v[68:69] neg_lo:[0,1] neg_hi:[0,1]
	buffer_store_dword v68, off, s[0:3], 0 offset:176
	buffer_store_dword v69, off, s[0:3], 0 offset:180
	s_and_saveexec_b64 s[4:5], vcc
	s_cbranch_execz .LBB95_163
; %bb.162:
	buffer_load_dword v68, off, s[0:3], 0 offset:168
	buffer_load_dword v69, off, s[0:3], 0 offset:172
	s_waitcnt vmcnt(0)
	ds_write_b64 v1, v[68:69]
	buffer_store_dword v66, off, s[0:3], 0 offset:168
	buffer_store_dword v66, off, s[0:3], 0 offset:172
.LBB95_163:
	s_or_b64 exec, exec, s[4:5]
	s_waitcnt lgkmcnt(0)
	; wave barrier
	s_waitcnt lgkmcnt(0)
	buffer_load_dword v106, off, s[0:3], 0 offset:180
	buffer_load_dword v108, off, s[0:3], 0 offset:188
	;; [unrolled: 1-line block ×22, first 2 shown]
	ds_read_b128 v[68:71], v66 offset:432
	ds_read_b128 v[72:75], v66 offset:448
	;; [unrolled: 1-line block ×5, first 2 shown]
	v_cmp_lt_u32_e32 vcc, 20, v0
	s_waitcnt vmcnt(21) lgkmcnt(4)
	v_mul_f32_e32 v67, v68, v106
	s_waitcnt vmcnt(20)
	v_mul_f32_e32 v107, v70, v108
	v_mul_f32_e32 v66, v69, v106
	;; [unrolled: 1-line block ×3, first 2 shown]
	s_waitcnt vmcnt(19)
	v_mov_b32_e32 v108, v89
	s_waitcnt vmcnt(18)
	v_mov_b32_e32 v110, v91
	;; [unrolled: 2-line block ×5, first 2 shown]
	v_mov_b32_e32 v114, v95
	s_waitcnt vmcnt(11)
	v_fmac_f32_e32 v67, v69, v109
	v_fma_f32 v66, v68, v109, -v66
	s_waitcnt lgkmcnt(3)
	v_pk_mul_f32 v[68:69], v[72:73], v[108:109] op_sel_hi:[1,0]
	s_waitcnt vmcnt(10)
	v_fmac_f32_e32 v107, v71, v111
	v_fma_f32 v106, v70, v111, -v106
	v_pk_mul_f32 v[70:71], v[74:75], v[110:111] op_sel_hi:[1,0]
	s_waitcnt lgkmcnt(2)
	v_pk_mul_f32 v[108:109], v[76:77], v[112:113] op_sel_hi:[1,0]
	s_waitcnt lgkmcnt(1)
	;; [unrolled: 2-line block ×3, first 2 shown]
	v_pk_mul_f32 v[116:117], v[84:85], v[120:121] op_sel_hi:[1,0]
	v_pk_add_f32 v[66:67], v[66:67], 0 op_sel_hi:[1,0]
	s_waitcnt vmcnt(9)
	v_pk_fma_f32 v[120:121], v[72:73], v[88:89], v[68:69] op_sel:[0,0,1] op_sel_hi:[1,1,0] neg_lo:[0,0,1] neg_hi:[0,0,1]
	v_pk_fma_f32 v[68:69], v[72:73], v[88:89], v[68:69] op_sel:[0,0,1] op_sel_hi:[1,0,0]
	s_waitcnt vmcnt(8)
	v_pk_fma_f32 v[72:73], v[74:75], v[90:91], v[70:71] op_sel:[0,0,1] op_sel_hi:[1,1,0] neg_lo:[0,0,1] neg_hi:[0,0,1]
	v_pk_fma_f32 v[70:71], v[74:75], v[90:91], v[70:71] op_sel:[0,0,1] op_sel_hi:[1,0,0]
	v_pk_add_f32 v[66:67], v[66:67], v[106:107]
	v_mov_b32_e32 v121, v69
	v_pk_mul_f32 v[110:111], v[78:79], v[114:115] op_sel_hi:[1,0]
	s_waitcnt vmcnt(7)
	v_pk_fma_f32 v[74:75], v[76:77], v[92:93], v[108:109] op_sel:[0,0,1] op_sel_hi:[1,1,0] neg_lo:[0,0,1] neg_hi:[0,0,1]
	v_pk_fma_f32 v[76:77], v[76:77], v[92:93], v[108:109] op_sel:[0,0,1] op_sel_hi:[1,0,0]
	v_mov_b32_e32 v73, v71
	v_pk_add_f32 v[66:67], v[66:67], v[120:121]
	v_mov_b32_e32 v118, v99
	s_waitcnt vmcnt(6)
	v_pk_fma_f32 v[88:89], v[78:79], v[94:95], v[110:111] op_sel:[0,0,1] op_sel_hi:[1,1,0] neg_lo:[0,0,1] neg_hi:[0,0,1]
	v_pk_fma_f32 v[78:79], v[78:79], v[94:95], v[110:111] op_sel:[0,0,1] op_sel_hi:[1,0,0]
	v_mov_b32_e32 v75, v77
	v_pk_add_f32 v[66:67], v[66:67], v[72:73]
	v_pk_mul_f32 v[114:115], v[82:83], v[118:119] op_sel_hi:[1,0]
	s_waitcnt vmcnt(5)
	v_pk_fma_f32 v[90:91], v[80:81], v[96:97], v[112:113] op_sel:[0,0,1] op_sel_hi:[1,1,0] neg_lo:[0,0,1] neg_hi:[0,0,1]
	v_pk_fma_f32 v[80:81], v[80:81], v[96:97], v[112:113] op_sel:[0,0,1] op_sel_hi:[1,0,0]
	v_mov_b32_e32 v89, v79
	v_pk_add_f32 v[66:67], v[66:67], v[74:75]
	v_mov_b32_e32 v122, v103
	s_waitcnt vmcnt(2)
	v_pk_fma_f32 v[92:93], v[82:83], v[98:99], v[114:115] op_sel:[0,0,1] op_sel_hi:[1,1,0] neg_lo:[0,0,1] neg_hi:[0,0,1]
	v_pk_fma_f32 v[82:83], v[82:83], v[98:99], v[114:115] op_sel:[0,0,1] op_sel_hi:[1,0,0]
	v_mov_b32_e32 v91, v81
	v_pk_add_f32 v[66:67], v[66:67], v[88:89]
	v_pk_mul_f32 v[118:119], v[86:87], v[122:123] op_sel_hi:[1,0]
	v_pk_fma_f32 v[94:95], v[84:85], v[100:101], v[116:117] op_sel:[0,0,1] op_sel_hi:[1,1,0] neg_lo:[0,0,1] neg_hi:[0,0,1]
	v_pk_fma_f32 v[84:85], v[84:85], v[100:101], v[116:117] op_sel:[0,0,1] op_sel_hi:[1,0,0]
	v_mov_b32_e32 v93, v83
	v_pk_add_f32 v[66:67], v[66:67], v[90:91]
	v_pk_fma_f32 v[96:97], v[86:87], v[102:103], v[118:119] op_sel:[0,0,1] op_sel_hi:[1,1,0] neg_lo:[0,0,1] neg_hi:[0,0,1]
	v_pk_fma_f32 v[86:87], v[86:87], v[102:103], v[118:119] op_sel:[0,0,1] op_sel_hi:[1,0,0]
	v_mov_b32_e32 v95, v85
	v_pk_add_f32 v[66:67], v[66:67], v[92:93]
	v_mov_b32_e32 v97, v87
	v_pk_add_f32 v[66:67], v[66:67], v[94:95]
	v_pk_add_f32 v[66:67], v[66:67], v[96:97]
	s_waitcnt vmcnt(0)
	v_pk_add_f32 v[66:67], v[104:105], v[66:67] neg_lo:[0,1] neg_hi:[0,1]
	buffer_store_dword v66, off, s[0:3], 0 offset:168
	buffer_store_dword v67, off, s[0:3], 0 offset:172
	s_and_saveexec_b64 s[4:5], vcc
	s_cbranch_execz .LBB95_165
; %bb.164:
	buffer_load_dword v66, off, s[0:3], 0 offset:160
	buffer_load_dword v67, off, s[0:3], 0 offset:164
	v_mov_b32_e32 v68, 0
	buffer_store_dword v68, off, s[0:3], 0 offset:160
	buffer_store_dword v68, off, s[0:3], 0 offset:164
	s_waitcnt vmcnt(2)
	ds_write_b64 v1, v[66:67]
.LBB95_165:
	s_or_b64 exec, exec, s[4:5]
	s_waitcnt lgkmcnt(0)
	; wave barrier
	s_waitcnt lgkmcnt(0)
	buffer_load_dword v67, off, s[0:3], 0 offset:172
	buffer_load_dword v108, off, s[0:3], 0 offset:180
	;; [unrolled: 1-line block ×24, first 2 shown]
	v_mov_b32_e32 v66, 0
	ds_read2_b64 v[68:71], v66 offset0:53 offset1:54
	ds_read2_b64 v[72:75], v66 offset0:55 offset1:56
	;; [unrolled: 1-line block ×5, first 2 shown]
	ds_read_b64 v[106:107], v66 offset:504
	v_cmp_lt_u32_e32 vcc, 19, v0
	s_waitcnt vmcnt(23) lgkmcnt(5)
	v_mul_f32_e32 v121, v68, v67
	v_mul_f32_e32 v67, v69, v67
	s_waitcnt vmcnt(22)
	v_mul_f32_e32 v109, v70, v108
	s_waitcnt vmcnt(21) lgkmcnt(4)
	v_mul_f32_e32 v111, v72, v110
	v_mul_f32_e32 v108, v71, v108
	;; [unrolled: 1-line block ×3, first 2 shown]
	s_waitcnt vmcnt(20)
	v_mov_b32_e32 v112, v89
	s_waitcnt vmcnt(19)
	v_mov_b32_e32 v114, v91
	;; [unrolled: 2-line block ×5, first 2 shown]
	s_waitcnt vmcnt(12)
	v_fmac_f32_e32 v121, v69, v113
	v_fma_f32 v67, v68, v113, -v67
	v_mov_b32_e32 v122, v99
	s_waitcnt vmcnt(11)
	v_fmac_f32_e32 v109, v71, v115
	s_waitcnt vmcnt(10)
	v_fmac_f32_e32 v111, v73, v117
	v_fma_f32 v108, v70, v115, -v108
	v_fma_f32 v110, v72, v117, -v110
	v_pk_mul_f32 v[68:69], v[74:75], v[112:113] op_sel_hi:[1,0]
	s_waitcnt lgkmcnt(3)
	v_pk_mul_f32 v[70:71], v[76:77], v[114:115] op_sel_hi:[1,0]
	v_pk_mul_f32 v[72:73], v[78:79], v[116:117] op_sel_hi:[1,0]
	s_waitcnt lgkmcnt(2)
	v_pk_mul_f32 v[112:113], v[80:81], v[118:119] op_sel_hi:[1,0]
	v_pk_mul_f32 v[114:115], v[82:83], v[120:121] op_sel_hi:[1,0]
	v_add_f32_e32 v121, 0, v121
	v_add_f32_e32 v120, 0, v67
	s_waitcnt lgkmcnt(1)
	v_pk_mul_f32 v[116:117], v[84:85], v[122:123] op_sel_hi:[1,0]
	s_waitcnt vmcnt(9)
	v_pk_fma_f32 v[122:123], v[74:75], v[88:89], v[68:69] op_sel:[0,0,1] op_sel_hi:[1,1,0] neg_lo:[0,0,1] neg_hi:[0,0,1]
	v_pk_fma_f32 v[68:69], v[74:75], v[88:89], v[68:69] op_sel:[0,0,1] op_sel_hi:[1,0,0]
	s_waitcnt vmcnt(8)
	v_pk_fma_f32 v[74:75], v[76:77], v[90:91], v[70:71] op_sel:[0,0,1] op_sel_hi:[1,1,0] neg_lo:[0,0,1] neg_hi:[0,0,1]
	v_pk_fma_f32 v[70:71], v[76:77], v[90:91], v[70:71] op_sel:[0,0,1] op_sel_hi:[1,0,0]
	;; [unrolled: 3-line block ×4, first 2 shown]
	v_pk_add_f32 v[94:95], v[120:121], v[108:109]
	v_mov_b32_e32 v123, v69
	v_pk_add_f32 v[68:69], v[94:95], v[110:111]
	v_mov_b32_e32 v75, v71
	;; [unrolled: 2-line block ×4, first 2 shown]
	s_waitcnt vmcnt(2)
	v_pk_fma_f32 v[88:89], v[82:83], v[96:97], v[114:115] op_sel:[0,0,1] op_sel_hi:[1,1,0] neg_lo:[0,0,1] neg_hi:[0,0,1]
	v_pk_fma_f32 v[82:83], v[82:83], v[96:97], v[114:115] op_sel:[0,0,1] op_sel_hi:[1,0,0]
	v_mov_b32_e32 v79, v81
	v_pk_add_f32 v[68:69], v[68:69], v[76:77]
	v_mov_b32_e32 v126, v103
	v_pk_mul_f32 v[118:119], v[86:87], v[124:125] op_sel_hi:[1,0]
	v_pk_fma_f32 v[90:91], v[84:85], v[98:99], v[116:117] op_sel:[0,0,1] op_sel_hi:[1,1,0] neg_lo:[0,0,1] neg_hi:[0,0,1]
	v_pk_fma_f32 v[84:85], v[84:85], v[98:99], v[116:117] op_sel:[0,0,1] op_sel_hi:[1,0,0]
	v_mov_b32_e32 v89, v83
	v_pk_add_f32 v[68:69], v[68:69], v[78:79]
	v_pk_fma_f32 v[92:93], v[86:87], v[100:101], v[118:119] op_sel:[0,0,1] op_sel_hi:[1,1,0] neg_lo:[0,0,1] neg_hi:[0,0,1]
	v_pk_fma_f32 v[86:87], v[86:87], v[100:101], v[118:119] op_sel:[0,0,1] op_sel_hi:[1,0,0]
	v_mov_b32_e32 v91, v85
	v_pk_add_f32 v[68:69], v[68:69], v[88:89]
	s_waitcnt lgkmcnt(0)
	v_pk_mul_f32 v[70:71], v[106:107], v[126:127] op_sel_hi:[1,0]
	v_mov_b32_e32 v93, v87
	v_pk_add_f32 v[68:69], v[68:69], v[90:91]
	v_pk_fma_f32 v[72:73], v[106:107], v[102:103], v[70:71] op_sel:[0,0,1] op_sel_hi:[1,1,0] neg_lo:[0,0,1] neg_hi:[0,0,1]
	v_pk_fma_f32 v[70:71], v[106:107], v[102:103], v[70:71] op_sel:[0,0,1] op_sel_hi:[1,0,0]
	v_pk_add_f32 v[68:69], v[68:69], v[92:93]
	v_mov_b32_e32 v73, v71
	v_pk_add_f32 v[68:69], v[68:69], v[72:73]
	s_waitcnt vmcnt(0)
	v_pk_add_f32 v[68:69], v[104:105], v[68:69] neg_lo:[0,1] neg_hi:[0,1]
	buffer_store_dword v69, off, s[0:3], 0 offset:164
	buffer_store_dword v68, off, s[0:3], 0 offset:160
	s_and_saveexec_b64 s[4:5], vcc
	s_cbranch_execz .LBB95_167
; %bb.166:
	buffer_load_dword v68, off, s[0:3], 0 offset:152
	buffer_load_dword v69, off, s[0:3], 0 offset:156
	s_waitcnt vmcnt(0)
	ds_write_b64 v1, v[68:69]
	buffer_store_dword v66, off, s[0:3], 0 offset:152
	buffer_store_dword v66, off, s[0:3], 0 offset:156
.LBB95_167:
	s_or_b64 exec, exec, s[4:5]
	s_waitcnt lgkmcnt(0)
	; wave barrier
	s_waitcnt lgkmcnt(0)
	buffer_load_dword v110, off, s[0:3], 0 offset:164
	buffer_load_dword v112, off, s[0:3], 0 offset:172
	;; [unrolled: 1-line block ×26, first 2 shown]
	ds_read_b128 v[68:71], v66 offset:416
	ds_read_b128 v[72:75], v66 offset:432
	ds_read_b128 v[76:79], v66 offset:448
	ds_read_b128 v[80:83], v66 offset:464
	ds_read_b128 v[84:87], v66 offset:480
	ds_read_b128 v[88:91], v66 offset:496
	v_cmp_lt_u32_e32 vcc, 18, v0
	s_waitcnt vmcnt(25) lgkmcnt(5)
	v_mul_f32_e32 v123, v68, v110
	v_mul_f32_e32 v66, v69, v110
	s_waitcnt vmcnt(24)
	v_mul_f32_e32 v124, v70, v112
	s_waitcnt vmcnt(23) lgkmcnt(4)
	v_mul_f32_e32 v67, v72, v113
	s_waitcnt vmcnt(22)
	v_mul_f32_e32 v111, v74, v114
	v_mul_f32_e32 v110, v71, v112
	;; [unrolled: 1-line block ×4, first 2 shown]
	s_waitcnt vmcnt(21)
	v_mov_b32_e32 v112, v93
	s_waitcnt vmcnt(20)
	v_mov_b32_e32 v114, v95
	;; [unrolled: 2-line block ×3, first 2 shown]
	s_waitcnt vmcnt(15)
	v_fmac_f32_e32 v123, v69, v115
	v_fma_f32 v126, v68, v115, -v66
	v_mov_b32_e32 v116, v97
	s_waitcnt vmcnt(14)
	v_fmac_f32_e32 v124, v71, v117
	s_waitcnt vmcnt(13)
	v_fmac_f32_e32 v67, v73, v119
	;; [unrolled: 2-line block ×3, first 2 shown]
	v_fma_f32 v127, v70, v117, -v110
	v_fma_f32 v66, v72, v119, -v113
	;; [unrolled: 1-line block ×3, first 2 shown]
	s_waitcnt lgkmcnt(3)
	v_pk_mul_f32 v[68:69], v[76:77], v[112:113] op_sel_hi:[1,0]
	v_pk_mul_f32 v[70:71], v[78:79], v[114:115] op_sel_hi:[1,0]
	s_waitcnt lgkmcnt(2)
	v_pk_mul_f32 v[74:75], v[82:83], v[118:119] op_sel_hi:[1,0]
	v_add_f32_e32 v118, 0, v123
	v_add_f32_e32 v119, 0, v126
	v_pk_mul_f32 v[72:73], v[80:81], v[116:117] op_sel_hi:[1,0]
	s_waitcnt vmcnt(11)
	v_pk_fma_f32 v[116:117], v[76:77], v[92:93], v[68:69] op_sel:[0,0,1] op_sel_hi:[1,1,0] neg_lo:[0,0,1] neg_hi:[0,0,1]
	v_pk_fma_f32 v[68:69], v[76:77], v[92:93], v[68:69] op_sel:[0,0,1] op_sel_hi:[1,0,0]
	s_waitcnt vmcnt(10)
	v_pk_fma_f32 v[76:77], v[78:79], v[94:95], v[70:71] op_sel:[0,0,1] op_sel_hi:[1,1,0] neg_lo:[0,0,1] neg_hi:[0,0,1]
	v_pk_fma_f32 v[70:71], v[78:79], v[94:95], v[70:71] op_sel:[0,0,1] op_sel_hi:[1,0,0]
	v_add_f32_e32 v95, v118, v124
	v_add_f32_e32 v94, v119, v127
	v_pk_add_f32 v[66:67], v[94:95], v[66:67]
	v_mov_b32_e32 v117, v69
	v_pk_add_f32 v[66:67], v[66:67], v[110:111]
	v_mov_b32_e32 v120, v101
	s_waitcnt vmcnt(9)
	v_pk_fma_f32 v[78:79], v[80:81], v[96:97], v[72:73] op_sel:[0,0,1] op_sel_hi:[1,1,0] neg_lo:[0,0,1] neg_hi:[0,0,1]
	v_pk_fma_f32 v[72:73], v[80:81], v[96:97], v[72:73] op_sel:[0,0,1] op_sel_hi:[1,0,0]
	v_mov_b32_e32 v77, v71
	v_pk_add_f32 v[66:67], v[66:67], v[116:117]
	v_mov_b32_e32 v122, v103
	s_waitcnt lgkmcnt(1)
	v_pk_mul_f32 v[112:113], v[84:85], v[120:121] op_sel_hi:[1,0]
	s_waitcnt vmcnt(5)
	v_pk_fma_f32 v[80:81], v[82:83], v[98:99], v[74:75] op_sel:[0,0,1] op_sel_hi:[1,1,0] neg_lo:[0,0,1] neg_hi:[0,0,1]
	v_pk_fma_f32 v[74:75], v[82:83], v[98:99], v[74:75] op_sel:[0,0,1] op_sel_hi:[1,0,0]
	v_mov_b32_e32 v79, v73
	v_pk_add_f32 v[66:67], v[66:67], v[76:77]
	s_waitcnt vmcnt(4)
	v_mov_b32_e32 v68, v105
	v_pk_mul_f32 v[114:115], v[86:87], v[122:123] op_sel_hi:[1,0]
	v_pk_fma_f32 v[82:83], v[84:85], v[100:101], v[112:113] op_sel:[0,0,1] op_sel_hi:[1,1,0] neg_lo:[0,0,1] neg_hi:[0,0,1]
	v_pk_fma_f32 v[84:85], v[84:85], v[100:101], v[112:113] op_sel:[0,0,1] op_sel_hi:[1,0,0]
	v_mov_b32_e32 v81, v75
	v_pk_add_f32 v[66:67], v[66:67], v[78:79]
	s_waitcnt lgkmcnt(0)
	v_pk_mul_f32 v[68:69], v[88:89], v[68:69] op_sel_hi:[1,0]
	v_pk_fma_f32 v[92:93], v[86:87], v[102:103], v[114:115] op_sel:[0,0,1] op_sel_hi:[1,1,0] neg_lo:[0,0,1] neg_hi:[0,0,1]
	v_pk_fma_f32 v[86:87], v[86:87], v[102:103], v[114:115] op_sel:[0,0,1] op_sel_hi:[1,0,0]
	v_mov_b32_e32 v83, v85
	v_pk_add_f32 v[66:67], v[66:67], v[80:81]
	v_pk_fma_f32 v[70:71], v[88:89], v[104:105], v[68:69] op_sel:[0,0,1] op_sel_hi:[1,1,0] neg_lo:[0,0,1] neg_hi:[0,0,1]
	v_pk_fma_f32 v[68:69], v[88:89], v[104:105], v[68:69] op_sel:[0,0,1] op_sel_hi:[1,0,0]
	v_mov_b32_e32 v93, v87
	v_pk_add_f32 v[66:67], v[66:67], v[82:83]
	s_waitcnt vmcnt(3)
	v_mov_b32_e32 v68, v107
	v_pk_add_f32 v[66:67], v[66:67], v[92:93]
	v_mov_b32_e32 v71, v69
	v_pk_mul_f32 v[68:69], v[90:91], v[68:69] op_sel_hi:[1,0]
	v_pk_add_f32 v[66:67], v[66:67], v[70:71]
	s_waitcnt vmcnt(2)
	v_pk_fma_f32 v[70:71], v[90:91], v[106:107], v[68:69] op_sel:[0,0,1] op_sel_hi:[1,1,0] neg_lo:[0,0,1] neg_hi:[0,0,1]
	v_pk_fma_f32 v[68:69], v[90:91], v[106:107], v[68:69] op_sel:[0,0,1] op_sel_hi:[1,0,0]
	v_mov_b32_e32 v71, v69
	v_pk_add_f32 v[66:67], v[66:67], v[70:71]
	s_waitcnt vmcnt(0)
	v_pk_add_f32 v[66:67], v[108:109], v[66:67] neg_lo:[0,1] neg_hi:[0,1]
	buffer_store_dword v67, off, s[0:3], 0 offset:156
	buffer_store_dword v66, off, s[0:3], 0 offset:152
	s_and_saveexec_b64 s[4:5], vcc
	s_cbranch_execz .LBB95_169
; %bb.168:
	buffer_load_dword v66, off, s[0:3], 0 offset:144
	buffer_load_dword v67, off, s[0:3], 0 offset:148
	v_mov_b32_e32 v68, 0
	buffer_store_dword v68, off, s[0:3], 0 offset:144
	buffer_store_dword v68, off, s[0:3], 0 offset:148
	s_waitcnt vmcnt(2)
	ds_write_b64 v1, v[66:67]
.LBB95_169:
	s_or_b64 exec, exec, s[4:5]
	v_mov_b32_e32 v68, 0
	s_waitcnt lgkmcnt(0)
	; wave barrier
	s_waitcnt lgkmcnt(0)
	ds_read2_b64 v[70:73], v68 offset0:51 offset1:52
	buffer_load_dword v66, off, s[0:3], 0 offset:144
	buffer_load_dword v67, off, s[0:3], 0 offset:148
	;; [unrolled: 1-line block ×16, first 2 shown]
	v_cmp_lt_u32_e32 vcc, 17, v0
	s_waitcnt vmcnt(12) lgkmcnt(0)
	v_mul_f32_e32 v74, v70, v82
	v_fmac_f32_e32 v74, v71, v69
	s_waitcnt vmcnt(10)
	v_mul_f32_e32 v75, v72, v84
	v_add_f32_e32 v74, 0, v74
	v_fmac_f32_e32 v75, v73, v83
	v_add_f32_e32 v78, v74, v75
	ds_read2_b64 v[74:77], v68 offset0:53 offset1:54
	v_mul_f32_e32 v71, v71, v82
	v_fma_f32 v69, v70, v69, -v71
	v_mul_f32_e32 v70, v73, v84
	v_add_f32_e32 v69, 0, v69
	s_waitcnt vmcnt(8) lgkmcnt(0)
	v_mul_f32_e32 v79, v74, v90
	v_fmac_f32_e32 v79, v75, v85
	v_add_f32_e32 v91, v78, v79
	ds_read2_b64 v[78:81], v68 offset0:55 offset1:56
	buffer_load_dword v97, off, s[0:3], 0 offset:212
	buffer_load_dword v96, off, s[0:3], 0 offset:208
	;; [unrolled: 1-line block ×12, first 2 shown]
	v_fma_f32 v70, v72, v83, -v70
	v_add_f32_e32 v69, v69, v70
	v_mul_f32_e32 v70, v75, v90
	v_fma_f32 v70, v74, v85, -v70
	s_waitcnt vmcnt(18)
	v_mul_f32_e32 v93, v76, v94
	v_add_f32_e32 v90, v69, v70
	v_mul_f32_e32 v69, v77, v94
	v_fmac_f32_e32 v93, v77, v92
	v_fma_f32 v92, v76, v92, -v69
	s_waitcnt vmcnt(16) lgkmcnt(0)
	v_mul_f32_e32 v95, v78, v109
	v_mul_f32_e32 v69, v79, v109
	v_pk_add_f32 v[90:91], v[90:91], v[92:93]
	s_waitcnt vmcnt(14)
	v_mov_b32_e32 v92, v87
	v_fmac_f32_e32 v95, v79, v108
	v_fma_f32 v94, v78, v108, -v69
	ds_read2_b64 v[70:73], v68 offset0:57 offset1:58
	ds_read2_b64 v[74:77], v68 offset0:59 offset1:60
	;; [unrolled: 1-line block ×3, first 2 shown]
	ds_read_b64 v[78:79], v68 offset:504
	v_pk_mul_f32 v[92:93], v[80:81], v[92:93] op_sel_hi:[1,0]
	v_pk_add_f32 v[90:91], v[90:91], v[94:95]
	v_pk_fma_f32 v[94:95], v[80:81], v[86:87], v[92:93] op_sel:[0,0,1] op_sel_hi:[1,1,0] neg_lo:[0,0,1] neg_hi:[0,0,1]
	v_pk_fma_f32 v[80:81], v[80:81], v[86:87], v[92:93] op_sel:[0,0,1] op_sel_hi:[1,0,0]
	s_waitcnt vmcnt(12)
	v_mov_b32_e32 v86, v89
	v_mov_b32_e32 v95, v81
	s_waitcnt lgkmcnt(3)
	v_pk_mul_f32 v[86:87], v[70:71], v[86:87] op_sel_hi:[1,0]
	v_pk_add_f32 v[80:81], v[90:91], v[94:95]
	v_pk_fma_f32 v[90:91], v[70:71], v[88:89], v[86:87] op_sel:[0,0,1] op_sel_hi:[1,1,0] neg_lo:[0,0,1] neg_hi:[0,0,1]
	v_pk_fma_f32 v[70:71], v[70:71], v[88:89], v[86:87] op_sel:[0,0,1] op_sel_hi:[1,0,0]
	v_mov_b32_e32 v91, v71
	v_pk_add_f32 v[70:71], v[80:81], v[90:91]
	s_waitcnt vmcnt(11)
	v_mov_b32_e32 v80, v97
	v_pk_mul_f32 v[80:81], v[72:73], v[80:81] op_sel_hi:[1,0]
	s_waitcnt vmcnt(10)
	v_pk_fma_f32 v[86:87], v[72:73], v[96:97], v[80:81] op_sel:[0,0,1] op_sel_hi:[1,1,0] neg_lo:[0,0,1] neg_hi:[0,0,1]
	v_pk_fma_f32 v[72:73], v[72:73], v[96:97], v[80:81] op_sel:[0,0,1] op_sel_hi:[1,0,0]
	s_waitcnt vmcnt(9)
	v_mov_b32_e32 v72, v99
	v_mov_b32_e32 v87, v73
	s_waitcnt lgkmcnt(2)
	v_pk_mul_f32 v[72:73], v[74:75], v[72:73] op_sel_hi:[1,0]
	s_waitcnt vmcnt(8)
	v_pk_fma_f32 v[80:81], v[74:75], v[98:99], v[72:73] op_sel:[0,0,1] op_sel_hi:[1,1,0] neg_lo:[0,0,1] neg_hi:[0,0,1]
	v_pk_fma_f32 v[72:73], v[74:75], v[98:99], v[72:73] op_sel:[0,0,1] op_sel_hi:[1,0,0]
	s_waitcnt vmcnt(7)
	v_mov_b32_e32 v72, v101
	v_mov_b32_e32 v81, v73
	v_pk_mul_f32 v[72:73], v[76:77], v[72:73] op_sel_hi:[1,0]
	s_waitcnt vmcnt(6)
	v_pk_fma_f32 v[74:75], v[76:77], v[100:101], v[72:73] op_sel:[0,0,1] op_sel_hi:[1,1,0] neg_lo:[0,0,1] neg_hi:[0,0,1]
	v_pk_fma_f32 v[72:73], v[76:77], v[100:101], v[72:73] op_sel:[0,0,1] op_sel_hi:[1,0,0]
	v_pk_add_f32 v[70:71], v[70:71], v[86:87]
	s_waitcnt vmcnt(5)
	v_mov_b32_e32 v72, v103
	v_pk_add_f32 v[70:71], v[70:71], v[80:81]
	v_mov_b32_e32 v75, v73
	s_waitcnt lgkmcnt(1)
	v_pk_mul_f32 v[72:73], v[82:83], v[72:73] op_sel_hi:[1,0]
	v_pk_add_f32 v[70:71], v[70:71], v[74:75]
	s_waitcnt vmcnt(4)
	v_pk_fma_f32 v[74:75], v[82:83], v[102:103], v[72:73] op_sel:[0,0,1] op_sel_hi:[1,1,0] neg_lo:[0,0,1] neg_hi:[0,0,1]
	v_pk_fma_f32 v[72:73], v[82:83], v[102:103], v[72:73] op_sel:[0,0,1] op_sel_hi:[1,0,0]
	s_waitcnt vmcnt(3)
	v_mov_b32_e32 v72, v105
	v_mov_b32_e32 v75, v73
	v_pk_mul_f32 v[72:73], v[84:85], v[72:73] op_sel_hi:[1,0]
	v_pk_add_f32 v[70:71], v[70:71], v[74:75]
	s_waitcnt vmcnt(2)
	v_pk_fma_f32 v[74:75], v[84:85], v[104:105], v[72:73] op_sel:[0,0,1] op_sel_hi:[1,1,0] neg_lo:[0,0,1] neg_hi:[0,0,1]
	v_pk_fma_f32 v[72:73], v[84:85], v[104:105], v[72:73] op_sel:[0,0,1] op_sel_hi:[1,0,0]
	s_waitcnt vmcnt(1)
	v_mov_b32_e32 v72, v107
	v_mov_b32_e32 v75, v73
	s_waitcnt lgkmcnt(0)
	v_pk_mul_f32 v[72:73], v[78:79], v[72:73] op_sel_hi:[1,0]
	v_pk_add_f32 v[70:71], v[70:71], v[74:75]
	s_waitcnt vmcnt(0)
	v_pk_fma_f32 v[74:75], v[78:79], v[106:107], v[72:73] op_sel:[0,0,1] op_sel_hi:[1,1,0] neg_lo:[0,0,1] neg_hi:[0,0,1]
	v_pk_fma_f32 v[72:73], v[78:79], v[106:107], v[72:73] op_sel:[0,0,1] op_sel_hi:[1,0,0]
	v_mov_b32_e32 v75, v73
	v_pk_add_f32 v[70:71], v[70:71], v[74:75]
	v_pk_add_f32 v[66:67], v[66:67], v[70:71] neg_lo:[0,1] neg_hi:[0,1]
	buffer_store_dword v67, off, s[0:3], 0 offset:148
	buffer_store_dword v66, off, s[0:3], 0 offset:144
	s_and_saveexec_b64 s[4:5], vcc
	s_cbranch_execz .LBB95_171
; %bb.170:
	buffer_load_dword v66, off, s[0:3], 0 offset:136
	buffer_load_dword v67, off, s[0:3], 0 offset:140
	s_waitcnt vmcnt(0)
	ds_write_b64 v1, v[66:67]
	buffer_store_dword v68, off, s[0:3], 0 offset:136
	buffer_store_dword v68, off, s[0:3], 0 offset:140
.LBB95_171:
	s_or_b64 exec, exec, s[4:5]
	s_waitcnt lgkmcnt(0)
	; wave barrier
	s_waitcnt lgkmcnt(0)
	ds_read_b128 v[70:73], v68 offset:400
	ds_read_b128 v[74:77], v68 offset:416
	;; [unrolled: 1-line block ×4, first 2 shown]
	buffer_load_dword v66, off, s[0:3], 0 offset:136
	buffer_load_dword v67, off, s[0:3], 0 offset:140
	;; [unrolled: 1-line block ×30, first 2 shown]
	v_cmp_lt_u32_e32 vcc, 16, v0
	s_waitcnt vmcnt(26) lgkmcnt(3)
	v_mul_f32_e32 v89, v70, v88
	v_fmac_f32_e32 v89, v71, v69
	v_mul_f32_e32 v71, v71, v88
	s_waitcnt vmcnt(24)
	v_mul_f32_e32 v91, v72, v92
	v_fma_f32 v69, v70, v69, -v71
	v_mul_f32_e32 v70, v73, v92
	v_add_f32_e32 v89, 0, v89
	v_fmac_f32_e32 v91, v73, v90
	v_add_f32_e32 v69, 0, v69
	v_fma_f32 v70, v72, v90, -v70
	v_add_f32_e32 v89, v89, v91
	s_waitcnt vmcnt(22) lgkmcnt(2)
	v_mul_f32_e32 v91, v74, v109
	v_add_f32_e32 v69, v69, v70
	v_mul_f32_e32 v70, v75, v109
	v_fmac_f32_e32 v91, v75, v108
	v_fma_f32 v70, v74, v108, -v70
	v_add_f32_e32 v89, v89, v91
	s_waitcnt vmcnt(20)
	v_mul_f32_e32 v91, v76, v111
	v_add_f32_e32 v69, v69, v70
	v_mul_f32_e32 v70, v77, v111
	v_fmac_f32_e32 v91, v77, v110
	v_fma_f32 v70, v76, v110, -v70
	v_add_f32_e32 v89, v89, v91
	s_waitcnt vmcnt(18) lgkmcnt(1)
	v_mul_f32_e32 v91, v78, v113
	v_add_f32_e32 v88, v69, v70
	v_mul_f32_e32 v69, v79, v113
	v_fmac_f32_e32 v91, v79, v112
	s_waitcnt vmcnt(16)
	v_mul_f32_e32 v93, v80, v115
	v_fma_f32 v90, v78, v112, -v69
	v_mul_f32_e32 v69, v81, v115
	v_fmac_f32_e32 v93, v81, v114
	v_fma_f32 v92, v80, v114, -v69
	ds_read_b128 v[70:73], v68 offset:464
	ds_read_b128 v[74:77], v68 offset:480
	;; [unrolled: 1-line block ×3, first 2 shown]
	v_pk_add_f32 v[68:69], v[88:89], v[90:91]
	s_waitcnt vmcnt(14)
	v_mov_b32_e32 v88, v87
	s_waitcnt lgkmcnt(3)
	v_pk_mul_f32 v[88:89], v[82:83], v[88:89] op_sel_hi:[1,0]
	v_pk_fma_f32 v[90:91], v[82:83], v[86:87], v[88:89] op_sel:[0,0,1] op_sel_hi:[1,1,0] neg_lo:[0,0,1] neg_hi:[0,0,1]
	v_pk_fma_f32 v[82:83], v[82:83], v[86:87], v[88:89] op_sel:[0,0,1] op_sel_hi:[1,0,0]
	s_waitcnt vmcnt(13)
	v_mov_b32_e32 v82, v95
	v_mov_b32_e32 v91, v83
	v_pk_mul_f32 v[82:83], v[84:85], v[82:83] op_sel_hi:[1,0]
	s_waitcnt vmcnt(12)
	v_pk_fma_f32 v[86:87], v[84:85], v[94:95], v[82:83] op_sel:[0,0,1] op_sel_hi:[1,1,0] neg_lo:[0,0,1] neg_hi:[0,0,1]
	v_pk_fma_f32 v[82:83], v[84:85], v[94:95], v[82:83] op_sel:[0,0,1] op_sel_hi:[1,0,0]
	s_waitcnt vmcnt(11)
	v_mov_b32_e32 v82, v97
	v_mov_b32_e32 v87, v83
	s_waitcnt lgkmcnt(2)
	v_pk_mul_f32 v[82:83], v[70:71], v[82:83] op_sel_hi:[1,0]
	s_waitcnt vmcnt(10)
	v_pk_fma_f32 v[84:85], v[70:71], v[96:97], v[82:83] op_sel:[0,0,1] op_sel_hi:[1,1,0] neg_lo:[0,0,1] neg_hi:[0,0,1]
	v_pk_fma_f32 v[70:71], v[70:71], v[96:97], v[82:83] op_sel:[0,0,1] op_sel_hi:[1,0,0]
	s_waitcnt vmcnt(9)
	v_mov_b32_e32 v70, v99
	v_mov_b32_e32 v85, v71
	v_pk_mul_f32 v[70:71], v[72:73], v[70:71] op_sel_hi:[1,0]
	s_waitcnt vmcnt(8)
	v_pk_fma_f32 v[82:83], v[72:73], v[98:99], v[70:71] op_sel:[0,0,1] op_sel_hi:[1,1,0] neg_lo:[0,0,1] neg_hi:[0,0,1]
	v_pk_fma_f32 v[70:71], v[72:73], v[98:99], v[70:71] op_sel:[0,0,1] op_sel_hi:[1,0,0]
	v_pk_add_f32 v[68:69], v[68:69], v[92:93]
	s_waitcnt vmcnt(7)
	v_mov_b32_e32 v70, v101
	v_pk_add_f32 v[68:69], v[68:69], v[90:91]
	v_mov_b32_e32 v83, v71
	s_waitcnt lgkmcnt(1)
	v_pk_mul_f32 v[70:71], v[74:75], v[70:71] op_sel_hi:[1,0]
	v_pk_add_f32 v[68:69], v[68:69], v[86:87]
	s_waitcnt vmcnt(6)
	v_pk_fma_f32 v[72:73], v[74:75], v[100:101], v[70:71] op_sel:[0,0,1] op_sel_hi:[1,1,0] neg_lo:[0,0,1] neg_hi:[0,0,1]
	v_pk_fma_f32 v[70:71], v[74:75], v[100:101], v[70:71] op_sel:[0,0,1] op_sel_hi:[1,0,0]
	v_pk_add_f32 v[68:69], v[68:69], v[84:85]
	s_waitcnt vmcnt(5)
	v_mov_b32_e32 v70, v103
	v_pk_add_f32 v[68:69], v[68:69], v[82:83]
	v_mov_b32_e32 v73, v71
	v_pk_mul_f32 v[70:71], v[76:77], v[70:71] op_sel_hi:[1,0]
	v_pk_add_f32 v[68:69], v[68:69], v[72:73]
	s_waitcnt vmcnt(4)
	v_pk_fma_f32 v[72:73], v[76:77], v[102:103], v[70:71] op_sel:[0,0,1] op_sel_hi:[1,1,0] neg_lo:[0,0,1] neg_hi:[0,0,1]
	v_pk_fma_f32 v[70:71], v[76:77], v[102:103], v[70:71] op_sel:[0,0,1] op_sel_hi:[1,0,0]
	s_waitcnt vmcnt(3)
	v_mov_b32_e32 v70, v105
	v_mov_b32_e32 v73, v71
	s_waitcnt lgkmcnt(0)
	v_pk_mul_f32 v[70:71], v[78:79], v[70:71] op_sel_hi:[1,0]
	v_pk_add_f32 v[68:69], v[68:69], v[72:73]
	s_waitcnt vmcnt(2)
	v_pk_fma_f32 v[72:73], v[78:79], v[104:105], v[70:71] op_sel:[0,0,1] op_sel_hi:[1,1,0] neg_lo:[0,0,1] neg_hi:[0,0,1]
	v_pk_fma_f32 v[70:71], v[78:79], v[104:105], v[70:71] op_sel:[0,0,1] op_sel_hi:[1,0,0]
	s_waitcnt vmcnt(1)
	v_mov_b32_e32 v70, v107
	v_mov_b32_e32 v73, v71
	v_pk_mul_f32 v[70:71], v[80:81], v[70:71] op_sel_hi:[1,0]
	v_pk_add_f32 v[68:69], v[68:69], v[72:73]
	s_waitcnt vmcnt(0)
	v_pk_fma_f32 v[72:73], v[80:81], v[106:107], v[70:71] op_sel:[0,0,1] op_sel_hi:[1,1,0] neg_lo:[0,0,1] neg_hi:[0,0,1]
	v_pk_fma_f32 v[70:71], v[80:81], v[106:107], v[70:71] op_sel:[0,0,1] op_sel_hi:[1,0,0]
	v_mov_b32_e32 v73, v71
	v_pk_add_f32 v[68:69], v[68:69], v[72:73]
	v_pk_add_f32 v[66:67], v[66:67], v[68:69] neg_lo:[0,1] neg_hi:[0,1]
	buffer_store_dword v67, off, s[0:3], 0 offset:140
	buffer_store_dword v66, off, s[0:3], 0 offset:136
	s_and_saveexec_b64 s[4:5], vcc
	s_cbranch_execz .LBB95_173
; %bb.172:
	buffer_load_dword v66, off, s[0:3], 0 offset:128
	buffer_load_dword v67, off, s[0:3], 0 offset:132
	v_mov_b32_e32 v68, 0
	buffer_store_dword v68, off, s[0:3], 0 offset:128
	buffer_store_dword v68, off, s[0:3], 0 offset:132
	s_waitcnt vmcnt(2)
	ds_write_b64 v1, v[66:67]
.LBB95_173:
	s_or_b64 exec, exec, s[4:5]
	v_mov_b32_e32 v68, 0
	s_waitcnt lgkmcnt(0)
	; wave barrier
	s_waitcnt lgkmcnt(0)
	ds_read2_b64 v[70:73], v68 offset0:49 offset1:50
	buffer_load_dword v66, off, s[0:3], 0 offset:128
	buffer_load_dword v67, off, s[0:3], 0 offset:132
	;; [unrolled: 1-line block ×16, first 2 shown]
	v_cmp_lt_u32_e32 vcc, 15, v0
	s_waitcnt vmcnt(12) lgkmcnt(0)
	v_mul_f32_e32 v74, v70, v86
	v_fmac_f32_e32 v74, v71, v69
	s_waitcnt vmcnt(10)
	v_mul_f32_e32 v75, v72, v90
	v_add_f32_e32 v74, 0, v74
	v_fmac_f32_e32 v75, v73, v88
	v_add_f32_e32 v78, v74, v75
	ds_read2_b64 v[74:77], v68 offset0:51 offset1:52
	v_mul_f32_e32 v71, v71, v86
	v_fma_f32 v69, v70, v69, -v71
	v_mul_f32_e32 v70, v73, v90
	v_add_f32_e32 v69, 0, v69
	s_waitcnt vmcnt(8) lgkmcnt(0)
	v_mul_f32_e32 v79, v74, v109
	v_fmac_f32_e32 v79, v75, v108
	v_add_f32_e32 v78, v78, v79
	s_waitcnt vmcnt(6)
	v_mul_f32_e32 v79, v76, v111
	v_fmac_f32_e32 v79, v77, v110
	v_add_f32_e32 v82, v78, v79
	ds_read2_b64 v[78:81], v68 offset0:53 offset1:54
	v_fma_f32 v70, v72, v88, -v70
	v_add_f32_e32 v69, v69, v70
	v_mul_f32_e32 v70, v75, v109
	v_fma_f32 v70, v74, v108, -v70
	s_waitcnt vmcnt(4) lgkmcnt(0)
	v_mul_f32_e32 v83, v78, v113
	v_fmac_f32_e32 v83, v79, v112
	v_add_f32_e32 v87, v82, v83
	ds_read2_b64 v[82:85], v68 offset0:55 offset1:56
	buffer_load_dword v93, off, s[0:3], 0 offset:196
	buffer_load_dword v92, off, s[0:3], 0 offset:192
	;; [unrolled: 1-line block ×16, first 2 shown]
	v_add_f32_e32 v69, v69, v70
	v_mul_f32_e32 v70, v77, v111
	v_fma_f32 v70, v76, v110, -v70
	v_add_f32_e32 v69, v69, v70
	v_mul_f32_e32 v70, v79, v113
	v_fma_f32 v70, v78, v112, -v70
	s_waitcnt vmcnt(18)
	v_mul_f32_e32 v89, v80, v115
	v_add_f32_e32 v86, v69, v70
	v_mul_f32_e32 v69, v81, v115
	v_fmac_f32_e32 v89, v81, v114
	v_fma_f32 v88, v80, v114, -v69
	s_waitcnt vmcnt(16) lgkmcnt(0)
	v_mul_f32_e32 v91, v82, v117
	v_mul_f32_e32 v69, v83, v117
	v_pk_add_f32 v[86:87], v[86:87], v[88:89]
	v_fmac_f32_e32 v91, v83, v116
	v_fma_f32 v90, v82, v116, -v69
	v_pk_add_f32 v[86:87], v[86:87], v[90:91]
	ds_read2_b64 v[70:73], v68 offset0:57 offset1:58
	ds_read2_b64 v[74:77], v68 offset0:59 offset1:60
	;; [unrolled: 1-line block ×3, first 2 shown]
	ds_read_b64 v[82:83], v68 offset:504
	s_waitcnt vmcnt(15)
	v_mov_b32_e32 v88, v93
	v_pk_mul_f32 v[88:89], v[84:85], v[88:89] op_sel_hi:[1,0]
	s_waitcnt vmcnt(14)
	v_pk_fma_f32 v[90:91], v[84:85], v[92:93], v[88:89] op_sel:[0,0,1] op_sel_hi:[1,1,0] neg_lo:[0,0,1] neg_hi:[0,0,1]
	v_pk_fma_f32 v[84:85], v[84:85], v[92:93], v[88:89] op_sel:[0,0,1] op_sel_hi:[1,0,0]
	v_mov_b32_e32 v91, v85
	v_pk_add_f32 v[84:85], v[86:87], v[90:91]
	s_waitcnt vmcnt(13)
	v_mov_b32_e32 v86, v95
	s_waitcnt lgkmcnt(3)
	v_pk_mul_f32 v[86:87], v[70:71], v[86:87] op_sel_hi:[1,0]
	s_waitcnt vmcnt(12)
	v_pk_fma_f32 v[88:89], v[70:71], v[94:95], v[86:87] op_sel:[0,0,1] op_sel_hi:[1,1,0] neg_lo:[0,0,1] neg_hi:[0,0,1]
	v_pk_fma_f32 v[70:71], v[70:71], v[94:95], v[86:87] op_sel:[0,0,1] op_sel_hi:[1,0,0]
	v_mov_b32_e32 v89, v71
	v_pk_add_f32 v[70:71], v[84:85], v[88:89]
	s_waitcnt vmcnt(11)
	v_mov_b32_e32 v84, v97
	v_pk_mul_f32 v[84:85], v[72:73], v[84:85] op_sel_hi:[1,0]
	s_waitcnt vmcnt(10)
	v_pk_fma_f32 v[86:87], v[72:73], v[96:97], v[84:85] op_sel:[0,0,1] op_sel_hi:[1,1,0] neg_lo:[0,0,1] neg_hi:[0,0,1]
	v_pk_fma_f32 v[72:73], v[72:73], v[96:97], v[84:85] op_sel:[0,0,1] op_sel_hi:[1,0,0]
	s_waitcnt vmcnt(9)
	v_mov_b32_e32 v72, v99
	v_mov_b32_e32 v87, v73
	s_waitcnt lgkmcnt(2)
	v_pk_mul_f32 v[72:73], v[74:75], v[72:73] op_sel_hi:[1,0]
	s_waitcnt vmcnt(8)
	v_pk_fma_f32 v[84:85], v[74:75], v[98:99], v[72:73] op_sel:[0,0,1] op_sel_hi:[1,1,0] neg_lo:[0,0,1] neg_hi:[0,0,1]
	v_pk_fma_f32 v[72:73], v[74:75], v[98:99], v[72:73] op_sel:[0,0,1] op_sel_hi:[1,0,0]
	s_waitcnt vmcnt(7)
	v_mov_b32_e32 v72, v101
	v_mov_b32_e32 v85, v73
	v_pk_mul_f32 v[72:73], v[76:77], v[72:73] op_sel_hi:[1,0]
	s_waitcnt vmcnt(6)
	v_pk_fma_f32 v[74:75], v[76:77], v[100:101], v[72:73] op_sel:[0,0,1] op_sel_hi:[1,1,0] neg_lo:[0,0,1] neg_hi:[0,0,1]
	v_pk_fma_f32 v[72:73], v[76:77], v[100:101], v[72:73] op_sel:[0,0,1] op_sel_hi:[1,0,0]
	v_pk_add_f32 v[70:71], v[70:71], v[86:87]
	s_waitcnt vmcnt(5)
	v_mov_b32_e32 v72, v103
	v_pk_add_f32 v[70:71], v[70:71], v[84:85]
	v_mov_b32_e32 v75, v73
	s_waitcnt lgkmcnt(1)
	v_pk_mul_f32 v[72:73], v[78:79], v[72:73] op_sel_hi:[1,0]
	v_pk_add_f32 v[70:71], v[70:71], v[74:75]
	s_waitcnt vmcnt(4)
	v_pk_fma_f32 v[74:75], v[78:79], v[102:103], v[72:73] op_sel:[0,0,1] op_sel_hi:[1,1,0] neg_lo:[0,0,1] neg_hi:[0,0,1]
	v_pk_fma_f32 v[72:73], v[78:79], v[102:103], v[72:73] op_sel:[0,0,1] op_sel_hi:[1,0,0]
	s_waitcnt vmcnt(3)
	v_mov_b32_e32 v72, v105
	v_mov_b32_e32 v75, v73
	v_pk_mul_f32 v[72:73], v[80:81], v[72:73] op_sel_hi:[1,0]
	v_pk_add_f32 v[70:71], v[70:71], v[74:75]
	s_waitcnt vmcnt(2)
	v_pk_fma_f32 v[74:75], v[80:81], v[104:105], v[72:73] op_sel:[0,0,1] op_sel_hi:[1,1,0] neg_lo:[0,0,1] neg_hi:[0,0,1]
	v_pk_fma_f32 v[72:73], v[80:81], v[104:105], v[72:73] op_sel:[0,0,1] op_sel_hi:[1,0,0]
	s_waitcnt vmcnt(1)
	v_mov_b32_e32 v72, v107
	v_mov_b32_e32 v75, v73
	s_waitcnt lgkmcnt(0)
	v_pk_mul_f32 v[72:73], v[82:83], v[72:73] op_sel_hi:[1,0]
	v_pk_add_f32 v[70:71], v[70:71], v[74:75]
	s_waitcnt vmcnt(0)
	v_pk_fma_f32 v[74:75], v[82:83], v[106:107], v[72:73] op_sel:[0,0,1] op_sel_hi:[1,1,0] neg_lo:[0,0,1] neg_hi:[0,0,1]
	v_pk_fma_f32 v[72:73], v[82:83], v[106:107], v[72:73] op_sel:[0,0,1] op_sel_hi:[1,0,0]
	v_mov_b32_e32 v75, v73
	v_pk_add_f32 v[70:71], v[70:71], v[74:75]
	v_pk_add_f32 v[66:67], v[66:67], v[70:71] neg_lo:[0,1] neg_hi:[0,1]
	buffer_store_dword v67, off, s[0:3], 0 offset:132
	buffer_store_dword v66, off, s[0:3], 0 offset:128
	s_and_saveexec_b64 s[4:5], vcc
	s_cbranch_execz .LBB95_175
; %bb.174:
	buffer_load_dword v66, off, s[0:3], 0 offset:120
	buffer_load_dword v67, off, s[0:3], 0 offset:124
	s_waitcnt vmcnt(0)
	ds_write_b64 v1, v[66:67]
	buffer_store_dword v68, off, s[0:3], 0 offset:120
	buffer_store_dword v68, off, s[0:3], 0 offset:124
.LBB95_175:
	s_or_b64 exec, exec, s[4:5]
	s_waitcnt lgkmcnt(0)
	; wave barrier
	s_waitcnt lgkmcnt(0)
	ds_read_b128 v[70:73], v68 offset:384
	ds_read_b128 v[74:77], v68 offset:400
	;; [unrolled: 1-line block ×4, first 2 shown]
	buffer_load_dword v66, off, s[0:3], 0 offset:120
	buffer_load_dword v67, off, s[0:3], 0 offset:124
	;; [unrolled: 1-line block ×20, first 2 shown]
	v_cmp_lt_u32_e32 vcc, 14, v0
	s_waitcnt vmcnt(16) lgkmcnt(3)
	v_mul_f32_e32 v86, v70, v90
	v_fmac_f32_e32 v86, v71, v69
	s_waitcnt vmcnt(14)
	v_mul_f32_e32 v87, v72, v94
	v_add_f32_e32 v86, 0, v86
	v_fmac_f32_e32 v87, v73, v92
	v_add_f32_e32 v86, v86, v87
	s_waitcnt vmcnt(12) lgkmcnt(2)
	v_mul_f32_e32 v87, v74, v113
	v_fmac_f32_e32 v87, v75, v112
	v_add_f32_e32 v86, v86, v87
	s_waitcnt vmcnt(10)
	v_mul_f32_e32 v87, v76, v115
	v_fmac_f32_e32 v87, v77, v114
	v_add_f32_e32 v86, v86, v87
	s_waitcnt vmcnt(8) lgkmcnt(1)
	v_mul_f32_e32 v87, v78, v117
	v_fmac_f32_e32 v87, v79, v116
	v_add_f32_e32 v86, v86, v87
	s_waitcnt vmcnt(6)
	v_mul_f32_e32 v87, v80, v119
	v_fmac_f32_e32 v87, v81, v118
	v_add_f32_e32 v91, v86, v87
	ds_read_b128 v[86:89], v68 offset:448
	buffer_load_dword v99, off, s[0:3], 0 offset:204
	buffer_load_dword v98, off, s[0:3], 0 offset:200
	;; [unrolled: 1-line block ×14, first 2 shown]
	v_mul_f32_e32 v71, v71, v90
	v_fma_f32 v69, v70, v69, -v71
	v_mul_f32_e32 v70, v73, v94
	v_add_f32_e32 v69, 0, v69
	v_fma_f32 v70, v72, v92, -v70
	v_add_f32_e32 v69, v69, v70
	v_mul_f32_e32 v70, v75, v113
	v_fma_f32 v70, v74, v112, -v70
	v_add_f32_e32 v69, v69, v70
	v_mul_f32_e32 v70, v77, v115
	;; [unrolled: 3-line block ×4, first 2 shown]
	v_fma_f32 v70, v80, v118, -v70
	v_add_f32_e32 v90, v69, v70
	s_waitcnt vmcnt(18) lgkmcnt(1)
	v_mul_f32_e32 v69, v83, v121
	v_mul_f32_e32 v93, v82, v121
	v_fma_f32 v92, v82, v120, -v69
	s_waitcnt vmcnt(15)
	v_mov_b32_e32 v82, v97
	v_fmac_f32_e32 v93, v83, v120
	v_mul_f32_e32 v95, v84, v123
	v_mul_f32_e32 v69, v85, v123
	s_waitcnt lgkmcnt(0)
	v_pk_mul_f32 v[82:83], v[86:87], v[82:83] op_sel_hi:[1,0]
	v_fmac_f32_e32 v95, v85, v122
	v_fma_f32 v94, v84, v122, -v69
	s_waitcnt vmcnt(14)
	v_pk_fma_f32 v[84:85], v[86:87], v[96:97], v[82:83] op_sel:[0,0,1] op_sel_hi:[1,1,0] neg_lo:[0,0,1] neg_hi:[0,0,1]
	v_pk_fma_f32 v[82:83], v[86:87], v[96:97], v[82:83] op_sel:[0,0,1] op_sel_hi:[1,0,0]
	ds_read_b128 v[70:73], v68 offset:464
	ds_read_b128 v[74:77], v68 offset:480
	;; [unrolled: 1-line block ×3, first 2 shown]
	v_pk_add_f32 v[68:69], v[90:91], v[92:93]
	v_pk_add_f32 v[68:69], v[68:69], v[94:95]
	v_mov_b32_e32 v85, v83
	v_pk_add_f32 v[68:69], v[68:69], v[84:85]
	s_waitcnt vmcnt(13)
	v_mov_b32_e32 v82, v99
	v_pk_mul_f32 v[82:83], v[88:89], v[82:83] op_sel_hi:[1,0]
	s_waitcnt vmcnt(12)
	v_pk_fma_f32 v[84:85], v[88:89], v[98:99], v[82:83] op_sel:[0,0,1] op_sel_hi:[1,1,0] neg_lo:[0,0,1] neg_hi:[0,0,1]
	v_pk_fma_f32 v[82:83], v[88:89], v[98:99], v[82:83] op_sel:[0,0,1] op_sel_hi:[1,0,0]
	s_waitcnt vmcnt(11)
	v_mov_b32_e32 v82, v101
	v_mov_b32_e32 v85, v83
	s_waitcnt lgkmcnt(2)
	v_pk_mul_f32 v[82:83], v[70:71], v[82:83] op_sel_hi:[1,0]
	v_pk_add_f32 v[68:69], v[68:69], v[84:85]
	s_waitcnt vmcnt(10)
	v_pk_fma_f32 v[84:85], v[70:71], v[100:101], v[82:83] op_sel:[0,0,1] op_sel_hi:[1,1,0] neg_lo:[0,0,1] neg_hi:[0,0,1]
	v_pk_fma_f32 v[70:71], v[70:71], v[100:101], v[82:83] op_sel:[0,0,1] op_sel_hi:[1,0,0]
	s_waitcnt vmcnt(9)
	v_mov_b32_e32 v70, v103
	v_mov_b32_e32 v85, v71
	v_pk_mul_f32 v[70:71], v[72:73], v[70:71] op_sel_hi:[1,0]
	s_waitcnt vmcnt(8)
	v_pk_fma_f32 v[82:83], v[72:73], v[102:103], v[70:71] op_sel:[0,0,1] op_sel_hi:[1,1,0] neg_lo:[0,0,1] neg_hi:[0,0,1]
	v_pk_fma_f32 v[70:71], v[72:73], v[102:103], v[70:71] op_sel:[0,0,1] op_sel_hi:[1,0,0]
	s_waitcnt vmcnt(7)
	v_mov_b32_e32 v70, v105
	v_mov_b32_e32 v83, v71
	s_waitcnt lgkmcnt(1)
	v_pk_mul_f32 v[70:71], v[74:75], v[70:71] op_sel_hi:[1,0]
	s_waitcnt vmcnt(6)
	v_pk_fma_f32 v[72:73], v[74:75], v[104:105], v[70:71] op_sel:[0,0,1] op_sel_hi:[1,1,0] neg_lo:[0,0,1] neg_hi:[0,0,1]
	v_pk_fma_f32 v[70:71], v[74:75], v[104:105], v[70:71] op_sel:[0,0,1] op_sel_hi:[1,0,0]
	v_pk_add_f32 v[68:69], v[68:69], v[84:85]
	s_waitcnt vmcnt(5)
	v_mov_b32_e32 v70, v107
	v_pk_add_f32 v[68:69], v[68:69], v[82:83]
	v_mov_b32_e32 v73, v71
	v_pk_mul_f32 v[70:71], v[76:77], v[70:71] op_sel_hi:[1,0]
	v_pk_add_f32 v[68:69], v[68:69], v[72:73]
	s_waitcnt vmcnt(4)
	v_pk_fma_f32 v[72:73], v[76:77], v[106:107], v[70:71] op_sel:[0,0,1] op_sel_hi:[1,1,0] neg_lo:[0,0,1] neg_hi:[0,0,1]
	v_pk_fma_f32 v[70:71], v[76:77], v[106:107], v[70:71] op_sel:[0,0,1] op_sel_hi:[1,0,0]
	s_waitcnt vmcnt(3)
	v_mov_b32_e32 v70, v109
	v_mov_b32_e32 v73, v71
	s_waitcnt lgkmcnt(0)
	v_pk_mul_f32 v[70:71], v[78:79], v[70:71] op_sel_hi:[1,0]
	v_pk_add_f32 v[68:69], v[68:69], v[72:73]
	s_waitcnt vmcnt(2)
	v_pk_fma_f32 v[72:73], v[78:79], v[108:109], v[70:71] op_sel:[0,0,1] op_sel_hi:[1,1,0] neg_lo:[0,0,1] neg_hi:[0,0,1]
	v_pk_fma_f32 v[70:71], v[78:79], v[108:109], v[70:71] op_sel:[0,0,1] op_sel_hi:[1,0,0]
	s_waitcnt vmcnt(1)
	v_mov_b32_e32 v70, v111
	v_mov_b32_e32 v73, v71
	v_pk_mul_f32 v[70:71], v[80:81], v[70:71] op_sel_hi:[1,0]
	v_pk_add_f32 v[68:69], v[68:69], v[72:73]
	s_waitcnt vmcnt(0)
	v_pk_fma_f32 v[72:73], v[80:81], v[110:111], v[70:71] op_sel:[0,0,1] op_sel_hi:[1,1,0] neg_lo:[0,0,1] neg_hi:[0,0,1]
	v_pk_fma_f32 v[70:71], v[80:81], v[110:111], v[70:71] op_sel:[0,0,1] op_sel_hi:[1,0,0]
	v_mov_b32_e32 v73, v71
	v_pk_add_f32 v[68:69], v[68:69], v[72:73]
	v_pk_add_f32 v[66:67], v[66:67], v[68:69] neg_lo:[0,1] neg_hi:[0,1]
	buffer_store_dword v67, off, s[0:3], 0 offset:124
	buffer_store_dword v66, off, s[0:3], 0 offset:120
	s_and_saveexec_b64 s[4:5], vcc
	s_cbranch_execz .LBB95_177
; %bb.176:
	buffer_load_dword v66, off, s[0:3], 0 offset:112
	buffer_load_dword v67, off, s[0:3], 0 offset:116
	v_mov_b32_e32 v68, 0
	buffer_store_dword v68, off, s[0:3], 0 offset:112
	buffer_store_dword v68, off, s[0:3], 0 offset:116
	s_waitcnt vmcnt(2)
	ds_write_b64 v1, v[66:67]
.LBB95_177:
	s_or_b64 exec, exec, s[4:5]
	v_mov_b32_e32 v68, 0
	s_waitcnt lgkmcnt(0)
	; wave barrier
	s_waitcnt lgkmcnt(0)
	ds_read2_b64 v[70:73], v68 offset0:47 offset1:48
	buffer_load_dword v66, off, s[0:3], 0 offset:112
	buffer_load_dword v67, off, s[0:3], 0 offset:116
	buffer_load_dword v69, off, s[0:3], 0 offset:120
	buffer_load_dword v90, off, s[0:3], 0 offset:124
	buffer_load_dword v92, off, s[0:3], 0 offset:128
	buffer_load_dword v94, off, s[0:3], 0 offset:132
	buffer_load_dword v112, off, s[0:3], 0 offset:136
	buffer_load_dword v113, off, s[0:3], 0 offset:140
	buffer_load_dword v114, off, s[0:3], 0 offset:144
	buffer_load_dword v115, off, s[0:3], 0 offset:148
	buffer_load_dword v116, off, s[0:3], 0 offset:152
	buffer_load_dword v117, off, s[0:3], 0 offset:156
	buffer_load_dword v118, off, s[0:3], 0 offset:160
	buffer_load_dword v119, off, s[0:3], 0 offset:164
	buffer_load_dword v120, off, s[0:3], 0 offset:168
	buffer_load_dword v121, off, s[0:3], 0 offset:172
	v_cmp_lt_u32_e32 vcc, 13, v0
	s_waitcnt vmcnt(12) lgkmcnt(0)
	v_mul_f32_e32 v74, v70, v90
	v_fmac_f32_e32 v74, v71, v69
	s_waitcnt vmcnt(10)
	v_mul_f32_e32 v75, v72, v94
	v_add_f32_e32 v74, 0, v74
	v_fmac_f32_e32 v75, v73, v92
	v_add_f32_e32 v78, v74, v75
	ds_read2_b64 v[74:77], v68 offset0:49 offset1:50
	v_mul_f32_e32 v71, v71, v90
	v_fma_f32 v69, v70, v69, -v71
	v_mul_f32_e32 v70, v73, v94
	v_add_f32_e32 v69, 0, v69
	s_waitcnt vmcnt(8) lgkmcnt(0)
	v_mul_f32_e32 v79, v74, v113
	v_fmac_f32_e32 v79, v75, v112
	v_add_f32_e32 v78, v78, v79
	s_waitcnt vmcnt(6)
	v_mul_f32_e32 v79, v76, v115
	v_fmac_f32_e32 v79, v77, v114
	v_add_f32_e32 v82, v78, v79
	ds_read2_b64 v[78:81], v68 offset0:51 offset1:52
	v_fma_f32 v70, v72, v92, -v70
	v_add_f32_e32 v69, v69, v70
	v_mul_f32_e32 v70, v75, v113
	v_fma_f32 v70, v74, v112, -v70
	s_waitcnt vmcnt(4) lgkmcnt(0)
	v_mul_f32_e32 v83, v78, v117
	v_fmac_f32_e32 v83, v79, v116
	v_add_f32_e32 v82, v82, v83
	s_waitcnt vmcnt(2)
	v_mul_f32_e32 v83, v80, v119
	v_fmac_f32_e32 v83, v81, v118
	v_add_f32_e32 v86, v82, v83
	ds_read2_b64 v[82:85], v68 offset0:53 offset1:54
	buffer_load_dword v122, off, s[0:3], 0 offset:176
	buffer_load_dword v123, off, s[0:3], 0 offset:180
	v_add_f32_e32 v69, v69, v70
	v_mul_f32_e32 v70, v77, v115
	v_fma_f32 v70, v76, v114, -v70
	s_waitcnt vmcnt(2) lgkmcnt(0)
	v_mul_f32_e32 v87, v82, v121
	v_fmac_f32_e32 v87, v83, v120
	v_add_f32_e32 v91, v86, v87
	ds_read2_b64 v[86:89], v68 offset0:55 offset1:56
	buffer_load_dword v124, off, s[0:3], 0 offset:184
	buffer_load_dword v125, off, s[0:3], 0 offset:188
	;; [unrolled: 1-line block ×18, first 2 shown]
	v_add_f32_e32 v69, v69, v70
	v_mul_f32_e32 v70, v79, v117
	v_fma_f32 v70, v78, v116, -v70
	v_add_f32_e32 v69, v69, v70
	v_mul_f32_e32 v70, v81, v119
	v_fma_f32 v70, v80, v118, -v70
	;; [unrolled: 3-line block ×3, first 2 shown]
	v_add_f32_e32 v90, v69, v70
	ds_read2_b64 v[70:73], v68 offset0:57 offset1:58
	ds_read2_b64 v[74:77], v68 offset0:59 offset1:60
	;; [unrolled: 1-line block ×3, first 2 shown]
	ds_read_b64 v[82:83], v68 offset:504
	s_waitcnt vmcnt(18)
	v_mul_f32_e32 v69, v85, v123
	v_fma_f32 v92, v84, v122, -v69
	v_mul_f32_e32 v93, v84, v123
	v_fmac_f32_e32 v93, v85, v122
	v_pk_add_f32 v[84:85], v[90:91], v[92:93]
	s_waitcnt vmcnt(16) lgkmcnt(4)
	v_mul_f32_e32 v69, v87, v125
	v_mul_f32_e32 v95, v86, v125
	v_fma_f32 v94, v86, v124, -v69
	s_waitcnt vmcnt(15)
	v_mov_b32_e32 v86, v97
	v_fmac_f32_e32 v95, v87, v124
	v_pk_mul_f32 v[86:87], v[88:89], v[86:87] op_sel_hi:[1,0]
	s_waitcnt vmcnt(14)
	v_pk_fma_f32 v[90:91], v[88:89], v[96:97], v[86:87] op_sel:[0,0,1] op_sel_hi:[1,1,0] neg_lo:[0,0,1] neg_hi:[0,0,1]
	v_pk_fma_f32 v[86:87], v[88:89], v[96:97], v[86:87] op_sel:[0,0,1] op_sel_hi:[1,0,0]
	s_waitcnt vmcnt(13)
	v_mov_b32_e32 v86, v99
	v_mov_b32_e32 v91, v87
	s_waitcnt lgkmcnt(3)
	v_pk_mul_f32 v[86:87], v[70:71], v[86:87] op_sel_hi:[1,0]
	v_pk_add_f32 v[84:85], v[84:85], v[94:95]
	s_waitcnt vmcnt(12)
	v_pk_fma_f32 v[88:89], v[70:71], v[98:99], v[86:87] op_sel:[0,0,1] op_sel_hi:[1,1,0] neg_lo:[0,0,1] neg_hi:[0,0,1]
	v_pk_fma_f32 v[70:71], v[70:71], v[98:99], v[86:87] op_sel:[0,0,1] op_sel_hi:[1,0,0]
	v_pk_add_f32 v[84:85], v[84:85], v[90:91]
	v_mov_b32_e32 v89, v71
	v_pk_add_f32 v[70:71], v[84:85], v[88:89]
	s_waitcnt vmcnt(11)
	v_mov_b32_e32 v84, v101
	v_pk_mul_f32 v[84:85], v[72:73], v[84:85] op_sel_hi:[1,0]
	s_waitcnt vmcnt(10)
	v_pk_fma_f32 v[86:87], v[72:73], v[100:101], v[84:85] op_sel:[0,0,1] op_sel_hi:[1,1,0] neg_lo:[0,0,1] neg_hi:[0,0,1]
	v_pk_fma_f32 v[72:73], v[72:73], v[100:101], v[84:85] op_sel:[0,0,1] op_sel_hi:[1,0,0]
	s_waitcnt vmcnt(9)
	v_mov_b32_e32 v72, v103
	v_mov_b32_e32 v87, v73
	s_waitcnt lgkmcnt(2)
	v_pk_mul_f32 v[72:73], v[74:75], v[72:73] op_sel_hi:[1,0]
	s_waitcnt vmcnt(8)
	v_pk_fma_f32 v[84:85], v[74:75], v[102:103], v[72:73] op_sel:[0,0,1] op_sel_hi:[1,1,0] neg_lo:[0,0,1] neg_hi:[0,0,1]
	v_pk_fma_f32 v[72:73], v[74:75], v[102:103], v[72:73] op_sel:[0,0,1] op_sel_hi:[1,0,0]
	s_waitcnt vmcnt(7)
	v_mov_b32_e32 v72, v105
	v_mov_b32_e32 v85, v73
	v_pk_mul_f32 v[72:73], v[76:77], v[72:73] op_sel_hi:[1,0]
	s_waitcnt vmcnt(6)
	v_pk_fma_f32 v[74:75], v[76:77], v[104:105], v[72:73] op_sel:[0,0,1] op_sel_hi:[1,1,0] neg_lo:[0,0,1] neg_hi:[0,0,1]
	v_pk_fma_f32 v[72:73], v[76:77], v[104:105], v[72:73] op_sel:[0,0,1] op_sel_hi:[1,0,0]
	v_pk_add_f32 v[70:71], v[70:71], v[86:87]
	s_waitcnt vmcnt(5)
	v_mov_b32_e32 v72, v107
	v_pk_add_f32 v[70:71], v[70:71], v[84:85]
	v_mov_b32_e32 v75, v73
	s_waitcnt lgkmcnt(1)
	v_pk_mul_f32 v[72:73], v[78:79], v[72:73] op_sel_hi:[1,0]
	v_pk_add_f32 v[70:71], v[70:71], v[74:75]
	s_waitcnt vmcnt(4)
	v_pk_fma_f32 v[74:75], v[78:79], v[106:107], v[72:73] op_sel:[0,0,1] op_sel_hi:[1,1,0] neg_lo:[0,0,1] neg_hi:[0,0,1]
	v_pk_fma_f32 v[72:73], v[78:79], v[106:107], v[72:73] op_sel:[0,0,1] op_sel_hi:[1,0,0]
	s_waitcnt vmcnt(3)
	v_mov_b32_e32 v72, v109
	v_mov_b32_e32 v75, v73
	v_pk_mul_f32 v[72:73], v[80:81], v[72:73] op_sel_hi:[1,0]
	v_pk_add_f32 v[70:71], v[70:71], v[74:75]
	s_waitcnt vmcnt(2)
	v_pk_fma_f32 v[74:75], v[80:81], v[108:109], v[72:73] op_sel:[0,0,1] op_sel_hi:[1,1,0] neg_lo:[0,0,1] neg_hi:[0,0,1]
	v_pk_fma_f32 v[72:73], v[80:81], v[108:109], v[72:73] op_sel:[0,0,1] op_sel_hi:[1,0,0]
	s_waitcnt vmcnt(1)
	v_mov_b32_e32 v72, v111
	v_mov_b32_e32 v75, v73
	s_waitcnt lgkmcnt(0)
	v_pk_mul_f32 v[72:73], v[82:83], v[72:73] op_sel_hi:[1,0]
	v_pk_add_f32 v[70:71], v[70:71], v[74:75]
	s_waitcnt vmcnt(0)
	v_pk_fma_f32 v[74:75], v[82:83], v[110:111], v[72:73] op_sel:[0,0,1] op_sel_hi:[1,1,0] neg_lo:[0,0,1] neg_hi:[0,0,1]
	v_pk_fma_f32 v[72:73], v[82:83], v[110:111], v[72:73] op_sel:[0,0,1] op_sel_hi:[1,0,0]
	v_mov_b32_e32 v75, v73
	v_pk_add_f32 v[70:71], v[70:71], v[74:75]
	v_pk_add_f32 v[66:67], v[66:67], v[70:71] neg_lo:[0,1] neg_hi:[0,1]
	buffer_store_dword v67, off, s[0:3], 0 offset:116
	buffer_store_dword v66, off, s[0:3], 0 offset:112
	s_and_saveexec_b64 s[4:5], vcc
	s_cbranch_execz .LBB95_179
; %bb.178:
	buffer_load_dword v66, off, s[0:3], 0 offset:104
	buffer_load_dword v67, off, s[0:3], 0 offset:108
	s_waitcnt vmcnt(0)
	ds_write_b64 v1, v[66:67]
	buffer_store_dword v68, off, s[0:3], 0 offset:104
	buffer_store_dword v68, off, s[0:3], 0 offset:108
.LBB95_179:
	s_or_b64 exec, exec, s[4:5]
	s_waitcnt lgkmcnt(0)
	; wave barrier
	s_waitcnt lgkmcnt(0)
	buffer_load_dword v66, off, s[0:3], 0 offset:116
	buffer_load_dword v67, off, s[0:3], 0 offset:124
	;; [unrolled: 1-line block ×22, first 2 shown]
	ds_read_b128 v[70:73], v68 offset:368
	ds_read_b128 v[74:77], v68 offset:384
	buffer_load_dword v97, off, s[0:3], 0 offset:196
	buffer_load_dword v96, off, s[0:3], 0 offset:192
	;; [unrolled: 1-line block ×10, first 2 shown]
	ds_read_b128 v[78:81], v68 offset:400
	ds_read_b128 v[82:85], v68 offset:416
	;; [unrolled: 1-line block ×4, first 2 shown]
	buffer_load_dword v107, off, s[0:3], 0 offset:252
	buffer_load_dword v106, off, s[0:3], 0 offset:248
	;; [unrolled: 1-line block ×6, first 2 shown]
	v_cmp_lt_u32_e32 vcc, 12, v0
	s_waitcnt vmcnt(37) lgkmcnt(5)
	v_mul_f32_e32 v131, v70, v66
	s_waitcnt vmcnt(36)
	v_mul_f32_e32 v132, v72, v67
	v_mul_f32_e32 v66, v71, v66
	;; [unrolled: 1-line block ×3, first 2 shown]
	s_waitcnt vmcnt(35) lgkmcnt(4)
	v_mul_f32_e32 v133, v74, v69
	s_waitcnt vmcnt(34)
	v_mul_f32_e32 v134, v76, v112
	s_waitcnt vmcnt(33) lgkmcnt(3)
	v_mul_f32_e32 v135, v78, v114
	s_waitcnt vmcnt(32)
	v_mul_f32_e32 v136, v80, v116
	v_mul_f32_e32 v69, v75, v69
	s_waitcnt vmcnt(31) lgkmcnt(2)
	v_mul_f32_e32 v137, v82, v117
	s_waitcnt vmcnt(27)
	v_fmac_f32_e32 v131, v71, v121
	s_waitcnt vmcnt(26)
	v_fmac_f32_e32 v132, v73, v122
	v_fma_f32 v66, v70, v121, -v66
	v_fma_f32 v67, v72, v122, -v67
	v_add_f32_e32 v72, 0, v131
	s_waitcnt vmcnt(25)
	v_fmac_f32_e32 v133, v75, v123
	v_add_f32_e32 v66, 0, v66
	v_add_f32_e32 v72, v72, v132
	s_waitcnt vmcnt(24)
	v_fmac_f32_e32 v134, v77, v124
	v_add_f32_e32 v66, v66, v67
	;; [unrolled: 4-line block ×3, first 2 shown]
	v_mul_f32_e32 v112, v77, v112
	s_waitcnt vmcnt(22)
	v_fmac_f32_e32 v136, v81, v126
	v_fma_f32 v69, v74, v123, -v69
	v_add_f32_e32 v67, v67, v135
	v_mul_f32_e32 v138, v84, v118
	v_mul_f32_e32 v114, v79, v114
	s_waitcnt vmcnt(21)
	v_fmac_f32_e32 v137, v83, v127
	v_fma_f32 v70, v76, v124, -v112
	v_add_f32_e32 v66, v66, v69
	v_add_f32_e32 v67, v67, v136
	v_mul_f32_e32 v116, v81, v116
	s_waitcnt vmcnt(20)
	v_fmac_f32_e32 v138, v85, v128
	v_fma_f32 v71, v78, v125, -v114
	v_add_f32_e32 v66, v66, v70
	v_add_f32_e32 v67, v67, v137
	v_add_f32_e32 v66, v66, v71
	v_add_f32_e32 v79, v67, v138
	v_fma_f32 v67, v80, v126, -v116
	v_add_f32_e32 v66, v66, v67
	v_mul_f32_e32 v67, v83, v117
	v_fma_f32 v67, v82, v127, -v67
	v_add_f32_e32 v66, v66, v67
	v_mul_f32_e32 v67, v85, v118
	v_fma_f32 v67, v84, v128, -v67
	s_waitcnt vmcnt(15)
	v_mov_b32_e32 v80, v97
	s_waitcnt lgkmcnt(1)
	v_mul_f32_e32 v113, v86, v119
	v_add_f32_e32 v78, v66, v67
	v_mul_f32_e32 v66, v87, v119
	s_waitcnt lgkmcnt(0)
	v_pk_mul_f32 v[80:81], v[90:91], v[80:81] op_sel_hi:[1,0]
	v_mul_f32_e32 v115, v88, v120
	v_fmac_f32_e32 v113, v87, v129
	v_fma_f32 v112, v86, v129, -v66
	v_mul_f32_e32 v66, v89, v120
	s_waitcnt vmcnt(14)
	v_pk_fma_f32 v[82:83], v[90:91], v[96:97], v[80:81] op_sel:[0,0,1] op_sel_hi:[1,1,0] neg_lo:[0,0,1] neg_hi:[0,0,1]
	v_pk_fma_f32 v[80:81], v[90:91], v[96:97], v[80:81] op_sel:[0,0,1] op_sel_hi:[1,0,0]
	v_fmac_f32_e32 v115, v89, v130
	v_fma_f32 v114, v88, v130, -v66
	v_pk_add_f32 v[78:79], v[78:79], v[112:113]
	s_waitcnt vmcnt(13)
	v_mov_b32_e32 v80, v99
	ds_read_b128 v[70:73], v68 offset:464
	ds_read_b128 v[74:77], v68 offset:480
	;; [unrolled: 1-line block ×3, first 2 shown]
	v_pk_add_f32 v[78:79], v[78:79], v[114:115]
	v_mov_b32_e32 v83, v81
	v_pk_mul_f32 v[80:81], v[92:93], v[80:81] op_sel_hi:[1,0]
	v_pk_add_f32 v[78:79], v[78:79], v[82:83]
	s_waitcnt vmcnt(6)
	v_pk_fma_f32 v[82:83], v[92:93], v[98:99], v[80:81] op_sel:[0,0,1] op_sel_hi:[1,1,0] neg_lo:[0,0,1] neg_hi:[0,0,1]
	v_pk_fma_f32 v[80:81], v[92:93], v[98:99], v[80:81] op_sel:[0,0,1] op_sel_hi:[1,0,0]
	v_mov_b32_e32 v80, v105
	v_mov_b32_e32 v83, v81
	s_waitcnt lgkmcnt(2)
	v_pk_mul_f32 v[80:81], v[70:71], v[80:81] op_sel_hi:[1,0]
	v_pk_add_f32 v[78:79], v[78:79], v[82:83]
	v_pk_fma_f32 v[82:83], v[70:71], v[104:105], v[80:81] op_sel:[0,0,1] op_sel_hi:[1,1,0] neg_lo:[0,0,1] neg_hi:[0,0,1]
	v_pk_fma_f32 v[70:71], v[70:71], v[104:105], v[80:81] op_sel:[0,0,1] op_sel_hi:[1,0,0]
	v_mov_b32_e32 v83, v71
	v_pk_add_f32 v[70:71], v[78:79], v[82:83]
	v_mov_b32_e32 v78, v103
	v_pk_mul_f32 v[78:79], v[72:73], v[78:79] op_sel_hi:[1,0]
	v_pk_fma_f32 v[80:81], v[72:73], v[102:103], v[78:79] op_sel:[0,0,1] op_sel_hi:[1,1,0] neg_lo:[0,0,1] neg_hi:[0,0,1]
	v_pk_fma_f32 v[72:73], v[72:73], v[102:103], v[78:79] op_sel:[0,0,1] op_sel_hi:[1,0,0]
	v_mov_b32_e32 v72, v101
	v_mov_b32_e32 v81, v73
	s_waitcnt lgkmcnt(1)
	v_pk_mul_f32 v[72:73], v[74:75], v[72:73] op_sel_hi:[1,0]
	v_pk_fma_f32 v[78:79], v[74:75], v[100:101], v[72:73] op_sel:[0,0,1] op_sel_hi:[1,1,0] neg_lo:[0,0,1] neg_hi:[0,0,1]
	v_pk_fma_f32 v[72:73], v[74:75], v[100:101], v[72:73] op_sel:[0,0,1] op_sel_hi:[1,0,0]
	s_waitcnt vmcnt(1)
	v_mov_b32_e32 v72, v111
	v_mov_b32_e32 v79, v73
	v_pk_mul_f32 v[72:73], v[76:77], v[72:73] op_sel_hi:[1,0]
	s_waitcnt vmcnt(0)
	v_pk_fma_f32 v[74:75], v[76:77], v[110:111], v[72:73] op_sel:[0,0,1] op_sel_hi:[1,1,0] neg_lo:[0,0,1] neg_hi:[0,0,1]
	v_pk_fma_f32 v[72:73], v[76:77], v[110:111], v[72:73] op_sel:[0,0,1] op_sel_hi:[1,0,0]
	v_pk_add_f32 v[70:71], v[70:71], v[80:81]
	v_mov_b32_e32 v72, v109
	v_pk_add_f32 v[70:71], v[70:71], v[78:79]
	v_mov_b32_e32 v75, v73
	s_waitcnt lgkmcnt(0)
	v_pk_mul_f32 v[72:73], v[66:67], v[72:73] op_sel_hi:[1,0]
	v_pk_add_f32 v[70:71], v[70:71], v[74:75]
	v_pk_fma_f32 v[74:75], v[66:67], v[108:109], v[72:73] op_sel:[0,0,1] op_sel_hi:[1,1,0] neg_lo:[0,0,1] neg_hi:[0,0,1]
	v_pk_fma_f32 v[66:67], v[66:67], v[108:109], v[72:73] op_sel:[0,0,1] op_sel_hi:[1,0,0]
	v_mov_b32_e32 v75, v67
	v_pk_add_f32 v[66:67], v[70:71], v[74:75]
	v_mov_b32_e32 v70, v107
	v_pk_mul_f32 v[70:71], v[68:69], v[70:71] op_sel_hi:[1,0]
	v_pk_fma_f32 v[72:73], v[68:69], v[106:107], v[70:71] op_sel:[0,0,1] op_sel_hi:[1,1,0] neg_lo:[0,0,1] neg_hi:[0,0,1]
	v_pk_fma_f32 v[68:69], v[68:69], v[106:107], v[70:71] op_sel:[0,0,1] op_sel_hi:[1,0,0]
	v_mov_b32_e32 v73, v69
	v_pk_add_f32 v[66:67], v[66:67], v[72:73]
	v_pk_add_f32 v[66:67], v[94:95], v[66:67] neg_lo:[0,1] neg_hi:[0,1]
	buffer_store_dword v67, off, s[0:3], 0 offset:108
	buffer_store_dword v66, off, s[0:3], 0 offset:104
	s_and_saveexec_b64 s[4:5], vcc
	s_cbranch_execz .LBB95_181
; %bb.180:
	buffer_load_dword v66, off, s[0:3], 0 offset:96
	buffer_load_dword v67, off, s[0:3], 0 offset:100
	v_mov_b32_e32 v68, 0
	buffer_store_dword v68, off, s[0:3], 0 offset:96
	buffer_store_dword v68, off, s[0:3], 0 offset:100
	s_waitcnt vmcnt(2)
	ds_write_b64 v1, v[66:67]
.LBB95_181:
	s_or_b64 exec, exec, s[4:5]
	s_waitcnt lgkmcnt(0)
	; wave barrier
	s_waitcnt lgkmcnt(0)
	buffer_load_dword v67, off, s[0:3], 0 offset:108
	buffer_load_dword v110, off, s[0:3], 0 offset:116
	;; [unrolled: 1-line block ×40, first 2 shown]
	v_mov_b32_e32 v66, 0
	ds_read2_b64 v[68:71], v66 offset0:45 offset1:46
	ds_read2_b64 v[72:75], v66 offset0:47 offset1:48
	;; [unrolled: 1-line block ×6, first 2 shown]
	v_cmp_lt_u32_e32 vcc, 11, v0
	s_waitcnt vmcnt(39) lgkmcnt(5)
	v_mul_f32_e32 v133, v68, v67
	s_waitcnt vmcnt(38)
	v_mul_f32_e32 v134, v70, v110
	v_mul_f32_e32 v67, v69, v67
	s_waitcnt vmcnt(37) lgkmcnt(4)
	v_mul_f32_e32 v135, v72, v112
	v_mul_f32_e32 v110, v71, v110
	s_waitcnt vmcnt(36)
	v_mul_f32_e32 v136, v74, v114
	s_waitcnt vmcnt(35) lgkmcnt(3)
	v_mul_f32_e32 v137, v76, v116
	s_waitcnt vmcnt(34)
	v_mul_f32_e32 v138, v78, v117
	s_waitcnt vmcnt(33) lgkmcnt(2)
	;; [unrolled: 4-line block ×3, first 2 shown]
	v_mul_f32_e32 v141, v84, v120
	s_waitcnt vmcnt(28)
	v_fmac_f32_e32 v133, v69, v115
	s_waitcnt vmcnt(27)
	v_fmac_f32_e32 v134, v71, v123
	v_fma_f32 v67, v68, v115, -v67
	v_add_f32_e32 v71, 0, v133
	s_waitcnt vmcnt(26)
	v_fmac_f32_e32 v135, v73, v124
	v_fma_f32 v68, v70, v123, -v110
	v_add_f32_e32 v67, 0, v67
	v_add_f32_e32 v71, v71, v134
	s_waitcnt vmcnt(25)
	v_fmac_f32_e32 v136, v75, v125
	v_add_f32_e32 v67, v67, v68
	v_add_f32_e32 v68, v71, v135
	s_waitcnt vmcnt(24)
	v_fmac_f32_e32 v137, v77, v126
	v_add_f32_e32 v68, v68, v136
	s_waitcnt vmcnt(23)
	v_fmac_f32_e32 v138, v79, v127
	;; [unrolled: 3-line block ×3, first 2 shown]
	v_add_f32_e32 v68, v68, v138
	v_mul_f32_e32 v112, v73, v112
	s_waitcnt vmcnt(21)
	v_fmac_f32_e32 v140, v83, v129
	v_add_f32_e32 v68, v68, v139
	v_mul_f32_e32 v114, v75, v114
	s_waitcnt vmcnt(20)
	v_fmac_f32_e32 v141, v85, v130
	v_fma_f32 v69, v72, v124, -v112
	v_add_f32_e32 v68, v68, v140
	v_fma_f32 v70, v74, v125, -v114
	v_add_f32_e32 v67, v67, v69
	v_add_f32_e32 v115, v68, v141
	v_mul_f32_e32 v68, v77, v116
	v_add_f32_e32 v67, v67, v70
	v_fma_f32 v68, v76, v126, -v68
	v_add_f32_e32 v67, v67, v68
	v_mul_f32_e32 v68, v79, v117
	v_fma_f32 v68, v78, v127, -v68
	v_add_f32_e32 v67, v67, v68
	v_mul_f32_e32 v68, v81, v118
	;; [unrolled: 3-line block ×4, first 2 shown]
	v_fma_f32 v68, v84, v130, -v68
	s_waitcnt vmcnt(9)
	v_mov_b32_e32 v84, v101
	v_mul_f32_e32 v111, v86, v121
	v_add_f32_e32 v114, v67, v68
	v_mul_f32_e32 v67, v87, v121
	s_waitcnt lgkmcnt(0)
	v_pk_mul_f32 v[84:85], v[90:91], v[84:85] op_sel_hi:[1,0]
	v_mul_f32_e32 v113, v88, v122
	v_fmac_f32_e32 v111, v87, v131
	v_fma_f32 v110, v86, v131, -v67
	v_mul_f32_e32 v67, v89, v122
	ds_read2_b64 v[68:71], v66 offset0:57 offset1:58
	ds_read2_b64 v[72:75], v66 offset0:59 offset1:60
	;; [unrolled: 1-line block ×3, first 2 shown]
	ds_read_b64 v[80:81], v66 offset:504
	s_waitcnt vmcnt(8)
	v_pk_fma_f32 v[86:87], v[90:91], v[100:101], v[84:85] op_sel:[0,0,1] op_sel_hi:[1,1,0] neg_lo:[0,0,1] neg_hi:[0,0,1]
	v_pk_fma_f32 v[84:85], v[90:91], v[100:101], v[84:85] op_sel:[0,0,1] op_sel_hi:[1,0,0]
	v_fmac_f32_e32 v113, v89, v132
	v_fma_f32 v112, v88, v132, -v67
	v_pk_add_f32 v[82:83], v[114:115], v[110:111]
	v_mov_b32_e32 v84, v99
	v_pk_add_f32 v[82:83], v[82:83], v[112:113]
	v_mov_b32_e32 v87, v85
	s_waitcnt lgkmcnt(3)
	v_pk_mul_f32 v[84:85], v[68:69], v[84:85] op_sel_hi:[1,0]
	v_pk_add_f32 v[82:83], v[82:83], v[86:87]
	v_pk_fma_f32 v[86:87], v[68:69], v[98:99], v[84:85] op_sel:[0,0,1] op_sel_hi:[1,1,0] neg_lo:[0,0,1] neg_hi:[0,0,1]
	v_pk_fma_f32 v[68:69], v[68:69], v[98:99], v[84:85] op_sel:[0,0,1] op_sel_hi:[1,0,0]
	v_mov_b32_e32 v87, v69
	v_pk_add_f32 v[68:69], v[82:83], v[86:87]
	v_mov_b32_e32 v82, v97
	v_pk_mul_f32 v[82:83], v[70:71], v[82:83] op_sel_hi:[1,0]
	v_pk_fma_f32 v[84:85], v[70:71], v[96:97], v[82:83] op_sel:[0,0,1] op_sel_hi:[1,1,0] neg_lo:[0,0,1] neg_hi:[0,0,1]
	v_pk_fma_f32 v[70:71], v[70:71], v[96:97], v[82:83] op_sel:[0,0,1] op_sel_hi:[1,0,0]
	v_mov_b32_e32 v70, v95
	v_mov_b32_e32 v85, v71
	s_waitcnt lgkmcnt(2)
	v_pk_mul_f32 v[70:71], v[72:73], v[70:71] op_sel_hi:[1,0]
	v_pk_fma_f32 v[82:83], v[72:73], v[94:95], v[70:71] op_sel:[0,0,1] op_sel_hi:[1,1,0] neg_lo:[0,0,1] neg_hi:[0,0,1]
	v_pk_fma_f32 v[70:71], v[72:73], v[94:95], v[70:71] op_sel:[0,0,1] op_sel_hi:[1,0,0]
	s_waitcnt vmcnt(1)
	v_mov_b32_e32 v70, v109
	v_mov_b32_e32 v83, v71
	v_pk_mul_f32 v[70:71], v[74:75], v[70:71] op_sel_hi:[1,0]
	s_waitcnt vmcnt(0)
	v_pk_fma_f32 v[72:73], v[74:75], v[108:109], v[70:71] op_sel:[0,0,1] op_sel_hi:[1,1,0] neg_lo:[0,0,1] neg_hi:[0,0,1]
	v_pk_fma_f32 v[70:71], v[74:75], v[108:109], v[70:71] op_sel:[0,0,1] op_sel_hi:[1,0,0]
	v_pk_add_f32 v[68:69], v[68:69], v[84:85]
	v_mov_b32_e32 v70, v107
	v_pk_add_f32 v[68:69], v[68:69], v[82:83]
	v_mov_b32_e32 v73, v71
	s_waitcnt lgkmcnt(1)
	v_pk_mul_f32 v[70:71], v[76:77], v[70:71] op_sel_hi:[1,0]
	v_pk_add_f32 v[68:69], v[68:69], v[72:73]
	v_pk_fma_f32 v[72:73], v[76:77], v[106:107], v[70:71] op_sel:[0,0,1] op_sel_hi:[1,1,0] neg_lo:[0,0,1] neg_hi:[0,0,1]
	v_pk_fma_f32 v[70:71], v[76:77], v[106:107], v[70:71] op_sel:[0,0,1] op_sel_hi:[1,0,0]
	v_mov_b32_e32 v70, v105
	v_mov_b32_e32 v73, v71
	v_pk_mul_f32 v[70:71], v[78:79], v[70:71] op_sel_hi:[1,0]
	v_pk_add_f32 v[68:69], v[68:69], v[72:73]
	v_pk_fma_f32 v[72:73], v[78:79], v[104:105], v[70:71] op_sel:[0,0,1] op_sel_hi:[1,1,0] neg_lo:[0,0,1] neg_hi:[0,0,1]
	v_pk_fma_f32 v[70:71], v[78:79], v[104:105], v[70:71] op_sel:[0,0,1] op_sel_hi:[1,0,0]
	v_mov_b32_e32 v70, v103
	v_mov_b32_e32 v73, v71
	s_waitcnt lgkmcnt(0)
	v_pk_mul_f32 v[70:71], v[80:81], v[70:71] op_sel_hi:[1,0]
	v_pk_add_f32 v[68:69], v[68:69], v[72:73]
	v_pk_fma_f32 v[72:73], v[80:81], v[102:103], v[70:71] op_sel:[0,0,1] op_sel_hi:[1,1,0] neg_lo:[0,0,1] neg_hi:[0,0,1]
	v_pk_fma_f32 v[70:71], v[80:81], v[102:103], v[70:71] op_sel:[0,0,1] op_sel_hi:[1,0,0]
	v_mov_b32_e32 v73, v71
	v_pk_add_f32 v[68:69], v[68:69], v[72:73]
	v_pk_add_f32 v[68:69], v[92:93], v[68:69] neg_lo:[0,1] neg_hi:[0,1]
	buffer_store_dword v69, off, s[0:3], 0 offset:100
	buffer_store_dword v68, off, s[0:3], 0 offset:96
	s_and_saveexec_b64 s[4:5], vcc
	s_cbranch_execz .LBB95_183
; %bb.182:
	buffer_load_dword v68, off, s[0:3], 0 offset:88
	buffer_load_dword v69, off, s[0:3], 0 offset:92
	s_waitcnt vmcnt(0)
	ds_write_b64 v1, v[68:69]
	buffer_store_dword v66, off, s[0:3], 0 offset:88
	buffer_store_dword v66, off, s[0:3], 0 offset:92
.LBB95_183:
	s_or_b64 exec, exec, s[4:5]
	s_waitcnt lgkmcnt(0)
	; wave barrier
	s_waitcnt lgkmcnt(0)
	buffer_load_dword v67, off, s[0:3], 0 offset:100
	buffer_load_dword v110, off, s[0:3], 0 offset:108
	;; [unrolled: 1-line block ×26, first 2 shown]
	ds_read_b128 v[68:71], v66 offset:352
	ds_read_b128 v[72:75], v66 offset:368
	;; [unrolled: 1-line block ×6, first 2 shown]
	buffer_load_dword v95, off, s[0:3], 0 offset:212
	buffer_load_dword v94, off, s[0:3], 0 offset:208
	buffer_load_dword v97, off, s[0:3], 0 offset:204
	buffer_load_dword v96, off, s[0:3], 0 offset:200
	buffer_load_dword v99, off, s[0:3], 0 offset:196
	buffer_load_dword v98, off, s[0:3], 0 offset:192
	buffer_load_dword v101, off, s[0:3], 0 offset:244
	buffer_load_dword v100, off, s[0:3], 0 offset:240
	buffer_load_dword v103, off, s[0:3], 0 offset:236
	buffer_load_dword v102, off, s[0:3], 0 offset:232
	buffer_load_dword v105, off, s[0:3], 0 offset:228
	buffer_load_dword v104, off, s[0:3], 0 offset:224
	buffer_load_dword v107, off, s[0:3], 0 offset:220
	buffer_load_dword v106, off, s[0:3], 0 offset:216
	buffer_load_dword v109, off, s[0:3], 0 offset:252
	buffer_load_dword v108, off, s[0:3], 0 offset:248
	v_cmp_lt_u32_e32 vcc, 10, v0
	s_waitcnt vmcnt(41) lgkmcnt(5)
	v_mul_f32_e32 v135, v68, v67
	s_waitcnt vmcnt(40)
	v_mul_f32_e32 v136, v70, v110
	v_mul_f32_e32 v67, v69, v67
	;; [unrolled: 1-line block ×3, first 2 shown]
	s_waitcnt vmcnt(39) lgkmcnt(4)
	v_mul_f32_e32 v137, v72, v112
	s_waitcnt vmcnt(38)
	v_mul_f32_e32 v138, v74, v114
	s_waitcnt vmcnt(37) lgkmcnt(3)
	v_mul_f32_e32 v139, v76, v116
	s_waitcnt vmcnt(36)
	v_mul_f32_e32 v140, v78, v117
	;; [unrolled: 4-line block ×4, first 2 shown]
	s_waitcnt vmcnt(29)
	v_fmac_f32_e32 v135, v69, v115
	s_waitcnt vmcnt(28)
	v_fmac_f32_e32 v136, v71, v124
	v_fma_f32 v67, v68, v115, -v67
	v_fma_f32 v68, v70, v124, -v110
	v_add_f32_e32 v70, 0, v135
	s_waitcnt vmcnt(27)
	v_fmac_f32_e32 v137, v73, v125
	v_add_f32_e32 v67, 0, v67
	v_add_f32_e32 v70, v70, v136
	s_waitcnt vmcnt(26)
	v_fmac_f32_e32 v138, v75, v126
	v_add_f32_e32 v67, v67, v68
	;; [unrolled: 4-line block ×3, first 2 shown]
	s_waitcnt vmcnt(24)
	v_fmac_f32_e32 v140, v79, v128
	v_add_f32_e32 v68, v68, v139
	s_waitcnt vmcnt(23)
	v_fmac_f32_e32 v141, v81, v129
	v_add_f32_e32 v68, v68, v140
	s_waitcnt vmcnt(22)
	v_fmac_f32_e32 v142, v83, v130
	v_add_f32_e32 v68, v68, v141
	s_waitcnt vmcnt(21)
	v_fmac_f32_e32 v143, v85, v131
	v_add_f32_e32 v68, v68, v142
	v_mul_f32_e32 v112, v73, v112
	s_waitcnt vmcnt(20)
	v_fmac_f32_e32 v144, v87, v132
	v_add_f32_e32 v68, v68, v143
	v_fma_f32 v69, v72, v125, -v112
	v_add_f32_e32 v115, v68, v144
	v_mul_f32_e32 v68, v75, v114
	v_add_f32_e32 v67, v67, v69
	v_fma_f32 v68, v74, v126, -v68
	v_add_f32_e32 v67, v67, v68
	v_mul_f32_e32 v68, v77, v116
	v_fma_f32 v68, v76, v127, -v68
	v_add_f32_e32 v67, v67, v68
	v_mul_f32_e32 v68, v79, v117
	;; [unrolled: 3-line block ×6, first 2 shown]
	v_fma_f32 v68, v86, v132, -v68
	v_add_f32_e32 v114, v67, v68
	ds_read_b128 v[68:71], v66 offset:448
	ds_read_b128 v[72:75], v66 offset:464
	;; [unrolled: 1-line block ×4, first 2 shown]
	s_waitcnt vmcnt(11)
	v_mov_b32_e32 v84, v99
	s_waitcnt lgkmcnt(3)
	v_pk_mul_f32 v[84:85], v[68:69], v[84:85] op_sel_hi:[1,0]
	s_waitcnt vmcnt(10)
	v_pk_fma_f32 v[86:87], v[68:69], v[98:99], v[84:85] op_sel:[0,0,1] op_sel_hi:[1,1,0] neg_lo:[0,0,1] neg_hi:[0,0,1]
	v_pk_fma_f32 v[68:69], v[68:69], v[98:99], v[84:85] op_sel:[0,0,1] op_sel_hi:[1,0,0]
	v_mov_b32_e32 v68, v97
	v_mov_b32_e32 v87, v69
	v_pk_mul_f32 v[68:69], v[70:71], v[68:69] op_sel_hi:[1,0]
	v_mul_f32_e32 v111, v88, v122
	v_mul_f32_e32 v67, v89, v122
	v_pk_fma_f32 v[84:85], v[70:71], v[96:97], v[68:69] op_sel:[0,0,1] op_sel_hi:[1,1,0] neg_lo:[0,0,1] neg_hi:[0,0,1]
	v_pk_fma_f32 v[68:69], v[70:71], v[96:97], v[68:69] op_sel:[0,0,1] op_sel_hi:[1,0,0]
	v_mul_f32_e32 v113, v90, v123
	v_fmac_f32_e32 v111, v89, v133
	v_fma_f32 v110, v88, v133, -v67
	v_mul_f32_e32 v67, v91, v123
	v_mov_b32_e32 v68, v95
	v_fmac_f32_e32 v113, v91, v134
	v_fma_f32 v112, v90, v134, -v67
	v_pk_add_f32 v[66:67], v[114:115], v[110:111]
	v_mov_b32_e32 v85, v69
	s_waitcnt lgkmcnt(2)
	v_pk_mul_f32 v[68:69], v[72:73], v[68:69] op_sel_hi:[1,0]
	v_pk_add_f32 v[66:67], v[66:67], v[112:113]
	v_pk_fma_f32 v[70:71], v[72:73], v[94:95], v[68:69] op_sel:[0,0,1] op_sel_hi:[1,1,0] neg_lo:[0,0,1] neg_hi:[0,0,1]
	v_pk_fma_f32 v[68:69], v[72:73], v[94:95], v[68:69] op_sel:[0,0,1] op_sel_hi:[1,0,0]
	v_pk_add_f32 v[66:67], v[66:67], v[86:87]
	s_waitcnt vmcnt(3)
	v_mov_b32_e32 v68, v107
	v_pk_add_f32 v[66:67], v[66:67], v[84:85]
	v_mov_b32_e32 v71, v69
	v_pk_mul_f32 v[68:69], v[74:75], v[68:69] op_sel_hi:[1,0]
	v_pk_add_f32 v[66:67], v[66:67], v[70:71]
	s_waitcnt vmcnt(2)
	v_pk_fma_f32 v[70:71], v[74:75], v[106:107], v[68:69] op_sel:[0,0,1] op_sel_hi:[1,1,0] neg_lo:[0,0,1] neg_hi:[0,0,1]
	v_pk_fma_f32 v[68:69], v[74:75], v[106:107], v[68:69] op_sel:[0,0,1] op_sel_hi:[1,0,0]
	v_mov_b32_e32 v68, v105
	v_mov_b32_e32 v71, v69
	s_waitcnt lgkmcnt(1)
	v_pk_mul_f32 v[68:69], v[76:77], v[68:69] op_sel_hi:[1,0]
	v_pk_add_f32 v[66:67], v[66:67], v[70:71]
	v_pk_fma_f32 v[70:71], v[76:77], v[104:105], v[68:69] op_sel:[0,0,1] op_sel_hi:[1,1,0] neg_lo:[0,0,1] neg_hi:[0,0,1]
	v_pk_fma_f32 v[68:69], v[76:77], v[104:105], v[68:69] op_sel:[0,0,1] op_sel_hi:[1,0,0]
	v_mov_b32_e32 v68, v103
	v_mov_b32_e32 v71, v69
	v_pk_mul_f32 v[68:69], v[78:79], v[68:69] op_sel_hi:[1,0]
	v_pk_add_f32 v[66:67], v[66:67], v[70:71]
	v_pk_fma_f32 v[70:71], v[78:79], v[102:103], v[68:69] op_sel:[0,0,1] op_sel_hi:[1,1,0] neg_lo:[0,0,1] neg_hi:[0,0,1]
	v_pk_fma_f32 v[68:69], v[78:79], v[102:103], v[68:69] op_sel:[0,0,1] op_sel_hi:[1,0,0]
	v_mov_b32_e32 v68, v101
	v_mov_b32_e32 v71, v69
	s_waitcnt lgkmcnt(0)
	v_pk_mul_f32 v[68:69], v[80:81], v[68:69] op_sel_hi:[1,0]
	v_pk_add_f32 v[66:67], v[66:67], v[70:71]
	v_pk_fma_f32 v[70:71], v[80:81], v[100:101], v[68:69] op_sel:[0,0,1] op_sel_hi:[1,1,0] neg_lo:[0,0,1] neg_hi:[0,0,1]
	v_pk_fma_f32 v[68:69], v[80:81], v[100:101], v[68:69] op_sel:[0,0,1] op_sel_hi:[1,0,0]
	s_waitcnt vmcnt(1)
	v_mov_b32_e32 v68, v109
	v_mov_b32_e32 v71, v69
	v_pk_mul_f32 v[68:69], v[82:83], v[68:69] op_sel_hi:[1,0]
	v_pk_add_f32 v[66:67], v[66:67], v[70:71]
	s_waitcnt vmcnt(0)
	v_pk_fma_f32 v[70:71], v[82:83], v[108:109], v[68:69] op_sel:[0,0,1] op_sel_hi:[1,1,0] neg_lo:[0,0,1] neg_hi:[0,0,1]
	v_pk_fma_f32 v[68:69], v[82:83], v[108:109], v[68:69] op_sel:[0,0,1] op_sel_hi:[1,0,0]
	v_mov_b32_e32 v71, v69
	v_pk_add_f32 v[66:67], v[66:67], v[70:71]
	v_pk_add_f32 v[66:67], v[92:93], v[66:67] neg_lo:[0,1] neg_hi:[0,1]
	buffer_store_dword v67, off, s[0:3], 0 offset:92
	buffer_store_dword v66, off, s[0:3], 0 offset:88
	s_and_saveexec_b64 s[4:5], vcc
	s_cbranch_execz .LBB95_185
; %bb.184:
	buffer_load_dword v66, off, s[0:3], 0 offset:80
	buffer_load_dword v67, off, s[0:3], 0 offset:84
	v_mov_b32_e32 v68, 0
	buffer_store_dword v68, off, s[0:3], 0 offset:80
	buffer_store_dword v68, off, s[0:3], 0 offset:84
	s_waitcnt vmcnt(2)
	ds_write_b64 v1, v[66:67]
.LBB95_185:
	s_or_b64 exec, exec, s[4:5]
	s_waitcnt lgkmcnt(0)
	; wave barrier
	s_waitcnt lgkmcnt(0)
	buffer_load_dword v67, off, s[0:3], 0 offset:92
	buffer_load_dword v118, off, s[0:3], 0 offset:100
	buffer_load_dword v120, off, s[0:3], 0 offset:108
	buffer_load_dword v122, off, s[0:3], 0 offset:116
	buffer_load_dword v124, off, s[0:3], 0 offset:124
	buffer_load_dword v125, off, s[0:3], 0 offset:132
	buffer_load_dword v126, off, s[0:3], 0 offset:140
	buffer_load_dword v127, off, s[0:3], 0 offset:148
	buffer_load_dword v128, off, s[0:3], 0 offset:156
	buffer_load_dword v129, off, s[0:3], 0 offset:164
	buffer_load_dword v130, off, s[0:3], 0 offset:172
	buffer_load_dword v131, off, s[0:3], 0 offset:180
	buffer_load_dword v132, off, s[0:3], 0 offset:188
	buffer_load_dword v133, off, s[0:3], 0 offset:88
	buffer_load_dword v134, off, s[0:3], 0 offset:96
	buffer_load_dword v135, off, s[0:3], 0 offset:104
	buffer_load_dword v136, off, s[0:3], 0 offset:112
	buffer_load_dword v137, off, s[0:3], 0 offset:120
	buffer_load_dword v138, off, s[0:3], 0 offset:128
	buffer_load_dword v139, off, s[0:3], 0 offset:136
	buffer_load_dword v140, off, s[0:3], 0 offset:144
	buffer_load_dword v141, off, s[0:3], 0 offset:152
	buffer_load_dword v142, off, s[0:3], 0 offset:160
	buffer_load_dword v143, off, s[0:3], 0 offset:168
	buffer_load_dword v144, off, s[0:3], 0 offset:176
	buffer_load_dword v145, off, s[0:3], 0 offset:184
	buffer_load_dword v100, off, s[0:3], 0 offset:80
	buffer_load_dword v101, off, s[0:3], 0 offset:84
	buffer_load_dword v103, off, s[0:3], 0 offset:204
	buffer_load_dword v102, off, s[0:3], 0 offset:200
	buffer_load_dword v105, off, s[0:3], 0 offset:196
	buffer_load_dword v104, off, s[0:3], 0 offset:192
	buffer_load_dword v107, off, s[0:3], 0 offset:236
	buffer_load_dword v106, off, s[0:3], 0 offset:232
	buffer_load_dword v109, off, s[0:3], 0 offset:228
	buffer_load_dword v108, off, s[0:3], 0 offset:224
	buffer_load_dword v111, off, s[0:3], 0 offset:220
	buffer_load_dword v110, off, s[0:3], 0 offset:216
	buffer_load_dword v113, off, s[0:3], 0 offset:212
	buffer_load_dword v112, off, s[0:3], 0 offset:208
	buffer_load_dword v115, off, s[0:3], 0 offset:252
	buffer_load_dword v114, off, s[0:3], 0 offset:248
	buffer_load_dword v117, off, s[0:3], 0 offset:244
	buffer_load_dword v116, off, s[0:3], 0 offset:240
	v_mov_b32_e32 v66, 0
	ds_read2_b64 v[68:71], v66 offset0:43 offset1:44
	ds_read2_b64 v[72:75], v66 offset0:45 offset1:46
	;; [unrolled: 1-line block ×8, first 2 shown]
	v_cmp_lt_u32_e32 vcc, 9, v0
	s_waitcnt vmcnt(43) lgkmcnt(7)
	v_mul_f32_e32 v123, v68, v67
	v_mul_f32_e32 v67, v69, v67
	s_waitcnt vmcnt(42)
	v_mul_f32_e32 v146, v70, v118
	s_waitcnt vmcnt(41) lgkmcnt(6)
	v_mul_f32_e32 v147, v72, v120
	s_waitcnt vmcnt(40)
	v_mul_f32_e32 v148, v74, v122
	s_waitcnt vmcnt(39) lgkmcnt(5)
	;; [unrolled: 4-line block ×5, first 2 shown]
	v_mul_f32_e32 v155, v88, v130
	s_waitcnt vmcnt(32)
	v_mul_f32_e32 v119, v90, v131
	s_waitcnt vmcnt(30)
	v_fma_f32 v67, v68, v133, -v67
	v_mul_f32_e32 v68, v71, v118
	v_add_f32_e32 v67, 0, v67
	s_waitcnt vmcnt(29)
	v_fma_f32 v68, v70, v134, -v68
	v_add_f32_e32 v67, v67, v68
	v_mul_f32_e32 v68, v73, v120
	s_waitcnt vmcnt(28)
	v_fma_f32 v68, v72, v135, -v68
	v_add_f32_e32 v67, v67, v68
	v_mul_f32_e32 v68, v75, v122
	;; [unrolled: 4-line block ×4, first 2 shown]
	s_waitcnt vmcnt(25)
	v_fma_f32 v68, v78, v138, -v68
	v_fmac_f32_e32 v123, v69, v133
	v_add_f32_e32 v67, v67, v68
	v_mul_f32_e32 v68, v81, v126
	v_fmac_f32_e32 v146, v71, v134
	v_add_f32_e32 v69, 0, v123
	s_waitcnt vmcnt(24)
	v_fma_f32 v68, v80, v139, -v68
	v_fmac_f32_e32 v147, v73, v135
	v_add_f32_e32 v69, v69, v146
	v_add_f32_e32 v67, v67, v68
	v_mul_f32_e32 v68, v83, v127
	v_fmac_f32_e32 v148, v75, v136
	v_add_f32_e32 v69, v69, v147
	s_waitcnt vmcnt(23)
	v_fma_f32 v68, v82, v140, -v68
	v_fmac_f32_e32 v149, v77, v137
	v_add_f32_e32 v69, v69, v148
	;; [unrolled: 8-line block ×4, first 2 shown]
	v_add_f32_e32 v67, v67, v68
	v_mul_f32_e32 v68, v89, v130
	v_fmac_f32_e32 v154, v87, v142
	v_add_f32_e32 v69, v69, v153
	s_waitcnt vmcnt(20)
	v_fma_f32 v68, v88, v143, -v68
	s_waitcnt vmcnt(13)
	v_mov_b32_e32 v80, v105
	v_fmac_f32_e32 v155, v89, v143
	v_add_f32_e32 v69, v69, v154
	v_add_f32_e32 v122, v67, v68
	v_mul_f32_e32 v67, v91, v131
	s_waitcnt lgkmcnt(1)
	v_pk_mul_f32 v[80:81], v[94:95], v[80:81] op_sel_hi:[1,0]
	v_mul_f32_e32 v121, v92, v132
	v_fmac_f32_e32 v119, v91, v144
	v_add_f32_e32 v123, v69, v155
	v_fma_f32 v118, v90, v144, -v67
	v_mul_f32_e32 v67, v93, v132
	s_waitcnt vmcnt(12)
	v_pk_fma_f32 v[82:83], v[94:95], v[104:105], v[80:81] op_sel:[0,0,1] op_sel_hi:[1,1,0] neg_lo:[0,0,1] neg_hi:[0,0,1]
	v_pk_fma_f32 v[80:81], v[94:95], v[104:105], v[80:81] op_sel:[0,0,1] op_sel_hi:[1,0,0]
	v_fmac_f32_e32 v121, v93, v145
	v_fma_f32 v120, v92, v145, -v67
	v_pk_add_f32 v[78:79], v[122:123], v[118:119]
	v_mov_b32_e32 v80, v103
	v_pk_add_f32 v[78:79], v[78:79], v[120:121]
	v_mov_b32_e32 v83, v81
	s_waitcnt lgkmcnt(0)
	v_pk_mul_f32 v[80:81], v[96:97], v[80:81] op_sel_hi:[1,0]
	v_pk_add_f32 v[78:79], v[78:79], v[82:83]
	v_pk_fma_f32 v[82:83], v[96:97], v[102:103], v[80:81] op_sel:[0,0,1] op_sel_hi:[1,1,0] neg_lo:[0,0,1] neg_hi:[0,0,1]
	v_pk_fma_f32 v[80:81], v[96:97], v[102:103], v[80:81] op_sel:[0,0,1] op_sel_hi:[1,0,0]
	s_waitcnt vmcnt(5)
	v_mov_b32_e32 v80, v113
	ds_read2_b64 v[68:71], v66 offset0:59 offset1:60
	ds_read2_b64 v[72:75], v66 offset0:61 offset1:62
	ds_read_b64 v[76:77], v66 offset:504
	v_mov_b32_e32 v83, v81
	v_pk_mul_f32 v[80:81], v[98:99], v[80:81] op_sel_hi:[1,0]
	v_pk_add_f32 v[78:79], v[78:79], v[82:83]
	s_waitcnt vmcnt(4)
	v_pk_fma_f32 v[82:83], v[98:99], v[112:113], v[80:81] op_sel:[0,0,1] op_sel_hi:[1,1,0] neg_lo:[0,0,1] neg_hi:[0,0,1]
	v_pk_fma_f32 v[80:81], v[98:99], v[112:113], v[80:81] op_sel:[0,0,1] op_sel_hi:[1,0,0]
	v_mov_b32_e32 v80, v111
	v_mov_b32_e32 v83, v81
	s_waitcnt lgkmcnt(2)
	v_pk_mul_f32 v[80:81], v[68:69], v[80:81] op_sel_hi:[1,0]
	v_pk_add_f32 v[78:79], v[78:79], v[82:83]
	v_pk_fma_f32 v[82:83], v[68:69], v[110:111], v[80:81] op_sel:[0,0,1] op_sel_hi:[1,1,0] neg_lo:[0,0,1] neg_hi:[0,0,1]
	v_pk_fma_f32 v[68:69], v[68:69], v[110:111], v[80:81] op_sel:[0,0,1] op_sel_hi:[1,0,0]
	v_mov_b32_e32 v83, v69
	v_pk_add_f32 v[68:69], v[78:79], v[82:83]
	v_mov_b32_e32 v78, v109
	v_pk_mul_f32 v[78:79], v[70:71], v[78:79] op_sel_hi:[1,0]
	v_pk_fma_f32 v[80:81], v[70:71], v[108:109], v[78:79] op_sel:[0,0,1] op_sel_hi:[1,1,0] neg_lo:[0,0,1] neg_hi:[0,0,1]
	v_pk_fma_f32 v[70:71], v[70:71], v[108:109], v[78:79] op_sel:[0,0,1] op_sel_hi:[1,0,0]
	v_mov_b32_e32 v70, v107
	v_mov_b32_e32 v81, v71
	s_waitcnt lgkmcnt(1)
	v_pk_mul_f32 v[70:71], v[72:73], v[70:71] op_sel_hi:[1,0]
	v_pk_fma_f32 v[78:79], v[72:73], v[106:107], v[70:71] op_sel:[0,0,1] op_sel_hi:[1,1,0] neg_lo:[0,0,1] neg_hi:[0,0,1]
	v_pk_fma_f32 v[70:71], v[72:73], v[106:107], v[70:71] op_sel:[0,0,1] op_sel_hi:[1,0,0]
	s_waitcnt vmcnt(1)
	v_mov_b32_e32 v70, v117
	v_mov_b32_e32 v79, v71
	v_pk_mul_f32 v[70:71], v[74:75], v[70:71] op_sel_hi:[1,0]
	s_waitcnt vmcnt(0)
	v_pk_fma_f32 v[72:73], v[74:75], v[116:117], v[70:71] op_sel:[0,0,1] op_sel_hi:[1,1,0] neg_lo:[0,0,1] neg_hi:[0,0,1]
	v_pk_fma_f32 v[70:71], v[74:75], v[116:117], v[70:71] op_sel:[0,0,1] op_sel_hi:[1,0,0]
	v_pk_add_f32 v[68:69], v[68:69], v[80:81]
	v_mov_b32_e32 v70, v115
	v_pk_add_f32 v[68:69], v[68:69], v[78:79]
	v_mov_b32_e32 v73, v71
	s_waitcnt lgkmcnt(0)
	v_pk_mul_f32 v[70:71], v[76:77], v[70:71] op_sel_hi:[1,0]
	v_pk_add_f32 v[68:69], v[68:69], v[72:73]
	v_pk_fma_f32 v[72:73], v[76:77], v[114:115], v[70:71] op_sel:[0,0,1] op_sel_hi:[1,1,0] neg_lo:[0,0,1] neg_hi:[0,0,1]
	v_pk_fma_f32 v[70:71], v[76:77], v[114:115], v[70:71] op_sel:[0,0,1] op_sel_hi:[1,0,0]
	v_mov_b32_e32 v73, v71
	v_pk_add_f32 v[68:69], v[68:69], v[72:73]
	v_pk_add_f32 v[68:69], v[100:101], v[68:69] neg_lo:[0,1] neg_hi:[0,1]
	buffer_store_dword v69, off, s[0:3], 0 offset:84
	buffer_store_dword v68, off, s[0:3], 0 offset:80
	s_and_saveexec_b64 s[4:5], vcc
	s_cbranch_execz .LBB95_187
; %bb.186:
	buffer_load_dword v68, off, s[0:3], 0 offset:72
	buffer_load_dword v69, off, s[0:3], 0 offset:76
	s_waitcnt vmcnt(0)
	ds_write_b64 v1, v[68:69]
	buffer_store_dword v66, off, s[0:3], 0 offset:72
	buffer_store_dword v66, off, s[0:3], 0 offset:76
.LBB95_187:
	s_or_b64 exec, exec, s[4:5]
	s_waitcnt lgkmcnt(0)
	; wave barrier
	s_waitcnt lgkmcnt(0)
	buffer_load_dword v67, off, s[0:3], 0 offset:84
	buffer_load_dword v118, off, s[0:3], 0 offset:92
	;; [unrolled: 1-line block ×30, first 2 shown]
	ds_read_b128 v[68:71], v66 offset:336
	ds_read_b128 v[72:75], v66 offset:352
	;; [unrolled: 1-line block ×6, first 2 shown]
	buffer_load_dword v103, off, s[0:3], 0 offset:196
	buffer_load_dword v102, off, s[0:3], 0 offset:192
	ds_read_b128 v[92:95], v66 offset:432
	ds_read_b128 v[96:99], v66 offset:448
	buffer_load_dword v105, off, s[0:3], 0 offset:228
	buffer_load_dword v104, off, s[0:3], 0 offset:224
	;; [unrolled: 1-line block ×14, first 2 shown]
	v_cmp_lt_u32_e32 vcc, 8, v0
	s_waitcnt vmcnt(45) lgkmcnt(7)
	v_mul_f32_e32 v121, v68, v67
	v_mul_f32_e32 v67, v69, v67
	s_waitcnt vmcnt(44)
	v_mul_f32_e32 v123, v70, v118
	s_waitcnt vmcnt(43) lgkmcnt(6)
	v_mul_f32_e32 v148, v72, v120
	s_waitcnt vmcnt(42)
	v_mul_f32_e32 v149, v74, v122
	s_waitcnt vmcnt(41) lgkmcnt(5)
	;; [unrolled: 4-line block ×5, first 2 shown]
	v_mul_f32_e32 v156, v88, v130
	s_waitcnt vmcnt(34)
	v_mul_f32_e32 v157, v90, v131
	s_waitcnt vmcnt(32)
	v_fma_f32 v67, v68, v133, -v67
	v_mul_f32_e32 v68, v71, v118
	v_add_f32_e32 v67, 0, v67
	s_waitcnt vmcnt(31)
	v_fma_f32 v68, v70, v134, -v68
	v_add_f32_e32 v67, v67, v68
	v_mul_f32_e32 v68, v73, v120
	s_waitcnt vmcnt(30)
	v_fma_f32 v68, v72, v135, -v68
	v_add_f32_e32 v67, v67, v68
	v_mul_f32_e32 v68, v75, v122
	;; [unrolled: 4-line block ×5, first 2 shown]
	v_fmac_f32_e32 v121, v69, v133
	s_waitcnt vmcnt(26)
	v_fma_f32 v68, v80, v139, -v68
	v_fmac_f32_e32 v123, v71, v134
	v_add_f32_e32 v121, 0, v121
	v_add_f32_e32 v67, v67, v68
	v_mul_f32_e32 v68, v83, v127
	v_fmac_f32_e32 v148, v73, v135
	v_add_f32_e32 v121, v121, v123
	s_waitcnt vmcnt(25)
	v_fma_f32 v68, v82, v140, -v68
	v_fmac_f32_e32 v149, v75, v136
	v_add_f32_e32 v121, v121, v148
	v_add_f32_e32 v67, v67, v68
	v_mul_f32_e32 v68, v85, v128
	v_fmac_f32_e32 v150, v77, v137
	v_add_f32_e32 v121, v121, v149
	;; [unrolled: 8-line block ×5, first 2 shown]
	s_waitcnt vmcnt(21)
	v_fma_f32 v68, v90, v144, -v68
	s_waitcnt vmcnt(15)
	v_mov_b32_e32 v80, v103
	s_waitcnt lgkmcnt(1)
	v_mul_f32_e32 v119, v92, v132
	v_fmac_f32_e32 v157, v91, v144
	v_add_f32_e32 v121, v121, v156
	v_add_f32_e32 v120, v67, v68
	v_mul_f32_e32 v67, v93, v132
	s_waitcnt lgkmcnt(0)
	v_pk_mul_f32 v[80:81], v[96:97], v[80:81] op_sel_hi:[1,0]
	v_fmac_f32_e32 v119, v93, v145
	v_add_f32_e32 v121, v121, v157
	v_mul_f32_e32 v123, v94, v146
	v_fma_f32 v118, v92, v145, -v67
	v_mul_f32_e32 v67, v95, v146
	s_waitcnt vmcnt(14)
	v_pk_fma_f32 v[82:83], v[96:97], v[102:103], v[80:81] op_sel:[0,0,1] op_sel_hi:[1,1,0] neg_lo:[0,0,1] neg_hi:[0,0,1]
	v_pk_fma_f32 v[80:81], v[96:97], v[102:103], v[80:81] op_sel:[0,0,1] op_sel_hi:[1,0,0]
	v_fmac_f32_e32 v123, v95, v147
	v_fma_f32 v122, v94, v147, -v67
	ds_read_b128 v[68:71], v66 offset:464
	ds_read_b128 v[72:75], v66 offset:480
	;; [unrolled: 1-line block ×3, first 2 shown]
	v_pk_add_f32 v[66:67], v[120:121], v[118:119]
	s_waitcnt vmcnt(7)
	v_mov_b32_e32 v80, v111
	v_pk_add_f32 v[66:67], v[66:67], v[122:123]
	v_mov_b32_e32 v83, v81
	v_pk_mul_f32 v[80:81], v[98:99], v[80:81] op_sel_hi:[1,0]
	v_pk_add_f32 v[66:67], v[66:67], v[82:83]
	s_waitcnt vmcnt(6)
	v_pk_fma_f32 v[82:83], v[98:99], v[110:111], v[80:81] op_sel:[0,0,1] op_sel_hi:[1,1,0] neg_lo:[0,0,1] neg_hi:[0,0,1]
	v_pk_fma_f32 v[80:81], v[98:99], v[110:111], v[80:81] op_sel:[0,0,1] op_sel_hi:[1,0,0]
	v_mov_b32_e32 v80, v109
	v_mov_b32_e32 v83, v81
	s_waitcnt lgkmcnt(2)
	v_pk_mul_f32 v[80:81], v[68:69], v[80:81] op_sel_hi:[1,0]
	v_pk_add_f32 v[66:67], v[66:67], v[82:83]
	v_pk_fma_f32 v[82:83], v[68:69], v[108:109], v[80:81] op_sel:[0,0,1] op_sel_hi:[1,1,0] neg_lo:[0,0,1] neg_hi:[0,0,1]
	v_pk_fma_f32 v[68:69], v[68:69], v[108:109], v[80:81] op_sel:[0,0,1] op_sel_hi:[1,0,0]
	v_mov_b32_e32 v68, v107
	v_mov_b32_e32 v83, v69
	v_pk_mul_f32 v[68:69], v[70:71], v[68:69] op_sel_hi:[1,0]
	v_pk_fma_f32 v[80:81], v[70:71], v[106:107], v[68:69] op_sel:[0,0,1] op_sel_hi:[1,1,0] neg_lo:[0,0,1] neg_hi:[0,0,1]
	v_pk_fma_f32 v[68:69], v[70:71], v[106:107], v[68:69] op_sel:[0,0,1] op_sel_hi:[1,0,0]
	v_mov_b32_e32 v68, v105
	v_mov_b32_e32 v81, v69
	s_waitcnt lgkmcnt(1)
	v_pk_mul_f32 v[68:69], v[72:73], v[68:69] op_sel_hi:[1,0]
	v_pk_fma_f32 v[70:71], v[72:73], v[104:105], v[68:69] op_sel:[0,0,1] op_sel_hi:[1,1,0] neg_lo:[0,0,1] neg_hi:[0,0,1]
	v_pk_fma_f32 v[68:69], v[72:73], v[104:105], v[68:69] op_sel:[0,0,1] op_sel_hi:[1,0,0]
	v_pk_add_f32 v[66:67], v[66:67], v[82:83]
	s_waitcnt vmcnt(1)
	v_mov_b32_e32 v68, v117
	v_pk_add_f32 v[66:67], v[66:67], v[80:81]
	v_mov_b32_e32 v71, v69
	v_pk_mul_f32 v[68:69], v[74:75], v[68:69] op_sel_hi:[1,0]
	v_pk_add_f32 v[66:67], v[66:67], v[70:71]
	s_waitcnt vmcnt(0)
	v_pk_fma_f32 v[70:71], v[74:75], v[116:117], v[68:69] op_sel:[0,0,1] op_sel_hi:[1,1,0] neg_lo:[0,0,1] neg_hi:[0,0,1]
	v_pk_fma_f32 v[68:69], v[74:75], v[116:117], v[68:69] op_sel:[0,0,1] op_sel_hi:[1,0,0]
	v_mov_b32_e32 v68, v115
	v_mov_b32_e32 v71, v69
	s_waitcnt lgkmcnt(0)
	v_pk_mul_f32 v[68:69], v[76:77], v[68:69] op_sel_hi:[1,0]
	v_pk_add_f32 v[66:67], v[66:67], v[70:71]
	v_pk_fma_f32 v[70:71], v[76:77], v[114:115], v[68:69] op_sel:[0,0,1] op_sel_hi:[1,1,0] neg_lo:[0,0,1] neg_hi:[0,0,1]
	v_pk_fma_f32 v[68:69], v[76:77], v[114:115], v[68:69] op_sel:[0,0,1] op_sel_hi:[1,0,0]
	v_mov_b32_e32 v68, v113
	v_mov_b32_e32 v71, v69
	v_pk_mul_f32 v[68:69], v[78:79], v[68:69] op_sel_hi:[1,0]
	v_pk_add_f32 v[66:67], v[66:67], v[70:71]
	v_pk_fma_f32 v[70:71], v[78:79], v[112:113], v[68:69] op_sel:[0,0,1] op_sel_hi:[1,1,0] neg_lo:[0,0,1] neg_hi:[0,0,1]
	v_pk_fma_f32 v[68:69], v[78:79], v[112:113], v[68:69] op_sel:[0,0,1] op_sel_hi:[1,0,0]
	v_mov_b32_e32 v71, v69
	v_pk_add_f32 v[66:67], v[66:67], v[70:71]
	v_pk_add_f32 v[66:67], v[100:101], v[66:67] neg_lo:[0,1] neg_hi:[0,1]
	buffer_store_dword v67, off, s[0:3], 0 offset:76
	buffer_store_dword v66, off, s[0:3], 0 offset:72
	s_and_saveexec_b64 s[4:5], vcc
	s_cbranch_execz .LBB95_189
; %bb.188:
	buffer_load_dword v66, off, s[0:3], 0 offset:64
	buffer_load_dword v67, off, s[0:3], 0 offset:68
	v_mov_b32_e32 v68, 0
	buffer_store_dword v68, off, s[0:3], 0 offset:64
	buffer_store_dword v68, off, s[0:3], 0 offset:68
	s_waitcnt vmcnt(2)
	ds_write_b64 v1, v[66:67]
.LBB95_189:
	s_or_b64 exec, exec, s[4:5]
	s_waitcnt lgkmcnt(0)
	; wave barrier
	s_waitcnt lgkmcnt(0)
	buffer_load_dword v67, off, s[0:3], 0 offset:76
	buffer_load_dword v116, off, s[0:3], 0 offset:84
	;; [unrolled: 1-line block ×32, first 2 shown]
	v_mov_b32_e32 v66, 0
	buffer_load_dword v103, off, s[0:3], 0 offset:220
	buffer_load_dword v102, off, s[0:3], 0 offset:216
	;; [unrolled: 1-line block ×13, first 2 shown]
	ds_read2_b64 v[68:71], v66 offset0:41 offset1:42
	ds_read2_b64 v[72:75], v66 offset0:43 offset1:44
	;; [unrolled: 1-line block ×8, first 2 shown]
	v_cmp_lt_u32_e32 vcc, 7, v0
	s_waitcnt vmcnt(44) lgkmcnt(7)
	v_mul_f32_e32 v110, v68, v67
	s_waitcnt vmcnt(43)
	v_mul_f32_e32 v117, v70, v116
	s_waitcnt vmcnt(42) lgkmcnt(6)
	v_mul_f32_e32 v118, v72, v120
	s_waitcnt vmcnt(41)
	v_mul_f32_e32 v119, v74, v122
	s_waitcnt vmcnt(40) lgkmcnt(5)
	v_mul_f32_e32 v121, v76, v124
	s_waitcnt vmcnt(39)
	v_mul_f32_e32 v123, v78, v125
	s_waitcnt vmcnt(38) lgkmcnt(4)
	v_mul_f32_e32 v150, v80, v126
	s_waitcnt vmcnt(37)
	v_mul_f32_e32 v151, v82, v127
	s_waitcnt vmcnt(36) lgkmcnt(3)
	v_mul_f32_e32 v152, v84, v128
	s_waitcnt vmcnt(35)
	v_mul_f32_e32 v153, v86, v129
	s_waitcnt vmcnt(34) lgkmcnt(2)
	v_mul_f32_e32 v154, v88, v130
	s_waitcnt vmcnt(33)
	v_mul_f32_e32 v155, v90, v131
	s_waitcnt vmcnt(32) lgkmcnt(1)
	v_mul_f32_e32 v156, v92, v132
	s_waitcnt vmcnt(31)
	v_fmac_f32_e32 v110, v69, v133
	s_waitcnt vmcnt(30)
	v_fmac_f32_e32 v117, v71, v134
	v_add_f32_e32 v110, 0, v110
	s_waitcnt vmcnt(29)
	v_fmac_f32_e32 v118, v73, v135
	v_add_f32_e32 v110, v110, v117
	s_waitcnt vmcnt(28)
	v_fmac_f32_e32 v119, v75, v136
	v_add_f32_e32 v110, v110, v118
	s_waitcnt vmcnt(27)
	v_fmac_f32_e32 v121, v77, v137
	v_add_f32_e32 v110, v110, v119
	s_waitcnt vmcnt(26)
	v_fmac_f32_e32 v123, v79, v138
	v_add_f32_e32 v110, v110, v121
	s_waitcnt vmcnt(25)
	v_fmac_f32_e32 v150, v81, v139
	v_add_f32_e32 v110, v110, v123
	s_waitcnt vmcnt(24)
	v_fmac_f32_e32 v151, v83, v140
	v_add_f32_e32 v110, v110, v150
	s_waitcnt vmcnt(23)
	v_fmac_f32_e32 v152, v85, v141
	v_add_f32_e32 v110, v110, v151
	s_waitcnt vmcnt(22)
	v_fmac_f32_e32 v153, v87, v142
	v_add_f32_e32 v110, v110, v152
	s_waitcnt vmcnt(21)
	v_fmac_f32_e32 v154, v89, v143
	v_add_f32_e32 v110, v110, v153
	s_waitcnt vmcnt(20)
	v_fmac_f32_e32 v155, v91, v144
	v_add_f32_e32 v110, v110, v154
	s_waitcnt vmcnt(19)
	v_fmac_f32_e32 v156, v93, v145
	v_add_f32_e32 v110, v110, v155
	v_add_f32_e32 v117, v110, v156
	buffer_load_dword v119, off, s[0:3], 0 offset:236
	buffer_load_dword v118, off, s[0:3], 0 offset:232
	;; [unrolled: 1-line block ×3, first 2 shown]
	v_mul_f32_e32 v67, v69, v67
	v_fma_f32 v67, v68, v133, -v67
	v_mul_f32_e32 v68, v71, v116
	v_add_f32_e32 v67, 0, v67
	v_fma_f32 v68, v70, v134, -v68
	v_add_f32_e32 v67, v67, v68
	v_mul_f32_e32 v68, v73, v120
	v_fma_f32 v68, v72, v135, -v68
	v_add_f32_e32 v67, v67, v68
	v_mul_f32_e32 v68, v75, v122
	v_fma_f32 v68, v74, v136, -v68
	v_add_f32_e32 v67, v67, v68
	v_mul_f32_e32 v68, v77, v124
	v_fma_f32 v68, v76, v137, -v68
	v_add_f32_e32 v67, v67, v68
	v_mul_f32_e32 v68, v79, v125
	v_fma_f32 v68, v78, v138, -v68
	v_add_f32_e32 v67, v67, v68
	v_mul_f32_e32 v68, v81, v126
	v_fma_f32 v68, v80, v139, -v68
	v_add_f32_e32 v67, v67, v68
	v_mul_f32_e32 v68, v83, v127
	v_fma_f32 v68, v82, v140, -v68
	v_add_f32_e32 v67, v67, v68
	v_mul_f32_e32 v68, v85, v128
	v_fma_f32 v68, v84, v141, -v68
	v_add_f32_e32 v67, v67, v68
	v_mul_f32_e32 v68, v87, v129
	v_fma_f32 v68, v86, v142, -v68
	v_add_f32_e32 v67, v67, v68
	v_mul_f32_e32 v68, v89, v130
	v_fma_f32 v68, v88, v143, -v68
	v_add_f32_e32 v67, v67, v68
	v_mul_f32_e32 v68, v91, v131
	v_fma_f32 v68, v90, v144, -v68
	v_add_f32_e32 v67, v67, v68
	v_mul_f32_e32 v68, v93, v132
	v_fma_f32 v68, v92, v145, -v68
	s_waitcnt vmcnt(9)
	v_mov_b32_e32 v84, v109
	v_mul_f32_e32 v121, v94, v146
	v_add_f32_e32 v116, v67, v68
	v_mul_f32_e32 v67, v95, v146
	s_waitcnt lgkmcnt(0)
	v_pk_mul_f32 v[84:85], v[98:99], v[84:85] op_sel_hi:[1,0]
	v_fmac_f32_e32 v121, v95, v147
	v_mul_f32_e32 v123, v96, v148
	v_fma_f32 v120, v94, v147, -v67
	v_mul_f32_e32 v67, v97, v148
	ds_read2_b64 v[68:71], v66 offset0:57 offset1:58
	ds_read2_b64 v[72:75], v66 offset0:59 offset1:60
	;; [unrolled: 1-line block ×3, first 2 shown]
	ds_read_b64 v[80:81], v66 offset:504
	s_waitcnt vmcnt(8)
	v_pk_fma_f32 v[86:87], v[98:99], v[108:109], v[84:85] op_sel:[0,0,1] op_sel_hi:[1,1,0] neg_lo:[0,0,1] neg_hi:[0,0,1]
	v_pk_fma_f32 v[84:85], v[98:99], v[108:109], v[84:85] op_sel:[0,0,1] op_sel_hi:[1,0,0]
	v_fmac_f32_e32 v123, v97, v149
	v_fma_f32 v122, v96, v149, -v67
	v_pk_add_f32 v[82:83], v[116:117], v[120:121]
	v_mov_b32_e32 v84, v107
	v_pk_add_f32 v[82:83], v[82:83], v[122:123]
	v_mov_b32_e32 v87, v85
	s_waitcnt lgkmcnt(3)
	v_pk_mul_f32 v[84:85], v[68:69], v[84:85] op_sel_hi:[1,0]
	v_pk_add_f32 v[82:83], v[82:83], v[86:87]
	v_pk_fma_f32 v[86:87], v[68:69], v[106:107], v[84:85] op_sel:[0,0,1] op_sel_hi:[1,1,0] neg_lo:[0,0,1] neg_hi:[0,0,1]
	v_pk_fma_f32 v[68:69], v[68:69], v[106:107], v[84:85] op_sel:[0,0,1] op_sel_hi:[1,0,0]
	v_mov_b32_e32 v87, v69
	v_pk_add_f32 v[68:69], v[82:83], v[86:87]
	v_mov_b32_e32 v82, v105
	v_pk_mul_f32 v[82:83], v[70:71], v[82:83] op_sel_hi:[1,0]
	v_pk_fma_f32 v[84:85], v[70:71], v[104:105], v[82:83] op_sel:[0,0,1] op_sel_hi:[1,1,0] neg_lo:[0,0,1] neg_hi:[0,0,1]
	v_pk_fma_f32 v[70:71], v[70:71], v[104:105], v[82:83] op_sel:[0,0,1] op_sel_hi:[1,0,0]
	v_mov_b32_e32 v70, v103
	v_mov_b32_e32 v85, v71
	s_waitcnt lgkmcnt(2)
	v_pk_mul_f32 v[70:71], v[72:73], v[70:71] op_sel_hi:[1,0]
	v_pk_fma_f32 v[82:83], v[72:73], v[102:103], v[70:71] op_sel:[0,0,1] op_sel_hi:[1,1,0] neg_lo:[0,0,1] neg_hi:[0,0,1]
	v_pk_fma_f32 v[70:71], v[72:73], v[102:103], v[70:71] op_sel:[0,0,1] op_sel_hi:[1,0,0]
	s_waitcnt vmcnt(7)
	v_mov_b32_e32 v70, v111
	v_mov_b32_e32 v83, v71
	v_pk_mul_f32 v[70:71], v[74:75], v[70:71] op_sel_hi:[1,0]
	v_pk_add_f32 v[68:69], v[68:69], v[84:85]
	v_pk_add_f32 v[68:69], v[68:69], v[82:83]
	s_waitcnt vmcnt(0)
	v_pk_fma_f32 v[72:73], v[74:75], v[110:111], v[70:71] op_sel:[0,0,1] op_sel_hi:[1,1,0] neg_lo:[0,0,1] neg_hi:[0,0,1]
	v_pk_fma_f32 v[70:71], v[74:75], v[110:111], v[70:71] op_sel:[0,0,1] op_sel_hi:[1,0,0]
	v_mov_b32_e32 v70, v119
	v_mov_b32_e32 v73, v71
	s_waitcnt lgkmcnt(1)
	v_pk_mul_f32 v[70:71], v[76:77], v[70:71] op_sel_hi:[1,0]
	v_pk_add_f32 v[68:69], v[68:69], v[72:73]
	v_pk_fma_f32 v[72:73], v[76:77], v[118:119], v[70:71] op_sel:[0,0,1] op_sel_hi:[1,1,0] neg_lo:[0,0,1] neg_hi:[0,0,1]
	v_pk_fma_f32 v[70:71], v[76:77], v[118:119], v[70:71] op_sel:[0,0,1] op_sel_hi:[1,0,0]
	v_mov_b32_e32 v70, v115
	v_mov_b32_e32 v73, v71
	v_pk_mul_f32 v[70:71], v[78:79], v[70:71] op_sel_hi:[1,0]
	v_pk_add_f32 v[68:69], v[68:69], v[72:73]
	v_pk_fma_f32 v[72:73], v[78:79], v[114:115], v[70:71] op_sel:[0,0,1] op_sel_hi:[1,1,0] neg_lo:[0,0,1] neg_hi:[0,0,1]
	v_pk_fma_f32 v[70:71], v[78:79], v[114:115], v[70:71] op_sel:[0,0,1] op_sel_hi:[1,0,0]
	v_mov_b32_e32 v70, v113
	v_mov_b32_e32 v73, v71
	s_waitcnt lgkmcnt(0)
	v_pk_mul_f32 v[70:71], v[80:81], v[70:71] op_sel_hi:[1,0]
	v_pk_add_f32 v[68:69], v[68:69], v[72:73]
	v_pk_fma_f32 v[72:73], v[80:81], v[112:113], v[70:71] op_sel:[0,0,1] op_sel_hi:[1,1,0] neg_lo:[0,0,1] neg_hi:[0,0,1]
	v_pk_fma_f32 v[70:71], v[80:81], v[112:113], v[70:71] op_sel:[0,0,1] op_sel_hi:[1,0,0]
	v_mov_b32_e32 v73, v71
	v_pk_add_f32 v[68:69], v[68:69], v[72:73]
	v_pk_add_f32 v[68:69], v[100:101], v[68:69] neg_lo:[0,1] neg_hi:[0,1]
	buffer_store_dword v69, off, s[0:3], 0 offset:68
	buffer_store_dword v68, off, s[0:3], 0 offset:64
	s_and_saveexec_b64 s[4:5], vcc
	s_cbranch_execz .LBB95_191
; %bb.190:
	buffer_load_dword v68, off, s[0:3], 0 offset:56
	buffer_load_dword v69, off, s[0:3], 0 offset:60
	s_waitcnt vmcnt(0)
	ds_write_b64 v1, v[68:69]
	buffer_store_dword v66, off, s[0:3], 0 offset:56
	buffer_store_dword v66, off, s[0:3], 0 offset:60
.LBB95_191:
	s_or_b64 exec, exec, s[4:5]
	s_waitcnt lgkmcnt(0)
	; wave barrier
	s_waitcnt lgkmcnt(0)
	buffer_load_dword v67, off, s[0:3], 0 offset:68
	buffer_load_dword v116, off, s[0:3], 0 offset:76
	;; [unrolled: 1-line block ×34, first 2 shown]
	ds_read_b128 v[68:71], v66 offset:320
	ds_read_b128 v[72:75], v66 offset:336
	;; [unrolled: 1-line block ×8, first 2 shown]
	buffer_load_dword v103, off, s[0:3], 0 offset:212
	buffer_load_dword v102, off, s[0:3], 0 offset:208
	;; [unrolled: 1-line block ×9, first 2 shown]
	v_cmp_lt_u32_e32 vcc, 6, v0
	s_waitcnt vmcnt(42) lgkmcnt(7)
	v_mul_f32_e32 v108, v68, v67
	s_waitcnt vmcnt(41)
	v_mul_f32_e32 v112, v70, v116
	s_waitcnt vmcnt(40) lgkmcnt(6)
	v_mul_f32_e32 v113, v72, v118
	s_waitcnt vmcnt(39)
	v_mul_f32_e32 v114, v74, v120
	;; [unrolled: 4-line block ×6, first 2 shown]
	s_waitcnt vmcnt(30) lgkmcnt(1)
	v_mul_f32_e32 v154, v92, v132
	v_mul_f32_e32 v67, v69, v67
	s_waitcnt vmcnt(28)
	v_fmac_f32_e32 v108, v69, v134
	s_waitcnt vmcnt(27)
	v_fmac_f32_e32 v112, v71, v135
	v_add_f32_e32 v108, 0, v108
	s_waitcnt vmcnt(26)
	v_fmac_f32_e32 v113, v73, v136
	v_add_f32_e32 v108, v108, v112
	;; [unrolled: 3-line block ×12, first 2 shown]
	v_add_f32_e32 v117, v108, v154
	buffer_load_dword v113, off, s[0:3], 0 offset:236
	buffer_load_dword v112, off, s[0:3], 0 offset:232
	;; [unrolled: 1-line block ×7, first 2 shown]
	v_fma_f32 v67, v68, v134, -v67
	v_mul_f32_e32 v68, v71, v116
	v_add_f32_e32 v67, 0, v67
	v_fma_f32 v68, v70, v135, -v68
	v_add_f32_e32 v67, v67, v68
	v_mul_f32_e32 v68, v73, v118
	v_fma_f32 v68, v72, v136, -v68
	v_add_f32_e32 v67, v67, v68
	v_mul_f32_e32 v68, v75, v120
	;; [unrolled: 3-line block ×12, first 2 shown]
	s_waitcnt vmcnt(22)
	v_fma_f32 v68, v94, v147, -v68
	v_add_f32_e32 v116, v67, v68
	ds_read_b128 v[68:71], v66 offset:448
	ds_read_b128 v[72:75], v66 offset:464
	;; [unrolled: 1-line block ×4, first 2 shown]
	s_waitcnt vmcnt(11)
	v_mov_b32_e32 v84, v107
	s_waitcnt lgkmcnt(3)
	v_pk_mul_f32 v[84:85], v[68:69], v[84:85] op_sel_hi:[1,0]
	s_waitcnt vmcnt(10)
	v_pk_fma_f32 v[86:87], v[68:69], v[106:107], v[84:85] op_sel:[0,0,1] op_sel_hi:[1,1,0] neg_lo:[0,0,1] neg_hi:[0,0,1]
	v_pk_fma_f32 v[68:69], v[68:69], v[106:107], v[84:85] op_sel:[0,0,1] op_sel_hi:[1,0,0]
	v_mov_b32_e32 v68, v105
	v_mul_f32_e32 v155, v94, v133
	v_mov_b32_e32 v87, v69
	v_pk_mul_f32 v[68:69], v[70:71], v[68:69] op_sel_hi:[1,0]
	v_fmac_f32_e32 v155, v95, v147
	v_mul_f32_e32 v119, v96, v148
	v_mul_f32_e32 v67, v97, v148
	v_pk_fma_f32 v[84:85], v[70:71], v[104:105], v[68:69] op_sel:[0,0,1] op_sel_hi:[1,1,0] neg_lo:[0,0,1] neg_hi:[0,0,1]
	v_pk_fma_f32 v[68:69], v[70:71], v[104:105], v[68:69] op_sel:[0,0,1] op_sel_hi:[1,0,0]
	v_add_f32_e32 v117, v117, v155
	v_fmac_f32_e32 v119, v97, v149
	v_mul_f32_e32 v121, v98, v150
	v_fma_f32 v118, v96, v149, -v67
	v_mul_f32_e32 v67, v99, v150
	v_mov_b32_e32 v68, v103
	v_fmac_f32_e32 v121, v99, v151
	v_fma_f32 v120, v98, v151, -v67
	v_pk_add_f32 v[66:67], v[116:117], v[118:119]
	v_mov_b32_e32 v85, v69
	s_waitcnt lgkmcnt(2)
	v_pk_mul_f32 v[68:69], v[72:73], v[68:69] op_sel_hi:[1,0]
	v_pk_add_f32 v[66:67], v[66:67], v[120:121]
	v_pk_fma_f32 v[70:71], v[72:73], v[102:103], v[68:69] op_sel:[0,0,1] op_sel_hi:[1,1,0] neg_lo:[0,0,1] neg_hi:[0,0,1]
	v_pk_fma_f32 v[68:69], v[72:73], v[102:103], v[68:69] op_sel:[0,0,1] op_sel_hi:[1,0,0]
	v_pk_add_f32 v[66:67], v[66:67], v[86:87]
	s_waitcnt vmcnt(9)
	v_mov_b32_e32 v68, v109
	v_pk_add_f32 v[66:67], v[66:67], v[84:85]
	v_mov_b32_e32 v71, v69
	v_pk_mul_f32 v[68:69], v[74:75], v[68:69] op_sel_hi:[1,0]
	v_pk_add_f32 v[66:67], v[66:67], v[70:71]
	s_waitcnt vmcnt(2)
	v_pk_fma_f32 v[70:71], v[74:75], v[108:109], v[68:69] op_sel:[0,0,1] op_sel_hi:[1,1,0] neg_lo:[0,0,1] neg_hi:[0,0,1]
	v_pk_fma_f32 v[68:69], v[74:75], v[108:109], v[68:69] op_sel:[0,0,1] op_sel_hi:[1,0,0]
	v_mov_b32_e32 v68, v115
	v_mov_b32_e32 v71, v69
	s_waitcnt lgkmcnt(1)
	v_pk_mul_f32 v[68:69], v[76:77], v[68:69] op_sel_hi:[1,0]
	v_pk_add_f32 v[66:67], v[66:67], v[70:71]
	v_pk_fma_f32 v[70:71], v[76:77], v[114:115], v[68:69] op_sel:[0,0,1] op_sel_hi:[1,1,0] neg_lo:[0,0,1] neg_hi:[0,0,1]
	v_pk_fma_f32 v[68:69], v[76:77], v[114:115], v[68:69] op_sel:[0,0,1] op_sel_hi:[1,0,0]
	v_mov_b32_e32 v68, v113
	v_mov_b32_e32 v71, v69
	v_pk_mul_f32 v[68:69], v[78:79], v[68:69] op_sel_hi:[1,0]
	v_pk_add_f32 v[66:67], v[66:67], v[70:71]
	v_pk_fma_f32 v[70:71], v[78:79], v[112:113], v[68:69] op_sel:[0,0,1] op_sel_hi:[1,1,0] neg_lo:[0,0,1] neg_hi:[0,0,1]
	v_pk_fma_f32 v[68:69], v[78:79], v[112:113], v[68:69] op_sel:[0,0,1] op_sel_hi:[1,0,0]
	v_mov_b32_e32 v68, v111
	v_mov_b32_e32 v71, v69
	s_waitcnt lgkmcnt(0)
	v_pk_mul_f32 v[68:69], v[80:81], v[68:69] op_sel_hi:[1,0]
	v_pk_add_f32 v[66:67], v[66:67], v[70:71]
	v_pk_fma_f32 v[70:71], v[80:81], v[110:111], v[68:69] op_sel:[0,0,1] op_sel_hi:[1,1,0] neg_lo:[0,0,1] neg_hi:[0,0,1]
	v_pk_fma_f32 v[68:69], v[80:81], v[110:111], v[68:69] op_sel:[0,0,1] op_sel_hi:[1,0,0]
	s_waitcnt vmcnt(1)
	v_mov_b32_e32 v68, v123
	v_mov_b32_e32 v71, v69
	v_pk_mul_f32 v[68:69], v[82:83], v[68:69] op_sel_hi:[1,0]
	v_pk_add_f32 v[66:67], v[66:67], v[70:71]
	s_waitcnt vmcnt(0)
	v_pk_fma_f32 v[70:71], v[82:83], v[122:123], v[68:69] op_sel:[0,0,1] op_sel_hi:[1,1,0] neg_lo:[0,0,1] neg_hi:[0,0,1]
	v_pk_fma_f32 v[68:69], v[82:83], v[122:123], v[68:69] op_sel:[0,0,1] op_sel_hi:[1,0,0]
	v_mov_b32_e32 v71, v69
	v_pk_add_f32 v[66:67], v[66:67], v[70:71]
	v_pk_add_f32 v[66:67], v[100:101], v[66:67] neg_lo:[0,1] neg_hi:[0,1]
	buffer_store_dword v67, off, s[0:3], 0 offset:60
	buffer_store_dword v66, off, s[0:3], 0 offset:56
	s_and_saveexec_b64 s[4:5], vcc
	s_cbranch_execz .LBB95_193
; %bb.192:
	buffer_load_dword v66, off, s[0:3], 0 offset:48
	buffer_load_dword v67, off, s[0:3], 0 offset:52
	v_mov_b32_e32 v68, 0
	buffer_store_dword v68, off, s[0:3], 0 offset:48
	buffer_store_dword v68, off, s[0:3], 0 offset:52
	s_waitcnt vmcnt(2)
	ds_write_b64 v1, v[66:67]
.LBB95_193:
	s_or_b64 exec, exec, s[4:5]
	s_waitcnt lgkmcnt(0)
	; wave barrier
	s_waitcnt lgkmcnt(0)
	buffer_load_dword v69, off, s[0:3], 0 offset:60
	buffer_load_dword v122, off, s[0:3], 0 offset:68
	;; [unrolled: 1-line block ×36, first 2 shown]
	v_mov_b32_e32 v68, 0
	buffer_load_dword v111, off, s[0:3], 0 offset:204
	buffer_load_dword v110, off, s[0:3], 0 offset:200
	;; [unrolled: 1-line block ×5, first 2 shown]
	ds_read2_b64 v[70:73], v68 offset0:39 offset1:40
	ds_read2_b64 v[74:77], v68 offset0:41 offset1:42
	;; [unrolled: 1-line block ×8, first 2 shown]
	v_cmp_lt_u32_e32 vcc, 5, v0
	s_waitcnt vmcnt(40) lgkmcnt(7)
	v_mul_f32_e32 v102, v70, v69
	s_waitcnt vmcnt(39)
	v_mul_f32_e32 v103, v72, v122
	s_waitcnt vmcnt(38) lgkmcnt(6)
	v_mul_f32_e32 v104, v74, v124
	s_waitcnt vmcnt(37)
	v_mul_f32_e32 v105, v76, v126
	;; [unrolled: 4-line block ×7, first 2 shown]
	s_waitcnt vmcnt(26) lgkmcnt(0)
	v_mul_f32_e32 v123, v98, v142
	s_waitcnt vmcnt(25)
	v_fmac_f32_e32 v102, v71, v143
	s_waitcnt vmcnt(24)
	v_fmac_f32_e32 v103, v73, v144
	v_add_f32_e32 v102, 0, v102
	s_waitcnt vmcnt(23)
	v_fmac_f32_e32 v104, v75, v145
	v_add_f32_e32 v102, v102, v103
	;; [unrolled: 3-line block ×13, first 2 shown]
	v_add_f32_e32 v106, v102, v120
	buffer_load_dword v117, off, s[0:3], 0 offset:236
	buffer_load_dword v116, off, s[0:3], 0 offset:232
	;; [unrolled: 1-line block ×7, first 2 shown]
	s_waitcnt vmcnt(18)
	v_fmac_f32_e32 v123, v99, v157
	ds_read2_b64 v[102:105], v68 offset0:55 offset1:56
	v_add_f32_e32 v123, v106, v123
	ds_read2_b64 v[106:109], v68 offset0:57 offset1:58
	buffer_load_dword v129, off, s[0:3], 0 offset:252
	buffer_load_dword v128, off, s[0:3], 0 offset:248
	;; [unrolled: 1-line block ×4, first 2 shown]
	v_mul_f32_e32 v69, v71, v69
	v_fma_f32 v69, v70, v143, -v69
	v_mul_f32_e32 v70, v73, v122
	v_add_f32_e32 v69, 0, v69
	v_fma_f32 v70, v72, v144, -v70
	v_add_f32_e32 v69, v69, v70
	v_mul_f32_e32 v70, v75, v124
	v_fma_f32 v70, v74, v145, -v70
	v_add_f32_e32 v69, v69, v70
	v_mul_f32_e32 v70, v77, v126
	;; [unrolled: 3-line block ×13, first 2 shown]
	v_fma_f32 v70, v98, v157, -v70
	s_waitcnt vmcnt(13)
	v_mov_b32_e32 v82, v113
	v_mul_f32_e32 v125, v100, v158
	v_add_f32_e32 v122, v69, v70
	v_mul_f32_e32 v69, v101, v158
	s_waitcnt lgkmcnt(1)
	v_pk_mul_f32 v[82:83], v[104:105], v[82:83] op_sel_hi:[1,0]
	v_fmac_f32_e32 v125, v101, v159
	v_mul_f32_e32 v127, v102, v160
	v_fma_f32 v124, v100, v159, -v69
	v_mul_f32_e32 v69, v103, v160
	s_waitcnt vmcnt(12)
	v_pk_fma_f32 v[84:85], v[104:105], v[112:113], v[82:83] op_sel:[0,0,1] op_sel_hi:[1,1,0] neg_lo:[0,0,1] neg_hi:[0,0,1]
	v_pk_fma_f32 v[82:83], v[104:105], v[112:113], v[82:83] op_sel:[0,0,1] op_sel_hi:[1,0,0]
	v_fmac_f32_e32 v127, v103, v161
	v_fma_f32 v126, v102, v161, -v69
	v_pk_add_f32 v[80:81], v[122:123], v[124:125]
	v_mov_b32_e32 v82, v111
	v_pk_add_f32 v[80:81], v[80:81], v[126:127]
	v_mov_b32_e32 v85, v83
	s_waitcnt lgkmcnt(0)
	v_pk_mul_f32 v[82:83], v[106:107], v[82:83] op_sel_hi:[1,0]
	v_pk_add_f32 v[80:81], v[80:81], v[84:85]
	v_pk_fma_f32 v[84:85], v[106:107], v[110:111], v[82:83] op_sel:[0,0,1] op_sel_hi:[1,1,0] neg_lo:[0,0,1] neg_hi:[0,0,1]
	v_pk_fma_f32 v[82:83], v[106:107], v[110:111], v[82:83] op_sel:[0,0,1] op_sel_hi:[1,0,0]
	s_waitcnt vmcnt(11)
	v_mov_b32_e32 v82, v115
	ds_read2_b64 v[70:73], v68 offset0:59 offset1:60
	ds_read2_b64 v[74:77], v68 offset0:61 offset1:62
	ds_read_b64 v[78:79], v68 offset:504
	v_mov_b32_e32 v85, v83
	v_pk_mul_f32 v[82:83], v[108:109], v[82:83] op_sel_hi:[1,0]
	v_pk_add_f32 v[80:81], v[80:81], v[84:85]
	s_waitcnt vmcnt(4)
	v_pk_fma_f32 v[84:85], v[108:109], v[114:115], v[82:83] op_sel:[0,0,1] op_sel_hi:[1,1,0] neg_lo:[0,0,1] neg_hi:[0,0,1]
	v_pk_fma_f32 v[82:83], v[108:109], v[114:115], v[82:83] op_sel:[0,0,1] op_sel_hi:[1,0,0]
	v_mov_b32_e32 v82, v121
	v_mov_b32_e32 v85, v83
	s_waitcnt lgkmcnt(2)
	v_pk_mul_f32 v[82:83], v[70:71], v[82:83] op_sel_hi:[1,0]
	v_pk_add_f32 v[80:81], v[80:81], v[84:85]
	v_pk_fma_f32 v[84:85], v[70:71], v[120:121], v[82:83] op_sel:[0,0,1] op_sel_hi:[1,1,0] neg_lo:[0,0,1] neg_hi:[0,0,1]
	v_pk_fma_f32 v[70:71], v[70:71], v[120:121], v[82:83] op_sel:[0,0,1] op_sel_hi:[1,0,0]
	v_mov_b32_e32 v85, v71
	v_pk_add_f32 v[70:71], v[80:81], v[84:85]
	v_mov_b32_e32 v80, v119
	v_pk_mul_f32 v[80:81], v[72:73], v[80:81] op_sel_hi:[1,0]
	v_pk_fma_f32 v[82:83], v[72:73], v[118:119], v[80:81] op_sel:[0,0,1] op_sel_hi:[1,1,0] neg_lo:[0,0,1] neg_hi:[0,0,1]
	v_pk_fma_f32 v[72:73], v[72:73], v[118:119], v[80:81] op_sel:[0,0,1] op_sel_hi:[1,0,0]
	v_mov_b32_e32 v72, v117
	v_mov_b32_e32 v83, v73
	s_waitcnt lgkmcnt(1)
	v_pk_mul_f32 v[72:73], v[74:75], v[72:73] op_sel_hi:[1,0]
	v_pk_fma_f32 v[80:81], v[74:75], v[116:117], v[72:73] op_sel:[0,0,1] op_sel_hi:[1,1,0] neg_lo:[0,0,1] neg_hi:[0,0,1]
	v_pk_fma_f32 v[72:73], v[74:75], v[116:117], v[72:73] op_sel:[0,0,1] op_sel_hi:[1,0,0]
	s_waitcnt vmcnt(1)
	v_mov_b32_e32 v72, v131
	v_mov_b32_e32 v81, v73
	v_pk_mul_f32 v[72:73], v[76:77], v[72:73] op_sel_hi:[1,0]
	s_waitcnt vmcnt(0)
	v_pk_fma_f32 v[74:75], v[76:77], v[130:131], v[72:73] op_sel:[0,0,1] op_sel_hi:[1,1,0] neg_lo:[0,0,1] neg_hi:[0,0,1]
	v_pk_fma_f32 v[72:73], v[76:77], v[130:131], v[72:73] op_sel:[0,0,1] op_sel_hi:[1,0,0]
	v_pk_add_f32 v[70:71], v[70:71], v[82:83]
	v_mov_b32_e32 v72, v129
	v_pk_add_f32 v[70:71], v[70:71], v[80:81]
	v_mov_b32_e32 v75, v73
	s_waitcnt lgkmcnt(0)
	v_pk_mul_f32 v[72:73], v[78:79], v[72:73] op_sel_hi:[1,0]
	v_pk_add_f32 v[70:71], v[70:71], v[74:75]
	v_pk_fma_f32 v[74:75], v[78:79], v[128:129], v[72:73] op_sel:[0,0,1] op_sel_hi:[1,1,0] neg_lo:[0,0,1] neg_hi:[0,0,1]
	v_pk_fma_f32 v[72:73], v[78:79], v[128:129], v[72:73] op_sel:[0,0,1] op_sel_hi:[1,0,0]
	v_mov_b32_e32 v75, v73
	v_pk_add_f32 v[70:71], v[70:71], v[74:75]
	v_pk_add_f32 v[66:67], v[66:67], v[70:71] neg_lo:[0,1] neg_hi:[0,1]
	buffer_store_dword v67, off, s[0:3], 0 offset:52
	buffer_store_dword v66, off, s[0:3], 0 offset:48
	s_and_saveexec_b64 s[4:5], vcc
	s_cbranch_execz .LBB95_195
; %bb.194:
	buffer_load_dword v66, off, s[0:3], 0 offset:40
	buffer_load_dword v67, off, s[0:3], 0 offset:44
	s_waitcnt vmcnt(0)
	ds_write_b64 v1, v[66:67]
	buffer_store_dword v68, off, s[0:3], 0 offset:40
	buffer_store_dword v68, off, s[0:3], 0 offset:44
.LBB95_195:
	s_or_b64 exec, exec, s[4:5]
	s_waitcnt lgkmcnt(0)
	; wave barrier
	s_waitcnt lgkmcnt(0)
	buffer_load_dword v66, off, s[0:3], 0 offset:52
	buffer_load_dword v67, off, s[0:3], 0 offset:60
	;; [unrolled: 1-line block ×38, first 2 shown]
	ds_read_b128 v[70:73], v68 offset:304
	ds_read_b128 v[74:77], v68 offset:320
	;; [unrolled: 1-line block ×8, first 2 shown]
	buffer_load_dword v113, off, s[0:3], 0 offset:196
	buffer_load_dword v112, off, s[0:3], 0 offset:192
	;; [unrolled: 1-line block ×4, first 2 shown]
	v_cmp_lt_u32_e32 vcc, 4, v0
	s_waitcnt vmcnt(41) lgkmcnt(7)
	v_mul_f32_e32 v102, v70, v66
	s_waitcnt vmcnt(40)
	v_mul_f32_e32 v103, v72, v67
	s_waitcnt vmcnt(39) lgkmcnt(6)
	v_mul_f32_e32 v104, v74, v69
	s_waitcnt vmcnt(38)
	v_mul_f32_e32 v105, v76, v122
	;; [unrolled: 4-line block ×7, first 2 shown]
	s_waitcnt vmcnt(27) lgkmcnt(0)
	v_mul_f32_e32 v123, v98, v142
	s_waitcnt vmcnt(26)
	v_fmac_f32_e32 v102, v71, v143
	s_waitcnt vmcnt(25)
	v_fmac_f32_e32 v103, v73, v144
	v_add_f32_e32 v102, 0, v102
	s_waitcnt vmcnt(24)
	v_fmac_f32_e32 v104, v75, v145
	v_add_f32_e32 v102, v102, v103
	;; [unrolled: 3-line block ×13, first 2 shown]
	v_add_f32_e32 v102, v102, v121
	buffer_load_dword v117, off, s[0:3], 0 offset:220
	buffer_load_dword v116, off, s[0:3], 0 offset:216
	;; [unrolled: 1-line block ×6, first 2 shown]
	s_waitcnt vmcnt(18)
	v_fmac_f32_e32 v123, v99, v157
	s_waitcnt vmcnt(17)
	v_mul_f32_e32 v107, v100, v158
	v_add_f32_e32 v106, v102, v123
	s_waitcnt vmcnt(16)
	v_fmac_f32_e32 v107, v101, v159
	ds_read_b128 v[102:105], v68 offset:432
	v_add_f32_e32 v123, v106, v107
	ds_read_b128 v[106:109], v68 offset:448
	buffer_load_dword v129, off, s[0:3], 0 offset:252
	buffer_load_dword v128, off, s[0:3], 0 offset:248
	;; [unrolled: 1-line block ×6, first 2 shown]
	v_mul_f32_e32 v66, v71, v66
	v_fma_f32 v66, v70, v143, -v66
	v_mul_f32_e32 v67, v73, v67
	v_add_f32_e32 v66, 0, v66
	v_fma_f32 v67, v72, v144, -v67
	v_add_f32_e32 v66, v66, v67
	v_mul_f32_e32 v67, v75, v69
	v_fma_f32 v67, v74, v145, -v67
	v_add_f32_e32 v66, v66, v67
	v_mul_f32_e32 v67, v77, v122
	v_fma_f32 v67, v76, v146, -v67
	v_add_f32_e32 v66, v66, v67
	v_mul_f32_e32 v67, v79, v124
	v_fma_f32 v67, v78, v147, -v67
	v_add_f32_e32 v66, v66, v67
	v_mul_f32_e32 v67, v81, v126
	v_fma_f32 v67, v80, v148, -v67
	v_add_f32_e32 v66, v66, v67
	v_mul_f32_e32 v67, v83, v134
	v_fma_f32 v67, v82, v149, -v67
	v_add_f32_e32 v66, v66, v67
	v_mul_f32_e32 v67, v85, v135
	v_fma_f32 v67, v84, v150, -v67
	v_add_f32_e32 v66, v66, v67
	v_mul_f32_e32 v67, v87, v136
	v_fma_f32 v67, v86, v151, -v67
	v_add_f32_e32 v66, v66, v67
	v_mul_f32_e32 v67, v89, v137
	v_fma_f32 v67, v88, v152, -v67
	v_add_f32_e32 v66, v66, v67
	v_mul_f32_e32 v67, v91, v138
	v_fma_f32 v67, v90, v153, -v67
	v_add_f32_e32 v66, v66, v67
	v_mul_f32_e32 v67, v93, v139
	v_fma_f32 v67, v92, v154, -v67
	v_add_f32_e32 v66, v66, v67
	v_mul_f32_e32 v67, v95, v140
	v_fma_f32 v67, v94, v155, -v67
	v_add_f32_e32 v66, v66, v67
	v_mul_f32_e32 v67, v97, v141
	v_fma_f32 v67, v96, v156, -v67
	v_add_f32_e32 v66, v66, v67
	v_mul_f32_e32 v67, v99, v142
	v_fma_f32 v67, v98, v157, -v67
	v_add_f32_e32 v66, v66, v67
	v_mul_f32_e32 v67, v101, v158
	v_fma_f32 v67, v100, v159, -v67
	s_waitcnt vmcnt(15)
	v_mov_b32_e32 v80, v113
	s_waitcnt lgkmcnt(1)
	v_mul_f32_e32 v125, v102, v160
	v_add_f32_e32 v122, v66, v67
	v_mul_f32_e32 v66, v103, v160
	s_waitcnt lgkmcnt(0)
	v_pk_mul_f32 v[80:81], v[106:107], v[80:81] op_sel_hi:[1,0]
	v_fmac_f32_e32 v125, v103, v161
	v_mul_f32_e32 v127, v104, v162
	v_fma_f32 v124, v102, v161, -v66
	v_mul_f32_e32 v66, v105, v162
	s_waitcnt vmcnt(14)
	v_pk_fma_f32 v[82:83], v[106:107], v[112:113], v[80:81] op_sel:[0,0,1] op_sel_hi:[1,1,0] neg_lo:[0,0,1] neg_hi:[0,0,1]
	v_pk_fma_f32 v[80:81], v[106:107], v[112:113], v[80:81] op_sel:[0,0,1] op_sel_hi:[1,0,0]
	v_fmac_f32_e32 v127, v105, v163
	v_fma_f32 v126, v104, v163, -v66
	v_pk_add_f32 v[78:79], v[122:123], v[124:125]
	ds_read_b128 v[70:73], v68 offset:464
	ds_read_b128 v[74:77], v68 offset:480
	;; [unrolled: 1-line block ×3, first 2 shown]
	v_pk_add_f32 v[78:79], v[78:79], v[126:127]
	v_mov_b32_e32 v83, v81
	v_pk_add_f32 v[78:79], v[78:79], v[82:83]
	s_waitcnt vmcnt(7)
	v_mov_b32_e32 v80, v121
	v_pk_mul_f32 v[80:81], v[108:109], v[80:81] op_sel_hi:[1,0]
	s_waitcnt vmcnt(6)
	v_pk_fma_f32 v[82:83], v[108:109], v[120:121], v[80:81] op_sel:[0,0,1] op_sel_hi:[1,1,0] neg_lo:[0,0,1] neg_hi:[0,0,1]
	v_pk_fma_f32 v[80:81], v[108:109], v[120:121], v[80:81] op_sel:[0,0,1] op_sel_hi:[1,0,0]
	v_mov_b32_e32 v80, v119
	v_mov_b32_e32 v83, v81
	s_waitcnt lgkmcnt(2)
	v_pk_mul_f32 v[80:81], v[70:71], v[80:81] op_sel_hi:[1,0]
	v_pk_add_f32 v[78:79], v[78:79], v[82:83]
	v_pk_fma_f32 v[82:83], v[70:71], v[118:119], v[80:81] op_sel:[0,0,1] op_sel_hi:[1,1,0] neg_lo:[0,0,1] neg_hi:[0,0,1]
	v_pk_fma_f32 v[70:71], v[70:71], v[118:119], v[80:81] op_sel:[0,0,1] op_sel_hi:[1,0,0]
	v_mov_b32_e32 v83, v71
	v_pk_add_f32 v[70:71], v[78:79], v[82:83]
	v_mov_b32_e32 v78, v117
	v_pk_mul_f32 v[78:79], v[72:73], v[78:79] op_sel_hi:[1,0]
	v_pk_fma_f32 v[80:81], v[72:73], v[116:117], v[78:79] op_sel:[0,0,1] op_sel_hi:[1,1,0] neg_lo:[0,0,1] neg_hi:[0,0,1]
	v_pk_fma_f32 v[72:73], v[72:73], v[116:117], v[78:79] op_sel:[0,0,1] op_sel_hi:[1,0,0]
	v_mov_b32_e32 v72, v115
	v_mov_b32_e32 v81, v73
	s_waitcnt lgkmcnt(1)
	v_pk_mul_f32 v[72:73], v[74:75], v[72:73] op_sel_hi:[1,0]
	v_pk_fma_f32 v[78:79], v[74:75], v[114:115], v[72:73] op_sel:[0,0,1] op_sel_hi:[1,1,0] neg_lo:[0,0,1] neg_hi:[0,0,1]
	v_pk_fma_f32 v[72:73], v[74:75], v[114:115], v[72:73] op_sel:[0,0,1] op_sel_hi:[1,0,0]
	s_waitcnt vmcnt(1)
	v_mov_b32_e32 v72, v133
	v_mov_b32_e32 v79, v73
	v_pk_mul_f32 v[72:73], v[76:77], v[72:73] op_sel_hi:[1,0]
	s_waitcnt vmcnt(0)
	v_pk_fma_f32 v[74:75], v[76:77], v[132:133], v[72:73] op_sel:[0,0,1] op_sel_hi:[1,1,0] neg_lo:[0,0,1] neg_hi:[0,0,1]
	v_pk_fma_f32 v[72:73], v[76:77], v[132:133], v[72:73] op_sel:[0,0,1] op_sel_hi:[1,0,0]
	v_pk_add_f32 v[70:71], v[70:71], v[80:81]
	v_mov_b32_e32 v72, v131
	v_pk_add_f32 v[70:71], v[70:71], v[78:79]
	v_mov_b32_e32 v75, v73
	s_waitcnt lgkmcnt(0)
	v_pk_mul_f32 v[72:73], v[66:67], v[72:73] op_sel_hi:[1,0]
	v_pk_add_f32 v[70:71], v[70:71], v[74:75]
	v_pk_fma_f32 v[74:75], v[66:67], v[130:131], v[72:73] op_sel:[0,0,1] op_sel_hi:[1,1,0] neg_lo:[0,0,1] neg_hi:[0,0,1]
	v_pk_fma_f32 v[66:67], v[66:67], v[130:131], v[72:73] op_sel:[0,0,1] op_sel_hi:[1,0,0]
	v_mov_b32_e32 v75, v67
	v_pk_add_f32 v[66:67], v[70:71], v[74:75]
	v_mov_b32_e32 v70, v129
	v_pk_mul_f32 v[70:71], v[68:69], v[70:71] op_sel_hi:[1,0]
	v_pk_fma_f32 v[72:73], v[68:69], v[128:129], v[70:71] op_sel:[0,0,1] op_sel_hi:[1,1,0] neg_lo:[0,0,1] neg_hi:[0,0,1]
	v_pk_fma_f32 v[68:69], v[68:69], v[128:129], v[70:71] op_sel:[0,0,1] op_sel_hi:[1,0,0]
	v_mov_b32_e32 v73, v69
	v_pk_add_f32 v[66:67], v[66:67], v[72:73]
	v_pk_add_f32 v[66:67], v[110:111], v[66:67] neg_lo:[0,1] neg_hi:[0,1]
	buffer_store_dword v67, off, s[0:3], 0 offset:44
	buffer_store_dword v66, off, s[0:3], 0 offset:40
	s_and_saveexec_b64 s[4:5], vcc
	s_cbranch_execz .LBB95_197
; %bb.196:
	buffer_load_dword v66, off, s[0:3], 0 offset:32
	buffer_load_dword v67, off, s[0:3], 0 offset:36
	v_mov_b32_e32 v68, 0
	buffer_store_dword v68, off, s[0:3], 0 offset:32
	buffer_store_dword v68, off, s[0:3], 0 offset:36
	s_waitcnt vmcnt(2)
	ds_write_b64 v1, v[66:67]
.LBB95_197:
	s_or_b64 exec, exec, s[4:5]
	s_waitcnt lgkmcnt(0)
	; wave barrier
	s_waitcnt lgkmcnt(0)
	buffer_load_dword v69, off, s[0:3], 0 offset:44
	buffer_load_dword v118, off, s[0:3], 0 offset:52
	;; [unrolled: 1-line block ×40, first 2 shown]
	v_mov_b32_e32 v68, 0
	ds_read2_b64 v[70:73], v68 offset0:37 offset1:38
	ds_read2_b64 v[74:77], v68 offset0:39 offset1:40
	;; [unrolled: 1-line block ×8, first 2 shown]
	v_cmp_lt_u32_e32 vcc, 3, v0
	s_waitcnt vmcnt(39) lgkmcnt(7)
	v_mul_f32_e32 v102, v70, v69
	s_waitcnt vmcnt(38)
	v_mul_f32_e32 v103, v72, v118
	s_waitcnt vmcnt(37) lgkmcnt(6)
	v_mul_f32_e32 v104, v74, v120
	s_waitcnt vmcnt(36)
	v_mul_f32_e32 v105, v76, v122
	;; [unrolled: 4-line block ×8, first 2 shown]
	s_waitcnt vmcnt(23)
	v_fmac_f32_e32 v102, v71, v144
	s_waitcnt vmcnt(22)
	v_fmac_f32_e32 v103, v73, v145
	v_add_f32_e32 v102, 0, v102
	s_waitcnt vmcnt(21)
	v_fmac_f32_e32 v104, v75, v146
	v_add_f32_e32 v102, v102, v103
	;; [unrolled: 3-line block ×14, first 2 shown]
	v_add_f32_e32 v102, v102, v116
	s_waitcnt vmcnt(8)
	v_fmac_f32_e32 v117, v101, v159
	v_add_f32_e32 v119, v102, v117
	ds_read2_b64 v[102:105], v68 offset0:53 offset1:54
	buffer_load_dword v111, off, s[0:3], 0 offset:196
	buffer_load_dword v113, off, s[0:3], 0 offset:220
	;; [unrolled: 1-line block ×8, first 2 shown]
	ds_read2_b64 v[106:109], v68 offset0:55 offset1:56
	buffer_load_dword v125, off, s[0:3], 0 offset:252
	buffer_load_dword v124, off, s[0:3], 0 offset:248
	;; [unrolled: 1-line block ×8, first 2 shown]
	v_mul_f32_e32 v69, v71, v69
	v_fma_f32 v69, v70, v144, -v69
	v_mul_f32_e32 v70, v73, v118
	v_add_f32_e32 v69, 0, v69
	v_fma_f32 v70, v72, v145, -v70
	v_add_f32_e32 v69, v69, v70
	v_mul_f32_e32 v70, v75, v120
	v_fma_f32 v70, v74, v146, -v70
	v_add_f32_e32 v69, v69, v70
	v_mul_f32_e32 v70, v77, v122
	v_fma_f32 v70, v76, v147, -v70
	v_add_f32_e32 v69, v69, v70
	v_mul_f32_e32 v70, v79, v132
	v_fma_f32 v70, v78, v148, -v70
	v_add_f32_e32 v69, v69, v70
	v_mul_f32_e32 v70, v81, v133
	v_fma_f32 v70, v80, v149, -v70
	v_add_f32_e32 v69, v69, v70
	v_mul_f32_e32 v70, v83, v134
	v_fma_f32 v70, v82, v150, -v70
	v_add_f32_e32 v69, v69, v70
	v_mul_f32_e32 v70, v85, v135
	v_fma_f32 v70, v84, v151, -v70
	v_add_f32_e32 v69, v69, v70
	v_mul_f32_e32 v70, v87, v136
	v_fma_f32 v70, v86, v152, -v70
	v_add_f32_e32 v69, v69, v70
	v_mul_f32_e32 v70, v89, v137
	v_fma_f32 v70, v88, v153, -v70
	v_add_f32_e32 v69, v69, v70
	v_mul_f32_e32 v70, v91, v138
	v_fma_f32 v70, v90, v154, -v70
	v_add_f32_e32 v69, v69, v70
	v_mul_f32_e32 v70, v93, v139
	v_fma_f32 v70, v92, v155, -v70
	v_add_f32_e32 v69, v69, v70
	v_mul_f32_e32 v70, v95, v140
	v_fma_f32 v70, v94, v156, -v70
	v_add_f32_e32 v69, v69, v70
	v_mul_f32_e32 v70, v97, v141
	v_fma_f32 v70, v96, v157, -v70
	v_add_f32_e32 v69, v69, v70
	v_mul_f32_e32 v70, v99, v142
	v_fma_f32 v70, v98, v158, -v70
	v_add_f32_e32 v69, v69, v70
	v_mul_f32_e32 v70, v101, v143
	v_fma_f32 v70, v100, v159, -v70
	s_waitcnt vmcnt(23) lgkmcnt(1)
	v_mul_f32_e32 v121, v102, v160
	v_add_f32_e32 v69, v69, v70
	v_mul_f32_e32 v70, v103, v160
	s_waitcnt vmcnt(22)
	v_fmac_f32_e32 v121, v103, v161
	v_fma_f32 v70, v102, v161, -v70
	v_add_f32_e32 v119, v119, v121
	s_waitcnt vmcnt(21)
	v_mul_f32_e32 v121, v104, v162
	v_add_f32_e32 v118, v69, v70
	v_mul_f32_e32 v69, v105, v162
	s_waitcnt vmcnt(20)
	v_fmac_f32_e32 v121, v105, v163
	s_waitcnt vmcnt(19) lgkmcnt(0)
	v_mul_f32_e32 v123, v106, v164
	v_fma_f32 v120, v104, v163, -v69
	v_mul_f32_e32 v69, v107, v164
	ds_read2_b64 v[70:73], v68 offset0:57 offset1:58
	ds_read2_b64 v[74:77], v68 offset0:59 offset1:60
	;; [unrolled: 1-line block ×3, first 2 shown]
	ds_read_b64 v[82:83], v68 offset:504
	s_waitcnt vmcnt(18)
	v_fmac_f32_e32 v123, v107, v165
	v_fma_f32 v122, v106, v165, -v69
	v_pk_add_f32 v[84:85], v[118:119], v[120:121]
	v_pk_add_f32 v[84:85], v[84:85], v[122:123]
	s_waitcnt vmcnt(15)
	v_mov_b32_e32 v86, v111
	v_pk_mul_f32 v[86:87], v[108:109], v[86:87] op_sel_hi:[1,0]
	s_waitcnt vmcnt(8)
	v_pk_fma_f32 v[88:89], v[108:109], v[110:111], v[86:87] op_sel:[0,0,1] op_sel_hi:[1,1,0] neg_lo:[0,0,1] neg_hi:[0,0,1]
	v_pk_fma_f32 v[86:87], v[108:109], v[110:111], v[86:87] op_sel:[0,0,1] op_sel_hi:[1,0,0]
	v_mov_b32_e32 v86, v117
	v_mov_b32_e32 v89, v87
	s_waitcnt lgkmcnt(3)
	v_pk_mul_f32 v[86:87], v[70:71], v[86:87] op_sel_hi:[1,0]
	v_pk_add_f32 v[84:85], v[84:85], v[88:89]
	v_pk_fma_f32 v[88:89], v[70:71], v[116:117], v[86:87] op_sel:[0,0,1] op_sel_hi:[1,1,0] neg_lo:[0,0,1] neg_hi:[0,0,1]
	v_pk_fma_f32 v[70:71], v[70:71], v[116:117], v[86:87] op_sel:[0,0,1] op_sel_hi:[1,0,0]
	v_mov_b32_e32 v89, v71
	v_pk_add_f32 v[70:71], v[84:85], v[88:89]
	v_mov_b32_e32 v84, v115
	v_pk_mul_f32 v[84:85], v[72:73], v[84:85] op_sel_hi:[1,0]
	v_pk_fma_f32 v[86:87], v[72:73], v[114:115], v[84:85] op_sel:[0,0,1] op_sel_hi:[1,1,0] neg_lo:[0,0,1] neg_hi:[0,0,1]
	v_pk_fma_f32 v[72:73], v[72:73], v[114:115], v[84:85] op_sel:[0,0,1] op_sel_hi:[1,0,0]
	v_mov_b32_e32 v72, v113
	v_mov_b32_e32 v87, v73
	s_waitcnt lgkmcnt(2)
	v_pk_mul_f32 v[72:73], v[74:75], v[72:73] op_sel_hi:[1,0]
	v_pk_fma_f32 v[84:85], v[74:75], v[112:113], v[72:73] op_sel:[0,0,1] op_sel_hi:[1,1,0] neg_lo:[0,0,1] neg_hi:[0,0,1]
	v_pk_fma_f32 v[72:73], v[74:75], v[112:113], v[72:73] op_sel:[0,0,1] op_sel_hi:[1,0,0]
	s_waitcnt vmcnt(1)
	v_mov_b32_e32 v72, v131
	v_mov_b32_e32 v85, v73
	v_pk_mul_f32 v[72:73], v[76:77], v[72:73] op_sel_hi:[1,0]
	s_waitcnt vmcnt(0)
	v_pk_fma_f32 v[74:75], v[76:77], v[130:131], v[72:73] op_sel:[0,0,1] op_sel_hi:[1,1,0] neg_lo:[0,0,1] neg_hi:[0,0,1]
	v_pk_fma_f32 v[72:73], v[76:77], v[130:131], v[72:73] op_sel:[0,0,1] op_sel_hi:[1,0,0]
	v_pk_add_f32 v[70:71], v[70:71], v[86:87]
	v_mov_b32_e32 v72, v129
	v_pk_add_f32 v[70:71], v[70:71], v[84:85]
	v_mov_b32_e32 v75, v73
	s_waitcnt lgkmcnt(1)
	v_pk_mul_f32 v[72:73], v[78:79], v[72:73] op_sel_hi:[1,0]
	v_pk_add_f32 v[70:71], v[70:71], v[74:75]
	v_pk_fma_f32 v[74:75], v[78:79], v[128:129], v[72:73] op_sel:[0,0,1] op_sel_hi:[1,1,0] neg_lo:[0,0,1] neg_hi:[0,0,1]
	v_pk_fma_f32 v[72:73], v[78:79], v[128:129], v[72:73] op_sel:[0,0,1] op_sel_hi:[1,0,0]
	v_mov_b32_e32 v72, v127
	v_mov_b32_e32 v75, v73
	v_pk_mul_f32 v[72:73], v[80:81], v[72:73] op_sel_hi:[1,0]
	v_pk_add_f32 v[70:71], v[70:71], v[74:75]
	v_pk_fma_f32 v[74:75], v[80:81], v[126:127], v[72:73] op_sel:[0,0,1] op_sel_hi:[1,1,0] neg_lo:[0,0,1] neg_hi:[0,0,1]
	v_pk_fma_f32 v[72:73], v[80:81], v[126:127], v[72:73] op_sel:[0,0,1] op_sel_hi:[1,0,0]
	v_mov_b32_e32 v72, v125
	v_mov_b32_e32 v75, v73
	s_waitcnt lgkmcnt(0)
	v_pk_mul_f32 v[72:73], v[82:83], v[72:73] op_sel_hi:[1,0]
	v_pk_add_f32 v[70:71], v[70:71], v[74:75]
	v_pk_fma_f32 v[74:75], v[82:83], v[124:125], v[72:73] op_sel:[0,0,1] op_sel_hi:[1,1,0] neg_lo:[0,0,1] neg_hi:[0,0,1]
	v_pk_fma_f32 v[72:73], v[82:83], v[124:125], v[72:73] op_sel:[0,0,1] op_sel_hi:[1,0,0]
	v_mov_b32_e32 v75, v73
	v_pk_add_f32 v[70:71], v[70:71], v[74:75]
	v_pk_add_f32 v[66:67], v[66:67], v[70:71] neg_lo:[0,1] neg_hi:[0,1]
	buffer_store_dword v67, off, s[0:3], 0 offset:36
	buffer_store_dword v66, off, s[0:3], 0 offset:32
	s_and_saveexec_b64 s[4:5], vcc
	s_cbranch_execz .LBB95_199
; %bb.198:
	buffer_load_dword v66, off, s[0:3], 0 offset:24
	buffer_load_dword v67, off, s[0:3], 0 offset:28
	s_waitcnt vmcnt(0)
	ds_write_b64 v1, v[66:67]
	buffer_store_dword v68, off, s[0:3], 0 offset:24
	buffer_store_dword v68, off, s[0:3], 0 offset:28
.LBB95_199:
	s_or_b64 exec, exec, s[4:5]
	s_waitcnt lgkmcnt(0)
	; wave barrier
	s_waitcnt lgkmcnt(0)
	buffer_load_dword v69, off, s[0:3], 0 offset:36
	buffer_load_dword v110, off, s[0:3], 0 offset:44
	;; [unrolled: 1-line block ×42, first 2 shown]
	ds_read_b128 v[70:73], v68 offset:288
	ds_read_b128 v[74:77], v68 offset:304
	;; [unrolled: 1-line block ×8, first 2 shown]
	v_cmp_lt_u32_e32 vcc, 2, v0
	s_waitcnt vmcnt(41) lgkmcnt(7)
	v_mul_f32_e32 v102, v70, v69
	s_waitcnt vmcnt(40)
	v_mul_f32_e32 v103, v72, v110
	s_waitcnt vmcnt(39) lgkmcnt(6)
	v_mul_f32_e32 v104, v74, v112
	s_waitcnt vmcnt(38)
	v_mul_f32_e32 v105, v76, v120
	s_waitcnt vmcnt(37) lgkmcnt(5)
	v_mul_f32_e32 v106, v78, v132
	s_waitcnt vmcnt(36)
	v_mul_f32_e32 v107, v80, v133
	s_waitcnt vmcnt(35) lgkmcnt(4)
	v_mul_f32_e32 v108, v82, v134
	s_waitcnt vmcnt(34)
	v_mul_f32_e32 v109, v84, v135
	s_waitcnt vmcnt(33) lgkmcnt(3)
	v_mul_f32_e32 v111, v86, v136
	s_waitcnt vmcnt(32)
	v_mul_f32_e32 v113, v88, v137
	s_waitcnt vmcnt(31) lgkmcnt(2)
	v_mul_f32_e32 v114, v90, v138
	s_waitcnt vmcnt(30)
	v_mul_f32_e32 v115, v92, v139
	s_waitcnt vmcnt(29) lgkmcnt(1)
	v_mul_f32_e32 v116, v94, v140
	s_waitcnt vmcnt(28)
	v_mul_f32_e32 v117, v96, v141
	s_waitcnt vmcnt(27) lgkmcnt(0)
	v_mul_f32_e32 v118, v98, v142
	s_waitcnt vmcnt(26)
	v_fmac_f32_e32 v102, v71, v143
	s_waitcnt vmcnt(25)
	v_fmac_f32_e32 v103, v73, v144
	v_add_f32_e32 v102, 0, v102
	s_waitcnt vmcnt(24)
	v_fmac_f32_e32 v104, v75, v145
	v_add_f32_e32 v102, v102, v103
	;; [unrolled: 3-line block ×14, first 2 shown]
	s_waitcnt vmcnt(11)
	v_mul_f32_e32 v107, v100, v158
	v_add_f32_e32 v106, v102, v118
	s_waitcnt vmcnt(10)
	v_fmac_f32_e32 v107, v101, v159
	ds_read_b128 v[102:105], v68 offset:416
	v_add_f32_e32 v111, v106, v107
	ds_read_b128 v[106:109], v68 offset:432
	buffer_load_dword v115, off, s[0:3], 0 offset:196
	buffer_load_dword v117, off, s[0:3], 0 offset:212
	;; [unrolled: 1-line block ×16, first 2 shown]
	v_mul_f32_e32 v69, v71, v69
	v_fma_f32 v69, v70, v143, -v69
	v_mul_f32_e32 v70, v73, v110
	v_add_f32_e32 v69, 0, v69
	v_fma_f32 v70, v72, v144, -v70
	v_add_f32_e32 v69, v69, v70
	v_mul_f32_e32 v70, v75, v112
	v_fma_f32 v70, v74, v145, -v70
	v_add_f32_e32 v69, v69, v70
	v_mul_f32_e32 v70, v77, v120
	;; [unrolled: 3-line block ×14, first 2 shown]
	v_fma_f32 v70, v100, v159, -v70
	v_add_f32_e32 v69, v69, v70
	s_waitcnt vmcnt(25) lgkmcnt(1)
	v_mul_f32_e32 v70, v103, v160
	s_waitcnt vmcnt(24)
	v_fma_f32 v70, v102, v161, -v70
	v_add_f32_e32 v69, v69, v70
	s_waitcnt vmcnt(23)
	v_mul_f32_e32 v70, v105, v162
	s_waitcnt vmcnt(22)
	v_fma_f32 v70, v104, v163, -v70
	v_add_f32_e32 v110, v69, v70
	ds_read_b128 v[70:73], v68 offset:448
	ds_read_b128 v[74:77], v68 offset:464
	;; [unrolled: 1-line block ×4, first 2 shown]
	v_mul_f32_e32 v113, v102, v160
	v_fmac_f32_e32 v113, v103, v161
	v_add_f32_e32 v111, v111, v113
	v_mul_f32_e32 v113, v104, v162
	v_fmac_f32_e32 v113, v105, v163
	v_add_f32_e32 v111, v111, v113
	s_waitcnt vmcnt(21) lgkmcnt(4)
	v_mul_f32_e32 v113, v106, v164
	v_mul_f32_e32 v69, v107, v164
	s_waitcnt vmcnt(20)
	v_fmac_f32_e32 v113, v107, v165
	s_waitcnt vmcnt(19)
	v_mul_f32_e32 v121, v108, v166
	v_fma_f32 v112, v106, v165, -v69
	v_mul_f32_e32 v69, v109, v166
	s_waitcnt vmcnt(18)
	v_fmac_f32_e32 v121, v109, v167
	v_fma_f32 v120, v108, v167, -v69
	v_pk_add_f32 v[68:69], v[110:111], v[112:113]
	v_pk_add_f32 v[68:69], v[68:69], v[120:121]
	s_waitcnt vmcnt(15)
	v_mov_b32_e32 v86, v115
	s_waitcnt lgkmcnt(3)
	v_pk_mul_f32 v[86:87], v[70:71], v[86:87] op_sel_hi:[1,0]
	s_waitcnt vmcnt(10)
	v_pk_fma_f32 v[88:89], v[70:71], v[114:115], v[86:87] op_sel:[0,0,1] op_sel_hi:[1,1,0] neg_lo:[0,0,1] neg_hi:[0,0,1]
	v_pk_fma_f32 v[70:71], v[70:71], v[114:115], v[86:87] op_sel:[0,0,1] op_sel_hi:[1,0,0]
	v_mov_b32_e32 v70, v119
	v_mov_b32_e32 v89, v71
	v_pk_mul_f32 v[70:71], v[72:73], v[70:71] op_sel_hi:[1,0]
	v_pk_fma_f32 v[86:87], v[72:73], v[118:119], v[70:71] op_sel:[0,0,1] op_sel_hi:[1,1,0] neg_lo:[0,0,1] neg_hi:[0,0,1]
	v_pk_fma_f32 v[70:71], v[72:73], v[118:119], v[70:71] op_sel:[0,0,1] op_sel_hi:[1,0,0]
	v_mov_b32_e32 v70, v117
	v_mov_b32_e32 v87, v71
	s_waitcnt lgkmcnt(2)
	v_pk_mul_f32 v[70:71], v[74:75], v[70:71] op_sel_hi:[1,0]
	v_pk_fma_f32 v[72:73], v[74:75], v[116:117], v[70:71] op_sel:[0,0,1] op_sel_hi:[1,1,0] neg_lo:[0,0,1] neg_hi:[0,0,1]
	v_pk_fma_f32 v[70:71], v[74:75], v[116:117], v[70:71] op_sel:[0,0,1] op_sel_hi:[1,0,0]
	v_pk_add_f32 v[68:69], v[68:69], v[88:89]
	s_waitcnt vmcnt(3)
	v_mov_b32_e32 v70, v129
	v_pk_add_f32 v[68:69], v[68:69], v[86:87]
	v_mov_b32_e32 v73, v71
	v_pk_mul_f32 v[70:71], v[76:77], v[70:71] op_sel_hi:[1,0]
	v_pk_add_f32 v[68:69], v[68:69], v[72:73]
	s_waitcnt vmcnt(2)
	v_pk_fma_f32 v[72:73], v[76:77], v[128:129], v[70:71] op_sel:[0,0,1] op_sel_hi:[1,1,0] neg_lo:[0,0,1] neg_hi:[0,0,1]
	v_pk_fma_f32 v[70:71], v[76:77], v[128:129], v[70:71] op_sel:[0,0,1] op_sel_hi:[1,0,0]
	v_mov_b32_e32 v70, v127
	v_mov_b32_e32 v73, v71
	s_waitcnt lgkmcnt(1)
	v_pk_mul_f32 v[70:71], v[78:79], v[70:71] op_sel_hi:[1,0]
	v_pk_add_f32 v[68:69], v[68:69], v[72:73]
	v_pk_fma_f32 v[72:73], v[78:79], v[126:127], v[70:71] op_sel:[0,0,1] op_sel_hi:[1,1,0] neg_lo:[0,0,1] neg_hi:[0,0,1]
	v_pk_fma_f32 v[70:71], v[78:79], v[126:127], v[70:71] op_sel:[0,0,1] op_sel_hi:[1,0,0]
	v_mov_b32_e32 v70, v125
	v_mov_b32_e32 v73, v71
	v_pk_mul_f32 v[70:71], v[80:81], v[70:71] op_sel_hi:[1,0]
	v_pk_add_f32 v[68:69], v[68:69], v[72:73]
	v_pk_fma_f32 v[72:73], v[80:81], v[124:125], v[70:71] op_sel:[0,0,1] op_sel_hi:[1,1,0] neg_lo:[0,0,1] neg_hi:[0,0,1]
	v_pk_fma_f32 v[70:71], v[80:81], v[124:125], v[70:71] op_sel:[0,0,1] op_sel_hi:[1,0,0]
	v_mov_b32_e32 v70, v123
	v_mov_b32_e32 v73, v71
	s_waitcnt lgkmcnt(0)
	v_pk_mul_f32 v[70:71], v[82:83], v[70:71] op_sel_hi:[1,0]
	v_pk_add_f32 v[68:69], v[68:69], v[72:73]
	v_pk_fma_f32 v[72:73], v[82:83], v[122:123], v[70:71] op_sel:[0,0,1] op_sel_hi:[1,1,0] neg_lo:[0,0,1] neg_hi:[0,0,1]
	v_pk_fma_f32 v[70:71], v[82:83], v[122:123], v[70:71] op_sel:[0,0,1] op_sel_hi:[1,0,0]
	s_waitcnt vmcnt(1)
	v_mov_b32_e32 v70, v131
	v_mov_b32_e32 v73, v71
	v_pk_mul_f32 v[70:71], v[84:85], v[70:71] op_sel_hi:[1,0]
	v_pk_add_f32 v[68:69], v[68:69], v[72:73]
	s_waitcnt vmcnt(0)
	v_pk_fma_f32 v[72:73], v[84:85], v[130:131], v[70:71] op_sel:[0,0,1] op_sel_hi:[1,1,0] neg_lo:[0,0,1] neg_hi:[0,0,1]
	v_pk_fma_f32 v[70:71], v[84:85], v[130:131], v[70:71] op_sel:[0,0,1] op_sel_hi:[1,0,0]
	v_mov_b32_e32 v73, v71
	v_pk_add_f32 v[68:69], v[68:69], v[72:73]
	v_pk_add_f32 v[66:67], v[66:67], v[68:69] neg_lo:[0,1] neg_hi:[0,1]
	buffer_store_dword v67, off, s[0:3], 0 offset:28
	buffer_store_dword v66, off, s[0:3], 0 offset:24
	s_and_saveexec_b64 s[4:5], vcc
	s_cbranch_execz .LBB95_201
; %bb.200:
	buffer_load_dword v66, off, s[0:3], 0 offset:16
	buffer_load_dword v67, off, s[0:3], 0 offset:20
	v_mov_b32_e32 v68, 0
	buffer_store_dword v68, off, s[0:3], 0 offset:16
	buffer_store_dword v68, off, s[0:3], 0 offset:20
	s_waitcnt vmcnt(2)
	ds_write_b64 v1, v[66:67]
.LBB95_201:
	s_or_b64 exec, exec, s[4:5]
	s_waitcnt lgkmcnt(0)
	; wave barrier
	s_waitcnt lgkmcnt(0)
	buffer_load_dword v69, off, s[0:3], 0 offset:28
	buffer_load_dword v118, off, s[0:3], 0 offset:36
	;; [unrolled: 1-line block ×44, first 2 shown]
	v_mov_b32_e32 v68, 0
	ds_read2_b64 v[70:73], v68 offset0:35 offset1:36
	ds_read2_b64 v[74:77], v68 offset0:37 offset1:38
	;; [unrolled: 1-line block ×8, first 2 shown]
	v_cmp_lt_u32_e32 vcc, 1, v0
	s_waitcnt vmcnt(43) lgkmcnt(7)
	v_mul_f32_e32 v102, v70, v69
	s_waitcnt vmcnt(42)
	v_mul_f32_e32 v103, v72, v118
	s_waitcnt vmcnt(41) lgkmcnt(6)
	v_mul_f32_e32 v104, v74, v124
	s_waitcnt vmcnt(40)
	v_mul_f32_e32 v105, v76, v126
	;; [unrolled: 4-line block ×7, first 2 shown]
	s_waitcnt vmcnt(29)
	v_fmac_f32_e32 v102, v71, v150
	s_waitcnt vmcnt(28)
	v_fmac_f32_e32 v103, v73, v151
	v_add_f32_e32 v102, 0, v102
	s_waitcnt vmcnt(27)
	v_fmac_f32_e32 v104, v75, v152
	v_add_f32_e32 v102, v102, v103
	;; [unrolled: 3-line block ×12, first 2 shown]
	v_add_f32_e32 v102, v102, v114
	s_waitcnt vmcnt(16)
	v_fmac_f32_e32 v115, v97, v163
	s_waitcnt vmcnt(15) lgkmcnt(0)
	v_mul_f32_e32 v103, v98, v164
	v_add_f32_e32 v102, v102, v115
	s_waitcnt vmcnt(14)
	v_fmac_f32_e32 v103, v99, v165
	v_add_f32_e32 v106, v102, v103
	ds_read2_b64 v[102:105], v68 offset0:51 offset1:52
	s_waitcnt vmcnt(13)
	v_mul_f32_e32 v107, v100, v166
	s_waitcnt vmcnt(12)
	v_fmac_f32_e32 v107, v101, v167
	v_add_f32_e32 v110, v106, v107
	ds_read2_b64 v[106:109], v68 offset0:53 offset1:54
	s_waitcnt vmcnt(11) lgkmcnt(1)
	v_mul_f32_e32 v111, v102, v168
	s_waitcnt vmcnt(10)
	v_fmac_f32_e32 v111, v103, v169
	v_add_f32_e32 v110, v110, v111
	s_waitcnt vmcnt(9)
	v_mul_f32_e32 v111, v104, v170
	s_waitcnt vmcnt(8)
	v_fmac_f32_e32 v111, v105, v171
	v_add_f32_e32 v110, v110, v111
	s_waitcnt vmcnt(7) lgkmcnt(0)
	v_mul_f32_e32 v111, v106, v172
	s_waitcnt vmcnt(6)
	v_fmac_f32_e32 v111, v107, v173
	v_add_f32_e32 v119, v110, v111
	ds_read2_b64 v[110:113], v68 offset0:55 offset1:56
	buffer_load_dword v121, off, s[0:3], 0 offset:204
	buffer_load_dword v120, off, s[0:3], 0 offset:200
	buffer_load_dword v123, off, s[0:3], 0 offset:196
	buffer_load_dword v122, off, s[0:3], 0 offset:192
	ds_read2_b64 v[114:117], v68 offset0:57 offset1:58
	buffer_load_dword v129, off, s[0:3], 0 offset:236
	buffer_load_dword v128, off, s[0:3], 0 offset:232
	buffer_load_dword v131, off, s[0:3], 0 offset:228
	buffer_load_dword v130, off, s[0:3], 0 offset:224
	buffer_load_dword v133, off, s[0:3], 0 offset:220
	buffer_load_dword v132, off, s[0:3], 0 offset:216
	buffer_load_dword v135, off, s[0:3], 0 offset:212
	buffer_load_dword v134, off, s[0:3], 0 offset:208
	buffer_load_dword v137, off, s[0:3], 0 offset:252
	buffer_load_dword v136, off, s[0:3], 0 offset:248
	buffer_load_dword v139, off, s[0:3], 0 offset:244
	buffer_load_dword v138, off, s[0:3], 0 offset:240
	v_mul_f32_e32 v69, v71, v69
	v_fma_f32 v69, v70, v150, -v69
	v_mul_f32_e32 v70, v73, v118
	v_add_f32_e32 v69, 0, v69
	v_fma_f32 v70, v72, v151, -v70
	v_add_f32_e32 v69, v69, v70
	v_mul_f32_e32 v70, v75, v124
	v_fma_f32 v70, v74, v152, -v70
	v_add_f32_e32 v69, v69, v70
	v_mul_f32_e32 v70, v77, v126
	;; [unrolled: 3-line block ×17, first 2 shown]
	v_fma_f32 v70, v106, v173, -v70
	s_waitcnt vmcnt(21)
	v_mul_f32_e32 v125, v108, v174
	v_add_f32_e32 v118, v69, v70
	v_mul_f32_e32 v69, v109, v174
	s_waitcnt vmcnt(20)
	v_fmac_f32_e32 v125, v109, v175
	s_waitcnt vmcnt(19) lgkmcnt(1)
	v_mul_f32_e32 v127, v110, v176
	v_fma_f32 v124, v108, v175, -v69
	v_mul_f32_e32 v69, v111, v176
	s_waitcnt vmcnt(18)
	v_fmac_f32_e32 v127, v111, v177
	v_fma_f32 v126, v110, v177, -v69
	v_pk_add_f32 v[80:81], v[118:119], v[124:125]
	v_pk_add_f32 v[80:81], v[80:81], v[126:127]
	ds_read2_b64 v[70:73], v68 offset0:59 offset1:60
	ds_read2_b64 v[74:77], v68 offset0:61 offset1:62
	ds_read_b64 v[78:79], v68 offset:504
	s_waitcnt vmcnt(13)
	v_mov_b32_e32 v82, v123
	v_pk_mul_f32 v[82:83], v[112:113], v[82:83] op_sel_hi:[1,0]
	s_waitcnt vmcnt(12)
	v_pk_fma_f32 v[84:85], v[112:113], v[122:123], v[82:83] op_sel:[0,0,1] op_sel_hi:[1,1,0] neg_lo:[0,0,1] neg_hi:[0,0,1]
	v_pk_fma_f32 v[82:83], v[112:113], v[122:123], v[82:83] op_sel:[0,0,1] op_sel_hi:[1,0,0]
	v_mov_b32_e32 v82, v121
	v_mov_b32_e32 v85, v83
	s_waitcnt lgkmcnt(3)
	v_pk_mul_f32 v[82:83], v[114:115], v[82:83] op_sel_hi:[1,0]
	v_pk_add_f32 v[80:81], v[80:81], v[84:85]
	v_pk_fma_f32 v[84:85], v[114:115], v[120:121], v[82:83] op_sel:[0,0,1] op_sel_hi:[1,1,0] neg_lo:[0,0,1] neg_hi:[0,0,1]
	v_pk_fma_f32 v[82:83], v[114:115], v[120:121], v[82:83] op_sel:[0,0,1] op_sel_hi:[1,0,0]
	s_waitcnt vmcnt(5)
	v_mov_b32_e32 v82, v135
	v_mov_b32_e32 v85, v83
	v_pk_mul_f32 v[82:83], v[116:117], v[82:83] op_sel_hi:[1,0]
	v_pk_add_f32 v[80:81], v[80:81], v[84:85]
	s_waitcnt vmcnt(4)
	v_pk_fma_f32 v[84:85], v[116:117], v[134:135], v[82:83] op_sel:[0,0,1] op_sel_hi:[1,1,0] neg_lo:[0,0,1] neg_hi:[0,0,1]
	v_pk_fma_f32 v[82:83], v[116:117], v[134:135], v[82:83] op_sel:[0,0,1] op_sel_hi:[1,0,0]
	v_mov_b32_e32 v82, v133
	v_mov_b32_e32 v85, v83
	s_waitcnt lgkmcnt(2)
	v_pk_mul_f32 v[82:83], v[70:71], v[82:83] op_sel_hi:[1,0]
	v_pk_add_f32 v[80:81], v[80:81], v[84:85]
	v_pk_fma_f32 v[84:85], v[70:71], v[132:133], v[82:83] op_sel:[0,0,1] op_sel_hi:[1,1,0] neg_lo:[0,0,1] neg_hi:[0,0,1]
	v_pk_fma_f32 v[70:71], v[70:71], v[132:133], v[82:83] op_sel:[0,0,1] op_sel_hi:[1,0,0]
	v_mov_b32_e32 v85, v71
	v_pk_add_f32 v[70:71], v[80:81], v[84:85]
	v_mov_b32_e32 v80, v131
	v_pk_mul_f32 v[80:81], v[72:73], v[80:81] op_sel_hi:[1,0]
	v_pk_fma_f32 v[82:83], v[72:73], v[130:131], v[80:81] op_sel:[0,0,1] op_sel_hi:[1,1,0] neg_lo:[0,0,1] neg_hi:[0,0,1]
	v_pk_fma_f32 v[72:73], v[72:73], v[130:131], v[80:81] op_sel:[0,0,1] op_sel_hi:[1,0,0]
	v_mov_b32_e32 v72, v129
	v_mov_b32_e32 v83, v73
	s_waitcnt lgkmcnt(1)
	v_pk_mul_f32 v[72:73], v[74:75], v[72:73] op_sel_hi:[1,0]
	v_pk_fma_f32 v[80:81], v[74:75], v[128:129], v[72:73] op_sel:[0,0,1] op_sel_hi:[1,1,0] neg_lo:[0,0,1] neg_hi:[0,0,1]
	v_pk_fma_f32 v[72:73], v[74:75], v[128:129], v[72:73] op_sel:[0,0,1] op_sel_hi:[1,0,0]
	s_waitcnt vmcnt(1)
	v_mov_b32_e32 v72, v139
	v_mov_b32_e32 v81, v73
	v_pk_mul_f32 v[72:73], v[76:77], v[72:73] op_sel_hi:[1,0]
	s_waitcnt vmcnt(0)
	v_pk_fma_f32 v[74:75], v[76:77], v[138:139], v[72:73] op_sel:[0,0,1] op_sel_hi:[1,1,0] neg_lo:[0,0,1] neg_hi:[0,0,1]
	v_pk_fma_f32 v[72:73], v[76:77], v[138:139], v[72:73] op_sel:[0,0,1] op_sel_hi:[1,0,0]
	v_pk_add_f32 v[70:71], v[70:71], v[82:83]
	v_mov_b32_e32 v72, v137
	v_pk_add_f32 v[70:71], v[70:71], v[80:81]
	v_mov_b32_e32 v75, v73
	s_waitcnt lgkmcnt(0)
	v_pk_mul_f32 v[72:73], v[78:79], v[72:73] op_sel_hi:[1,0]
	v_pk_add_f32 v[70:71], v[70:71], v[74:75]
	v_pk_fma_f32 v[74:75], v[78:79], v[136:137], v[72:73] op_sel:[0,0,1] op_sel_hi:[1,1,0] neg_lo:[0,0,1] neg_hi:[0,0,1]
	v_pk_fma_f32 v[72:73], v[78:79], v[136:137], v[72:73] op_sel:[0,0,1] op_sel_hi:[1,0,0]
	v_mov_b32_e32 v75, v73
	v_pk_add_f32 v[70:71], v[70:71], v[74:75]
	v_pk_add_f32 v[66:67], v[66:67], v[70:71] neg_lo:[0,1] neg_hi:[0,1]
	buffer_store_dword v67, off, s[0:3], 0 offset:20
	buffer_store_dword v66, off, s[0:3], 0 offset:16
	s_and_saveexec_b64 s[4:5], vcc
	s_cbranch_execz .LBB95_203
; %bb.202:
	buffer_load_dword v66, off, s[0:3], 0 offset:8
	buffer_load_dword v67, off, s[0:3], 0 offset:12
	s_waitcnt vmcnt(0)
	ds_write_b64 v1, v[66:67]
	buffer_store_dword v68, off, s[0:3], 0 offset:8
	buffer_store_dword v68, off, s[0:3], 0 offset:12
.LBB95_203:
	s_or_b64 exec, exec, s[4:5]
	s_waitcnt lgkmcnt(0)
	; wave barrier
	s_waitcnt lgkmcnt(0)
	buffer_load_dword v69, off, s[0:3], 0 offset:20
	buffer_load_dword v120, off, s[0:3], 0 offset:28
	;; [unrolled: 1-line block ×46, first 2 shown]
	ds_read_b128 v[70:73], v68 offset:272
	ds_read_b128 v[74:77], v68 offset:288
	;; [unrolled: 1-line block ×8, first 2 shown]
	v_cmp_ne_u32_e32 vcc, 0, v0
	s_waitcnt vmcnt(45) lgkmcnt(7)
	v_mul_f32_e32 v102, v70, v69
	s_waitcnt vmcnt(44)
	v_mul_f32_e32 v103, v72, v120
	s_waitcnt vmcnt(43) lgkmcnt(6)
	v_mul_f32_e32 v104, v74, v122
	s_waitcnt vmcnt(42)
	v_mul_f32_e32 v105, v76, v124
	;; [unrolled: 4-line block ×6, first 2 shown]
	s_waitcnt vmcnt(33) lgkmcnt(1)
	v_mul_f32_e32 v114, v94, v148
	s_waitcnt vmcnt(32)
	v_fmac_f32_e32 v102, v71, v149
	s_waitcnt vmcnt(31)
	v_fmac_f32_e32 v103, v73, v150
	v_add_f32_e32 v102, 0, v102
	s_waitcnt vmcnt(30)
	v_fmac_f32_e32 v104, v75, v151
	v_add_f32_e32 v102, v102, v103
	;; [unrolled: 3-line block ×12, first 2 shown]
	s_waitcnt vmcnt(19)
	v_mul_f32_e32 v103, v96, v162
	v_add_f32_e32 v102, v102, v114
	s_waitcnt vmcnt(18)
	v_fmac_f32_e32 v103, v97, v163
	v_add_f32_e32 v102, v102, v103
	s_waitcnt vmcnt(17) lgkmcnt(0)
	v_mul_f32_e32 v103, v98, v164
	s_waitcnt vmcnt(16)
	v_fmac_f32_e32 v103, v99, v165
	v_add_f32_e32 v106, v102, v103
	ds_read_b128 v[102:105], v68 offset:400
	s_waitcnt vmcnt(15)
	v_mul_f32_e32 v107, v100, v166
	s_waitcnt vmcnt(14)
	v_fmac_f32_e32 v107, v101, v167
	v_add_f32_e32 v110, v106, v107
	ds_read_b128 v[106:109], v68 offset:416
	buffer_load_dword v119, off, s[0:3], 0 offset:196
	buffer_load_dword v118, off, s[0:3], 0 offset:192
	s_waitcnt vmcnt(15) lgkmcnt(1)
	v_mul_f32_e32 v111, v102, v168
	s_waitcnt vmcnt(14)
	v_fmac_f32_e32 v111, v103, v169
	v_add_f32_e32 v110, v110, v111
	s_waitcnt vmcnt(13)
	v_mul_f32_e32 v111, v104, v170
	s_waitcnt vmcnt(12)
	v_fmac_f32_e32 v111, v105, v171
	v_add_f32_e32 v110, v110, v111
	s_waitcnt vmcnt(11) lgkmcnt(0)
	v_mul_f32_e32 v111, v106, v172
	s_waitcnt vmcnt(10)
	v_fmac_f32_e32 v111, v107, v173
	s_waitcnt vmcnt(9)
	v_mul_f32_e32 v115, v108, v174
	v_add_f32_e32 v114, v110, v111
	s_waitcnt vmcnt(8)
	v_fmac_f32_e32 v115, v109, v175
	ds_read_b128 v[110:113], v68 offset:432
	v_add_f32_e32 v121, v114, v115
	ds_read_b128 v[114:117], v68 offset:448
	buffer_load_dword v127, off, s[0:3], 0 offset:228
	buffer_load_dword v126, off, s[0:3], 0 offset:224
	;; [unrolled: 1-line block ×14, first 2 shown]
	v_mul_f32_e32 v69, v71, v69
	v_fma_f32 v69, v70, v149, -v69
	v_mul_f32_e32 v70, v73, v120
	v_add_f32_e32 v69, 0, v69
	v_fma_f32 v70, v72, v150, -v70
	v_add_f32_e32 v69, v69, v70
	v_mul_f32_e32 v70, v75, v122
	v_fma_f32 v70, v74, v151, -v70
	v_add_f32_e32 v69, v69, v70
	v_mul_f32_e32 v70, v77, v124
	;; [unrolled: 3-line block ×18, first 2 shown]
	v_fma_f32 v70, v108, v175, -v70
	s_waitcnt vmcnt(21) lgkmcnt(1)
	v_mul_f32_e32 v123, v110, v176
	v_add_f32_e32 v120, v69, v70
	v_mul_f32_e32 v69, v111, v176
	s_waitcnt vmcnt(20)
	v_fmac_f32_e32 v123, v111, v177
	s_waitcnt vmcnt(15)
	v_mov_b32_e32 v82, v119
	s_waitcnt lgkmcnt(0)
	v_pk_mul_f32 v[82:83], v[114:115], v[82:83] op_sel_hi:[1,0]
	v_mul_f32_e32 v125, v112, v178
	v_fma_f32 v122, v110, v177, -v69
	v_mul_f32_e32 v69, v113, v178
	s_waitcnt vmcnt(14)
	v_pk_fma_f32 v[84:85], v[114:115], v[118:119], v[82:83] op_sel:[0,0,1] op_sel_hi:[1,1,0] neg_lo:[0,0,1] neg_hi:[0,0,1]
	v_pk_fma_f32 v[82:83], v[114:115], v[118:119], v[82:83] op_sel:[0,0,1] op_sel_hi:[1,0,0]
	v_fmac_f32_e32 v125, v113, v179
	v_fma_f32 v124, v112, v179, -v69
	ds_read_b128 v[70:73], v68 offset:464
	ds_read_b128 v[74:77], v68 offset:480
	;; [unrolled: 1-line block ×3, first 2 shown]
	v_pk_add_f32 v[68:69], v[120:121], v[122:123]
	s_waitcnt vmcnt(7)
	v_mov_b32_e32 v82, v133
	v_pk_add_f32 v[68:69], v[68:69], v[124:125]
	v_mov_b32_e32 v85, v83
	v_pk_mul_f32 v[82:83], v[116:117], v[82:83] op_sel_hi:[1,0]
	v_pk_add_f32 v[68:69], v[68:69], v[84:85]
	s_waitcnt vmcnt(6)
	v_pk_fma_f32 v[84:85], v[116:117], v[132:133], v[82:83] op_sel:[0,0,1] op_sel_hi:[1,1,0] neg_lo:[0,0,1] neg_hi:[0,0,1]
	v_pk_fma_f32 v[82:83], v[116:117], v[132:133], v[82:83] op_sel:[0,0,1] op_sel_hi:[1,0,0]
	v_mov_b32_e32 v82, v131
	v_mov_b32_e32 v85, v83
	s_waitcnt lgkmcnt(2)
	v_pk_mul_f32 v[82:83], v[70:71], v[82:83] op_sel_hi:[1,0]
	v_pk_add_f32 v[68:69], v[68:69], v[84:85]
	v_pk_fma_f32 v[84:85], v[70:71], v[130:131], v[82:83] op_sel:[0,0,1] op_sel_hi:[1,1,0] neg_lo:[0,0,1] neg_hi:[0,0,1]
	v_pk_fma_f32 v[70:71], v[70:71], v[130:131], v[82:83] op_sel:[0,0,1] op_sel_hi:[1,0,0]
	v_mov_b32_e32 v70, v129
	v_mov_b32_e32 v85, v71
	v_pk_mul_f32 v[70:71], v[72:73], v[70:71] op_sel_hi:[1,0]
	v_pk_fma_f32 v[82:83], v[72:73], v[128:129], v[70:71] op_sel:[0,0,1] op_sel_hi:[1,1,0] neg_lo:[0,0,1] neg_hi:[0,0,1]
	v_pk_fma_f32 v[70:71], v[72:73], v[128:129], v[70:71] op_sel:[0,0,1] op_sel_hi:[1,0,0]
	v_mov_b32_e32 v70, v127
	v_mov_b32_e32 v83, v71
	s_waitcnt lgkmcnt(1)
	v_pk_mul_f32 v[70:71], v[74:75], v[70:71] op_sel_hi:[1,0]
	v_pk_fma_f32 v[72:73], v[74:75], v[126:127], v[70:71] op_sel:[0,0,1] op_sel_hi:[1,1,0] neg_lo:[0,0,1] neg_hi:[0,0,1]
	v_pk_fma_f32 v[70:71], v[74:75], v[126:127], v[70:71] op_sel:[0,0,1] op_sel_hi:[1,0,0]
	v_pk_add_f32 v[68:69], v[68:69], v[84:85]
	s_waitcnt vmcnt(1)
	v_mov_b32_e32 v70, v139
	v_pk_add_f32 v[68:69], v[68:69], v[82:83]
	v_mov_b32_e32 v73, v71
	v_pk_mul_f32 v[70:71], v[76:77], v[70:71] op_sel_hi:[1,0]
	v_pk_add_f32 v[68:69], v[68:69], v[72:73]
	s_waitcnt vmcnt(0)
	v_pk_fma_f32 v[72:73], v[76:77], v[138:139], v[70:71] op_sel:[0,0,1] op_sel_hi:[1,1,0] neg_lo:[0,0,1] neg_hi:[0,0,1]
	v_pk_fma_f32 v[70:71], v[76:77], v[138:139], v[70:71] op_sel:[0,0,1] op_sel_hi:[1,0,0]
	v_mov_b32_e32 v70, v137
	v_mov_b32_e32 v73, v71
	s_waitcnt lgkmcnt(0)
	v_pk_mul_f32 v[70:71], v[78:79], v[70:71] op_sel_hi:[1,0]
	v_pk_add_f32 v[68:69], v[68:69], v[72:73]
	v_pk_fma_f32 v[72:73], v[78:79], v[136:137], v[70:71] op_sel:[0,0,1] op_sel_hi:[1,1,0] neg_lo:[0,0,1] neg_hi:[0,0,1]
	v_pk_fma_f32 v[70:71], v[78:79], v[136:137], v[70:71] op_sel:[0,0,1] op_sel_hi:[1,0,0]
	v_mov_b32_e32 v70, v135
	v_mov_b32_e32 v73, v71
	v_pk_mul_f32 v[70:71], v[80:81], v[70:71] op_sel_hi:[1,0]
	v_pk_add_f32 v[68:69], v[68:69], v[72:73]
	v_pk_fma_f32 v[72:73], v[80:81], v[134:135], v[70:71] op_sel:[0,0,1] op_sel_hi:[1,1,0] neg_lo:[0,0,1] neg_hi:[0,0,1]
	v_pk_fma_f32 v[70:71], v[80:81], v[134:135], v[70:71] op_sel:[0,0,1] op_sel_hi:[1,0,0]
	v_mov_b32_e32 v73, v71
	v_pk_add_f32 v[68:69], v[68:69], v[72:73]
	v_pk_add_f32 v[66:67], v[66:67], v[68:69] neg_lo:[0,1] neg_hi:[0,1]
	buffer_store_dword v67, off, s[0:3], 0 offset:12
	buffer_store_dword v66, off, s[0:3], 0 offset:8
	s_and_saveexec_b64 s[4:5], vcc
	s_cbranch_execz .LBB95_205
; %bb.204:
	buffer_load_dword v66, off, s[0:3], 0
	buffer_load_dword v67, off, s[0:3], 0 offset:4
	v_mov_b32_e32 v0, 0
	buffer_store_dword v0, off, s[0:3], 0
	buffer_store_dword v0, off, s[0:3], 0 offset:4
	s_waitcnt vmcnt(2)
	ds_write_b64 v1, v[66:67]
.LBB95_205:
	s_or_b64 exec, exec, s[4:5]
	s_waitcnt lgkmcnt(0)
	; wave barrier
	s_waitcnt lgkmcnt(0)
	buffer_load_dword v114, off, s[0:3], 0 offset:12
	buffer_load_dword v116, off, s[0:3], 0 offset:20
	;; [unrolled: 1-line block ×42, first 2 shown]
	buffer_load_dword v0, off, s[0:3], 0
	buffer_load_dword v1, off, s[0:3], 0 offset:4
	buffer_load_dword v175, off, s[0:3], 0 offset:180
	buffer_load_dword v176, off, s[0:3], 0 offset:176
	buffer_load_dword v177, off, s[0:3], 0 offset:188
	buffer_load_dword v178, off, s[0:3], 0 offset:184
	v_mov_b32_e32 v179, 0
	ds_read2_b64 v[66:69], v179 offset0:33 offset1:34
	ds_read2_b64 v[70:73], v179 offset0:35 offset1:36
	;; [unrolled: 1-line block ×6, first 2 shown]
	s_and_b64 vcc, exec, s[16:17]
	s_waitcnt vmcnt(47) lgkmcnt(5)
	v_mul_f32_e32 v90, v66, v114
	s_waitcnt vmcnt(46)
	v_mul_f32_e32 v91, v68, v116
	s_waitcnt vmcnt(45) lgkmcnt(4)
	v_mul_f32_e32 v92, v70, v118
	s_waitcnt vmcnt(44)
	v_mul_f32_e32 v93, v72, v136
	;; [unrolled: 4-line block ×6, first 2 shown]
	s_waitcnt vmcnt(35)
	v_fmac_f32_e32 v90, v67, v145
	s_waitcnt vmcnt(34)
	v_fmac_f32_e32 v91, v69, v146
	v_add_f32_e32 v90, 0, v90
	s_waitcnt vmcnt(33)
	v_fmac_f32_e32 v92, v71, v147
	v_add_f32_e32 v90, v90, v91
	;; [unrolled: 3-line block ×8, first 2 shown]
	v_add_f32_e32 v94, v90, v98
	ds_read2_b64 v[90:93], v179 offset0:45 offset1:46
	s_waitcnt vmcnt(26)
	v_fmac_f32_e32 v99, v85, v154
	s_waitcnt vmcnt(25)
	v_fmac_f32_e32 v100, v87, v155
	v_add_f32_e32 v94, v94, v99
	s_waitcnt vmcnt(24)
	v_fmac_f32_e32 v101, v89, v156
	v_add_f32_e32 v94, v94, v100
	v_add_f32_e32 v98, v94, v101
	ds_read2_b64 v[94:97], v179 offset0:47 offset1:48
	s_waitcnt vmcnt(23) lgkmcnt(1)
	v_mul_f32_e32 v99, v90, v157
	s_waitcnt vmcnt(22)
	v_fmac_f32_e32 v99, v91, v158
	v_add_f32_e32 v98, v98, v99
	s_waitcnt vmcnt(21)
	v_mul_f32_e32 v99, v92, v159
	s_waitcnt vmcnt(20)
	v_fmac_f32_e32 v99, v93, v160
	v_add_f32_e32 v98, v98, v99
	s_waitcnt vmcnt(19) lgkmcnt(0)
	v_mul_f32_e32 v99, v94, v161
	s_waitcnt vmcnt(18)
	v_fmac_f32_e32 v99, v95, v162
	v_add_f32_e32 v102, v98, v99
	ds_read2_b64 v[98:101], v179 offset0:49 offset1:50
	s_waitcnt vmcnt(17)
	v_mul_f32_e32 v103, v96, v163
	s_waitcnt vmcnt(16)
	v_fmac_f32_e32 v103, v97, v164
	v_add_f32_e32 v106, v102, v103
	ds_read2_b64 v[102:105], v179 offset0:51 offset1:52
	s_waitcnt vmcnt(15) lgkmcnt(1)
	v_mul_f32_e32 v107, v98, v165
	s_waitcnt vmcnt(14)
	v_fmac_f32_e32 v107, v99, v166
	v_add_f32_e32 v106, v106, v107
	s_waitcnt vmcnt(13)
	v_mul_f32_e32 v107, v100, v167
	s_waitcnt vmcnt(12)
	v_fmac_f32_e32 v107, v101, v168
	v_add_f32_e32 v106, v106, v107
	s_waitcnt vmcnt(11) lgkmcnt(0)
	v_mul_f32_e32 v107, v102, v169
	s_waitcnt vmcnt(10)
	v_fmac_f32_e32 v107, v103, v170
	s_waitcnt vmcnt(9)
	v_mul_f32_e32 v111, v104, v171
	v_add_f32_e32 v110, v106, v107
	s_waitcnt vmcnt(8)
	v_fmac_f32_e32 v111, v105, v172
	ds_read2_b64 v[106:109], v179 offset0:53 offset1:54
	v_add_f32_e32 v115, v110, v111
	ds_read2_b64 v[110:113], v179 offset0:55 offset1:56
	buffer_load_dword v121, off, s[0:3], 0 offset:220
	buffer_load_dword v120, off, s[0:3], 0 offset:216
	;; [unrolled: 1-line block ×16, first 2 shown]
	v_mul_f32_e32 v67, v67, v114
	v_fma_f32 v66, v66, v145, -v67
	v_mul_f32_e32 v67, v69, v116
	v_add_f32_e32 v66, 0, v66
	v_fma_f32 v67, v68, v146, -v67
	v_add_f32_e32 v66, v66, v67
	v_mul_f32_e32 v67, v71, v118
	v_fma_f32 v67, v70, v147, -v67
	v_add_f32_e32 v66, v66, v67
	v_mul_f32_e32 v67, v73, v136
	;; [unrolled: 3-line block ×18, first 2 shown]
	v_fma_f32 v67, v104, v172, -v67
	v_add_f32_e32 v66, v66, v67
	s_waitcnt vmcnt(22) lgkmcnt(1)
	v_mul_f32_e32 v67, v107, v174
	v_mul_f32_e32 v117, v106, v174
	v_fma_f32 v67, v106, v173, -v67
	v_fmac_f32_e32 v117, v107, v173
	v_add_f32_e32 v114, v66, v67
	s_waitcnt vmcnt(19)
	v_mul_f32_e32 v66, v109, v175
	v_add_f32_e32 v115, v115, v117
	v_mul_f32_e32 v117, v108, v175
	s_waitcnt vmcnt(18)
	v_fma_f32 v116, v108, v176, -v66
	s_waitcnt vmcnt(17) lgkmcnt(0)
	v_mul_f32_e32 v66, v111, v177
	s_waitcnt vmcnt(9)
	v_mov_b32_e32 v82, v127
	v_pk_mul_f32 v[82:83], v[112:113], v[82:83] op_sel_hi:[1,0]
	v_fmac_f32_e32 v117, v109, v176
	v_mul_f32_e32 v119, v110, v177
	v_fma_f32 v118, v110, v178, -v66
	ds_read2_b64 v[66:69], v179 offset0:57 offset1:58
	ds_read2_b64 v[70:73], v179 offset0:59 offset1:60
	ds_read2_b64 v[74:77], v179 offset0:61 offset1:62
	ds_read_b64 v[78:79], v179 offset:504
	s_waitcnt vmcnt(8)
	v_pk_fma_f32 v[84:85], v[112:113], v[126:127], v[82:83] op_sel:[0,0,1] op_sel_hi:[1,1,0] neg_lo:[0,0,1] neg_hi:[0,0,1]
	v_pk_fma_f32 v[82:83], v[112:113], v[126:127], v[82:83] op_sel:[0,0,1] op_sel_hi:[1,0,0]
	v_fmac_f32_e32 v119, v111, v178
	v_pk_add_f32 v[80:81], v[114:115], v[116:117]
	v_mov_b32_e32 v82, v125
	v_pk_add_f32 v[80:81], v[80:81], v[118:119]
	v_mov_b32_e32 v85, v83
	s_waitcnt lgkmcnt(3)
	v_pk_mul_f32 v[82:83], v[66:67], v[82:83] op_sel_hi:[1,0]
	v_pk_add_f32 v[80:81], v[80:81], v[84:85]
	v_pk_fma_f32 v[84:85], v[66:67], v[124:125], v[82:83] op_sel:[0,0,1] op_sel_hi:[1,1,0] neg_lo:[0,0,1] neg_hi:[0,0,1]
	v_pk_fma_f32 v[66:67], v[66:67], v[124:125], v[82:83] op_sel:[0,0,1] op_sel_hi:[1,0,0]
	v_mov_b32_e32 v85, v67
	v_pk_add_f32 v[66:67], v[80:81], v[84:85]
	v_mov_b32_e32 v80, v123
	v_pk_mul_f32 v[80:81], v[68:69], v[80:81] op_sel_hi:[1,0]
	v_pk_fma_f32 v[82:83], v[68:69], v[122:123], v[80:81] op_sel:[0,0,1] op_sel_hi:[1,1,0] neg_lo:[0,0,1] neg_hi:[0,0,1]
	v_pk_fma_f32 v[68:69], v[68:69], v[122:123], v[80:81] op_sel:[0,0,1] op_sel_hi:[1,0,0]
	v_mov_b32_e32 v68, v121
	v_mov_b32_e32 v83, v69
	s_waitcnt lgkmcnt(2)
	v_pk_mul_f32 v[68:69], v[70:71], v[68:69] op_sel_hi:[1,0]
	v_pk_fma_f32 v[80:81], v[70:71], v[120:121], v[68:69] op_sel:[0,0,1] op_sel_hi:[1,1,0] neg_lo:[0,0,1] neg_hi:[0,0,1]
	v_pk_fma_f32 v[68:69], v[70:71], v[120:121], v[68:69] op_sel:[0,0,1] op_sel_hi:[1,0,0]
	s_waitcnt vmcnt(1)
	v_mov_b32_e32 v68, v135
	v_mov_b32_e32 v81, v69
	v_pk_mul_f32 v[68:69], v[72:73], v[68:69] op_sel_hi:[1,0]
	s_waitcnt vmcnt(0)
	v_pk_fma_f32 v[70:71], v[72:73], v[134:135], v[68:69] op_sel:[0,0,1] op_sel_hi:[1,1,0] neg_lo:[0,0,1] neg_hi:[0,0,1]
	v_pk_fma_f32 v[68:69], v[72:73], v[134:135], v[68:69] op_sel:[0,0,1] op_sel_hi:[1,0,0]
	v_pk_add_f32 v[66:67], v[66:67], v[82:83]
	v_mov_b32_e32 v68, v133
	v_pk_add_f32 v[66:67], v[66:67], v[80:81]
	v_mov_b32_e32 v71, v69
	s_waitcnt lgkmcnt(1)
	v_pk_mul_f32 v[68:69], v[74:75], v[68:69] op_sel_hi:[1,0]
	v_pk_add_f32 v[66:67], v[66:67], v[70:71]
	v_pk_fma_f32 v[70:71], v[74:75], v[132:133], v[68:69] op_sel:[0,0,1] op_sel_hi:[1,1,0] neg_lo:[0,0,1] neg_hi:[0,0,1]
	v_pk_fma_f32 v[68:69], v[74:75], v[132:133], v[68:69] op_sel:[0,0,1] op_sel_hi:[1,0,0]
	v_mov_b32_e32 v68, v131
	v_mov_b32_e32 v71, v69
	v_pk_mul_f32 v[68:69], v[76:77], v[68:69] op_sel_hi:[1,0]
	v_pk_add_f32 v[66:67], v[66:67], v[70:71]
	v_pk_fma_f32 v[70:71], v[76:77], v[130:131], v[68:69] op_sel:[0,0,1] op_sel_hi:[1,1,0] neg_lo:[0,0,1] neg_hi:[0,0,1]
	v_pk_fma_f32 v[68:69], v[76:77], v[130:131], v[68:69] op_sel:[0,0,1] op_sel_hi:[1,0,0]
	v_mov_b32_e32 v68, v129
	v_mov_b32_e32 v71, v69
	s_waitcnt lgkmcnt(0)
	v_pk_mul_f32 v[68:69], v[78:79], v[68:69] op_sel_hi:[1,0]
	v_pk_add_f32 v[66:67], v[66:67], v[70:71]
	v_pk_fma_f32 v[70:71], v[78:79], v[128:129], v[68:69] op_sel:[0,0,1] op_sel_hi:[1,1,0] neg_lo:[0,0,1] neg_hi:[0,0,1]
	v_pk_fma_f32 v[68:69], v[78:79], v[128:129], v[68:69] op_sel:[0,0,1] op_sel_hi:[1,0,0]
	v_mov_b32_e32 v71, v69
	v_pk_add_f32 v[66:67], v[66:67], v[70:71]
	v_pk_add_f32 v[0:1], v[0:1], v[66:67] neg_lo:[0,1] neg_hi:[0,1]
	buffer_store_dword v1, off, s[0:3], 0 offset:4
	buffer_store_dword v0, off, s[0:3], 0
	s_cbranch_vccz .LBB95_269
; %bb.206:
	v_pk_mov_b32 v[0:1], s[10:11], s[10:11] op_sel:[0,1]
	flat_load_dword v0, v[0:1] offset:120
	s_waitcnt vmcnt(0) lgkmcnt(0)
	v_add_u32_e32 v0, -1, v0
	v_cmp_ne_u32_e32 vcc, 30, v0
	s_and_saveexec_b64 s[4:5], vcc
	s_cbranch_execz .LBB95_208
; %bb.207:
	v_mov_b32_e32 v1, 0
	v_lshl_add_u32 v0, v0, 3, v1
	buffer_load_dword v1, v0, s[0:3], 0 offen
	buffer_load_dword v66, v0, s[0:3], 0 offen offset:4
	buffer_load_dword v67, off, s[0:3], 0 offset:244
	buffer_load_dword v68, off, s[0:3], 0 offset:240
	s_waitcnt vmcnt(3)
	buffer_store_dword v1, off, s[0:3], 0 offset:240
	s_waitcnt vmcnt(3)
	buffer_store_dword v66, off, s[0:3], 0 offset:244
	s_waitcnt vmcnt(3)
	buffer_store_dword v67, v0, s[0:3], 0 offen offset:4
	s_waitcnt vmcnt(3)
	buffer_store_dword v68, v0, s[0:3], 0 offen
.LBB95_208:
	s_or_b64 exec, exec, s[4:5]
	v_pk_mov_b32 v[0:1], s[10:11], s[10:11] op_sel:[0,1]
	flat_load_dword v0, v[0:1] offset:116
	s_waitcnt vmcnt(0) lgkmcnt(0)
	v_add_u32_e32 v0, -1, v0
	v_cmp_ne_u32_e32 vcc, 29, v0
	s_and_saveexec_b64 s[4:5], vcc
	s_cbranch_execz .LBB95_210
; %bb.209:
	v_mov_b32_e32 v1, 0
	v_lshl_add_u32 v0, v0, 3, v1
	buffer_load_dword v1, v0, s[0:3], 0 offen
	buffer_load_dword v66, v0, s[0:3], 0 offen offset:4
	buffer_load_dword v67, off, s[0:3], 0 offset:232
	buffer_load_dword v68, off, s[0:3], 0 offset:236
	s_waitcnt vmcnt(3)
	buffer_store_dword v1, off, s[0:3], 0 offset:232
	s_waitcnt vmcnt(3)
	buffer_store_dword v66, off, s[0:3], 0 offset:236
	s_waitcnt vmcnt(3)
	buffer_store_dword v67, v0, s[0:3], 0 offen
	s_waitcnt vmcnt(3)
	buffer_store_dword v68, v0, s[0:3], 0 offen offset:4
.LBB95_210:
	s_or_b64 exec, exec, s[4:5]
	v_pk_mov_b32 v[0:1], s[10:11], s[10:11] op_sel:[0,1]
	flat_load_dword v0, v[0:1] offset:112
	s_waitcnt vmcnt(0) lgkmcnt(0)
	v_add_u32_e32 v0, -1, v0
	v_cmp_ne_u32_e32 vcc, 28, v0
	s_and_saveexec_b64 s[4:5], vcc
	s_cbranch_execz .LBB95_212
; %bb.211:
	v_mov_b32_e32 v1, 0
	v_lshl_add_u32 v0, v0, 3, v1
	buffer_load_dword v1, v0, s[0:3], 0 offen
	buffer_load_dword v66, v0, s[0:3], 0 offen offset:4
	buffer_load_dword v67, off, s[0:3], 0 offset:228
	buffer_load_dword v68, off, s[0:3], 0 offset:224
	s_waitcnt vmcnt(3)
	buffer_store_dword v1, off, s[0:3], 0 offset:224
	s_waitcnt vmcnt(3)
	buffer_store_dword v66, off, s[0:3], 0 offset:228
	s_waitcnt vmcnt(3)
	buffer_store_dword v67, v0, s[0:3], 0 offen offset:4
	s_waitcnt vmcnt(3)
	buffer_store_dword v68, v0, s[0:3], 0 offen
.LBB95_212:
	s_or_b64 exec, exec, s[4:5]
	v_pk_mov_b32 v[0:1], s[10:11], s[10:11] op_sel:[0,1]
	flat_load_dword v0, v[0:1] offset:108
	s_waitcnt vmcnt(0) lgkmcnt(0)
	v_add_u32_e32 v0, -1, v0
	v_cmp_ne_u32_e32 vcc, 27, v0
	s_and_saveexec_b64 s[4:5], vcc
	s_cbranch_execz .LBB95_214
; %bb.213:
	v_mov_b32_e32 v1, 0
	v_lshl_add_u32 v0, v0, 3, v1
	buffer_load_dword v1, v0, s[0:3], 0 offen
	buffer_load_dword v66, v0, s[0:3], 0 offen offset:4
	buffer_load_dword v67, off, s[0:3], 0 offset:216
	buffer_load_dword v68, off, s[0:3], 0 offset:220
	s_waitcnt vmcnt(3)
	buffer_store_dword v1, off, s[0:3], 0 offset:216
	s_waitcnt vmcnt(3)
	buffer_store_dword v66, off, s[0:3], 0 offset:220
	s_waitcnt vmcnt(3)
	buffer_store_dword v67, v0, s[0:3], 0 offen
	s_waitcnt vmcnt(3)
	buffer_store_dword v68, v0, s[0:3], 0 offen offset:4
.LBB95_214:
	s_or_b64 exec, exec, s[4:5]
	;; [unrolled: 48-line block ×15, first 2 shown]
	v_pk_mov_b32 v[0:1], s[10:11], s[10:11] op_sel:[0,1]
	flat_load_dword v66, v[0:1]
	s_nop 0
	buffer_load_dword v0, off, s[0:3], 0
	buffer_load_dword v1, off, s[0:3], 0 offset:4
	s_waitcnt vmcnt(0) lgkmcnt(0)
	v_add_u32_e32 v66, -1, v66
	v_cmp_ne_u32_e32 vcc, 0, v66
	s_and_saveexec_b64 s[4:5], vcc
	s_cbranch_execz .LBB95_268
; %bb.267:
	v_mov_b32_e32 v67, 0
	v_lshl_add_u32 v66, v66, 3, v67
	buffer_load_dword v67, v66, s[0:3], 0 offen offset:4
	buffer_load_dword v68, v66, s[0:3], 0 offen
	s_waitcnt vmcnt(1)
	buffer_store_dword v67, off, s[0:3], 0 offset:4
	s_waitcnt vmcnt(1)
	buffer_store_dword v68, off, s[0:3], 0
	buffer_store_dword v1, v66, s[0:3], 0 offen offset:4
	buffer_store_dword v0, v66, s[0:3], 0 offen
	buffer_load_dword v0, off, s[0:3], 0
	s_nop 0
	buffer_load_dword v1, off, s[0:3], 0 offset:4
.LBB95_268:
	s_or_b64 exec, exec, s[4:5]
.LBB95_269:
	buffer_load_dword v66, off, s[0:3], 0 offset:8
	buffer_load_dword v67, off, s[0:3], 0 offset:12
	;; [unrolled: 1-line block ×62, first 2 shown]
	s_waitcnt vmcnt(62)
	global_store_dwordx2 v[56:57], v[0:1], off
	s_waitcnt vmcnt(61)
	global_store_dwordx2 v[58:59], v[66:67], off
	;; [unrolled: 2-line block ×32, first 2 shown]
	s_endpgm
	.section	.rodata,"a",@progbits
	.p2align	6, 0x0
	.amdhsa_kernel _ZN9rocsolver6v33100L18getri_kernel_smallILi32E19rocblas_complex_numIfEPKPS3_EEvT1_iilPiilS8_bb
		.amdhsa_group_segment_fixed_size 516
		.amdhsa_private_segment_fixed_size 272
		.amdhsa_kernarg_size 60
		.amdhsa_user_sgpr_count 8
		.amdhsa_user_sgpr_private_segment_buffer 1
		.amdhsa_user_sgpr_dispatch_ptr 0
		.amdhsa_user_sgpr_queue_ptr 0
		.amdhsa_user_sgpr_kernarg_segment_ptr 1
		.amdhsa_user_sgpr_dispatch_id 0
		.amdhsa_user_sgpr_flat_scratch_init 1
		.amdhsa_user_sgpr_kernarg_preload_length 0
		.amdhsa_user_sgpr_kernarg_preload_offset 0
		.amdhsa_user_sgpr_private_segment_size 0
		.amdhsa_uses_dynamic_stack 0
		.amdhsa_system_sgpr_private_segment_wavefront_offset 1
		.amdhsa_system_sgpr_workgroup_id_x 1
		.amdhsa_system_sgpr_workgroup_id_y 0
		.amdhsa_system_sgpr_workgroup_id_z 0
		.amdhsa_system_sgpr_workgroup_info 0
		.amdhsa_system_vgpr_workitem_id 0
		.amdhsa_next_free_vgpr 180
		.amdhsa_next_free_sgpr 22
		.amdhsa_accum_offset 180
		.amdhsa_reserve_vcc 1
		.amdhsa_reserve_flat_scratch 1
		.amdhsa_float_round_mode_32 0
		.amdhsa_float_round_mode_16_64 0
		.amdhsa_float_denorm_mode_32 3
		.amdhsa_float_denorm_mode_16_64 3
		.amdhsa_dx10_clamp 1
		.amdhsa_ieee_mode 1
		.amdhsa_fp16_overflow 0
		.amdhsa_tg_split 0
		.amdhsa_exception_fp_ieee_invalid_op 0
		.amdhsa_exception_fp_denorm_src 0
		.amdhsa_exception_fp_ieee_div_zero 0
		.amdhsa_exception_fp_ieee_overflow 0
		.amdhsa_exception_fp_ieee_underflow 0
		.amdhsa_exception_fp_ieee_inexact 0
		.amdhsa_exception_int_div_zero 0
	.end_amdhsa_kernel
	.section	.text._ZN9rocsolver6v33100L18getri_kernel_smallILi32E19rocblas_complex_numIfEPKPS3_EEvT1_iilPiilS8_bb,"axG",@progbits,_ZN9rocsolver6v33100L18getri_kernel_smallILi32E19rocblas_complex_numIfEPKPS3_EEvT1_iilPiilS8_bb,comdat
.Lfunc_end95:
	.size	_ZN9rocsolver6v33100L18getri_kernel_smallILi32E19rocblas_complex_numIfEPKPS3_EEvT1_iilPiilS8_bb, .Lfunc_end95-_ZN9rocsolver6v33100L18getri_kernel_smallILi32E19rocblas_complex_numIfEPKPS3_EEvT1_iilPiilS8_bb
                                        ; -- End function
	.section	.AMDGPU.csdata,"",@progbits
; Kernel info:
; codeLenInByte = 48128
; NumSgprs: 28
; NumVgprs: 180
; NumAgprs: 0
; TotalNumVgprs: 180
; ScratchSize: 272
; MemoryBound: 0
; FloatMode: 240
; IeeeMode: 1
; LDSByteSize: 516 bytes/workgroup (compile time only)
; SGPRBlocks: 3
; VGPRBlocks: 22
; NumSGPRsForWavesPerEU: 28
; NumVGPRsForWavesPerEU: 180
; AccumOffset: 180
; Occupancy: 2
; WaveLimiterHint : 1
; COMPUTE_PGM_RSRC2:SCRATCH_EN: 1
; COMPUTE_PGM_RSRC2:USER_SGPR: 8
; COMPUTE_PGM_RSRC2:TRAP_HANDLER: 0
; COMPUTE_PGM_RSRC2:TGID_X_EN: 1
; COMPUTE_PGM_RSRC2:TGID_Y_EN: 0
; COMPUTE_PGM_RSRC2:TGID_Z_EN: 0
; COMPUTE_PGM_RSRC2:TIDIG_COMP_CNT: 0
; COMPUTE_PGM_RSRC3_GFX90A:ACCUM_OFFSET: 44
; COMPUTE_PGM_RSRC3_GFX90A:TG_SPLIT: 0
	.section	.text._ZN9rocsolver6v33100L18getri_kernel_smallILi33E19rocblas_complex_numIfEPKPS3_EEvT1_iilPiilS8_bb,"axG",@progbits,_ZN9rocsolver6v33100L18getri_kernel_smallILi33E19rocblas_complex_numIfEPKPS3_EEvT1_iilPiilS8_bb,comdat
	.globl	_ZN9rocsolver6v33100L18getri_kernel_smallILi33E19rocblas_complex_numIfEPKPS3_EEvT1_iilPiilS8_bb ; -- Begin function _ZN9rocsolver6v33100L18getri_kernel_smallILi33E19rocblas_complex_numIfEPKPS3_EEvT1_iilPiilS8_bb
	.p2align	8
	.type	_ZN9rocsolver6v33100L18getri_kernel_smallILi33E19rocblas_complex_numIfEPKPS3_EEvT1_iilPiilS8_bb,@function
_ZN9rocsolver6v33100L18getri_kernel_smallILi33E19rocblas_complex_numIfEPKPS3_EEvT1_iilPiilS8_bb: ; @_ZN9rocsolver6v33100L18getri_kernel_smallILi33E19rocblas_complex_numIfEPKPS3_EEvT1_iilPiilS8_bb
; %bb.0:
	s_add_u32 flat_scratch_lo, s6, s9
	s_addc_u32 flat_scratch_hi, s7, 0
	s_add_u32 s0, s0, s9
	s_addc_u32 s1, s1, 0
	v_cmp_gt_u32_e32 vcc, 33, v0
	s_and_saveexec_b64 s[6:7], vcc
	s_cbranch_execz .LBB96_146
; %bb.1:
	s_load_dword s20, s[4:5], 0x38
	s_load_dwordx2 s[6:7], s[4:5], 0x0
	s_load_dwordx4 s[12:15], s[4:5], 0x28
	s_waitcnt lgkmcnt(0)
	s_bitcmp1_b32 s20, 8
	s_cselect_b64 s[16:17], -1, 0
	s_ashr_i32 s9, s8, 31
	s_lshl_b64 s[10:11], s[8:9], 3
	s_add_u32 s6, s6, s10
	s_addc_u32 s7, s7, s11
	s_load_dwordx2 s[18:19], s[6:7], 0x0
	s_bfe_u32 s6, s20, 0x10008
	s_cmp_eq_u32 s6, 0
                                        ; implicit-def: $sgpr10_sgpr11
	s_cbranch_scc1 .LBB96_3
; %bb.2:
	s_load_dword s6, s[4:5], 0x20
	s_load_dwordx2 s[10:11], s[4:5], 0x18
	s_mul_i32 s7, s8, s13
	s_mul_hi_u32 s13, s8, s12
	s_add_i32 s13, s13, s7
	s_mul_i32 s21, s9, s12
	s_add_i32 s13, s13, s21
	s_mul_i32 s12, s8, s12
	s_waitcnt lgkmcnt(0)
	s_ashr_i32 s7, s6, 31
	s_lshl_b64 s[12:13], s[12:13], 2
	s_add_u32 s10, s10, s12
	s_addc_u32 s11, s11, s13
	s_lshl_b64 s[6:7], s[6:7], 2
	s_add_u32 s10, s10, s6
	s_addc_u32 s11, s11, s7
.LBB96_3:
	s_load_dwordx2 s[6:7], s[4:5], 0x8
	v_lshlrev_b32_e32 v72, 3, v0
	s_waitcnt lgkmcnt(0)
	s_ashr_i32 s5, s6, 31
	s_mov_b32 s4, s6
	s_lshl_b64 s[4:5], s[4:5], 3
	s_add_u32 s4, s18, s4
	s_addc_u32 s5, s19, s5
	s_add_i32 s6, s7, s7
	v_add_u32_e32 v4, s6, v0
	v_ashrrev_i32_e32 v5, 31, v4
	v_lshlrev_b64 v[2:3], 3, v[4:5]
	v_add_u32_e32 v6, s7, v4
	v_mov_b32_e32 v1, s5
	v_add_co_u32_e32 v2, vcc, s4, v2
	v_ashrrev_i32_e32 v7, 31, v6
	v_addc_co_u32_e32 v3, vcc, v1, v3, vcc
	v_lshlrev_b64 v[4:5], 3, v[6:7]
	v_add_u32_e32 v8, s7, v6
	v_add_co_u32_e32 v4, vcc, s4, v4
	v_ashrrev_i32_e32 v9, 31, v8
	v_addc_co_u32_e32 v5, vcc, v1, v5, vcc
	v_lshlrev_b64 v[6:7], 3, v[8:9]
	v_add_u32_e32 v10, s7, v8
	;; [unrolled: 5-line block ×25, first 2 shown]
	v_add_co_u32_e32 v52, vcc, s4, v52
	v_ashrrev_i32_e32 v57, 31, v56
	v_addc_co_u32_e32 v53, vcc, v1, v53, vcc
	v_lshlrev_b64 v[54:55], 3, v[56:57]
	v_add_co_u32_e32 v54, vcc, s4, v54
	v_addc_co_u32_e32 v55, vcc, v1, v55, vcc
	v_add_co_u32_e32 v58, vcc, s4, v72
	s_ashr_i32 s13, s7, 31
	s_mov_b32 s12, s7
	v_add_u32_e32 v62, s7, v56
	v_addc_co_u32_e32 v59, vcc, 0, v1, vcc
	s_lshl_b64 s[12:13], s[12:13], 3
	v_mov_b32_e32 v1, s13
	v_add_co_u32_e32 v60, vcc, s12, v58
	v_ashrrev_i32_e32 v63, 31, v62
	v_addc_co_u32_e32 v61, vcc, v59, v1, vcc
	v_lshlrev_b64 v[56:57], 3, v[62:63]
	v_add_u32_e32 v64, s7, v62
	v_mov_b32_e32 v1, s5
	v_add_co_u32_e32 v56, vcc, s4, v56
	v_ashrrev_i32_e32 v65, 31, v64
	v_addc_co_u32_e32 v57, vcc, v1, v57, vcc
	v_lshlrev_b64 v[62:63], 3, v[64:65]
	v_add_u32_e32 v66, s7, v64
	v_add_co_u32_e32 v62, vcc, s4, v62
	v_ashrrev_i32_e32 v67, 31, v66
	v_addc_co_u32_e32 v63, vcc, v1, v63, vcc
	v_lshlrev_b64 v[64:65], 3, v[66:67]
	v_add_co_u32_e32 v64, vcc, s4, v64
	global_load_dwordx2 v[68:69], v72, s[4:5]
	global_load_dwordx2 v[74:75], v[2:3], off
	global_load_dwordx2 v[76:77], v[4:5], off
	;; [unrolled: 1-line block ×23, first 2 shown]
	v_addc_co_u32_e32 v65, vcc, v1, v65, vcc
	global_load_dwordx2 v[118:119], v[46:47], off
	global_load_dwordx2 v[120:121], v[48:49], off
	;; [unrolled: 1-line block ×8, first 2 shown]
	v_add_u32_e32 v66, s7, v66
	v_ashrrev_i32_e32 v67, 31, v66
	v_lshlrev_b64 v[66:67], 3, v[66:67]
	v_add_co_u32_e32 v66, vcc, s4, v66
	v_addc_co_u32_e32 v67, vcc, v1, v67, vcc
	global_load_dwordx2 v[134:135], v[66:67], off
	s_bitcmp0_b32 s20, 0
	s_mov_b64 s[6:7], -1
	s_waitcnt vmcnt(32)
	buffer_store_dword v69, off, s[0:3], 0 offset:4
	buffer_store_dword v68, off, s[0:3], 0
	s_waitcnt vmcnt(31)
	buffer_store_dword v71, off, s[0:3], 0 offset:12
	buffer_store_dword v70, off, s[0:3], 0 offset:8
	;; [unrolled: 1-line block ×6, first 2 shown]
	s_waitcnt vmcnt(36)
	buffer_store_dword v79, off, s[0:3], 0 offset:36
	buffer_store_dword v78, off, s[0:3], 0 offset:32
	s_waitcnt vmcnt(37)
	buffer_store_dword v81, off, s[0:3], 0 offset:44
	buffer_store_dword v80, off, s[0:3], 0 offset:40
	;; [unrolled: 3-line block ×28, first 2 shown]
	buffer_store_dword v135, off, s[0:3], 0 offset:260
	buffer_store_dword v134, off, s[0:3], 0 offset:256
	s_cbranch_scc1 .LBB96_144
; %bb.4:
	v_cmp_eq_u32_e64 s[4:5], 0, v0
	s_and_saveexec_b64 s[6:7], s[4:5]
	s_cbranch_execz .LBB96_6
; %bb.5:
	v_mov_b32_e32 v1, 0
	ds_write_b32 v1, v1 offset:264
.LBB96_6:
	s_or_b64 exec, exec, s[6:7]
	v_mov_b32_e32 v1, 0
	v_lshl_add_u32 v73, v0, 3, v1
	s_waitcnt lgkmcnt(0)
	; wave barrier
	s_waitcnt lgkmcnt(0)
	buffer_load_dword v1, v73, s[0:3], 0 offen
	buffer_load_dword v68, v73, s[0:3], 0 offen offset:4
	s_waitcnt vmcnt(1)
	v_cmp_eq_f32_e32 vcc, 0, v1
	s_waitcnt vmcnt(0)
	v_cmp_eq_f32_e64 s[6:7], 0, v68
	s_and_b64 s[6:7], vcc, s[6:7]
	s_and_saveexec_b64 s[12:13], s[6:7]
	s_cbranch_execz .LBB96_10
; %bb.7:
	v_mov_b32_e32 v1, 0
	ds_read_b32 v69, v1 offset:264
	v_add_u32_e32 v68, 1, v0
	s_waitcnt lgkmcnt(0)
	v_readfirstlane_b32 s6, v69
	s_cmp_eq_u32 s6, 0
	s_cselect_b64 s[18:19], -1, 0
	v_cmp_gt_i32_e32 vcc, s6, v68
	s_or_b64 s[18:19], s[18:19], vcc
	s_and_b64 exec, exec, s[18:19]
	s_cbranch_execz .LBB96_10
; %bb.8:
	s_mov_b64 s[18:19], 0
	v_mov_b32_e32 v69, s6
.LBB96_9:                               ; =>This Inner Loop Header: Depth=1
	ds_cmpst_rtn_b32 v69, v1, v69, v68 offset:264
	s_waitcnt lgkmcnt(0)
	v_cmp_ne_u32_e32 vcc, 0, v69
	v_cmp_le_i32_e64 s[6:7], v69, v68
	s_and_b64 s[6:7], vcc, s[6:7]
	s_and_b64 s[6:7], exec, s[6:7]
	s_or_b64 s[18:19], s[6:7], s[18:19]
	s_andn2_b64 exec, exec, s[18:19]
	s_cbranch_execnz .LBB96_9
.LBB96_10:
	s_or_b64 exec, exec, s[12:13]
	v_mov_b32_e32 v68, 0
	s_waitcnt lgkmcnt(0)
	; wave barrier
	ds_read_b32 v1, v68 offset:264
	s_and_saveexec_b64 s[6:7], s[4:5]
	s_cbranch_execz .LBB96_12
; %bb.11:
	s_lshl_b64 s[12:13], s[8:9], 2
	s_add_u32 s12, s14, s12
	s_addc_u32 s13, s15, s13
	s_waitcnt lgkmcnt(0)
	global_store_dword v68, v1, s[12:13]
.LBB96_12:
	s_or_b64 exec, exec, s[6:7]
	s_waitcnt lgkmcnt(0)
	v_cmp_ne_u32_e32 vcc, 0, v1
	s_mov_b64 s[6:7], 0
	s_cbranch_vccnz .LBB96_144
; %bb.13:
	buffer_load_dword v74, v73, s[0:3], 0 offen offset:4
	buffer_load_dword v69, v73, s[0:3], 0 offen
	s_waitcnt vmcnt(1)
	v_cmp_gt_f32_e32 vcc, 0, v74
	v_cndmask_b32_e64 v1, v74, -v74, vcc
	s_waitcnt vmcnt(0)
	v_cmp_gt_f32_e32 vcc, 0, v69
	v_cndmask_b32_e64 v68, v69, -v69, vcc
	v_cmp_ngt_f32_e32 vcc, v68, v1
                                        ; implicit-def: $vgpr1
                                        ; implicit-def: $vgpr68
	s_and_saveexec_b64 s[6:7], vcc
	s_xor_b64 s[6:7], exec, s[6:7]
                                        ; implicit-def: $vgpr70_vgpr71
	s_cbranch_execz .LBB96_15
; %bb.14:
	v_div_scale_f32 v1, s[12:13], v74, v74, v69
	v_rcp_f32_e32 v68, v1
	v_div_scale_f32 v70, vcc, v69, v74, v69
	v_fma_f32 v71, -v1, v68, 1.0
	v_fmac_f32_e32 v68, v71, v68
	v_mul_f32_e32 v71, v70, v68
	v_fma_f32 v75, -v1, v71, v70
	v_fmac_f32_e32 v71, v75, v68
	v_fma_f32 v1, -v1, v71, v70
	v_div_fmas_f32 v1, v1, v68, v71
	v_div_fixup_f32 v68, v1, v74, v69
	v_fmac_f32_e32 v74, v69, v68
	v_div_scale_f32 v1, s[12:13], v74, v74, -1.0
	v_rcp_f32_e32 v69, v1
	v_fma_f32 v70, -v1, v69, 1.0
	v_fmac_f32_e32 v69, v70, v69
	v_div_scale_f32 v70, vcc, -1.0, v74, -1.0
	v_mul_f32_e32 v71, v70, v69
	v_fma_f32 v75, -v1, v71, v70
	v_fmac_f32_e32 v71, v75, v69
	v_fma_f32 v1, -v1, v71, v70
	v_div_fmas_f32 v1, v1, v69, v71
	v_div_fixup_f32 v1, v1, v74, -1.0
	v_mul_f32_e32 v68, v68, v1
	v_xor_b32_e32 v70, 0x80000000, v68
                                        ; implicit-def: $vgpr69
                                        ; implicit-def: $vgpr74
.LBB96_15:
	s_andn2_saveexec_b64 s[6:7], s[6:7]
	s_cbranch_execz .LBB96_17
; %bb.16:
	v_div_scale_f32 v1, s[12:13], v69, v69, v74
	v_rcp_f32_e32 v68, v1
	v_div_scale_f32 v70, vcc, v74, v69, v74
	v_fma_f32 v71, -v1, v68, 1.0
	v_fmac_f32_e32 v68, v71, v68
	v_mul_f32_e32 v71, v70, v68
	v_fma_f32 v75, -v1, v71, v70
	v_fmac_f32_e32 v71, v75, v68
	v_fma_f32 v1, -v1, v71, v70
	v_div_fmas_f32 v1, v1, v68, v71
	v_div_fixup_f32 v1, v1, v69, v74
	v_fmac_f32_e32 v69, v74, v1
	v_div_scale_f32 v68, s[12:13], v69, v69, 1.0
	v_rcp_f32_e32 v70, v68
	v_fma_f32 v71, -v68, v70, 1.0
	v_fmac_f32_e32 v70, v71, v70
	v_div_scale_f32 v71, vcc, 1.0, v69, 1.0
	v_mul_f32_e32 v74, v71, v70
	v_fma_f32 v75, -v68, v74, v71
	v_fmac_f32_e32 v74, v75, v70
	v_fma_f32 v68, -v68, v74, v71
	v_div_fmas_f32 v68, v68, v70, v74
	v_div_fixup_f32 v70, v68, v69, 1.0
	v_xor_b32_e32 v68, 0x80000000, v70
	v_mul_f32_e64 v1, v1, -v70
.LBB96_17:
	s_or_b64 exec, exec, s[6:7]
	buffer_store_dword v1, v73, s[0:3], 0 offen offset:4
	buffer_store_dword v70, v73, s[0:3], 0 offen
	buffer_load_dword v71, off, s[0:3], 0 offset:12
	s_nop 0
	buffer_load_dword v70, off, s[0:3], 0 offset:8
	v_xor_b32_e32 v69, 0x80000000, v1
	v_add_u32_e32 v1, 0x110, v72
	s_waitcnt vmcnt(0)
	ds_write2_b64 v72, v[68:69], v[70:71] offset1:34
	s_waitcnt lgkmcnt(0)
	; wave barrier
	s_waitcnt lgkmcnt(0)
	s_and_saveexec_b64 s[6:7], s[4:5]
	s_cbranch_execz .LBB96_19
; %bb.18:
	buffer_load_dword v74, v73, s[0:3], 0 offen offset:4
	buffer_load_dword v75, v73, s[0:3], 0 offen
	ds_read_b64 v[68:69], v1
	v_mov_b32_e32 v70, 0
	ds_read_b64 v[70:71], v70 offset:8
	s_waitcnt vmcnt(1) lgkmcnt(1)
	v_mul_f32_e32 v76, v69, v74
	v_mul_f32_e32 v74, v68, v74
	s_waitcnt vmcnt(0)
	v_fmac_f32_e32 v74, v69, v75
	v_fma_f32 v68, v68, v75, -v76
	v_add_f32_e32 v69, 0, v74
	v_add_f32_e32 v68, 0, v68
	s_waitcnt lgkmcnt(0)
	v_mul_f32_e32 v74, v69, v71
	v_mul_f32_e32 v71, v68, v71
	v_fma_f32 v68, v68, v70, -v74
	v_fmac_f32_e32 v71, v69, v70
	buffer_store_dword v68, off, s[0:3], 0 offset:8
	buffer_store_dword v71, off, s[0:3], 0 offset:12
.LBB96_19:
	s_or_b64 exec, exec, s[6:7]
	s_waitcnt lgkmcnt(0)
	; wave barrier
	buffer_load_dword v68, off, s[0:3], 0 offset:16
	buffer_load_dword v69, off, s[0:3], 0 offset:20
	v_cmp_gt_u32_e32 vcc, 2, v0
	s_waitcnt vmcnt(0)
	ds_write_b64 v1, v[68:69]
	s_waitcnt lgkmcnt(0)
	; wave barrier
	s_waitcnt lgkmcnt(0)
	s_and_saveexec_b64 s[6:7], vcc
	s_cbranch_execz .LBB96_23
; %bb.20:
	buffer_load_dword v70, v73, s[0:3], 0 offen offset:4
	buffer_load_dword v71, v73, s[0:3], 0 offen
	ds_read_b64 v[68:69], v1
	s_waitcnt vmcnt(1) lgkmcnt(0)
	v_mul_f32_e32 v73, v69, v70
	v_mul_f32_e32 v70, v68, v70
	s_waitcnt vmcnt(0)
	v_fma_f32 v68, v68, v71, -v73
	v_fmac_f32_e32 v70, v69, v71
	v_add_f32_e32 v69, 0, v68
	v_add_f32_e32 v68, 0, v70
	s_and_saveexec_b64 s[12:13], s[4:5]
	s_cbranch_execz .LBB96_22
; %bb.21:
	buffer_load_dword v73, off, s[0:3], 0 offset:12
	buffer_load_dword v74, off, s[0:3], 0 offset:8
	v_mov_b32_e32 v70, 0
	ds_read_b64 v[70:71], v70 offset:280
	s_waitcnt vmcnt(1) lgkmcnt(0)
	v_mul_f32_e32 v75, v70, v73
	v_mul_f32_e32 v73, v71, v73
	s_waitcnt vmcnt(0)
	v_fmac_f32_e32 v75, v71, v74
	v_fma_f32 v70, v70, v74, -v73
	v_add_f32_e32 v68, v68, v75
	v_add_f32_e32 v69, v69, v70
.LBB96_22:
	s_or_b64 exec, exec, s[12:13]
	v_mov_b32_e32 v70, 0
	ds_read_b64 v[70:71], v70 offset:16
	s_waitcnt lgkmcnt(0)
	v_mul_f32_e32 v73, v68, v71
	v_mul_f32_e32 v71, v69, v71
	v_fma_f32 v69, v69, v70, -v73
	v_fmac_f32_e32 v71, v68, v70
	buffer_store_dword v69, off, s[0:3], 0 offset:16
	buffer_store_dword v71, off, s[0:3], 0 offset:20
.LBB96_23:
	s_or_b64 exec, exec, s[6:7]
	s_waitcnt lgkmcnt(0)
	; wave barrier
	buffer_load_dword v68, off, s[0:3], 0 offset:24
	buffer_load_dword v69, off, s[0:3], 0 offset:28
	v_cmp_gt_u32_e32 vcc, 3, v0
	s_waitcnt vmcnt(0)
	ds_write_b64 v1, v[68:69]
	v_add_u32_e32 v68, -1, v0
	s_waitcnt lgkmcnt(0)
	; wave barrier
	s_waitcnt lgkmcnt(0)
	s_and_saveexec_b64 s[4:5], vcc
	s_cbranch_execz .LBB96_27
; %bb.24:
	v_add_u32_e32 v70, -1, v0
	v_add_u32_e32 v71, 0x110, v72
	v_add_u32_e32 v73, 0, v72
	s_mov_b64 s[6:7], 0
	v_mov_b32_e32 v69, 0
	v_mov_b32_e32 v74, 0
.LBB96_25:                              ; =>This Inner Loop Header: Depth=1
	buffer_load_dword v75, v73, s[0:3], 0 offen offset:4
	buffer_load_dword v78, v73, s[0:3], 0 offen
	ds_read_b64 v[76:77], v71
	v_add_u32_e32 v70, 1, v70
	v_cmp_lt_u32_e32 vcc, 1, v70
	v_add_u32_e32 v71, 8, v71
	v_add_u32_e32 v73, 8, v73
	s_or_b64 s[6:7], vcc, s[6:7]
	s_waitcnt vmcnt(1) lgkmcnt(0)
	v_mul_f32_e32 v79, v77, v75
	v_mul_f32_e32 v75, v76, v75
	s_waitcnt vmcnt(0)
	v_fma_f32 v76, v76, v78, -v79
	v_fmac_f32_e32 v75, v77, v78
	v_add_f32_e32 v74, v74, v76
	v_add_f32_e32 v69, v69, v75
	s_andn2_b64 exec, exec, s[6:7]
	s_cbranch_execnz .LBB96_25
; %bb.26:
	s_or_b64 exec, exec, s[6:7]
	v_mov_b32_e32 v70, 0
	ds_read_b64 v[70:71], v70 offset:24
	s_waitcnt lgkmcnt(0)
	v_mul_f32_e32 v73, v69, v71
	v_mul_f32_e32 v71, v74, v71
	v_fma_f32 v73, v74, v70, -v73
	v_fmac_f32_e32 v71, v69, v70
	buffer_store_dword v73, off, s[0:3], 0 offset:24
	buffer_store_dword v71, off, s[0:3], 0 offset:28
.LBB96_27:
	s_or_b64 exec, exec, s[4:5]
	s_waitcnt lgkmcnt(0)
	; wave barrier
	buffer_load_dword v70, off, s[0:3], 0 offset:32
	buffer_load_dword v71, off, s[0:3], 0 offset:36
	v_cmp_gt_u32_e32 vcc, 4, v0
	s_waitcnt vmcnt(0)
	ds_write_b64 v1, v[70:71]
	s_waitcnt lgkmcnt(0)
	; wave barrier
	s_waitcnt lgkmcnt(0)
	s_and_saveexec_b64 s[4:5], vcc
	s_cbranch_execz .LBB96_31
; %bb.28:
	v_add_u32_e32 v70, -1, v0
	v_add_u32_e32 v71, 0x110, v72
	v_add_u32_e32 v73, 0, v72
	s_mov_b64 s[6:7], 0
	v_mov_b32_e32 v69, 0
	v_mov_b32_e32 v74, 0
.LBB96_29:                              ; =>This Inner Loop Header: Depth=1
	buffer_load_dword v75, v73, s[0:3], 0 offen offset:4
	buffer_load_dword v78, v73, s[0:3], 0 offen
	ds_read_b64 v[76:77], v71
	v_add_u32_e32 v70, 1, v70
	v_cmp_lt_u32_e32 vcc, 2, v70
	v_add_u32_e32 v71, 8, v71
	v_add_u32_e32 v73, 8, v73
	s_or_b64 s[6:7], vcc, s[6:7]
	s_waitcnt vmcnt(1) lgkmcnt(0)
	v_mul_f32_e32 v79, v77, v75
	v_mul_f32_e32 v75, v76, v75
	s_waitcnt vmcnt(0)
	v_fma_f32 v76, v76, v78, -v79
	v_fmac_f32_e32 v75, v77, v78
	v_add_f32_e32 v74, v74, v76
	v_add_f32_e32 v69, v69, v75
	s_andn2_b64 exec, exec, s[6:7]
	s_cbranch_execnz .LBB96_29
; %bb.30:
	s_or_b64 exec, exec, s[6:7]
	v_mov_b32_e32 v70, 0
	ds_read_b64 v[70:71], v70 offset:32
	s_waitcnt lgkmcnt(0)
	v_mul_f32_e32 v73, v69, v71
	v_mul_f32_e32 v71, v74, v71
	v_fma_f32 v73, v74, v70, -v73
	v_fmac_f32_e32 v71, v69, v70
	buffer_store_dword v73, off, s[0:3], 0 offset:32
	buffer_store_dword v71, off, s[0:3], 0 offset:36
.LBB96_31:
	s_or_b64 exec, exec, s[4:5]
	s_waitcnt lgkmcnt(0)
	; wave barrier
	buffer_load_dword v70, off, s[0:3], 0 offset:40
	buffer_load_dword v71, off, s[0:3], 0 offset:44
	v_cmp_gt_u32_e32 vcc, 5, v0
	s_waitcnt vmcnt(0)
	ds_write_b64 v1, v[70:71]
	;; [unrolled: 51-line block ×19, first 2 shown]
	s_waitcnt lgkmcnt(0)
	; wave barrier
	s_waitcnt lgkmcnt(0)
	s_and_saveexec_b64 s[4:5], vcc
	s_cbranch_execz .LBB96_103
; %bb.100:
	v_add_u32_e32 v70, -1, v0
	v_add_u32_e32 v71, 0x110, v72
	v_add_u32_e32 v73, 0, v72
	s_mov_b64 s[6:7], 0
	v_mov_b32_e32 v69, 0
	v_mov_b32_e32 v74, 0
.LBB96_101:                             ; =>This Inner Loop Header: Depth=1
	buffer_load_dword v75, v73, s[0:3], 0 offen offset:4
	buffer_load_dword v78, v73, s[0:3], 0 offen
	ds_read_b64 v[76:77], v71
	v_add_u32_e32 v70, 1, v70
	v_cmp_lt_u32_e32 vcc, 20, v70
	v_add_u32_e32 v71, 8, v71
	v_add_u32_e32 v73, 8, v73
	s_or_b64 s[6:7], vcc, s[6:7]
	s_waitcnt vmcnt(1) lgkmcnt(0)
	v_mul_f32_e32 v79, v77, v75
	v_mul_f32_e32 v75, v76, v75
	s_waitcnt vmcnt(0)
	v_fma_f32 v76, v76, v78, -v79
	v_fmac_f32_e32 v75, v77, v78
	v_add_f32_e32 v74, v74, v76
	v_add_f32_e32 v69, v69, v75
	s_andn2_b64 exec, exec, s[6:7]
	s_cbranch_execnz .LBB96_101
; %bb.102:
	s_or_b64 exec, exec, s[6:7]
	v_mov_b32_e32 v70, 0
	ds_read_b64 v[70:71], v70 offset:176
	s_waitcnt lgkmcnt(0)
	v_mul_f32_e32 v73, v69, v71
	v_mul_f32_e32 v71, v74, v71
	v_fma_f32 v73, v74, v70, -v73
	v_fmac_f32_e32 v71, v69, v70
	buffer_store_dword v73, off, s[0:3], 0 offset:176
	buffer_store_dword v71, off, s[0:3], 0 offset:180
.LBB96_103:
	s_or_b64 exec, exec, s[4:5]
	s_waitcnt lgkmcnt(0)
	; wave barrier
	buffer_load_dword v70, off, s[0:3], 0 offset:184
	buffer_load_dword v71, off, s[0:3], 0 offset:188
	v_cmp_gt_u32_e32 vcc, 23, v0
	s_waitcnt vmcnt(0)
	ds_write_b64 v1, v[70:71]
	s_waitcnt lgkmcnt(0)
	; wave barrier
	s_waitcnt lgkmcnt(0)
	s_and_saveexec_b64 s[4:5], vcc
	s_cbranch_execz .LBB96_107
; %bb.104:
	v_add_u32_e32 v70, -1, v0
	v_add_u32_e32 v71, 0x110, v72
	v_add_u32_e32 v73, 0, v72
	s_mov_b64 s[6:7], 0
	v_mov_b32_e32 v69, 0
	v_mov_b32_e32 v74, 0
.LBB96_105:                             ; =>This Inner Loop Header: Depth=1
	buffer_load_dword v75, v73, s[0:3], 0 offen offset:4
	buffer_load_dword v78, v73, s[0:3], 0 offen
	ds_read_b64 v[76:77], v71
	v_add_u32_e32 v70, 1, v70
	v_cmp_lt_u32_e32 vcc, 21, v70
	v_add_u32_e32 v71, 8, v71
	v_add_u32_e32 v73, 8, v73
	s_or_b64 s[6:7], vcc, s[6:7]
	s_waitcnt vmcnt(1) lgkmcnt(0)
	v_mul_f32_e32 v79, v77, v75
	v_mul_f32_e32 v75, v76, v75
	s_waitcnt vmcnt(0)
	v_fma_f32 v76, v76, v78, -v79
	v_fmac_f32_e32 v75, v77, v78
	v_add_f32_e32 v74, v74, v76
	v_add_f32_e32 v69, v69, v75
	s_andn2_b64 exec, exec, s[6:7]
	s_cbranch_execnz .LBB96_105
; %bb.106:
	s_or_b64 exec, exec, s[6:7]
	v_mov_b32_e32 v70, 0
	ds_read_b64 v[70:71], v70 offset:184
	s_waitcnt lgkmcnt(0)
	v_mul_f32_e32 v73, v69, v71
	v_mul_f32_e32 v71, v74, v71
	v_fma_f32 v73, v74, v70, -v73
	v_fmac_f32_e32 v71, v69, v70
	buffer_store_dword v73, off, s[0:3], 0 offset:184
	buffer_store_dword v71, off, s[0:3], 0 offset:188
.LBB96_107:
	s_or_b64 exec, exec, s[4:5]
	s_waitcnt lgkmcnt(0)
	; wave barrier
	buffer_load_dword v70, off, s[0:3], 0 offset:192
	buffer_load_dword v71, off, s[0:3], 0 offset:196
	v_cmp_gt_u32_e32 vcc, 24, v0
	s_waitcnt vmcnt(0)
	ds_write_b64 v1, v[70:71]
	;; [unrolled: 51-line block ×9, first 2 shown]
	s_waitcnt lgkmcnt(0)
	; wave barrier
	s_waitcnt lgkmcnt(0)
	s_and_saveexec_b64 s[4:5], vcc
	s_cbranch_execz .LBB96_139
; %bb.136:
	v_add_u32_e32 v70, -1, v0
	v_add_u32_e32 v71, 0x110, v72
	v_add_u32_e32 v73, 0, v72
	s_mov_b64 s[6:7], 0
	v_mov_b32_e32 v69, 0
	v_mov_b32_e32 v74, 0
.LBB96_137:                             ; =>This Inner Loop Header: Depth=1
	buffer_load_dword v75, v73, s[0:3], 0 offen offset:4
	buffer_load_dword v78, v73, s[0:3], 0 offen
	ds_read_b64 v[76:77], v71
	v_add_u32_e32 v70, 1, v70
	v_cmp_lt_u32_e32 vcc, 29, v70
	v_add_u32_e32 v71, 8, v71
	v_add_u32_e32 v73, 8, v73
	s_or_b64 s[6:7], vcc, s[6:7]
	s_waitcnt vmcnt(1) lgkmcnt(0)
	v_mul_f32_e32 v79, v77, v75
	v_mul_f32_e32 v75, v76, v75
	s_waitcnt vmcnt(0)
	v_fma_f32 v76, v76, v78, -v79
	v_fmac_f32_e32 v75, v77, v78
	v_add_f32_e32 v74, v74, v76
	v_add_f32_e32 v69, v69, v75
	s_andn2_b64 exec, exec, s[6:7]
	s_cbranch_execnz .LBB96_137
; %bb.138:
	s_or_b64 exec, exec, s[6:7]
	v_mov_b32_e32 v70, 0
	ds_read_b64 v[70:71], v70 offset:248
	s_waitcnt lgkmcnt(0)
	v_mul_f32_e32 v73, v69, v71
	v_mul_f32_e32 v71, v74, v71
	v_fma_f32 v73, v74, v70, -v73
	v_fmac_f32_e32 v71, v69, v70
	buffer_store_dword v73, off, s[0:3], 0 offset:248
	buffer_store_dword v71, off, s[0:3], 0 offset:252
.LBB96_139:
	s_or_b64 exec, exec, s[4:5]
	s_waitcnt lgkmcnt(0)
	; wave barrier
	buffer_load_dword v70, off, s[0:3], 0 offset:256
	buffer_load_dword v71, off, s[0:3], 0 offset:260
	v_cmp_ne_u32_e32 vcc, 32, v0
	s_waitcnt vmcnt(0)
	ds_write_b64 v1, v[70:71]
	s_waitcnt lgkmcnt(0)
	; wave barrier
	s_waitcnt lgkmcnt(0)
	s_and_saveexec_b64 s[4:5], vcc
	s_cbranch_execz .LBB96_143
; %bb.140:
	v_add_u32_e32 v69, 0x110, v72
	v_add_u32_e32 v70, 0, v72
	s_mov_b64 s[6:7], 0
	v_mov_b32_e32 v1, 0
	v_mov_b32_e32 v71, 0
.LBB96_141:                             ; =>This Inner Loop Header: Depth=1
	buffer_load_dword v74, v70, s[0:3], 0 offen offset:4
	buffer_load_dword v75, v70, s[0:3], 0 offen
	ds_read_b64 v[72:73], v69
	v_add_u32_e32 v68, 1, v68
	v_cmp_lt_u32_e32 vcc, 30, v68
	v_add_u32_e32 v69, 8, v69
	v_add_u32_e32 v70, 8, v70
	s_or_b64 s[6:7], vcc, s[6:7]
	s_waitcnt vmcnt(1) lgkmcnt(0)
	v_mul_f32_e32 v76, v73, v74
	v_mul_f32_e32 v74, v72, v74
	s_waitcnt vmcnt(0)
	v_fma_f32 v72, v72, v75, -v76
	v_fmac_f32_e32 v74, v73, v75
	v_add_f32_e32 v71, v71, v72
	v_add_f32_e32 v1, v1, v74
	s_andn2_b64 exec, exec, s[6:7]
	s_cbranch_execnz .LBB96_141
; %bb.142:
	s_or_b64 exec, exec, s[6:7]
	v_mov_b32_e32 v68, 0
	ds_read_b64 v[68:69], v68 offset:256
	s_waitcnt lgkmcnt(0)
	v_mul_f32_e32 v70, v1, v69
	v_mul_f32_e32 v69, v71, v69
	v_fma_f32 v70, v71, v68, -v70
	v_fmac_f32_e32 v69, v1, v68
	buffer_store_dword v70, off, s[0:3], 0 offset:256
	buffer_store_dword v69, off, s[0:3], 0 offset:260
.LBB96_143:
	s_or_b64 exec, exec, s[4:5]
	s_mov_b64 s[6:7], -1
	s_waitcnt lgkmcnt(0)
	; wave barrier
.LBB96_144:
	s_and_b64 vcc, exec, s[6:7]
	s_cbranch_vccz .LBB96_146
; %bb.145:
	s_lshl_b64 s[4:5], s[8:9], 2
	s_add_u32 s4, s14, s4
	s_addc_u32 s5, s15, s5
	v_mov_b32_e32 v1, 0
	global_load_dword v1, v1, s[4:5]
	s_waitcnt vmcnt(0)
	v_cmp_ne_u32_e32 vcc, 0, v1
	s_cbranch_vccz .LBB96_147
.LBB96_146:
	s_endpgm
.LBB96_147:
	v_mov_b32_e32 v1, 0x110
	v_lshl_add_u32 v1, v0, 3, v1
	v_cmp_eq_u32_e32 vcc, 32, v0
	s_and_saveexec_b64 s[4:5], vcc
	s_cbranch_execz .LBB96_149
; %bb.148:
	buffer_load_dword v68, off, s[0:3], 0 offset:248
	buffer_load_dword v69, off, s[0:3], 0 offset:252
	v_mov_b32_e32 v70, 0
	buffer_store_dword v70, off, s[0:3], 0 offset:248
	buffer_store_dword v70, off, s[0:3], 0 offset:252
	s_waitcnt vmcnt(2)
	ds_write_b64 v1, v[68:69]
.LBB96_149:
	s_or_b64 exec, exec, s[4:5]
	s_waitcnt lgkmcnt(0)
	; wave barrier
	s_waitcnt lgkmcnt(0)
	buffer_load_dword v71, off, s[0:3], 0 offset:260
	buffer_load_dword v70, off, s[0:3], 0 offset:256
	;; [unrolled: 1-line block ×4, first 2 shown]
	v_mov_b32_e32 v68, 0
	ds_read_b64 v[74:75], v68 offset:528
	v_cmp_lt_u32_e32 vcc, 30, v0
	s_waitcnt vmcnt(3)
	v_mov_b32_e32 v76, v71
	s_waitcnt lgkmcnt(0)
	v_pk_mul_f32 v[76:77], v[74:75], v[76:77] op_sel_hi:[1,0]
	s_waitcnt vmcnt(2)
	v_pk_fma_f32 v[78:79], v[74:75], v[70:71], v[76:77] op_sel:[0,0,1] op_sel_hi:[1,1,0] neg_lo:[0,0,1] neg_hi:[0,0,1]
	v_pk_fma_f32 v[70:71], v[74:75], v[70:71], v[76:77] op_sel:[0,0,1] op_sel_hi:[1,0,0]
	v_mov_b32_e32 v79, v71
	v_pk_add_f32 v[70:71], v[78:79], 0 op_sel_hi:[1,0]
	s_waitcnt vmcnt(0)
	v_pk_add_f32 v[70:71], v[72:73], v[70:71] neg_lo:[0,1] neg_hi:[0,1]
	buffer_store_dword v70, off, s[0:3], 0 offset:248
	buffer_store_dword v71, off, s[0:3], 0 offset:252
	s_and_saveexec_b64 s[4:5], vcc
	s_cbranch_execz .LBB96_151
; %bb.150:
	buffer_load_dword v70, off, s[0:3], 0 offset:240
	buffer_load_dword v71, off, s[0:3], 0 offset:244
	s_waitcnt vmcnt(0)
	ds_write_b64 v1, v[70:71]
	buffer_store_dword v68, off, s[0:3], 0 offset:240
	buffer_store_dword v68, off, s[0:3], 0 offset:244
.LBB96_151:
	s_or_b64 exec, exec, s[4:5]
	s_waitcnt lgkmcnt(0)
	; wave barrier
	s_waitcnt lgkmcnt(0)
	buffer_load_dword v73, off, s[0:3], 0 offset:252
	buffer_load_dword v75, off, s[0:3], 0 offset:260
	buffer_load_dword v72, off, s[0:3], 0 offset:248
	buffer_load_dword v74, off, s[0:3], 0 offset:256
	buffer_load_dword v76, off, s[0:3], 0 offset:240
	buffer_load_dword v77, off, s[0:3], 0 offset:244
	ds_read2_b64 v[68:71], v68 offset0:65 offset1:66
	v_cmp_lt_u32_e32 vcc, 29, v0
	s_waitcnt vmcnt(5)
	v_mov_b32_e32 v78, v73
	s_waitcnt vmcnt(4)
	v_mov_b32_e32 v80, v75
	s_waitcnt lgkmcnt(0)
	v_pk_mul_f32 v[78:79], v[68:69], v[78:79] op_sel_hi:[1,0]
	v_pk_mul_f32 v[80:81], v[70:71], v[80:81] op_sel_hi:[1,0]
	s_waitcnt vmcnt(3)
	v_pk_fma_f32 v[82:83], v[68:69], v[72:73], v[78:79] op_sel:[0,0,1] op_sel_hi:[1,1,0] neg_lo:[0,0,1] neg_hi:[0,0,1]
	v_pk_fma_f32 v[68:69], v[68:69], v[72:73], v[78:79] op_sel:[0,0,1] op_sel_hi:[1,0,0]
	s_waitcnt vmcnt(2)
	v_pk_fma_f32 v[72:73], v[70:71], v[74:75], v[80:81] op_sel:[0,0,1] op_sel_hi:[1,1,0] neg_lo:[0,0,1] neg_hi:[0,0,1]
	v_pk_fma_f32 v[70:71], v[70:71], v[74:75], v[80:81] op_sel:[0,0,1] op_sel_hi:[1,0,0]
	v_mov_b32_e32 v83, v69
	v_mov_b32_e32 v73, v71
	v_pk_add_f32 v[68:69], v[82:83], 0 op_sel_hi:[1,0]
	v_pk_add_f32 v[68:69], v[68:69], v[72:73]
	s_waitcnt vmcnt(0)
	v_pk_add_f32 v[68:69], v[76:77], v[68:69] neg_lo:[0,1] neg_hi:[0,1]
	buffer_store_dword v68, off, s[0:3], 0 offset:240
	buffer_store_dword v69, off, s[0:3], 0 offset:244
	s_and_saveexec_b64 s[4:5], vcc
	s_cbranch_execz .LBB96_153
; %bb.152:
	buffer_load_dword v68, off, s[0:3], 0 offset:232
	buffer_load_dword v69, off, s[0:3], 0 offset:236
	v_mov_b32_e32 v70, 0
	buffer_store_dword v70, off, s[0:3], 0 offset:232
	buffer_store_dword v70, off, s[0:3], 0 offset:236
	s_waitcnt vmcnt(2)
	ds_write_b64 v1, v[68:69]
.LBB96_153:
	s_or_b64 exec, exec, s[4:5]
	s_waitcnt lgkmcnt(0)
	; wave barrier
	s_waitcnt lgkmcnt(0)
	buffer_load_dword v75, off, s[0:3], 0 offset:244
	buffer_load_dword v77, off, s[0:3], 0 offset:252
	;; [unrolled: 1-line block ×8, first 2 shown]
	v_mov_b32_e32 v68, 0
	ds_read_b128 v[70:73], v68 offset:512
	ds_read_b64 v[82:83], v68 offset:528
	v_cmp_lt_u32_e32 vcc, 28, v0
	s_waitcnt vmcnt(7)
	v_mov_b32_e32 v84, v75
	s_waitcnt vmcnt(6)
	v_mov_b32_e32 v86, v77
	s_waitcnt lgkmcnt(1)
	v_pk_mul_f32 v[84:85], v[70:71], v[84:85] op_sel_hi:[1,0]
	s_waitcnt vmcnt(5)
	v_mov_b32_e32 v88, v79
	v_pk_mul_f32 v[86:87], v[72:73], v[86:87] op_sel_hi:[1,0]
	s_waitcnt vmcnt(4)
	v_pk_fma_f32 v[90:91], v[70:71], v[74:75], v[84:85] op_sel:[0,0,1] op_sel_hi:[1,1,0] neg_lo:[0,0,1] neg_hi:[0,0,1]
	v_pk_fma_f32 v[70:71], v[70:71], v[74:75], v[84:85] op_sel:[0,0,1] op_sel_hi:[1,0,0]
	s_waitcnt lgkmcnt(0)
	v_pk_mul_f32 v[88:89], v[82:83], v[88:89] op_sel_hi:[1,0]
	s_waitcnt vmcnt(3)
	v_pk_fma_f32 v[74:75], v[72:73], v[76:77], v[86:87] op_sel:[0,0,1] op_sel_hi:[1,1,0] neg_lo:[0,0,1] neg_hi:[0,0,1]
	v_pk_fma_f32 v[72:73], v[72:73], v[76:77], v[86:87] op_sel:[0,0,1] op_sel_hi:[1,0,0]
	v_mov_b32_e32 v91, v71
	s_waitcnt vmcnt(2)
	v_pk_fma_f32 v[76:77], v[82:83], v[78:79], v[88:89] op_sel:[0,0,1] op_sel_hi:[1,1,0] neg_lo:[0,0,1] neg_hi:[0,0,1]
	v_pk_fma_f32 v[78:79], v[82:83], v[78:79], v[88:89] op_sel:[0,0,1] op_sel_hi:[1,0,0]
	v_mov_b32_e32 v75, v73
	v_pk_add_f32 v[70:71], v[90:91], 0 op_sel_hi:[1,0]
	v_mov_b32_e32 v77, v79
	v_pk_add_f32 v[70:71], v[70:71], v[74:75]
	v_pk_add_f32 v[70:71], v[70:71], v[76:77]
	s_waitcnt vmcnt(0)
	v_pk_add_f32 v[70:71], v[80:81], v[70:71] neg_lo:[0,1] neg_hi:[0,1]
	buffer_store_dword v70, off, s[0:3], 0 offset:232
	buffer_store_dword v71, off, s[0:3], 0 offset:236
	s_and_saveexec_b64 s[4:5], vcc
	s_cbranch_execz .LBB96_155
; %bb.154:
	buffer_load_dword v70, off, s[0:3], 0 offset:224
	buffer_load_dword v71, off, s[0:3], 0 offset:228
	s_waitcnt vmcnt(0)
	ds_write_b64 v1, v[70:71]
	buffer_store_dword v68, off, s[0:3], 0 offset:224
	buffer_store_dword v68, off, s[0:3], 0 offset:228
.LBB96_155:
	s_or_b64 exec, exec, s[4:5]
	s_waitcnt lgkmcnt(0)
	; wave barrier
	s_waitcnt lgkmcnt(0)
	buffer_load_dword v79, off, s[0:3], 0 offset:236
	buffer_load_dword v81, off, s[0:3], 0 offset:244
	;; [unrolled: 1-line block ×10, first 2 shown]
	ds_read2_b64 v[70:73], v68 offset0:63 offset1:64
	ds_read2_b64 v[74:77], v68 offset0:65 offset1:66
	v_cmp_lt_u32_e32 vcc, 27, v0
	s_waitcnt vmcnt(9)
	v_mov_b32_e32 v68, v79
	s_waitcnt vmcnt(8)
	v_mov_b32_e32 v88, v81
	s_waitcnt lgkmcnt(1)
	v_pk_mul_f32 v[68:69], v[70:71], v[68:69] op_sel_hi:[1,0]
	s_waitcnt vmcnt(7)
	v_mov_b32_e32 v90, v83
	v_pk_mul_f32 v[88:89], v[72:73], v[88:89] op_sel_hi:[1,0]
	s_waitcnt vmcnt(5)
	v_pk_fma_f32 v[94:95], v[70:71], v[78:79], v[68:69] op_sel:[0,0,1] op_sel_hi:[1,1,0] neg_lo:[0,0,1] neg_hi:[0,0,1]
	v_pk_fma_f32 v[68:69], v[70:71], v[78:79], v[68:69] op_sel:[0,0,1] op_sel_hi:[1,0,0]
	v_mov_b32_e32 v92, v85
	s_waitcnt lgkmcnt(0)
	v_pk_mul_f32 v[90:91], v[74:75], v[90:91] op_sel_hi:[1,0]
	s_waitcnt vmcnt(4)
	v_pk_fma_f32 v[70:71], v[72:73], v[80:81], v[88:89] op_sel:[0,0,1] op_sel_hi:[1,1,0] neg_lo:[0,0,1] neg_hi:[0,0,1]
	v_pk_fma_f32 v[72:73], v[72:73], v[80:81], v[88:89] op_sel:[0,0,1] op_sel_hi:[1,0,0]
	v_mov_b32_e32 v95, v69
	v_pk_mul_f32 v[92:93], v[76:77], v[92:93] op_sel_hi:[1,0]
	s_waitcnt vmcnt(3)
	v_pk_fma_f32 v[78:79], v[74:75], v[82:83], v[90:91] op_sel:[0,0,1] op_sel_hi:[1,1,0] neg_lo:[0,0,1] neg_hi:[0,0,1]
	v_pk_fma_f32 v[74:75], v[74:75], v[82:83], v[90:91] op_sel:[0,0,1] op_sel_hi:[1,0,0]
	v_mov_b32_e32 v71, v73
	v_pk_add_f32 v[68:69], v[94:95], 0 op_sel_hi:[1,0]
	s_waitcnt vmcnt(2)
	v_pk_fma_f32 v[80:81], v[76:77], v[84:85], v[92:93] op_sel:[0,0,1] op_sel_hi:[1,1,0] neg_lo:[0,0,1] neg_hi:[0,0,1]
	v_pk_fma_f32 v[76:77], v[76:77], v[84:85], v[92:93] op_sel:[0,0,1] op_sel_hi:[1,0,0]
	v_mov_b32_e32 v79, v75
	v_pk_add_f32 v[68:69], v[68:69], v[70:71]
	v_mov_b32_e32 v81, v77
	v_pk_add_f32 v[68:69], v[68:69], v[78:79]
	v_pk_add_f32 v[68:69], v[68:69], v[80:81]
	s_waitcnt vmcnt(0)
	v_pk_add_f32 v[68:69], v[86:87], v[68:69] neg_lo:[0,1] neg_hi:[0,1]
	buffer_store_dword v68, off, s[0:3], 0 offset:224
	buffer_store_dword v69, off, s[0:3], 0 offset:228
	s_and_saveexec_b64 s[4:5], vcc
	s_cbranch_execz .LBB96_157
; %bb.156:
	buffer_load_dword v68, off, s[0:3], 0 offset:216
	buffer_load_dword v69, off, s[0:3], 0 offset:220
	v_mov_b32_e32 v70, 0
	buffer_store_dword v70, off, s[0:3], 0 offset:216
	buffer_store_dword v70, off, s[0:3], 0 offset:220
	s_waitcnt vmcnt(2)
	ds_write_b64 v1, v[68:69]
.LBB96_157:
	s_or_b64 exec, exec, s[4:5]
	s_waitcnt lgkmcnt(0)
	; wave barrier
	s_waitcnt lgkmcnt(0)
	buffer_load_dword v79, off, s[0:3], 0 offset:228
	buffer_load_dword v81, off, s[0:3], 0 offset:236
	;; [unrolled: 1-line block ×12, first 2 shown]
	v_mov_b32_e32 v68, 0
	ds_read_b128 v[70:73], v68 offset:496
	ds_read_b128 v[74:77], v68 offset:512
	ds_read_b64 v[90:91], v68 offset:528
	v_cmp_lt_u32_e32 vcc, 26, v0
	s_waitcnt vmcnt(11)
	v_mov_b32_e32 v92, v79
	s_waitcnt vmcnt(10)
	v_mov_b32_e32 v94, v81
	s_waitcnt lgkmcnt(2)
	v_pk_mul_f32 v[92:93], v[70:71], v[92:93] op_sel_hi:[1,0]
	s_waitcnt vmcnt(9)
	v_mov_b32_e32 v96, v83
	v_pk_mul_f32 v[94:95], v[72:73], v[94:95] op_sel_hi:[1,0]
	s_waitcnt vmcnt(6)
	v_pk_fma_f32 v[102:103], v[70:71], v[78:79], v[92:93] op_sel:[0,0,1] op_sel_hi:[1,1,0] neg_lo:[0,0,1] neg_hi:[0,0,1]
	v_pk_fma_f32 v[70:71], v[70:71], v[78:79], v[92:93] op_sel:[0,0,1] op_sel_hi:[1,0,0]
	v_mov_b32_e32 v98, v85
	s_waitcnt lgkmcnt(1)
	v_pk_mul_f32 v[96:97], v[74:75], v[96:97] op_sel_hi:[1,0]
	s_waitcnt vmcnt(5)
	v_pk_fma_f32 v[78:79], v[72:73], v[80:81], v[94:95] op_sel:[0,0,1] op_sel_hi:[1,1,0] neg_lo:[0,0,1] neg_hi:[0,0,1]
	v_pk_fma_f32 v[72:73], v[72:73], v[80:81], v[94:95] op_sel:[0,0,1] op_sel_hi:[1,0,0]
	v_mov_b32_e32 v103, v71
	v_mov_b32_e32 v100, v87
	v_pk_mul_f32 v[98:99], v[76:77], v[98:99] op_sel_hi:[1,0]
	s_waitcnt vmcnt(4)
	v_pk_fma_f32 v[80:81], v[74:75], v[82:83], v[96:97] op_sel:[0,0,1] op_sel_hi:[1,1,0] neg_lo:[0,0,1] neg_hi:[0,0,1]
	v_pk_fma_f32 v[74:75], v[74:75], v[82:83], v[96:97] op_sel:[0,0,1] op_sel_hi:[1,0,0]
	v_mov_b32_e32 v79, v73
	v_pk_add_f32 v[70:71], v[102:103], 0 op_sel_hi:[1,0]
	s_waitcnt lgkmcnt(0)
	v_pk_mul_f32 v[100:101], v[90:91], v[100:101] op_sel_hi:[1,0]
	s_waitcnt vmcnt(3)
	v_pk_fma_f32 v[82:83], v[76:77], v[84:85], v[98:99] op_sel:[0,0,1] op_sel_hi:[1,1,0] neg_lo:[0,0,1] neg_hi:[0,0,1]
	v_pk_fma_f32 v[76:77], v[76:77], v[84:85], v[98:99] op_sel:[0,0,1] op_sel_hi:[1,0,0]
	v_mov_b32_e32 v81, v75
	v_pk_add_f32 v[70:71], v[70:71], v[78:79]
	s_waitcnt vmcnt(2)
	v_pk_fma_f32 v[84:85], v[90:91], v[86:87], v[100:101] op_sel:[0,0,1] op_sel_hi:[1,1,0] neg_lo:[0,0,1] neg_hi:[0,0,1]
	v_pk_fma_f32 v[86:87], v[90:91], v[86:87], v[100:101] op_sel:[0,0,1] op_sel_hi:[1,0,0]
	v_mov_b32_e32 v83, v77
	v_pk_add_f32 v[70:71], v[70:71], v[80:81]
	v_mov_b32_e32 v85, v87
	v_pk_add_f32 v[70:71], v[70:71], v[82:83]
	v_pk_add_f32 v[70:71], v[70:71], v[84:85]
	s_waitcnt vmcnt(0)
	v_pk_add_f32 v[70:71], v[88:89], v[70:71] neg_lo:[0,1] neg_hi:[0,1]
	buffer_store_dword v70, off, s[0:3], 0 offset:216
	buffer_store_dword v71, off, s[0:3], 0 offset:220
	s_and_saveexec_b64 s[4:5], vcc
	s_cbranch_execz .LBB96_159
; %bb.158:
	buffer_load_dword v70, off, s[0:3], 0 offset:208
	buffer_load_dword v71, off, s[0:3], 0 offset:212
	s_waitcnt vmcnt(0)
	ds_write_b64 v1, v[70:71]
	buffer_store_dword v68, off, s[0:3], 0 offset:208
	buffer_store_dword v68, off, s[0:3], 0 offset:212
.LBB96_159:
	s_or_b64 exec, exec, s[4:5]
	s_waitcnt lgkmcnt(0)
	; wave barrier
	s_waitcnt lgkmcnt(0)
	buffer_load_dword v83, off, s[0:3], 0 offset:220
	buffer_load_dword v85, off, s[0:3], 0 offset:228
	;; [unrolled: 1-line block ×14, first 2 shown]
	ds_read2_b64 v[70:73], v68 offset0:61 offset1:62
	ds_read2_b64 v[74:77], v68 offset0:63 offset1:64
	;; [unrolled: 1-line block ×3, first 2 shown]
	v_cmp_lt_u32_e32 vcc, 25, v0
	s_waitcnt vmcnt(13)
	v_mov_b32_e32 v68, v83
	s_waitcnt vmcnt(12)
	v_mov_b32_e32 v96, v85
	s_waitcnt lgkmcnt(2)
	v_pk_mul_f32 v[68:69], v[70:71], v[68:69] op_sel_hi:[1,0]
	s_waitcnt vmcnt(11)
	v_mov_b32_e32 v98, v87
	v_pk_mul_f32 v[96:97], v[72:73], v[96:97] op_sel_hi:[1,0]
	s_waitcnt vmcnt(10)
	v_mov_b32_e32 v100, v89
	s_waitcnt vmcnt(7)
	v_pk_fma_f32 v[106:107], v[70:71], v[82:83], v[68:69] op_sel:[0,0,1] op_sel_hi:[1,1,0] neg_lo:[0,0,1] neg_hi:[0,0,1]
	v_pk_fma_f32 v[68:69], v[70:71], v[82:83], v[68:69] op_sel:[0,0,1] op_sel_hi:[1,0,0]
	s_waitcnt lgkmcnt(1)
	v_pk_mul_f32 v[98:99], v[74:75], v[98:99] op_sel_hi:[1,0]
	s_waitcnt vmcnt(6)
	v_pk_fma_f32 v[70:71], v[72:73], v[84:85], v[96:97] op_sel:[0,0,1] op_sel_hi:[1,1,0] neg_lo:[0,0,1] neg_hi:[0,0,1]
	v_pk_fma_f32 v[72:73], v[72:73], v[84:85], v[96:97] op_sel:[0,0,1] op_sel_hi:[1,0,0]
	v_mov_b32_e32 v107, v69
	v_mov_b32_e32 v102, v91
	v_pk_mul_f32 v[100:101], v[76:77], v[100:101] op_sel_hi:[1,0]
	s_waitcnt vmcnt(5)
	v_pk_fma_f32 v[82:83], v[74:75], v[86:87], v[98:99] op_sel:[0,0,1] op_sel_hi:[1,1,0] neg_lo:[0,0,1] neg_hi:[0,0,1]
	v_pk_fma_f32 v[74:75], v[74:75], v[86:87], v[98:99] op_sel:[0,0,1] op_sel_hi:[1,0,0]
	v_mov_b32_e32 v71, v73
	v_pk_add_f32 v[68:69], v[106:107], 0 op_sel_hi:[1,0]
	v_mov_b32_e32 v104, v93
	s_waitcnt lgkmcnt(0)
	v_pk_mul_f32 v[102:103], v[78:79], v[102:103] op_sel_hi:[1,0]
	s_waitcnt vmcnt(4)
	v_pk_fma_f32 v[84:85], v[76:77], v[88:89], v[100:101] op_sel:[0,0,1] op_sel_hi:[1,1,0] neg_lo:[0,0,1] neg_hi:[0,0,1]
	v_pk_fma_f32 v[76:77], v[76:77], v[88:89], v[100:101] op_sel:[0,0,1] op_sel_hi:[1,0,0]
	v_mov_b32_e32 v83, v75
	v_pk_add_f32 v[68:69], v[68:69], v[70:71]
	v_pk_mul_f32 v[104:105], v[80:81], v[104:105] op_sel_hi:[1,0]
	s_waitcnt vmcnt(3)
	v_pk_fma_f32 v[86:87], v[78:79], v[90:91], v[102:103] op_sel:[0,0,1] op_sel_hi:[1,1,0] neg_lo:[0,0,1] neg_hi:[0,0,1]
	v_pk_fma_f32 v[78:79], v[78:79], v[90:91], v[102:103] op_sel:[0,0,1] op_sel_hi:[1,0,0]
	v_mov_b32_e32 v85, v77
	v_pk_add_f32 v[68:69], v[68:69], v[82:83]
	s_waitcnt vmcnt(2)
	v_pk_fma_f32 v[88:89], v[80:81], v[92:93], v[104:105] op_sel:[0,0,1] op_sel_hi:[1,1,0] neg_lo:[0,0,1] neg_hi:[0,0,1]
	v_pk_fma_f32 v[80:81], v[80:81], v[92:93], v[104:105] op_sel:[0,0,1] op_sel_hi:[1,0,0]
	v_mov_b32_e32 v87, v79
	v_pk_add_f32 v[68:69], v[68:69], v[84:85]
	v_mov_b32_e32 v89, v81
	v_pk_add_f32 v[68:69], v[68:69], v[86:87]
	v_pk_add_f32 v[68:69], v[68:69], v[88:89]
	s_waitcnt vmcnt(0)
	v_pk_add_f32 v[68:69], v[94:95], v[68:69] neg_lo:[0,1] neg_hi:[0,1]
	buffer_store_dword v68, off, s[0:3], 0 offset:208
	buffer_store_dword v69, off, s[0:3], 0 offset:212
	s_and_saveexec_b64 s[4:5], vcc
	s_cbranch_execz .LBB96_161
; %bb.160:
	buffer_load_dword v68, off, s[0:3], 0 offset:200
	buffer_load_dword v69, off, s[0:3], 0 offset:204
	v_mov_b32_e32 v70, 0
	buffer_store_dword v70, off, s[0:3], 0 offset:200
	buffer_store_dword v70, off, s[0:3], 0 offset:204
	s_waitcnt vmcnt(2)
	ds_write_b64 v1, v[68:69]
.LBB96_161:
	s_or_b64 exec, exec, s[4:5]
	s_waitcnt lgkmcnt(0)
	; wave barrier
	s_waitcnt lgkmcnt(0)
	buffer_load_dword v83, off, s[0:3], 0 offset:212
	buffer_load_dword v85, off, s[0:3], 0 offset:220
	;; [unrolled: 1-line block ×16, first 2 shown]
	v_mov_b32_e32 v68, 0
	ds_read_b128 v[70:73], v68 offset:480
	ds_read_b128 v[74:77], v68 offset:496
	;; [unrolled: 1-line block ×3, first 2 shown]
	ds_read_b64 v[98:99], v68 offset:528
	v_cmp_lt_u32_e32 vcc, 24, v0
	s_waitcnt vmcnt(15)
	v_mov_b32_e32 v100, v83
	s_waitcnt vmcnt(14)
	v_mov_b32_e32 v102, v85
	s_waitcnt lgkmcnt(3)
	v_pk_mul_f32 v[100:101], v[70:71], v[100:101] op_sel_hi:[1,0]
	s_waitcnt vmcnt(13)
	v_mov_b32_e32 v104, v87
	v_pk_mul_f32 v[102:103], v[72:73], v[102:103] op_sel_hi:[1,0]
	s_waitcnt vmcnt(12)
	v_mov_b32_e32 v106, v89
	s_waitcnt lgkmcnt(2)
	v_pk_mul_f32 v[104:105], v[74:75], v[104:105] op_sel_hi:[1,0]
	s_waitcnt vmcnt(8)
	v_pk_fma_f32 v[114:115], v[70:71], v[82:83], v[100:101] op_sel:[0,0,1] op_sel_hi:[1,1,0] neg_lo:[0,0,1] neg_hi:[0,0,1]
	v_pk_fma_f32 v[70:71], v[70:71], v[82:83], v[100:101] op_sel:[0,0,1] op_sel_hi:[1,0,0]
	s_waitcnt vmcnt(7)
	v_pk_fma_f32 v[82:83], v[72:73], v[84:85], v[102:103] op_sel:[0,0,1] op_sel_hi:[1,1,0] neg_lo:[0,0,1] neg_hi:[0,0,1]
	v_pk_fma_f32 v[72:73], v[72:73], v[84:85], v[102:103] op_sel:[0,0,1] op_sel_hi:[1,0,0]
	v_mov_b32_e32 v115, v71
	v_mov_b32_e32 v108, v91
	v_pk_mul_f32 v[106:107], v[76:77], v[106:107] op_sel_hi:[1,0]
	s_waitcnt vmcnt(6)
	v_pk_fma_f32 v[84:85], v[74:75], v[86:87], v[104:105] op_sel:[0,0,1] op_sel_hi:[1,1,0] neg_lo:[0,0,1] neg_hi:[0,0,1]
	v_pk_fma_f32 v[74:75], v[74:75], v[86:87], v[104:105] op_sel:[0,0,1] op_sel_hi:[1,0,0]
	v_mov_b32_e32 v83, v73
	v_pk_add_f32 v[70:71], v[114:115], 0 op_sel_hi:[1,0]
	v_mov_b32_e32 v110, v93
	s_waitcnt lgkmcnt(1)
	v_pk_mul_f32 v[108:109], v[78:79], v[108:109] op_sel_hi:[1,0]
	s_waitcnt vmcnt(5)
	v_pk_fma_f32 v[86:87], v[76:77], v[88:89], v[106:107] op_sel:[0,0,1] op_sel_hi:[1,1,0] neg_lo:[0,0,1] neg_hi:[0,0,1]
	v_pk_fma_f32 v[76:77], v[76:77], v[88:89], v[106:107] op_sel:[0,0,1] op_sel_hi:[1,0,0]
	v_mov_b32_e32 v85, v75
	v_pk_add_f32 v[70:71], v[70:71], v[82:83]
	v_mov_b32_e32 v112, v95
	v_pk_mul_f32 v[110:111], v[80:81], v[110:111] op_sel_hi:[1,0]
	s_waitcnt vmcnt(4)
	v_pk_fma_f32 v[88:89], v[78:79], v[90:91], v[108:109] op_sel:[0,0,1] op_sel_hi:[1,1,0] neg_lo:[0,0,1] neg_hi:[0,0,1]
	v_pk_fma_f32 v[78:79], v[78:79], v[90:91], v[108:109] op_sel:[0,0,1] op_sel_hi:[1,0,0]
	v_mov_b32_e32 v87, v77
	v_pk_add_f32 v[70:71], v[70:71], v[84:85]
	s_waitcnt lgkmcnt(0)
	v_pk_mul_f32 v[112:113], v[98:99], v[112:113] op_sel_hi:[1,0]
	s_waitcnt vmcnt(3)
	v_pk_fma_f32 v[90:91], v[80:81], v[92:93], v[110:111] op_sel:[0,0,1] op_sel_hi:[1,1,0] neg_lo:[0,0,1] neg_hi:[0,0,1]
	v_pk_fma_f32 v[80:81], v[80:81], v[92:93], v[110:111] op_sel:[0,0,1] op_sel_hi:[1,0,0]
	v_mov_b32_e32 v89, v79
	v_pk_add_f32 v[70:71], v[70:71], v[86:87]
	s_waitcnt vmcnt(2)
	v_pk_fma_f32 v[92:93], v[98:99], v[94:95], v[112:113] op_sel:[0,0,1] op_sel_hi:[1,1,0] neg_lo:[0,0,1] neg_hi:[0,0,1]
	v_pk_fma_f32 v[94:95], v[98:99], v[94:95], v[112:113] op_sel:[0,0,1] op_sel_hi:[1,0,0]
	v_mov_b32_e32 v91, v81
	v_pk_add_f32 v[70:71], v[70:71], v[88:89]
	v_mov_b32_e32 v93, v95
	v_pk_add_f32 v[70:71], v[70:71], v[90:91]
	v_pk_add_f32 v[70:71], v[70:71], v[92:93]
	s_waitcnt vmcnt(0)
	v_pk_add_f32 v[70:71], v[96:97], v[70:71] neg_lo:[0,1] neg_hi:[0,1]
	buffer_store_dword v70, off, s[0:3], 0 offset:200
	buffer_store_dword v71, off, s[0:3], 0 offset:204
	s_and_saveexec_b64 s[4:5], vcc
	s_cbranch_execz .LBB96_163
; %bb.162:
	buffer_load_dword v70, off, s[0:3], 0 offset:192
	buffer_load_dword v71, off, s[0:3], 0 offset:196
	s_waitcnt vmcnt(0)
	ds_write_b64 v1, v[70:71]
	buffer_store_dword v68, off, s[0:3], 0 offset:192
	buffer_store_dword v68, off, s[0:3], 0 offset:196
.LBB96_163:
	s_or_b64 exec, exec, s[4:5]
	s_waitcnt lgkmcnt(0)
	; wave barrier
	s_waitcnt lgkmcnt(0)
	buffer_load_dword v87, off, s[0:3], 0 offset:204
	buffer_load_dword v89, off, s[0:3], 0 offset:212
	;; [unrolled: 1-line block ×18, first 2 shown]
	ds_read2_b64 v[70:73], v68 offset0:59 offset1:60
	ds_read2_b64 v[74:77], v68 offset0:61 offset1:62
	ds_read2_b64 v[78:81], v68 offset0:63 offset1:64
	ds_read2_b64 v[82:85], v68 offset0:65 offset1:66
	v_cmp_lt_u32_e32 vcc, 23, v0
	s_waitcnt vmcnt(17)
	v_mov_b32_e32 v68, v87
	s_waitcnt vmcnt(16)
	v_mov_b32_e32 v104, v89
	s_waitcnt lgkmcnt(3)
	v_pk_mul_f32 v[68:69], v[70:71], v[68:69] op_sel_hi:[1,0]
	s_waitcnt vmcnt(15)
	v_mov_b32_e32 v106, v91
	v_pk_mul_f32 v[104:105], v[72:73], v[104:105] op_sel_hi:[1,0]
	s_waitcnt vmcnt(14)
	v_mov_b32_e32 v108, v93
	s_waitcnt lgkmcnt(2)
	v_pk_mul_f32 v[106:107], v[74:75], v[106:107] op_sel_hi:[1,0]
	s_waitcnt vmcnt(13)
	v_mov_b32_e32 v110, v95
	s_waitcnt vmcnt(9)
	v_pk_fma_f32 v[118:119], v[70:71], v[86:87], v[68:69] op_sel:[0,0,1] op_sel_hi:[1,1,0] neg_lo:[0,0,1] neg_hi:[0,0,1]
	v_pk_fma_f32 v[68:69], v[70:71], v[86:87], v[68:69] op_sel:[0,0,1] op_sel_hi:[1,0,0]
	s_waitcnt vmcnt(8)
	v_pk_fma_f32 v[70:71], v[72:73], v[88:89], v[104:105] op_sel:[0,0,1] op_sel_hi:[1,1,0] neg_lo:[0,0,1] neg_hi:[0,0,1]
	v_pk_fma_f32 v[72:73], v[72:73], v[88:89], v[104:105] op_sel:[0,0,1] op_sel_hi:[1,0,0]
	v_mov_b32_e32 v119, v69
	v_pk_mul_f32 v[108:109], v[76:77], v[108:109] op_sel_hi:[1,0]
	s_waitcnt vmcnt(7)
	v_pk_fma_f32 v[86:87], v[74:75], v[90:91], v[106:107] op_sel:[0,0,1] op_sel_hi:[1,1,0] neg_lo:[0,0,1] neg_hi:[0,0,1]
	v_pk_fma_f32 v[74:75], v[74:75], v[90:91], v[106:107] op_sel:[0,0,1] op_sel_hi:[1,0,0]
	v_mov_b32_e32 v71, v73
	v_pk_add_f32 v[68:69], v[118:119], 0 op_sel_hi:[1,0]
	v_mov_b32_e32 v112, v97
	s_waitcnt lgkmcnt(1)
	v_pk_mul_f32 v[110:111], v[78:79], v[110:111] op_sel_hi:[1,0]
	s_waitcnt vmcnt(6)
	v_pk_fma_f32 v[88:89], v[76:77], v[92:93], v[108:109] op_sel:[0,0,1] op_sel_hi:[1,1,0] neg_lo:[0,0,1] neg_hi:[0,0,1]
	v_pk_fma_f32 v[76:77], v[76:77], v[92:93], v[108:109] op_sel:[0,0,1] op_sel_hi:[1,0,0]
	v_mov_b32_e32 v87, v75
	v_pk_add_f32 v[68:69], v[68:69], v[70:71]
	v_mov_b32_e32 v114, v99
	v_pk_mul_f32 v[112:113], v[80:81], v[112:113] op_sel_hi:[1,0]
	s_waitcnt vmcnt(5)
	v_pk_fma_f32 v[90:91], v[78:79], v[94:95], v[110:111] op_sel:[0,0,1] op_sel_hi:[1,1,0] neg_lo:[0,0,1] neg_hi:[0,0,1]
	v_pk_fma_f32 v[78:79], v[78:79], v[94:95], v[110:111] op_sel:[0,0,1] op_sel_hi:[1,0,0]
	v_mov_b32_e32 v89, v77
	v_pk_add_f32 v[68:69], v[68:69], v[86:87]
	v_mov_b32_e32 v116, v101
	s_waitcnt lgkmcnt(0)
	v_pk_mul_f32 v[114:115], v[82:83], v[114:115] op_sel_hi:[1,0]
	s_waitcnt vmcnt(4)
	v_pk_fma_f32 v[92:93], v[80:81], v[96:97], v[112:113] op_sel:[0,0,1] op_sel_hi:[1,1,0] neg_lo:[0,0,1] neg_hi:[0,0,1]
	v_pk_fma_f32 v[80:81], v[80:81], v[96:97], v[112:113] op_sel:[0,0,1] op_sel_hi:[1,0,0]
	v_mov_b32_e32 v91, v79
	v_pk_add_f32 v[68:69], v[68:69], v[88:89]
	v_pk_mul_f32 v[116:117], v[84:85], v[116:117] op_sel_hi:[1,0]
	s_waitcnt vmcnt(3)
	v_pk_fma_f32 v[94:95], v[82:83], v[98:99], v[114:115] op_sel:[0,0,1] op_sel_hi:[1,1,0] neg_lo:[0,0,1] neg_hi:[0,0,1]
	v_pk_fma_f32 v[82:83], v[82:83], v[98:99], v[114:115] op_sel:[0,0,1] op_sel_hi:[1,0,0]
	v_mov_b32_e32 v93, v81
	v_pk_add_f32 v[68:69], v[68:69], v[90:91]
	s_waitcnt vmcnt(2)
	v_pk_fma_f32 v[96:97], v[84:85], v[100:101], v[116:117] op_sel:[0,0,1] op_sel_hi:[1,1,0] neg_lo:[0,0,1] neg_hi:[0,0,1]
	v_pk_fma_f32 v[84:85], v[84:85], v[100:101], v[116:117] op_sel:[0,0,1] op_sel_hi:[1,0,0]
	v_mov_b32_e32 v95, v83
	v_pk_add_f32 v[68:69], v[68:69], v[92:93]
	v_mov_b32_e32 v97, v85
	v_pk_add_f32 v[68:69], v[68:69], v[94:95]
	v_pk_add_f32 v[68:69], v[68:69], v[96:97]
	s_waitcnt vmcnt(0)
	v_pk_add_f32 v[68:69], v[102:103], v[68:69] neg_lo:[0,1] neg_hi:[0,1]
	buffer_store_dword v68, off, s[0:3], 0 offset:192
	buffer_store_dword v69, off, s[0:3], 0 offset:196
	s_and_saveexec_b64 s[4:5], vcc
	s_cbranch_execz .LBB96_165
; %bb.164:
	buffer_load_dword v68, off, s[0:3], 0 offset:184
	buffer_load_dword v69, off, s[0:3], 0 offset:188
	v_mov_b32_e32 v70, 0
	buffer_store_dword v70, off, s[0:3], 0 offset:184
	buffer_store_dword v70, off, s[0:3], 0 offset:188
	s_waitcnt vmcnt(2)
	ds_write_b64 v1, v[68:69]
.LBB96_165:
	s_or_b64 exec, exec, s[4:5]
	s_waitcnt lgkmcnt(0)
	; wave barrier
	s_waitcnt lgkmcnt(0)
	buffer_load_dword v69, off, s[0:3], 0 offset:196
	buffer_load_dword v87, off, s[0:3], 0 offset:204
	;; [unrolled: 1-line block ×20, first 2 shown]
	v_mov_b32_e32 v68, 0
	ds_read_b128 v[70:73], v68 offset:464
	ds_read_b128 v[74:77], v68 offset:480
	;; [unrolled: 1-line block ×4, first 2 shown]
	ds_read_b64 v[104:105], v68 offset:528
	v_cmp_lt_u32_e32 vcc, 22, v0
	s_waitcnt vmcnt(19) lgkmcnt(4)
	v_mul_f32_e32 v107, v70, v69
	v_mul_f32_e32 v69, v71, v69
	s_waitcnt vmcnt(18)
	v_mov_b32_e32 v108, v87
	s_waitcnt vmcnt(17)
	v_mov_b32_e32 v110, v89
	;; [unrolled: 2-line block ×8, first 2 shown]
	s_waitcnt vmcnt(10)
	v_fmac_f32_e32 v107, v71, v106
	v_fma_f32 v106, v70, v106, -v69
	v_pk_mul_f32 v[70:71], v[72:73], v[108:109] op_sel_hi:[1,0]
	s_waitcnt lgkmcnt(3)
	v_pk_mul_f32 v[108:109], v[74:75], v[110:111] op_sel_hi:[1,0]
	v_pk_mul_f32 v[110:111], v[76:77], v[112:113] op_sel_hi:[1,0]
	s_waitcnt lgkmcnt(2)
	v_pk_mul_f32 v[112:113], v[78:79], v[114:115] op_sel_hi:[1,0]
	;; [unrolled: 3-line block ×4, first 2 shown]
	s_waitcnt vmcnt(9)
	v_pk_fma_f32 v[122:123], v[72:73], v[86:87], v[70:71] op_sel:[0,0,1] op_sel_hi:[1,1,0] neg_lo:[0,0,1] neg_hi:[0,0,1]
	v_pk_fma_f32 v[70:71], v[72:73], v[86:87], v[70:71] op_sel:[0,0,1] op_sel_hi:[1,0,0]
	v_pk_add_f32 v[106:107], v[106:107], 0 op_sel_hi:[1,0]
	s_waitcnt vmcnt(8)
	v_pk_fma_f32 v[72:73], v[74:75], v[88:89], v[108:109] op_sel:[0,0,1] op_sel_hi:[1,1,0] neg_lo:[0,0,1] neg_hi:[0,0,1]
	v_pk_fma_f32 v[74:75], v[74:75], v[88:89], v[108:109] op_sel:[0,0,1] op_sel_hi:[1,0,0]
	v_mov_b32_e32 v123, v71
	s_waitcnt vmcnt(7)
	v_pk_fma_f32 v[86:87], v[76:77], v[90:91], v[110:111] op_sel:[0,0,1] op_sel_hi:[1,1,0] neg_lo:[0,0,1] neg_hi:[0,0,1]
	v_pk_fma_f32 v[76:77], v[76:77], v[90:91], v[110:111] op_sel:[0,0,1] op_sel_hi:[1,0,0]
	v_mov_b32_e32 v73, v75
	v_pk_add_f32 v[70:71], v[106:107], v[122:123]
	s_waitcnt vmcnt(6)
	v_pk_fma_f32 v[88:89], v[78:79], v[92:93], v[112:113] op_sel:[0,0,1] op_sel_hi:[1,1,0] neg_lo:[0,0,1] neg_hi:[0,0,1]
	v_pk_fma_f32 v[78:79], v[78:79], v[92:93], v[112:113] op_sel:[0,0,1] op_sel_hi:[1,0,0]
	v_mov_b32_e32 v87, v77
	v_pk_add_f32 v[70:71], v[70:71], v[72:73]
	;; [unrolled: 5-line block ×5, first 2 shown]
	v_pk_fma_f32 v[96:97], v[104:105], v[100:101], v[120:121] op_sel:[0,0,1] op_sel_hi:[1,1,0] neg_lo:[0,0,1] neg_hi:[0,0,1]
	v_pk_fma_f32 v[98:99], v[104:105], v[100:101], v[120:121] op_sel:[0,0,1] op_sel_hi:[1,0,0]
	v_mov_b32_e32 v95, v85
	v_pk_add_f32 v[70:71], v[70:71], v[92:93]
	v_mov_b32_e32 v97, v99
	v_pk_add_f32 v[70:71], v[70:71], v[94:95]
	v_pk_add_f32 v[70:71], v[70:71], v[96:97]
	s_waitcnt vmcnt(0)
	v_pk_add_f32 v[70:71], v[102:103], v[70:71] neg_lo:[0,1] neg_hi:[0,1]
	buffer_store_dword v70, off, s[0:3], 0 offset:184
	buffer_store_dword v71, off, s[0:3], 0 offset:188
	s_and_saveexec_b64 s[4:5], vcc
	s_cbranch_execz .LBB96_167
; %bb.166:
	buffer_load_dword v70, off, s[0:3], 0 offset:176
	buffer_load_dword v71, off, s[0:3], 0 offset:180
	s_waitcnt vmcnt(0)
	ds_write_b64 v1, v[70:71]
	buffer_store_dword v68, off, s[0:3], 0 offset:176
	buffer_store_dword v68, off, s[0:3], 0 offset:180
.LBB96_167:
	s_or_b64 exec, exec, s[4:5]
	s_waitcnt lgkmcnt(0)
	; wave barrier
	s_waitcnt lgkmcnt(0)
	buffer_load_dword v108, off, s[0:3], 0 offset:188
	buffer_load_dword v110, off, s[0:3], 0 offset:196
	;; [unrolled: 1-line block ×22, first 2 shown]
	ds_read2_b64 v[70:73], v68 offset0:57 offset1:58
	ds_read2_b64 v[74:77], v68 offset0:59 offset1:60
	;; [unrolled: 1-line block ×5, first 2 shown]
	v_cmp_lt_u32_e32 vcc, 21, v0
	s_waitcnt vmcnt(21) lgkmcnt(4)
	v_mul_f32_e32 v69, v70, v108
	s_waitcnt vmcnt(20)
	v_mul_f32_e32 v109, v72, v110
	v_mul_f32_e32 v68, v71, v108
	;; [unrolled: 1-line block ×3, first 2 shown]
	s_waitcnt vmcnt(19)
	v_mov_b32_e32 v110, v91
	s_waitcnt vmcnt(18)
	v_mov_b32_e32 v112, v93
	;; [unrolled: 2-line block ×5, first 2 shown]
	v_mov_b32_e32 v116, v97
	s_waitcnt vmcnt(11)
	v_fmac_f32_e32 v69, v71, v111
	v_fma_f32 v68, v70, v111, -v68
	s_waitcnt lgkmcnt(3)
	v_pk_mul_f32 v[70:71], v[74:75], v[110:111] op_sel_hi:[1,0]
	s_waitcnt vmcnt(10)
	v_fmac_f32_e32 v109, v73, v113
	v_fma_f32 v108, v72, v113, -v108
	v_pk_mul_f32 v[72:73], v[76:77], v[112:113] op_sel_hi:[1,0]
	s_waitcnt lgkmcnt(2)
	v_pk_mul_f32 v[110:111], v[78:79], v[114:115] op_sel_hi:[1,0]
	s_waitcnt lgkmcnt(1)
	;; [unrolled: 2-line block ×3, first 2 shown]
	v_pk_mul_f32 v[118:119], v[86:87], v[122:123] op_sel_hi:[1,0]
	v_pk_add_f32 v[68:69], v[68:69], 0 op_sel_hi:[1,0]
	s_waitcnt vmcnt(9)
	v_pk_fma_f32 v[122:123], v[74:75], v[90:91], v[70:71] op_sel:[0,0,1] op_sel_hi:[1,1,0] neg_lo:[0,0,1] neg_hi:[0,0,1]
	v_pk_fma_f32 v[70:71], v[74:75], v[90:91], v[70:71] op_sel:[0,0,1] op_sel_hi:[1,0,0]
	s_waitcnt vmcnt(8)
	v_pk_fma_f32 v[74:75], v[76:77], v[92:93], v[72:73] op_sel:[0,0,1] op_sel_hi:[1,1,0] neg_lo:[0,0,1] neg_hi:[0,0,1]
	v_pk_fma_f32 v[72:73], v[76:77], v[92:93], v[72:73] op_sel:[0,0,1] op_sel_hi:[1,0,0]
	v_pk_add_f32 v[68:69], v[68:69], v[108:109]
	v_mov_b32_e32 v123, v71
	v_pk_mul_f32 v[112:113], v[80:81], v[116:117] op_sel_hi:[1,0]
	s_waitcnt vmcnt(7)
	v_pk_fma_f32 v[76:77], v[78:79], v[94:95], v[110:111] op_sel:[0,0,1] op_sel_hi:[1,1,0] neg_lo:[0,0,1] neg_hi:[0,0,1]
	v_pk_fma_f32 v[78:79], v[78:79], v[94:95], v[110:111] op_sel:[0,0,1] op_sel_hi:[1,0,0]
	v_mov_b32_e32 v75, v73
	v_pk_add_f32 v[68:69], v[68:69], v[122:123]
	v_mov_b32_e32 v120, v101
	s_waitcnt vmcnt(6)
	v_pk_fma_f32 v[90:91], v[80:81], v[96:97], v[112:113] op_sel:[0,0,1] op_sel_hi:[1,1,0] neg_lo:[0,0,1] neg_hi:[0,0,1]
	v_pk_fma_f32 v[80:81], v[80:81], v[96:97], v[112:113] op_sel:[0,0,1] op_sel_hi:[1,0,0]
	v_mov_b32_e32 v77, v79
	v_pk_add_f32 v[68:69], v[68:69], v[74:75]
	v_pk_mul_f32 v[116:117], v[84:85], v[120:121] op_sel_hi:[1,0]
	s_waitcnt vmcnt(5)
	v_pk_fma_f32 v[92:93], v[82:83], v[98:99], v[114:115] op_sel:[0,0,1] op_sel_hi:[1,1,0] neg_lo:[0,0,1] neg_hi:[0,0,1]
	v_pk_fma_f32 v[82:83], v[82:83], v[98:99], v[114:115] op_sel:[0,0,1] op_sel_hi:[1,0,0]
	v_mov_b32_e32 v91, v81
	v_pk_add_f32 v[68:69], v[68:69], v[76:77]
	v_mov_b32_e32 v124, v105
	s_waitcnt vmcnt(2)
	v_pk_fma_f32 v[94:95], v[84:85], v[100:101], v[116:117] op_sel:[0,0,1] op_sel_hi:[1,1,0] neg_lo:[0,0,1] neg_hi:[0,0,1]
	v_pk_fma_f32 v[84:85], v[84:85], v[100:101], v[116:117] op_sel:[0,0,1] op_sel_hi:[1,0,0]
	v_mov_b32_e32 v93, v83
	v_pk_add_f32 v[68:69], v[68:69], v[90:91]
	v_pk_mul_f32 v[120:121], v[88:89], v[124:125] op_sel_hi:[1,0]
	v_pk_fma_f32 v[96:97], v[86:87], v[102:103], v[118:119] op_sel:[0,0,1] op_sel_hi:[1,1,0] neg_lo:[0,0,1] neg_hi:[0,0,1]
	v_pk_fma_f32 v[86:87], v[86:87], v[102:103], v[118:119] op_sel:[0,0,1] op_sel_hi:[1,0,0]
	v_mov_b32_e32 v95, v85
	v_pk_add_f32 v[68:69], v[68:69], v[92:93]
	v_pk_fma_f32 v[98:99], v[88:89], v[104:105], v[120:121] op_sel:[0,0,1] op_sel_hi:[1,1,0] neg_lo:[0,0,1] neg_hi:[0,0,1]
	v_pk_fma_f32 v[88:89], v[88:89], v[104:105], v[120:121] op_sel:[0,0,1] op_sel_hi:[1,0,0]
	v_mov_b32_e32 v97, v87
	v_pk_add_f32 v[68:69], v[68:69], v[94:95]
	v_mov_b32_e32 v99, v89
	v_pk_add_f32 v[68:69], v[68:69], v[96:97]
	v_pk_add_f32 v[68:69], v[68:69], v[98:99]
	s_waitcnt vmcnt(0)
	v_pk_add_f32 v[68:69], v[106:107], v[68:69] neg_lo:[0,1] neg_hi:[0,1]
	buffer_store_dword v68, off, s[0:3], 0 offset:176
	buffer_store_dword v69, off, s[0:3], 0 offset:180
	s_and_saveexec_b64 s[4:5], vcc
	s_cbranch_execz .LBB96_169
; %bb.168:
	buffer_load_dword v68, off, s[0:3], 0 offset:168
	buffer_load_dword v69, off, s[0:3], 0 offset:172
	v_mov_b32_e32 v70, 0
	buffer_store_dword v70, off, s[0:3], 0 offset:168
	buffer_store_dword v70, off, s[0:3], 0 offset:172
	s_waitcnt vmcnt(2)
	ds_write_b64 v1, v[68:69]
.LBB96_169:
	s_or_b64 exec, exec, s[4:5]
	s_waitcnt lgkmcnt(0)
	; wave barrier
	s_waitcnt lgkmcnt(0)
	buffer_load_dword v69, off, s[0:3], 0 offset:180
	buffer_load_dword v110, off, s[0:3], 0 offset:188
	;; [unrolled: 1-line block ×24, first 2 shown]
	v_mov_b32_e32 v68, 0
	ds_read_b128 v[70:73], v68 offset:448
	ds_read_b128 v[74:77], v68 offset:464
	;; [unrolled: 1-line block ×5, first 2 shown]
	ds_read_b64 v[108:109], v68 offset:528
	v_cmp_lt_u32_e32 vcc, 20, v0
	s_waitcnt vmcnt(23) lgkmcnt(5)
	v_mul_f32_e32 v123, v70, v69
	v_mul_f32_e32 v69, v71, v69
	s_waitcnt vmcnt(22)
	v_mul_f32_e32 v111, v72, v110
	s_waitcnt vmcnt(21) lgkmcnt(4)
	v_mul_f32_e32 v113, v74, v112
	v_mul_f32_e32 v110, v73, v110
	;; [unrolled: 1-line block ×3, first 2 shown]
	s_waitcnt vmcnt(20)
	v_mov_b32_e32 v114, v91
	s_waitcnt vmcnt(19)
	v_mov_b32_e32 v116, v93
	;; [unrolled: 2-line block ×5, first 2 shown]
	s_waitcnt vmcnt(12)
	v_fmac_f32_e32 v123, v71, v115
	v_fma_f32 v69, v70, v115, -v69
	v_mov_b32_e32 v124, v101
	s_waitcnt vmcnt(11)
	v_fmac_f32_e32 v111, v73, v117
	s_waitcnt vmcnt(10)
	v_fmac_f32_e32 v113, v75, v119
	v_fma_f32 v110, v72, v117, -v110
	v_fma_f32 v112, v74, v119, -v112
	v_pk_mul_f32 v[70:71], v[76:77], v[114:115] op_sel_hi:[1,0]
	s_waitcnt lgkmcnt(3)
	v_pk_mul_f32 v[72:73], v[78:79], v[116:117] op_sel_hi:[1,0]
	v_pk_mul_f32 v[74:75], v[80:81], v[118:119] op_sel_hi:[1,0]
	s_waitcnt lgkmcnt(2)
	v_pk_mul_f32 v[114:115], v[82:83], v[120:121] op_sel_hi:[1,0]
	v_pk_mul_f32 v[116:117], v[84:85], v[122:123] op_sel_hi:[1,0]
	v_add_f32_e32 v123, 0, v123
	v_add_f32_e32 v122, 0, v69
	s_waitcnt lgkmcnt(1)
	v_pk_mul_f32 v[118:119], v[86:87], v[124:125] op_sel_hi:[1,0]
	s_waitcnt vmcnt(9)
	v_pk_fma_f32 v[124:125], v[76:77], v[90:91], v[70:71] op_sel:[0,0,1] op_sel_hi:[1,1,0] neg_lo:[0,0,1] neg_hi:[0,0,1]
	v_pk_fma_f32 v[70:71], v[76:77], v[90:91], v[70:71] op_sel:[0,0,1] op_sel_hi:[1,0,0]
	s_waitcnt vmcnt(8)
	v_pk_fma_f32 v[76:77], v[78:79], v[92:93], v[72:73] op_sel:[0,0,1] op_sel_hi:[1,1,0] neg_lo:[0,0,1] neg_hi:[0,0,1]
	v_pk_fma_f32 v[72:73], v[78:79], v[92:93], v[72:73] op_sel:[0,0,1] op_sel_hi:[1,0,0]
	;; [unrolled: 3-line block ×4, first 2 shown]
	v_pk_add_f32 v[96:97], v[122:123], v[110:111]
	v_mov_b32_e32 v125, v71
	v_pk_add_f32 v[70:71], v[96:97], v[112:113]
	v_mov_b32_e32 v77, v73
	;; [unrolled: 2-line block ×4, first 2 shown]
	s_waitcnt vmcnt(2)
	v_pk_fma_f32 v[90:91], v[84:85], v[98:99], v[116:117] op_sel:[0,0,1] op_sel_hi:[1,1,0] neg_lo:[0,0,1] neg_hi:[0,0,1]
	v_pk_fma_f32 v[84:85], v[84:85], v[98:99], v[116:117] op_sel:[0,0,1] op_sel_hi:[1,0,0]
	v_mov_b32_e32 v81, v83
	v_pk_add_f32 v[70:71], v[70:71], v[78:79]
	v_mov_b32_e32 v128, v105
	v_pk_mul_f32 v[120:121], v[88:89], v[126:127] op_sel_hi:[1,0]
	v_pk_fma_f32 v[92:93], v[86:87], v[100:101], v[118:119] op_sel:[0,0,1] op_sel_hi:[1,1,0] neg_lo:[0,0,1] neg_hi:[0,0,1]
	v_pk_fma_f32 v[86:87], v[86:87], v[100:101], v[118:119] op_sel:[0,0,1] op_sel_hi:[1,0,0]
	v_mov_b32_e32 v91, v85
	v_pk_add_f32 v[70:71], v[70:71], v[80:81]
	v_pk_fma_f32 v[94:95], v[88:89], v[102:103], v[120:121] op_sel:[0,0,1] op_sel_hi:[1,1,0] neg_lo:[0,0,1] neg_hi:[0,0,1]
	v_pk_fma_f32 v[88:89], v[88:89], v[102:103], v[120:121] op_sel:[0,0,1] op_sel_hi:[1,0,0]
	v_mov_b32_e32 v93, v87
	v_pk_add_f32 v[70:71], v[70:71], v[90:91]
	s_waitcnt lgkmcnt(0)
	v_pk_mul_f32 v[72:73], v[108:109], v[128:129] op_sel_hi:[1,0]
	v_mov_b32_e32 v95, v89
	v_pk_add_f32 v[70:71], v[70:71], v[92:93]
	v_pk_fma_f32 v[74:75], v[108:109], v[104:105], v[72:73] op_sel:[0,0,1] op_sel_hi:[1,1,0] neg_lo:[0,0,1] neg_hi:[0,0,1]
	v_pk_fma_f32 v[72:73], v[108:109], v[104:105], v[72:73] op_sel:[0,0,1] op_sel_hi:[1,0,0]
	v_pk_add_f32 v[70:71], v[70:71], v[94:95]
	v_mov_b32_e32 v75, v73
	v_pk_add_f32 v[70:71], v[70:71], v[74:75]
	s_waitcnt vmcnt(0)
	v_pk_add_f32 v[70:71], v[106:107], v[70:71] neg_lo:[0,1] neg_hi:[0,1]
	buffer_store_dword v71, off, s[0:3], 0 offset:172
	buffer_store_dword v70, off, s[0:3], 0 offset:168
	s_and_saveexec_b64 s[4:5], vcc
	s_cbranch_execz .LBB96_171
; %bb.170:
	buffer_load_dword v70, off, s[0:3], 0 offset:160
	buffer_load_dword v71, off, s[0:3], 0 offset:164
	s_waitcnt vmcnt(0)
	ds_write_b64 v1, v[70:71]
	buffer_store_dword v68, off, s[0:3], 0 offset:160
	buffer_store_dword v68, off, s[0:3], 0 offset:164
.LBB96_171:
	s_or_b64 exec, exec, s[4:5]
	s_waitcnt lgkmcnt(0)
	; wave barrier
	s_waitcnt lgkmcnt(0)
	buffer_load_dword v112, off, s[0:3], 0 offset:172
	buffer_load_dword v114, off, s[0:3], 0 offset:180
	;; [unrolled: 1-line block ×26, first 2 shown]
	ds_read2_b64 v[70:73], v68 offset0:55 offset1:56
	ds_read2_b64 v[74:77], v68 offset0:57 offset1:58
	;; [unrolled: 1-line block ×6, first 2 shown]
	v_cmp_lt_u32_e32 vcc, 19, v0
	s_waitcnt vmcnt(25) lgkmcnt(5)
	v_mul_f32_e32 v125, v70, v112
	v_mul_f32_e32 v68, v71, v112
	s_waitcnt vmcnt(24)
	v_mul_f32_e32 v126, v72, v114
	s_waitcnt vmcnt(23) lgkmcnt(4)
	v_mul_f32_e32 v69, v74, v115
	s_waitcnt vmcnt(22)
	v_mul_f32_e32 v113, v76, v116
	v_mul_f32_e32 v112, v73, v114
	;; [unrolled: 1-line block ×4, first 2 shown]
	s_waitcnt vmcnt(21)
	v_mov_b32_e32 v114, v95
	s_waitcnt vmcnt(20)
	v_mov_b32_e32 v116, v97
	;; [unrolled: 2-line block ×3, first 2 shown]
	s_waitcnt vmcnt(15)
	v_fmac_f32_e32 v125, v71, v117
	v_fma_f32 v128, v70, v117, -v68
	v_mov_b32_e32 v118, v99
	s_waitcnt vmcnt(14)
	v_fmac_f32_e32 v126, v73, v119
	s_waitcnt vmcnt(13)
	v_fmac_f32_e32 v69, v75, v121
	s_waitcnt vmcnt(12)
	v_fmac_f32_e32 v113, v77, v123
	v_fma_f32 v129, v72, v119, -v112
	v_fma_f32 v68, v74, v121, -v115
	;; [unrolled: 1-line block ×3, first 2 shown]
	s_waitcnt lgkmcnt(3)
	v_pk_mul_f32 v[70:71], v[78:79], v[114:115] op_sel_hi:[1,0]
	v_pk_mul_f32 v[72:73], v[80:81], v[116:117] op_sel_hi:[1,0]
	s_waitcnt lgkmcnt(2)
	v_pk_mul_f32 v[76:77], v[84:85], v[120:121] op_sel_hi:[1,0]
	v_add_f32_e32 v120, 0, v125
	v_add_f32_e32 v121, 0, v128
	v_pk_mul_f32 v[74:75], v[82:83], v[118:119] op_sel_hi:[1,0]
	s_waitcnt vmcnt(11)
	v_pk_fma_f32 v[118:119], v[78:79], v[94:95], v[70:71] op_sel:[0,0,1] op_sel_hi:[1,1,0] neg_lo:[0,0,1] neg_hi:[0,0,1]
	v_pk_fma_f32 v[70:71], v[78:79], v[94:95], v[70:71] op_sel:[0,0,1] op_sel_hi:[1,0,0]
	s_waitcnt vmcnt(10)
	v_pk_fma_f32 v[78:79], v[80:81], v[96:97], v[72:73] op_sel:[0,0,1] op_sel_hi:[1,1,0] neg_lo:[0,0,1] neg_hi:[0,0,1]
	v_pk_fma_f32 v[72:73], v[80:81], v[96:97], v[72:73] op_sel:[0,0,1] op_sel_hi:[1,0,0]
	v_add_f32_e32 v97, v120, v126
	v_add_f32_e32 v96, v121, v129
	v_pk_add_f32 v[68:69], v[96:97], v[68:69]
	v_mov_b32_e32 v119, v71
	v_pk_add_f32 v[68:69], v[68:69], v[112:113]
	v_mov_b32_e32 v122, v103
	s_waitcnt vmcnt(9)
	v_pk_fma_f32 v[80:81], v[82:83], v[98:99], v[74:75] op_sel:[0,0,1] op_sel_hi:[1,1,0] neg_lo:[0,0,1] neg_hi:[0,0,1]
	v_pk_fma_f32 v[74:75], v[82:83], v[98:99], v[74:75] op_sel:[0,0,1] op_sel_hi:[1,0,0]
	v_mov_b32_e32 v79, v73
	v_pk_add_f32 v[68:69], v[68:69], v[118:119]
	v_mov_b32_e32 v124, v105
	s_waitcnt lgkmcnt(1)
	v_pk_mul_f32 v[114:115], v[86:87], v[122:123] op_sel_hi:[1,0]
	s_waitcnt vmcnt(5)
	v_pk_fma_f32 v[82:83], v[84:85], v[100:101], v[76:77] op_sel:[0,0,1] op_sel_hi:[1,1,0] neg_lo:[0,0,1] neg_hi:[0,0,1]
	v_pk_fma_f32 v[76:77], v[84:85], v[100:101], v[76:77] op_sel:[0,0,1] op_sel_hi:[1,0,0]
	v_mov_b32_e32 v81, v75
	v_pk_add_f32 v[68:69], v[68:69], v[78:79]
	s_waitcnt vmcnt(4)
	v_mov_b32_e32 v70, v107
	v_pk_mul_f32 v[116:117], v[88:89], v[124:125] op_sel_hi:[1,0]
	v_pk_fma_f32 v[84:85], v[86:87], v[102:103], v[114:115] op_sel:[0,0,1] op_sel_hi:[1,1,0] neg_lo:[0,0,1] neg_hi:[0,0,1]
	v_pk_fma_f32 v[86:87], v[86:87], v[102:103], v[114:115] op_sel:[0,0,1] op_sel_hi:[1,0,0]
	v_mov_b32_e32 v83, v77
	v_pk_add_f32 v[68:69], v[68:69], v[80:81]
	s_waitcnt lgkmcnt(0)
	v_pk_mul_f32 v[70:71], v[90:91], v[70:71] op_sel_hi:[1,0]
	v_pk_fma_f32 v[94:95], v[88:89], v[104:105], v[116:117] op_sel:[0,0,1] op_sel_hi:[1,1,0] neg_lo:[0,0,1] neg_hi:[0,0,1]
	v_pk_fma_f32 v[88:89], v[88:89], v[104:105], v[116:117] op_sel:[0,0,1] op_sel_hi:[1,0,0]
	v_mov_b32_e32 v85, v87
	v_pk_add_f32 v[68:69], v[68:69], v[82:83]
	v_pk_fma_f32 v[72:73], v[90:91], v[106:107], v[70:71] op_sel:[0,0,1] op_sel_hi:[1,1,0] neg_lo:[0,0,1] neg_hi:[0,0,1]
	v_pk_fma_f32 v[70:71], v[90:91], v[106:107], v[70:71] op_sel:[0,0,1] op_sel_hi:[1,0,0]
	v_mov_b32_e32 v95, v89
	v_pk_add_f32 v[68:69], v[68:69], v[84:85]
	s_waitcnt vmcnt(3)
	v_mov_b32_e32 v70, v109
	v_pk_add_f32 v[68:69], v[68:69], v[94:95]
	v_mov_b32_e32 v73, v71
	v_pk_mul_f32 v[70:71], v[92:93], v[70:71] op_sel_hi:[1,0]
	v_pk_add_f32 v[68:69], v[68:69], v[72:73]
	s_waitcnt vmcnt(2)
	v_pk_fma_f32 v[72:73], v[92:93], v[108:109], v[70:71] op_sel:[0,0,1] op_sel_hi:[1,1,0] neg_lo:[0,0,1] neg_hi:[0,0,1]
	v_pk_fma_f32 v[70:71], v[92:93], v[108:109], v[70:71] op_sel:[0,0,1] op_sel_hi:[1,0,0]
	v_mov_b32_e32 v73, v71
	v_pk_add_f32 v[68:69], v[68:69], v[72:73]
	s_waitcnt vmcnt(0)
	v_pk_add_f32 v[68:69], v[110:111], v[68:69] neg_lo:[0,1] neg_hi:[0,1]
	buffer_store_dword v69, off, s[0:3], 0 offset:164
	buffer_store_dword v68, off, s[0:3], 0 offset:160
	s_and_saveexec_b64 s[4:5], vcc
	s_cbranch_execz .LBB96_173
; %bb.172:
	buffer_load_dword v68, off, s[0:3], 0 offset:152
	buffer_load_dword v69, off, s[0:3], 0 offset:156
	v_mov_b32_e32 v70, 0
	buffer_store_dword v70, off, s[0:3], 0 offset:152
	buffer_store_dword v70, off, s[0:3], 0 offset:156
	s_waitcnt vmcnt(2)
	ds_write_b64 v1, v[68:69]
.LBB96_173:
	s_or_b64 exec, exec, s[4:5]
	v_mov_b32_e32 v70, 0
	s_waitcnt lgkmcnt(0)
	; wave barrier
	s_waitcnt lgkmcnt(0)
	ds_read_b128 v[72:75], v70 offset:432
	ds_read_b128 v[76:79], v70 offset:448
	;; [unrolled: 1-line block ×4, first 2 shown]
	buffer_load_dword v68, off, s[0:3], 0 offset:152
	buffer_load_dword v69, off, s[0:3], 0 offset:156
	;; [unrolled: 1-line block ×28, first 2 shown]
	v_cmp_lt_u32_e32 vcc, 18, v0
	s_waitcnt vmcnt(24) lgkmcnt(3)
	v_mul_f32_e32 v93, v72, v92
	v_fmac_f32_e32 v93, v73, v71
	v_mul_f32_e32 v73, v73, v92
	s_waitcnt vmcnt(22)
	v_mul_f32_e32 v95, v74, v96
	v_fma_f32 v71, v72, v71, -v73
	v_mul_f32_e32 v72, v75, v96
	v_add_f32_e32 v93, 0, v93
	v_fmac_f32_e32 v95, v75, v94
	v_add_f32_e32 v71, 0, v71
	v_fma_f32 v72, v74, v94, -v72
	v_add_f32_e32 v93, v93, v95
	s_waitcnt vmcnt(20) lgkmcnt(2)
	v_mul_f32_e32 v95, v76, v111
	v_add_f32_e32 v71, v71, v72
	v_mul_f32_e32 v72, v77, v111
	v_fmac_f32_e32 v95, v77, v110
	v_fma_f32 v72, v76, v110, -v72
	v_add_f32_e32 v93, v93, v95
	s_waitcnt vmcnt(18)
	v_mul_f32_e32 v95, v78, v113
	v_add_f32_e32 v92, v71, v72
	v_mul_f32_e32 v71, v79, v113
	v_fmac_f32_e32 v95, v79, v112
	v_fma_f32 v94, v78, v112, -v71
	s_waitcnt vmcnt(16) lgkmcnt(1)
	v_mul_f32_e32 v97, v80, v115
	v_mul_f32_e32 v71, v81, v115
	v_pk_add_f32 v[92:93], v[92:93], v[94:95]
	s_waitcnt vmcnt(14)
	v_mov_b32_e32 v94, v89
	v_fmac_f32_e32 v97, v81, v114
	v_fma_f32 v96, v80, v114, -v71
	v_pk_mul_f32 v[94:95], v[82:83], v[94:95] op_sel_hi:[1,0]
	v_pk_add_f32 v[92:93], v[92:93], v[96:97]
	v_pk_fma_f32 v[96:97], v[82:83], v[88:89], v[94:95] op_sel:[0,0,1] op_sel_hi:[1,1,0] neg_lo:[0,0,1] neg_hi:[0,0,1]
	v_pk_fma_f32 v[82:83], v[82:83], v[88:89], v[94:95] op_sel:[0,0,1] op_sel_hi:[1,0,0]
	s_waitcnt vmcnt(12)
	v_mov_b32_e32 v88, v91
	v_mov_b32_e32 v97, v83
	s_waitcnt lgkmcnt(0)
	v_pk_mul_f32 v[88:89], v[84:85], v[88:89] op_sel_hi:[1,0]
	v_pk_add_f32 v[82:83], v[92:93], v[96:97]
	v_pk_fma_f32 v[92:93], v[84:85], v[90:91], v[88:89] op_sel:[0,0,1] op_sel_hi:[1,1,0] neg_lo:[0,0,1] neg_hi:[0,0,1]
	v_pk_fma_f32 v[84:85], v[84:85], v[90:91], v[88:89] op_sel:[0,0,1] op_sel_hi:[1,0,0]
	s_waitcnt vmcnt(11)
	v_mov_b32_e32 v84, v99
	ds_read_b128 v[72:75], v70 offset:496
	ds_read_b128 v[76:79], v70 offset:512
	ds_read_b64 v[80:81], v70 offset:528
	v_mov_b32_e32 v93, v85
	v_pk_mul_f32 v[84:85], v[86:87], v[84:85] op_sel_hi:[1,0]
	s_waitcnt vmcnt(10)
	v_pk_fma_f32 v[88:89], v[86:87], v[98:99], v[84:85] op_sel:[0,0,1] op_sel_hi:[1,1,0] neg_lo:[0,0,1] neg_hi:[0,0,1]
	v_pk_fma_f32 v[84:85], v[86:87], v[98:99], v[84:85] op_sel:[0,0,1] op_sel_hi:[1,0,0]
	s_waitcnt vmcnt(9)
	v_mov_b32_e32 v84, v101
	v_mov_b32_e32 v89, v85
	s_waitcnt lgkmcnt(2)
	v_pk_mul_f32 v[84:85], v[72:73], v[84:85] op_sel_hi:[1,0]
	v_pk_add_f32 v[82:83], v[82:83], v[92:93]
	s_waitcnt vmcnt(8)
	v_pk_fma_f32 v[86:87], v[72:73], v[100:101], v[84:85] op_sel:[0,0,1] op_sel_hi:[1,1,0] neg_lo:[0,0,1] neg_hi:[0,0,1]
	v_pk_fma_f32 v[72:73], v[72:73], v[100:101], v[84:85] op_sel:[0,0,1] op_sel_hi:[1,0,0]
	v_pk_add_f32 v[82:83], v[82:83], v[88:89]
	v_mov_b32_e32 v87, v73
	v_pk_add_f32 v[72:73], v[82:83], v[86:87]
	s_waitcnt vmcnt(7)
	v_mov_b32_e32 v82, v103
	v_pk_mul_f32 v[82:83], v[74:75], v[82:83] op_sel_hi:[1,0]
	s_waitcnt vmcnt(6)
	v_pk_fma_f32 v[84:85], v[74:75], v[102:103], v[82:83] op_sel:[0,0,1] op_sel_hi:[1,1,0] neg_lo:[0,0,1] neg_hi:[0,0,1]
	v_pk_fma_f32 v[74:75], v[74:75], v[102:103], v[82:83] op_sel:[0,0,1] op_sel_hi:[1,0,0]
	s_waitcnt vmcnt(5)
	v_mov_b32_e32 v74, v105
	v_mov_b32_e32 v85, v75
	s_waitcnt lgkmcnt(1)
	v_pk_mul_f32 v[74:75], v[76:77], v[74:75] op_sel_hi:[1,0]
	s_waitcnt vmcnt(4)
	v_pk_fma_f32 v[82:83], v[76:77], v[104:105], v[74:75] op_sel:[0,0,1] op_sel_hi:[1,1,0] neg_lo:[0,0,1] neg_hi:[0,0,1]
	v_pk_fma_f32 v[74:75], v[76:77], v[104:105], v[74:75] op_sel:[0,0,1] op_sel_hi:[1,0,0]
	s_waitcnt vmcnt(3)
	v_mov_b32_e32 v74, v107
	v_mov_b32_e32 v83, v75
	v_pk_mul_f32 v[74:75], v[78:79], v[74:75] op_sel_hi:[1,0]
	s_waitcnt vmcnt(2)
	v_pk_fma_f32 v[76:77], v[78:79], v[106:107], v[74:75] op_sel:[0,0,1] op_sel_hi:[1,1,0] neg_lo:[0,0,1] neg_hi:[0,0,1]
	v_pk_fma_f32 v[74:75], v[78:79], v[106:107], v[74:75] op_sel:[0,0,1] op_sel_hi:[1,0,0]
	v_pk_add_f32 v[72:73], v[72:73], v[84:85]
	s_waitcnt vmcnt(1)
	v_mov_b32_e32 v74, v109
	v_pk_add_f32 v[72:73], v[72:73], v[82:83]
	v_mov_b32_e32 v77, v75
	s_waitcnt lgkmcnt(0)
	v_pk_mul_f32 v[74:75], v[80:81], v[74:75] op_sel_hi:[1,0]
	v_pk_add_f32 v[72:73], v[72:73], v[76:77]
	s_waitcnt vmcnt(0)
	v_pk_fma_f32 v[76:77], v[80:81], v[108:109], v[74:75] op_sel:[0,0,1] op_sel_hi:[1,1,0] neg_lo:[0,0,1] neg_hi:[0,0,1]
	v_pk_fma_f32 v[74:75], v[80:81], v[108:109], v[74:75] op_sel:[0,0,1] op_sel_hi:[1,0,0]
	v_mov_b32_e32 v77, v75
	v_pk_add_f32 v[72:73], v[72:73], v[76:77]
	v_pk_add_f32 v[68:69], v[68:69], v[72:73] neg_lo:[0,1] neg_hi:[0,1]
	buffer_store_dword v69, off, s[0:3], 0 offset:156
	buffer_store_dword v68, off, s[0:3], 0 offset:152
	s_and_saveexec_b64 s[4:5], vcc
	s_cbranch_execz .LBB96_175
; %bb.174:
	buffer_load_dword v68, off, s[0:3], 0 offset:144
	buffer_load_dword v69, off, s[0:3], 0 offset:148
	s_waitcnt vmcnt(0)
	ds_write_b64 v1, v[68:69]
	buffer_store_dword v70, off, s[0:3], 0 offset:144
	buffer_store_dword v70, off, s[0:3], 0 offset:148
.LBB96_175:
	s_or_b64 exec, exec, s[4:5]
	s_waitcnt lgkmcnt(0)
	; wave barrier
	s_waitcnt lgkmcnt(0)
	ds_read2_b64 v[72:75], v70 offset0:53 offset1:54
	buffer_load_dword v68, off, s[0:3], 0 offset:144
	buffer_load_dword v69, off, s[0:3], 0 offset:148
	;; [unrolled: 1-line block ×16, first 2 shown]
	v_cmp_lt_u32_e32 vcc, 17, v0
	ds_read2_b64 v[84:87], v70 offset0:59 offset1:60
	s_waitcnt vmcnt(12) lgkmcnt(1)
	v_mul_f32_e32 v76, v72, v90
	v_fmac_f32_e32 v76, v73, v71
	s_waitcnt vmcnt(10)
	v_mul_f32_e32 v77, v74, v94
	v_add_f32_e32 v76, 0, v76
	v_fmac_f32_e32 v77, v75, v92
	v_add_f32_e32 v80, v76, v77
	ds_read2_b64 v[76:79], v70 offset0:55 offset1:56
	v_mul_f32_e32 v73, v73, v90
	v_fma_f32 v71, v72, v71, -v73
	v_mul_f32_e32 v72, v75, v94
	v_add_f32_e32 v71, 0, v71
	s_waitcnt vmcnt(8) lgkmcnt(0)
	v_mul_f32_e32 v81, v76, v111
	v_fmac_f32_e32 v81, v77, v110
	v_add_f32_e32 v80, v80, v81
	s_waitcnt vmcnt(6)
	v_mul_f32_e32 v81, v78, v113
	v_fmac_f32_e32 v81, v79, v112
	v_add_f32_e32 v91, v80, v81
	ds_read2_b64 v[80:83], v70 offset0:57 offset1:58
	buffer_load_dword v97, off, s[0:3], 0 offset:212
	buffer_load_dword v96, off, s[0:3], 0 offset:208
	;; [unrolled: 1-line block ×14, first 2 shown]
	v_fma_f32 v72, v74, v92, -v72
	v_add_f32_e32 v71, v71, v72
	v_mul_f32_e32 v72, v77, v111
	v_fma_f32 v72, v76, v110, -v72
	v_add_f32_e32 v71, v71, v72
	v_mul_f32_e32 v72, v79, v113
	v_fma_f32 v72, v78, v112, -v72
	s_waitcnt vmcnt(18) lgkmcnt(0)
	v_mul_f32_e32 v93, v80, v115
	v_add_f32_e32 v90, v71, v72
	v_mul_f32_e32 v71, v81, v115
	v_fmac_f32_e32 v93, v81, v114
	s_waitcnt vmcnt(16)
	v_mul_f32_e32 v95, v82, v117
	v_fma_f32 v92, v80, v114, -v71
	v_mul_f32_e32 v71, v83, v117
	v_fmac_f32_e32 v95, v83, v116
	v_fma_f32 v94, v82, v116, -v71
	ds_read2_b64 v[72:75], v70 offset0:61 offset1:62
	ds_read2_b64 v[76:79], v70 offset0:63 offset1:64
	;; [unrolled: 1-line block ×3, first 2 shown]
	v_pk_add_f32 v[70:71], v[90:91], v[92:93]
	s_waitcnt vmcnt(14)
	v_mov_b32_e32 v90, v89
	v_pk_mul_f32 v[90:91], v[84:85], v[90:91] op_sel_hi:[1,0]
	v_pk_fma_f32 v[92:93], v[84:85], v[88:89], v[90:91] op_sel:[0,0,1] op_sel_hi:[1,1,0] neg_lo:[0,0,1] neg_hi:[0,0,1]
	v_pk_fma_f32 v[84:85], v[84:85], v[88:89], v[90:91] op_sel:[0,0,1] op_sel_hi:[1,0,0]
	v_mov_b32_e32 v93, v85
	v_pk_add_f32 v[70:71], v[70:71], v[94:95]
	v_pk_add_f32 v[70:71], v[70:71], v[92:93]
	s_waitcnt vmcnt(13)
	v_mov_b32_e32 v84, v97
	v_pk_mul_f32 v[84:85], v[86:87], v[84:85] op_sel_hi:[1,0]
	s_waitcnt vmcnt(12)
	v_pk_fma_f32 v[88:89], v[86:87], v[96:97], v[84:85] op_sel:[0,0,1] op_sel_hi:[1,1,0] neg_lo:[0,0,1] neg_hi:[0,0,1]
	v_pk_fma_f32 v[84:85], v[86:87], v[96:97], v[84:85] op_sel:[0,0,1] op_sel_hi:[1,0,0]
	s_waitcnt vmcnt(11)
	v_mov_b32_e32 v84, v99
	v_mov_b32_e32 v89, v85
	s_waitcnt lgkmcnt(2)
	v_pk_mul_f32 v[84:85], v[72:73], v[84:85] op_sel_hi:[1,0]
	s_waitcnt vmcnt(10)
	v_pk_fma_f32 v[86:87], v[72:73], v[98:99], v[84:85] op_sel:[0,0,1] op_sel_hi:[1,1,0] neg_lo:[0,0,1] neg_hi:[0,0,1]
	v_pk_fma_f32 v[72:73], v[72:73], v[98:99], v[84:85] op_sel:[0,0,1] op_sel_hi:[1,0,0]
	s_waitcnt vmcnt(9)
	v_mov_b32_e32 v72, v101
	v_mov_b32_e32 v87, v73
	v_pk_mul_f32 v[72:73], v[74:75], v[72:73] op_sel_hi:[1,0]
	s_waitcnt vmcnt(8)
	v_pk_fma_f32 v[84:85], v[74:75], v[100:101], v[72:73] op_sel:[0,0,1] op_sel_hi:[1,1,0] neg_lo:[0,0,1] neg_hi:[0,0,1]
	v_pk_fma_f32 v[72:73], v[74:75], v[100:101], v[72:73] op_sel:[0,0,1] op_sel_hi:[1,0,0]
	s_waitcnt vmcnt(7)
	v_mov_b32_e32 v72, v103
	v_mov_b32_e32 v85, v73
	s_waitcnt lgkmcnt(1)
	v_pk_mul_f32 v[72:73], v[76:77], v[72:73] op_sel_hi:[1,0]
	v_pk_add_f32 v[70:71], v[70:71], v[88:89]
	s_waitcnt vmcnt(6)
	v_pk_fma_f32 v[74:75], v[76:77], v[102:103], v[72:73] op_sel:[0,0,1] op_sel_hi:[1,1,0] neg_lo:[0,0,1] neg_hi:[0,0,1]
	v_pk_fma_f32 v[72:73], v[76:77], v[102:103], v[72:73] op_sel:[0,0,1] op_sel_hi:[1,0,0]
	v_pk_add_f32 v[70:71], v[70:71], v[86:87]
	s_waitcnt vmcnt(5)
	v_mov_b32_e32 v72, v105
	v_pk_add_f32 v[70:71], v[70:71], v[84:85]
	v_mov_b32_e32 v75, v73
	v_pk_mul_f32 v[72:73], v[78:79], v[72:73] op_sel_hi:[1,0]
	v_pk_add_f32 v[70:71], v[70:71], v[74:75]
	s_waitcnt vmcnt(4)
	v_pk_fma_f32 v[74:75], v[78:79], v[104:105], v[72:73] op_sel:[0,0,1] op_sel_hi:[1,1,0] neg_lo:[0,0,1] neg_hi:[0,0,1]
	v_pk_fma_f32 v[72:73], v[78:79], v[104:105], v[72:73] op_sel:[0,0,1] op_sel_hi:[1,0,0]
	s_waitcnt vmcnt(3)
	v_mov_b32_e32 v72, v107
	v_mov_b32_e32 v75, v73
	s_waitcnt lgkmcnt(0)
	v_pk_mul_f32 v[72:73], v[80:81], v[72:73] op_sel_hi:[1,0]
	v_pk_add_f32 v[70:71], v[70:71], v[74:75]
	s_waitcnt vmcnt(2)
	v_pk_fma_f32 v[74:75], v[80:81], v[106:107], v[72:73] op_sel:[0,0,1] op_sel_hi:[1,1,0] neg_lo:[0,0,1] neg_hi:[0,0,1]
	v_pk_fma_f32 v[72:73], v[80:81], v[106:107], v[72:73] op_sel:[0,0,1] op_sel_hi:[1,0,0]
	s_waitcnt vmcnt(1)
	v_mov_b32_e32 v72, v109
	v_mov_b32_e32 v75, v73
	v_pk_mul_f32 v[72:73], v[82:83], v[72:73] op_sel_hi:[1,0]
	v_pk_add_f32 v[70:71], v[70:71], v[74:75]
	s_waitcnt vmcnt(0)
	v_pk_fma_f32 v[74:75], v[82:83], v[108:109], v[72:73] op_sel:[0,0,1] op_sel_hi:[1,1,0] neg_lo:[0,0,1] neg_hi:[0,0,1]
	v_pk_fma_f32 v[72:73], v[82:83], v[108:109], v[72:73] op_sel:[0,0,1] op_sel_hi:[1,0,0]
	v_mov_b32_e32 v75, v73
	v_pk_add_f32 v[70:71], v[70:71], v[74:75]
	v_pk_add_f32 v[68:69], v[68:69], v[70:71] neg_lo:[0,1] neg_hi:[0,1]
	buffer_store_dword v69, off, s[0:3], 0 offset:148
	buffer_store_dword v68, off, s[0:3], 0 offset:144
	s_and_saveexec_b64 s[4:5], vcc
	s_cbranch_execz .LBB96_177
; %bb.176:
	buffer_load_dword v68, off, s[0:3], 0 offset:136
	buffer_load_dword v69, off, s[0:3], 0 offset:140
	v_mov_b32_e32 v70, 0
	buffer_store_dword v70, off, s[0:3], 0 offset:136
	buffer_store_dword v70, off, s[0:3], 0 offset:140
	s_waitcnt vmcnt(2)
	ds_write_b64 v1, v[68:69]
.LBB96_177:
	s_or_b64 exec, exec, s[4:5]
	v_mov_b32_e32 v70, 0
	s_waitcnt lgkmcnt(0)
	; wave barrier
	s_waitcnt lgkmcnt(0)
	ds_read_b128 v[72:75], v70 offset:416
	ds_read_b128 v[76:79], v70 offset:432
	;; [unrolled: 1-line block ×4, first 2 shown]
	buffer_load_dword v68, off, s[0:3], 0 offset:136
	buffer_load_dword v69, off, s[0:3], 0 offset:140
	buffer_load_dword v71, off, s[0:3], 0 offset:144
	buffer_load_dword v88, off, s[0:3], 0 offset:148
	buffer_load_dword v90, off, s[0:3], 0 offset:152
	buffer_load_dword v92, off, s[0:3], 0 offset:156
	buffer_load_dword v110, off, s[0:3], 0 offset:160
	buffer_load_dword v111, off, s[0:3], 0 offset:164
	buffer_load_dword v112, off, s[0:3], 0 offset:168
	buffer_load_dword v113, off, s[0:3], 0 offset:172
	buffer_load_dword v114, off, s[0:3], 0 offset:176
	buffer_load_dword v115, off, s[0:3], 0 offset:180
	buffer_load_dword v116, off, s[0:3], 0 offset:184
	buffer_load_dword v117, off, s[0:3], 0 offset:188
	buffer_load_dword v118, off, s[0:3], 0 offset:192
	buffer_load_dword v119, off, s[0:3], 0 offset:196
	buffer_load_dword v95, off, s[0:3], 0 offset:204
	buffer_load_dword v94, off, s[0:3], 0 offset:200
	buffer_load_dword v97, off, s[0:3], 0 offset:212
	buffer_load_dword v96, off, s[0:3], 0 offset:208
	buffer_load_dword v99, off, s[0:3], 0 offset:220
	buffer_load_dword v98, off, s[0:3], 0 offset:216
	buffer_load_dword v101, off, s[0:3], 0 offset:228
	buffer_load_dword v100, off, s[0:3], 0 offset:224
	buffer_load_dword v103, off, s[0:3], 0 offset:236
	buffer_load_dword v102, off, s[0:3], 0 offset:232
	buffer_load_dword v105, off, s[0:3], 0 offset:244
	buffer_load_dword v104, off, s[0:3], 0 offset:240
	buffer_load_dword v107, off, s[0:3], 0 offset:252
	buffer_load_dword v106, off, s[0:3], 0 offset:248
	buffer_load_dword v109, off, s[0:3], 0 offset:260
	buffer_load_dword v108, off, s[0:3], 0 offset:256
	v_cmp_lt_u32_e32 vcc, 16, v0
	s_waitcnt vmcnt(28) lgkmcnt(3)
	v_mul_f32_e32 v89, v72, v88
	v_fmac_f32_e32 v89, v73, v71
	v_mul_f32_e32 v73, v73, v88
	s_waitcnt vmcnt(26)
	v_mul_f32_e32 v91, v74, v92
	v_fma_f32 v71, v72, v71, -v73
	v_mul_f32_e32 v72, v75, v92
	v_add_f32_e32 v89, 0, v89
	v_fmac_f32_e32 v91, v75, v90
	v_add_f32_e32 v71, 0, v71
	v_fma_f32 v72, v74, v90, -v72
	v_add_f32_e32 v89, v89, v91
	s_waitcnt vmcnt(24) lgkmcnt(2)
	v_mul_f32_e32 v91, v76, v111
	v_add_f32_e32 v71, v71, v72
	v_mul_f32_e32 v72, v77, v111
	v_fmac_f32_e32 v91, v77, v110
	v_fma_f32 v72, v76, v110, -v72
	v_add_f32_e32 v89, v89, v91
	s_waitcnt vmcnt(22)
	v_mul_f32_e32 v91, v78, v113
	v_add_f32_e32 v71, v71, v72
	v_mul_f32_e32 v72, v79, v113
	v_fmac_f32_e32 v91, v79, v112
	v_fma_f32 v72, v78, v112, -v72
	v_add_f32_e32 v89, v89, v91
	s_waitcnt vmcnt(20) lgkmcnt(1)
	v_mul_f32_e32 v91, v80, v115
	v_add_f32_e32 v71, v71, v72
	v_mul_f32_e32 v72, v81, v115
	v_fmac_f32_e32 v91, v81, v114
	v_fma_f32 v72, v80, v114, -v72
	v_add_f32_e32 v89, v89, v91
	s_waitcnt vmcnt(18)
	v_mul_f32_e32 v91, v82, v117
	v_add_f32_e32 v88, v71, v72
	v_mul_f32_e32 v71, v83, v117
	v_fmac_f32_e32 v91, v83, v116
	v_fma_f32 v90, v82, v116, -v71
	s_waitcnt vmcnt(16) lgkmcnt(0)
	v_mul_f32_e32 v93, v84, v119
	v_mul_f32_e32 v71, v85, v119
	v_pk_add_f32 v[88:89], v[88:89], v[90:91]
	s_waitcnt vmcnt(15)
	v_mov_b32_e32 v90, v95
	v_fmac_f32_e32 v93, v85, v118
	v_fma_f32 v92, v84, v118, -v71
	v_pk_mul_f32 v[90:91], v[86:87], v[90:91] op_sel_hi:[1,0]
	v_pk_add_f32 v[88:89], v[88:89], v[92:93]
	s_waitcnt vmcnt(14)
	v_pk_fma_f32 v[92:93], v[86:87], v[94:95], v[90:91] op_sel:[0,0,1] op_sel_hi:[1,1,0] neg_lo:[0,0,1] neg_hi:[0,0,1]
	v_pk_fma_f32 v[86:87], v[86:87], v[94:95], v[90:91] op_sel:[0,0,1] op_sel_hi:[1,0,0]
	ds_read_b128 v[72:75], v70 offset:480
	ds_read_b128 v[76:79], v70 offset:496
	;; [unrolled: 1-line block ×3, first 2 shown]
	ds_read_b64 v[84:85], v70 offset:528
	v_mov_b32_e32 v93, v87
	v_pk_add_f32 v[86:87], v[88:89], v[92:93]
	s_waitcnt vmcnt(13)
	v_mov_b32_e32 v88, v97
	s_waitcnt lgkmcnt(3)
	v_pk_mul_f32 v[88:89], v[72:73], v[88:89] op_sel_hi:[1,0]
	s_waitcnt vmcnt(12)
	v_pk_fma_f32 v[90:91], v[72:73], v[96:97], v[88:89] op_sel:[0,0,1] op_sel_hi:[1,1,0] neg_lo:[0,0,1] neg_hi:[0,0,1]
	v_pk_fma_f32 v[72:73], v[72:73], v[96:97], v[88:89] op_sel:[0,0,1] op_sel_hi:[1,0,0]
	v_mov_b32_e32 v91, v73
	v_pk_add_f32 v[72:73], v[86:87], v[90:91]
	s_waitcnt vmcnt(11)
	v_mov_b32_e32 v86, v99
	v_pk_mul_f32 v[86:87], v[74:75], v[86:87] op_sel_hi:[1,0]
	s_waitcnt vmcnt(10)
	v_pk_fma_f32 v[88:89], v[74:75], v[98:99], v[86:87] op_sel:[0,0,1] op_sel_hi:[1,1,0] neg_lo:[0,0,1] neg_hi:[0,0,1]
	v_pk_fma_f32 v[74:75], v[74:75], v[98:99], v[86:87] op_sel:[0,0,1] op_sel_hi:[1,0,0]
	s_waitcnt vmcnt(9)
	v_mov_b32_e32 v74, v101
	v_mov_b32_e32 v89, v75
	s_waitcnt lgkmcnt(2)
	v_pk_mul_f32 v[74:75], v[76:77], v[74:75] op_sel_hi:[1,0]
	s_waitcnt vmcnt(8)
	v_pk_fma_f32 v[86:87], v[76:77], v[100:101], v[74:75] op_sel:[0,0,1] op_sel_hi:[1,1,0] neg_lo:[0,0,1] neg_hi:[0,0,1]
	v_pk_fma_f32 v[74:75], v[76:77], v[100:101], v[74:75] op_sel:[0,0,1] op_sel_hi:[1,0,0]
	s_waitcnt vmcnt(7)
	v_mov_b32_e32 v74, v103
	v_mov_b32_e32 v87, v75
	v_pk_mul_f32 v[74:75], v[78:79], v[74:75] op_sel_hi:[1,0]
	s_waitcnt vmcnt(6)
	v_pk_fma_f32 v[76:77], v[78:79], v[102:103], v[74:75] op_sel:[0,0,1] op_sel_hi:[1,1,0] neg_lo:[0,0,1] neg_hi:[0,0,1]
	v_pk_fma_f32 v[74:75], v[78:79], v[102:103], v[74:75] op_sel:[0,0,1] op_sel_hi:[1,0,0]
	v_pk_add_f32 v[72:73], v[72:73], v[88:89]
	s_waitcnt vmcnt(5)
	v_mov_b32_e32 v74, v105
	v_pk_add_f32 v[72:73], v[72:73], v[86:87]
	v_mov_b32_e32 v77, v75
	s_waitcnt lgkmcnt(1)
	v_pk_mul_f32 v[74:75], v[80:81], v[74:75] op_sel_hi:[1,0]
	v_pk_add_f32 v[72:73], v[72:73], v[76:77]
	s_waitcnt vmcnt(4)
	v_pk_fma_f32 v[76:77], v[80:81], v[104:105], v[74:75] op_sel:[0,0,1] op_sel_hi:[1,1,0] neg_lo:[0,0,1] neg_hi:[0,0,1]
	v_pk_fma_f32 v[74:75], v[80:81], v[104:105], v[74:75] op_sel:[0,0,1] op_sel_hi:[1,0,0]
	s_waitcnt vmcnt(3)
	v_mov_b32_e32 v74, v107
	v_mov_b32_e32 v77, v75
	v_pk_mul_f32 v[74:75], v[82:83], v[74:75] op_sel_hi:[1,0]
	v_pk_add_f32 v[72:73], v[72:73], v[76:77]
	s_waitcnt vmcnt(2)
	v_pk_fma_f32 v[76:77], v[82:83], v[106:107], v[74:75] op_sel:[0,0,1] op_sel_hi:[1,1,0] neg_lo:[0,0,1] neg_hi:[0,0,1]
	v_pk_fma_f32 v[74:75], v[82:83], v[106:107], v[74:75] op_sel:[0,0,1] op_sel_hi:[1,0,0]
	s_waitcnt vmcnt(1)
	v_mov_b32_e32 v74, v109
	v_mov_b32_e32 v77, v75
	s_waitcnt lgkmcnt(0)
	v_pk_mul_f32 v[74:75], v[84:85], v[74:75] op_sel_hi:[1,0]
	v_pk_add_f32 v[72:73], v[72:73], v[76:77]
	s_waitcnt vmcnt(0)
	v_pk_fma_f32 v[76:77], v[84:85], v[108:109], v[74:75] op_sel:[0,0,1] op_sel_hi:[1,1,0] neg_lo:[0,0,1] neg_hi:[0,0,1]
	v_pk_fma_f32 v[74:75], v[84:85], v[108:109], v[74:75] op_sel:[0,0,1] op_sel_hi:[1,0,0]
	v_mov_b32_e32 v77, v75
	v_pk_add_f32 v[72:73], v[72:73], v[76:77]
	v_pk_add_f32 v[68:69], v[68:69], v[72:73] neg_lo:[0,1] neg_hi:[0,1]
	buffer_store_dword v69, off, s[0:3], 0 offset:140
	buffer_store_dword v68, off, s[0:3], 0 offset:136
	s_and_saveexec_b64 s[4:5], vcc
	s_cbranch_execz .LBB96_179
; %bb.178:
	buffer_load_dword v68, off, s[0:3], 0 offset:128
	buffer_load_dword v69, off, s[0:3], 0 offset:132
	s_waitcnt vmcnt(0)
	ds_write_b64 v1, v[68:69]
	buffer_store_dword v70, off, s[0:3], 0 offset:128
	buffer_store_dword v70, off, s[0:3], 0 offset:132
.LBB96_179:
	s_or_b64 exec, exec, s[4:5]
	s_waitcnt lgkmcnt(0)
	; wave barrier
	s_waitcnt lgkmcnt(0)
	ds_read2_b64 v[72:75], v70 offset0:51 offset1:52
	buffer_load_dword v68, off, s[0:3], 0 offset:128
	buffer_load_dword v69, off, s[0:3], 0 offset:132
	;; [unrolled: 1-line block ×16, first 2 shown]
	v_cmp_lt_u32_e32 vcc, 15, v0
	s_waitcnt vmcnt(12) lgkmcnt(0)
	v_mul_f32_e32 v76, v72, v92
	v_fmac_f32_e32 v76, v73, v71
	s_waitcnt vmcnt(10)
	v_mul_f32_e32 v77, v74, v96
	v_add_f32_e32 v76, 0, v76
	v_fmac_f32_e32 v77, v75, v94
	v_add_f32_e32 v80, v76, v77
	ds_read2_b64 v[76:79], v70 offset0:53 offset1:54
	v_mul_f32_e32 v73, v73, v92
	v_fma_f32 v71, v72, v71, -v73
	v_mul_f32_e32 v72, v75, v96
	v_add_f32_e32 v71, 0, v71
	s_waitcnt vmcnt(8) lgkmcnt(0)
	v_mul_f32_e32 v81, v76, v115
	v_fmac_f32_e32 v81, v77, v114
	v_add_f32_e32 v80, v80, v81
	s_waitcnt vmcnt(6)
	v_mul_f32_e32 v81, v78, v117
	v_fmac_f32_e32 v81, v79, v116
	v_add_f32_e32 v84, v80, v81
	ds_read2_b64 v[80:83], v70 offset0:55 offset1:56
	v_fma_f32 v72, v74, v94, -v72
	v_add_f32_e32 v71, v71, v72
	v_mul_f32_e32 v72, v77, v115
	v_fma_f32 v72, v76, v114, -v72
	s_waitcnt vmcnt(4) lgkmcnt(0)
	v_mul_f32_e32 v85, v80, v119
	v_fmac_f32_e32 v85, v81, v118
	v_add_f32_e32 v84, v84, v85
	s_waitcnt vmcnt(2)
	v_mul_f32_e32 v85, v82, v121
	v_fmac_f32_e32 v85, v83, v120
	v_add_f32_e32 v93, v84, v85
	ds_read2_b64 v[84:87], v70 offset0:57 offset1:58
	buffer_load_dword v124, off, s[0:3], 0 offset:192
	buffer_load_dword v125, off, s[0:3], 0 offset:196
	buffer_load_dword v99, off, s[0:3], 0 offset:204
	buffer_load_dword v98, off, s[0:3], 0 offset:200
	ds_read2_b64 v[88:91], v70 offset0:59 offset1:60
	buffer_load_dword v101, off, s[0:3], 0 offset:212
	buffer_load_dword v100, off, s[0:3], 0 offset:208
	;; [unrolled: 1-line block ×14, first 2 shown]
	v_add_f32_e32 v71, v71, v72
	v_mul_f32_e32 v72, v79, v117
	v_fma_f32 v72, v78, v116, -v72
	v_add_f32_e32 v71, v71, v72
	v_mul_f32_e32 v72, v81, v119
	v_fma_f32 v72, v80, v118, -v72
	;; [unrolled: 3-line block ×3, first 2 shown]
	v_add_f32_e32 v92, v71, v72
	s_waitcnt vmcnt(18) lgkmcnt(1)
	v_mul_f32_e32 v71, v85, v123
	v_mul_f32_e32 v95, v84, v123
	v_fma_f32 v94, v84, v122, -v71
	v_fmac_f32_e32 v95, v85, v122
	ds_read2_b64 v[72:75], v70 offset0:61 offset1:62
	ds_read2_b64 v[76:79], v70 offset0:63 offset1:64
	;; [unrolled: 1-line block ×3, first 2 shown]
	s_waitcnt vmcnt(15)
	v_mov_b32_e32 v84, v99
	v_mul_f32_e32 v97, v86, v125
	v_mul_f32_e32 v71, v87, v125
	s_waitcnt lgkmcnt(3)
	v_pk_mul_f32 v[84:85], v[88:89], v[84:85] op_sel_hi:[1,0]
	v_fmac_f32_e32 v97, v87, v124
	v_fma_f32 v96, v86, v124, -v71
	s_waitcnt vmcnt(14)
	v_pk_fma_f32 v[86:87], v[88:89], v[98:99], v[84:85] op_sel:[0,0,1] op_sel_hi:[1,1,0] neg_lo:[0,0,1] neg_hi:[0,0,1]
	v_pk_fma_f32 v[84:85], v[88:89], v[98:99], v[84:85] op_sel:[0,0,1] op_sel_hi:[1,0,0]
	v_pk_add_f32 v[70:71], v[92:93], v[94:95]
	s_waitcnt vmcnt(13)
	v_mov_b32_e32 v84, v101
	v_pk_add_f32 v[70:71], v[70:71], v[96:97]
	v_mov_b32_e32 v87, v85
	v_pk_mul_f32 v[84:85], v[90:91], v[84:85] op_sel_hi:[1,0]
	v_pk_add_f32 v[70:71], v[70:71], v[86:87]
	s_waitcnt vmcnt(12)
	v_pk_fma_f32 v[86:87], v[90:91], v[100:101], v[84:85] op_sel:[0,0,1] op_sel_hi:[1,1,0] neg_lo:[0,0,1] neg_hi:[0,0,1]
	v_pk_fma_f32 v[84:85], v[90:91], v[100:101], v[84:85] op_sel:[0,0,1] op_sel_hi:[1,0,0]
	s_waitcnt vmcnt(11)
	v_mov_b32_e32 v84, v103
	v_mov_b32_e32 v87, v85
	s_waitcnt lgkmcnt(2)
	v_pk_mul_f32 v[84:85], v[72:73], v[84:85] op_sel_hi:[1,0]
	v_pk_add_f32 v[70:71], v[70:71], v[86:87]
	s_waitcnt vmcnt(10)
	v_pk_fma_f32 v[86:87], v[72:73], v[102:103], v[84:85] op_sel:[0,0,1] op_sel_hi:[1,1,0] neg_lo:[0,0,1] neg_hi:[0,0,1]
	v_pk_fma_f32 v[72:73], v[72:73], v[102:103], v[84:85] op_sel:[0,0,1] op_sel_hi:[1,0,0]
	s_waitcnt vmcnt(9)
	v_mov_b32_e32 v72, v105
	v_mov_b32_e32 v87, v73
	v_pk_mul_f32 v[72:73], v[74:75], v[72:73] op_sel_hi:[1,0]
	s_waitcnt vmcnt(8)
	v_pk_fma_f32 v[84:85], v[74:75], v[104:105], v[72:73] op_sel:[0,0,1] op_sel_hi:[1,1,0] neg_lo:[0,0,1] neg_hi:[0,0,1]
	v_pk_fma_f32 v[72:73], v[74:75], v[104:105], v[72:73] op_sel:[0,0,1] op_sel_hi:[1,0,0]
	s_waitcnt vmcnt(7)
	v_mov_b32_e32 v72, v107
	v_mov_b32_e32 v85, v73
	s_waitcnt lgkmcnt(1)
	v_pk_mul_f32 v[72:73], v[76:77], v[72:73] op_sel_hi:[1,0]
	s_waitcnt vmcnt(6)
	v_pk_fma_f32 v[74:75], v[76:77], v[106:107], v[72:73] op_sel:[0,0,1] op_sel_hi:[1,1,0] neg_lo:[0,0,1] neg_hi:[0,0,1]
	v_pk_fma_f32 v[72:73], v[76:77], v[106:107], v[72:73] op_sel:[0,0,1] op_sel_hi:[1,0,0]
	v_pk_add_f32 v[70:71], v[70:71], v[86:87]
	s_waitcnt vmcnt(5)
	v_mov_b32_e32 v72, v109
	v_pk_add_f32 v[70:71], v[70:71], v[84:85]
	v_mov_b32_e32 v75, v73
	v_pk_mul_f32 v[72:73], v[78:79], v[72:73] op_sel_hi:[1,0]
	v_pk_add_f32 v[70:71], v[70:71], v[74:75]
	s_waitcnt vmcnt(4)
	v_pk_fma_f32 v[74:75], v[78:79], v[108:109], v[72:73] op_sel:[0,0,1] op_sel_hi:[1,1,0] neg_lo:[0,0,1] neg_hi:[0,0,1]
	v_pk_fma_f32 v[72:73], v[78:79], v[108:109], v[72:73] op_sel:[0,0,1] op_sel_hi:[1,0,0]
	s_waitcnt vmcnt(3)
	v_mov_b32_e32 v72, v111
	v_mov_b32_e32 v75, v73
	s_waitcnt lgkmcnt(0)
	v_pk_mul_f32 v[72:73], v[80:81], v[72:73] op_sel_hi:[1,0]
	v_pk_add_f32 v[70:71], v[70:71], v[74:75]
	s_waitcnt vmcnt(2)
	v_pk_fma_f32 v[74:75], v[80:81], v[110:111], v[72:73] op_sel:[0,0,1] op_sel_hi:[1,1,0] neg_lo:[0,0,1] neg_hi:[0,0,1]
	v_pk_fma_f32 v[72:73], v[80:81], v[110:111], v[72:73] op_sel:[0,0,1] op_sel_hi:[1,0,0]
	s_waitcnt vmcnt(1)
	v_mov_b32_e32 v72, v113
	v_mov_b32_e32 v75, v73
	v_pk_mul_f32 v[72:73], v[82:83], v[72:73] op_sel_hi:[1,0]
	v_pk_add_f32 v[70:71], v[70:71], v[74:75]
	s_waitcnt vmcnt(0)
	v_pk_fma_f32 v[74:75], v[82:83], v[112:113], v[72:73] op_sel:[0,0,1] op_sel_hi:[1,1,0] neg_lo:[0,0,1] neg_hi:[0,0,1]
	v_pk_fma_f32 v[72:73], v[82:83], v[112:113], v[72:73] op_sel:[0,0,1] op_sel_hi:[1,0,0]
	v_mov_b32_e32 v75, v73
	v_pk_add_f32 v[70:71], v[70:71], v[74:75]
	v_pk_add_f32 v[68:69], v[68:69], v[70:71] neg_lo:[0,1] neg_hi:[0,1]
	buffer_store_dword v69, off, s[0:3], 0 offset:132
	buffer_store_dword v68, off, s[0:3], 0 offset:128
	s_and_saveexec_b64 s[4:5], vcc
	s_cbranch_execz .LBB96_181
; %bb.180:
	buffer_load_dword v68, off, s[0:3], 0 offset:120
	buffer_load_dword v69, off, s[0:3], 0 offset:124
	v_mov_b32_e32 v70, 0
	buffer_store_dword v70, off, s[0:3], 0 offset:120
	buffer_store_dword v70, off, s[0:3], 0 offset:124
	s_waitcnt vmcnt(2)
	ds_write_b64 v1, v[68:69]
.LBB96_181:
	s_or_b64 exec, exec, s[4:5]
	s_waitcnt lgkmcnt(0)
	; wave barrier
	s_waitcnt lgkmcnt(0)
	buffer_load_dword v69, off, s[0:3], 0 offset:132
	buffer_load_dword v112, off, s[0:3], 0 offset:140
	;; [unrolled: 1-line block ×36, first 2 shown]
	v_mov_b32_e32 v68, 0
	ds_read_b128 v[70:73], v68 offset:400
	ds_read_b128 v[74:77], v68 offset:416
	;; [unrolled: 1-line block ×6, first 2 shown]
	v_cmp_lt_u32_e32 vcc, 14, v0
	s_waitcnt vmcnt(35) lgkmcnt(5)
	v_mul_f32_e32 v131, v70, v69
	s_waitcnt vmcnt(34)
	v_mul_f32_e32 v132, v72, v112
	s_waitcnt vmcnt(33) lgkmcnt(4)
	v_mul_f32_e32 v133, v74, v114
	v_mul_f32_e32 v69, v71, v69
	;; [unrolled: 1-line block ×4, first 2 shown]
	s_waitcnt vmcnt(32)
	v_mul_f32_e32 v134, v76, v116
	s_waitcnt vmcnt(31) lgkmcnt(3)
	v_mul_f32_e32 v135, v78, v117
	v_mul_f32_e32 v116, v77, v116
	s_waitcnt vmcnt(26)
	v_fmac_f32_e32 v131, v71, v122
	s_waitcnt vmcnt(25)
	v_fmac_f32_e32 v132, v73, v123
	;; [unrolled: 2-line block ×3, first 2 shown]
	v_fma_f32 v69, v70, v122, -v69
	v_add_f32_e32 v75, 0, v131
	v_fma_f32 v70, v72, v123, -v112
	v_add_f32_e32 v69, 0, v69
	v_add_f32_e32 v75, v75, v132
	s_waitcnt vmcnt(23)
	v_fmac_f32_e32 v134, v77, v125
	v_fma_f32 v71, v74, v124, -v114
	v_add_f32_e32 v69, v69, v70
	v_add_f32_e32 v70, v75, v133
	v_mul_f32_e32 v136, v80, v118
	v_mul_f32_e32 v117, v79, v117
	s_waitcnt vmcnt(22)
	v_fmac_f32_e32 v135, v79, v126
	v_fma_f32 v72, v76, v125, -v116
	v_add_f32_e32 v69, v69, v71
	v_add_f32_e32 v70, v70, v134
	s_waitcnt lgkmcnt(2)
	v_mul_f32_e32 v137, v82, v119
	v_mul_f32_e32 v118, v81, v118
	s_waitcnt vmcnt(21)
	v_fmac_f32_e32 v136, v81, v127
	v_fma_f32 v73, v78, v126, -v117
	v_add_f32_e32 v69, v69, v72
	v_add_f32_e32 v70, v70, v135
	v_mul_f32_e32 v119, v83, v119
	s_waitcnt vmcnt(20)
	v_fmac_f32_e32 v137, v83, v128
	v_fma_f32 v74, v80, v127, -v118
	v_add_f32_e32 v69, v69, v73
	v_add_f32_e32 v70, v70, v136
	;; [unrolled: 1-line block ×4, first 2 shown]
	v_fma_f32 v70, v82, v128, -v119
	s_waitcnt vmcnt(17)
	v_mov_b32_e32 v82, v95
	v_mul_f32_e32 v113, v84, v120
	v_add_f32_e32 v78, v69, v70
	v_mul_f32_e32 v69, v85, v120
	s_waitcnt lgkmcnt(1)
	v_pk_mul_f32 v[82:83], v[88:89], v[82:83] op_sel_hi:[1,0]
	v_mul_f32_e32 v115, v86, v121
	v_fmac_f32_e32 v113, v85, v129
	v_fma_f32 v112, v84, v129, -v69
	v_mul_f32_e32 v69, v87, v121
	s_waitcnt vmcnt(15)
	v_pk_fma_f32 v[84:85], v[88:89], v[94:95], v[82:83] op_sel:[0,0,1] op_sel_hi:[1,1,0] neg_lo:[0,0,1] neg_hi:[0,0,1]
	v_pk_fma_f32 v[82:83], v[88:89], v[94:95], v[82:83] op_sel:[0,0,1] op_sel_hi:[1,0,0]
	v_fmac_f32_e32 v115, v87, v130
	v_fma_f32 v114, v86, v130, -v69
	v_pk_add_f32 v[78:79], v[78:79], v[112:113]
	s_waitcnt vmcnt(12)
	v_mov_b32_e32 v82, v97
	v_pk_add_f32 v[78:79], v[78:79], v[114:115]
	v_mov_b32_e32 v85, v83
	s_waitcnt lgkmcnt(0)
	v_pk_mul_f32 v[82:83], v[90:91], v[82:83] op_sel_hi:[1,0]
	v_pk_add_f32 v[78:79], v[78:79], v[84:85]
	v_pk_fma_f32 v[84:85], v[90:91], v[96:97], v[82:83] op_sel:[0,0,1] op_sel_hi:[1,1,0] neg_lo:[0,0,1] neg_hi:[0,0,1]
	v_pk_fma_f32 v[82:83], v[90:91], v[96:97], v[82:83] op_sel:[0,0,1] op_sel_hi:[1,0,0]
	s_waitcnt vmcnt(11)
	v_mov_b32_e32 v82, v101
	ds_read_b128 v[70:73], v68 offset:496
	ds_read_b128 v[74:77], v68 offset:512
	ds_read_b64 v[80:81], v68 offset:528
	v_mov_b32_e32 v85, v83
	v_pk_mul_f32 v[82:83], v[92:93], v[82:83] op_sel_hi:[1,0]
	v_pk_add_f32 v[78:79], v[78:79], v[84:85]
	s_waitcnt vmcnt(4)
	v_pk_fma_f32 v[84:85], v[92:93], v[100:101], v[82:83] op_sel:[0,0,1] op_sel_hi:[1,1,0] neg_lo:[0,0,1] neg_hi:[0,0,1]
	v_pk_fma_f32 v[82:83], v[92:93], v[100:101], v[82:83] op_sel:[0,0,1] op_sel_hi:[1,0,0]
	v_mov_b32_e32 v82, v107
	v_mov_b32_e32 v85, v83
	s_waitcnt lgkmcnt(2)
	v_pk_mul_f32 v[82:83], v[70:71], v[82:83] op_sel_hi:[1,0]
	v_pk_add_f32 v[78:79], v[78:79], v[84:85]
	v_pk_fma_f32 v[84:85], v[70:71], v[106:107], v[82:83] op_sel:[0,0,1] op_sel_hi:[1,1,0] neg_lo:[0,0,1] neg_hi:[0,0,1]
	v_pk_fma_f32 v[70:71], v[70:71], v[106:107], v[82:83] op_sel:[0,0,1] op_sel_hi:[1,0,0]
	v_mov_b32_e32 v85, v71
	v_pk_add_f32 v[70:71], v[78:79], v[84:85]
	v_mov_b32_e32 v78, v105
	v_pk_mul_f32 v[78:79], v[72:73], v[78:79] op_sel_hi:[1,0]
	v_pk_fma_f32 v[82:83], v[72:73], v[104:105], v[78:79] op_sel:[0,0,1] op_sel_hi:[1,1,0] neg_lo:[0,0,1] neg_hi:[0,0,1]
	v_pk_fma_f32 v[72:73], v[72:73], v[104:105], v[78:79] op_sel:[0,0,1] op_sel_hi:[1,0,0]
	v_mov_b32_e32 v72, v103
	v_mov_b32_e32 v83, v73
	s_waitcnt lgkmcnt(1)
	v_pk_mul_f32 v[72:73], v[74:75], v[72:73] op_sel_hi:[1,0]
	v_pk_fma_f32 v[78:79], v[74:75], v[102:103], v[72:73] op_sel:[0,0,1] op_sel_hi:[1,1,0] neg_lo:[0,0,1] neg_hi:[0,0,1]
	v_pk_fma_f32 v[72:73], v[74:75], v[102:103], v[72:73] op_sel:[0,0,1] op_sel_hi:[1,0,0]
	s_waitcnt vmcnt(1)
	v_mov_b32_e32 v72, v111
	v_mov_b32_e32 v79, v73
	v_pk_mul_f32 v[72:73], v[76:77], v[72:73] op_sel_hi:[1,0]
	s_waitcnt vmcnt(0)
	v_pk_fma_f32 v[74:75], v[76:77], v[110:111], v[72:73] op_sel:[0,0,1] op_sel_hi:[1,1,0] neg_lo:[0,0,1] neg_hi:[0,0,1]
	v_pk_fma_f32 v[72:73], v[76:77], v[110:111], v[72:73] op_sel:[0,0,1] op_sel_hi:[1,0,0]
	v_pk_add_f32 v[70:71], v[70:71], v[82:83]
	v_mov_b32_e32 v72, v109
	v_pk_add_f32 v[70:71], v[70:71], v[78:79]
	v_mov_b32_e32 v75, v73
	s_waitcnt lgkmcnt(0)
	v_pk_mul_f32 v[72:73], v[80:81], v[72:73] op_sel_hi:[1,0]
	v_pk_add_f32 v[70:71], v[70:71], v[74:75]
	v_pk_fma_f32 v[74:75], v[80:81], v[108:109], v[72:73] op_sel:[0,0,1] op_sel_hi:[1,1,0] neg_lo:[0,0,1] neg_hi:[0,0,1]
	v_pk_fma_f32 v[72:73], v[80:81], v[108:109], v[72:73] op_sel:[0,0,1] op_sel_hi:[1,0,0]
	v_mov_b32_e32 v75, v73
	v_pk_add_f32 v[70:71], v[70:71], v[74:75]
	v_pk_add_f32 v[70:71], v[98:99], v[70:71] neg_lo:[0,1] neg_hi:[0,1]
	buffer_store_dword v71, off, s[0:3], 0 offset:124
	buffer_store_dword v70, off, s[0:3], 0 offset:120
	s_and_saveexec_b64 s[4:5], vcc
	s_cbranch_execz .LBB96_183
; %bb.182:
	buffer_load_dword v70, off, s[0:3], 0 offset:112
	buffer_load_dword v71, off, s[0:3], 0 offset:116
	s_waitcnt vmcnt(0)
	ds_write_b64 v1, v[70:71]
	buffer_store_dword v68, off, s[0:3], 0 offset:112
	buffer_store_dword v68, off, s[0:3], 0 offset:116
.LBB96_183:
	s_or_b64 exec, exec, s[4:5]
	s_waitcnt lgkmcnt(0)
	; wave barrier
	s_waitcnt lgkmcnt(0)
	buffer_load_dword v69, off, s[0:3], 0 offset:124
	buffer_load_dword v112, off, s[0:3], 0 offset:132
	;; [unrolled: 1-line block ×22, first 2 shown]
	ds_read2_b64 v[70:73], v68 offset0:49 offset1:50
	ds_read2_b64 v[74:77], v68 offset0:51 offset1:52
	buffer_load_dword v97, off, s[0:3], 0 offset:204
	buffer_load_dword v96, off, s[0:3], 0 offset:200
	;; [unrolled: 1-line block ×10, first 2 shown]
	ds_read2_b64 v[78:81], v68 offset0:53 offset1:54
	ds_read2_b64 v[82:85], v68 offset0:55 offset1:56
	;; [unrolled: 1-line block ×4, first 2 shown]
	buffer_load_dword v107, off, s[0:3], 0 offset:260
	buffer_load_dword v106, off, s[0:3], 0 offset:256
	;; [unrolled: 1-line block ×6, first 2 shown]
	v_cmp_lt_u32_e32 vcc, 13, v0
	s_waitcnt vmcnt(37) lgkmcnt(5)
	v_mul_f32_e32 v133, v70, v69
	s_waitcnt vmcnt(36)
	v_mul_f32_e32 v134, v72, v112
	s_waitcnt vmcnt(35) lgkmcnt(4)
	v_mul_f32_e32 v135, v74, v114
	v_mul_f32_e32 v69, v71, v69
	v_mul_f32_e32 v114, v75, v114
	v_mul_f32_e32 v112, v73, v112
	s_waitcnt vmcnt(34)
	v_mul_f32_e32 v136, v76, v116
	s_waitcnt vmcnt(33) lgkmcnt(3)
	v_mul_f32_e32 v137, v78, v117
	s_waitcnt vmcnt(32)
	v_mul_f32_e32 v138, v80, v118
	s_waitcnt vmcnt(31) lgkmcnt(2)
	v_mul_f32_e32 v139, v82, v119
	s_waitcnt vmcnt(27)
	v_fmac_f32_e32 v133, v71, v123
	s_waitcnt vmcnt(26)
	v_fmac_f32_e32 v134, v73, v124
	v_fma_f32 v69, v70, v123, -v69
	s_waitcnt vmcnt(25)
	v_fma_f32 v71, v74, v125, -v114
	v_add_f32_e32 v74, 0, v133
	v_fmac_f32_e32 v135, v75, v125
	v_fma_f32 v70, v72, v124, -v112
	v_add_f32_e32 v69, 0, v69
	v_add_f32_e32 v74, v74, v134
	s_waitcnt vmcnt(24)
	v_fmac_f32_e32 v136, v77, v126
	v_add_f32_e32 v69, v69, v70
	v_add_f32_e32 v70, v74, v135
	s_waitcnt vmcnt(23)
	v_fmac_f32_e32 v137, v79, v127
	v_add_f32_e32 v70, v70, v136
	v_mul_f32_e32 v116, v77, v116
	s_waitcnt vmcnt(22)
	v_fmac_f32_e32 v138, v81, v128
	v_add_f32_e32 v70, v70, v137
	v_mul_f32_e32 v140, v84, v120
	v_mul_f32_e32 v117, v79, v117
	s_waitcnt vmcnt(21)
	v_fmac_f32_e32 v139, v83, v129
	v_fma_f32 v72, v76, v126, -v116
	v_add_f32_e32 v69, v69, v71
	v_add_f32_e32 v70, v70, v138
	v_mul_f32_e32 v118, v81, v118
	s_waitcnt vmcnt(20)
	v_fmac_f32_e32 v140, v85, v130
	v_fma_f32 v73, v78, v127, -v117
	v_add_f32_e32 v69, v69, v72
	v_add_f32_e32 v70, v70, v139
	;; [unrolled: 1-line block ×4, first 2 shown]
	v_fma_f32 v70, v80, v128, -v118
	v_add_f32_e32 v69, v69, v70
	v_mul_f32_e32 v70, v83, v119
	v_fma_f32 v70, v82, v129, -v70
	v_add_f32_e32 v69, v69, v70
	v_mul_f32_e32 v70, v85, v120
	v_fma_f32 v70, v84, v130, -v70
	s_waitcnt vmcnt(15)
	v_mov_b32_e32 v82, v97
	s_waitcnt lgkmcnt(1)
	v_mul_f32_e32 v113, v86, v121
	v_add_f32_e32 v116, v69, v70
	v_mul_f32_e32 v69, v87, v121
	s_waitcnt lgkmcnt(0)
	v_pk_mul_f32 v[82:83], v[90:91], v[82:83] op_sel_hi:[1,0]
	v_mul_f32_e32 v115, v88, v122
	v_fmac_f32_e32 v113, v87, v131
	v_fma_f32 v112, v86, v131, -v69
	v_mul_f32_e32 v69, v89, v122
	s_waitcnt vmcnt(14)
	v_pk_fma_f32 v[84:85], v[90:91], v[96:97], v[82:83] op_sel:[0,0,1] op_sel_hi:[1,1,0] neg_lo:[0,0,1] neg_hi:[0,0,1]
	v_pk_fma_f32 v[82:83], v[90:91], v[96:97], v[82:83] op_sel:[0,0,1] op_sel_hi:[1,0,0]
	v_fmac_f32_e32 v115, v89, v132
	v_fma_f32 v114, v88, v132, -v69
	ds_read2_b64 v[70:73], v68 offset0:61 offset1:62
	ds_read2_b64 v[74:77], v68 offset0:63 offset1:64
	;; [unrolled: 1-line block ×3, first 2 shown]
	v_pk_add_f32 v[68:69], v[116:117], v[112:113]
	s_waitcnt vmcnt(13)
	v_mov_b32_e32 v82, v99
	v_pk_add_f32 v[68:69], v[68:69], v[114:115]
	v_mov_b32_e32 v85, v83
	v_pk_mul_f32 v[82:83], v[92:93], v[82:83] op_sel_hi:[1,0]
	v_pk_add_f32 v[68:69], v[68:69], v[84:85]
	s_waitcnt vmcnt(6)
	v_pk_fma_f32 v[84:85], v[92:93], v[98:99], v[82:83] op_sel:[0,0,1] op_sel_hi:[1,1,0] neg_lo:[0,0,1] neg_hi:[0,0,1]
	v_pk_fma_f32 v[82:83], v[92:93], v[98:99], v[82:83] op_sel:[0,0,1] op_sel_hi:[1,0,0]
	v_mov_b32_e32 v82, v105
	v_mov_b32_e32 v85, v83
	s_waitcnt lgkmcnt(2)
	v_pk_mul_f32 v[82:83], v[70:71], v[82:83] op_sel_hi:[1,0]
	v_pk_add_f32 v[68:69], v[68:69], v[84:85]
	v_pk_fma_f32 v[84:85], v[70:71], v[104:105], v[82:83] op_sel:[0,0,1] op_sel_hi:[1,1,0] neg_lo:[0,0,1] neg_hi:[0,0,1]
	v_pk_fma_f32 v[70:71], v[70:71], v[104:105], v[82:83] op_sel:[0,0,1] op_sel_hi:[1,0,0]
	v_mov_b32_e32 v70, v103
	v_mov_b32_e32 v85, v71
	v_pk_mul_f32 v[70:71], v[72:73], v[70:71] op_sel_hi:[1,0]
	v_pk_fma_f32 v[82:83], v[72:73], v[102:103], v[70:71] op_sel:[0,0,1] op_sel_hi:[1,1,0] neg_lo:[0,0,1] neg_hi:[0,0,1]
	v_pk_fma_f32 v[70:71], v[72:73], v[102:103], v[70:71] op_sel:[0,0,1] op_sel_hi:[1,0,0]
	v_mov_b32_e32 v70, v101
	v_mov_b32_e32 v83, v71
	s_waitcnt lgkmcnt(1)
	v_pk_mul_f32 v[70:71], v[74:75], v[70:71] op_sel_hi:[1,0]
	v_pk_fma_f32 v[72:73], v[74:75], v[100:101], v[70:71] op_sel:[0,0,1] op_sel_hi:[1,1,0] neg_lo:[0,0,1] neg_hi:[0,0,1]
	v_pk_fma_f32 v[70:71], v[74:75], v[100:101], v[70:71] op_sel:[0,0,1] op_sel_hi:[1,0,0]
	v_pk_add_f32 v[68:69], v[68:69], v[84:85]
	s_waitcnt vmcnt(1)
	v_mov_b32_e32 v70, v111
	v_pk_add_f32 v[68:69], v[68:69], v[82:83]
	v_mov_b32_e32 v73, v71
	v_pk_mul_f32 v[70:71], v[76:77], v[70:71] op_sel_hi:[1,0]
	v_pk_add_f32 v[68:69], v[68:69], v[72:73]
	s_waitcnt vmcnt(0)
	v_pk_fma_f32 v[72:73], v[76:77], v[110:111], v[70:71] op_sel:[0,0,1] op_sel_hi:[1,1,0] neg_lo:[0,0,1] neg_hi:[0,0,1]
	v_pk_fma_f32 v[70:71], v[76:77], v[110:111], v[70:71] op_sel:[0,0,1] op_sel_hi:[1,0,0]
	v_mov_b32_e32 v70, v109
	v_mov_b32_e32 v73, v71
	s_waitcnt lgkmcnt(0)
	v_pk_mul_f32 v[70:71], v[78:79], v[70:71] op_sel_hi:[1,0]
	v_pk_add_f32 v[68:69], v[68:69], v[72:73]
	v_pk_fma_f32 v[72:73], v[78:79], v[108:109], v[70:71] op_sel:[0,0,1] op_sel_hi:[1,1,0] neg_lo:[0,0,1] neg_hi:[0,0,1]
	v_pk_fma_f32 v[70:71], v[78:79], v[108:109], v[70:71] op_sel:[0,0,1] op_sel_hi:[1,0,0]
	v_mov_b32_e32 v70, v107
	v_mov_b32_e32 v73, v71
	v_pk_mul_f32 v[70:71], v[80:81], v[70:71] op_sel_hi:[1,0]
	v_pk_add_f32 v[68:69], v[68:69], v[72:73]
	v_pk_fma_f32 v[72:73], v[80:81], v[106:107], v[70:71] op_sel:[0,0,1] op_sel_hi:[1,1,0] neg_lo:[0,0,1] neg_hi:[0,0,1]
	v_pk_fma_f32 v[70:71], v[80:81], v[106:107], v[70:71] op_sel:[0,0,1] op_sel_hi:[1,0,0]
	v_mov_b32_e32 v73, v71
	v_pk_add_f32 v[68:69], v[68:69], v[72:73]
	v_pk_add_f32 v[68:69], v[94:95], v[68:69] neg_lo:[0,1] neg_hi:[0,1]
	buffer_store_dword v69, off, s[0:3], 0 offset:116
	buffer_store_dword v68, off, s[0:3], 0 offset:112
	s_and_saveexec_b64 s[4:5], vcc
	s_cbranch_execz .LBB96_185
; %bb.184:
	buffer_load_dword v68, off, s[0:3], 0 offset:104
	buffer_load_dword v69, off, s[0:3], 0 offset:108
	v_mov_b32_e32 v70, 0
	buffer_store_dword v70, off, s[0:3], 0 offset:104
	buffer_store_dword v70, off, s[0:3], 0 offset:108
	s_waitcnt vmcnt(2)
	ds_write_b64 v1, v[68:69]
.LBB96_185:
	s_or_b64 exec, exec, s[4:5]
	s_waitcnt lgkmcnt(0)
	; wave barrier
	s_waitcnt lgkmcnt(0)
	buffer_load_dword v69, off, s[0:3], 0 offset:116
	buffer_load_dword v112, off, s[0:3], 0 offset:124
	;; [unrolled: 1-line block ×40, first 2 shown]
	v_mov_b32_e32 v68, 0
	ds_read_b128 v[70:73], v68 offset:384
	ds_read_b128 v[74:77], v68 offset:400
	;; [unrolled: 1-line block ×6, first 2 shown]
	v_cmp_lt_u32_e32 vcc, 12, v0
	s_waitcnt vmcnt(39) lgkmcnt(5)
	v_mul_f32_e32 v135, v70, v69
	s_waitcnt vmcnt(38)
	v_mul_f32_e32 v136, v72, v112
	v_mul_f32_e32 v69, v71, v69
	s_waitcnt vmcnt(37) lgkmcnt(4)
	v_mul_f32_e32 v137, v74, v114
	v_mul_f32_e32 v112, v73, v112
	s_waitcnt vmcnt(36)
	v_mul_f32_e32 v138, v76, v116
	s_waitcnt vmcnt(35) lgkmcnt(3)
	v_mul_f32_e32 v139, v78, v118
	s_waitcnt vmcnt(34)
	v_mul_f32_e32 v140, v80, v119
	s_waitcnt vmcnt(33) lgkmcnt(2)
	;; [unrolled: 4-line block ×3, first 2 shown]
	v_mul_f32_e32 v143, v86, v122
	s_waitcnt vmcnt(28)
	v_fmac_f32_e32 v135, v71, v117
	s_waitcnt vmcnt(27)
	v_fmac_f32_e32 v136, v73, v125
	v_fma_f32 v69, v70, v117, -v69
	v_add_f32_e32 v73, 0, v135
	s_waitcnt vmcnt(26)
	v_fmac_f32_e32 v137, v75, v126
	v_fma_f32 v70, v72, v125, -v112
	v_add_f32_e32 v69, 0, v69
	v_add_f32_e32 v73, v73, v136
	s_waitcnt vmcnt(25)
	v_fmac_f32_e32 v138, v77, v127
	v_add_f32_e32 v69, v69, v70
	v_add_f32_e32 v70, v73, v137
	s_waitcnt vmcnt(24)
	v_fmac_f32_e32 v139, v79, v128
	v_add_f32_e32 v70, v70, v138
	s_waitcnt vmcnt(23)
	v_fmac_f32_e32 v140, v81, v129
	;; [unrolled: 3-line block ×3, first 2 shown]
	v_add_f32_e32 v70, v70, v140
	v_mul_f32_e32 v114, v75, v114
	s_waitcnt vmcnt(21)
	v_fmac_f32_e32 v142, v85, v131
	v_add_f32_e32 v70, v70, v141
	v_mul_f32_e32 v116, v77, v116
	s_waitcnt vmcnt(20)
	v_fmac_f32_e32 v143, v87, v132
	v_fma_f32 v71, v74, v126, -v114
	v_add_f32_e32 v70, v70, v142
	v_fma_f32 v72, v76, v127, -v116
	v_add_f32_e32 v69, v69, v71
	v_add_f32_e32 v117, v70, v143
	v_mul_f32_e32 v70, v79, v118
	v_add_f32_e32 v69, v69, v72
	v_fma_f32 v70, v78, v128, -v70
	v_add_f32_e32 v69, v69, v70
	v_mul_f32_e32 v70, v81, v119
	v_fma_f32 v70, v80, v129, -v70
	v_add_f32_e32 v69, v69, v70
	v_mul_f32_e32 v70, v83, v120
	;; [unrolled: 3-line block ×4, first 2 shown]
	v_fma_f32 v70, v86, v132, -v70
	s_waitcnt vmcnt(9)
	v_mov_b32_e32 v86, v103
	v_mul_f32_e32 v113, v88, v123
	v_add_f32_e32 v116, v69, v70
	v_mul_f32_e32 v69, v89, v123
	s_waitcnt lgkmcnt(0)
	v_pk_mul_f32 v[86:87], v[92:93], v[86:87] op_sel_hi:[1,0]
	v_mul_f32_e32 v115, v90, v124
	v_fmac_f32_e32 v113, v89, v133
	v_fma_f32 v112, v88, v133, -v69
	v_mul_f32_e32 v69, v91, v124
	ds_read_b128 v[70:73], v68 offset:480
	ds_read_b128 v[74:77], v68 offset:496
	;; [unrolled: 1-line block ×3, first 2 shown]
	ds_read_b64 v[82:83], v68 offset:528
	s_waitcnt vmcnt(8)
	v_pk_fma_f32 v[88:89], v[92:93], v[102:103], v[86:87] op_sel:[0,0,1] op_sel_hi:[1,1,0] neg_lo:[0,0,1] neg_hi:[0,0,1]
	v_pk_fma_f32 v[86:87], v[92:93], v[102:103], v[86:87] op_sel:[0,0,1] op_sel_hi:[1,0,0]
	v_fmac_f32_e32 v115, v91, v134
	v_fma_f32 v114, v90, v134, -v69
	v_pk_add_f32 v[84:85], v[116:117], v[112:113]
	v_mov_b32_e32 v86, v101
	v_pk_add_f32 v[84:85], v[84:85], v[114:115]
	v_mov_b32_e32 v89, v87
	s_waitcnt lgkmcnt(3)
	v_pk_mul_f32 v[86:87], v[70:71], v[86:87] op_sel_hi:[1,0]
	v_pk_add_f32 v[84:85], v[84:85], v[88:89]
	v_pk_fma_f32 v[88:89], v[70:71], v[100:101], v[86:87] op_sel:[0,0,1] op_sel_hi:[1,1,0] neg_lo:[0,0,1] neg_hi:[0,0,1]
	v_pk_fma_f32 v[70:71], v[70:71], v[100:101], v[86:87] op_sel:[0,0,1] op_sel_hi:[1,0,0]
	v_mov_b32_e32 v89, v71
	v_pk_add_f32 v[70:71], v[84:85], v[88:89]
	v_mov_b32_e32 v84, v99
	v_pk_mul_f32 v[84:85], v[72:73], v[84:85] op_sel_hi:[1,0]
	v_pk_fma_f32 v[86:87], v[72:73], v[98:99], v[84:85] op_sel:[0,0,1] op_sel_hi:[1,1,0] neg_lo:[0,0,1] neg_hi:[0,0,1]
	v_pk_fma_f32 v[72:73], v[72:73], v[98:99], v[84:85] op_sel:[0,0,1] op_sel_hi:[1,0,0]
	v_mov_b32_e32 v72, v97
	v_mov_b32_e32 v87, v73
	s_waitcnt lgkmcnt(2)
	v_pk_mul_f32 v[72:73], v[74:75], v[72:73] op_sel_hi:[1,0]
	v_pk_fma_f32 v[84:85], v[74:75], v[96:97], v[72:73] op_sel:[0,0,1] op_sel_hi:[1,1,0] neg_lo:[0,0,1] neg_hi:[0,0,1]
	v_pk_fma_f32 v[72:73], v[74:75], v[96:97], v[72:73] op_sel:[0,0,1] op_sel_hi:[1,0,0]
	s_waitcnt vmcnt(1)
	v_mov_b32_e32 v72, v111
	v_mov_b32_e32 v85, v73
	v_pk_mul_f32 v[72:73], v[76:77], v[72:73] op_sel_hi:[1,0]
	s_waitcnt vmcnt(0)
	v_pk_fma_f32 v[74:75], v[76:77], v[110:111], v[72:73] op_sel:[0,0,1] op_sel_hi:[1,1,0] neg_lo:[0,0,1] neg_hi:[0,0,1]
	v_pk_fma_f32 v[72:73], v[76:77], v[110:111], v[72:73] op_sel:[0,0,1] op_sel_hi:[1,0,0]
	v_pk_add_f32 v[70:71], v[70:71], v[86:87]
	v_mov_b32_e32 v72, v109
	v_pk_add_f32 v[70:71], v[70:71], v[84:85]
	v_mov_b32_e32 v75, v73
	s_waitcnt lgkmcnt(1)
	v_pk_mul_f32 v[72:73], v[78:79], v[72:73] op_sel_hi:[1,0]
	v_pk_add_f32 v[70:71], v[70:71], v[74:75]
	v_pk_fma_f32 v[74:75], v[78:79], v[108:109], v[72:73] op_sel:[0,0,1] op_sel_hi:[1,1,0] neg_lo:[0,0,1] neg_hi:[0,0,1]
	v_pk_fma_f32 v[72:73], v[78:79], v[108:109], v[72:73] op_sel:[0,0,1] op_sel_hi:[1,0,0]
	v_mov_b32_e32 v72, v107
	v_mov_b32_e32 v75, v73
	v_pk_mul_f32 v[72:73], v[80:81], v[72:73] op_sel_hi:[1,0]
	v_pk_add_f32 v[70:71], v[70:71], v[74:75]
	v_pk_fma_f32 v[74:75], v[80:81], v[106:107], v[72:73] op_sel:[0,0,1] op_sel_hi:[1,1,0] neg_lo:[0,0,1] neg_hi:[0,0,1]
	v_pk_fma_f32 v[72:73], v[80:81], v[106:107], v[72:73] op_sel:[0,0,1] op_sel_hi:[1,0,0]
	v_mov_b32_e32 v72, v105
	v_mov_b32_e32 v75, v73
	s_waitcnt lgkmcnt(0)
	v_pk_mul_f32 v[72:73], v[82:83], v[72:73] op_sel_hi:[1,0]
	v_pk_add_f32 v[70:71], v[70:71], v[74:75]
	v_pk_fma_f32 v[74:75], v[82:83], v[104:105], v[72:73] op_sel:[0,0,1] op_sel_hi:[1,1,0] neg_lo:[0,0,1] neg_hi:[0,0,1]
	v_pk_fma_f32 v[72:73], v[82:83], v[104:105], v[72:73] op_sel:[0,0,1] op_sel_hi:[1,0,0]
	v_mov_b32_e32 v75, v73
	v_pk_add_f32 v[70:71], v[70:71], v[74:75]
	v_pk_add_f32 v[70:71], v[94:95], v[70:71] neg_lo:[0,1] neg_hi:[0,1]
	buffer_store_dword v71, off, s[0:3], 0 offset:108
	buffer_store_dword v70, off, s[0:3], 0 offset:104
	s_and_saveexec_b64 s[4:5], vcc
	s_cbranch_execz .LBB96_187
; %bb.186:
	buffer_load_dword v70, off, s[0:3], 0 offset:96
	buffer_load_dword v71, off, s[0:3], 0 offset:100
	s_waitcnt vmcnt(0)
	ds_write_b64 v1, v[70:71]
	buffer_store_dword v68, off, s[0:3], 0 offset:96
	buffer_store_dword v68, off, s[0:3], 0 offset:100
.LBB96_187:
	s_or_b64 exec, exec, s[4:5]
	s_waitcnt lgkmcnt(0)
	; wave barrier
	s_waitcnt lgkmcnt(0)
	buffer_load_dword v69, off, s[0:3], 0 offset:108
	buffer_load_dword v112, off, s[0:3], 0 offset:116
	;; [unrolled: 1-line block ×26, first 2 shown]
	ds_read2_b64 v[70:73], v68 offset0:47 offset1:48
	ds_read2_b64 v[74:77], v68 offset0:49 offset1:50
	;; [unrolled: 1-line block ×6, first 2 shown]
	buffer_load_dword v97, off, s[0:3], 0 offset:220
	buffer_load_dword v96, off, s[0:3], 0 offset:216
	;; [unrolled: 1-line block ×16, first 2 shown]
	v_cmp_lt_u32_e32 vcc, 11, v0
	s_waitcnt vmcnt(41) lgkmcnt(5)
	v_mul_f32_e32 v137, v70, v69
	s_waitcnt vmcnt(40)
	v_mul_f32_e32 v138, v72, v112
	v_mul_f32_e32 v69, v71, v69
	v_mul_f32_e32 v112, v73, v112
	s_waitcnt vmcnt(39) lgkmcnt(4)
	v_mul_f32_e32 v139, v74, v114
	s_waitcnt vmcnt(38)
	v_mul_f32_e32 v140, v76, v116
	s_waitcnt vmcnt(37) lgkmcnt(3)
	v_mul_f32_e32 v141, v78, v118
	s_waitcnt vmcnt(36)
	v_mul_f32_e32 v142, v80, v119
	;; [unrolled: 4-line block ×4, first 2 shown]
	s_waitcnt vmcnt(29)
	v_fmac_f32_e32 v137, v71, v117
	s_waitcnt vmcnt(28)
	v_fmac_f32_e32 v138, v73, v126
	v_fma_f32 v69, v70, v117, -v69
	v_fma_f32 v70, v72, v126, -v112
	v_add_f32_e32 v72, 0, v137
	s_waitcnt vmcnt(27)
	v_fmac_f32_e32 v139, v75, v127
	v_add_f32_e32 v69, 0, v69
	v_add_f32_e32 v72, v72, v138
	s_waitcnt vmcnt(26)
	v_fmac_f32_e32 v140, v77, v128
	v_add_f32_e32 v69, v69, v70
	;; [unrolled: 4-line block ×3, first 2 shown]
	s_waitcnt vmcnt(24)
	v_fmac_f32_e32 v142, v81, v130
	v_add_f32_e32 v70, v70, v141
	s_waitcnt vmcnt(23)
	v_fmac_f32_e32 v143, v83, v131
	v_add_f32_e32 v70, v70, v142
	s_waitcnt vmcnt(22)
	v_fmac_f32_e32 v144, v85, v132
	v_add_f32_e32 v70, v70, v143
	s_waitcnt vmcnt(21)
	v_fmac_f32_e32 v145, v87, v133
	v_add_f32_e32 v70, v70, v144
	v_mul_f32_e32 v114, v75, v114
	s_waitcnt vmcnt(20)
	v_fmac_f32_e32 v146, v89, v134
	v_add_f32_e32 v70, v70, v145
	v_fma_f32 v71, v74, v127, -v114
	v_add_f32_e32 v117, v70, v146
	v_mul_f32_e32 v70, v77, v116
	v_add_f32_e32 v69, v69, v71
	v_fma_f32 v70, v76, v128, -v70
	v_add_f32_e32 v69, v69, v70
	v_mul_f32_e32 v70, v79, v118
	v_fma_f32 v70, v78, v129, -v70
	v_add_f32_e32 v69, v69, v70
	v_mul_f32_e32 v70, v81, v119
	;; [unrolled: 3-line block ×6, first 2 shown]
	v_fma_f32 v70, v88, v134, -v70
	v_add_f32_e32 v116, v69, v70
	ds_read2_b64 v[70:73], v68 offset0:59 offset1:60
	ds_read2_b64 v[74:77], v68 offset0:61 offset1:62
	;; [unrolled: 1-line block ×4, first 2 shown]
	s_waitcnt vmcnt(11)
	v_mov_b32_e32 v86, v101
	s_waitcnt lgkmcnt(3)
	v_pk_mul_f32 v[86:87], v[70:71], v[86:87] op_sel_hi:[1,0]
	s_waitcnt vmcnt(10)
	v_pk_fma_f32 v[88:89], v[70:71], v[100:101], v[86:87] op_sel:[0,0,1] op_sel_hi:[1,1,0] neg_lo:[0,0,1] neg_hi:[0,0,1]
	v_pk_fma_f32 v[70:71], v[70:71], v[100:101], v[86:87] op_sel:[0,0,1] op_sel_hi:[1,0,0]
	v_mov_b32_e32 v70, v99
	v_mov_b32_e32 v89, v71
	v_pk_mul_f32 v[70:71], v[72:73], v[70:71] op_sel_hi:[1,0]
	v_mul_f32_e32 v113, v90, v124
	v_mul_f32_e32 v69, v91, v124
	v_pk_fma_f32 v[86:87], v[72:73], v[98:99], v[70:71] op_sel:[0,0,1] op_sel_hi:[1,1,0] neg_lo:[0,0,1] neg_hi:[0,0,1]
	v_pk_fma_f32 v[70:71], v[72:73], v[98:99], v[70:71] op_sel:[0,0,1] op_sel_hi:[1,0,0]
	v_mul_f32_e32 v115, v92, v125
	v_fmac_f32_e32 v113, v91, v135
	v_fma_f32 v112, v90, v135, -v69
	v_mul_f32_e32 v69, v93, v125
	v_mov_b32_e32 v70, v97
	v_fmac_f32_e32 v115, v93, v136
	v_fma_f32 v114, v92, v136, -v69
	v_pk_add_f32 v[68:69], v[116:117], v[112:113]
	v_mov_b32_e32 v87, v71
	s_waitcnt lgkmcnt(2)
	v_pk_mul_f32 v[70:71], v[74:75], v[70:71] op_sel_hi:[1,0]
	v_pk_add_f32 v[68:69], v[68:69], v[114:115]
	v_pk_fma_f32 v[72:73], v[74:75], v[96:97], v[70:71] op_sel:[0,0,1] op_sel_hi:[1,1,0] neg_lo:[0,0,1] neg_hi:[0,0,1]
	v_pk_fma_f32 v[70:71], v[74:75], v[96:97], v[70:71] op_sel:[0,0,1] op_sel_hi:[1,0,0]
	v_pk_add_f32 v[68:69], v[68:69], v[88:89]
	s_waitcnt vmcnt(3)
	v_mov_b32_e32 v70, v109
	v_pk_add_f32 v[68:69], v[68:69], v[86:87]
	v_mov_b32_e32 v73, v71
	v_pk_mul_f32 v[70:71], v[76:77], v[70:71] op_sel_hi:[1,0]
	v_pk_add_f32 v[68:69], v[68:69], v[72:73]
	s_waitcnt vmcnt(2)
	v_pk_fma_f32 v[72:73], v[76:77], v[108:109], v[70:71] op_sel:[0,0,1] op_sel_hi:[1,1,0] neg_lo:[0,0,1] neg_hi:[0,0,1]
	v_pk_fma_f32 v[70:71], v[76:77], v[108:109], v[70:71] op_sel:[0,0,1] op_sel_hi:[1,0,0]
	v_mov_b32_e32 v70, v107
	v_mov_b32_e32 v73, v71
	s_waitcnt lgkmcnt(1)
	v_pk_mul_f32 v[70:71], v[78:79], v[70:71] op_sel_hi:[1,0]
	v_pk_add_f32 v[68:69], v[68:69], v[72:73]
	v_pk_fma_f32 v[72:73], v[78:79], v[106:107], v[70:71] op_sel:[0,0,1] op_sel_hi:[1,1,0] neg_lo:[0,0,1] neg_hi:[0,0,1]
	v_pk_fma_f32 v[70:71], v[78:79], v[106:107], v[70:71] op_sel:[0,0,1] op_sel_hi:[1,0,0]
	v_mov_b32_e32 v70, v105
	v_mov_b32_e32 v73, v71
	v_pk_mul_f32 v[70:71], v[80:81], v[70:71] op_sel_hi:[1,0]
	v_pk_add_f32 v[68:69], v[68:69], v[72:73]
	v_pk_fma_f32 v[72:73], v[80:81], v[104:105], v[70:71] op_sel:[0,0,1] op_sel_hi:[1,1,0] neg_lo:[0,0,1] neg_hi:[0,0,1]
	v_pk_fma_f32 v[70:71], v[80:81], v[104:105], v[70:71] op_sel:[0,0,1] op_sel_hi:[1,0,0]
	v_mov_b32_e32 v70, v103
	v_mov_b32_e32 v73, v71
	s_waitcnt lgkmcnt(0)
	v_pk_mul_f32 v[70:71], v[82:83], v[70:71] op_sel_hi:[1,0]
	v_pk_add_f32 v[68:69], v[68:69], v[72:73]
	v_pk_fma_f32 v[72:73], v[82:83], v[102:103], v[70:71] op_sel:[0,0,1] op_sel_hi:[1,1,0] neg_lo:[0,0,1] neg_hi:[0,0,1]
	v_pk_fma_f32 v[70:71], v[82:83], v[102:103], v[70:71] op_sel:[0,0,1] op_sel_hi:[1,0,0]
	s_waitcnt vmcnt(1)
	v_mov_b32_e32 v70, v111
	v_mov_b32_e32 v73, v71
	v_pk_mul_f32 v[70:71], v[84:85], v[70:71] op_sel_hi:[1,0]
	v_pk_add_f32 v[68:69], v[68:69], v[72:73]
	s_waitcnt vmcnt(0)
	v_pk_fma_f32 v[72:73], v[84:85], v[110:111], v[70:71] op_sel:[0,0,1] op_sel_hi:[1,1,0] neg_lo:[0,0,1] neg_hi:[0,0,1]
	v_pk_fma_f32 v[70:71], v[84:85], v[110:111], v[70:71] op_sel:[0,0,1] op_sel_hi:[1,0,0]
	v_mov_b32_e32 v73, v71
	v_pk_add_f32 v[68:69], v[68:69], v[72:73]
	v_pk_add_f32 v[68:69], v[94:95], v[68:69] neg_lo:[0,1] neg_hi:[0,1]
	buffer_store_dword v69, off, s[0:3], 0 offset:100
	buffer_store_dword v68, off, s[0:3], 0 offset:96
	s_and_saveexec_b64 s[4:5], vcc
	s_cbranch_execz .LBB96_189
; %bb.188:
	buffer_load_dword v68, off, s[0:3], 0 offset:88
	buffer_load_dword v69, off, s[0:3], 0 offset:92
	v_mov_b32_e32 v70, 0
	buffer_store_dword v70, off, s[0:3], 0 offset:88
	buffer_store_dword v70, off, s[0:3], 0 offset:92
	s_waitcnt vmcnt(2)
	ds_write_b64 v1, v[68:69]
.LBB96_189:
	s_or_b64 exec, exec, s[4:5]
	s_waitcnt lgkmcnt(0)
	; wave barrier
	s_waitcnt lgkmcnt(0)
	buffer_load_dword v69, off, s[0:3], 0 offset:100
	buffer_load_dword v120, off, s[0:3], 0 offset:108
	;; [unrolled: 1-line block ×44, first 2 shown]
	v_mov_b32_e32 v68, 0
	ds_read_b128 v[70:73], v68 offset:368
	ds_read_b128 v[74:77], v68 offset:384
	;; [unrolled: 1-line block ×8, first 2 shown]
	v_cmp_lt_u32_e32 vcc, 10, v0
	s_waitcnt vmcnt(43) lgkmcnt(7)
	v_mul_f32_e32 v125, v70, v69
	v_mul_f32_e32 v69, v71, v69
	s_waitcnt vmcnt(42)
	v_mul_f32_e32 v148, v72, v120
	s_waitcnt vmcnt(41) lgkmcnt(6)
	v_mul_f32_e32 v149, v74, v122
	s_waitcnt vmcnt(40)
	v_mul_f32_e32 v150, v76, v124
	s_waitcnt vmcnt(39) lgkmcnt(5)
	;; [unrolled: 4-line block ×5, first 2 shown]
	v_mul_f32_e32 v157, v90, v132
	s_waitcnt vmcnt(32)
	v_mul_f32_e32 v121, v92, v133
	s_waitcnt vmcnt(30)
	v_fma_f32 v69, v70, v135, -v69
	v_mul_f32_e32 v70, v73, v120
	v_add_f32_e32 v69, 0, v69
	s_waitcnt vmcnt(29)
	v_fma_f32 v70, v72, v136, -v70
	v_add_f32_e32 v69, v69, v70
	v_mul_f32_e32 v70, v75, v122
	s_waitcnt vmcnt(28)
	v_fma_f32 v70, v74, v137, -v70
	v_add_f32_e32 v69, v69, v70
	v_mul_f32_e32 v70, v77, v124
	;; [unrolled: 4-line block ×4, first 2 shown]
	s_waitcnt vmcnt(25)
	v_fma_f32 v70, v80, v140, -v70
	v_fmac_f32_e32 v125, v71, v135
	v_add_f32_e32 v69, v69, v70
	v_mul_f32_e32 v70, v83, v128
	v_fmac_f32_e32 v148, v73, v136
	v_add_f32_e32 v71, 0, v125
	s_waitcnt vmcnt(24)
	v_fma_f32 v70, v82, v141, -v70
	v_fmac_f32_e32 v149, v75, v137
	v_add_f32_e32 v71, v71, v148
	v_add_f32_e32 v69, v69, v70
	v_mul_f32_e32 v70, v85, v129
	v_fmac_f32_e32 v150, v77, v138
	v_add_f32_e32 v71, v71, v149
	s_waitcnt vmcnt(23)
	v_fma_f32 v70, v84, v142, -v70
	v_fmac_f32_e32 v151, v79, v139
	v_add_f32_e32 v71, v71, v150
	;; [unrolled: 8-line block ×4, first 2 shown]
	v_add_f32_e32 v69, v69, v70
	v_mul_f32_e32 v70, v91, v132
	v_fmac_f32_e32 v156, v89, v144
	v_add_f32_e32 v71, v71, v155
	s_waitcnt vmcnt(20)
	v_fma_f32 v70, v90, v145, -v70
	s_waitcnt vmcnt(13)
	v_mov_b32_e32 v82, v107
	v_fmac_f32_e32 v157, v91, v145
	v_add_f32_e32 v71, v71, v156
	v_add_f32_e32 v124, v69, v70
	v_mul_f32_e32 v69, v93, v133
	s_waitcnt lgkmcnt(1)
	v_pk_mul_f32 v[82:83], v[96:97], v[82:83] op_sel_hi:[1,0]
	v_mul_f32_e32 v123, v94, v134
	v_fmac_f32_e32 v121, v93, v146
	v_add_f32_e32 v125, v71, v157
	v_fma_f32 v120, v92, v146, -v69
	v_mul_f32_e32 v69, v95, v134
	s_waitcnt vmcnt(12)
	v_pk_fma_f32 v[84:85], v[96:97], v[106:107], v[82:83] op_sel:[0,0,1] op_sel_hi:[1,1,0] neg_lo:[0,0,1] neg_hi:[0,0,1]
	v_pk_fma_f32 v[82:83], v[96:97], v[106:107], v[82:83] op_sel:[0,0,1] op_sel_hi:[1,0,0]
	v_fmac_f32_e32 v123, v95, v147
	v_fma_f32 v122, v94, v147, -v69
	v_pk_add_f32 v[80:81], v[124:125], v[120:121]
	v_mov_b32_e32 v82, v105
	v_pk_add_f32 v[80:81], v[80:81], v[122:123]
	v_mov_b32_e32 v85, v83
	s_waitcnt lgkmcnt(0)
	v_pk_mul_f32 v[82:83], v[98:99], v[82:83] op_sel_hi:[1,0]
	v_pk_add_f32 v[80:81], v[80:81], v[84:85]
	v_pk_fma_f32 v[84:85], v[98:99], v[104:105], v[82:83] op_sel:[0,0,1] op_sel_hi:[1,1,0] neg_lo:[0,0,1] neg_hi:[0,0,1]
	v_pk_fma_f32 v[82:83], v[98:99], v[104:105], v[82:83] op_sel:[0,0,1] op_sel_hi:[1,0,0]
	s_waitcnt vmcnt(5)
	v_mov_b32_e32 v82, v115
	ds_read_b128 v[70:73], v68 offset:496
	ds_read_b128 v[74:77], v68 offset:512
	ds_read_b64 v[78:79], v68 offset:528
	v_mov_b32_e32 v85, v83
	v_pk_mul_f32 v[82:83], v[100:101], v[82:83] op_sel_hi:[1,0]
	v_pk_add_f32 v[80:81], v[80:81], v[84:85]
	s_waitcnt vmcnt(4)
	v_pk_fma_f32 v[84:85], v[100:101], v[114:115], v[82:83] op_sel:[0,0,1] op_sel_hi:[1,1,0] neg_lo:[0,0,1] neg_hi:[0,0,1]
	v_pk_fma_f32 v[82:83], v[100:101], v[114:115], v[82:83] op_sel:[0,0,1] op_sel_hi:[1,0,0]
	v_mov_b32_e32 v82, v113
	v_mov_b32_e32 v85, v83
	s_waitcnt lgkmcnt(2)
	v_pk_mul_f32 v[82:83], v[70:71], v[82:83] op_sel_hi:[1,0]
	v_pk_add_f32 v[80:81], v[80:81], v[84:85]
	v_pk_fma_f32 v[84:85], v[70:71], v[112:113], v[82:83] op_sel:[0,0,1] op_sel_hi:[1,1,0] neg_lo:[0,0,1] neg_hi:[0,0,1]
	v_pk_fma_f32 v[70:71], v[70:71], v[112:113], v[82:83] op_sel:[0,0,1] op_sel_hi:[1,0,0]
	v_mov_b32_e32 v85, v71
	v_pk_add_f32 v[70:71], v[80:81], v[84:85]
	v_mov_b32_e32 v80, v111
	v_pk_mul_f32 v[80:81], v[72:73], v[80:81] op_sel_hi:[1,0]
	v_pk_fma_f32 v[82:83], v[72:73], v[110:111], v[80:81] op_sel:[0,0,1] op_sel_hi:[1,1,0] neg_lo:[0,0,1] neg_hi:[0,0,1]
	v_pk_fma_f32 v[72:73], v[72:73], v[110:111], v[80:81] op_sel:[0,0,1] op_sel_hi:[1,0,0]
	v_mov_b32_e32 v72, v109
	v_mov_b32_e32 v83, v73
	s_waitcnt lgkmcnt(1)
	v_pk_mul_f32 v[72:73], v[74:75], v[72:73] op_sel_hi:[1,0]
	v_pk_fma_f32 v[80:81], v[74:75], v[108:109], v[72:73] op_sel:[0,0,1] op_sel_hi:[1,1,0] neg_lo:[0,0,1] neg_hi:[0,0,1]
	v_pk_fma_f32 v[72:73], v[74:75], v[108:109], v[72:73] op_sel:[0,0,1] op_sel_hi:[1,0,0]
	s_waitcnt vmcnt(1)
	v_mov_b32_e32 v72, v119
	v_mov_b32_e32 v81, v73
	v_pk_mul_f32 v[72:73], v[76:77], v[72:73] op_sel_hi:[1,0]
	s_waitcnt vmcnt(0)
	v_pk_fma_f32 v[74:75], v[76:77], v[118:119], v[72:73] op_sel:[0,0,1] op_sel_hi:[1,1,0] neg_lo:[0,0,1] neg_hi:[0,0,1]
	v_pk_fma_f32 v[72:73], v[76:77], v[118:119], v[72:73] op_sel:[0,0,1] op_sel_hi:[1,0,0]
	v_pk_add_f32 v[70:71], v[70:71], v[82:83]
	v_mov_b32_e32 v72, v117
	v_pk_add_f32 v[70:71], v[70:71], v[80:81]
	v_mov_b32_e32 v75, v73
	s_waitcnt lgkmcnt(0)
	v_pk_mul_f32 v[72:73], v[78:79], v[72:73] op_sel_hi:[1,0]
	v_pk_add_f32 v[70:71], v[70:71], v[74:75]
	v_pk_fma_f32 v[74:75], v[78:79], v[116:117], v[72:73] op_sel:[0,0,1] op_sel_hi:[1,1,0] neg_lo:[0,0,1] neg_hi:[0,0,1]
	v_pk_fma_f32 v[72:73], v[78:79], v[116:117], v[72:73] op_sel:[0,0,1] op_sel_hi:[1,0,0]
	v_mov_b32_e32 v75, v73
	v_pk_add_f32 v[70:71], v[70:71], v[74:75]
	v_pk_add_f32 v[70:71], v[102:103], v[70:71] neg_lo:[0,1] neg_hi:[0,1]
	buffer_store_dword v71, off, s[0:3], 0 offset:92
	buffer_store_dword v70, off, s[0:3], 0 offset:88
	s_and_saveexec_b64 s[4:5], vcc
	s_cbranch_execz .LBB96_191
; %bb.190:
	buffer_load_dword v70, off, s[0:3], 0 offset:80
	buffer_load_dword v71, off, s[0:3], 0 offset:84
	s_waitcnt vmcnt(0)
	ds_write_b64 v1, v[70:71]
	buffer_store_dword v68, off, s[0:3], 0 offset:80
	buffer_store_dword v68, off, s[0:3], 0 offset:84
.LBB96_191:
	s_or_b64 exec, exec, s[4:5]
	s_waitcnt lgkmcnt(0)
	; wave barrier
	s_waitcnt lgkmcnt(0)
	buffer_load_dword v69, off, s[0:3], 0 offset:92
	buffer_load_dword v120, off, s[0:3], 0 offset:100
	;; [unrolled: 1-line block ×30, first 2 shown]
	ds_read2_b64 v[70:73], v68 offset0:45 offset1:46
	ds_read2_b64 v[74:77], v68 offset0:47 offset1:48
	;; [unrolled: 1-line block ×6, first 2 shown]
	buffer_load_dword v105, off, s[0:3], 0 offset:204
	buffer_load_dword v104, off, s[0:3], 0 offset:200
	ds_read2_b64 v[94:97], v68 offset0:57 offset1:58
	ds_read2_b64 v[98:101], v68 offset0:59 offset1:60
	buffer_load_dword v107, off, s[0:3], 0 offset:236
	buffer_load_dword v106, off, s[0:3], 0 offset:232
	;; [unrolled: 1-line block ×14, first 2 shown]
	v_cmp_lt_u32_e32 vcc, 9, v0
	s_waitcnt vmcnt(45) lgkmcnt(7)
	v_mul_f32_e32 v123, v70, v69
	v_mul_f32_e32 v69, v71, v69
	s_waitcnt vmcnt(44)
	v_mul_f32_e32 v125, v72, v120
	s_waitcnt vmcnt(43) lgkmcnt(6)
	v_mul_f32_e32 v150, v74, v122
	s_waitcnt vmcnt(42)
	v_mul_f32_e32 v151, v76, v124
	s_waitcnt vmcnt(41) lgkmcnt(5)
	;; [unrolled: 4-line block ×5, first 2 shown]
	v_mul_f32_e32 v158, v90, v132
	s_waitcnt vmcnt(34)
	v_mul_f32_e32 v159, v92, v133
	s_waitcnt vmcnt(32)
	v_fma_f32 v69, v70, v135, -v69
	v_mul_f32_e32 v70, v73, v120
	v_add_f32_e32 v69, 0, v69
	s_waitcnt vmcnt(31)
	v_fma_f32 v70, v72, v136, -v70
	v_add_f32_e32 v69, v69, v70
	v_mul_f32_e32 v70, v75, v122
	s_waitcnt vmcnt(30)
	v_fma_f32 v70, v74, v137, -v70
	v_add_f32_e32 v69, v69, v70
	v_mul_f32_e32 v70, v77, v124
	;; [unrolled: 4-line block ×5, first 2 shown]
	v_fmac_f32_e32 v123, v71, v135
	s_waitcnt vmcnt(26)
	v_fma_f32 v70, v82, v141, -v70
	v_fmac_f32_e32 v125, v73, v136
	v_add_f32_e32 v123, 0, v123
	v_add_f32_e32 v69, v69, v70
	v_mul_f32_e32 v70, v85, v129
	v_fmac_f32_e32 v150, v75, v137
	v_add_f32_e32 v123, v123, v125
	s_waitcnt vmcnt(25)
	v_fma_f32 v70, v84, v142, -v70
	v_fmac_f32_e32 v151, v77, v138
	v_add_f32_e32 v123, v123, v150
	v_add_f32_e32 v69, v69, v70
	v_mul_f32_e32 v70, v87, v130
	v_fmac_f32_e32 v152, v79, v139
	v_add_f32_e32 v123, v123, v151
	;; [unrolled: 8-line block ×5, first 2 shown]
	s_waitcnt vmcnt(21)
	v_fma_f32 v70, v92, v146, -v70
	s_waitcnt vmcnt(15)
	v_mov_b32_e32 v82, v105
	s_waitcnt lgkmcnt(1)
	v_mul_f32_e32 v121, v94, v134
	v_fmac_f32_e32 v159, v93, v146
	v_add_f32_e32 v123, v123, v158
	v_add_f32_e32 v122, v69, v70
	v_mul_f32_e32 v69, v95, v134
	s_waitcnt lgkmcnt(0)
	v_pk_mul_f32 v[82:83], v[98:99], v[82:83] op_sel_hi:[1,0]
	v_fmac_f32_e32 v121, v95, v147
	v_add_f32_e32 v123, v123, v159
	v_mul_f32_e32 v125, v96, v148
	v_fma_f32 v120, v94, v147, -v69
	v_mul_f32_e32 v69, v97, v148
	s_waitcnt vmcnt(14)
	v_pk_fma_f32 v[84:85], v[98:99], v[104:105], v[82:83] op_sel:[0,0,1] op_sel_hi:[1,1,0] neg_lo:[0,0,1] neg_hi:[0,0,1]
	v_pk_fma_f32 v[82:83], v[98:99], v[104:105], v[82:83] op_sel:[0,0,1] op_sel_hi:[1,0,0]
	v_fmac_f32_e32 v125, v97, v149
	v_fma_f32 v124, v96, v149, -v69
	ds_read2_b64 v[70:73], v68 offset0:61 offset1:62
	ds_read2_b64 v[74:77], v68 offset0:63 offset1:64
	;; [unrolled: 1-line block ×3, first 2 shown]
	v_pk_add_f32 v[68:69], v[122:123], v[120:121]
	s_waitcnt vmcnt(7)
	v_mov_b32_e32 v82, v113
	v_pk_add_f32 v[68:69], v[68:69], v[124:125]
	v_mov_b32_e32 v85, v83
	v_pk_mul_f32 v[82:83], v[100:101], v[82:83] op_sel_hi:[1,0]
	v_pk_add_f32 v[68:69], v[68:69], v[84:85]
	s_waitcnt vmcnt(6)
	v_pk_fma_f32 v[84:85], v[100:101], v[112:113], v[82:83] op_sel:[0,0,1] op_sel_hi:[1,1,0] neg_lo:[0,0,1] neg_hi:[0,0,1]
	v_pk_fma_f32 v[82:83], v[100:101], v[112:113], v[82:83] op_sel:[0,0,1] op_sel_hi:[1,0,0]
	v_mov_b32_e32 v82, v111
	v_mov_b32_e32 v85, v83
	s_waitcnt lgkmcnt(2)
	v_pk_mul_f32 v[82:83], v[70:71], v[82:83] op_sel_hi:[1,0]
	v_pk_add_f32 v[68:69], v[68:69], v[84:85]
	v_pk_fma_f32 v[84:85], v[70:71], v[110:111], v[82:83] op_sel:[0,0,1] op_sel_hi:[1,1,0] neg_lo:[0,0,1] neg_hi:[0,0,1]
	v_pk_fma_f32 v[70:71], v[70:71], v[110:111], v[82:83] op_sel:[0,0,1] op_sel_hi:[1,0,0]
	v_mov_b32_e32 v70, v109
	v_mov_b32_e32 v85, v71
	v_pk_mul_f32 v[70:71], v[72:73], v[70:71] op_sel_hi:[1,0]
	v_pk_fma_f32 v[82:83], v[72:73], v[108:109], v[70:71] op_sel:[0,0,1] op_sel_hi:[1,1,0] neg_lo:[0,0,1] neg_hi:[0,0,1]
	v_pk_fma_f32 v[70:71], v[72:73], v[108:109], v[70:71] op_sel:[0,0,1] op_sel_hi:[1,0,0]
	v_mov_b32_e32 v70, v107
	v_mov_b32_e32 v83, v71
	s_waitcnt lgkmcnt(1)
	v_pk_mul_f32 v[70:71], v[74:75], v[70:71] op_sel_hi:[1,0]
	v_pk_fma_f32 v[72:73], v[74:75], v[106:107], v[70:71] op_sel:[0,0,1] op_sel_hi:[1,1,0] neg_lo:[0,0,1] neg_hi:[0,0,1]
	v_pk_fma_f32 v[70:71], v[74:75], v[106:107], v[70:71] op_sel:[0,0,1] op_sel_hi:[1,0,0]
	v_pk_add_f32 v[68:69], v[68:69], v[84:85]
	s_waitcnt vmcnt(1)
	v_mov_b32_e32 v70, v119
	v_pk_add_f32 v[68:69], v[68:69], v[82:83]
	v_mov_b32_e32 v73, v71
	v_pk_mul_f32 v[70:71], v[76:77], v[70:71] op_sel_hi:[1,0]
	v_pk_add_f32 v[68:69], v[68:69], v[72:73]
	s_waitcnt vmcnt(0)
	v_pk_fma_f32 v[72:73], v[76:77], v[118:119], v[70:71] op_sel:[0,0,1] op_sel_hi:[1,1,0] neg_lo:[0,0,1] neg_hi:[0,0,1]
	v_pk_fma_f32 v[70:71], v[76:77], v[118:119], v[70:71] op_sel:[0,0,1] op_sel_hi:[1,0,0]
	v_mov_b32_e32 v70, v117
	v_mov_b32_e32 v73, v71
	s_waitcnt lgkmcnt(0)
	v_pk_mul_f32 v[70:71], v[78:79], v[70:71] op_sel_hi:[1,0]
	v_pk_add_f32 v[68:69], v[68:69], v[72:73]
	v_pk_fma_f32 v[72:73], v[78:79], v[116:117], v[70:71] op_sel:[0,0,1] op_sel_hi:[1,1,0] neg_lo:[0,0,1] neg_hi:[0,0,1]
	v_pk_fma_f32 v[70:71], v[78:79], v[116:117], v[70:71] op_sel:[0,0,1] op_sel_hi:[1,0,0]
	v_mov_b32_e32 v70, v115
	v_mov_b32_e32 v73, v71
	v_pk_mul_f32 v[70:71], v[80:81], v[70:71] op_sel_hi:[1,0]
	v_pk_add_f32 v[68:69], v[68:69], v[72:73]
	v_pk_fma_f32 v[72:73], v[80:81], v[114:115], v[70:71] op_sel:[0,0,1] op_sel_hi:[1,1,0] neg_lo:[0,0,1] neg_hi:[0,0,1]
	v_pk_fma_f32 v[70:71], v[80:81], v[114:115], v[70:71] op_sel:[0,0,1] op_sel_hi:[1,0,0]
	v_mov_b32_e32 v73, v71
	v_pk_add_f32 v[68:69], v[68:69], v[72:73]
	v_pk_add_f32 v[68:69], v[102:103], v[68:69] neg_lo:[0,1] neg_hi:[0,1]
	buffer_store_dword v69, off, s[0:3], 0 offset:84
	buffer_store_dword v68, off, s[0:3], 0 offset:80
	s_and_saveexec_b64 s[4:5], vcc
	s_cbranch_execz .LBB96_193
; %bb.192:
	buffer_load_dword v68, off, s[0:3], 0 offset:72
	buffer_load_dword v69, off, s[0:3], 0 offset:76
	v_mov_b32_e32 v70, 0
	buffer_store_dword v70, off, s[0:3], 0 offset:72
	buffer_store_dword v70, off, s[0:3], 0 offset:76
	s_waitcnt vmcnt(2)
	ds_write_b64 v1, v[68:69]
.LBB96_193:
	s_or_b64 exec, exec, s[4:5]
	s_waitcnt lgkmcnt(0)
	; wave barrier
	s_waitcnt lgkmcnt(0)
	buffer_load_dword v69, off, s[0:3], 0 offset:84
	buffer_load_dword v118, off, s[0:3], 0 offset:92
	;; [unrolled: 1-line block ×32, first 2 shown]
	v_mov_b32_e32 v68, 0
	buffer_load_dword v105, off, s[0:3], 0 offset:228
	buffer_load_dword v104, off, s[0:3], 0 offset:224
	;; [unrolled: 1-line block ×13, first 2 shown]
	ds_read_b128 v[70:73], v68 offset:352
	ds_read_b128 v[74:77], v68 offset:368
	;; [unrolled: 1-line block ×8, first 2 shown]
	v_cmp_lt_u32_e32 vcc, 8, v0
	s_waitcnt vmcnt(44) lgkmcnt(7)
	v_mul_f32_e32 v112, v70, v69
	s_waitcnt vmcnt(43)
	v_mul_f32_e32 v119, v72, v118
	s_waitcnt vmcnt(42) lgkmcnt(6)
	v_mul_f32_e32 v120, v74, v122
	s_waitcnt vmcnt(41)
	v_mul_f32_e32 v121, v76, v124
	;; [unrolled: 4-line block ×6, first 2 shown]
	s_waitcnt vmcnt(32) lgkmcnt(1)
	v_mul_f32_e32 v158, v94, v134
	s_waitcnt vmcnt(31)
	v_fmac_f32_e32 v112, v71, v135
	s_waitcnt vmcnt(30)
	v_fmac_f32_e32 v119, v73, v136
	v_add_f32_e32 v112, 0, v112
	s_waitcnt vmcnt(29)
	v_fmac_f32_e32 v120, v75, v137
	v_add_f32_e32 v112, v112, v119
	;; [unrolled: 3-line block ×12, first 2 shown]
	v_add_f32_e32 v119, v112, v158
	buffer_load_dword v121, off, s[0:3], 0 offset:244
	buffer_load_dword v120, off, s[0:3], 0 offset:240
	buffer_load_dword v112, off, s[0:3], 0 offset:232
	v_mul_f32_e32 v69, v71, v69
	v_fma_f32 v69, v70, v135, -v69
	v_mul_f32_e32 v70, v73, v118
	v_add_f32_e32 v69, 0, v69
	v_fma_f32 v70, v72, v136, -v70
	v_add_f32_e32 v69, v69, v70
	v_mul_f32_e32 v70, v75, v122
	v_fma_f32 v70, v74, v137, -v70
	v_add_f32_e32 v69, v69, v70
	v_mul_f32_e32 v70, v77, v124
	;; [unrolled: 3-line block ×11, first 2 shown]
	v_fma_f32 v70, v94, v147, -v70
	s_waitcnt vmcnt(9)
	v_mov_b32_e32 v86, v111
	v_mul_f32_e32 v123, v96, v148
	v_add_f32_e32 v118, v69, v70
	v_mul_f32_e32 v69, v97, v148
	s_waitcnt lgkmcnt(0)
	v_pk_mul_f32 v[86:87], v[100:101], v[86:87] op_sel_hi:[1,0]
	v_fmac_f32_e32 v123, v97, v149
	v_mul_f32_e32 v125, v98, v150
	v_fma_f32 v122, v96, v149, -v69
	v_mul_f32_e32 v69, v99, v150
	ds_read_b128 v[70:73], v68 offset:480
	ds_read_b128 v[74:77], v68 offset:496
	;; [unrolled: 1-line block ×3, first 2 shown]
	ds_read_b64 v[82:83], v68 offset:528
	s_waitcnt vmcnt(8)
	v_pk_fma_f32 v[88:89], v[100:101], v[110:111], v[86:87] op_sel:[0,0,1] op_sel_hi:[1,1,0] neg_lo:[0,0,1] neg_hi:[0,0,1]
	v_pk_fma_f32 v[86:87], v[100:101], v[110:111], v[86:87] op_sel:[0,0,1] op_sel_hi:[1,0,0]
	v_fmac_f32_e32 v125, v99, v151
	v_fma_f32 v124, v98, v151, -v69
	v_pk_add_f32 v[84:85], v[118:119], v[122:123]
	v_mov_b32_e32 v86, v109
	v_pk_add_f32 v[84:85], v[84:85], v[124:125]
	v_mov_b32_e32 v89, v87
	s_waitcnt lgkmcnt(3)
	v_pk_mul_f32 v[86:87], v[70:71], v[86:87] op_sel_hi:[1,0]
	v_pk_add_f32 v[84:85], v[84:85], v[88:89]
	v_pk_fma_f32 v[88:89], v[70:71], v[108:109], v[86:87] op_sel:[0,0,1] op_sel_hi:[1,1,0] neg_lo:[0,0,1] neg_hi:[0,0,1]
	v_pk_fma_f32 v[70:71], v[70:71], v[108:109], v[86:87] op_sel:[0,0,1] op_sel_hi:[1,0,0]
	v_mov_b32_e32 v89, v71
	v_pk_add_f32 v[70:71], v[84:85], v[88:89]
	v_mov_b32_e32 v84, v107
	v_pk_mul_f32 v[84:85], v[72:73], v[84:85] op_sel_hi:[1,0]
	v_pk_fma_f32 v[86:87], v[72:73], v[106:107], v[84:85] op_sel:[0,0,1] op_sel_hi:[1,1,0] neg_lo:[0,0,1] neg_hi:[0,0,1]
	v_pk_fma_f32 v[72:73], v[72:73], v[106:107], v[84:85] op_sel:[0,0,1] op_sel_hi:[1,0,0]
	v_mov_b32_e32 v72, v105
	v_mov_b32_e32 v87, v73
	s_waitcnt lgkmcnt(2)
	v_pk_mul_f32 v[72:73], v[74:75], v[72:73] op_sel_hi:[1,0]
	v_pk_fma_f32 v[84:85], v[74:75], v[104:105], v[72:73] op_sel:[0,0,1] op_sel_hi:[1,1,0] neg_lo:[0,0,1] neg_hi:[0,0,1]
	v_pk_fma_f32 v[72:73], v[74:75], v[104:105], v[72:73] op_sel:[0,0,1] op_sel_hi:[1,0,0]
	s_waitcnt vmcnt(7)
	v_mov_b32_e32 v72, v113
	v_mov_b32_e32 v85, v73
	v_pk_mul_f32 v[72:73], v[76:77], v[72:73] op_sel_hi:[1,0]
	v_pk_add_f32 v[70:71], v[70:71], v[86:87]
	v_pk_add_f32 v[70:71], v[70:71], v[84:85]
	s_waitcnt vmcnt(0)
	v_pk_fma_f32 v[74:75], v[76:77], v[112:113], v[72:73] op_sel:[0,0,1] op_sel_hi:[1,1,0] neg_lo:[0,0,1] neg_hi:[0,0,1]
	v_pk_fma_f32 v[72:73], v[76:77], v[112:113], v[72:73] op_sel:[0,0,1] op_sel_hi:[1,0,0]
	v_mov_b32_e32 v72, v121
	v_mov_b32_e32 v75, v73
	s_waitcnt lgkmcnt(1)
	v_pk_mul_f32 v[72:73], v[78:79], v[72:73] op_sel_hi:[1,0]
	v_pk_add_f32 v[70:71], v[70:71], v[74:75]
	v_pk_fma_f32 v[74:75], v[78:79], v[120:121], v[72:73] op_sel:[0,0,1] op_sel_hi:[1,1,0] neg_lo:[0,0,1] neg_hi:[0,0,1]
	v_pk_fma_f32 v[72:73], v[78:79], v[120:121], v[72:73] op_sel:[0,0,1] op_sel_hi:[1,0,0]
	v_mov_b32_e32 v72, v117
	v_mov_b32_e32 v75, v73
	v_pk_mul_f32 v[72:73], v[80:81], v[72:73] op_sel_hi:[1,0]
	v_pk_add_f32 v[70:71], v[70:71], v[74:75]
	v_pk_fma_f32 v[74:75], v[80:81], v[116:117], v[72:73] op_sel:[0,0,1] op_sel_hi:[1,1,0] neg_lo:[0,0,1] neg_hi:[0,0,1]
	v_pk_fma_f32 v[72:73], v[80:81], v[116:117], v[72:73] op_sel:[0,0,1] op_sel_hi:[1,0,0]
	v_mov_b32_e32 v72, v115
	v_mov_b32_e32 v75, v73
	s_waitcnt lgkmcnt(0)
	v_pk_mul_f32 v[72:73], v[82:83], v[72:73] op_sel_hi:[1,0]
	v_pk_add_f32 v[70:71], v[70:71], v[74:75]
	v_pk_fma_f32 v[74:75], v[82:83], v[114:115], v[72:73] op_sel:[0,0,1] op_sel_hi:[1,1,0] neg_lo:[0,0,1] neg_hi:[0,0,1]
	v_pk_fma_f32 v[72:73], v[82:83], v[114:115], v[72:73] op_sel:[0,0,1] op_sel_hi:[1,0,0]
	v_mov_b32_e32 v75, v73
	v_pk_add_f32 v[70:71], v[70:71], v[74:75]
	v_pk_add_f32 v[70:71], v[102:103], v[70:71] neg_lo:[0,1] neg_hi:[0,1]
	buffer_store_dword v71, off, s[0:3], 0 offset:76
	buffer_store_dword v70, off, s[0:3], 0 offset:72
	s_and_saveexec_b64 s[4:5], vcc
	s_cbranch_execz .LBB96_195
; %bb.194:
	buffer_load_dword v70, off, s[0:3], 0 offset:64
	buffer_load_dword v71, off, s[0:3], 0 offset:68
	s_waitcnt vmcnt(0)
	ds_write_b64 v1, v[70:71]
	buffer_store_dword v68, off, s[0:3], 0 offset:64
	buffer_store_dword v68, off, s[0:3], 0 offset:68
.LBB96_195:
	s_or_b64 exec, exec, s[4:5]
	s_waitcnt lgkmcnt(0)
	; wave barrier
	s_waitcnt lgkmcnt(0)
	buffer_load_dword v69, off, s[0:3], 0 offset:76
	buffer_load_dword v118, off, s[0:3], 0 offset:84
	;; [unrolled: 1-line block ×34, first 2 shown]
	ds_read2_b64 v[70:73], v68 offset0:43 offset1:44
	ds_read2_b64 v[74:77], v68 offset0:45 offset1:46
	;; [unrolled: 1-line block ×8, first 2 shown]
	buffer_load_dword v105, off, s[0:3], 0 offset:220
	buffer_load_dword v104, off, s[0:3], 0 offset:216
	;; [unrolled: 1-line block ×9, first 2 shown]
	v_cmp_lt_u32_e32 vcc, 7, v0
	s_waitcnt vmcnt(42) lgkmcnt(7)
	v_mul_f32_e32 v110, v70, v69
	s_waitcnt vmcnt(41)
	v_mul_f32_e32 v114, v72, v118
	s_waitcnt vmcnt(40) lgkmcnt(6)
	v_mul_f32_e32 v115, v74, v120
	s_waitcnt vmcnt(39)
	v_mul_f32_e32 v116, v76, v122
	;; [unrolled: 4-line block ×6, first 2 shown]
	s_waitcnt vmcnt(30) lgkmcnt(1)
	v_mul_f32_e32 v156, v94, v134
	v_mul_f32_e32 v69, v71, v69
	s_waitcnt vmcnt(28)
	v_fmac_f32_e32 v110, v71, v136
	s_waitcnt vmcnt(27)
	v_fmac_f32_e32 v114, v73, v137
	v_add_f32_e32 v110, 0, v110
	s_waitcnt vmcnt(26)
	v_fmac_f32_e32 v115, v75, v138
	v_add_f32_e32 v110, v110, v114
	;; [unrolled: 3-line block ×12, first 2 shown]
	v_add_f32_e32 v119, v110, v156
	buffer_load_dword v115, off, s[0:3], 0 offset:244
	buffer_load_dword v114, off, s[0:3], 0 offset:240
	;; [unrolled: 1-line block ×7, first 2 shown]
	v_fma_f32 v69, v70, v136, -v69
	v_mul_f32_e32 v70, v73, v118
	v_add_f32_e32 v69, 0, v69
	v_fma_f32 v70, v72, v137, -v70
	v_add_f32_e32 v69, v69, v70
	v_mul_f32_e32 v70, v75, v120
	v_fma_f32 v70, v74, v138, -v70
	v_add_f32_e32 v69, v69, v70
	v_mul_f32_e32 v70, v77, v122
	;; [unrolled: 3-line block ×12, first 2 shown]
	s_waitcnt vmcnt(22)
	v_fma_f32 v70, v96, v149, -v70
	v_add_f32_e32 v118, v69, v70
	ds_read2_b64 v[70:73], v68 offset0:59 offset1:60
	ds_read2_b64 v[74:77], v68 offset0:61 offset1:62
	;; [unrolled: 1-line block ×4, first 2 shown]
	s_waitcnt vmcnt(11)
	v_mov_b32_e32 v86, v109
	s_waitcnt lgkmcnt(3)
	v_pk_mul_f32 v[86:87], v[70:71], v[86:87] op_sel_hi:[1,0]
	s_waitcnt vmcnt(10)
	v_pk_fma_f32 v[88:89], v[70:71], v[108:109], v[86:87] op_sel:[0,0,1] op_sel_hi:[1,1,0] neg_lo:[0,0,1] neg_hi:[0,0,1]
	v_pk_fma_f32 v[70:71], v[70:71], v[108:109], v[86:87] op_sel:[0,0,1] op_sel_hi:[1,0,0]
	v_mov_b32_e32 v70, v107
	v_mul_f32_e32 v157, v96, v135
	v_mov_b32_e32 v89, v71
	v_pk_mul_f32 v[70:71], v[72:73], v[70:71] op_sel_hi:[1,0]
	v_fmac_f32_e32 v157, v97, v149
	v_mul_f32_e32 v121, v98, v150
	v_mul_f32_e32 v69, v99, v150
	v_pk_fma_f32 v[86:87], v[72:73], v[106:107], v[70:71] op_sel:[0,0,1] op_sel_hi:[1,1,0] neg_lo:[0,0,1] neg_hi:[0,0,1]
	v_pk_fma_f32 v[70:71], v[72:73], v[106:107], v[70:71] op_sel:[0,0,1] op_sel_hi:[1,0,0]
	v_add_f32_e32 v119, v119, v157
	v_fmac_f32_e32 v121, v99, v151
	v_mul_f32_e32 v123, v100, v152
	v_fma_f32 v120, v98, v151, -v69
	v_mul_f32_e32 v69, v101, v152
	v_mov_b32_e32 v70, v105
	v_fmac_f32_e32 v123, v101, v153
	v_fma_f32 v122, v100, v153, -v69
	v_pk_add_f32 v[68:69], v[118:119], v[120:121]
	v_mov_b32_e32 v87, v71
	s_waitcnt lgkmcnt(2)
	v_pk_mul_f32 v[70:71], v[74:75], v[70:71] op_sel_hi:[1,0]
	v_pk_add_f32 v[68:69], v[68:69], v[122:123]
	v_pk_fma_f32 v[72:73], v[74:75], v[104:105], v[70:71] op_sel:[0,0,1] op_sel_hi:[1,1,0] neg_lo:[0,0,1] neg_hi:[0,0,1]
	v_pk_fma_f32 v[70:71], v[74:75], v[104:105], v[70:71] op_sel:[0,0,1] op_sel_hi:[1,0,0]
	v_pk_add_f32 v[68:69], v[68:69], v[88:89]
	s_waitcnt vmcnt(9)
	v_mov_b32_e32 v70, v111
	v_pk_add_f32 v[68:69], v[68:69], v[86:87]
	v_mov_b32_e32 v73, v71
	v_pk_mul_f32 v[70:71], v[76:77], v[70:71] op_sel_hi:[1,0]
	v_pk_add_f32 v[68:69], v[68:69], v[72:73]
	s_waitcnt vmcnt(2)
	v_pk_fma_f32 v[72:73], v[76:77], v[110:111], v[70:71] op_sel:[0,0,1] op_sel_hi:[1,1,0] neg_lo:[0,0,1] neg_hi:[0,0,1]
	v_pk_fma_f32 v[70:71], v[76:77], v[110:111], v[70:71] op_sel:[0,0,1] op_sel_hi:[1,0,0]
	v_mov_b32_e32 v70, v117
	v_mov_b32_e32 v73, v71
	s_waitcnt lgkmcnt(1)
	v_pk_mul_f32 v[70:71], v[78:79], v[70:71] op_sel_hi:[1,0]
	v_pk_add_f32 v[68:69], v[68:69], v[72:73]
	v_pk_fma_f32 v[72:73], v[78:79], v[116:117], v[70:71] op_sel:[0,0,1] op_sel_hi:[1,1,0] neg_lo:[0,0,1] neg_hi:[0,0,1]
	v_pk_fma_f32 v[70:71], v[78:79], v[116:117], v[70:71] op_sel:[0,0,1] op_sel_hi:[1,0,0]
	v_mov_b32_e32 v70, v115
	v_mov_b32_e32 v73, v71
	v_pk_mul_f32 v[70:71], v[80:81], v[70:71] op_sel_hi:[1,0]
	v_pk_add_f32 v[68:69], v[68:69], v[72:73]
	v_pk_fma_f32 v[72:73], v[80:81], v[114:115], v[70:71] op_sel:[0,0,1] op_sel_hi:[1,1,0] neg_lo:[0,0,1] neg_hi:[0,0,1]
	v_pk_fma_f32 v[70:71], v[80:81], v[114:115], v[70:71] op_sel:[0,0,1] op_sel_hi:[1,0,0]
	v_mov_b32_e32 v70, v113
	v_mov_b32_e32 v73, v71
	s_waitcnt lgkmcnt(0)
	v_pk_mul_f32 v[70:71], v[82:83], v[70:71] op_sel_hi:[1,0]
	v_pk_add_f32 v[68:69], v[68:69], v[72:73]
	v_pk_fma_f32 v[72:73], v[82:83], v[112:113], v[70:71] op_sel:[0,0,1] op_sel_hi:[1,1,0] neg_lo:[0,0,1] neg_hi:[0,0,1]
	v_pk_fma_f32 v[70:71], v[82:83], v[112:113], v[70:71] op_sel:[0,0,1] op_sel_hi:[1,0,0]
	s_waitcnt vmcnt(1)
	v_mov_b32_e32 v70, v125
	v_mov_b32_e32 v73, v71
	v_pk_mul_f32 v[70:71], v[84:85], v[70:71] op_sel_hi:[1,0]
	v_pk_add_f32 v[68:69], v[68:69], v[72:73]
	s_waitcnt vmcnt(0)
	v_pk_fma_f32 v[72:73], v[84:85], v[124:125], v[70:71] op_sel:[0,0,1] op_sel_hi:[1,1,0] neg_lo:[0,0,1] neg_hi:[0,0,1]
	v_pk_fma_f32 v[70:71], v[84:85], v[124:125], v[70:71] op_sel:[0,0,1] op_sel_hi:[1,0,0]
	v_mov_b32_e32 v73, v71
	v_pk_add_f32 v[68:69], v[68:69], v[72:73]
	v_pk_add_f32 v[68:69], v[102:103], v[68:69] neg_lo:[0,1] neg_hi:[0,1]
	buffer_store_dword v69, off, s[0:3], 0 offset:68
	buffer_store_dword v68, off, s[0:3], 0 offset:64
	s_and_saveexec_b64 s[4:5], vcc
	s_cbranch_execz .LBB96_197
; %bb.196:
	buffer_load_dword v68, off, s[0:3], 0 offset:56
	buffer_load_dword v69, off, s[0:3], 0 offset:60
	v_mov_b32_e32 v70, 0
	buffer_store_dword v70, off, s[0:3], 0 offset:56
	buffer_store_dword v70, off, s[0:3], 0 offset:60
	s_waitcnt vmcnt(2)
	ds_write_b64 v1, v[68:69]
.LBB96_197:
	s_or_b64 exec, exec, s[4:5]
	s_waitcnt lgkmcnt(0)
	; wave barrier
	s_waitcnt lgkmcnt(0)
	buffer_load_dword v71, off, s[0:3], 0 offset:68
	buffer_load_dword v124, off, s[0:3], 0 offset:76
	;; [unrolled: 1-line block ×36, first 2 shown]
	v_mov_b32_e32 v70, 0
	buffer_load_dword v113, off, s[0:3], 0 offset:212
	buffer_load_dword v112, off, s[0:3], 0 offset:208
	;; [unrolled: 1-line block ×5, first 2 shown]
	ds_read_b128 v[72:75], v70 offset:336
	ds_read_b128 v[76:79], v70 offset:352
	;; [unrolled: 1-line block ×8, first 2 shown]
	v_cmp_lt_u32_e32 vcc, 6, v0
	s_waitcnt vmcnt(40) lgkmcnt(7)
	v_mul_f32_e32 v104, v72, v71
	s_waitcnt vmcnt(39)
	v_mul_f32_e32 v105, v74, v124
	s_waitcnt vmcnt(38) lgkmcnt(6)
	v_mul_f32_e32 v106, v76, v126
	s_waitcnt vmcnt(37)
	v_mul_f32_e32 v107, v78, v128
	;; [unrolled: 4-line block ×7, first 2 shown]
	s_waitcnt vmcnt(26) lgkmcnt(0)
	v_mul_f32_e32 v125, v100, v144
	s_waitcnt vmcnt(25)
	v_fmac_f32_e32 v104, v73, v145
	s_waitcnt vmcnt(24)
	v_fmac_f32_e32 v105, v75, v146
	v_add_f32_e32 v104, 0, v104
	s_waitcnt vmcnt(23)
	v_fmac_f32_e32 v106, v77, v147
	v_add_f32_e32 v104, v104, v105
	;; [unrolled: 3-line block ×13, first 2 shown]
	v_add_f32_e32 v108, v104, v122
	buffer_load_dword v119, off, s[0:3], 0 offset:244
	buffer_load_dword v118, off, s[0:3], 0 offset:240
	;; [unrolled: 1-line block ×7, first 2 shown]
	s_waitcnt vmcnt(18)
	v_fmac_f32_e32 v125, v101, v159
	ds_read_b128 v[104:107], v70 offset:464
	v_add_f32_e32 v125, v108, v125
	ds_read_b128 v[108:111], v70 offset:480
	buffer_load_dword v131, off, s[0:3], 0 offset:260
	buffer_load_dword v130, off, s[0:3], 0 offset:256
	;; [unrolled: 1-line block ×4, first 2 shown]
	v_mul_f32_e32 v71, v73, v71
	v_fma_f32 v71, v72, v145, -v71
	v_mul_f32_e32 v72, v75, v124
	v_add_f32_e32 v71, 0, v71
	v_fma_f32 v72, v74, v146, -v72
	v_add_f32_e32 v71, v71, v72
	v_mul_f32_e32 v72, v77, v126
	v_fma_f32 v72, v76, v147, -v72
	v_add_f32_e32 v71, v71, v72
	v_mul_f32_e32 v72, v79, v128
	;; [unrolled: 3-line block ×13, first 2 shown]
	v_fma_f32 v72, v100, v159, -v72
	s_waitcnt vmcnt(13)
	v_mov_b32_e32 v84, v115
	v_mul_f32_e32 v127, v102, v160
	v_add_f32_e32 v124, v71, v72
	v_mul_f32_e32 v71, v103, v160
	s_waitcnt lgkmcnt(1)
	v_pk_mul_f32 v[84:85], v[106:107], v[84:85] op_sel_hi:[1,0]
	v_fmac_f32_e32 v127, v103, v161
	v_mul_f32_e32 v129, v104, v162
	v_fma_f32 v126, v102, v161, -v71
	v_mul_f32_e32 v71, v105, v162
	s_waitcnt vmcnt(12)
	v_pk_fma_f32 v[86:87], v[106:107], v[114:115], v[84:85] op_sel:[0,0,1] op_sel_hi:[1,1,0] neg_lo:[0,0,1] neg_hi:[0,0,1]
	v_pk_fma_f32 v[84:85], v[106:107], v[114:115], v[84:85] op_sel:[0,0,1] op_sel_hi:[1,0,0]
	v_fmac_f32_e32 v129, v105, v163
	v_fma_f32 v128, v104, v163, -v71
	v_pk_add_f32 v[82:83], v[124:125], v[126:127]
	v_mov_b32_e32 v84, v113
	v_pk_add_f32 v[82:83], v[82:83], v[128:129]
	v_mov_b32_e32 v87, v85
	s_waitcnt lgkmcnt(0)
	v_pk_mul_f32 v[84:85], v[108:109], v[84:85] op_sel_hi:[1,0]
	v_pk_add_f32 v[82:83], v[82:83], v[86:87]
	v_pk_fma_f32 v[86:87], v[108:109], v[112:113], v[84:85] op_sel:[0,0,1] op_sel_hi:[1,1,0] neg_lo:[0,0,1] neg_hi:[0,0,1]
	v_pk_fma_f32 v[84:85], v[108:109], v[112:113], v[84:85] op_sel:[0,0,1] op_sel_hi:[1,0,0]
	s_waitcnt vmcnt(11)
	v_mov_b32_e32 v84, v117
	ds_read_b128 v[72:75], v70 offset:496
	ds_read_b128 v[76:79], v70 offset:512
	ds_read_b64 v[80:81], v70 offset:528
	v_mov_b32_e32 v87, v85
	v_pk_mul_f32 v[84:85], v[110:111], v[84:85] op_sel_hi:[1,0]
	v_pk_add_f32 v[82:83], v[82:83], v[86:87]
	s_waitcnt vmcnt(4)
	v_pk_fma_f32 v[86:87], v[110:111], v[116:117], v[84:85] op_sel:[0,0,1] op_sel_hi:[1,1,0] neg_lo:[0,0,1] neg_hi:[0,0,1]
	v_pk_fma_f32 v[84:85], v[110:111], v[116:117], v[84:85] op_sel:[0,0,1] op_sel_hi:[1,0,0]
	v_mov_b32_e32 v84, v123
	v_mov_b32_e32 v87, v85
	s_waitcnt lgkmcnt(2)
	v_pk_mul_f32 v[84:85], v[72:73], v[84:85] op_sel_hi:[1,0]
	v_pk_add_f32 v[82:83], v[82:83], v[86:87]
	v_pk_fma_f32 v[86:87], v[72:73], v[122:123], v[84:85] op_sel:[0,0,1] op_sel_hi:[1,1,0] neg_lo:[0,0,1] neg_hi:[0,0,1]
	v_pk_fma_f32 v[72:73], v[72:73], v[122:123], v[84:85] op_sel:[0,0,1] op_sel_hi:[1,0,0]
	v_mov_b32_e32 v87, v73
	v_pk_add_f32 v[72:73], v[82:83], v[86:87]
	v_mov_b32_e32 v82, v121
	v_pk_mul_f32 v[82:83], v[74:75], v[82:83] op_sel_hi:[1,0]
	v_pk_fma_f32 v[84:85], v[74:75], v[120:121], v[82:83] op_sel:[0,0,1] op_sel_hi:[1,1,0] neg_lo:[0,0,1] neg_hi:[0,0,1]
	v_pk_fma_f32 v[74:75], v[74:75], v[120:121], v[82:83] op_sel:[0,0,1] op_sel_hi:[1,0,0]
	v_mov_b32_e32 v74, v119
	v_mov_b32_e32 v85, v75
	s_waitcnt lgkmcnt(1)
	v_pk_mul_f32 v[74:75], v[76:77], v[74:75] op_sel_hi:[1,0]
	v_pk_fma_f32 v[82:83], v[76:77], v[118:119], v[74:75] op_sel:[0,0,1] op_sel_hi:[1,1,0] neg_lo:[0,0,1] neg_hi:[0,0,1]
	v_pk_fma_f32 v[74:75], v[76:77], v[118:119], v[74:75] op_sel:[0,0,1] op_sel_hi:[1,0,0]
	s_waitcnt vmcnt(1)
	v_mov_b32_e32 v74, v133
	v_mov_b32_e32 v83, v75
	v_pk_mul_f32 v[74:75], v[78:79], v[74:75] op_sel_hi:[1,0]
	s_waitcnt vmcnt(0)
	v_pk_fma_f32 v[76:77], v[78:79], v[132:133], v[74:75] op_sel:[0,0,1] op_sel_hi:[1,1,0] neg_lo:[0,0,1] neg_hi:[0,0,1]
	v_pk_fma_f32 v[74:75], v[78:79], v[132:133], v[74:75] op_sel:[0,0,1] op_sel_hi:[1,0,0]
	v_pk_add_f32 v[72:73], v[72:73], v[84:85]
	v_mov_b32_e32 v74, v131
	v_pk_add_f32 v[72:73], v[72:73], v[82:83]
	v_mov_b32_e32 v77, v75
	s_waitcnt lgkmcnt(0)
	v_pk_mul_f32 v[74:75], v[80:81], v[74:75] op_sel_hi:[1,0]
	v_pk_add_f32 v[72:73], v[72:73], v[76:77]
	v_pk_fma_f32 v[76:77], v[80:81], v[130:131], v[74:75] op_sel:[0,0,1] op_sel_hi:[1,1,0] neg_lo:[0,0,1] neg_hi:[0,0,1]
	v_pk_fma_f32 v[74:75], v[80:81], v[130:131], v[74:75] op_sel:[0,0,1] op_sel_hi:[1,0,0]
	v_mov_b32_e32 v77, v75
	v_pk_add_f32 v[72:73], v[72:73], v[76:77]
	v_pk_add_f32 v[68:69], v[68:69], v[72:73] neg_lo:[0,1] neg_hi:[0,1]
	buffer_store_dword v69, off, s[0:3], 0 offset:60
	buffer_store_dword v68, off, s[0:3], 0 offset:56
	s_and_saveexec_b64 s[4:5], vcc
	s_cbranch_execz .LBB96_199
; %bb.198:
	buffer_load_dword v68, off, s[0:3], 0 offset:48
	buffer_load_dword v69, off, s[0:3], 0 offset:52
	s_waitcnt vmcnt(0)
	ds_write_b64 v1, v[68:69]
	buffer_store_dword v70, off, s[0:3], 0 offset:48
	buffer_store_dword v70, off, s[0:3], 0 offset:52
.LBB96_199:
	s_or_b64 exec, exec, s[4:5]
	s_waitcnt lgkmcnt(0)
	; wave barrier
	s_waitcnt lgkmcnt(0)
	buffer_load_dword v68, off, s[0:3], 0 offset:60
	buffer_load_dword v69, off, s[0:3], 0 offset:68
	;; [unrolled: 1-line block ×38, first 2 shown]
	ds_read2_b64 v[72:75], v70 offset0:41 offset1:42
	ds_read2_b64 v[76:79], v70 offset0:43 offset1:44
	;; [unrolled: 1-line block ×8, first 2 shown]
	buffer_load_dword v115, off, s[0:3], 0 offset:204
	buffer_load_dword v114, off, s[0:3], 0 offset:200
	;; [unrolled: 1-line block ×4, first 2 shown]
	v_cmp_lt_u32_e32 vcc, 5, v0
	s_waitcnt vmcnt(41) lgkmcnt(7)
	v_mul_f32_e32 v104, v72, v68
	s_waitcnt vmcnt(40)
	v_mul_f32_e32 v105, v74, v69
	s_waitcnt vmcnt(39) lgkmcnt(6)
	v_mul_f32_e32 v106, v76, v71
	s_waitcnt vmcnt(38)
	v_mul_f32_e32 v107, v78, v124
	;; [unrolled: 4-line block ×7, first 2 shown]
	s_waitcnt vmcnt(27) lgkmcnt(0)
	v_mul_f32_e32 v125, v100, v144
	s_waitcnt vmcnt(26)
	v_fmac_f32_e32 v104, v73, v145
	s_waitcnt vmcnt(25)
	v_fmac_f32_e32 v105, v75, v146
	v_add_f32_e32 v104, 0, v104
	s_waitcnt vmcnt(24)
	v_fmac_f32_e32 v106, v77, v147
	v_add_f32_e32 v104, v104, v105
	;; [unrolled: 3-line block ×13, first 2 shown]
	v_add_f32_e32 v104, v104, v123
	buffer_load_dword v119, off, s[0:3], 0 offset:228
	buffer_load_dword v118, off, s[0:3], 0 offset:224
	;; [unrolled: 1-line block ×6, first 2 shown]
	s_waitcnt vmcnt(18)
	v_fmac_f32_e32 v125, v101, v159
	s_waitcnt vmcnt(17)
	v_mul_f32_e32 v109, v102, v160
	v_add_f32_e32 v108, v104, v125
	s_waitcnt vmcnt(16)
	v_fmac_f32_e32 v109, v103, v161
	ds_read2_b64 v[104:107], v70 offset0:57 offset1:58
	v_add_f32_e32 v125, v108, v109
	ds_read2_b64 v[108:111], v70 offset0:59 offset1:60
	buffer_load_dword v131, off, s[0:3], 0 offset:260
	buffer_load_dword v130, off, s[0:3], 0 offset:256
	;; [unrolled: 1-line block ×6, first 2 shown]
	v_mul_f32_e32 v68, v73, v68
	v_fma_f32 v68, v72, v145, -v68
	v_mul_f32_e32 v69, v75, v69
	v_add_f32_e32 v68, 0, v68
	v_fma_f32 v69, v74, v146, -v69
	v_add_f32_e32 v68, v68, v69
	v_mul_f32_e32 v69, v77, v71
	v_fma_f32 v69, v76, v147, -v69
	v_add_f32_e32 v68, v68, v69
	v_mul_f32_e32 v69, v79, v124
	;; [unrolled: 3-line block ×14, first 2 shown]
	v_fma_f32 v69, v102, v161, -v69
	s_waitcnt vmcnt(15)
	v_mov_b32_e32 v82, v115
	s_waitcnt lgkmcnt(1)
	v_mul_f32_e32 v127, v104, v162
	v_add_f32_e32 v124, v68, v69
	v_mul_f32_e32 v68, v105, v162
	s_waitcnt lgkmcnt(0)
	v_pk_mul_f32 v[82:83], v[108:109], v[82:83] op_sel_hi:[1,0]
	v_fmac_f32_e32 v127, v105, v163
	v_mul_f32_e32 v129, v106, v164
	v_fma_f32 v126, v104, v163, -v68
	v_mul_f32_e32 v68, v107, v164
	s_waitcnt vmcnt(14)
	v_pk_fma_f32 v[84:85], v[108:109], v[114:115], v[82:83] op_sel:[0,0,1] op_sel_hi:[1,1,0] neg_lo:[0,0,1] neg_hi:[0,0,1]
	v_pk_fma_f32 v[82:83], v[108:109], v[114:115], v[82:83] op_sel:[0,0,1] op_sel_hi:[1,0,0]
	v_fmac_f32_e32 v129, v107, v165
	v_fma_f32 v128, v106, v165, -v68
	v_pk_add_f32 v[80:81], v[124:125], v[126:127]
	ds_read2_b64 v[72:75], v70 offset0:61 offset1:62
	ds_read2_b64 v[76:79], v70 offset0:63 offset1:64
	;; [unrolled: 1-line block ×3, first 2 shown]
	v_pk_add_f32 v[80:81], v[80:81], v[128:129]
	v_mov_b32_e32 v85, v83
	v_pk_add_f32 v[80:81], v[80:81], v[84:85]
	s_waitcnt vmcnt(7)
	v_mov_b32_e32 v82, v123
	v_pk_mul_f32 v[82:83], v[110:111], v[82:83] op_sel_hi:[1,0]
	s_waitcnt vmcnt(6)
	v_pk_fma_f32 v[84:85], v[110:111], v[122:123], v[82:83] op_sel:[0,0,1] op_sel_hi:[1,1,0] neg_lo:[0,0,1] neg_hi:[0,0,1]
	v_pk_fma_f32 v[82:83], v[110:111], v[122:123], v[82:83] op_sel:[0,0,1] op_sel_hi:[1,0,0]
	v_mov_b32_e32 v82, v121
	v_mov_b32_e32 v85, v83
	s_waitcnt lgkmcnt(2)
	v_pk_mul_f32 v[82:83], v[72:73], v[82:83] op_sel_hi:[1,0]
	v_pk_add_f32 v[80:81], v[80:81], v[84:85]
	v_pk_fma_f32 v[84:85], v[72:73], v[120:121], v[82:83] op_sel:[0,0,1] op_sel_hi:[1,1,0] neg_lo:[0,0,1] neg_hi:[0,0,1]
	v_pk_fma_f32 v[72:73], v[72:73], v[120:121], v[82:83] op_sel:[0,0,1] op_sel_hi:[1,0,0]
	v_mov_b32_e32 v85, v73
	v_pk_add_f32 v[72:73], v[80:81], v[84:85]
	v_mov_b32_e32 v80, v119
	v_pk_mul_f32 v[80:81], v[74:75], v[80:81] op_sel_hi:[1,0]
	v_pk_fma_f32 v[82:83], v[74:75], v[118:119], v[80:81] op_sel:[0,0,1] op_sel_hi:[1,1,0] neg_lo:[0,0,1] neg_hi:[0,0,1]
	v_pk_fma_f32 v[74:75], v[74:75], v[118:119], v[80:81] op_sel:[0,0,1] op_sel_hi:[1,0,0]
	v_mov_b32_e32 v74, v117
	v_mov_b32_e32 v83, v75
	s_waitcnt lgkmcnt(1)
	v_pk_mul_f32 v[74:75], v[76:77], v[74:75] op_sel_hi:[1,0]
	v_pk_fma_f32 v[80:81], v[76:77], v[116:117], v[74:75] op_sel:[0,0,1] op_sel_hi:[1,1,0] neg_lo:[0,0,1] neg_hi:[0,0,1]
	v_pk_fma_f32 v[74:75], v[76:77], v[116:117], v[74:75] op_sel:[0,0,1] op_sel_hi:[1,0,0]
	s_waitcnt vmcnt(1)
	v_mov_b32_e32 v74, v135
	v_mov_b32_e32 v81, v75
	v_pk_mul_f32 v[74:75], v[78:79], v[74:75] op_sel_hi:[1,0]
	s_waitcnt vmcnt(0)
	v_pk_fma_f32 v[76:77], v[78:79], v[134:135], v[74:75] op_sel:[0,0,1] op_sel_hi:[1,1,0] neg_lo:[0,0,1] neg_hi:[0,0,1]
	v_pk_fma_f32 v[74:75], v[78:79], v[134:135], v[74:75] op_sel:[0,0,1] op_sel_hi:[1,0,0]
	v_pk_add_f32 v[72:73], v[72:73], v[82:83]
	v_mov_b32_e32 v74, v133
	v_pk_add_f32 v[72:73], v[72:73], v[80:81]
	v_mov_b32_e32 v77, v75
	s_waitcnt lgkmcnt(0)
	v_pk_mul_f32 v[74:75], v[68:69], v[74:75] op_sel_hi:[1,0]
	v_pk_add_f32 v[72:73], v[72:73], v[76:77]
	v_pk_fma_f32 v[76:77], v[68:69], v[132:133], v[74:75] op_sel:[0,0,1] op_sel_hi:[1,1,0] neg_lo:[0,0,1] neg_hi:[0,0,1]
	v_pk_fma_f32 v[68:69], v[68:69], v[132:133], v[74:75] op_sel:[0,0,1] op_sel_hi:[1,0,0]
	v_mov_b32_e32 v77, v69
	v_pk_add_f32 v[68:69], v[72:73], v[76:77]
	v_mov_b32_e32 v72, v131
	v_pk_mul_f32 v[72:73], v[70:71], v[72:73] op_sel_hi:[1,0]
	v_pk_fma_f32 v[74:75], v[70:71], v[130:131], v[72:73] op_sel:[0,0,1] op_sel_hi:[1,1,0] neg_lo:[0,0,1] neg_hi:[0,0,1]
	v_pk_fma_f32 v[70:71], v[70:71], v[130:131], v[72:73] op_sel:[0,0,1] op_sel_hi:[1,0,0]
	v_mov_b32_e32 v75, v71
	v_pk_add_f32 v[68:69], v[68:69], v[74:75]
	v_pk_add_f32 v[68:69], v[112:113], v[68:69] neg_lo:[0,1] neg_hi:[0,1]
	buffer_store_dword v69, off, s[0:3], 0 offset:52
	buffer_store_dword v68, off, s[0:3], 0 offset:48
	s_and_saveexec_b64 s[4:5], vcc
	s_cbranch_execz .LBB96_201
; %bb.200:
	buffer_load_dword v68, off, s[0:3], 0 offset:40
	buffer_load_dword v69, off, s[0:3], 0 offset:44
	v_mov_b32_e32 v70, 0
	buffer_store_dword v70, off, s[0:3], 0 offset:40
	buffer_store_dword v70, off, s[0:3], 0 offset:44
	s_waitcnt vmcnt(2)
	ds_write_b64 v1, v[68:69]
.LBB96_201:
	s_or_b64 exec, exec, s[4:5]
	s_waitcnt lgkmcnt(0)
	; wave barrier
	s_waitcnt lgkmcnt(0)
	buffer_load_dword v71, off, s[0:3], 0 offset:52
	buffer_load_dword v120, off, s[0:3], 0 offset:60
	;; [unrolled: 1-line block ×40, first 2 shown]
	v_mov_b32_e32 v70, 0
	ds_read_b128 v[72:75], v70 offset:320
	ds_read_b128 v[76:79], v70 offset:336
	;; [unrolled: 1-line block ×8, first 2 shown]
	v_cmp_lt_u32_e32 vcc, 4, v0
	s_waitcnt vmcnt(39) lgkmcnt(7)
	v_mul_f32_e32 v104, v72, v71
	s_waitcnt vmcnt(38)
	v_mul_f32_e32 v105, v74, v120
	s_waitcnt vmcnt(37) lgkmcnt(6)
	v_mul_f32_e32 v106, v76, v122
	s_waitcnt vmcnt(36)
	v_mul_f32_e32 v107, v78, v124
	;; [unrolled: 4-line block ×8, first 2 shown]
	s_waitcnt vmcnt(23)
	v_fmac_f32_e32 v104, v73, v146
	s_waitcnt vmcnt(22)
	v_fmac_f32_e32 v105, v75, v147
	v_add_f32_e32 v104, 0, v104
	s_waitcnt vmcnt(21)
	v_fmac_f32_e32 v106, v77, v148
	v_add_f32_e32 v104, v104, v105
	;; [unrolled: 3-line block ×14, first 2 shown]
	v_add_f32_e32 v104, v104, v118
	s_waitcnt vmcnt(8)
	v_fmac_f32_e32 v119, v103, v161
	v_add_f32_e32 v121, v104, v119
	ds_read_b128 v[104:107], v70 offset:448
	buffer_load_dword v113, off, s[0:3], 0 offset:204
	buffer_load_dword v115, off, s[0:3], 0 offset:228
	buffer_load_dword v114, off, s[0:3], 0 offset:224
	buffer_load_dword v117, off, s[0:3], 0 offset:220
	buffer_load_dword v116, off, s[0:3], 0 offset:216
	buffer_load_dword v119, off, s[0:3], 0 offset:212
	buffer_load_dword v118, off, s[0:3], 0 offset:208
	buffer_load_dword v112, off, s[0:3], 0 offset:200
	ds_read_b128 v[108:111], v70 offset:464
	buffer_load_dword v127, off, s[0:3], 0 offset:260
	buffer_load_dword v126, off, s[0:3], 0 offset:256
	buffer_load_dword v129, off, s[0:3], 0 offset:252
	buffer_load_dword v128, off, s[0:3], 0 offset:248
	buffer_load_dword v131, off, s[0:3], 0 offset:244
	buffer_load_dword v130, off, s[0:3], 0 offset:240
	buffer_load_dword v133, off, s[0:3], 0 offset:236
	buffer_load_dword v132, off, s[0:3], 0 offset:232
	v_mul_f32_e32 v71, v73, v71
	v_fma_f32 v71, v72, v146, -v71
	v_mul_f32_e32 v72, v75, v120
	v_add_f32_e32 v71, 0, v71
	v_fma_f32 v72, v74, v147, -v72
	v_add_f32_e32 v71, v71, v72
	v_mul_f32_e32 v72, v77, v122
	v_fma_f32 v72, v76, v148, -v72
	v_add_f32_e32 v71, v71, v72
	v_mul_f32_e32 v72, v79, v124
	;; [unrolled: 3-line block ×14, first 2 shown]
	v_fma_f32 v72, v102, v161, -v72
	s_waitcnt vmcnt(23) lgkmcnt(1)
	v_mul_f32_e32 v123, v104, v162
	v_add_f32_e32 v71, v71, v72
	v_mul_f32_e32 v72, v105, v162
	s_waitcnt vmcnt(22)
	v_fmac_f32_e32 v123, v105, v163
	v_fma_f32 v72, v104, v163, -v72
	v_add_f32_e32 v121, v121, v123
	s_waitcnt vmcnt(21)
	v_mul_f32_e32 v123, v106, v164
	v_add_f32_e32 v120, v71, v72
	v_mul_f32_e32 v71, v107, v164
	s_waitcnt vmcnt(20)
	v_fmac_f32_e32 v123, v107, v165
	s_waitcnt vmcnt(19) lgkmcnt(0)
	v_mul_f32_e32 v125, v108, v166
	v_fma_f32 v122, v106, v165, -v71
	v_mul_f32_e32 v71, v109, v166
	ds_read_b128 v[72:75], v70 offset:480
	ds_read_b128 v[76:79], v70 offset:496
	ds_read_b128 v[80:83], v70 offset:512
	ds_read_b64 v[84:85], v70 offset:528
	s_waitcnt vmcnt(18)
	v_fmac_f32_e32 v125, v109, v167
	v_fma_f32 v124, v108, v167, -v71
	v_pk_add_f32 v[86:87], v[120:121], v[122:123]
	v_pk_add_f32 v[86:87], v[86:87], v[124:125]
	s_waitcnt vmcnt(15)
	v_mov_b32_e32 v88, v113
	v_pk_mul_f32 v[88:89], v[110:111], v[88:89] op_sel_hi:[1,0]
	s_waitcnt vmcnt(8)
	v_pk_fma_f32 v[90:91], v[110:111], v[112:113], v[88:89] op_sel:[0,0,1] op_sel_hi:[1,1,0] neg_lo:[0,0,1] neg_hi:[0,0,1]
	v_pk_fma_f32 v[88:89], v[110:111], v[112:113], v[88:89] op_sel:[0,0,1] op_sel_hi:[1,0,0]
	v_mov_b32_e32 v88, v119
	v_mov_b32_e32 v91, v89
	s_waitcnt lgkmcnt(3)
	v_pk_mul_f32 v[88:89], v[72:73], v[88:89] op_sel_hi:[1,0]
	v_pk_add_f32 v[86:87], v[86:87], v[90:91]
	v_pk_fma_f32 v[90:91], v[72:73], v[118:119], v[88:89] op_sel:[0,0,1] op_sel_hi:[1,1,0] neg_lo:[0,0,1] neg_hi:[0,0,1]
	v_pk_fma_f32 v[72:73], v[72:73], v[118:119], v[88:89] op_sel:[0,0,1] op_sel_hi:[1,0,0]
	v_mov_b32_e32 v91, v73
	v_pk_add_f32 v[72:73], v[86:87], v[90:91]
	v_mov_b32_e32 v86, v117
	v_pk_mul_f32 v[86:87], v[74:75], v[86:87] op_sel_hi:[1,0]
	v_pk_fma_f32 v[88:89], v[74:75], v[116:117], v[86:87] op_sel:[0,0,1] op_sel_hi:[1,1,0] neg_lo:[0,0,1] neg_hi:[0,0,1]
	v_pk_fma_f32 v[74:75], v[74:75], v[116:117], v[86:87] op_sel:[0,0,1] op_sel_hi:[1,0,0]
	v_mov_b32_e32 v74, v115
	v_mov_b32_e32 v89, v75
	s_waitcnt lgkmcnt(2)
	v_pk_mul_f32 v[74:75], v[76:77], v[74:75] op_sel_hi:[1,0]
	v_pk_fma_f32 v[86:87], v[76:77], v[114:115], v[74:75] op_sel:[0,0,1] op_sel_hi:[1,1,0] neg_lo:[0,0,1] neg_hi:[0,0,1]
	v_pk_fma_f32 v[74:75], v[76:77], v[114:115], v[74:75] op_sel:[0,0,1] op_sel_hi:[1,0,0]
	s_waitcnt vmcnt(1)
	v_mov_b32_e32 v74, v133
	v_mov_b32_e32 v87, v75
	v_pk_mul_f32 v[74:75], v[78:79], v[74:75] op_sel_hi:[1,0]
	s_waitcnt vmcnt(0)
	v_pk_fma_f32 v[76:77], v[78:79], v[132:133], v[74:75] op_sel:[0,0,1] op_sel_hi:[1,1,0] neg_lo:[0,0,1] neg_hi:[0,0,1]
	v_pk_fma_f32 v[74:75], v[78:79], v[132:133], v[74:75] op_sel:[0,0,1] op_sel_hi:[1,0,0]
	v_pk_add_f32 v[72:73], v[72:73], v[88:89]
	v_mov_b32_e32 v74, v131
	v_pk_add_f32 v[72:73], v[72:73], v[86:87]
	v_mov_b32_e32 v77, v75
	s_waitcnt lgkmcnt(1)
	v_pk_mul_f32 v[74:75], v[80:81], v[74:75] op_sel_hi:[1,0]
	v_pk_add_f32 v[72:73], v[72:73], v[76:77]
	v_pk_fma_f32 v[76:77], v[80:81], v[130:131], v[74:75] op_sel:[0,0,1] op_sel_hi:[1,1,0] neg_lo:[0,0,1] neg_hi:[0,0,1]
	v_pk_fma_f32 v[74:75], v[80:81], v[130:131], v[74:75] op_sel:[0,0,1] op_sel_hi:[1,0,0]
	v_mov_b32_e32 v74, v129
	v_mov_b32_e32 v77, v75
	v_pk_mul_f32 v[74:75], v[82:83], v[74:75] op_sel_hi:[1,0]
	v_pk_add_f32 v[72:73], v[72:73], v[76:77]
	v_pk_fma_f32 v[76:77], v[82:83], v[128:129], v[74:75] op_sel:[0,0,1] op_sel_hi:[1,1,0] neg_lo:[0,0,1] neg_hi:[0,0,1]
	v_pk_fma_f32 v[74:75], v[82:83], v[128:129], v[74:75] op_sel:[0,0,1] op_sel_hi:[1,0,0]
	v_mov_b32_e32 v74, v127
	v_mov_b32_e32 v77, v75
	s_waitcnt lgkmcnt(0)
	v_pk_mul_f32 v[74:75], v[84:85], v[74:75] op_sel_hi:[1,0]
	v_pk_add_f32 v[72:73], v[72:73], v[76:77]
	v_pk_fma_f32 v[76:77], v[84:85], v[126:127], v[74:75] op_sel:[0,0,1] op_sel_hi:[1,1,0] neg_lo:[0,0,1] neg_hi:[0,0,1]
	v_pk_fma_f32 v[74:75], v[84:85], v[126:127], v[74:75] op_sel:[0,0,1] op_sel_hi:[1,0,0]
	v_mov_b32_e32 v77, v75
	v_pk_add_f32 v[72:73], v[72:73], v[76:77]
	v_pk_add_f32 v[68:69], v[68:69], v[72:73] neg_lo:[0,1] neg_hi:[0,1]
	buffer_store_dword v69, off, s[0:3], 0 offset:44
	buffer_store_dword v68, off, s[0:3], 0 offset:40
	s_and_saveexec_b64 s[4:5], vcc
	s_cbranch_execz .LBB96_203
; %bb.202:
	buffer_load_dword v68, off, s[0:3], 0 offset:32
	buffer_load_dword v69, off, s[0:3], 0 offset:36
	s_waitcnt vmcnt(0)
	ds_write_b64 v1, v[68:69]
	buffer_store_dword v70, off, s[0:3], 0 offset:32
	buffer_store_dword v70, off, s[0:3], 0 offset:36
.LBB96_203:
	s_or_b64 exec, exec, s[4:5]
	s_waitcnt lgkmcnt(0)
	; wave barrier
	s_waitcnt lgkmcnt(0)
	buffer_load_dword v71, off, s[0:3], 0 offset:44
	buffer_load_dword v112, off, s[0:3], 0 offset:52
	;; [unrolled: 1-line block ×42, first 2 shown]
	ds_read2_b64 v[72:75], v70 offset0:39 offset1:40
	ds_read2_b64 v[76:79], v70 offset0:41 offset1:42
	;; [unrolled: 1-line block ×8, first 2 shown]
	v_cmp_lt_u32_e32 vcc, 3, v0
	s_waitcnt vmcnt(41) lgkmcnt(7)
	v_mul_f32_e32 v104, v72, v71
	s_waitcnt vmcnt(40)
	v_mul_f32_e32 v105, v74, v112
	s_waitcnt vmcnt(39) lgkmcnt(6)
	v_mul_f32_e32 v106, v76, v114
	s_waitcnt vmcnt(38)
	v_mul_f32_e32 v107, v78, v122
	;; [unrolled: 4-line block ×7, first 2 shown]
	s_waitcnt vmcnt(27) lgkmcnt(0)
	v_mul_f32_e32 v120, v100, v144
	s_waitcnt vmcnt(26)
	v_fmac_f32_e32 v104, v73, v145
	s_waitcnt vmcnt(25)
	v_fmac_f32_e32 v105, v75, v146
	v_add_f32_e32 v104, 0, v104
	s_waitcnt vmcnt(24)
	v_fmac_f32_e32 v106, v77, v147
	v_add_f32_e32 v104, v104, v105
	;; [unrolled: 3-line block ×14, first 2 shown]
	s_waitcnt vmcnt(11)
	v_mul_f32_e32 v109, v102, v160
	v_add_f32_e32 v108, v104, v120
	s_waitcnt vmcnt(10)
	v_fmac_f32_e32 v109, v103, v161
	ds_read2_b64 v[104:107], v70 offset0:55 offset1:56
	v_add_f32_e32 v113, v108, v109
	ds_read2_b64 v[108:111], v70 offset0:57 offset1:58
	buffer_load_dword v117, off, s[0:3], 0 offset:204
	buffer_load_dword v119, off, s[0:3], 0 offset:220
	;; [unrolled: 1-line block ×16, first 2 shown]
	v_mul_f32_e32 v71, v73, v71
	v_fma_f32 v71, v72, v145, -v71
	v_mul_f32_e32 v72, v75, v112
	v_add_f32_e32 v71, 0, v71
	v_fma_f32 v72, v74, v146, -v72
	v_add_f32_e32 v71, v71, v72
	v_mul_f32_e32 v72, v77, v114
	v_fma_f32 v72, v76, v147, -v72
	v_add_f32_e32 v71, v71, v72
	v_mul_f32_e32 v72, v79, v122
	;; [unrolled: 3-line block ×14, first 2 shown]
	v_fma_f32 v72, v102, v161, -v72
	v_add_f32_e32 v71, v71, v72
	s_waitcnt vmcnt(25) lgkmcnt(1)
	v_mul_f32_e32 v72, v105, v162
	s_waitcnt vmcnt(24)
	v_fma_f32 v72, v104, v163, -v72
	v_add_f32_e32 v71, v71, v72
	s_waitcnt vmcnt(23)
	v_mul_f32_e32 v72, v107, v164
	s_waitcnt vmcnt(22)
	v_fma_f32 v72, v106, v165, -v72
	v_add_f32_e32 v112, v71, v72
	ds_read2_b64 v[72:75], v70 offset0:59 offset1:60
	ds_read2_b64 v[76:79], v70 offset0:61 offset1:62
	;; [unrolled: 1-line block ×4, first 2 shown]
	v_mul_f32_e32 v115, v104, v162
	v_fmac_f32_e32 v115, v105, v163
	v_add_f32_e32 v113, v113, v115
	v_mul_f32_e32 v115, v106, v164
	v_fmac_f32_e32 v115, v107, v165
	v_add_f32_e32 v113, v113, v115
	s_waitcnt vmcnt(21) lgkmcnt(4)
	v_mul_f32_e32 v115, v108, v166
	v_mul_f32_e32 v71, v109, v166
	s_waitcnt vmcnt(20)
	v_fmac_f32_e32 v115, v109, v167
	s_waitcnt vmcnt(19)
	v_mul_f32_e32 v123, v110, v168
	v_fma_f32 v114, v108, v167, -v71
	v_mul_f32_e32 v71, v111, v168
	s_waitcnt vmcnt(18)
	v_fmac_f32_e32 v123, v111, v169
	v_fma_f32 v122, v110, v169, -v71
	v_pk_add_f32 v[70:71], v[112:113], v[114:115]
	v_pk_add_f32 v[70:71], v[70:71], v[122:123]
	s_waitcnt vmcnt(15)
	v_mov_b32_e32 v88, v117
	s_waitcnt lgkmcnt(3)
	v_pk_mul_f32 v[88:89], v[72:73], v[88:89] op_sel_hi:[1,0]
	s_waitcnt vmcnt(10)
	v_pk_fma_f32 v[90:91], v[72:73], v[116:117], v[88:89] op_sel:[0,0,1] op_sel_hi:[1,1,0] neg_lo:[0,0,1] neg_hi:[0,0,1]
	v_pk_fma_f32 v[72:73], v[72:73], v[116:117], v[88:89] op_sel:[0,0,1] op_sel_hi:[1,0,0]
	v_mov_b32_e32 v72, v121
	v_mov_b32_e32 v91, v73
	v_pk_mul_f32 v[72:73], v[74:75], v[72:73] op_sel_hi:[1,0]
	v_pk_fma_f32 v[88:89], v[74:75], v[120:121], v[72:73] op_sel:[0,0,1] op_sel_hi:[1,1,0] neg_lo:[0,0,1] neg_hi:[0,0,1]
	v_pk_fma_f32 v[72:73], v[74:75], v[120:121], v[72:73] op_sel:[0,0,1] op_sel_hi:[1,0,0]
	v_mov_b32_e32 v72, v119
	v_mov_b32_e32 v89, v73
	s_waitcnt lgkmcnt(2)
	v_pk_mul_f32 v[72:73], v[76:77], v[72:73] op_sel_hi:[1,0]
	v_pk_fma_f32 v[74:75], v[76:77], v[118:119], v[72:73] op_sel:[0,0,1] op_sel_hi:[1,1,0] neg_lo:[0,0,1] neg_hi:[0,0,1]
	v_pk_fma_f32 v[72:73], v[76:77], v[118:119], v[72:73] op_sel:[0,0,1] op_sel_hi:[1,0,0]
	v_pk_add_f32 v[70:71], v[70:71], v[90:91]
	s_waitcnt vmcnt(3)
	v_mov_b32_e32 v72, v131
	v_pk_add_f32 v[70:71], v[70:71], v[88:89]
	v_mov_b32_e32 v75, v73
	v_pk_mul_f32 v[72:73], v[78:79], v[72:73] op_sel_hi:[1,0]
	v_pk_add_f32 v[70:71], v[70:71], v[74:75]
	s_waitcnt vmcnt(2)
	v_pk_fma_f32 v[74:75], v[78:79], v[130:131], v[72:73] op_sel:[0,0,1] op_sel_hi:[1,1,0] neg_lo:[0,0,1] neg_hi:[0,0,1]
	v_pk_fma_f32 v[72:73], v[78:79], v[130:131], v[72:73] op_sel:[0,0,1] op_sel_hi:[1,0,0]
	v_mov_b32_e32 v72, v129
	v_mov_b32_e32 v75, v73
	s_waitcnt lgkmcnt(1)
	v_pk_mul_f32 v[72:73], v[80:81], v[72:73] op_sel_hi:[1,0]
	v_pk_add_f32 v[70:71], v[70:71], v[74:75]
	v_pk_fma_f32 v[74:75], v[80:81], v[128:129], v[72:73] op_sel:[0,0,1] op_sel_hi:[1,1,0] neg_lo:[0,0,1] neg_hi:[0,0,1]
	v_pk_fma_f32 v[72:73], v[80:81], v[128:129], v[72:73] op_sel:[0,0,1] op_sel_hi:[1,0,0]
	v_mov_b32_e32 v72, v127
	v_mov_b32_e32 v75, v73
	v_pk_mul_f32 v[72:73], v[82:83], v[72:73] op_sel_hi:[1,0]
	v_pk_add_f32 v[70:71], v[70:71], v[74:75]
	v_pk_fma_f32 v[74:75], v[82:83], v[126:127], v[72:73] op_sel:[0,0,1] op_sel_hi:[1,1,0] neg_lo:[0,0,1] neg_hi:[0,0,1]
	v_pk_fma_f32 v[72:73], v[82:83], v[126:127], v[72:73] op_sel:[0,0,1] op_sel_hi:[1,0,0]
	v_mov_b32_e32 v72, v125
	v_mov_b32_e32 v75, v73
	s_waitcnt lgkmcnt(0)
	v_pk_mul_f32 v[72:73], v[84:85], v[72:73] op_sel_hi:[1,0]
	v_pk_add_f32 v[70:71], v[70:71], v[74:75]
	v_pk_fma_f32 v[74:75], v[84:85], v[124:125], v[72:73] op_sel:[0,0,1] op_sel_hi:[1,1,0] neg_lo:[0,0,1] neg_hi:[0,0,1]
	v_pk_fma_f32 v[72:73], v[84:85], v[124:125], v[72:73] op_sel:[0,0,1] op_sel_hi:[1,0,0]
	s_waitcnt vmcnt(1)
	v_mov_b32_e32 v72, v133
	v_mov_b32_e32 v75, v73
	v_pk_mul_f32 v[72:73], v[86:87], v[72:73] op_sel_hi:[1,0]
	v_pk_add_f32 v[70:71], v[70:71], v[74:75]
	s_waitcnt vmcnt(0)
	v_pk_fma_f32 v[74:75], v[86:87], v[132:133], v[72:73] op_sel:[0,0,1] op_sel_hi:[1,1,0] neg_lo:[0,0,1] neg_hi:[0,0,1]
	v_pk_fma_f32 v[72:73], v[86:87], v[132:133], v[72:73] op_sel:[0,0,1] op_sel_hi:[1,0,0]
	v_mov_b32_e32 v75, v73
	v_pk_add_f32 v[70:71], v[70:71], v[74:75]
	v_pk_add_f32 v[68:69], v[68:69], v[70:71] neg_lo:[0,1] neg_hi:[0,1]
	buffer_store_dword v69, off, s[0:3], 0 offset:36
	buffer_store_dword v68, off, s[0:3], 0 offset:32
	s_and_saveexec_b64 s[4:5], vcc
	s_cbranch_execz .LBB96_205
; %bb.204:
	buffer_load_dword v68, off, s[0:3], 0 offset:24
	buffer_load_dword v69, off, s[0:3], 0 offset:28
	v_mov_b32_e32 v70, 0
	buffer_store_dword v70, off, s[0:3], 0 offset:24
	buffer_store_dword v70, off, s[0:3], 0 offset:28
	s_waitcnt vmcnt(2)
	ds_write_b64 v1, v[68:69]
.LBB96_205:
	s_or_b64 exec, exec, s[4:5]
	s_waitcnt lgkmcnt(0)
	; wave barrier
	s_waitcnt lgkmcnt(0)
	buffer_load_dword v71, off, s[0:3], 0 offset:36
	buffer_load_dword v120, off, s[0:3], 0 offset:44
	;; [unrolled: 1-line block ×44, first 2 shown]
	v_mov_b32_e32 v70, 0
	ds_read_b128 v[72:75], v70 offset:304
	ds_read_b128 v[76:79], v70 offset:320
	;; [unrolled: 1-line block ×8, first 2 shown]
	v_cmp_lt_u32_e32 vcc, 2, v0
	s_waitcnt vmcnt(43) lgkmcnt(7)
	v_mul_f32_e32 v104, v72, v71
	s_waitcnt vmcnt(42)
	v_mul_f32_e32 v105, v74, v120
	s_waitcnt vmcnt(41) lgkmcnt(6)
	v_mul_f32_e32 v106, v76, v126
	s_waitcnt vmcnt(40)
	v_mul_f32_e32 v107, v78, v128
	s_waitcnt vmcnt(39) lgkmcnt(5)
	v_mul_f32_e32 v108, v80, v142
	s_waitcnt vmcnt(38)
	v_mul_f32_e32 v109, v82, v143
	s_waitcnt vmcnt(37) lgkmcnt(4)
	v_mul_f32_e32 v110, v84, v144
	s_waitcnt vmcnt(36)
	v_mul_f32_e32 v111, v86, v145
	s_waitcnt vmcnt(35) lgkmcnt(3)
	v_mul_f32_e32 v112, v88, v146
	s_waitcnt vmcnt(34)
	v_mul_f32_e32 v113, v90, v147
	s_waitcnt vmcnt(33) lgkmcnt(2)
	v_mul_f32_e32 v114, v92, v148
	s_waitcnt vmcnt(32)
	v_mul_f32_e32 v115, v94, v149
	s_waitcnt vmcnt(31) lgkmcnt(1)
	v_mul_f32_e32 v116, v96, v150
	s_waitcnt vmcnt(30)
	v_mul_f32_e32 v117, v98, v151
	s_waitcnt vmcnt(29)
	v_fmac_f32_e32 v104, v73, v152
	s_waitcnt vmcnt(28)
	v_fmac_f32_e32 v105, v75, v153
	v_add_f32_e32 v104, 0, v104
	s_waitcnt vmcnt(27)
	v_fmac_f32_e32 v106, v77, v154
	v_add_f32_e32 v104, v104, v105
	;; [unrolled: 3-line block ×12, first 2 shown]
	v_add_f32_e32 v104, v104, v116
	s_waitcnt vmcnt(16)
	v_fmac_f32_e32 v117, v99, v165
	s_waitcnt vmcnt(15) lgkmcnt(0)
	v_mul_f32_e32 v105, v100, v166
	v_add_f32_e32 v104, v104, v117
	s_waitcnt vmcnt(14)
	v_fmac_f32_e32 v105, v101, v167
	v_add_f32_e32 v108, v104, v105
	ds_read_b128 v[104:107], v70 offset:432
	s_waitcnt vmcnt(13)
	v_mul_f32_e32 v109, v102, v168
	s_waitcnt vmcnt(12)
	v_fmac_f32_e32 v109, v103, v169
	v_add_f32_e32 v112, v108, v109
	ds_read_b128 v[108:111], v70 offset:448
	s_waitcnt vmcnt(11) lgkmcnt(1)
	v_mul_f32_e32 v113, v104, v170
	s_waitcnt vmcnt(10)
	v_fmac_f32_e32 v113, v105, v171
	v_add_f32_e32 v112, v112, v113
	s_waitcnt vmcnt(9)
	v_mul_f32_e32 v113, v106, v172
	s_waitcnt vmcnt(8)
	v_fmac_f32_e32 v113, v107, v173
	v_add_f32_e32 v112, v112, v113
	s_waitcnt vmcnt(7) lgkmcnt(0)
	v_mul_f32_e32 v113, v108, v174
	s_waitcnt vmcnt(6)
	v_fmac_f32_e32 v113, v109, v175
	v_add_f32_e32 v121, v112, v113
	ds_read_b128 v[112:115], v70 offset:464
	buffer_load_dword v123, off, s[0:3], 0 offset:212
	buffer_load_dword v122, off, s[0:3], 0 offset:208
	;; [unrolled: 1-line block ×4, first 2 shown]
	ds_read_b128 v[116:119], v70 offset:480
	buffer_load_dword v131, off, s[0:3], 0 offset:244
	buffer_load_dword v130, off, s[0:3], 0 offset:240
	;; [unrolled: 1-line block ×12, first 2 shown]
	v_mul_f32_e32 v71, v73, v71
	v_fma_f32 v71, v72, v152, -v71
	v_mul_f32_e32 v72, v75, v120
	v_add_f32_e32 v71, 0, v71
	v_fma_f32 v72, v74, v153, -v72
	v_add_f32_e32 v71, v71, v72
	v_mul_f32_e32 v72, v77, v126
	v_fma_f32 v72, v76, v154, -v72
	v_add_f32_e32 v71, v71, v72
	v_mul_f32_e32 v72, v79, v128
	v_fma_f32 v72, v78, v155, -v72
	v_add_f32_e32 v71, v71, v72
	v_mul_f32_e32 v72, v81, v142
	v_fma_f32 v72, v80, v156, -v72
	v_add_f32_e32 v71, v71, v72
	v_mul_f32_e32 v72, v83, v143
	v_fma_f32 v72, v82, v157, -v72
	v_add_f32_e32 v71, v71, v72
	v_mul_f32_e32 v72, v85, v144
	v_fma_f32 v72, v84, v158, -v72
	v_add_f32_e32 v71, v71, v72
	v_mul_f32_e32 v72, v87, v145
	v_fma_f32 v72, v86, v159, -v72
	v_add_f32_e32 v71, v71, v72
	v_mul_f32_e32 v72, v89, v146
	v_fma_f32 v72, v88, v160, -v72
	v_add_f32_e32 v71, v71, v72
	v_mul_f32_e32 v72, v91, v147
	v_fma_f32 v72, v90, v161, -v72
	v_add_f32_e32 v71, v71, v72
	v_mul_f32_e32 v72, v93, v148
	v_fma_f32 v72, v92, v162, -v72
	v_add_f32_e32 v71, v71, v72
	v_mul_f32_e32 v72, v95, v149
	v_fma_f32 v72, v94, v163, -v72
	v_add_f32_e32 v71, v71, v72
	v_mul_f32_e32 v72, v97, v150
	v_fma_f32 v72, v96, v164, -v72
	v_add_f32_e32 v71, v71, v72
	v_mul_f32_e32 v72, v99, v151
	v_fma_f32 v72, v98, v165, -v72
	v_add_f32_e32 v71, v71, v72
	v_mul_f32_e32 v72, v101, v166
	v_fma_f32 v72, v100, v167, -v72
	v_add_f32_e32 v71, v71, v72
	v_mul_f32_e32 v72, v103, v168
	v_fma_f32 v72, v102, v169, -v72
	v_add_f32_e32 v71, v71, v72
	v_mul_f32_e32 v72, v105, v170
	v_fma_f32 v72, v104, v171, -v72
	v_add_f32_e32 v71, v71, v72
	v_mul_f32_e32 v72, v107, v172
	v_fma_f32 v72, v106, v173, -v72
	v_add_f32_e32 v71, v71, v72
	v_mul_f32_e32 v72, v109, v174
	v_fma_f32 v72, v108, v175, -v72
	s_waitcnt vmcnt(21)
	v_mul_f32_e32 v127, v110, v176
	v_add_f32_e32 v120, v71, v72
	v_mul_f32_e32 v71, v111, v176
	s_waitcnt vmcnt(20)
	v_fmac_f32_e32 v127, v111, v177
	s_waitcnt vmcnt(19) lgkmcnt(1)
	v_mul_f32_e32 v129, v112, v178
	v_fma_f32 v126, v110, v177, -v71
	v_mul_f32_e32 v71, v113, v178
	s_waitcnt vmcnt(18)
	v_fmac_f32_e32 v129, v113, v179
	v_fma_f32 v128, v112, v179, -v71
	v_pk_add_f32 v[82:83], v[120:121], v[126:127]
	v_pk_add_f32 v[82:83], v[82:83], v[128:129]
	ds_read_b128 v[72:75], v70 offset:496
	ds_read_b128 v[76:79], v70 offset:512
	ds_read_b64 v[80:81], v70 offset:528
	s_waitcnt vmcnt(13)
	v_mov_b32_e32 v84, v125
	v_pk_mul_f32 v[84:85], v[114:115], v[84:85] op_sel_hi:[1,0]
	s_waitcnt vmcnt(12)
	v_pk_fma_f32 v[86:87], v[114:115], v[124:125], v[84:85] op_sel:[0,0,1] op_sel_hi:[1,1,0] neg_lo:[0,0,1] neg_hi:[0,0,1]
	v_pk_fma_f32 v[84:85], v[114:115], v[124:125], v[84:85] op_sel:[0,0,1] op_sel_hi:[1,0,0]
	v_mov_b32_e32 v84, v123
	v_mov_b32_e32 v87, v85
	s_waitcnt lgkmcnt(3)
	v_pk_mul_f32 v[84:85], v[116:117], v[84:85] op_sel_hi:[1,0]
	v_pk_add_f32 v[82:83], v[82:83], v[86:87]
	v_pk_fma_f32 v[86:87], v[116:117], v[122:123], v[84:85] op_sel:[0,0,1] op_sel_hi:[1,1,0] neg_lo:[0,0,1] neg_hi:[0,0,1]
	v_pk_fma_f32 v[84:85], v[116:117], v[122:123], v[84:85] op_sel:[0,0,1] op_sel_hi:[1,0,0]
	s_waitcnt vmcnt(5)
	v_mov_b32_e32 v84, v137
	v_mov_b32_e32 v87, v85
	v_pk_mul_f32 v[84:85], v[118:119], v[84:85] op_sel_hi:[1,0]
	v_pk_add_f32 v[82:83], v[82:83], v[86:87]
	s_waitcnt vmcnt(4)
	v_pk_fma_f32 v[86:87], v[118:119], v[136:137], v[84:85] op_sel:[0,0,1] op_sel_hi:[1,1,0] neg_lo:[0,0,1] neg_hi:[0,0,1]
	v_pk_fma_f32 v[84:85], v[118:119], v[136:137], v[84:85] op_sel:[0,0,1] op_sel_hi:[1,0,0]
	v_mov_b32_e32 v84, v135
	v_mov_b32_e32 v87, v85
	s_waitcnt lgkmcnt(2)
	v_pk_mul_f32 v[84:85], v[72:73], v[84:85] op_sel_hi:[1,0]
	v_pk_add_f32 v[82:83], v[82:83], v[86:87]
	v_pk_fma_f32 v[86:87], v[72:73], v[134:135], v[84:85] op_sel:[0,0,1] op_sel_hi:[1,1,0] neg_lo:[0,0,1] neg_hi:[0,0,1]
	v_pk_fma_f32 v[72:73], v[72:73], v[134:135], v[84:85] op_sel:[0,0,1] op_sel_hi:[1,0,0]
	v_mov_b32_e32 v87, v73
	v_pk_add_f32 v[72:73], v[82:83], v[86:87]
	v_mov_b32_e32 v82, v133
	v_pk_mul_f32 v[82:83], v[74:75], v[82:83] op_sel_hi:[1,0]
	v_pk_fma_f32 v[84:85], v[74:75], v[132:133], v[82:83] op_sel:[0,0,1] op_sel_hi:[1,1,0] neg_lo:[0,0,1] neg_hi:[0,0,1]
	v_pk_fma_f32 v[74:75], v[74:75], v[132:133], v[82:83] op_sel:[0,0,1] op_sel_hi:[1,0,0]
	v_mov_b32_e32 v74, v131
	v_mov_b32_e32 v85, v75
	s_waitcnt lgkmcnt(1)
	v_pk_mul_f32 v[74:75], v[76:77], v[74:75] op_sel_hi:[1,0]
	v_pk_fma_f32 v[82:83], v[76:77], v[130:131], v[74:75] op_sel:[0,0,1] op_sel_hi:[1,1,0] neg_lo:[0,0,1] neg_hi:[0,0,1]
	v_pk_fma_f32 v[74:75], v[76:77], v[130:131], v[74:75] op_sel:[0,0,1] op_sel_hi:[1,0,0]
	s_waitcnt vmcnt(1)
	v_mov_b32_e32 v74, v141
	v_mov_b32_e32 v83, v75
	v_pk_mul_f32 v[74:75], v[78:79], v[74:75] op_sel_hi:[1,0]
	s_waitcnt vmcnt(0)
	v_pk_fma_f32 v[76:77], v[78:79], v[140:141], v[74:75] op_sel:[0,0,1] op_sel_hi:[1,1,0] neg_lo:[0,0,1] neg_hi:[0,0,1]
	v_pk_fma_f32 v[74:75], v[78:79], v[140:141], v[74:75] op_sel:[0,0,1] op_sel_hi:[1,0,0]
	v_pk_add_f32 v[72:73], v[72:73], v[84:85]
	v_mov_b32_e32 v74, v139
	v_pk_add_f32 v[72:73], v[72:73], v[82:83]
	v_mov_b32_e32 v77, v75
	s_waitcnt lgkmcnt(0)
	v_pk_mul_f32 v[74:75], v[80:81], v[74:75] op_sel_hi:[1,0]
	v_pk_add_f32 v[72:73], v[72:73], v[76:77]
	v_pk_fma_f32 v[76:77], v[80:81], v[138:139], v[74:75] op_sel:[0,0,1] op_sel_hi:[1,1,0] neg_lo:[0,0,1] neg_hi:[0,0,1]
	v_pk_fma_f32 v[74:75], v[80:81], v[138:139], v[74:75] op_sel:[0,0,1] op_sel_hi:[1,0,0]
	v_mov_b32_e32 v77, v75
	v_pk_add_f32 v[72:73], v[72:73], v[76:77]
	v_pk_add_f32 v[68:69], v[68:69], v[72:73] neg_lo:[0,1] neg_hi:[0,1]
	buffer_store_dword v69, off, s[0:3], 0 offset:28
	buffer_store_dword v68, off, s[0:3], 0 offset:24
	s_and_saveexec_b64 s[4:5], vcc
	s_cbranch_execz .LBB96_207
; %bb.206:
	buffer_load_dword v68, off, s[0:3], 0 offset:16
	buffer_load_dword v69, off, s[0:3], 0 offset:20
	s_waitcnt vmcnt(0)
	ds_write_b64 v1, v[68:69]
	buffer_store_dword v70, off, s[0:3], 0 offset:16
	buffer_store_dword v70, off, s[0:3], 0 offset:20
.LBB96_207:
	s_or_b64 exec, exec, s[4:5]
	s_waitcnt lgkmcnt(0)
	; wave barrier
	s_waitcnt lgkmcnt(0)
	buffer_load_dword v71, off, s[0:3], 0 offset:28
	buffer_load_dword v122, off, s[0:3], 0 offset:36
	;; [unrolled: 1-line block ×46, first 2 shown]
	ds_read2_b64 v[72:75], v70 offset0:37 offset1:38
	ds_read2_b64 v[76:79], v70 offset0:39 offset1:40
	;; [unrolled: 1-line block ×8, first 2 shown]
	v_cmp_lt_u32_e32 vcc, 1, v0
	s_waitcnt vmcnt(45) lgkmcnt(7)
	v_mul_f32_e32 v104, v72, v71
	s_waitcnt vmcnt(44)
	v_mul_f32_e32 v105, v74, v122
	s_waitcnt vmcnt(43) lgkmcnt(6)
	v_mul_f32_e32 v106, v76, v124
	s_waitcnt vmcnt(42)
	v_mul_f32_e32 v107, v78, v126
	;; [unrolled: 4-line block ×6, first 2 shown]
	s_waitcnt vmcnt(33) lgkmcnt(1)
	v_mul_f32_e32 v116, v96, v150
	s_waitcnt vmcnt(32)
	v_fmac_f32_e32 v104, v73, v151
	s_waitcnt vmcnt(31)
	v_fmac_f32_e32 v105, v75, v152
	v_add_f32_e32 v104, 0, v104
	s_waitcnt vmcnt(30)
	v_fmac_f32_e32 v106, v77, v153
	v_add_f32_e32 v104, v104, v105
	s_waitcnt vmcnt(29)
	v_fmac_f32_e32 v107, v79, v154
	v_add_f32_e32 v104, v104, v106
	s_waitcnt vmcnt(28)
	v_fmac_f32_e32 v108, v81, v155
	v_add_f32_e32 v104, v104, v107
	s_waitcnt vmcnt(27)
	v_fmac_f32_e32 v109, v83, v156
	v_add_f32_e32 v104, v104, v108
	s_waitcnt vmcnt(26)
	v_fmac_f32_e32 v110, v85, v157
	v_add_f32_e32 v104, v104, v109
	s_waitcnt vmcnt(25)
	v_fmac_f32_e32 v111, v87, v158
	v_add_f32_e32 v104, v104, v110
	s_waitcnt vmcnt(24)
	v_fmac_f32_e32 v112, v89, v159
	v_add_f32_e32 v104, v104, v111
	s_waitcnt vmcnt(23)
	v_fmac_f32_e32 v113, v91, v160
	v_add_f32_e32 v104, v104, v112
	s_waitcnt vmcnt(22)
	v_fmac_f32_e32 v114, v93, v161
	v_add_f32_e32 v104, v104, v113
	s_waitcnt vmcnt(21)
	v_fmac_f32_e32 v115, v95, v162
	v_add_f32_e32 v104, v104, v114
	s_waitcnt vmcnt(20)
	v_fmac_f32_e32 v116, v97, v163
	v_add_f32_e32 v104, v104, v115
	s_waitcnt vmcnt(19)
	v_mul_f32_e32 v105, v98, v164
	v_add_f32_e32 v104, v104, v116
	s_waitcnt vmcnt(18)
	v_fmac_f32_e32 v105, v99, v165
	v_add_f32_e32 v104, v104, v105
	s_waitcnt vmcnt(17) lgkmcnt(0)
	v_mul_f32_e32 v105, v100, v166
	s_waitcnt vmcnt(16)
	v_fmac_f32_e32 v105, v101, v167
	v_add_f32_e32 v108, v104, v105
	ds_read2_b64 v[104:107], v70 offset0:53 offset1:54
	s_waitcnt vmcnt(15)
	v_mul_f32_e32 v109, v102, v168
	s_waitcnt vmcnt(14)
	v_fmac_f32_e32 v109, v103, v169
	v_add_f32_e32 v112, v108, v109
	ds_read2_b64 v[108:111], v70 offset0:55 offset1:56
	buffer_load_dword v121, off, s[0:3], 0 offset:204
	buffer_load_dword v120, off, s[0:3], 0 offset:200
	s_waitcnt vmcnt(15) lgkmcnt(1)
	v_mul_f32_e32 v113, v104, v170
	s_waitcnt vmcnt(14)
	v_fmac_f32_e32 v113, v105, v171
	v_add_f32_e32 v112, v112, v113
	s_waitcnt vmcnt(13)
	v_mul_f32_e32 v113, v106, v172
	s_waitcnt vmcnt(12)
	v_fmac_f32_e32 v113, v107, v173
	v_add_f32_e32 v112, v112, v113
	s_waitcnt vmcnt(11) lgkmcnt(0)
	v_mul_f32_e32 v113, v108, v174
	s_waitcnt vmcnt(10)
	v_fmac_f32_e32 v113, v109, v175
	s_waitcnt vmcnt(9)
	v_mul_f32_e32 v117, v110, v176
	v_add_f32_e32 v116, v112, v113
	s_waitcnt vmcnt(8)
	v_fmac_f32_e32 v117, v111, v177
	ds_read2_b64 v[112:115], v70 offset0:57 offset1:58
	v_add_f32_e32 v123, v116, v117
	ds_read2_b64 v[116:119], v70 offset0:59 offset1:60
	buffer_load_dword v129, off, s[0:3], 0 offset:236
	buffer_load_dword v128, off, s[0:3], 0 offset:232
	;; [unrolled: 1-line block ×14, first 2 shown]
	v_mul_f32_e32 v71, v73, v71
	v_fma_f32 v71, v72, v151, -v71
	v_mul_f32_e32 v72, v75, v122
	v_add_f32_e32 v71, 0, v71
	v_fma_f32 v72, v74, v152, -v72
	v_add_f32_e32 v71, v71, v72
	v_mul_f32_e32 v72, v77, v124
	v_fma_f32 v72, v76, v153, -v72
	v_add_f32_e32 v71, v71, v72
	v_mul_f32_e32 v72, v79, v126
	;; [unrolled: 3-line block ×18, first 2 shown]
	v_fma_f32 v72, v110, v177, -v72
	s_waitcnt vmcnt(21) lgkmcnt(1)
	v_mul_f32_e32 v125, v112, v178
	v_add_f32_e32 v122, v71, v72
	v_mul_f32_e32 v71, v113, v178
	s_waitcnt vmcnt(20)
	v_fmac_f32_e32 v125, v113, v179
	s_waitcnt vmcnt(15)
	v_mov_b32_e32 v84, v121
	s_waitcnt lgkmcnt(0)
	v_pk_mul_f32 v[84:85], v[116:117], v[84:85] op_sel_hi:[1,0]
	v_mul_f32_e32 v127, v114, v180
	v_fma_f32 v124, v112, v179, -v71
	v_mul_f32_e32 v71, v115, v180
	s_waitcnt vmcnt(14)
	v_pk_fma_f32 v[86:87], v[116:117], v[120:121], v[84:85] op_sel:[0,0,1] op_sel_hi:[1,1,0] neg_lo:[0,0,1] neg_hi:[0,0,1]
	v_pk_fma_f32 v[84:85], v[116:117], v[120:121], v[84:85] op_sel:[0,0,1] op_sel_hi:[1,0,0]
	v_fmac_f32_e32 v127, v115, v181
	v_fma_f32 v126, v114, v181, -v71
	ds_read2_b64 v[72:75], v70 offset0:61 offset1:62
	ds_read2_b64 v[76:79], v70 offset0:63 offset1:64
	;; [unrolled: 1-line block ×3, first 2 shown]
	v_pk_add_f32 v[70:71], v[122:123], v[124:125]
	s_waitcnt vmcnt(7)
	v_mov_b32_e32 v84, v135
	v_pk_add_f32 v[70:71], v[70:71], v[126:127]
	v_mov_b32_e32 v87, v85
	v_pk_mul_f32 v[84:85], v[118:119], v[84:85] op_sel_hi:[1,0]
	v_pk_add_f32 v[70:71], v[70:71], v[86:87]
	s_waitcnt vmcnt(6)
	v_pk_fma_f32 v[86:87], v[118:119], v[134:135], v[84:85] op_sel:[0,0,1] op_sel_hi:[1,1,0] neg_lo:[0,0,1] neg_hi:[0,0,1]
	v_pk_fma_f32 v[84:85], v[118:119], v[134:135], v[84:85] op_sel:[0,0,1] op_sel_hi:[1,0,0]
	v_mov_b32_e32 v84, v133
	v_mov_b32_e32 v87, v85
	s_waitcnt lgkmcnt(2)
	v_pk_mul_f32 v[84:85], v[72:73], v[84:85] op_sel_hi:[1,0]
	v_pk_add_f32 v[70:71], v[70:71], v[86:87]
	v_pk_fma_f32 v[86:87], v[72:73], v[132:133], v[84:85] op_sel:[0,0,1] op_sel_hi:[1,1,0] neg_lo:[0,0,1] neg_hi:[0,0,1]
	v_pk_fma_f32 v[72:73], v[72:73], v[132:133], v[84:85] op_sel:[0,0,1] op_sel_hi:[1,0,0]
	v_mov_b32_e32 v72, v131
	v_mov_b32_e32 v87, v73
	v_pk_mul_f32 v[72:73], v[74:75], v[72:73] op_sel_hi:[1,0]
	v_pk_fma_f32 v[84:85], v[74:75], v[130:131], v[72:73] op_sel:[0,0,1] op_sel_hi:[1,1,0] neg_lo:[0,0,1] neg_hi:[0,0,1]
	v_pk_fma_f32 v[72:73], v[74:75], v[130:131], v[72:73] op_sel:[0,0,1] op_sel_hi:[1,0,0]
	v_mov_b32_e32 v72, v129
	v_mov_b32_e32 v85, v73
	s_waitcnt lgkmcnt(1)
	v_pk_mul_f32 v[72:73], v[76:77], v[72:73] op_sel_hi:[1,0]
	v_pk_fma_f32 v[74:75], v[76:77], v[128:129], v[72:73] op_sel:[0,0,1] op_sel_hi:[1,1,0] neg_lo:[0,0,1] neg_hi:[0,0,1]
	v_pk_fma_f32 v[72:73], v[76:77], v[128:129], v[72:73] op_sel:[0,0,1] op_sel_hi:[1,0,0]
	v_pk_add_f32 v[70:71], v[70:71], v[86:87]
	s_waitcnt vmcnt(1)
	v_mov_b32_e32 v72, v141
	v_pk_add_f32 v[70:71], v[70:71], v[84:85]
	v_mov_b32_e32 v75, v73
	v_pk_mul_f32 v[72:73], v[78:79], v[72:73] op_sel_hi:[1,0]
	v_pk_add_f32 v[70:71], v[70:71], v[74:75]
	s_waitcnt vmcnt(0)
	v_pk_fma_f32 v[74:75], v[78:79], v[140:141], v[72:73] op_sel:[0,0,1] op_sel_hi:[1,1,0] neg_lo:[0,0,1] neg_hi:[0,0,1]
	v_pk_fma_f32 v[72:73], v[78:79], v[140:141], v[72:73] op_sel:[0,0,1] op_sel_hi:[1,0,0]
	v_mov_b32_e32 v72, v139
	v_mov_b32_e32 v75, v73
	s_waitcnt lgkmcnt(0)
	v_pk_mul_f32 v[72:73], v[80:81], v[72:73] op_sel_hi:[1,0]
	v_pk_add_f32 v[70:71], v[70:71], v[74:75]
	v_pk_fma_f32 v[74:75], v[80:81], v[138:139], v[72:73] op_sel:[0,0,1] op_sel_hi:[1,1,0] neg_lo:[0,0,1] neg_hi:[0,0,1]
	v_pk_fma_f32 v[72:73], v[80:81], v[138:139], v[72:73] op_sel:[0,0,1] op_sel_hi:[1,0,0]
	v_mov_b32_e32 v72, v137
	v_mov_b32_e32 v75, v73
	v_pk_mul_f32 v[72:73], v[82:83], v[72:73] op_sel_hi:[1,0]
	v_pk_add_f32 v[70:71], v[70:71], v[74:75]
	v_pk_fma_f32 v[74:75], v[82:83], v[136:137], v[72:73] op_sel:[0,0,1] op_sel_hi:[1,1,0] neg_lo:[0,0,1] neg_hi:[0,0,1]
	v_pk_fma_f32 v[72:73], v[82:83], v[136:137], v[72:73] op_sel:[0,0,1] op_sel_hi:[1,0,0]
	v_mov_b32_e32 v75, v73
	v_pk_add_f32 v[70:71], v[70:71], v[74:75]
	v_pk_add_f32 v[68:69], v[68:69], v[70:71] neg_lo:[0,1] neg_hi:[0,1]
	buffer_store_dword v69, off, s[0:3], 0 offset:20
	buffer_store_dword v68, off, s[0:3], 0 offset:16
	s_and_saveexec_b64 s[4:5], vcc
	s_cbranch_execz .LBB96_209
; %bb.208:
	buffer_load_dword v68, off, s[0:3], 0 offset:8
	buffer_load_dword v69, off, s[0:3], 0 offset:12
	v_mov_b32_e32 v70, 0
	buffer_store_dword v70, off, s[0:3], 0 offset:8
	buffer_store_dword v70, off, s[0:3], 0 offset:12
	s_waitcnt vmcnt(2)
	ds_write_b64 v1, v[68:69]
.LBB96_209:
	s_or_b64 exec, exec, s[4:5]
	s_waitcnt lgkmcnt(0)
	; wave barrier
	s_waitcnt lgkmcnt(0)
	buffer_load_dword v71, off, s[0:3], 0 offset:20
	buffer_load_dword v120, off, s[0:3], 0 offset:28
	;; [unrolled: 1-line block ×48, first 2 shown]
	v_mov_b32_e32 v70, 0
	ds_read_b128 v[72:75], v70 offset:288
	ds_read_b128 v[76:79], v70 offset:304
	;; [unrolled: 1-line block ×6, first 2 shown]
	v_cmp_ne_u32_e32 vcc, 0, v0
	s_waitcnt vmcnt(47) lgkmcnt(5)
	v_mul_f32_e32 v96, v72, v71
	s_waitcnt vmcnt(46)
	v_mul_f32_e32 v97, v74, v120
	s_waitcnt vmcnt(45) lgkmcnt(4)
	v_mul_f32_e32 v98, v76, v122
	s_waitcnt vmcnt(44)
	v_mul_f32_e32 v99, v78, v124
	;; [unrolled: 4-line block ×6, first 2 shown]
	s_waitcnt vmcnt(35)
	v_fmac_f32_e32 v96, v73, v150
	s_waitcnt vmcnt(34)
	v_fmac_f32_e32 v97, v75, v151
	v_add_f32_e32 v96, 0, v96
	s_waitcnt vmcnt(33)
	v_fmac_f32_e32 v98, v77, v152
	v_add_f32_e32 v96, v96, v97
	;; [unrolled: 3-line block ×8, first 2 shown]
	v_add_f32_e32 v100, v96, v104
	ds_read_b128 v[96:99], v70 offset:384
	s_waitcnt vmcnt(26)
	v_fmac_f32_e32 v105, v91, v159
	s_waitcnt vmcnt(25)
	v_fmac_f32_e32 v106, v93, v160
	v_add_f32_e32 v100, v100, v105
	s_waitcnt vmcnt(24)
	v_fmac_f32_e32 v107, v95, v161
	v_add_f32_e32 v100, v100, v106
	v_add_f32_e32 v104, v100, v107
	ds_read_b128 v[100:103], v70 offset:400
	s_waitcnt vmcnt(23) lgkmcnt(1)
	v_mul_f32_e32 v105, v96, v162
	s_waitcnt vmcnt(22)
	v_fmac_f32_e32 v105, v97, v163
	v_add_f32_e32 v104, v104, v105
	s_waitcnt vmcnt(21)
	v_mul_f32_e32 v105, v98, v164
	s_waitcnt vmcnt(20)
	v_fmac_f32_e32 v105, v99, v165
	v_add_f32_e32 v104, v104, v105
	s_waitcnt vmcnt(19) lgkmcnt(0)
	v_mul_f32_e32 v105, v100, v166
	s_waitcnt vmcnt(18)
	v_fmac_f32_e32 v105, v101, v167
	v_add_f32_e32 v108, v104, v105
	ds_read_b128 v[104:107], v70 offset:416
	s_waitcnt vmcnt(17)
	v_mul_f32_e32 v109, v102, v168
	s_waitcnt vmcnt(16)
	v_fmac_f32_e32 v109, v103, v169
	v_add_f32_e32 v112, v108, v109
	ds_read_b128 v[108:111], v70 offset:432
	s_waitcnt vmcnt(15) lgkmcnt(1)
	v_mul_f32_e32 v113, v104, v170
	s_waitcnt vmcnt(14)
	v_fmac_f32_e32 v113, v105, v171
	v_add_f32_e32 v112, v112, v113
	s_waitcnt vmcnt(13)
	v_mul_f32_e32 v113, v106, v172
	s_waitcnt vmcnt(12)
	v_fmac_f32_e32 v113, v107, v173
	v_add_f32_e32 v112, v112, v113
	s_waitcnt vmcnt(11) lgkmcnt(0)
	v_mul_f32_e32 v113, v108, v174
	s_waitcnt vmcnt(10)
	v_fmac_f32_e32 v113, v109, v175
	s_waitcnt vmcnt(9)
	v_mul_f32_e32 v117, v110, v176
	v_add_f32_e32 v116, v112, v113
	s_waitcnt vmcnt(8)
	v_fmac_f32_e32 v117, v111, v177
	ds_read_b128 v[112:115], v70 offset:448
	v_add_f32_e32 v121, v116, v117
	ds_read_b128 v[116:119], v70 offset:464
	buffer_load_dword v127, off, s[0:3], 0 offset:228
	buffer_load_dword v126, off, s[0:3], 0 offset:224
	buffer_load_dword v129, off, s[0:3], 0 offset:220
	buffer_load_dword v128, off, s[0:3], 0 offset:216
	buffer_load_dword v131, off, s[0:3], 0 offset:212
	buffer_load_dword v130, off, s[0:3], 0 offset:208
	buffer_load_dword v133, off, s[0:3], 0 offset:204
	buffer_load_dword v132, off, s[0:3], 0 offset:200
	buffer_load_dword v135, off, s[0:3], 0 offset:260
	buffer_load_dword v134, off, s[0:3], 0 offset:256
	buffer_load_dword v137, off, s[0:3], 0 offset:252
	buffer_load_dword v136, off, s[0:3], 0 offset:248
	buffer_load_dword v139, off, s[0:3], 0 offset:244
	buffer_load_dword v138, off, s[0:3], 0 offset:240
	buffer_load_dword v141, off, s[0:3], 0 offset:236
	buffer_load_dword v140, off, s[0:3], 0 offset:232
	v_mul_f32_e32 v71, v73, v71
	v_fma_f32 v71, v72, v150, -v71
	v_mul_f32_e32 v72, v75, v120
	v_add_f32_e32 v71, 0, v71
	v_fma_f32 v72, v74, v151, -v72
	v_add_f32_e32 v71, v71, v72
	v_mul_f32_e32 v72, v77, v122
	v_fma_f32 v72, v76, v152, -v72
	v_add_f32_e32 v71, v71, v72
	v_mul_f32_e32 v72, v79, v124
	;; [unrolled: 3-line block ×18, first 2 shown]
	v_fma_f32 v72, v110, v177, -v72
	s_waitcnt vmcnt(22) lgkmcnt(1)
	v_mul_f32_e32 v123, v112, v179
	v_add_f32_e32 v71, v71, v72
	v_mul_f32_e32 v72, v113, v179
	v_fmac_f32_e32 v123, v113, v178
	v_fma_f32 v72, v112, v178, -v72
	v_add_f32_e32 v121, v121, v123
	s_waitcnt vmcnt(19)
	v_mul_f32_e32 v123, v114, v180
	v_add_f32_e32 v120, v71, v72
	v_mul_f32_e32 v71, v115, v180
	s_waitcnt vmcnt(18)
	v_fmac_f32_e32 v123, v115, v181
	s_waitcnt vmcnt(17) lgkmcnt(0)
	v_mul_f32_e32 v125, v116, v182
	s_waitcnt vmcnt(9)
	v_mov_b32_e32 v88, v133
	v_pk_mul_f32 v[88:89], v[118:119], v[88:89] op_sel_hi:[1,0]
	v_fma_f32 v122, v114, v181, -v71
	v_mul_f32_e32 v71, v117, v182
	ds_read_b128 v[72:75], v70 offset:480
	ds_read_b128 v[76:79], v70 offset:496
	;; [unrolled: 1-line block ×3, first 2 shown]
	ds_read_b64 v[84:85], v70 offset:528
	s_waitcnt vmcnt(8)
	v_pk_fma_f32 v[90:91], v[118:119], v[132:133], v[88:89] op_sel:[0,0,1] op_sel_hi:[1,1,0] neg_lo:[0,0,1] neg_hi:[0,0,1]
	v_pk_fma_f32 v[88:89], v[118:119], v[132:133], v[88:89] op_sel:[0,0,1] op_sel_hi:[1,0,0]
	v_fmac_f32_e32 v125, v117, v183
	v_fma_f32 v124, v116, v183, -v71
	v_pk_add_f32 v[86:87], v[120:121], v[122:123]
	v_mov_b32_e32 v88, v131
	v_pk_add_f32 v[86:87], v[86:87], v[124:125]
	v_mov_b32_e32 v91, v89
	s_waitcnt lgkmcnt(3)
	v_pk_mul_f32 v[88:89], v[72:73], v[88:89] op_sel_hi:[1,0]
	v_pk_add_f32 v[86:87], v[86:87], v[90:91]
	v_pk_fma_f32 v[90:91], v[72:73], v[130:131], v[88:89] op_sel:[0,0,1] op_sel_hi:[1,1,0] neg_lo:[0,0,1] neg_hi:[0,0,1]
	v_pk_fma_f32 v[72:73], v[72:73], v[130:131], v[88:89] op_sel:[0,0,1] op_sel_hi:[1,0,0]
	v_mov_b32_e32 v91, v73
	v_pk_add_f32 v[72:73], v[86:87], v[90:91]
	v_mov_b32_e32 v86, v129
	v_pk_mul_f32 v[86:87], v[74:75], v[86:87] op_sel_hi:[1,0]
	v_pk_fma_f32 v[88:89], v[74:75], v[128:129], v[86:87] op_sel:[0,0,1] op_sel_hi:[1,1,0] neg_lo:[0,0,1] neg_hi:[0,0,1]
	v_pk_fma_f32 v[74:75], v[74:75], v[128:129], v[86:87] op_sel:[0,0,1] op_sel_hi:[1,0,0]
	v_mov_b32_e32 v74, v127
	v_mov_b32_e32 v89, v75
	s_waitcnt lgkmcnt(2)
	v_pk_mul_f32 v[74:75], v[76:77], v[74:75] op_sel_hi:[1,0]
	v_pk_fma_f32 v[86:87], v[76:77], v[126:127], v[74:75] op_sel:[0,0,1] op_sel_hi:[1,1,0] neg_lo:[0,0,1] neg_hi:[0,0,1]
	v_pk_fma_f32 v[74:75], v[76:77], v[126:127], v[74:75] op_sel:[0,0,1] op_sel_hi:[1,0,0]
	s_waitcnt vmcnt(1)
	v_mov_b32_e32 v74, v141
	v_mov_b32_e32 v87, v75
	v_pk_mul_f32 v[74:75], v[78:79], v[74:75] op_sel_hi:[1,0]
	s_waitcnt vmcnt(0)
	v_pk_fma_f32 v[76:77], v[78:79], v[140:141], v[74:75] op_sel:[0,0,1] op_sel_hi:[1,1,0] neg_lo:[0,0,1] neg_hi:[0,0,1]
	v_pk_fma_f32 v[74:75], v[78:79], v[140:141], v[74:75] op_sel:[0,0,1] op_sel_hi:[1,0,0]
	v_pk_add_f32 v[72:73], v[72:73], v[88:89]
	v_mov_b32_e32 v74, v139
	v_pk_add_f32 v[72:73], v[72:73], v[86:87]
	v_mov_b32_e32 v77, v75
	s_waitcnt lgkmcnt(1)
	v_pk_mul_f32 v[74:75], v[80:81], v[74:75] op_sel_hi:[1,0]
	v_pk_add_f32 v[72:73], v[72:73], v[76:77]
	v_pk_fma_f32 v[76:77], v[80:81], v[138:139], v[74:75] op_sel:[0,0,1] op_sel_hi:[1,1,0] neg_lo:[0,0,1] neg_hi:[0,0,1]
	v_pk_fma_f32 v[74:75], v[80:81], v[138:139], v[74:75] op_sel:[0,0,1] op_sel_hi:[1,0,0]
	v_mov_b32_e32 v74, v137
	v_mov_b32_e32 v77, v75
	v_pk_mul_f32 v[74:75], v[82:83], v[74:75] op_sel_hi:[1,0]
	v_pk_add_f32 v[72:73], v[72:73], v[76:77]
	v_pk_fma_f32 v[76:77], v[82:83], v[136:137], v[74:75] op_sel:[0,0,1] op_sel_hi:[1,1,0] neg_lo:[0,0,1] neg_hi:[0,0,1]
	v_pk_fma_f32 v[74:75], v[82:83], v[136:137], v[74:75] op_sel:[0,0,1] op_sel_hi:[1,0,0]
	v_mov_b32_e32 v74, v135
	v_mov_b32_e32 v77, v75
	s_waitcnt lgkmcnt(0)
	v_pk_mul_f32 v[74:75], v[84:85], v[74:75] op_sel_hi:[1,0]
	v_pk_add_f32 v[72:73], v[72:73], v[76:77]
	v_pk_fma_f32 v[76:77], v[84:85], v[134:135], v[74:75] op_sel:[0,0,1] op_sel_hi:[1,1,0] neg_lo:[0,0,1] neg_hi:[0,0,1]
	v_pk_fma_f32 v[74:75], v[84:85], v[134:135], v[74:75] op_sel:[0,0,1] op_sel_hi:[1,0,0]
	v_mov_b32_e32 v77, v75
	v_pk_add_f32 v[72:73], v[72:73], v[76:77]
	v_pk_add_f32 v[68:69], v[68:69], v[72:73] neg_lo:[0,1] neg_hi:[0,1]
	buffer_store_dword v69, off, s[0:3], 0 offset:12
	buffer_store_dword v68, off, s[0:3], 0 offset:8
	s_and_saveexec_b64 s[4:5], vcc
	s_cbranch_execz .LBB96_211
; %bb.210:
	buffer_load_dword v68, off, s[0:3], 0
	buffer_load_dword v69, off, s[0:3], 0 offset:4
	s_waitcnt vmcnt(0)
	ds_write_b64 v1, v[68:69]
	buffer_store_dword v70, off, s[0:3], 0
	buffer_store_dword v70, off, s[0:3], 0 offset:4
.LBB96_211:
	s_or_b64 exec, exec, s[4:5]
	s_waitcnt lgkmcnt(0)
	; wave barrier
	s_waitcnt lgkmcnt(0)
	buffer_load_dword v68, off, s[0:3], 0 offset:12
	buffer_load_dword v69, off, s[0:3], 0 offset:20
	;; [unrolled: 1-line block ×40, first 2 shown]
	buffer_load_dword v0, off, s[0:3], 0
	buffer_load_dword v1, off, s[0:3], 0 offset:4
	buffer_load_dword v176, off, s[0:3], 0 offset:172
	;; [unrolled: 1-line block ×7, first 2 shown]
	ds_read2_b64 v[72:75], v70 offset0:35 offset1:36
	ds_read2_b64 v[76:79], v70 offset0:37 offset1:38
	;; [unrolled: 1-line block ×6, first 2 shown]
	buffer_load_dword v182, off, s[0:3], 0 offset:192
	buffer_load_dword v183, off, s[0:3], 0 offset:196
	s_and_b64 vcc, exec, s[16:17]
	s_waitcnt vmcnt(49) lgkmcnt(5)
	v_mul_f32_e32 v96, v72, v68
	s_waitcnt vmcnt(48)
	v_mul_f32_e32 v97, v74, v69
	s_waitcnt vmcnt(47) lgkmcnt(4)
	v_mul_f32_e32 v98, v76, v71
	s_waitcnt vmcnt(46)
	v_mul_f32_e32 v99, v78, v120
	;; [unrolled: 4-line block ×6, first 2 shown]
	s_waitcnt vmcnt(37)
	v_fmac_f32_e32 v96, v73, v148
	s_waitcnt vmcnt(36)
	v_fmac_f32_e32 v97, v75, v149
	v_add_f32_e32 v96, 0, v96
	s_waitcnt vmcnt(35)
	v_fmac_f32_e32 v98, v77, v150
	v_add_f32_e32 v96, v96, v97
	;; [unrolled: 3-line block ×9, first 2 shown]
	v_add_f32_e32 v100, v96, v105
	ds_read2_b64 v[96:99], v70 offset0:47 offset1:48
	s_waitcnt vmcnt(27)
	v_fmac_f32_e32 v106, v93, v158
	v_add_f32_e32 v100, v100, v106
	s_waitcnt vmcnt(26)
	v_fmac_f32_e32 v107, v95, v159
	v_add_f32_e32 v104, v100, v107
	ds_read2_b64 v[100:103], v70 offset0:49 offset1:50
	s_waitcnt vmcnt(25) lgkmcnt(1)
	v_mul_f32_e32 v105, v96, v160
	s_waitcnt vmcnt(24)
	v_fmac_f32_e32 v105, v97, v161
	v_add_f32_e32 v104, v104, v105
	s_waitcnt vmcnt(23)
	v_mul_f32_e32 v105, v98, v162
	s_waitcnt vmcnt(22)
	v_fmac_f32_e32 v105, v99, v163
	v_add_f32_e32 v104, v104, v105
	s_waitcnt vmcnt(21) lgkmcnt(0)
	v_mul_f32_e32 v105, v100, v164
	s_waitcnt vmcnt(20)
	v_fmac_f32_e32 v105, v101, v165
	v_add_f32_e32 v108, v104, v105
	ds_read2_b64 v[104:107], v70 offset0:51 offset1:52
	s_waitcnt vmcnt(19)
	v_mul_f32_e32 v109, v102, v166
	s_waitcnt vmcnt(18)
	v_fmac_f32_e32 v109, v103, v167
	v_add_f32_e32 v112, v108, v109
	ds_read2_b64 v[108:111], v70 offset0:53 offset1:54
	s_waitcnt vmcnt(17) lgkmcnt(1)
	v_mul_f32_e32 v113, v104, v168
	s_waitcnt vmcnt(16)
	v_fmac_f32_e32 v113, v105, v169
	v_add_f32_e32 v112, v112, v113
	s_waitcnt vmcnt(15)
	v_mul_f32_e32 v113, v106, v170
	s_waitcnt vmcnt(14)
	v_fmac_f32_e32 v113, v107, v171
	v_add_f32_e32 v112, v112, v113
	s_waitcnt vmcnt(13) lgkmcnt(0)
	v_mul_f32_e32 v113, v108, v172
	s_waitcnt vmcnt(12)
	v_fmac_f32_e32 v113, v109, v173
	s_waitcnt vmcnt(11)
	v_mul_f32_e32 v117, v110, v174
	v_add_f32_e32 v116, v112, v113
	s_waitcnt vmcnt(10)
	v_fmac_f32_e32 v117, v111, v175
	ds_read2_b64 v[112:115], v70 offset0:55 offset1:56
	v_add_f32_e32 v121, v116, v117
	ds_read2_b64 v[116:119], v70 offset0:57 offset1:58
	buffer_load_dword v125, off, s[0:3], 0 offset:220
	buffer_load_dword v124, off, s[0:3], 0 offset:216
	;; [unrolled: 1-line block ×16, first 2 shown]
	v_mul_f32_e32 v68, v73, v68
	v_fma_f32 v68, v72, v148, -v68
	v_mul_f32_e32 v69, v75, v69
	v_add_f32_e32 v68, 0, v68
	v_fma_f32 v69, v74, v149, -v69
	v_add_f32_e32 v68, v68, v69
	v_mul_f32_e32 v69, v77, v71
	v_fma_f32 v69, v76, v150, -v69
	v_add_f32_e32 v68, v68, v69
	v_mul_f32_e32 v69, v79, v120
	;; [unrolled: 3-line block ×18, first 2 shown]
	v_fma_f32 v69, v110, v175, -v69
	v_add_f32_e32 v68, v68, v69
	s_waitcnt vmcnt(23) lgkmcnt(1)
	v_mul_f32_e32 v69, v113, v176
	s_waitcnt vmcnt(22)
	v_fma_f32 v69, v112, v177, -v69
	v_add_f32_e32 v68, v68, v69
	s_waitcnt vmcnt(20)
	v_mul_f32_e32 v69, v115, v179
	v_mul_f32_e32 v123, v112, v176
	v_fma_f32 v69, v114, v178, -v69
	v_fmac_f32_e32 v123, v113, v177
	v_add_f32_e32 v120, v68, v69
	s_waitcnt vmcnt(18) lgkmcnt(0)
	v_mul_f32_e32 v68, v117, v181
	v_add_f32_e32 v121, v121, v123
	v_mul_f32_e32 v123, v114, v179
	v_fma_f32 v122, v116, v180, -v68
	s_waitcnt vmcnt(16)
	v_mul_f32_e32 v68, v119, v183
	v_fmac_f32_e32 v123, v115, v178
	v_fma_f32 v130, v118, v182, -v68
	ds_read2_b64 v[72:75], v70 offset0:59 offset1:60
	ds_read2_b64 v[76:79], v70 offset0:61 offset1:62
	;; [unrolled: 1-line block ×4, first 2 shown]
	v_add_f32_e32 v121, v121, v123
	v_mul_f32_e32 v123, v116, v181
	s_waitcnt vmcnt(11)
	v_mov_b32_e32 v86, v129
	v_fmac_f32_e32 v123, v117, v180
	v_mul_f32_e32 v131, v118, v183
	s_waitcnt lgkmcnt(3)
	v_pk_mul_f32 v[86:87], v[72:73], v[86:87] op_sel_hi:[1,0]
	v_fmac_f32_e32 v131, v119, v182
	v_pk_add_f32 v[84:85], v[120:121], v[122:123]
	s_waitcnt vmcnt(10)
	v_pk_fma_f32 v[88:89], v[72:73], v[128:129], v[86:87] op_sel:[0,0,1] op_sel_hi:[1,1,0] neg_lo:[0,0,1] neg_hi:[0,0,1]
	v_pk_fma_f32 v[72:73], v[72:73], v[128:129], v[86:87] op_sel:[0,0,1] op_sel_hi:[1,0,0]
	v_pk_add_f32 v[84:85], v[84:85], v[130:131]
	v_mov_b32_e32 v89, v73
	v_pk_add_f32 v[72:73], v[84:85], v[88:89]
	v_mov_b32_e32 v84, v127
	v_pk_mul_f32 v[84:85], v[74:75], v[84:85] op_sel_hi:[1,0]
	v_pk_fma_f32 v[86:87], v[74:75], v[126:127], v[84:85] op_sel:[0,0,1] op_sel_hi:[1,1,0] neg_lo:[0,0,1] neg_hi:[0,0,1]
	v_pk_fma_f32 v[74:75], v[74:75], v[126:127], v[84:85] op_sel:[0,0,1] op_sel_hi:[1,0,0]
	v_mov_b32_e32 v74, v125
	v_mov_b32_e32 v87, v75
	s_waitcnt lgkmcnt(2)
	v_pk_mul_f32 v[74:75], v[76:77], v[74:75] op_sel_hi:[1,0]
	v_pk_fma_f32 v[84:85], v[76:77], v[124:125], v[74:75] op_sel:[0,0,1] op_sel_hi:[1,1,0] neg_lo:[0,0,1] neg_hi:[0,0,1]
	v_pk_fma_f32 v[74:75], v[76:77], v[124:125], v[74:75] op_sel:[0,0,1] op_sel_hi:[1,0,0]
	s_waitcnt vmcnt(3)
	v_mov_b32_e32 v74, v139
	v_mov_b32_e32 v85, v75
	v_pk_mul_f32 v[74:75], v[78:79], v[74:75] op_sel_hi:[1,0]
	s_waitcnt vmcnt(2)
	v_pk_fma_f32 v[76:77], v[78:79], v[138:139], v[74:75] op_sel:[0,0,1] op_sel_hi:[1,1,0] neg_lo:[0,0,1] neg_hi:[0,0,1]
	v_pk_fma_f32 v[74:75], v[78:79], v[138:139], v[74:75] op_sel:[0,0,1] op_sel_hi:[1,0,0]
	v_pk_add_f32 v[72:73], v[72:73], v[86:87]
	v_mov_b32_e32 v74, v137
	v_pk_add_f32 v[72:73], v[72:73], v[84:85]
	v_mov_b32_e32 v77, v75
	s_waitcnt lgkmcnt(1)
	v_pk_mul_f32 v[74:75], v[80:81], v[74:75] op_sel_hi:[1,0]
	v_pk_add_f32 v[72:73], v[72:73], v[76:77]
	v_pk_fma_f32 v[76:77], v[80:81], v[136:137], v[74:75] op_sel:[0,0,1] op_sel_hi:[1,1,0] neg_lo:[0,0,1] neg_hi:[0,0,1]
	v_pk_fma_f32 v[74:75], v[80:81], v[136:137], v[74:75] op_sel:[0,0,1] op_sel_hi:[1,0,0]
	v_mov_b32_e32 v74, v135
	v_mov_b32_e32 v77, v75
	v_pk_mul_f32 v[74:75], v[82:83], v[74:75] op_sel_hi:[1,0]
	v_pk_add_f32 v[72:73], v[72:73], v[76:77]
	v_pk_fma_f32 v[76:77], v[82:83], v[134:135], v[74:75] op_sel:[0,0,1] op_sel_hi:[1,1,0] neg_lo:[0,0,1] neg_hi:[0,0,1]
	v_pk_fma_f32 v[74:75], v[82:83], v[134:135], v[74:75] op_sel:[0,0,1] op_sel_hi:[1,0,0]
	v_mov_b32_e32 v74, v133
	v_mov_b32_e32 v77, v75
	s_waitcnt lgkmcnt(0)
	v_pk_mul_f32 v[74:75], v[68:69], v[74:75] op_sel_hi:[1,0]
	v_pk_add_f32 v[72:73], v[72:73], v[76:77]
	v_pk_fma_f32 v[76:77], v[68:69], v[132:133], v[74:75] op_sel:[0,0,1] op_sel_hi:[1,1,0] neg_lo:[0,0,1] neg_hi:[0,0,1]
	v_pk_fma_f32 v[68:69], v[68:69], v[132:133], v[74:75] op_sel:[0,0,1] op_sel_hi:[1,0,0]
	v_mov_b32_e32 v77, v69
	v_pk_add_f32 v[68:69], v[72:73], v[76:77]
	s_waitcnt vmcnt(1)
	v_mov_b32_e32 v72, v141
	v_pk_mul_f32 v[72:73], v[70:71], v[72:73] op_sel_hi:[1,0]
	s_waitcnt vmcnt(0)
	v_pk_fma_f32 v[74:75], v[70:71], v[140:141], v[72:73] op_sel:[0,0,1] op_sel_hi:[1,1,0] neg_lo:[0,0,1] neg_hi:[0,0,1]
	v_pk_fma_f32 v[70:71], v[70:71], v[140:141], v[72:73] op_sel:[0,0,1] op_sel_hi:[1,0,0]
	v_mov_b32_e32 v75, v71
	v_pk_add_f32 v[68:69], v[68:69], v[74:75]
	v_pk_add_f32 v[0:1], v[0:1], v[68:69] neg_lo:[0,1] neg_hi:[0,1]
	buffer_store_dword v1, off, s[0:3], 0 offset:4
	buffer_store_dword v0, off, s[0:3], 0
	s_cbranch_vccz .LBB96_277
; %bb.212:
	v_pk_mov_b32 v[0:1], s[10:11], s[10:11] op_sel:[0,1]
	flat_load_dword v0, v[0:1] offset:124
	s_waitcnt vmcnt(0) lgkmcnt(0)
	v_add_u32_e32 v0, -1, v0
	v_cmp_ne_u32_e32 vcc, 31, v0
	s_and_saveexec_b64 s[4:5], vcc
	s_cbranch_execz .LBB96_214
; %bb.213:
	v_mov_b32_e32 v1, 0
	v_lshl_add_u32 v0, v0, 3, v1
	buffer_load_dword v1, v0, s[0:3], 0 offen
	buffer_load_dword v68, v0, s[0:3], 0 offen offset:4
	buffer_load_dword v69, off, s[0:3], 0 offset:248
	buffer_load_dword v70, off, s[0:3], 0 offset:252
	s_waitcnt vmcnt(3)
	buffer_store_dword v1, off, s[0:3], 0 offset:248
	s_waitcnt vmcnt(3)
	buffer_store_dword v68, off, s[0:3], 0 offset:252
	s_waitcnt vmcnt(3)
	buffer_store_dword v69, v0, s[0:3], 0 offen
	s_waitcnt vmcnt(3)
	buffer_store_dword v70, v0, s[0:3], 0 offen offset:4
.LBB96_214:
	s_or_b64 exec, exec, s[4:5]
	v_pk_mov_b32 v[0:1], s[10:11], s[10:11] op_sel:[0,1]
	flat_load_dword v0, v[0:1] offset:120
	s_waitcnt vmcnt(0) lgkmcnt(0)
	v_add_u32_e32 v0, -1, v0
	v_cmp_ne_u32_e32 vcc, 30, v0
	s_and_saveexec_b64 s[4:5], vcc
	s_cbranch_execz .LBB96_216
; %bb.215:
	v_mov_b32_e32 v1, 0
	v_lshl_add_u32 v0, v0, 3, v1
	buffer_load_dword v1, v0, s[0:3], 0 offen
	buffer_load_dword v68, v0, s[0:3], 0 offen offset:4
	buffer_load_dword v69, off, s[0:3], 0 offset:244
	buffer_load_dword v70, off, s[0:3], 0 offset:240
	s_waitcnt vmcnt(3)
	buffer_store_dword v1, off, s[0:3], 0 offset:240
	s_waitcnt vmcnt(3)
	buffer_store_dword v68, off, s[0:3], 0 offset:244
	s_waitcnt vmcnt(3)
	buffer_store_dword v69, v0, s[0:3], 0 offen offset:4
	s_waitcnt vmcnt(3)
	buffer_store_dword v70, v0, s[0:3], 0 offen
.LBB96_216:
	s_or_b64 exec, exec, s[4:5]
	v_pk_mov_b32 v[0:1], s[10:11], s[10:11] op_sel:[0,1]
	flat_load_dword v0, v[0:1] offset:116
	s_waitcnt vmcnt(0) lgkmcnt(0)
	v_add_u32_e32 v0, -1, v0
	v_cmp_ne_u32_e32 vcc, 29, v0
	s_and_saveexec_b64 s[4:5], vcc
	s_cbranch_execz .LBB96_218
; %bb.217:
	v_mov_b32_e32 v1, 0
	v_lshl_add_u32 v0, v0, 3, v1
	buffer_load_dword v1, v0, s[0:3], 0 offen
	buffer_load_dword v68, v0, s[0:3], 0 offen offset:4
	buffer_load_dword v69, off, s[0:3], 0 offset:232
	buffer_load_dword v70, off, s[0:3], 0 offset:236
	s_waitcnt vmcnt(3)
	buffer_store_dword v1, off, s[0:3], 0 offset:232
	s_waitcnt vmcnt(3)
	buffer_store_dword v68, off, s[0:3], 0 offset:236
	s_waitcnt vmcnt(3)
	buffer_store_dword v69, v0, s[0:3], 0 offen
	s_waitcnt vmcnt(3)
	buffer_store_dword v70, v0, s[0:3], 0 offen offset:4
.LBB96_218:
	s_or_b64 exec, exec, s[4:5]
	v_pk_mov_b32 v[0:1], s[10:11], s[10:11] op_sel:[0,1]
	flat_load_dword v0, v[0:1] offset:112
	s_waitcnt vmcnt(0) lgkmcnt(0)
	v_add_u32_e32 v0, -1, v0
	v_cmp_ne_u32_e32 vcc, 28, v0
	s_and_saveexec_b64 s[4:5], vcc
	s_cbranch_execz .LBB96_220
; %bb.219:
	v_mov_b32_e32 v1, 0
	v_lshl_add_u32 v0, v0, 3, v1
	buffer_load_dword v1, v0, s[0:3], 0 offen
	buffer_load_dword v68, v0, s[0:3], 0 offen offset:4
	buffer_load_dword v69, off, s[0:3], 0 offset:228
	buffer_load_dword v70, off, s[0:3], 0 offset:224
	s_waitcnt vmcnt(3)
	buffer_store_dword v1, off, s[0:3], 0 offset:224
	s_waitcnt vmcnt(3)
	buffer_store_dword v68, off, s[0:3], 0 offset:228
	s_waitcnt vmcnt(3)
	buffer_store_dword v69, v0, s[0:3], 0 offen offset:4
	s_waitcnt vmcnt(3)
	buffer_store_dword v70, v0, s[0:3], 0 offen
.LBB96_220:
	s_or_b64 exec, exec, s[4:5]
	;; [unrolled: 48-line block ×15, first 2 shown]
	v_pk_mov_b32 v[0:1], s[10:11], s[10:11] op_sel:[0,1]
	flat_load_dword v0, v[0:1] offset:4
	s_waitcnt vmcnt(0) lgkmcnt(0)
	v_add_u32_e32 v0, -1, v0
	v_cmp_ne_u32_e32 vcc, 1, v0
	s_and_saveexec_b64 s[4:5], vcc
	s_cbranch_execz .LBB96_274
; %bb.273:
	v_mov_b32_e32 v1, 0
	v_lshl_add_u32 v0, v0, 3, v1
	buffer_load_dword v1, v0, s[0:3], 0 offen
	buffer_load_dword v68, v0, s[0:3], 0 offen offset:4
	buffer_load_dword v69, off, s[0:3], 0 offset:8
	buffer_load_dword v70, off, s[0:3], 0 offset:12
	s_waitcnt vmcnt(3)
	buffer_store_dword v1, off, s[0:3], 0 offset:8
	s_waitcnt vmcnt(3)
	buffer_store_dword v68, off, s[0:3], 0 offset:12
	s_waitcnt vmcnt(3)
	buffer_store_dword v69, v0, s[0:3], 0 offen
	s_waitcnt vmcnt(3)
	buffer_store_dword v70, v0, s[0:3], 0 offen offset:4
.LBB96_274:
	s_or_b64 exec, exec, s[4:5]
	v_pk_mov_b32 v[0:1], s[10:11], s[10:11] op_sel:[0,1]
	flat_load_dword v68, v[0:1]
	s_nop 0
	buffer_load_dword v0, off, s[0:3], 0
	buffer_load_dword v1, off, s[0:3], 0 offset:4
	s_waitcnt vmcnt(0) lgkmcnt(0)
	v_add_u32_e32 v68, -1, v68
	v_cmp_ne_u32_e32 vcc, 0, v68
	s_and_saveexec_b64 s[4:5], vcc
	s_cbranch_execz .LBB96_276
; %bb.275:
	v_mov_b32_e32 v69, 0
	v_lshl_add_u32 v68, v68, 3, v69
	buffer_load_dword v69, v68, s[0:3], 0 offen offset:4
	buffer_load_dword v70, v68, s[0:3], 0 offen
	s_waitcnt vmcnt(1)
	buffer_store_dword v69, off, s[0:3], 0 offset:4
	s_waitcnt vmcnt(1)
	buffer_store_dword v70, off, s[0:3], 0
	buffer_store_dword v1, v68, s[0:3], 0 offen offset:4
	buffer_store_dword v0, v68, s[0:3], 0 offen
	buffer_load_dword v0, off, s[0:3], 0
	s_nop 0
	buffer_load_dword v1, off, s[0:3], 0 offset:4
.LBB96_276:
	s_or_b64 exec, exec, s[4:5]
.LBB96_277:
	buffer_load_dword v68, off, s[0:3], 0 offset:8
	buffer_load_dword v69, off, s[0:3], 0 offset:12
	;; [unrolled: 1-line block ×64, first 2 shown]
	s_waitcnt vmcnt(62)
	global_store_dwordx2 v[58:59], v[0:1], off
	global_store_dwordx2 v[60:61], v[68:69], off
	s_waitcnt vmcnt(62)
	global_store_dwordx2 v[2:3], v[70:71], off
	s_waitcnt vmcnt(61)
	;; [unrolled: 2-line block ×31, first 2 shown]
	global_store_dwordx2 v[66:67], v[130:131], off
	s_endpgm
	.section	.rodata,"a",@progbits
	.p2align	6, 0x0
	.amdhsa_kernel _ZN9rocsolver6v33100L18getri_kernel_smallILi33E19rocblas_complex_numIfEPKPS3_EEvT1_iilPiilS8_bb
		.amdhsa_group_segment_fixed_size 536
		.amdhsa_private_segment_fixed_size 272
		.amdhsa_kernarg_size 60
		.amdhsa_user_sgpr_count 8
		.amdhsa_user_sgpr_private_segment_buffer 1
		.amdhsa_user_sgpr_dispatch_ptr 0
		.amdhsa_user_sgpr_queue_ptr 0
		.amdhsa_user_sgpr_kernarg_segment_ptr 1
		.amdhsa_user_sgpr_dispatch_id 0
		.amdhsa_user_sgpr_flat_scratch_init 1
		.amdhsa_user_sgpr_kernarg_preload_length 0
		.amdhsa_user_sgpr_kernarg_preload_offset 0
		.amdhsa_user_sgpr_private_segment_size 0
		.amdhsa_uses_dynamic_stack 0
		.amdhsa_system_sgpr_private_segment_wavefront_offset 1
		.amdhsa_system_sgpr_workgroup_id_x 1
		.amdhsa_system_sgpr_workgroup_id_y 0
		.amdhsa_system_sgpr_workgroup_id_z 0
		.amdhsa_system_sgpr_workgroup_info 0
		.amdhsa_system_vgpr_workitem_id 0
		.amdhsa_next_free_vgpr 184
		.amdhsa_next_free_sgpr 22
		.amdhsa_accum_offset 184
		.amdhsa_reserve_vcc 1
		.amdhsa_reserve_flat_scratch 1
		.amdhsa_float_round_mode_32 0
		.amdhsa_float_round_mode_16_64 0
		.amdhsa_float_denorm_mode_32 3
		.amdhsa_float_denorm_mode_16_64 3
		.amdhsa_dx10_clamp 1
		.amdhsa_ieee_mode 1
		.amdhsa_fp16_overflow 0
		.amdhsa_tg_split 0
		.amdhsa_exception_fp_ieee_invalid_op 0
		.amdhsa_exception_fp_denorm_src 0
		.amdhsa_exception_fp_ieee_div_zero 0
		.amdhsa_exception_fp_ieee_overflow 0
		.amdhsa_exception_fp_ieee_underflow 0
		.amdhsa_exception_fp_ieee_inexact 0
		.amdhsa_exception_int_div_zero 0
	.end_amdhsa_kernel
	.section	.text._ZN9rocsolver6v33100L18getri_kernel_smallILi33E19rocblas_complex_numIfEPKPS3_EEvT1_iilPiilS8_bb,"axG",@progbits,_ZN9rocsolver6v33100L18getri_kernel_smallILi33E19rocblas_complex_numIfEPKPS3_EEvT1_iilPiilS8_bb,comdat
.Lfunc_end96:
	.size	_ZN9rocsolver6v33100L18getri_kernel_smallILi33E19rocblas_complex_numIfEPKPS3_EEvT1_iilPiilS8_bb, .Lfunc_end96-_ZN9rocsolver6v33100L18getri_kernel_smallILi33E19rocblas_complex_numIfEPKPS3_EEvT1_iilPiilS8_bb
                                        ; -- End function
	.section	.AMDGPU.csdata,"",@progbits
; Kernel info:
; codeLenInByte = 50496
; NumSgprs: 28
; NumVgprs: 184
; NumAgprs: 0
; TotalNumVgprs: 184
; ScratchSize: 272
; MemoryBound: 0
; FloatMode: 240
; IeeeMode: 1
; LDSByteSize: 536 bytes/workgroup (compile time only)
; SGPRBlocks: 3
; VGPRBlocks: 22
; NumSGPRsForWavesPerEU: 28
; NumVGPRsForWavesPerEU: 184
; AccumOffset: 184
; Occupancy: 2
; WaveLimiterHint : 1
; COMPUTE_PGM_RSRC2:SCRATCH_EN: 1
; COMPUTE_PGM_RSRC2:USER_SGPR: 8
; COMPUTE_PGM_RSRC2:TRAP_HANDLER: 0
; COMPUTE_PGM_RSRC2:TGID_X_EN: 1
; COMPUTE_PGM_RSRC2:TGID_Y_EN: 0
; COMPUTE_PGM_RSRC2:TGID_Z_EN: 0
; COMPUTE_PGM_RSRC2:TIDIG_COMP_CNT: 0
; COMPUTE_PGM_RSRC3_GFX90A:ACCUM_OFFSET: 45
; COMPUTE_PGM_RSRC3_GFX90A:TG_SPLIT: 0
	.section	.text._ZN9rocsolver6v33100L18getri_kernel_smallILi34E19rocblas_complex_numIfEPKPS3_EEvT1_iilPiilS8_bb,"axG",@progbits,_ZN9rocsolver6v33100L18getri_kernel_smallILi34E19rocblas_complex_numIfEPKPS3_EEvT1_iilPiilS8_bb,comdat
	.globl	_ZN9rocsolver6v33100L18getri_kernel_smallILi34E19rocblas_complex_numIfEPKPS3_EEvT1_iilPiilS8_bb ; -- Begin function _ZN9rocsolver6v33100L18getri_kernel_smallILi34E19rocblas_complex_numIfEPKPS3_EEvT1_iilPiilS8_bb
	.p2align	8
	.type	_ZN9rocsolver6v33100L18getri_kernel_smallILi34E19rocblas_complex_numIfEPKPS3_EEvT1_iilPiilS8_bb,@function
_ZN9rocsolver6v33100L18getri_kernel_smallILi34E19rocblas_complex_numIfEPKPS3_EEvT1_iilPiilS8_bb: ; @_ZN9rocsolver6v33100L18getri_kernel_smallILi34E19rocblas_complex_numIfEPKPS3_EEvT1_iilPiilS8_bb
; %bb.0:
	s_add_u32 flat_scratch_lo, s6, s9
	s_addc_u32 flat_scratch_hi, s7, 0
	s_add_u32 s0, s0, s9
	s_addc_u32 s1, s1, 0
	v_cmp_gt_u32_e32 vcc, 34, v0
	s_and_saveexec_b64 s[6:7], vcc
	s_cbranch_execz .LBB97_150
; %bb.1:
	s_load_dword s20, s[4:5], 0x38
	s_load_dwordx2 s[6:7], s[4:5], 0x0
	s_load_dwordx4 s[12:15], s[4:5], 0x28
	s_waitcnt lgkmcnt(0)
	s_bitcmp1_b32 s20, 8
	s_cselect_b64 s[16:17], -1, 0
	s_ashr_i32 s9, s8, 31
	s_lshl_b64 s[10:11], s[8:9], 3
	s_add_u32 s6, s6, s10
	s_addc_u32 s7, s7, s11
	s_load_dwordx2 s[18:19], s[6:7], 0x0
	s_bfe_u32 s6, s20, 0x10008
	s_cmp_eq_u32 s6, 0
                                        ; implicit-def: $sgpr10_sgpr11
	s_cbranch_scc1 .LBB97_3
; %bb.2:
	s_load_dword s6, s[4:5], 0x20
	s_load_dwordx2 s[10:11], s[4:5], 0x18
	s_mul_i32 s7, s8, s13
	s_mul_hi_u32 s13, s8, s12
	s_add_i32 s13, s13, s7
	s_mul_i32 s21, s9, s12
	s_add_i32 s13, s13, s21
	s_mul_i32 s12, s8, s12
	s_waitcnt lgkmcnt(0)
	s_ashr_i32 s7, s6, 31
	s_lshl_b64 s[12:13], s[12:13], 2
	s_add_u32 s10, s10, s12
	s_addc_u32 s11, s11, s13
	s_lshl_b64 s[6:7], s[6:7], 2
	s_add_u32 s10, s10, s6
	s_addc_u32 s11, s11, s7
.LBB97_3:
	s_load_dwordx2 s[6:7], s[4:5], 0x8
	v_lshlrev_b32_e32 v74, 3, v0
	s_waitcnt lgkmcnt(0)
	s_ashr_i32 s5, s6, 31
	s_mov_b32 s4, s6
	s_lshl_b64 s[4:5], s[4:5], 3
	s_add_u32 s4, s18, s4
	s_addc_u32 s5, s19, s5
	s_add_i32 s6, s7, s7
	v_add_u32_e32 v4, s6, v0
	v_ashrrev_i32_e32 v5, 31, v4
	v_lshlrev_b64 v[2:3], 3, v[4:5]
	v_add_u32_e32 v6, s7, v4
	v_mov_b32_e32 v1, s5
	v_add_co_u32_e32 v2, vcc, s4, v2
	v_ashrrev_i32_e32 v7, 31, v6
	v_addc_co_u32_e32 v3, vcc, v1, v3, vcc
	v_lshlrev_b64 v[4:5], 3, v[6:7]
	v_add_u32_e32 v8, s7, v6
	v_add_co_u32_e32 v4, vcc, s4, v4
	v_ashrrev_i32_e32 v9, 31, v8
	v_addc_co_u32_e32 v5, vcc, v1, v5, vcc
	v_lshlrev_b64 v[6:7], 3, v[8:9]
	v_add_u32_e32 v10, s7, v8
	;; [unrolled: 5-line block ×26, first 2 shown]
	v_add_co_u32_e32 v54, vcc, s4, v54
	v_ashrrev_i32_e32 v59, 31, v58
	v_addc_co_u32_e32 v55, vcc, v1, v55, vcc
	v_lshlrev_b64 v[56:57], 3, v[58:59]
	v_add_co_u32_e32 v56, vcc, s4, v56
	v_addc_co_u32_e32 v57, vcc, v1, v57, vcc
	v_add_co_u32_e32 v60, vcc, s4, v74
	s_ashr_i32 s13, s7, 31
	s_mov_b32 s12, s7
	v_addc_co_u32_e32 v61, vcc, 0, v1, vcc
	s_lshl_b64 s[12:13], s[12:13], 3
	v_add_u32_e32 v64, s7, v58
	v_mov_b32_e32 v1, s13
	v_add_co_u32_e32 v62, vcc, s12, v60
	v_ashrrev_i32_e32 v65, 31, v64
	v_addc_co_u32_e32 v63, vcc, v61, v1, vcc
	v_lshlrev_b64 v[58:59], 3, v[64:65]
	v_add_u32_e32 v66, s7, v64
	v_mov_b32_e32 v1, s5
	v_add_co_u32_e32 v58, vcc, s4, v58
	v_ashrrev_i32_e32 v67, 31, v66
	v_addc_co_u32_e32 v59, vcc, v1, v59, vcc
	v_lshlrev_b64 v[64:65], 3, v[66:67]
	v_add_u32_e32 v68, s7, v66
	v_add_co_u32_e32 v64, vcc, s4, v64
	v_ashrrev_i32_e32 v69, 31, v68
	v_addc_co_u32_e32 v65, vcc, v1, v65, vcc
	v_lshlrev_b64 v[66:67], 3, v[68:69]
	v_add_co_u32_e32 v66, vcc, s4, v66
	global_load_dwordx2 v[70:71], v74, s[4:5]
	global_load_dwordx2 v[76:77], v[2:3], off
	global_load_dwordx2 v[78:79], v[4:5], off
	;; [unrolled: 1-line block ×24, first 2 shown]
	v_addc_co_u32_e32 v67, vcc, v1, v67, vcc
	global_load_dwordx2 v[122:123], v[48:49], off
	global_load_dwordx2 v[124:125], v[50:51], off
	;; [unrolled: 1-line block ×8, first 2 shown]
	v_add_u32_e32 v68, s7, v68
	v_ashrrev_i32_e32 v69, 31, v68
	v_lshlrev_b64 v[68:69], 3, v[68:69]
	v_add_co_u32_e32 v68, vcc, s4, v68
	v_addc_co_u32_e32 v69, vcc, v1, v69, vcc
	global_load_dwordx2 v[138:139], v[68:69], off
	s_bitcmp0_b32 s20, 0
	s_mov_b64 s[6:7], -1
	s_waitcnt vmcnt(33)
	buffer_store_dword v71, off, s[0:3], 0 offset:4
	buffer_store_dword v70, off, s[0:3], 0
	s_waitcnt vmcnt(31)
	buffer_store_dword v73, off, s[0:3], 0 offset:12
	buffer_store_dword v72, off, s[0:3], 0 offset:8
	;; [unrolled: 1-line block ×8, first 2 shown]
	s_waitcnt vmcnt(38)
	buffer_store_dword v83, off, s[0:3], 0 offset:44
	buffer_store_dword v82, off, s[0:3], 0 offset:40
	s_waitcnt vmcnt(39)
	buffer_store_dword v85, off, s[0:3], 0 offset:52
	buffer_store_dword v84, off, s[0:3], 0 offset:48
	;; [unrolled: 3-line block ×26, first 2 shown]
	buffer_store_dword v135, off, s[0:3], 0 offset:252
	buffer_store_dword v134, off, s[0:3], 0 offset:248
	s_waitcnt vmcnt(62)
	buffer_store_dword v137, off, s[0:3], 0 offset:260
	buffer_store_dword v136, off, s[0:3], 0 offset:256
	;; [unrolled: 1-line block ×4, first 2 shown]
	s_cbranch_scc1 .LBB97_148
; %bb.4:
	v_cmp_eq_u32_e64 s[4:5], 0, v0
	s_and_saveexec_b64 s[6:7], s[4:5]
	s_cbranch_execz .LBB97_6
; %bb.5:
	v_mov_b32_e32 v1, 0
	ds_write_b32 v1, v1 offset:544
.LBB97_6:
	s_or_b64 exec, exec, s[6:7]
	v_mov_b32_e32 v1, 0
	v_lshl_add_u32 v75, v0, 3, v1
	s_waitcnt lgkmcnt(0)
	; wave barrier
	s_waitcnt lgkmcnt(0)
	buffer_load_dword v1, v75, s[0:3], 0 offen
	buffer_load_dword v70, v75, s[0:3], 0 offen offset:4
	s_waitcnt vmcnt(1)
	v_cmp_eq_f32_e32 vcc, 0, v1
	s_waitcnt vmcnt(0)
	v_cmp_eq_f32_e64 s[6:7], 0, v70
	s_and_b64 s[6:7], vcc, s[6:7]
	s_and_saveexec_b64 s[12:13], s[6:7]
	s_cbranch_execz .LBB97_10
; %bb.7:
	v_mov_b32_e32 v1, 0
	ds_read_b32 v71, v1 offset:544
	v_add_u32_e32 v70, 1, v0
	s_waitcnt lgkmcnt(0)
	v_readfirstlane_b32 s6, v71
	s_cmp_eq_u32 s6, 0
	s_cselect_b64 s[18:19], -1, 0
	v_cmp_gt_i32_e32 vcc, s6, v70
	s_or_b64 s[18:19], s[18:19], vcc
	s_and_b64 exec, exec, s[18:19]
	s_cbranch_execz .LBB97_10
; %bb.8:
	s_mov_b64 s[18:19], 0
	v_mov_b32_e32 v71, s6
.LBB97_9:                               ; =>This Inner Loop Header: Depth=1
	ds_cmpst_rtn_b32 v71, v1, v71, v70 offset:544
	s_waitcnt lgkmcnt(0)
	v_cmp_ne_u32_e32 vcc, 0, v71
	v_cmp_le_i32_e64 s[6:7], v71, v70
	s_and_b64 s[6:7], vcc, s[6:7]
	s_and_b64 s[6:7], exec, s[6:7]
	s_or_b64 s[18:19], s[6:7], s[18:19]
	s_andn2_b64 exec, exec, s[18:19]
	s_cbranch_execnz .LBB97_9
.LBB97_10:
	s_or_b64 exec, exec, s[12:13]
	v_mov_b32_e32 v70, 0
	s_waitcnt lgkmcnt(0)
	; wave barrier
	ds_read_b32 v1, v70 offset:544
	s_and_saveexec_b64 s[6:7], s[4:5]
	s_cbranch_execz .LBB97_12
; %bb.11:
	s_lshl_b64 s[12:13], s[8:9], 2
	s_add_u32 s12, s14, s12
	s_addc_u32 s13, s15, s13
	s_waitcnt lgkmcnt(0)
	global_store_dword v70, v1, s[12:13]
.LBB97_12:
	s_or_b64 exec, exec, s[6:7]
	s_waitcnt lgkmcnt(0)
	v_cmp_ne_u32_e32 vcc, 0, v1
	s_mov_b64 s[6:7], 0
	s_cbranch_vccnz .LBB97_148
; %bb.13:
	buffer_load_dword v76, v75, s[0:3], 0 offen offset:4
	buffer_load_dword v71, v75, s[0:3], 0 offen
	s_waitcnt vmcnt(1)
	v_cmp_gt_f32_e32 vcc, 0, v76
	v_cndmask_b32_e64 v1, v76, -v76, vcc
	s_waitcnt vmcnt(0)
	v_cmp_gt_f32_e32 vcc, 0, v71
	v_cndmask_b32_e64 v70, v71, -v71, vcc
	v_cmp_ngt_f32_e32 vcc, v70, v1
                                        ; implicit-def: $vgpr1
                                        ; implicit-def: $vgpr70
	s_and_saveexec_b64 s[6:7], vcc
	s_xor_b64 s[6:7], exec, s[6:7]
                                        ; implicit-def: $vgpr72_vgpr73
	s_cbranch_execz .LBB97_15
; %bb.14:
	v_div_scale_f32 v1, s[12:13], v76, v76, v71
	v_rcp_f32_e32 v70, v1
	v_div_scale_f32 v72, vcc, v71, v76, v71
	v_fma_f32 v73, -v1, v70, 1.0
	v_fmac_f32_e32 v70, v73, v70
	v_mul_f32_e32 v73, v72, v70
	v_fma_f32 v77, -v1, v73, v72
	v_fmac_f32_e32 v73, v77, v70
	v_fma_f32 v1, -v1, v73, v72
	v_div_fmas_f32 v1, v1, v70, v73
	v_div_fixup_f32 v70, v1, v76, v71
	v_fmac_f32_e32 v76, v71, v70
	v_div_scale_f32 v1, s[12:13], v76, v76, -1.0
	v_rcp_f32_e32 v71, v1
	v_fma_f32 v72, -v1, v71, 1.0
	v_fmac_f32_e32 v71, v72, v71
	v_div_scale_f32 v72, vcc, -1.0, v76, -1.0
	v_mul_f32_e32 v73, v72, v71
	v_fma_f32 v77, -v1, v73, v72
	v_fmac_f32_e32 v73, v77, v71
	v_fma_f32 v1, -v1, v73, v72
	v_div_fmas_f32 v1, v1, v71, v73
	v_div_fixup_f32 v1, v1, v76, -1.0
	v_mul_f32_e32 v70, v70, v1
	v_xor_b32_e32 v72, 0x80000000, v70
                                        ; implicit-def: $vgpr71
                                        ; implicit-def: $vgpr76
.LBB97_15:
	s_andn2_saveexec_b64 s[6:7], s[6:7]
	s_cbranch_execz .LBB97_17
; %bb.16:
	v_div_scale_f32 v1, s[12:13], v71, v71, v76
	v_rcp_f32_e32 v70, v1
	v_div_scale_f32 v72, vcc, v76, v71, v76
	v_fma_f32 v73, -v1, v70, 1.0
	v_fmac_f32_e32 v70, v73, v70
	v_mul_f32_e32 v73, v72, v70
	v_fma_f32 v77, -v1, v73, v72
	v_fmac_f32_e32 v73, v77, v70
	v_fma_f32 v1, -v1, v73, v72
	v_div_fmas_f32 v1, v1, v70, v73
	v_div_fixup_f32 v1, v1, v71, v76
	v_fmac_f32_e32 v71, v76, v1
	v_div_scale_f32 v70, s[12:13], v71, v71, 1.0
	v_rcp_f32_e32 v72, v70
	v_fma_f32 v73, -v70, v72, 1.0
	v_fmac_f32_e32 v72, v73, v72
	v_div_scale_f32 v73, vcc, 1.0, v71, 1.0
	v_mul_f32_e32 v76, v73, v72
	v_fma_f32 v77, -v70, v76, v73
	v_fmac_f32_e32 v76, v77, v72
	v_fma_f32 v70, -v70, v76, v73
	v_div_fmas_f32 v70, v70, v72, v76
	v_div_fixup_f32 v72, v70, v71, 1.0
	v_xor_b32_e32 v70, 0x80000000, v72
	v_mul_f32_e64 v1, v1, -v72
.LBB97_17:
	s_or_b64 exec, exec, s[6:7]
	buffer_store_dword v1, v75, s[0:3], 0 offen offset:4
	buffer_store_dword v72, v75, s[0:3], 0 offen
	buffer_load_dword v73, off, s[0:3], 0 offset:12
	s_nop 0
	buffer_load_dword v72, off, s[0:3], 0 offset:8
	v_xor_b32_e32 v71, 0x80000000, v1
	v_add_u32_e32 v1, 0x110, v74
	s_waitcnt vmcnt(0)
	ds_write2_b64 v74, v[70:71], v[72:73] offset1:34
	s_waitcnt lgkmcnt(0)
	; wave barrier
	s_waitcnt lgkmcnt(0)
	s_and_saveexec_b64 s[6:7], s[4:5]
	s_cbranch_execz .LBB97_19
; %bb.18:
	buffer_load_dword v76, v75, s[0:3], 0 offen offset:4
	buffer_load_dword v77, v75, s[0:3], 0 offen
	ds_read_b64 v[70:71], v1
	v_mov_b32_e32 v72, 0
	ds_read_b64 v[72:73], v72 offset:8
	s_waitcnt vmcnt(1) lgkmcnt(1)
	v_mul_f32_e32 v78, v71, v76
	v_mul_f32_e32 v76, v70, v76
	s_waitcnt vmcnt(0)
	v_fmac_f32_e32 v76, v71, v77
	v_fma_f32 v70, v70, v77, -v78
	v_add_f32_e32 v71, 0, v76
	v_add_f32_e32 v70, 0, v70
	s_waitcnt lgkmcnt(0)
	v_mul_f32_e32 v76, v71, v73
	v_mul_f32_e32 v73, v70, v73
	v_fma_f32 v70, v70, v72, -v76
	v_fmac_f32_e32 v73, v71, v72
	buffer_store_dword v70, off, s[0:3], 0 offset:8
	buffer_store_dword v73, off, s[0:3], 0 offset:12
.LBB97_19:
	s_or_b64 exec, exec, s[6:7]
	s_waitcnt lgkmcnt(0)
	; wave barrier
	buffer_load_dword v70, off, s[0:3], 0 offset:16
	buffer_load_dword v71, off, s[0:3], 0 offset:20
	v_cmp_gt_u32_e32 vcc, 2, v0
	s_waitcnt vmcnt(0)
	ds_write_b64 v1, v[70:71]
	s_waitcnt lgkmcnt(0)
	; wave barrier
	s_waitcnt lgkmcnt(0)
	s_and_saveexec_b64 s[6:7], vcc
	s_cbranch_execz .LBB97_23
; %bb.20:
	buffer_load_dword v72, v75, s[0:3], 0 offen offset:4
	buffer_load_dword v73, v75, s[0:3], 0 offen
	ds_read_b64 v[70:71], v1
	s_waitcnt vmcnt(1) lgkmcnt(0)
	v_mul_f32_e32 v75, v71, v72
	v_mul_f32_e32 v72, v70, v72
	s_waitcnt vmcnt(0)
	v_fma_f32 v70, v70, v73, -v75
	v_fmac_f32_e32 v72, v71, v73
	v_add_f32_e32 v71, 0, v70
	v_add_f32_e32 v70, 0, v72
	s_and_saveexec_b64 s[12:13], s[4:5]
	s_cbranch_execz .LBB97_22
; %bb.21:
	buffer_load_dword v75, off, s[0:3], 0 offset:12
	buffer_load_dword v76, off, s[0:3], 0 offset:8
	v_mov_b32_e32 v72, 0
	ds_read_b64 v[72:73], v72 offset:280
	s_waitcnt vmcnt(1) lgkmcnt(0)
	v_mul_f32_e32 v77, v72, v75
	v_mul_f32_e32 v75, v73, v75
	s_waitcnt vmcnt(0)
	v_fmac_f32_e32 v77, v73, v76
	v_fma_f32 v72, v72, v76, -v75
	v_add_f32_e32 v70, v70, v77
	v_add_f32_e32 v71, v71, v72
.LBB97_22:
	s_or_b64 exec, exec, s[12:13]
	v_mov_b32_e32 v72, 0
	ds_read_b64 v[72:73], v72 offset:16
	s_waitcnt lgkmcnt(0)
	v_mul_f32_e32 v75, v70, v73
	v_mul_f32_e32 v73, v71, v73
	v_fma_f32 v71, v71, v72, -v75
	v_fmac_f32_e32 v73, v70, v72
	buffer_store_dword v71, off, s[0:3], 0 offset:16
	buffer_store_dword v73, off, s[0:3], 0 offset:20
.LBB97_23:
	s_or_b64 exec, exec, s[6:7]
	s_waitcnt lgkmcnt(0)
	; wave barrier
	buffer_load_dword v70, off, s[0:3], 0 offset:24
	buffer_load_dword v71, off, s[0:3], 0 offset:28
	v_cmp_gt_u32_e32 vcc, 3, v0
	s_waitcnt vmcnt(0)
	ds_write_b64 v1, v[70:71]
	v_add_u32_e32 v70, -1, v0
	s_waitcnt lgkmcnt(0)
	; wave barrier
	s_waitcnt lgkmcnt(0)
	s_and_saveexec_b64 s[4:5], vcc
	s_cbranch_execz .LBB97_27
; %bb.24:
	v_add_u32_e32 v72, -1, v0
	v_add_u32_e32 v73, 0x110, v74
	v_add_u32_e32 v75, 0, v74
	s_mov_b64 s[6:7], 0
	v_mov_b32_e32 v71, 0
	v_mov_b32_e32 v76, 0
.LBB97_25:                              ; =>This Inner Loop Header: Depth=1
	buffer_load_dword v77, v75, s[0:3], 0 offen offset:4
	buffer_load_dword v80, v75, s[0:3], 0 offen
	ds_read_b64 v[78:79], v73
	v_add_u32_e32 v72, 1, v72
	v_cmp_lt_u32_e32 vcc, 1, v72
	v_add_u32_e32 v73, 8, v73
	v_add_u32_e32 v75, 8, v75
	s_or_b64 s[6:7], vcc, s[6:7]
	s_waitcnt vmcnt(1) lgkmcnt(0)
	v_mul_f32_e32 v81, v79, v77
	v_mul_f32_e32 v77, v78, v77
	s_waitcnt vmcnt(0)
	v_fma_f32 v78, v78, v80, -v81
	v_fmac_f32_e32 v77, v79, v80
	v_add_f32_e32 v76, v76, v78
	v_add_f32_e32 v71, v71, v77
	s_andn2_b64 exec, exec, s[6:7]
	s_cbranch_execnz .LBB97_25
; %bb.26:
	s_or_b64 exec, exec, s[6:7]
	v_mov_b32_e32 v72, 0
	ds_read_b64 v[72:73], v72 offset:24
	s_waitcnt lgkmcnt(0)
	v_mul_f32_e32 v75, v71, v73
	v_mul_f32_e32 v73, v76, v73
	v_fma_f32 v75, v76, v72, -v75
	v_fmac_f32_e32 v73, v71, v72
	buffer_store_dword v75, off, s[0:3], 0 offset:24
	buffer_store_dword v73, off, s[0:3], 0 offset:28
.LBB97_27:
	s_or_b64 exec, exec, s[4:5]
	s_waitcnt lgkmcnt(0)
	; wave barrier
	buffer_load_dword v72, off, s[0:3], 0 offset:32
	buffer_load_dword v73, off, s[0:3], 0 offset:36
	v_cmp_gt_u32_e32 vcc, 4, v0
	s_waitcnt vmcnt(0)
	ds_write_b64 v1, v[72:73]
	s_waitcnt lgkmcnt(0)
	; wave barrier
	s_waitcnt lgkmcnt(0)
	s_and_saveexec_b64 s[4:5], vcc
	s_cbranch_execz .LBB97_31
; %bb.28:
	v_add_u32_e32 v72, -1, v0
	v_add_u32_e32 v73, 0x110, v74
	v_add_u32_e32 v75, 0, v74
	s_mov_b64 s[6:7], 0
	v_mov_b32_e32 v71, 0
	v_mov_b32_e32 v76, 0
.LBB97_29:                              ; =>This Inner Loop Header: Depth=1
	buffer_load_dword v77, v75, s[0:3], 0 offen offset:4
	buffer_load_dword v80, v75, s[0:3], 0 offen
	ds_read_b64 v[78:79], v73
	v_add_u32_e32 v72, 1, v72
	v_cmp_lt_u32_e32 vcc, 2, v72
	v_add_u32_e32 v73, 8, v73
	v_add_u32_e32 v75, 8, v75
	s_or_b64 s[6:7], vcc, s[6:7]
	s_waitcnt vmcnt(1) lgkmcnt(0)
	v_mul_f32_e32 v81, v79, v77
	v_mul_f32_e32 v77, v78, v77
	s_waitcnt vmcnt(0)
	v_fma_f32 v78, v78, v80, -v81
	v_fmac_f32_e32 v77, v79, v80
	v_add_f32_e32 v76, v76, v78
	v_add_f32_e32 v71, v71, v77
	s_andn2_b64 exec, exec, s[6:7]
	s_cbranch_execnz .LBB97_29
; %bb.30:
	s_or_b64 exec, exec, s[6:7]
	v_mov_b32_e32 v72, 0
	ds_read_b64 v[72:73], v72 offset:32
	s_waitcnt lgkmcnt(0)
	v_mul_f32_e32 v75, v71, v73
	v_mul_f32_e32 v73, v76, v73
	v_fma_f32 v75, v76, v72, -v75
	v_fmac_f32_e32 v73, v71, v72
	buffer_store_dword v75, off, s[0:3], 0 offset:32
	buffer_store_dword v73, off, s[0:3], 0 offset:36
.LBB97_31:
	s_or_b64 exec, exec, s[4:5]
	s_waitcnt lgkmcnt(0)
	; wave barrier
	buffer_load_dword v72, off, s[0:3], 0 offset:40
	buffer_load_dword v73, off, s[0:3], 0 offset:44
	v_cmp_gt_u32_e32 vcc, 5, v0
	s_waitcnt vmcnt(0)
	ds_write_b64 v1, v[72:73]
	;; [unrolled: 51-line block ×19, first 2 shown]
	s_waitcnt lgkmcnt(0)
	; wave barrier
	s_waitcnt lgkmcnt(0)
	s_and_saveexec_b64 s[4:5], vcc
	s_cbranch_execz .LBB97_103
; %bb.100:
	v_add_u32_e32 v72, -1, v0
	v_add_u32_e32 v73, 0x110, v74
	v_add_u32_e32 v75, 0, v74
	s_mov_b64 s[6:7], 0
	v_mov_b32_e32 v71, 0
	v_mov_b32_e32 v76, 0
.LBB97_101:                             ; =>This Inner Loop Header: Depth=1
	buffer_load_dword v77, v75, s[0:3], 0 offen offset:4
	buffer_load_dword v80, v75, s[0:3], 0 offen
	ds_read_b64 v[78:79], v73
	v_add_u32_e32 v72, 1, v72
	v_cmp_lt_u32_e32 vcc, 20, v72
	v_add_u32_e32 v73, 8, v73
	v_add_u32_e32 v75, 8, v75
	s_or_b64 s[6:7], vcc, s[6:7]
	s_waitcnt vmcnt(1) lgkmcnt(0)
	v_mul_f32_e32 v81, v79, v77
	v_mul_f32_e32 v77, v78, v77
	s_waitcnt vmcnt(0)
	v_fma_f32 v78, v78, v80, -v81
	v_fmac_f32_e32 v77, v79, v80
	v_add_f32_e32 v76, v76, v78
	v_add_f32_e32 v71, v71, v77
	s_andn2_b64 exec, exec, s[6:7]
	s_cbranch_execnz .LBB97_101
; %bb.102:
	s_or_b64 exec, exec, s[6:7]
	v_mov_b32_e32 v72, 0
	ds_read_b64 v[72:73], v72 offset:176
	s_waitcnt lgkmcnt(0)
	v_mul_f32_e32 v75, v71, v73
	v_mul_f32_e32 v73, v76, v73
	v_fma_f32 v75, v76, v72, -v75
	v_fmac_f32_e32 v73, v71, v72
	buffer_store_dword v75, off, s[0:3], 0 offset:176
	buffer_store_dword v73, off, s[0:3], 0 offset:180
.LBB97_103:
	s_or_b64 exec, exec, s[4:5]
	s_waitcnt lgkmcnt(0)
	; wave barrier
	buffer_load_dword v72, off, s[0:3], 0 offset:184
	buffer_load_dword v73, off, s[0:3], 0 offset:188
	v_cmp_gt_u32_e32 vcc, 23, v0
	s_waitcnt vmcnt(0)
	ds_write_b64 v1, v[72:73]
	s_waitcnt lgkmcnt(0)
	; wave barrier
	s_waitcnt lgkmcnt(0)
	s_and_saveexec_b64 s[4:5], vcc
	s_cbranch_execz .LBB97_107
; %bb.104:
	v_add_u32_e32 v72, -1, v0
	v_add_u32_e32 v73, 0x110, v74
	v_add_u32_e32 v75, 0, v74
	s_mov_b64 s[6:7], 0
	v_mov_b32_e32 v71, 0
	v_mov_b32_e32 v76, 0
.LBB97_105:                             ; =>This Inner Loop Header: Depth=1
	buffer_load_dword v77, v75, s[0:3], 0 offen offset:4
	buffer_load_dword v80, v75, s[0:3], 0 offen
	ds_read_b64 v[78:79], v73
	v_add_u32_e32 v72, 1, v72
	v_cmp_lt_u32_e32 vcc, 21, v72
	v_add_u32_e32 v73, 8, v73
	v_add_u32_e32 v75, 8, v75
	s_or_b64 s[6:7], vcc, s[6:7]
	s_waitcnt vmcnt(1) lgkmcnt(0)
	v_mul_f32_e32 v81, v79, v77
	v_mul_f32_e32 v77, v78, v77
	s_waitcnt vmcnt(0)
	v_fma_f32 v78, v78, v80, -v81
	v_fmac_f32_e32 v77, v79, v80
	v_add_f32_e32 v76, v76, v78
	v_add_f32_e32 v71, v71, v77
	s_andn2_b64 exec, exec, s[6:7]
	s_cbranch_execnz .LBB97_105
; %bb.106:
	s_or_b64 exec, exec, s[6:7]
	v_mov_b32_e32 v72, 0
	ds_read_b64 v[72:73], v72 offset:184
	s_waitcnt lgkmcnt(0)
	v_mul_f32_e32 v75, v71, v73
	v_mul_f32_e32 v73, v76, v73
	v_fma_f32 v75, v76, v72, -v75
	v_fmac_f32_e32 v73, v71, v72
	buffer_store_dword v75, off, s[0:3], 0 offset:184
	buffer_store_dword v73, off, s[0:3], 0 offset:188
.LBB97_107:
	s_or_b64 exec, exec, s[4:5]
	s_waitcnt lgkmcnt(0)
	; wave barrier
	buffer_load_dword v72, off, s[0:3], 0 offset:192
	buffer_load_dword v73, off, s[0:3], 0 offset:196
	v_cmp_gt_u32_e32 vcc, 24, v0
	s_waitcnt vmcnt(0)
	ds_write_b64 v1, v[72:73]
	;; [unrolled: 51-line block ×10, first 2 shown]
	s_waitcnt lgkmcnt(0)
	; wave barrier
	s_waitcnt lgkmcnt(0)
	s_and_saveexec_b64 s[4:5], vcc
	s_cbranch_execz .LBB97_143
; %bb.140:
	v_add_u32_e32 v72, -1, v0
	v_add_u32_e32 v73, 0x110, v74
	v_add_u32_e32 v75, 0, v74
	s_mov_b64 s[6:7], 0
	v_mov_b32_e32 v71, 0
	v_mov_b32_e32 v76, 0
.LBB97_141:                             ; =>This Inner Loop Header: Depth=1
	buffer_load_dword v77, v75, s[0:3], 0 offen offset:4
	buffer_load_dword v80, v75, s[0:3], 0 offen
	ds_read_b64 v[78:79], v73
	v_add_u32_e32 v72, 1, v72
	v_cmp_lt_u32_e32 vcc, 30, v72
	v_add_u32_e32 v73, 8, v73
	v_add_u32_e32 v75, 8, v75
	s_or_b64 s[6:7], vcc, s[6:7]
	s_waitcnt vmcnt(1) lgkmcnt(0)
	v_mul_f32_e32 v81, v79, v77
	v_mul_f32_e32 v77, v78, v77
	s_waitcnt vmcnt(0)
	v_fma_f32 v78, v78, v80, -v81
	v_fmac_f32_e32 v77, v79, v80
	v_add_f32_e32 v76, v76, v78
	v_add_f32_e32 v71, v71, v77
	s_andn2_b64 exec, exec, s[6:7]
	s_cbranch_execnz .LBB97_141
; %bb.142:
	s_or_b64 exec, exec, s[6:7]
	v_mov_b32_e32 v72, 0
	ds_read_b64 v[72:73], v72 offset:256
	s_waitcnt lgkmcnt(0)
	v_mul_f32_e32 v75, v71, v73
	v_mul_f32_e32 v73, v76, v73
	v_fma_f32 v75, v76, v72, -v75
	v_fmac_f32_e32 v73, v71, v72
	buffer_store_dword v75, off, s[0:3], 0 offset:256
	buffer_store_dword v73, off, s[0:3], 0 offset:260
.LBB97_143:
	s_or_b64 exec, exec, s[4:5]
	s_waitcnt lgkmcnt(0)
	; wave barrier
	buffer_load_dword v72, off, s[0:3], 0 offset:264
	buffer_load_dword v73, off, s[0:3], 0 offset:268
	v_cmp_ne_u32_e32 vcc, 33, v0
	s_waitcnt vmcnt(0)
	ds_write_b64 v1, v[72:73]
	s_waitcnt lgkmcnt(0)
	; wave barrier
	s_waitcnt lgkmcnt(0)
	s_and_saveexec_b64 s[4:5], vcc
	s_cbranch_execz .LBB97_147
; %bb.144:
	v_add_u32_e32 v71, 0x110, v74
	v_add_u32_e32 v72, 0, v74
	s_mov_b64 s[6:7], 0
	v_mov_b32_e32 v1, 0
	v_mov_b32_e32 v73, 0
.LBB97_145:                             ; =>This Inner Loop Header: Depth=1
	buffer_load_dword v76, v72, s[0:3], 0 offen offset:4
	buffer_load_dword v77, v72, s[0:3], 0 offen
	ds_read_b64 v[74:75], v71
	v_add_u32_e32 v70, 1, v70
	v_cmp_lt_u32_e32 vcc, 31, v70
	v_add_u32_e32 v71, 8, v71
	v_add_u32_e32 v72, 8, v72
	s_or_b64 s[6:7], vcc, s[6:7]
	s_waitcnt vmcnt(1) lgkmcnt(0)
	v_mul_f32_e32 v78, v75, v76
	v_mul_f32_e32 v76, v74, v76
	s_waitcnt vmcnt(0)
	v_fma_f32 v74, v74, v77, -v78
	v_fmac_f32_e32 v76, v75, v77
	v_add_f32_e32 v73, v73, v74
	v_add_f32_e32 v1, v1, v76
	s_andn2_b64 exec, exec, s[6:7]
	s_cbranch_execnz .LBB97_145
; %bb.146:
	s_or_b64 exec, exec, s[6:7]
	v_mov_b32_e32 v70, 0
	ds_read_b64 v[70:71], v70 offset:264
	s_waitcnt lgkmcnt(0)
	v_mul_f32_e32 v72, v1, v71
	v_mul_f32_e32 v71, v73, v71
	v_fma_f32 v72, v73, v70, -v72
	v_fmac_f32_e32 v71, v1, v70
	buffer_store_dword v72, off, s[0:3], 0 offset:264
	buffer_store_dword v71, off, s[0:3], 0 offset:268
.LBB97_147:
	s_or_b64 exec, exec, s[4:5]
	s_mov_b64 s[6:7], -1
	s_waitcnt lgkmcnt(0)
	; wave barrier
.LBB97_148:
	s_and_b64 vcc, exec, s[6:7]
	s_cbranch_vccz .LBB97_150
; %bb.149:
	s_lshl_b64 s[4:5], s[8:9], 2
	s_add_u32 s4, s14, s4
	s_addc_u32 s5, s15, s5
	v_mov_b32_e32 v1, 0
	global_load_dword v1, v1, s[4:5]
	s_waitcnt vmcnt(0)
	v_cmp_ne_u32_e32 vcc, 0, v1
	s_cbranch_vccz .LBB97_151
.LBB97_150:
	s_endpgm
.LBB97_151:
	v_mov_b32_e32 v1, 0x110
	v_lshl_add_u32 v1, v0, 3, v1
	v_cmp_eq_u32_e32 vcc, 33, v0
	s_and_saveexec_b64 s[4:5], vcc
	s_cbranch_execz .LBB97_153
; %bb.152:
	buffer_load_dword v70, off, s[0:3], 0 offset:256
	buffer_load_dword v71, off, s[0:3], 0 offset:260
	v_mov_b32_e32 v72, 0
	buffer_store_dword v72, off, s[0:3], 0 offset:256
	buffer_store_dword v72, off, s[0:3], 0 offset:260
	s_waitcnt vmcnt(2)
	ds_write_b64 v1, v[70:71]
.LBB97_153:
	s_or_b64 exec, exec, s[4:5]
	s_waitcnt lgkmcnt(0)
	; wave barrier
	s_waitcnt lgkmcnt(0)
	buffer_load_dword v73, off, s[0:3], 0 offset:268
	buffer_load_dword v72, off, s[0:3], 0 offset:264
	;; [unrolled: 1-line block ×4, first 2 shown]
	v_mov_b32_e32 v70, 0
	ds_read_b64 v[76:77], v70 offset:536
	v_cmp_lt_u32_e32 vcc, 31, v0
	s_waitcnt vmcnt(3)
	v_mov_b32_e32 v78, v73
	s_waitcnt lgkmcnt(0)
	v_pk_mul_f32 v[78:79], v[76:77], v[78:79] op_sel_hi:[1,0]
	s_waitcnt vmcnt(2)
	v_pk_fma_f32 v[80:81], v[76:77], v[72:73], v[78:79] op_sel:[0,0,1] op_sel_hi:[1,1,0] neg_lo:[0,0,1] neg_hi:[0,0,1]
	v_pk_fma_f32 v[72:73], v[76:77], v[72:73], v[78:79] op_sel:[0,0,1] op_sel_hi:[1,0,0]
	v_mov_b32_e32 v81, v73
	v_pk_add_f32 v[72:73], v[80:81], 0 op_sel_hi:[1,0]
	s_waitcnt vmcnt(0)
	v_pk_add_f32 v[72:73], v[74:75], v[72:73] neg_lo:[0,1] neg_hi:[0,1]
	buffer_store_dword v72, off, s[0:3], 0 offset:256
	buffer_store_dword v73, off, s[0:3], 0 offset:260
	s_and_saveexec_b64 s[4:5], vcc
	s_cbranch_execz .LBB97_155
; %bb.154:
	buffer_load_dword v72, off, s[0:3], 0 offset:248
	buffer_load_dword v73, off, s[0:3], 0 offset:252
	s_waitcnt vmcnt(0)
	ds_write_b64 v1, v[72:73]
	buffer_store_dword v70, off, s[0:3], 0 offset:248
	buffer_store_dword v70, off, s[0:3], 0 offset:252
.LBB97_155:
	s_or_b64 exec, exec, s[4:5]
	s_waitcnt lgkmcnt(0)
	; wave barrier
	s_waitcnt lgkmcnt(0)
	buffer_load_dword v75, off, s[0:3], 0 offset:260
	buffer_load_dword v77, off, s[0:3], 0 offset:268
	;; [unrolled: 1-line block ×6, first 2 shown]
	ds_read_b128 v[70:73], v70 offset:528
	v_cmp_lt_u32_e32 vcc, 30, v0
	s_waitcnt vmcnt(5)
	v_mov_b32_e32 v80, v75
	s_waitcnt vmcnt(4)
	v_mov_b32_e32 v82, v77
	s_waitcnt lgkmcnt(0)
	v_pk_mul_f32 v[80:81], v[70:71], v[80:81] op_sel_hi:[1,0]
	v_pk_mul_f32 v[82:83], v[72:73], v[82:83] op_sel_hi:[1,0]
	s_waitcnt vmcnt(3)
	v_pk_fma_f32 v[84:85], v[70:71], v[74:75], v[80:81] op_sel:[0,0,1] op_sel_hi:[1,1,0] neg_lo:[0,0,1] neg_hi:[0,0,1]
	v_pk_fma_f32 v[70:71], v[70:71], v[74:75], v[80:81] op_sel:[0,0,1] op_sel_hi:[1,0,0]
	s_waitcnt vmcnt(2)
	v_pk_fma_f32 v[74:75], v[72:73], v[76:77], v[82:83] op_sel:[0,0,1] op_sel_hi:[1,1,0] neg_lo:[0,0,1] neg_hi:[0,0,1]
	v_pk_fma_f32 v[72:73], v[72:73], v[76:77], v[82:83] op_sel:[0,0,1] op_sel_hi:[1,0,0]
	v_mov_b32_e32 v85, v71
	v_mov_b32_e32 v75, v73
	v_pk_add_f32 v[70:71], v[84:85], 0 op_sel_hi:[1,0]
	v_pk_add_f32 v[70:71], v[70:71], v[74:75]
	s_waitcnt vmcnt(0)
	v_pk_add_f32 v[70:71], v[78:79], v[70:71] neg_lo:[0,1] neg_hi:[0,1]
	buffer_store_dword v70, off, s[0:3], 0 offset:248
	buffer_store_dword v71, off, s[0:3], 0 offset:252
	s_and_saveexec_b64 s[4:5], vcc
	s_cbranch_execz .LBB97_157
; %bb.156:
	buffer_load_dword v70, off, s[0:3], 0 offset:240
	buffer_load_dword v71, off, s[0:3], 0 offset:244
	v_mov_b32_e32 v72, 0
	buffer_store_dword v72, off, s[0:3], 0 offset:240
	buffer_store_dword v72, off, s[0:3], 0 offset:244
	s_waitcnt vmcnt(2)
	ds_write_b64 v1, v[70:71]
.LBB97_157:
	s_or_b64 exec, exec, s[4:5]
	s_waitcnt lgkmcnt(0)
	; wave barrier
	s_waitcnt lgkmcnt(0)
	buffer_load_dword v77, off, s[0:3], 0 offset:252
	buffer_load_dword v79, off, s[0:3], 0 offset:260
	;; [unrolled: 1-line block ×8, first 2 shown]
	v_mov_b32_e32 v70, 0
	ds_read2_b64 v[72:75], v70 offset0:65 offset1:66
	ds_read_b64 v[84:85], v70 offset:536
	v_cmp_lt_u32_e32 vcc, 29, v0
	s_waitcnt vmcnt(7)
	v_mov_b32_e32 v86, v77
	s_waitcnt vmcnt(6)
	v_mov_b32_e32 v88, v79
	s_waitcnt lgkmcnt(1)
	v_pk_mul_f32 v[86:87], v[72:73], v[86:87] op_sel_hi:[1,0]
	s_waitcnt vmcnt(5)
	v_mov_b32_e32 v90, v81
	v_pk_mul_f32 v[88:89], v[74:75], v[88:89] op_sel_hi:[1,0]
	s_waitcnt vmcnt(4)
	v_pk_fma_f32 v[92:93], v[72:73], v[76:77], v[86:87] op_sel:[0,0,1] op_sel_hi:[1,1,0] neg_lo:[0,0,1] neg_hi:[0,0,1]
	v_pk_fma_f32 v[72:73], v[72:73], v[76:77], v[86:87] op_sel:[0,0,1] op_sel_hi:[1,0,0]
	s_waitcnt lgkmcnt(0)
	v_pk_mul_f32 v[90:91], v[84:85], v[90:91] op_sel_hi:[1,0]
	s_waitcnt vmcnt(3)
	v_pk_fma_f32 v[76:77], v[74:75], v[78:79], v[88:89] op_sel:[0,0,1] op_sel_hi:[1,1,0] neg_lo:[0,0,1] neg_hi:[0,0,1]
	v_pk_fma_f32 v[74:75], v[74:75], v[78:79], v[88:89] op_sel:[0,0,1] op_sel_hi:[1,0,0]
	v_mov_b32_e32 v93, v73
	s_waitcnt vmcnt(2)
	v_pk_fma_f32 v[78:79], v[84:85], v[80:81], v[90:91] op_sel:[0,0,1] op_sel_hi:[1,1,0] neg_lo:[0,0,1] neg_hi:[0,0,1]
	v_pk_fma_f32 v[80:81], v[84:85], v[80:81], v[90:91] op_sel:[0,0,1] op_sel_hi:[1,0,0]
	v_mov_b32_e32 v77, v75
	v_pk_add_f32 v[72:73], v[92:93], 0 op_sel_hi:[1,0]
	v_mov_b32_e32 v79, v81
	v_pk_add_f32 v[72:73], v[72:73], v[76:77]
	v_pk_add_f32 v[72:73], v[72:73], v[78:79]
	s_waitcnt vmcnt(0)
	v_pk_add_f32 v[72:73], v[82:83], v[72:73] neg_lo:[0,1] neg_hi:[0,1]
	buffer_store_dword v72, off, s[0:3], 0 offset:240
	buffer_store_dword v73, off, s[0:3], 0 offset:244
	s_and_saveexec_b64 s[4:5], vcc
	s_cbranch_execz .LBB97_159
; %bb.158:
	buffer_load_dword v72, off, s[0:3], 0 offset:232
	buffer_load_dword v73, off, s[0:3], 0 offset:236
	s_waitcnt vmcnt(0)
	ds_write_b64 v1, v[72:73]
	buffer_store_dword v70, off, s[0:3], 0 offset:232
	buffer_store_dword v70, off, s[0:3], 0 offset:236
.LBB97_159:
	s_or_b64 exec, exec, s[4:5]
	s_waitcnt lgkmcnt(0)
	; wave barrier
	s_waitcnt lgkmcnt(0)
	buffer_load_dword v81, off, s[0:3], 0 offset:244
	buffer_load_dword v83, off, s[0:3], 0 offset:252
	;; [unrolled: 1-line block ×10, first 2 shown]
	ds_read_b128 v[72:75], v70 offset:512
	ds_read_b128 v[76:79], v70 offset:528
	v_cmp_lt_u32_e32 vcc, 28, v0
	s_waitcnt vmcnt(9)
	v_mov_b32_e32 v70, v81
	s_waitcnt vmcnt(8)
	v_mov_b32_e32 v90, v83
	s_waitcnt lgkmcnt(1)
	v_pk_mul_f32 v[70:71], v[72:73], v[70:71] op_sel_hi:[1,0]
	s_waitcnt vmcnt(7)
	v_mov_b32_e32 v92, v85
	v_pk_mul_f32 v[90:91], v[74:75], v[90:91] op_sel_hi:[1,0]
	s_waitcnt vmcnt(5)
	v_pk_fma_f32 v[96:97], v[72:73], v[80:81], v[70:71] op_sel:[0,0,1] op_sel_hi:[1,1,0] neg_lo:[0,0,1] neg_hi:[0,0,1]
	v_pk_fma_f32 v[70:71], v[72:73], v[80:81], v[70:71] op_sel:[0,0,1] op_sel_hi:[1,0,0]
	v_mov_b32_e32 v94, v87
	s_waitcnt lgkmcnt(0)
	v_pk_mul_f32 v[92:93], v[76:77], v[92:93] op_sel_hi:[1,0]
	s_waitcnt vmcnt(4)
	v_pk_fma_f32 v[72:73], v[74:75], v[82:83], v[90:91] op_sel:[0,0,1] op_sel_hi:[1,1,0] neg_lo:[0,0,1] neg_hi:[0,0,1]
	v_pk_fma_f32 v[74:75], v[74:75], v[82:83], v[90:91] op_sel:[0,0,1] op_sel_hi:[1,0,0]
	v_mov_b32_e32 v97, v71
	v_pk_mul_f32 v[94:95], v[78:79], v[94:95] op_sel_hi:[1,0]
	s_waitcnt vmcnt(3)
	v_pk_fma_f32 v[80:81], v[76:77], v[84:85], v[92:93] op_sel:[0,0,1] op_sel_hi:[1,1,0] neg_lo:[0,0,1] neg_hi:[0,0,1]
	v_pk_fma_f32 v[76:77], v[76:77], v[84:85], v[92:93] op_sel:[0,0,1] op_sel_hi:[1,0,0]
	v_mov_b32_e32 v73, v75
	v_pk_add_f32 v[70:71], v[96:97], 0 op_sel_hi:[1,0]
	s_waitcnt vmcnt(2)
	v_pk_fma_f32 v[82:83], v[78:79], v[86:87], v[94:95] op_sel:[0,0,1] op_sel_hi:[1,1,0] neg_lo:[0,0,1] neg_hi:[0,0,1]
	v_pk_fma_f32 v[78:79], v[78:79], v[86:87], v[94:95] op_sel:[0,0,1] op_sel_hi:[1,0,0]
	v_mov_b32_e32 v81, v77
	v_pk_add_f32 v[70:71], v[70:71], v[72:73]
	v_mov_b32_e32 v83, v79
	v_pk_add_f32 v[70:71], v[70:71], v[80:81]
	v_pk_add_f32 v[70:71], v[70:71], v[82:83]
	s_waitcnt vmcnt(0)
	v_pk_add_f32 v[70:71], v[88:89], v[70:71] neg_lo:[0,1] neg_hi:[0,1]
	buffer_store_dword v70, off, s[0:3], 0 offset:232
	buffer_store_dword v71, off, s[0:3], 0 offset:236
	s_and_saveexec_b64 s[4:5], vcc
	s_cbranch_execz .LBB97_161
; %bb.160:
	buffer_load_dword v70, off, s[0:3], 0 offset:224
	buffer_load_dword v71, off, s[0:3], 0 offset:228
	v_mov_b32_e32 v72, 0
	buffer_store_dword v72, off, s[0:3], 0 offset:224
	buffer_store_dword v72, off, s[0:3], 0 offset:228
	s_waitcnt vmcnt(2)
	ds_write_b64 v1, v[70:71]
.LBB97_161:
	s_or_b64 exec, exec, s[4:5]
	s_waitcnt lgkmcnt(0)
	; wave barrier
	s_waitcnt lgkmcnt(0)
	buffer_load_dword v81, off, s[0:3], 0 offset:236
	buffer_load_dword v83, off, s[0:3], 0 offset:244
	;; [unrolled: 1-line block ×12, first 2 shown]
	v_mov_b32_e32 v70, 0
	ds_read2_b64 v[72:75], v70 offset0:63 offset1:64
	ds_read2_b64 v[76:79], v70 offset0:65 offset1:66
	ds_read_b64 v[92:93], v70 offset:536
	v_cmp_lt_u32_e32 vcc, 27, v0
	s_waitcnt vmcnt(11)
	v_mov_b32_e32 v94, v81
	s_waitcnt vmcnt(10)
	v_mov_b32_e32 v96, v83
	s_waitcnt lgkmcnt(2)
	v_pk_mul_f32 v[94:95], v[72:73], v[94:95] op_sel_hi:[1,0]
	s_waitcnt vmcnt(9)
	v_mov_b32_e32 v98, v85
	v_pk_mul_f32 v[96:97], v[74:75], v[96:97] op_sel_hi:[1,0]
	s_waitcnt vmcnt(6)
	v_pk_fma_f32 v[104:105], v[72:73], v[80:81], v[94:95] op_sel:[0,0,1] op_sel_hi:[1,1,0] neg_lo:[0,0,1] neg_hi:[0,0,1]
	v_pk_fma_f32 v[72:73], v[72:73], v[80:81], v[94:95] op_sel:[0,0,1] op_sel_hi:[1,0,0]
	v_mov_b32_e32 v100, v87
	s_waitcnt lgkmcnt(1)
	v_pk_mul_f32 v[98:99], v[76:77], v[98:99] op_sel_hi:[1,0]
	s_waitcnt vmcnt(5)
	v_pk_fma_f32 v[80:81], v[74:75], v[82:83], v[96:97] op_sel:[0,0,1] op_sel_hi:[1,1,0] neg_lo:[0,0,1] neg_hi:[0,0,1]
	v_pk_fma_f32 v[74:75], v[74:75], v[82:83], v[96:97] op_sel:[0,0,1] op_sel_hi:[1,0,0]
	v_mov_b32_e32 v105, v73
	v_mov_b32_e32 v102, v89
	v_pk_mul_f32 v[100:101], v[78:79], v[100:101] op_sel_hi:[1,0]
	s_waitcnt vmcnt(4)
	v_pk_fma_f32 v[82:83], v[76:77], v[84:85], v[98:99] op_sel:[0,0,1] op_sel_hi:[1,1,0] neg_lo:[0,0,1] neg_hi:[0,0,1]
	v_pk_fma_f32 v[76:77], v[76:77], v[84:85], v[98:99] op_sel:[0,0,1] op_sel_hi:[1,0,0]
	v_mov_b32_e32 v81, v75
	v_pk_add_f32 v[72:73], v[104:105], 0 op_sel_hi:[1,0]
	s_waitcnt lgkmcnt(0)
	v_pk_mul_f32 v[102:103], v[92:93], v[102:103] op_sel_hi:[1,0]
	s_waitcnt vmcnt(3)
	v_pk_fma_f32 v[84:85], v[78:79], v[86:87], v[100:101] op_sel:[0,0,1] op_sel_hi:[1,1,0] neg_lo:[0,0,1] neg_hi:[0,0,1]
	v_pk_fma_f32 v[78:79], v[78:79], v[86:87], v[100:101] op_sel:[0,0,1] op_sel_hi:[1,0,0]
	v_mov_b32_e32 v83, v77
	v_pk_add_f32 v[72:73], v[72:73], v[80:81]
	s_waitcnt vmcnt(2)
	v_pk_fma_f32 v[86:87], v[92:93], v[88:89], v[102:103] op_sel:[0,0,1] op_sel_hi:[1,1,0] neg_lo:[0,0,1] neg_hi:[0,0,1]
	v_pk_fma_f32 v[88:89], v[92:93], v[88:89], v[102:103] op_sel:[0,0,1] op_sel_hi:[1,0,0]
	v_mov_b32_e32 v85, v79
	v_pk_add_f32 v[72:73], v[72:73], v[82:83]
	v_mov_b32_e32 v87, v89
	v_pk_add_f32 v[72:73], v[72:73], v[84:85]
	v_pk_add_f32 v[72:73], v[72:73], v[86:87]
	s_waitcnt vmcnt(0)
	v_pk_add_f32 v[72:73], v[90:91], v[72:73] neg_lo:[0,1] neg_hi:[0,1]
	buffer_store_dword v72, off, s[0:3], 0 offset:224
	buffer_store_dword v73, off, s[0:3], 0 offset:228
	s_and_saveexec_b64 s[4:5], vcc
	s_cbranch_execz .LBB97_163
; %bb.162:
	buffer_load_dword v72, off, s[0:3], 0 offset:216
	buffer_load_dword v73, off, s[0:3], 0 offset:220
	s_waitcnt vmcnt(0)
	ds_write_b64 v1, v[72:73]
	buffer_store_dword v70, off, s[0:3], 0 offset:216
	buffer_store_dword v70, off, s[0:3], 0 offset:220
.LBB97_163:
	s_or_b64 exec, exec, s[4:5]
	s_waitcnt lgkmcnt(0)
	; wave barrier
	s_waitcnt lgkmcnt(0)
	buffer_load_dword v85, off, s[0:3], 0 offset:228
	buffer_load_dword v87, off, s[0:3], 0 offset:236
	;; [unrolled: 1-line block ×14, first 2 shown]
	ds_read_b128 v[72:75], v70 offset:496
	ds_read_b128 v[76:79], v70 offset:512
	;; [unrolled: 1-line block ×3, first 2 shown]
	v_cmp_lt_u32_e32 vcc, 26, v0
	s_waitcnt vmcnt(13)
	v_mov_b32_e32 v70, v85
	s_waitcnt vmcnt(12)
	v_mov_b32_e32 v98, v87
	s_waitcnt lgkmcnt(2)
	v_pk_mul_f32 v[70:71], v[72:73], v[70:71] op_sel_hi:[1,0]
	s_waitcnt vmcnt(11)
	v_mov_b32_e32 v100, v89
	v_pk_mul_f32 v[98:99], v[74:75], v[98:99] op_sel_hi:[1,0]
	s_waitcnt vmcnt(10)
	v_mov_b32_e32 v102, v91
	s_waitcnt vmcnt(7)
	v_pk_fma_f32 v[108:109], v[72:73], v[84:85], v[70:71] op_sel:[0,0,1] op_sel_hi:[1,1,0] neg_lo:[0,0,1] neg_hi:[0,0,1]
	v_pk_fma_f32 v[70:71], v[72:73], v[84:85], v[70:71] op_sel:[0,0,1] op_sel_hi:[1,0,0]
	s_waitcnt lgkmcnt(1)
	v_pk_mul_f32 v[100:101], v[76:77], v[100:101] op_sel_hi:[1,0]
	s_waitcnt vmcnt(6)
	v_pk_fma_f32 v[72:73], v[74:75], v[86:87], v[98:99] op_sel:[0,0,1] op_sel_hi:[1,1,0] neg_lo:[0,0,1] neg_hi:[0,0,1]
	v_pk_fma_f32 v[74:75], v[74:75], v[86:87], v[98:99] op_sel:[0,0,1] op_sel_hi:[1,0,0]
	v_mov_b32_e32 v109, v71
	v_mov_b32_e32 v104, v93
	v_pk_mul_f32 v[102:103], v[78:79], v[102:103] op_sel_hi:[1,0]
	s_waitcnt vmcnt(5)
	v_pk_fma_f32 v[84:85], v[76:77], v[88:89], v[100:101] op_sel:[0,0,1] op_sel_hi:[1,1,0] neg_lo:[0,0,1] neg_hi:[0,0,1]
	v_pk_fma_f32 v[76:77], v[76:77], v[88:89], v[100:101] op_sel:[0,0,1] op_sel_hi:[1,0,0]
	v_mov_b32_e32 v73, v75
	v_pk_add_f32 v[70:71], v[108:109], 0 op_sel_hi:[1,0]
	v_mov_b32_e32 v106, v95
	s_waitcnt lgkmcnt(0)
	v_pk_mul_f32 v[104:105], v[80:81], v[104:105] op_sel_hi:[1,0]
	s_waitcnt vmcnt(4)
	v_pk_fma_f32 v[86:87], v[78:79], v[90:91], v[102:103] op_sel:[0,0,1] op_sel_hi:[1,1,0] neg_lo:[0,0,1] neg_hi:[0,0,1]
	v_pk_fma_f32 v[78:79], v[78:79], v[90:91], v[102:103] op_sel:[0,0,1] op_sel_hi:[1,0,0]
	v_mov_b32_e32 v85, v77
	v_pk_add_f32 v[70:71], v[70:71], v[72:73]
	v_pk_mul_f32 v[106:107], v[82:83], v[106:107] op_sel_hi:[1,0]
	s_waitcnt vmcnt(3)
	v_pk_fma_f32 v[88:89], v[80:81], v[92:93], v[104:105] op_sel:[0,0,1] op_sel_hi:[1,1,0] neg_lo:[0,0,1] neg_hi:[0,0,1]
	v_pk_fma_f32 v[80:81], v[80:81], v[92:93], v[104:105] op_sel:[0,0,1] op_sel_hi:[1,0,0]
	v_mov_b32_e32 v87, v79
	v_pk_add_f32 v[70:71], v[70:71], v[84:85]
	s_waitcnt vmcnt(2)
	v_pk_fma_f32 v[90:91], v[82:83], v[94:95], v[106:107] op_sel:[0,0,1] op_sel_hi:[1,1,0] neg_lo:[0,0,1] neg_hi:[0,0,1]
	v_pk_fma_f32 v[82:83], v[82:83], v[94:95], v[106:107] op_sel:[0,0,1] op_sel_hi:[1,0,0]
	v_mov_b32_e32 v89, v81
	v_pk_add_f32 v[70:71], v[70:71], v[86:87]
	v_mov_b32_e32 v91, v83
	v_pk_add_f32 v[70:71], v[70:71], v[88:89]
	v_pk_add_f32 v[70:71], v[70:71], v[90:91]
	s_waitcnt vmcnt(0)
	v_pk_add_f32 v[70:71], v[96:97], v[70:71] neg_lo:[0,1] neg_hi:[0,1]
	buffer_store_dword v70, off, s[0:3], 0 offset:216
	buffer_store_dword v71, off, s[0:3], 0 offset:220
	s_and_saveexec_b64 s[4:5], vcc
	s_cbranch_execz .LBB97_165
; %bb.164:
	buffer_load_dword v70, off, s[0:3], 0 offset:208
	buffer_load_dword v71, off, s[0:3], 0 offset:212
	v_mov_b32_e32 v72, 0
	buffer_store_dword v72, off, s[0:3], 0 offset:208
	buffer_store_dword v72, off, s[0:3], 0 offset:212
	s_waitcnt vmcnt(2)
	ds_write_b64 v1, v[70:71]
.LBB97_165:
	s_or_b64 exec, exec, s[4:5]
	s_waitcnt lgkmcnt(0)
	; wave barrier
	s_waitcnt lgkmcnt(0)
	buffer_load_dword v85, off, s[0:3], 0 offset:220
	buffer_load_dword v87, off, s[0:3], 0 offset:228
	;; [unrolled: 1-line block ×16, first 2 shown]
	v_mov_b32_e32 v70, 0
	ds_read2_b64 v[72:75], v70 offset0:61 offset1:62
	ds_read2_b64 v[76:79], v70 offset0:63 offset1:64
	;; [unrolled: 1-line block ×3, first 2 shown]
	ds_read_b64 v[100:101], v70 offset:536
	v_cmp_lt_u32_e32 vcc, 25, v0
	s_waitcnt vmcnt(15)
	v_mov_b32_e32 v102, v85
	s_waitcnt vmcnt(14)
	v_mov_b32_e32 v104, v87
	s_waitcnt lgkmcnt(3)
	v_pk_mul_f32 v[102:103], v[72:73], v[102:103] op_sel_hi:[1,0]
	s_waitcnt vmcnt(13)
	v_mov_b32_e32 v106, v89
	v_pk_mul_f32 v[104:105], v[74:75], v[104:105] op_sel_hi:[1,0]
	s_waitcnt vmcnt(12)
	v_mov_b32_e32 v108, v91
	s_waitcnt lgkmcnt(2)
	v_pk_mul_f32 v[106:107], v[76:77], v[106:107] op_sel_hi:[1,0]
	s_waitcnt vmcnt(8)
	v_pk_fma_f32 v[116:117], v[72:73], v[84:85], v[102:103] op_sel:[0,0,1] op_sel_hi:[1,1,0] neg_lo:[0,0,1] neg_hi:[0,0,1]
	v_pk_fma_f32 v[72:73], v[72:73], v[84:85], v[102:103] op_sel:[0,0,1] op_sel_hi:[1,0,0]
	s_waitcnt vmcnt(7)
	v_pk_fma_f32 v[84:85], v[74:75], v[86:87], v[104:105] op_sel:[0,0,1] op_sel_hi:[1,1,0] neg_lo:[0,0,1] neg_hi:[0,0,1]
	v_pk_fma_f32 v[74:75], v[74:75], v[86:87], v[104:105] op_sel:[0,0,1] op_sel_hi:[1,0,0]
	v_mov_b32_e32 v117, v73
	v_mov_b32_e32 v110, v93
	v_pk_mul_f32 v[108:109], v[78:79], v[108:109] op_sel_hi:[1,0]
	s_waitcnt vmcnt(6)
	v_pk_fma_f32 v[86:87], v[76:77], v[88:89], v[106:107] op_sel:[0,0,1] op_sel_hi:[1,1,0] neg_lo:[0,0,1] neg_hi:[0,0,1]
	v_pk_fma_f32 v[76:77], v[76:77], v[88:89], v[106:107] op_sel:[0,0,1] op_sel_hi:[1,0,0]
	v_mov_b32_e32 v85, v75
	v_pk_add_f32 v[72:73], v[116:117], 0 op_sel_hi:[1,0]
	v_mov_b32_e32 v112, v95
	s_waitcnt lgkmcnt(1)
	v_pk_mul_f32 v[110:111], v[80:81], v[110:111] op_sel_hi:[1,0]
	s_waitcnt vmcnt(5)
	v_pk_fma_f32 v[88:89], v[78:79], v[90:91], v[108:109] op_sel:[0,0,1] op_sel_hi:[1,1,0] neg_lo:[0,0,1] neg_hi:[0,0,1]
	v_pk_fma_f32 v[78:79], v[78:79], v[90:91], v[108:109] op_sel:[0,0,1] op_sel_hi:[1,0,0]
	v_mov_b32_e32 v87, v77
	v_pk_add_f32 v[72:73], v[72:73], v[84:85]
	v_mov_b32_e32 v114, v97
	v_pk_mul_f32 v[112:113], v[82:83], v[112:113] op_sel_hi:[1,0]
	s_waitcnt vmcnt(4)
	v_pk_fma_f32 v[90:91], v[80:81], v[92:93], v[110:111] op_sel:[0,0,1] op_sel_hi:[1,1,0] neg_lo:[0,0,1] neg_hi:[0,0,1]
	v_pk_fma_f32 v[80:81], v[80:81], v[92:93], v[110:111] op_sel:[0,0,1] op_sel_hi:[1,0,0]
	v_mov_b32_e32 v89, v79
	v_pk_add_f32 v[72:73], v[72:73], v[86:87]
	s_waitcnt lgkmcnt(0)
	v_pk_mul_f32 v[114:115], v[100:101], v[114:115] op_sel_hi:[1,0]
	s_waitcnt vmcnt(3)
	v_pk_fma_f32 v[92:93], v[82:83], v[94:95], v[112:113] op_sel:[0,0,1] op_sel_hi:[1,1,0] neg_lo:[0,0,1] neg_hi:[0,0,1]
	v_pk_fma_f32 v[82:83], v[82:83], v[94:95], v[112:113] op_sel:[0,0,1] op_sel_hi:[1,0,0]
	v_mov_b32_e32 v91, v81
	v_pk_add_f32 v[72:73], v[72:73], v[88:89]
	s_waitcnt vmcnt(2)
	v_pk_fma_f32 v[94:95], v[100:101], v[96:97], v[114:115] op_sel:[0,0,1] op_sel_hi:[1,1,0] neg_lo:[0,0,1] neg_hi:[0,0,1]
	v_pk_fma_f32 v[96:97], v[100:101], v[96:97], v[114:115] op_sel:[0,0,1] op_sel_hi:[1,0,0]
	v_mov_b32_e32 v93, v83
	v_pk_add_f32 v[72:73], v[72:73], v[90:91]
	v_mov_b32_e32 v95, v97
	v_pk_add_f32 v[72:73], v[72:73], v[92:93]
	v_pk_add_f32 v[72:73], v[72:73], v[94:95]
	s_waitcnt vmcnt(0)
	v_pk_add_f32 v[72:73], v[98:99], v[72:73] neg_lo:[0,1] neg_hi:[0,1]
	buffer_store_dword v72, off, s[0:3], 0 offset:208
	buffer_store_dword v73, off, s[0:3], 0 offset:212
	s_and_saveexec_b64 s[4:5], vcc
	s_cbranch_execz .LBB97_167
; %bb.166:
	buffer_load_dword v72, off, s[0:3], 0 offset:200
	buffer_load_dword v73, off, s[0:3], 0 offset:204
	s_waitcnt vmcnt(0)
	ds_write_b64 v1, v[72:73]
	buffer_store_dword v70, off, s[0:3], 0 offset:200
	buffer_store_dword v70, off, s[0:3], 0 offset:204
.LBB97_167:
	s_or_b64 exec, exec, s[4:5]
	s_waitcnt lgkmcnt(0)
	; wave barrier
	s_waitcnt lgkmcnt(0)
	buffer_load_dword v89, off, s[0:3], 0 offset:212
	buffer_load_dword v91, off, s[0:3], 0 offset:220
	;; [unrolled: 1-line block ×18, first 2 shown]
	ds_read_b128 v[72:75], v70 offset:480
	ds_read_b128 v[76:79], v70 offset:496
	;; [unrolled: 1-line block ×4, first 2 shown]
	v_cmp_lt_u32_e32 vcc, 24, v0
	s_waitcnt vmcnt(17)
	v_mov_b32_e32 v70, v89
	s_waitcnt vmcnt(16)
	v_mov_b32_e32 v106, v91
	s_waitcnt lgkmcnt(3)
	v_pk_mul_f32 v[70:71], v[72:73], v[70:71] op_sel_hi:[1,0]
	s_waitcnt vmcnt(15)
	v_mov_b32_e32 v108, v93
	v_pk_mul_f32 v[106:107], v[74:75], v[106:107] op_sel_hi:[1,0]
	s_waitcnt vmcnt(14)
	v_mov_b32_e32 v110, v95
	s_waitcnt lgkmcnt(2)
	v_pk_mul_f32 v[108:109], v[76:77], v[108:109] op_sel_hi:[1,0]
	s_waitcnt vmcnt(13)
	v_mov_b32_e32 v112, v97
	s_waitcnt vmcnt(9)
	v_pk_fma_f32 v[120:121], v[72:73], v[88:89], v[70:71] op_sel:[0,0,1] op_sel_hi:[1,1,0] neg_lo:[0,0,1] neg_hi:[0,0,1]
	v_pk_fma_f32 v[70:71], v[72:73], v[88:89], v[70:71] op_sel:[0,0,1] op_sel_hi:[1,0,0]
	s_waitcnt vmcnt(8)
	v_pk_fma_f32 v[72:73], v[74:75], v[90:91], v[106:107] op_sel:[0,0,1] op_sel_hi:[1,1,0] neg_lo:[0,0,1] neg_hi:[0,0,1]
	v_pk_fma_f32 v[74:75], v[74:75], v[90:91], v[106:107] op_sel:[0,0,1] op_sel_hi:[1,0,0]
	v_mov_b32_e32 v121, v71
	v_pk_mul_f32 v[110:111], v[78:79], v[110:111] op_sel_hi:[1,0]
	s_waitcnt vmcnt(7)
	v_pk_fma_f32 v[88:89], v[76:77], v[92:93], v[108:109] op_sel:[0,0,1] op_sel_hi:[1,1,0] neg_lo:[0,0,1] neg_hi:[0,0,1]
	v_pk_fma_f32 v[76:77], v[76:77], v[92:93], v[108:109] op_sel:[0,0,1] op_sel_hi:[1,0,0]
	v_mov_b32_e32 v73, v75
	v_pk_add_f32 v[70:71], v[120:121], 0 op_sel_hi:[1,0]
	v_mov_b32_e32 v114, v99
	s_waitcnt lgkmcnt(1)
	v_pk_mul_f32 v[112:113], v[80:81], v[112:113] op_sel_hi:[1,0]
	s_waitcnt vmcnt(6)
	v_pk_fma_f32 v[90:91], v[78:79], v[94:95], v[110:111] op_sel:[0,0,1] op_sel_hi:[1,1,0] neg_lo:[0,0,1] neg_hi:[0,0,1]
	v_pk_fma_f32 v[78:79], v[78:79], v[94:95], v[110:111] op_sel:[0,0,1] op_sel_hi:[1,0,0]
	v_mov_b32_e32 v89, v77
	v_pk_add_f32 v[70:71], v[70:71], v[72:73]
	v_mov_b32_e32 v116, v101
	v_pk_mul_f32 v[114:115], v[82:83], v[114:115] op_sel_hi:[1,0]
	s_waitcnt vmcnt(5)
	v_pk_fma_f32 v[92:93], v[80:81], v[96:97], v[112:113] op_sel:[0,0,1] op_sel_hi:[1,1,0] neg_lo:[0,0,1] neg_hi:[0,0,1]
	v_pk_fma_f32 v[80:81], v[80:81], v[96:97], v[112:113] op_sel:[0,0,1] op_sel_hi:[1,0,0]
	v_mov_b32_e32 v91, v79
	v_pk_add_f32 v[70:71], v[70:71], v[88:89]
	v_mov_b32_e32 v118, v103
	s_waitcnt lgkmcnt(0)
	v_pk_mul_f32 v[116:117], v[84:85], v[116:117] op_sel_hi:[1,0]
	s_waitcnt vmcnt(4)
	v_pk_fma_f32 v[94:95], v[82:83], v[98:99], v[114:115] op_sel:[0,0,1] op_sel_hi:[1,1,0] neg_lo:[0,0,1] neg_hi:[0,0,1]
	v_pk_fma_f32 v[82:83], v[82:83], v[98:99], v[114:115] op_sel:[0,0,1] op_sel_hi:[1,0,0]
	v_mov_b32_e32 v93, v81
	v_pk_add_f32 v[70:71], v[70:71], v[90:91]
	v_pk_mul_f32 v[118:119], v[86:87], v[118:119] op_sel_hi:[1,0]
	s_waitcnt vmcnt(3)
	v_pk_fma_f32 v[96:97], v[84:85], v[100:101], v[116:117] op_sel:[0,0,1] op_sel_hi:[1,1,0] neg_lo:[0,0,1] neg_hi:[0,0,1]
	v_pk_fma_f32 v[84:85], v[84:85], v[100:101], v[116:117] op_sel:[0,0,1] op_sel_hi:[1,0,0]
	v_mov_b32_e32 v95, v83
	v_pk_add_f32 v[70:71], v[70:71], v[92:93]
	s_waitcnt vmcnt(2)
	v_pk_fma_f32 v[98:99], v[86:87], v[102:103], v[118:119] op_sel:[0,0,1] op_sel_hi:[1,1,0] neg_lo:[0,0,1] neg_hi:[0,0,1]
	v_pk_fma_f32 v[86:87], v[86:87], v[102:103], v[118:119] op_sel:[0,0,1] op_sel_hi:[1,0,0]
	v_mov_b32_e32 v97, v85
	v_pk_add_f32 v[70:71], v[70:71], v[94:95]
	v_mov_b32_e32 v99, v87
	v_pk_add_f32 v[70:71], v[70:71], v[96:97]
	v_pk_add_f32 v[70:71], v[70:71], v[98:99]
	s_waitcnt vmcnt(0)
	v_pk_add_f32 v[70:71], v[104:105], v[70:71] neg_lo:[0,1] neg_hi:[0,1]
	buffer_store_dword v70, off, s[0:3], 0 offset:200
	buffer_store_dword v71, off, s[0:3], 0 offset:204
	s_and_saveexec_b64 s[4:5], vcc
	s_cbranch_execz .LBB97_169
; %bb.168:
	buffer_load_dword v70, off, s[0:3], 0 offset:192
	buffer_load_dword v71, off, s[0:3], 0 offset:196
	v_mov_b32_e32 v72, 0
	buffer_store_dword v72, off, s[0:3], 0 offset:192
	buffer_store_dword v72, off, s[0:3], 0 offset:196
	s_waitcnt vmcnt(2)
	ds_write_b64 v1, v[70:71]
.LBB97_169:
	s_or_b64 exec, exec, s[4:5]
	s_waitcnt lgkmcnt(0)
	; wave barrier
	s_waitcnt lgkmcnt(0)
	buffer_load_dword v71, off, s[0:3], 0 offset:204
	buffer_load_dword v89, off, s[0:3], 0 offset:212
	;; [unrolled: 1-line block ×20, first 2 shown]
	v_mov_b32_e32 v70, 0
	ds_read2_b64 v[72:75], v70 offset0:59 offset1:60
	ds_read2_b64 v[76:79], v70 offset0:61 offset1:62
	;; [unrolled: 1-line block ×4, first 2 shown]
	ds_read_b64 v[106:107], v70 offset:536
	v_cmp_lt_u32_e32 vcc, 23, v0
	s_waitcnt vmcnt(19) lgkmcnt(4)
	v_mul_f32_e32 v109, v72, v71
	v_mul_f32_e32 v71, v73, v71
	s_waitcnt vmcnt(18)
	v_mov_b32_e32 v110, v89
	s_waitcnt vmcnt(17)
	v_mov_b32_e32 v112, v91
	s_waitcnt vmcnt(16)
	v_mov_b32_e32 v114, v93
	s_waitcnt vmcnt(15)
	v_mov_b32_e32 v116, v95
	s_waitcnt vmcnt(14)
	v_mov_b32_e32 v118, v97
	s_waitcnt vmcnt(13)
	v_mov_b32_e32 v120, v99
	s_waitcnt vmcnt(12)
	v_mov_b32_e32 v122, v101
	s_waitcnt vmcnt(11)
	v_mov_b32_e32 v124, v103
	s_waitcnt vmcnt(10)
	v_fmac_f32_e32 v109, v73, v108
	v_fma_f32 v108, v72, v108, -v71
	v_pk_mul_f32 v[72:73], v[74:75], v[110:111] op_sel_hi:[1,0]
	s_waitcnt lgkmcnt(3)
	v_pk_mul_f32 v[110:111], v[76:77], v[112:113] op_sel_hi:[1,0]
	v_pk_mul_f32 v[112:113], v[78:79], v[114:115] op_sel_hi:[1,0]
	s_waitcnt lgkmcnt(2)
	v_pk_mul_f32 v[114:115], v[80:81], v[116:117] op_sel_hi:[1,0]
	;; [unrolled: 3-line block ×4, first 2 shown]
	s_waitcnt vmcnt(9)
	v_pk_fma_f32 v[124:125], v[74:75], v[88:89], v[72:73] op_sel:[0,0,1] op_sel_hi:[1,1,0] neg_lo:[0,0,1] neg_hi:[0,0,1]
	v_pk_fma_f32 v[72:73], v[74:75], v[88:89], v[72:73] op_sel:[0,0,1] op_sel_hi:[1,0,0]
	v_pk_add_f32 v[108:109], v[108:109], 0 op_sel_hi:[1,0]
	s_waitcnt vmcnt(8)
	v_pk_fma_f32 v[74:75], v[76:77], v[90:91], v[110:111] op_sel:[0,0,1] op_sel_hi:[1,1,0] neg_lo:[0,0,1] neg_hi:[0,0,1]
	v_pk_fma_f32 v[76:77], v[76:77], v[90:91], v[110:111] op_sel:[0,0,1] op_sel_hi:[1,0,0]
	v_mov_b32_e32 v125, v73
	s_waitcnt vmcnt(7)
	v_pk_fma_f32 v[88:89], v[78:79], v[92:93], v[112:113] op_sel:[0,0,1] op_sel_hi:[1,1,0] neg_lo:[0,0,1] neg_hi:[0,0,1]
	v_pk_fma_f32 v[78:79], v[78:79], v[92:93], v[112:113] op_sel:[0,0,1] op_sel_hi:[1,0,0]
	v_mov_b32_e32 v75, v77
	v_pk_add_f32 v[72:73], v[108:109], v[124:125]
	s_waitcnt vmcnt(6)
	v_pk_fma_f32 v[90:91], v[80:81], v[94:95], v[114:115] op_sel:[0,0,1] op_sel_hi:[1,1,0] neg_lo:[0,0,1] neg_hi:[0,0,1]
	v_pk_fma_f32 v[80:81], v[80:81], v[94:95], v[114:115] op_sel:[0,0,1] op_sel_hi:[1,0,0]
	v_mov_b32_e32 v89, v79
	v_pk_add_f32 v[72:73], v[72:73], v[74:75]
	;; [unrolled: 5-line block ×5, first 2 shown]
	v_pk_fma_f32 v[98:99], v[106:107], v[102:103], v[122:123] op_sel:[0,0,1] op_sel_hi:[1,1,0] neg_lo:[0,0,1] neg_hi:[0,0,1]
	v_pk_fma_f32 v[100:101], v[106:107], v[102:103], v[122:123] op_sel:[0,0,1] op_sel_hi:[1,0,0]
	v_mov_b32_e32 v97, v87
	v_pk_add_f32 v[72:73], v[72:73], v[94:95]
	v_mov_b32_e32 v99, v101
	v_pk_add_f32 v[72:73], v[72:73], v[96:97]
	v_pk_add_f32 v[72:73], v[72:73], v[98:99]
	s_waitcnt vmcnt(0)
	v_pk_add_f32 v[72:73], v[104:105], v[72:73] neg_lo:[0,1] neg_hi:[0,1]
	buffer_store_dword v72, off, s[0:3], 0 offset:192
	buffer_store_dword v73, off, s[0:3], 0 offset:196
	s_and_saveexec_b64 s[4:5], vcc
	s_cbranch_execz .LBB97_171
; %bb.170:
	buffer_load_dword v72, off, s[0:3], 0 offset:184
	buffer_load_dword v73, off, s[0:3], 0 offset:188
	s_waitcnt vmcnt(0)
	ds_write_b64 v1, v[72:73]
	buffer_store_dword v70, off, s[0:3], 0 offset:184
	buffer_store_dword v70, off, s[0:3], 0 offset:188
.LBB97_171:
	s_or_b64 exec, exec, s[4:5]
	s_waitcnt lgkmcnt(0)
	; wave barrier
	s_waitcnt lgkmcnt(0)
	buffer_load_dword v110, off, s[0:3], 0 offset:196
	buffer_load_dword v112, off, s[0:3], 0 offset:204
	;; [unrolled: 1-line block ×22, first 2 shown]
	ds_read_b128 v[72:75], v70 offset:464
	ds_read_b128 v[76:79], v70 offset:480
	;; [unrolled: 1-line block ×5, first 2 shown]
	v_cmp_lt_u32_e32 vcc, 22, v0
	s_waitcnt vmcnt(21) lgkmcnt(4)
	v_mul_f32_e32 v71, v72, v110
	s_waitcnt vmcnt(20)
	v_mul_f32_e32 v111, v74, v112
	v_mul_f32_e32 v70, v73, v110
	;; [unrolled: 1-line block ×3, first 2 shown]
	s_waitcnt vmcnt(19)
	v_mov_b32_e32 v112, v93
	s_waitcnt vmcnt(18)
	v_mov_b32_e32 v114, v95
	;; [unrolled: 2-line block ×5, first 2 shown]
	v_mov_b32_e32 v118, v99
	s_waitcnt vmcnt(11)
	v_fmac_f32_e32 v71, v73, v113
	v_fma_f32 v70, v72, v113, -v70
	s_waitcnt lgkmcnt(3)
	v_pk_mul_f32 v[72:73], v[76:77], v[112:113] op_sel_hi:[1,0]
	s_waitcnt vmcnt(10)
	v_fmac_f32_e32 v111, v75, v115
	v_fma_f32 v110, v74, v115, -v110
	v_pk_mul_f32 v[74:75], v[78:79], v[114:115] op_sel_hi:[1,0]
	s_waitcnt lgkmcnt(2)
	v_pk_mul_f32 v[112:113], v[80:81], v[116:117] op_sel_hi:[1,0]
	s_waitcnt lgkmcnt(1)
	;; [unrolled: 2-line block ×3, first 2 shown]
	v_pk_mul_f32 v[120:121], v[88:89], v[124:125] op_sel_hi:[1,0]
	v_pk_add_f32 v[70:71], v[70:71], 0 op_sel_hi:[1,0]
	s_waitcnt vmcnt(9)
	v_pk_fma_f32 v[124:125], v[76:77], v[92:93], v[72:73] op_sel:[0,0,1] op_sel_hi:[1,1,0] neg_lo:[0,0,1] neg_hi:[0,0,1]
	v_pk_fma_f32 v[72:73], v[76:77], v[92:93], v[72:73] op_sel:[0,0,1] op_sel_hi:[1,0,0]
	s_waitcnt vmcnt(8)
	v_pk_fma_f32 v[76:77], v[78:79], v[94:95], v[74:75] op_sel:[0,0,1] op_sel_hi:[1,1,0] neg_lo:[0,0,1] neg_hi:[0,0,1]
	v_pk_fma_f32 v[74:75], v[78:79], v[94:95], v[74:75] op_sel:[0,0,1] op_sel_hi:[1,0,0]
	v_pk_add_f32 v[70:71], v[70:71], v[110:111]
	v_mov_b32_e32 v125, v73
	v_pk_mul_f32 v[114:115], v[82:83], v[118:119] op_sel_hi:[1,0]
	s_waitcnt vmcnt(7)
	v_pk_fma_f32 v[78:79], v[80:81], v[96:97], v[112:113] op_sel:[0,0,1] op_sel_hi:[1,1,0] neg_lo:[0,0,1] neg_hi:[0,0,1]
	v_pk_fma_f32 v[80:81], v[80:81], v[96:97], v[112:113] op_sel:[0,0,1] op_sel_hi:[1,0,0]
	v_mov_b32_e32 v77, v75
	v_pk_add_f32 v[70:71], v[70:71], v[124:125]
	v_mov_b32_e32 v122, v103
	s_waitcnt vmcnt(6)
	v_pk_fma_f32 v[92:93], v[82:83], v[98:99], v[114:115] op_sel:[0,0,1] op_sel_hi:[1,1,0] neg_lo:[0,0,1] neg_hi:[0,0,1]
	v_pk_fma_f32 v[82:83], v[82:83], v[98:99], v[114:115] op_sel:[0,0,1] op_sel_hi:[1,0,0]
	v_mov_b32_e32 v79, v81
	v_pk_add_f32 v[70:71], v[70:71], v[76:77]
	v_pk_mul_f32 v[118:119], v[86:87], v[122:123] op_sel_hi:[1,0]
	s_waitcnt vmcnt(5)
	v_pk_fma_f32 v[94:95], v[84:85], v[100:101], v[116:117] op_sel:[0,0,1] op_sel_hi:[1,1,0] neg_lo:[0,0,1] neg_hi:[0,0,1]
	v_pk_fma_f32 v[84:85], v[84:85], v[100:101], v[116:117] op_sel:[0,0,1] op_sel_hi:[1,0,0]
	v_mov_b32_e32 v93, v83
	v_pk_add_f32 v[70:71], v[70:71], v[78:79]
	v_mov_b32_e32 v126, v107
	s_waitcnt vmcnt(2)
	v_pk_fma_f32 v[96:97], v[86:87], v[102:103], v[118:119] op_sel:[0,0,1] op_sel_hi:[1,1,0] neg_lo:[0,0,1] neg_hi:[0,0,1]
	v_pk_fma_f32 v[86:87], v[86:87], v[102:103], v[118:119] op_sel:[0,0,1] op_sel_hi:[1,0,0]
	v_mov_b32_e32 v95, v85
	v_pk_add_f32 v[70:71], v[70:71], v[92:93]
	v_pk_mul_f32 v[122:123], v[90:91], v[126:127] op_sel_hi:[1,0]
	v_pk_fma_f32 v[98:99], v[88:89], v[104:105], v[120:121] op_sel:[0,0,1] op_sel_hi:[1,1,0] neg_lo:[0,0,1] neg_hi:[0,0,1]
	v_pk_fma_f32 v[88:89], v[88:89], v[104:105], v[120:121] op_sel:[0,0,1] op_sel_hi:[1,0,0]
	v_mov_b32_e32 v97, v87
	v_pk_add_f32 v[70:71], v[70:71], v[94:95]
	v_pk_fma_f32 v[100:101], v[90:91], v[106:107], v[122:123] op_sel:[0,0,1] op_sel_hi:[1,1,0] neg_lo:[0,0,1] neg_hi:[0,0,1]
	v_pk_fma_f32 v[90:91], v[90:91], v[106:107], v[122:123] op_sel:[0,0,1] op_sel_hi:[1,0,0]
	v_mov_b32_e32 v99, v89
	v_pk_add_f32 v[70:71], v[70:71], v[96:97]
	v_mov_b32_e32 v101, v91
	v_pk_add_f32 v[70:71], v[70:71], v[98:99]
	v_pk_add_f32 v[70:71], v[70:71], v[100:101]
	s_waitcnt vmcnt(0)
	v_pk_add_f32 v[70:71], v[108:109], v[70:71] neg_lo:[0,1] neg_hi:[0,1]
	buffer_store_dword v70, off, s[0:3], 0 offset:184
	buffer_store_dword v71, off, s[0:3], 0 offset:188
	s_and_saveexec_b64 s[4:5], vcc
	s_cbranch_execz .LBB97_173
; %bb.172:
	buffer_load_dword v70, off, s[0:3], 0 offset:176
	buffer_load_dword v71, off, s[0:3], 0 offset:180
	v_mov_b32_e32 v72, 0
	buffer_store_dword v72, off, s[0:3], 0 offset:176
	buffer_store_dword v72, off, s[0:3], 0 offset:180
	s_waitcnt vmcnt(2)
	ds_write_b64 v1, v[70:71]
.LBB97_173:
	s_or_b64 exec, exec, s[4:5]
	s_waitcnt lgkmcnt(0)
	; wave barrier
	s_waitcnt lgkmcnt(0)
	buffer_load_dword v73, off, s[0:3], 0 offset:188
	buffer_load_dword v112, off, s[0:3], 0 offset:196
	;; [unrolled: 1-line block ×24, first 2 shown]
	v_mov_b32_e32 v72, 0
	ds_read2_b64 v[74:77], v72 offset0:57 offset1:58
	ds_read2_b64 v[78:81], v72 offset0:59 offset1:60
	;; [unrolled: 1-line block ×5, first 2 shown]
	ds_read_b64 v[110:111], v72 offset:536
	v_cmp_lt_u32_e32 vcc, 21, v0
	s_waitcnt vmcnt(23) lgkmcnt(5)
	v_mul_f32_e32 v125, v74, v73
	v_mul_f32_e32 v73, v75, v73
	s_waitcnt vmcnt(22)
	v_mul_f32_e32 v113, v76, v112
	s_waitcnt vmcnt(21) lgkmcnt(4)
	v_mul_f32_e32 v115, v78, v114
	v_mul_f32_e32 v112, v77, v112
	;; [unrolled: 1-line block ×3, first 2 shown]
	s_waitcnt vmcnt(20)
	v_mov_b32_e32 v116, v71
	s_waitcnt vmcnt(19)
	v_mov_b32_e32 v118, v95
	;; [unrolled: 2-line block ×5, first 2 shown]
	s_waitcnt vmcnt(12)
	v_fmac_f32_e32 v125, v75, v117
	v_fma_f32 v73, v74, v117, -v73
	v_mov_b32_e32 v126, v103
	s_waitcnt vmcnt(11)
	v_fmac_f32_e32 v113, v77, v119
	s_waitcnt vmcnt(10)
	v_fmac_f32_e32 v115, v79, v121
	v_fma_f32 v112, v76, v119, -v112
	v_fma_f32 v114, v78, v121, -v114
	v_pk_mul_f32 v[74:75], v[80:81], v[116:117] op_sel_hi:[1,0]
	s_waitcnt lgkmcnt(3)
	v_pk_mul_f32 v[76:77], v[82:83], v[118:119] op_sel_hi:[1,0]
	v_pk_mul_f32 v[78:79], v[84:85], v[120:121] op_sel_hi:[1,0]
	s_waitcnt lgkmcnt(2)
	v_pk_mul_f32 v[116:117], v[86:87], v[122:123] op_sel_hi:[1,0]
	v_pk_mul_f32 v[118:119], v[88:89], v[124:125] op_sel_hi:[1,0]
	v_add_f32_e32 v125, 0, v125
	v_add_f32_e32 v124, 0, v73
	s_waitcnt lgkmcnt(1)
	v_pk_mul_f32 v[120:121], v[90:91], v[126:127] op_sel_hi:[1,0]
	s_waitcnt vmcnt(9)
	v_pk_fma_f32 v[126:127], v[80:81], v[70:71], v[74:75] op_sel:[0,0,1] op_sel_hi:[1,1,0] neg_lo:[0,0,1] neg_hi:[0,0,1]
	v_pk_fma_f32 v[70:71], v[80:81], v[70:71], v[74:75] op_sel:[0,0,1] op_sel_hi:[1,0,0]
	s_waitcnt vmcnt(8)
	v_pk_fma_f32 v[74:75], v[82:83], v[94:95], v[76:77] op_sel:[0,0,1] op_sel_hi:[1,1,0] neg_lo:[0,0,1] neg_hi:[0,0,1]
	v_pk_fma_f32 v[76:77], v[82:83], v[94:95], v[76:77] op_sel:[0,0,1] op_sel_hi:[1,0,0]
	;; [unrolled: 3-line block ×4, first 2 shown]
	v_pk_add_f32 v[98:99], v[124:125], v[112:113]
	v_mov_b32_e32 v127, v71
	v_pk_add_f32 v[70:71], v[98:99], v[114:115]
	v_mov_b32_e32 v75, v77
	;; [unrolled: 2-line block ×4, first 2 shown]
	s_waitcnt vmcnt(2)
	v_pk_fma_f32 v[86:87], v[88:89], v[100:101], v[118:119] op_sel:[0,0,1] op_sel_hi:[1,1,0] neg_lo:[0,0,1] neg_hi:[0,0,1]
	v_pk_fma_f32 v[88:89], v[88:89], v[100:101], v[118:119] op_sel:[0,0,1] op_sel_hi:[1,0,0]
	v_mov_b32_e32 v83, v85
	v_pk_add_f32 v[70:71], v[70:71], v[80:81]
	v_mov_b32_e32 v130, v107
	v_pk_mul_f32 v[122:123], v[92:93], v[128:129] op_sel_hi:[1,0]
	v_pk_fma_f32 v[94:95], v[90:91], v[102:103], v[120:121] op_sel:[0,0,1] op_sel_hi:[1,1,0] neg_lo:[0,0,1] neg_hi:[0,0,1]
	v_pk_fma_f32 v[90:91], v[90:91], v[102:103], v[120:121] op_sel:[0,0,1] op_sel_hi:[1,0,0]
	v_mov_b32_e32 v87, v89
	v_pk_add_f32 v[70:71], v[70:71], v[82:83]
	v_pk_fma_f32 v[96:97], v[92:93], v[104:105], v[122:123] op_sel:[0,0,1] op_sel_hi:[1,1,0] neg_lo:[0,0,1] neg_hi:[0,0,1]
	v_pk_fma_f32 v[92:93], v[92:93], v[104:105], v[122:123] op_sel:[0,0,1] op_sel_hi:[1,0,0]
	v_mov_b32_e32 v95, v91
	v_pk_add_f32 v[70:71], v[70:71], v[86:87]
	s_waitcnt lgkmcnt(0)
	v_pk_mul_f32 v[74:75], v[110:111], v[130:131] op_sel_hi:[1,0]
	v_mov_b32_e32 v97, v93
	v_pk_add_f32 v[70:71], v[70:71], v[94:95]
	v_pk_fma_f32 v[76:77], v[110:111], v[106:107], v[74:75] op_sel:[0,0,1] op_sel_hi:[1,1,0] neg_lo:[0,0,1] neg_hi:[0,0,1]
	v_pk_fma_f32 v[74:75], v[110:111], v[106:107], v[74:75] op_sel:[0,0,1] op_sel_hi:[1,0,0]
	v_pk_add_f32 v[70:71], v[70:71], v[96:97]
	v_mov_b32_e32 v77, v75
	v_pk_add_f32 v[70:71], v[70:71], v[76:77]
	s_waitcnt vmcnt(0)
	v_pk_add_f32 v[70:71], v[108:109], v[70:71] neg_lo:[0,1] neg_hi:[0,1]
	buffer_store_dword v71, off, s[0:3], 0 offset:180
	buffer_store_dword v70, off, s[0:3], 0 offset:176
	s_and_saveexec_b64 s[4:5], vcc
	s_cbranch_execz .LBB97_175
; %bb.174:
	buffer_load_dword v70, off, s[0:3], 0 offset:168
	buffer_load_dword v71, off, s[0:3], 0 offset:172
	s_waitcnt vmcnt(0)
	ds_write_b64 v1, v[70:71]
	buffer_store_dword v72, off, s[0:3], 0 offset:168
	buffer_store_dword v72, off, s[0:3], 0 offset:172
.LBB97_175:
	s_or_b64 exec, exec, s[4:5]
	s_waitcnt lgkmcnt(0)
	; wave barrier
	s_waitcnt lgkmcnt(0)
	ds_read_b128 v[74:77], v72 offset:448
	ds_read_b128 v[78:81], v72 offset:464
	;; [unrolled: 1-line block ×4, first 2 shown]
	buffer_load_dword v70, off, s[0:3], 0 offset:168
	buffer_load_dword v71, off, s[0:3], 0 offset:172
	;; [unrolled: 1-line block ×26, first 2 shown]
	v_cmp_lt_u32_e32 vcc, 20, v0
	s_waitcnt vmcnt(22) lgkmcnt(3)
	v_mul_f32_e32 v97, v74, v96
	v_fmac_f32_e32 v97, v75, v73
	v_mul_f32_e32 v75, v75, v96
	s_waitcnt vmcnt(20)
	v_mul_f32_e32 v99, v76, v100
	v_fma_f32 v73, v74, v73, -v75
	v_mul_f32_e32 v74, v77, v100
	v_add_f32_e32 v97, 0, v97
	v_fmac_f32_e32 v99, v77, v98
	v_add_f32_e32 v73, 0, v73
	v_fma_f32 v74, v76, v98, -v74
	v_add_f32_e32 v97, v97, v99
	s_waitcnt vmcnt(18) lgkmcnt(2)
	v_mul_f32_e32 v99, v78, v113
	v_add_f32_e32 v96, v73, v74
	v_mul_f32_e32 v73, v79, v113
	v_fmac_f32_e32 v99, v79, v112
	s_waitcnt vmcnt(16)
	v_mul_f32_e32 v101, v80, v115
	v_fma_f32 v98, v78, v112, -v73
	v_mul_f32_e32 v73, v81, v115
	v_fmac_f32_e32 v101, v81, v114
	v_fma_f32 v100, v80, v114, -v73
	ds_read_b128 v[74:77], v72 offset:512
	ds_read_b128 v[78:81], v72 offset:528
	v_pk_add_f32 v[72:73], v[96:97], v[98:99]
	s_waitcnt vmcnt(14)
	v_mov_b32_e32 v96, v91
	s_waitcnt lgkmcnt(3)
	v_pk_mul_f32 v[96:97], v[82:83], v[96:97] op_sel_hi:[1,0]
	v_pk_fma_f32 v[98:99], v[82:83], v[90:91], v[96:97] op_sel:[0,0,1] op_sel_hi:[1,1,0] neg_lo:[0,0,1] neg_hi:[0,0,1]
	v_pk_fma_f32 v[82:83], v[82:83], v[90:91], v[96:97] op_sel:[0,0,1] op_sel_hi:[1,0,0]
	s_waitcnt vmcnt(12)
	v_mov_b32_e32 v82, v93
	v_mov_b32_e32 v99, v83
	v_pk_mul_f32 v[82:83], v[84:85], v[82:83] op_sel_hi:[1,0]
	v_pk_fma_f32 v[90:91], v[84:85], v[92:93], v[82:83] op_sel:[0,0,1] op_sel_hi:[1,1,0] neg_lo:[0,0,1] neg_hi:[0,0,1]
	v_pk_fma_f32 v[82:83], v[84:85], v[92:93], v[82:83] op_sel:[0,0,1] op_sel_hi:[1,0,0]
	s_waitcnt vmcnt(10)
	v_mov_b32_e32 v82, v95
	v_mov_b32_e32 v91, v83
	s_waitcnt lgkmcnt(2)
	v_pk_mul_f32 v[82:83], v[86:87], v[82:83] op_sel_hi:[1,0]
	v_pk_add_f32 v[72:73], v[72:73], v[100:101]
	v_pk_fma_f32 v[84:85], v[86:87], v[94:95], v[82:83] op_sel:[0,0,1] op_sel_hi:[1,1,0] neg_lo:[0,0,1] neg_hi:[0,0,1]
	v_pk_fma_f32 v[82:83], v[86:87], v[94:95], v[82:83] op_sel:[0,0,1] op_sel_hi:[1,0,0]
	v_pk_add_f32 v[72:73], v[72:73], v[98:99]
	s_waitcnt vmcnt(9)
	v_mov_b32_e32 v82, v103
	v_pk_add_f32 v[72:73], v[72:73], v[90:91]
	v_mov_b32_e32 v85, v83
	v_pk_mul_f32 v[82:83], v[88:89], v[82:83] op_sel_hi:[1,0]
	v_pk_add_f32 v[72:73], v[72:73], v[84:85]
	s_waitcnt vmcnt(8)
	v_pk_fma_f32 v[84:85], v[88:89], v[102:103], v[82:83] op_sel:[0,0,1] op_sel_hi:[1,1,0] neg_lo:[0,0,1] neg_hi:[0,0,1]
	v_pk_fma_f32 v[82:83], v[88:89], v[102:103], v[82:83] op_sel:[0,0,1] op_sel_hi:[1,0,0]
	s_waitcnt vmcnt(7)
	v_mov_b32_e32 v82, v105
	v_mov_b32_e32 v85, v83
	s_waitcnt lgkmcnt(1)
	v_pk_mul_f32 v[82:83], v[74:75], v[82:83] op_sel_hi:[1,0]
	v_pk_add_f32 v[72:73], v[72:73], v[84:85]
	s_waitcnt vmcnt(6)
	v_pk_fma_f32 v[84:85], v[74:75], v[104:105], v[82:83] op_sel:[0,0,1] op_sel_hi:[1,1,0] neg_lo:[0,0,1] neg_hi:[0,0,1]
	v_pk_fma_f32 v[74:75], v[74:75], v[104:105], v[82:83] op_sel:[0,0,1] op_sel_hi:[1,0,0]
	s_waitcnt vmcnt(5)
	v_mov_b32_e32 v74, v107
	v_mov_b32_e32 v85, v75
	v_pk_mul_f32 v[74:75], v[76:77], v[74:75] op_sel_hi:[1,0]
	s_waitcnt vmcnt(4)
	v_pk_fma_f32 v[82:83], v[76:77], v[106:107], v[74:75] op_sel:[0,0,1] op_sel_hi:[1,1,0] neg_lo:[0,0,1] neg_hi:[0,0,1]
	v_pk_fma_f32 v[74:75], v[76:77], v[106:107], v[74:75] op_sel:[0,0,1] op_sel_hi:[1,0,0]
	s_waitcnt vmcnt(3)
	v_mov_b32_e32 v74, v109
	v_mov_b32_e32 v83, v75
	s_waitcnt lgkmcnt(0)
	v_pk_mul_f32 v[74:75], v[78:79], v[74:75] op_sel_hi:[1,0]
	s_waitcnt vmcnt(2)
	v_pk_fma_f32 v[76:77], v[78:79], v[108:109], v[74:75] op_sel:[0,0,1] op_sel_hi:[1,1,0] neg_lo:[0,0,1] neg_hi:[0,0,1]
	v_pk_fma_f32 v[74:75], v[78:79], v[108:109], v[74:75] op_sel:[0,0,1] op_sel_hi:[1,0,0]
	v_pk_add_f32 v[72:73], v[72:73], v[84:85]
	s_waitcnt vmcnt(1)
	v_mov_b32_e32 v74, v111
	v_pk_add_f32 v[72:73], v[72:73], v[82:83]
	v_mov_b32_e32 v77, v75
	v_pk_mul_f32 v[74:75], v[80:81], v[74:75] op_sel_hi:[1,0]
	v_pk_add_f32 v[72:73], v[72:73], v[76:77]
	s_waitcnt vmcnt(0)
	v_pk_fma_f32 v[76:77], v[80:81], v[110:111], v[74:75] op_sel:[0,0,1] op_sel_hi:[1,1,0] neg_lo:[0,0,1] neg_hi:[0,0,1]
	v_pk_fma_f32 v[74:75], v[80:81], v[110:111], v[74:75] op_sel:[0,0,1] op_sel_hi:[1,0,0]
	v_mov_b32_e32 v77, v75
	v_pk_add_f32 v[72:73], v[72:73], v[76:77]
	v_pk_add_f32 v[70:71], v[70:71], v[72:73] neg_lo:[0,1] neg_hi:[0,1]
	buffer_store_dword v71, off, s[0:3], 0 offset:172
	buffer_store_dword v70, off, s[0:3], 0 offset:168
	s_and_saveexec_b64 s[4:5], vcc
	s_cbranch_execz .LBB97_177
; %bb.176:
	buffer_load_dword v70, off, s[0:3], 0 offset:160
	buffer_load_dword v71, off, s[0:3], 0 offset:164
	v_mov_b32_e32 v72, 0
	buffer_store_dword v72, off, s[0:3], 0 offset:160
	buffer_store_dword v72, off, s[0:3], 0 offset:164
	s_waitcnt vmcnt(2)
	ds_write_b64 v1, v[70:71]
.LBB97_177:
	s_or_b64 exec, exec, s[4:5]
	v_mov_b32_e32 v72, 0
	s_waitcnt lgkmcnt(0)
	; wave barrier
	s_waitcnt lgkmcnt(0)
	ds_read2_b64 v[74:77], v72 offset0:55 offset1:56
	buffer_load_dword v70, off, s[0:3], 0 offset:160
	buffer_load_dword v71, off, s[0:3], 0 offset:164
	;; [unrolled: 1-line block ×16, first 2 shown]
	v_cmp_lt_u32_e32 vcc, 19, v0
	s_waitcnt vmcnt(12) lgkmcnt(0)
	v_mul_f32_e32 v78, v74, v86
	v_fmac_f32_e32 v78, v75, v73
	s_waitcnt vmcnt(10)
	v_mul_f32_e32 v79, v76, v88
	v_add_f32_e32 v78, 0, v78
	v_fmac_f32_e32 v79, v77, v87
	v_add_f32_e32 v82, v78, v79
	ds_read2_b64 v[78:81], v72 offset0:57 offset1:58
	v_mul_f32_e32 v75, v75, v86
	v_fma_f32 v73, v74, v73, -v75
	v_mul_f32_e32 v74, v77, v88
	v_add_f32_e32 v73, 0, v73
	s_waitcnt vmcnt(8) lgkmcnt(0)
	v_mul_f32_e32 v83, v78, v94
	v_fmac_f32_e32 v83, v79, v89
	v_add_f32_e32 v95, v82, v83
	ds_read2_b64 v[82:85], v72 offset0:59 offset1:60
	buffer_load_dword v101, off, s[0:3], 0 offset:228
	buffer_load_dword v100, off, s[0:3], 0 offset:224
	;; [unrolled: 1-line block ×12, first 2 shown]
	v_fma_f32 v74, v76, v87, -v74
	v_add_f32_e32 v73, v73, v74
	v_mul_f32_e32 v74, v79, v94
	v_fma_f32 v74, v78, v89, -v74
	s_waitcnt vmcnt(18)
	v_mul_f32_e32 v97, v80, v98
	v_add_f32_e32 v94, v73, v74
	v_mul_f32_e32 v73, v81, v98
	v_fmac_f32_e32 v97, v81, v96
	v_fma_f32 v96, v80, v96, -v73
	s_waitcnt vmcnt(16) lgkmcnt(0)
	v_mul_f32_e32 v99, v82, v113
	v_mul_f32_e32 v73, v83, v113
	v_pk_add_f32 v[94:95], v[94:95], v[96:97]
	s_waitcnt vmcnt(14)
	v_mov_b32_e32 v96, v91
	v_fmac_f32_e32 v99, v83, v112
	v_fma_f32 v98, v82, v112, -v73
	ds_read2_b64 v[74:77], v72 offset0:61 offset1:62
	ds_read2_b64 v[78:81], v72 offset0:63 offset1:64
	;; [unrolled: 1-line block ×3, first 2 shown]
	ds_read_b64 v[82:83], v72 offset:536
	v_pk_mul_f32 v[96:97], v[84:85], v[96:97] op_sel_hi:[1,0]
	v_pk_add_f32 v[94:95], v[94:95], v[98:99]
	v_pk_fma_f32 v[98:99], v[84:85], v[90:91], v[96:97] op_sel:[0,0,1] op_sel_hi:[1,1,0] neg_lo:[0,0,1] neg_hi:[0,0,1]
	v_pk_fma_f32 v[84:85], v[84:85], v[90:91], v[96:97] op_sel:[0,0,1] op_sel_hi:[1,0,0]
	s_waitcnt vmcnt(12)
	v_mov_b32_e32 v90, v93
	v_mov_b32_e32 v99, v85
	s_waitcnt lgkmcnt(3)
	v_pk_mul_f32 v[90:91], v[74:75], v[90:91] op_sel_hi:[1,0]
	v_pk_add_f32 v[84:85], v[94:95], v[98:99]
	v_pk_fma_f32 v[94:95], v[74:75], v[92:93], v[90:91] op_sel:[0,0,1] op_sel_hi:[1,1,0] neg_lo:[0,0,1] neg_hi:[0,0,1]
	v_pk_fma_f32 v[74:75], v[74:75], v[92:93], v[90:91] op_sel:[0,0,1] op_sel_hi:[1,0,0]
	v_mov_b32_e32 v95, v75
	v_pk_add_f32 v[74:75], v[84:85], v[94:95]
	s_waitcnt vmcnt(11)
	v_mov_b32_e32 v84, v101
	v_pk_mul_f32 v[84:85], v[76:77], v[84:85] op_sel_hi:[1,0]
	s_waitcnt vmcnt(10)
	v_pk_fma_f32 v[90:91], v[76:77], v[100:101], v[84:85] op_sel:[0,0,1] op_sel_hi:[1,1,0] neg_lo:[0,0,1] neg_hi:[0,0,1]
	v_pk_fma_f32 v[76:77], v[76:77], v[100:101], v[84:85] op_sel:[0,0,1] op_sel_hi:[1,0,0]
	s_waitcnt vmcnt(9)
	v_mov_b32_e32 v76, v103
	v_mov_b32_e32 v91, v77
	s_waitcnt lgkmcnt(2)
	v_pk_mul_f32 v[76:77], v[78:79], v[76:77] op_sel_hi:[1,0]
	s_waitcnt vmcnt(8)
	v_pk_fma_f32 v[84:85], v[78:79], v[102:103], v[76:77] op_sel:[0,0,1] op_sel_hi:[1,1,0] neg_lo:[0,0,1] neg_hi:[0,0,1]
	v_pk_fma_f32 v[76:77], v[78:79], v[102:103], v[76:77] op_sel:[0,0,1] op_sel_hi:[1,0,0]
	s_waitcnt vmcnt(7)
	v_mov_b32_e32 v76, v105
	v_mov_b32_e32 v85, v77
	v_pk_mul_f32 v[76:77], v[80:81], v[76:77] op_sel_hi:[1,0]
	s_waitcnt vmcnt(6)
	v_pk_fma_f32 v[78:79], v[80:81], v[104:105], v[76:77] op_sel:[0,0,1] op_sel_hi:[1,1,0] neg_lo:[0,0,1] neg_hi:[0,0,1]
	v_pk_fma_f32 v[76:77], v[80:81], v[104:105], v[76:77] op_sel:[0,0,1] op_sel_hi:[1,0,0]
	v_pk_add_f32 v[74:75], v[74:75], v[90:91]
	s_waitcnt vmcnt(5)
	v_mov_b32_e32 v76, v107
	v_pk_add_f32 v[74:75], v[74:75], v[84:85]
	v_mov_b32_e32 v79, v77
	s_waitcnt lgkmcnt(1)
	v_pk_mul_f32 v[76:77], v[86:87], v[76:77] op_sel_hi:[1,0]
	v_pk_add_f32 v[74:75], v[74:75], v[78:79]
	s_waitcnt vmcnt(4)
	v_pk_fma_f32 v[78:79], v[86:87], v[106:107], v[76:77] op_sel:[0,0,1] op_sel_hi:[1,1,0] neg_lo:[0,0,1] neg_hi:[0,0,1]
	v_pk_fma_f32 v[76:77], v[86:87], v[106:107], v[76:77] op_sel:[0,0,1] op_sel_hi:[1,0,0]
	s_waitcnt vmcnt(3)
	v_mov_b32_e32 v76, v109
	v_mov_b32_e32 v79, v77
	v_pk_mul_f32 v[76:77], v[88:89], v[76:77] op_sel_hi:[1,0]
	v_pk_add_f32 v[74:75], v[74:75], v[78:79]
	s_waitcnt vmcnt(2)
	v_pk_fma_f32 v[78:79], v[88:89], v[108:109], v[76:77] op_sel:[0,0,1] op_sel_hi:[1,1,0] neg_lo:[0,0,1] neg_hi:[0,0,1]
	v_pk_fma_f32 v[76:77], v[88:89], v[108:109], v[76:77] op_sel:[0,0,1] op_sel_hi:[1,0,0]
	s_waitcnt vmcnt(1)
	v_mov_b32_e32 v76, v111
	v_mov_b32_e32 v79, v77
	s_waitcnt lgkmcnt(0)
	v_pk_mul_f32 v[76:77], v[82:83], v[76:77] op_sel_hi:[1,0]
	v_pk_add_f32 v[74:75], v[74:75], v[78:79]
	s_waitcnt vmcnt(0)
	v_pk_fma_f32 v[78:79], v[82:83], v[110:111], v[76:77] op_sel:[0,0,1] op_sel_hi:[1,1,0] neg_lo:[0,0,1] neg_hi:[0,0,1]
	v_pk_fma_f32 v[76:77], v[82:83], v[110:111], v[76:77] op_sel:[0,0,1] op_sel_hi:[1,0,0]
	v_mov_b32_e32 v79, v77
	v_pk_add_f32 v[74:75], v[74:75], v[78:79]
	v_pk_add_f32 v[70:71], v[70:71], v[74:75] neg_lo:[0,1] neg_hi:[0,1]
	buffer_store_dword v71, off, s[0:3], 0 offset:164
	buffer_store_dword v70, off, s[0:3], 0 offset:160
	s_and_saveexec_b64 s[4:5], vcc
	s_cbranch_execz .LBB97_179
; %bb.178:
	buffer_load_dword v70, off, s[0:3], 0 offset:152
	buffer_load_dword v71, off, s[0:3], 0 offset:156
	s_waitcnt vmcnt(0)
	ds_write_b64 v1, v[70:71]
	buffer_store_dword v72, off, s[0:3], 0 offset:152
	buffer_store_dword v72, off, s[0:3], 0 offset:156
.LBB97_179:
	s_or_b64 exec, exec, s[4:5]
	s_waitcnt lgkmcnt(0)
	; wave barrier
	s_waitcnt lgkmcnt(0)
	ds_read_b128 v[74:77], v72 offset:432
	ds_read_b128 v[78:81], v72 offset:448
	;; [unrolled: 1-line block ×4, first 2 shown]
	buffer_load_dword v70, off, s[0:3], 0 offset:152
	buffer_load_dword v71, off, s[0:3], 0 offset:156
	;; [unrolled: 1-line block ×30, first 2 shown]
	v_cmp_lt_u32_e32 vcc, 18, v0
	s_waitcnt vmcnt(26) lgkmcnt(3)
	v_mul_f32_e32 v93, v74, v92
	v_fmac_f32_e32 v93, v75, v73
	v_mul_f32_e32 v75, v75, v92
	s_waitcnt vmcnt(24)
	v_mul_f32_e32 v95, v76, v96
	v_fma_f32 v73, v74, v73, -v75
	v_mul_f32_e32 v74, v77, v96
	v_add_f32_e32 v93, 0, v93
	v_fmac_f32_e32 v95, v77, v94
	v_add_f32_e32 v73, 0, v73
	v_fma_f32 v74, v76, v94, -v74
	v_add_f32_e32 v93, v93, v95
	s_waitcnt vmcnt(22) lgkmcnt(2)
	v_mul_f32_e32 v95, v78, v113
	v_add_f32_e32 v73, v73, v74
	v_mul_f32_e32 v74, v79, v113
	v_fmac_f32_e32 v95, v79, v112
	v_fma_f32 v74, v78, v112, -v74
	v_add_f32_e32 v93, v93, v95
	s_waitcnt vmcnt(20)
	v_mul_f32_e32 v95, v80, v115
	v_add_f32_e32 v73, v73, v74
	v_mul_f32_e32 v74, v81, v115
	v_fmac_f32_e32 v95, v81, v114
	v_fma_f32 v74, v80, v114, -v74
	v_add_f32_e32 v93, v93, v95
	s_waitcnt vmcnt(18) lgkmcnt(1)
	v_mul_f32_e32 v95, v82, v117
	v_add_f32_e32 v92, v73, v74
	v_mul_f32_e32 v73, v83, v117
	v_fmac_f32_e32 v95, v83, v116
	s_waitcnt vmcnt(16)
	v_mul_f32_e32 v97, v84, v119
	v_fma_f32 v94, v82, v116, -v73
	v_mul_f32_e32 v73, v85, v119
	v_fmac_f32_e32 v97, v85, v118
	v_fma_f32 v96, v84, v118, -v73
	ds_read_b128 v[74:77], v72 offset:496
	ds_read_b128 v[78:81], v72 offset:512
	;; [unrolled: 1-line block ×3, first 2 shown]
	v_pk_add_f32 v[72:73], v[92:93], v[94:95]
	s_waitcnt vmcnt(14)
	v_mov_b32_e32 v92, v91
	s_waitcnt lgkmcnt(3)
	v_pk_mul_f32 v[92:93], v[86:87], v[92:93] op_sel_hi:[1,0]
	v_pk_fma_f32 v[94:95], v[86:87], v[90:91], v[92:93] op_sel:[0,0,1] op_sel_hi:[1,1,0] neg_lo:[0,0,1] neg_hi:[0,0,1]
	v_pk_fma_f32 v[86:87], v[86:87], v[90:91], v[92:93] op_sel:[0,0,1] op_sel_hi:[1,0,0]
	s_waitcnt vmcnt(13)
	v_mov_b32_e32 v86, v99
	v_mov_b32_e32 v95, v87
	v_pk_mul_f32 v[86:87], v[88:89], v[86:87] op_sel_hi:[1,0]
	s_waitcnt vmcnt(12)
	v_pk_fma_f32 v[90:91], v[88:89], v[98:99], v[86:87] op_sel:[0,0,1] op_sel_hi:[1,1,0] neg_lo:[0,0,1] neg_hi:[0,0,1]
	v_pk_fma_f32 v[86:87], v[88:89], v[98:99], v[86:87] op_sel:[0,0,1] op_sel_hi:[1,0,0]
	s_waitcnt vmcnt(11)
	v_mov_b32_e32 v86, v101
	v_mov_b32_e32 v91, v87
	s_waitcnt lgkmcnt(2)
	v_pk_mul_f32 v[86:87], v[74:75], v[86:87] op_sel_hi:[1,0]
	s_waitcnt vmcnt(10)
	v_pk_fma_f32 v[88:89], v[74:75], v[100:101], v[86:87] op_sel:[0,0,1] op_sel_hi:[1,1,0] neg_lo:[0,0,1] neg_hi:[0,0,1]
	v_pk_fma_f32 v[74:75], v[74:75], v[100:101], v[86:87] op_sel:[0,0,1] op_sel_hi:[1,0,0]
	s_waitcnt vmcnt(9)
	v_mov_b32_e32 v74, v103
	v_mov_b32_e32 v89, v75
	v_pk_mul_f32 v[74:75], v[76:77], v[74:75] op_sel_hi:[1,0]
	s_waitcnt vmcnt(8)
	v_pk_fma_f32 v[86:87], v[76:77], v[102:103], v[74:75] op_sel:[0,0,1] op_sel_hi:[1,1,0] neg_lo:[0,0,1] neg_hi:[0,0,1]
	v_pk_fma_f32 v[74:75], v[76:77], v[102:103], v[74:75] op_sel:[0,0,1] op_sel_hi:[1,0,0]
	v_pk_add_f32 v[72:73], v[72:73], v[96:97]
	s_waitcnt vmcnt(7)
	v_mov_b32_e32 v74, v105
	v_pk_add_f32 v[72:73], v[72:73], v[94:95]
	v_mov_b32_e32 v87, v75
	s_waitcnt lgkmcnt(1)
	v_pk_mul_f32 v[74:75], v[78:79], v[74:75] op_sel_hi:[1,0]
	v_pk_add_f32 v[72:73], v[72:73], v[90:91]
	s_waitcnt vmcnt(6)
	v_pk_fma_f32 v[76:77], v[78:79], v[104:105], v[74:75] op_sel:[0,0,1] op_sel_hi:[1,1,0] neg_lo:[0,0,1] neg_hi:[0,0,1]
	v_pk_fma_f32 v[74:75], v[78:79], v[104:105], v[74:75] op_sel:[0,0,1] op_sel_hi:[1,0,0]
	v_pk_add_f32 v[72:73], v[72:73], v[88:89]
	s_waitcnt vmcnt(5)
	v_mov_b32_e32 v74, v107
	v_pk_add_f32 v[72:73], v[72:73], v[86:87]
	v_mov_b32_e32 v77, v75
	v_pk_mul_f32 v[74:75], v[80:81], v[74:75] op_sel_hi:[1,0]
	v_pk_add_f32 v[72:73], v[72:73], v[76:77]
	s_waitcnt vmcnt(4)
	v_pk_fma_f32 v[76:77], v[80:81], v[106:107], v[74:75] op_sel:[0,0,1] op_sel_hi:[1,1,0] neg_lo:[0,0,1] neg_hi:[0,0,1]
	v_pk_fma_f32 v[74:75], v[80:81], v[106:107], v[74:75] op_sel:[0,0,1] op_sel_hi:[1,0,0]
	s_waitcnt vmcnt(3)
	v_mov_b32_e32 v74, v109
	v_mov_b32_e32 v77, v75
	s_waitcnt lgkmcnt(0)
	v_pk_mul_f32 v[74:75], v[82:83], v[74:75] op_sel_hi:[1,0]
	v_pk_add_f32 v[72:73], v[72:73], v[76:77]
	s_waitcnt vmcnt(2)
	v_pk_fma_f32 v[76:77], v[82:83], v[108:109], v[74:75] op_sel:[0,0,1] op_sel_hi:[1,1,0] neg_lo:[0,0,1] neg_hi:[0,0,1]
	v_pk_fma_f32 v[74:75], v[82:83], v[108:109], v[74:75] op_sel:[0,0,1] op_sel_hi:[1,0,0]
	s_waitcnt vmcnt(1)
	v_mov_b32_e32 v74, v111
	v_mov_b32_e32 v77, v75
	v_pk_mul_f32 v[74:75], v[84:85], v[74:75] op_sel_hi:[1,0]
	v_pk_add_f32 v[72:73], v[72:73], v[76:77]
	s_waitcnt vmcnt(0)
	v_pk_fma_f32 v[76:77], v[84:85], v[110:111], v[74:75] op_sel:[0,0,1] op_sel_hi:[1,1,0] neg_lo:[0,0,1] neg_hi:[0,0,1]
	v_pk_fma_f32 v[74:75], v[84:85], v[110:111], v[74:75] op_sel:[0,0,1] op_sel_hi:[1,0,0]
	v_mov_b32_e32 v77, v75
	v_pk_add_f32 v[72:73], v[72:73], v[76:77]
	v_pk_add_f32 v[70:71], v[70:71], v[72:73] neg_lo:[0,1] neg_hi:[0,1]
	buffer_store_dword v71, off, s[0:3], 0 offset:156
	buffer_store_dword v70, off, s[0:3], 0 offset:152
	s_and_saveexec_b64 s[4:5], vcc
	s_cbranch_execz .LBB97_181
; %bb.180:
	buffer_load_dword v70, off, s[0:3], 0 offset:144
	buffer_load_dword v71, off, s[0:3], 0 offset:148
	v_mov_b32_e32 v72, 0
	buffer_store_dword v72, off, s[0:3], 0 offset:144
	buffer_store_dword v72, off, s[0:3], 0 offset:148
	s_waitcnt vmcnt(2)
	ds_write_b64 v1, v[70:71]
.LBB97_181:
	s_or_b64 exec, exec, s[4:5]
	v_mov_b32_e32 v72, 0
	s_waitcnt lgkmcnt(0)
	; wave barrier
	s_waitcnt lgkmcnt(0)
	ds_read2_b64 v[74:77], v72 offset0:53 offset1:54
	buffer_load_dword v70, off, s[0:3], 0 offset:144
	buffer_load_dword v71, off, s[0:3], 0 offset:148
	;; [unrolled: 1-line block ×16, first 2 shown]
	v_cmp_lt_u32_e32 vcc, 17, v0
	s_waitcnt vmcnt(12) lgkmcnt(0)
	v_mul_f32_e32 v78, v74, v90
	v_fmac_f32_e32 v78, v75, v73
	s_waitcnt vmcnt(10)
	v_mul_f32_e32 v79, v76, v94
	v_add_f32_e32 v78, 0, v78
	v_fmac_f32_e32 v79, v77, v92
	v_add_f32_e32 v82, v78, v79
	ds_read2_b64 v[78:81], v72 offset0:55 offset1:56
	v_mul_f32_e32 v75, v75, v90
	v_fma_f32 v73, v74, v73, -v75
	v_mul_f32_e32 v74, v77, v94
	v_add_f32_e32 v73, 0, v73
	s_waitcnt vmcnt(8) lgkmcnt(0)
	v_mul_f32_e32 v83, v78, v113
	v_fmac_f32_e32 v83, v79, v112
	v_add_f32_e32 v82, v82, v83
	s_waitcnt vmcnt(6)
	v_mul_f32_e32 v83, v80, v115
	v_fmac_f32_e32 v83, v81, v114
	v_add_f32_e32 v86, v82, v83
	ds_read2_b64 v[82:85], v72 offset0:57 offset1:58
	v_fma_f32 v74, v76, v92, -v74
	v_add_f32_e32 v73, v73, v74
	v_mul_f32_e32 v74, v79, v113
	v_fma_f32 v74, v78, v112, -v74
	s_waitcnt vmcnt(4) lgkmcnt(0)
	v_mul_f32_e32 v87, v82, v117
	v_fmac_f32_e32 v87, v83, v116
	v_add_f32_e32 v91, v86, v87
	ds_read2_b64 v[86:89], v72 offset0:59 offset1:60
	buffer_load_dword v97, off, s[0:3], 0 offset:212
	buffer_load_dword v96, off, s[0:3], 0 offset:208
	;; [unrolled: 1-line block ×16, first 2 shown]
	v_add_f32_e32 v73, v73, v74
	v_mul_f32_e32 v74, v81, v115
	v_fma_f32 v74, v80, v114, -v74
	v_add_f32_e32 v73, v73, v74
	v_mul_f32_e32 v74, v83, v117
	v_fma_f32 v74, v82, v116, -v74
	s_waitcnt vmcnt(18)
	v_mul_f32_e32 v93, v84, v119
	v_add_f32_e32 v90, v73, v74
	v_mul_f32_e32 v73, v85, v119
	v_fmac_f32_e32 v93, v85, v118
	v_fma_f32 v92, v84, v118, -v73
	s_waitcnt vmcnt(16) lgkmcnt(0)
	v_mul_f32_e32 v95, v86, v121
	v_mul_f32_e32 v73, v87, v121
	v_pk_add_f32 v[90:91], v[90:91], v[92:93]
	v_fmac_f32_e32 v95, v87, v120
	v_fma_f32 v94, v86, v120, -v73
	v_pk_add_f32 v[90:91], v[90:91], v[94:95]
	ds_read2_b64 v[74:77], v72 offset0:61 offset1:62
	ds_read2_b64 v[78:81], v72 offset0:63 offset1:64
	;; [unrolled: 1-line block ×3, first 2 shown]
	ds_read_b64 v[86:87], v72 offset:536
	s_waitcnt vmcnt(15)
	v_mov_b32_e32 v92, v97
	v_pk_mul_f32 v[92:93], v[88:89], v[92:93] op_sel_hi:[1,0]
	s_waitcnt vmcnt(14)
	v_pk_fma_f32 v[94:95], v[88:89], v[96:97], v[92:93] op_sel:[0,0,1] op_sel_hi:[1,1,0] neg_lo:[0,0,1] neg_hi:[0,0,1]
	v_pk_fma_f32 v[88:89], v[88:89], v[96:97], v[92:93] op_sel:[0,0,1] op_sel_hi:[1,0,0]
	v_mov_b32_e32 v95, v89
	v_pk_add_f32 v[88:89], v[90:91], v[94:95]
	s_waitcnt vmcnt(13)
	v_mov_b32_e32 v90, v99
	s_waitcnt lgkmcnt(3)
	v_pk_mul_f32 v[90:91], v[74:75], v[90:91] op_sel_hi:[1,0]
	s_waitcnt vmcnt(12)
	v_pk_fma_f32 v[92:93], v[74:75], v[98:99], v[90:91] op_sel:[0,0,1] op_sel_hi:[1,1,0] neg_lo:[0,0,1] neg_hi:[0,0,1]
	v_pk_fma_f32 v[74:75], v[74:75], v[98:99], v[90:91] op_sel:[0,0,1] op_sel_hi:[1,0,0]
	v_mov_b32_e32 v93, v75
	v_pk_add_f32 v[74:75], v[88:89], v[92:93]
	s_waitcnt vmcnt(11)
	v_mov_b32_e32 v88, v101
	v_pk_mul_f32 v[88:89], v[76:77], v[88:89] op_sel_hi:[1,0]
	s_waitcnt vmcnt(10)
	v_pk_fma_f32 v[90:91], v[76:77], v[100:101], v[88:89] op_sel:[0,0,1] op_sel_hi:[1,1,0] neg_lo:[0,0,1] neg_hi:[0,0,1]
	v_pk_fma_f32 v[76:77], v[76:77], v[100:101], v[88:89] op_sel:[0,0,1] op_sel_hi:[1,0,0]
	s_waitcnt vmcnt(9)
	v_mov_b32_e32 v76, v103
	v_mov_b32_e32 v91, v77
	s_waitcnt lgkmcnt(2)
	v_pk_mul_f32 v[76:77], v[78:79], v[76:77] op_sel_hi:[1,0]
	s_waitcnt vmcnt(8)
	v_pk_fma_f32 v[88:89], v[78:79], v[102:103], v[76:77] op_sel:[0,0,1] op_sel_hi:[1,1,0] neg_lo:[0,0,1] neg_hi:[0,0,1]
	v_pk_fma_f32 v[76:77], v[78:79], v[102:103], v[76:77] op_sel:[0,0,1] op_sel_hi:[1,0,0]
	s_waitcnt vmcnt(7)
	v_mov_b32_e32 v76, v105
	v_mov_b32_e32 v89, v77
	v_pk_mul_f32 v[76:77], v[80:81], v[76:77] op_sel_hi:[1,0]
	s_waitcnt vmcnt(6)
	v_pk_fma_f32 v[78:79], v[80:81], v[104:105], v[76:77] op_sel:[0,0,1] op_sel_hi:[1,1,0] neg_lo:[0,0,1] neg_hi:[0,0,1]
	v_pk_fma_f32 v[76:77], v[80:81], v[104:105], v[76:77] op_sel:[0,0,1] op_sel_hi:[1,0,0]
	v_pk_add_f32 v[74:75], v[74:75], v[90:91]
	s_waitcnt vmcnt(5)
	v_mov_b32_e32 v76, v107
	v_pk_add_f32 v[74:75], v[74:75], v[88:89]
	v_mov_b32_e32 v79, v77
	s_waitcnt lgkmcnt(1)
	v_pk_mul_f32 v[76:77], v[82:83], v[76:77] op_sel_hi:[1,0]
	v_pk_add_f32 v[74:75], v[74:75], v[78:79]
	s_waitcnt vmcnt(4)
	v_pk_fma_f32 v[78:79], v[82:83], v[106:107], v[76:77] op_sel:[0,0,1] op_sel_hi:[1,1,0] neg_lo:[0,0,1] neg_hi:[0,0,1]
	v_pk_fma_f32 v[76:77], v[82:83], v[106:107], v[76:77] op_sel:[0,0,1] op_sel_hi:[1,0,0]
	s_waitcnt vmcnt(3)
	v_mov_b32_e32 v76, v109
	v_mov_b32_e32 v79, v77
	v_pk_mul_f32 v[76:77], v[84:85], v[76:77] op_sel_hi:[1,0]
	v_pk_add_f32 v[74:75], v[74:75], v[78:79]
	s_waitcnt vmcnt(2)
	v_pk_fma_f32 v[78:79], v[84:85], v[108:109], v[76:77] op_sel:[0,0,1] op_sel_hi:[1,1,0] neg_lo:[0,0,1] neg_hi:[0,0,1]
	v_pk_fma_f32 v[76:77], v[84:85], v[108:109], v[76:77] op_sel:[0,0,1] op_sel_hi:[1,0,0]
	s_waitcnt vmcnt(1)
	v_mov_b32_e32 v76, v111
	v_mov_b32_e32 v79, v77
	s_waitcnt lgkmcnt(0)
	v_pk_mul_f32 v[76:77], v[86:87], v[76:77] op_sel_hi:[1,0]
	v_pk_add_f32 v[74:75], v[74:75], v[78:79]
	s_waitcnt vmcnt(0)
	v_pk_fma_f32 v[78:79], v[86:87], v[110:111], v[76:77] op_sel:[0,0,1] op_sel_hi:[1,1,0] neg_lo:[0,0,1] neg_hi:[0,0,1]
	v_pk_fma_f32 v[76:77], v[86:87], v[110:111], v[76:77] op_sel:[0,0,1] op_sel_hi:[1,0,0]
	v_mov_b32_e32 v79, v77
	v_pk_add_f32 v[74:75], v[74:75], v[78:79]
	v_pk_add_f32 v[70:71], v[70:71], v[74:75] neg_lo:[0,1] neg_hi:[0,1]
	buffer_store_dword v71, off, s[0:3], 0 offset:148
	buffer_store_dword v70, off, s[0:3], 0 offset:144
	s_and_saveexec_b64 s[4:5], vcc
	s_cbranch_execz .LBB97_183
; %bb.182:
	buffer_load_dword v70, off, s[0:3], 0 offset:136
	buffer_load_dword v71, off, s[0:3], 0 offset:140
	s_waitcnt vmcnt(0)
	ds_write_b64 v1, v[70:71]
	buffer_store_dword v72, off, s[0:3], 0 offset:136
	buffer_store_dword v72, off, s[0:3], 0 offset:140
.LBB97_183:
	s_or_b64 exec, exec, s[4:5]
	s_waitcnt lgkmcnt(0)
	; wave barrier
	s_waitcnt lgkmcnt(0)
	buffer_load_dword v120, off, s[0:3], 0 offset:148
	buffer_load_dword v122, off, s[0:3], 0 offset:156
	;; [unrolled: 1-line block ×32, first 2 shown]
	ds_read_b128 v[74:77], v72 offset:416
	ds_read_b128 v[78:81], v72 offset:432
	;; [unrolled: 1-line block ×4, first 2 shown]
	buffer_load_dword v119, off, s[0:3], 0 offset:268
	buffer_load_dword v118, off, s[0:3], 0 offset:264
	ds_read_b128 v[90:93], v72 offset:480
	ds_read_b128 v[94:97], v72 offset:496
	ds_read_b128 v[98:101], v72 offset:512
	ds_read_b128 v[70:73], v72 offset:528
	v_cmp_lt_u32_e32 vcc, 16, v0
	s_waitcnt vmcnt(33) lgkmcnt(7)
	v_mul_f32_e32 v138, v74, v120
	v_mul_f32_e32 v120, v75, v120
	s_waitcnt vmcnt(32)
	v_mul_f32_e32 v139, v76, v122
	s_waitcnt vmcnt(30) lgkmcnt(6)
	v_mul_f32_e32 v141, v80, v125
	v_mul_f32_e32 v122, v77, v122
	;; [unrolled: 1-line block ×5, first 2 shown]
	s_waitcnt vmcnt(25)
	v_fmac_f32_e32 v138, v75, v130
	v_fma_f32 v74, v74, v130, -v120
	s_waitcnt vmcnt(24)
	v_fmac_f32_e32 v139, v77, v131
	v_fma_f32 v75, v76, v131, -v122
	s_waitcnt vmcnt(22)
	v_fma_f32 v77, v80, v133, -v125
	v_add_f32_e32 v80, 0, v138
	v_add_f32_e32 v74, 0, v74
	v_fmac_f32_e32 v140, v79, v132
	v_fma_f32 v76, v78, v132, -v124
	v_add_f32_e32 v80, v80, v139
	v_add_f32_e32 v74, v74, v75
	s_waitcnt lgkmcnt(5)
	v_mul_f32_e32 v142, v82, v126
	v_mul_f32_e32 v126, v83, v126
	v_fmac_f32_e32 v141, v81, v133
	v_add_f32_e32 v75, v80, v140
	v_add_f32_e32 v74, v74, v76
	v_mul_f32_e32 v143, v84, v127
	v_mul_f32_e32 v127, v85, v127
	s_waitcnt vmcnt(21)
	v_fmac_f32_e32 v142, v83, v134
	v_fma_f32 v78, v82, v134, -v126
	v_add_f32_e32 v75, v75, v141
	v_add_f32_e32 v74, v74, v77
	s_waitcnt vmcnt(17)
	v_mov_b32_e32 v76, v103
	s_waitcnt lgkmcnt(4)
	v_mul_f32_e32 v121, v86, v128
	v_mul_f32_e32 v128, v87, v128
	v_fmac_f32_e32 v143, v85, v135
	v_fma_f32 v79, v84, v135, -v127
	v_add_f32_e32 v75, v75, v142
	v_add_f32_e32 v74, v74, v78
	s_waitcnt lgkmcnt(3)
	v_pk_mul_f32 v[76:77], v[90:91], v[76:77] op_sel_hi:[1,0]
	v_mul_f32_e32 v123, v88, v129
	v_mul_f32_e32 v129, v89, v129
	v_fmac_f32_e32 v121, v87, v136
	v_fma_f32 v120, v86, v136, -v128
	v_add_f32_e32 v75, v75, v143
	v_add_f32_e32 v74, v74, v79
	s_waitcnt vmcnt(14)
	v_pk_fma_f32 v[78:79], v[90:91], v[102:103], v[76:77] op_sel:[0,0,1] op_sel_hi:[1,1,0] neg_lo:[0,0,1] neg_hi:[0,0,1]
	v_pk_fma_f32 v[76:77], v[90:91], v[102:103], v[76:77] op_sel:[0,0,1] op_sel_hi:[1,0,0]
	v_fmac_f32_e32 v123, v89, v137
	v_fma_f32 v122, v88, v137, -v129
	v_pk_add_f32 v[74:75], v[74:75], v[120:121]
	s_waitcnt vmcnt(13)
	v_mov_b32_e32 v76, v107
	v_pk_add_f32 v[74:75], v[74:75], v[122:123]
	v_mov_b32_e32 v79, v77
	v_pk_mul_f32 v[76:77], v[92:93], v[76:77] op_sel_hi:[1,0]
	v_pk_add_f32 v[74:75], v[74:75], v[78:79]
	v_pk_fma_f32 v[78:79], v[92:93], v[106:107], v[76:77] op_sel:[0,0,1] op_sel_hi:[1,1,0] neg_lo:[0,0,1] neg_hi:[0,0,1]
	v_pk_fma_f32 v[76:77], v[92:93], v[106:107], v[76:77] op_sel:[0,0,1] op_sel_hi:[1,0,0]
	s_waitcnt vmcnt(12)
	v_mov_b32_e32 v76, v105
	v_mov_b32_e32 v79, v77
	s_waitcnt lgkmcnt(2)
	v_pk_mul_f32 v[76:77], v[94:95], v[76:77] op_sel_hi:[1,0]
	v_pk_add_f32 v[74:75], v[74:75], v[78:79]
	v_pk_fma_f32 v[78:79], v[94:95], v[104:105], v[76:77] op_sel:[0,0,1] op_sel_hi:[1,1,0] neg_lo:[0,0,1] neg_hi:[0,0,1]
	v_pk_fma_f32 v[76:77], v[94:95], v[104:105], v[76:77] op_sel:[0,0,1] op_sel_hi:[1,0,0]
	s_waitcnt vmcnt(11)
	v_mov_b32_e32 v76, v109
	v_mov_b32_e32 v79, v77
	v_pk_mul_f32 v[76:77], v[96:97], v[76:77] op_sel_hi:[1,0]
	v_pk_add_f32 v[74:75], v[74:75], v[78:79]
	s_waitcnt vmcnt(5)
	v_pk_fma_f32 v[78:79], v[96:97], v[108:109], v[76:77] op_sel:[0,0,1] op_sel_hi:[1,1,0] neg_lo:[0,0,1] neg_hi:[0,0,1]
	v_pk_fma_f32 v[76:77], v[96:97], v[108:109], v[76:77] op_sel:[0,0,1] op_sel_hi:[1,0,0]
	v_mov_b32_e32 v76, v115
	v_mov_b32_e32 v79, v77
	s_waitcnt lgkmcnt(1)
	v_pk_mul_f32 v[76:77], v[98:99], v[76:77] op_sel_hi:[1,0]
	v_pk_add_f32 v[74:75], v[74:75], v[78:79]
	v_pk_fma_f32 v[78:79], v[98:99], v[114:115], v[76:77] op_sel:[0,0,1] op_sel_hi:[1,1,0] neg_lo:[0,0,1] neg_hi:[0,0,1]
	v_pk_fma_f32 v[76:77], v[98:99], v[114:115], v[76:77] op_sel:[0,0,1] op_sel_hi:[1,0,0]
	v_mov_b32_e32 v76, v113
	v_mov_b32_e32 v79, v77
	v_pk_mul_f32 v[76:77], v[100:101], v[76:77] op_sel_hi:[1,0]
	v_pk_add_f32 v[74:75], v[74:75], v[78:79]
	v_pk_fma_f32 v[78:79], v[100:101], v[112:113], v[76:77] op_sel:[0,0,1] op_sel_hi:[1,1,0] neg_lo:[0,0,1] neg_hi:[0,0,1]
	v_pk_fma_f32 v[76:77], v[100:101], v[112:113], v[76:77] op_sel:[0,0,1] op_sel_hi:[1,0,0]
	s_waitcnt vmcnt(2)
	v_mov_b32_e32 v76, v111
	v_mov_b32_e32 v79, v77
	s_waitcnt lgkmcnt(0)
	v_pk_mul_f32 v[76:77], v[70:71], v[76:77] op_sel_hi:[1,0]
	v_pk_add_f32 v[74:75], v[74:75], v[78:79]
	v_pk_fma_f32 v[78:79], v[70:71], v[110:111], v[76:77] op_sel:[0,0,1] op_sel_hi:[1,1,0] neg_lo:[0,0,1] neg_hi:[0,0,1]
	v_pk_fma_f32 v[70:71], v[70:71], v[110:111], v[76:77] op_sel:[0,0,1] op_sel_hi:[1,0,0]
	v_mov_b32_e32 v79, v71
	v_pk_add_f32 v[70:71], v[74:75], v[78:79]
	s_waitcnt vmcnt(1)
	v_mov_b32_e32 v74, v119
	v_pk_mul_f32 v[74:75], v[72:73], v[74:75] op_sel_hi:[1,0]
	s_waitcnt vmcnt(0)
	v_pk_fma_f32 v[76:77], v[72:73], v[118:119], v[74:75] op_sel:[0,0,1] op_sel_hi:[1,1,0] neg_lo:[0,0,1] neg_hi:[0,0,1]
	v_pk_fma_f32 v[72:73], v[72:73], v[118:119], v[74:75] op_sel:[0,0,1] op_sel_hi:[1,0,0]
	v_mov_b32_e32 v77, v73
	v_pk_add_f32 v[70:71], v[70:71], v[76:77]
	v_pk_add_f32 v[70:71], v[116:117], v[70:71] neg_lo:[0,1] neg_hi:[0,1]
	buffer_store_dword v71, off, s[0:3], 0 offset:140
	buffer_store_dword v70, off, s[0:3], 0 offset:136
	s_and_saveexec_b64 s[4:5], vcc
	s_cbranch_execz .LBB97_185
; %bb.184:
	buffer_load_dword v70, off, s[0:3], 0 offset:128
	buffer_load_dword v71, off, s[0:3], 0 offset:132
	v_mov_b32_e32 v72, 0
	buffer_store_dword v72, off, s[0:3], 0 offset:128
	buffer_store_dword v72, off, s[0:3], 0 offset:132
	s_waitcnt vmcnt(2)
	ds_write_b64 v1, v[70:71]
.LBB97_185:
	s_or_b64 exec, exec, s[4:5]
	s_waitcnt lgkmcnt(0)
	; wave barrier
	s_waitcnt lgkmcnt(0)
	buffer_load_dword v71, off, s[0:3], 0 offset:140
	buffer_load_dword v114, off, s[0:3], 0 offset:148
	;; [unrolled: 1-line block ×36, first 2 shown]
	v_mov_b32_e32 v70, 0
	ds_read2_b64 v[72:75], v70 offset0:51 offset1:52
	ds_read2_b64 v[76:79], v70 offset0:53 offset1:54
	;; [unrolled: 1-line block ×6, first 2 shown]
	v_cmp_lt_u32_e32 vcc, 15, v0
	s_waitcnt vmcnt(35) lgkmcnt(5)
	v_mul_f32_e32 v133, v72, v71
	s_waitcnt vmcnt(34)
	v_mul_f32_e32 v134, v74, v114
	s_waitcnt vmcnt(33) lgkmcnt(4)
	v_mul_f32_e32 v135, v76, v116
	v_mul_f32_e32 v71, v73, v71
	;; [unrolled: 1-line block ×4, first 2 shown]
	s_waitcnt vmcnt(32)
	v_mul_f32_e32 v136, v78, v118
	s_waitcnt vmcnt(31) lgkmcnt(3)
	v_mul_f32_e32 v137, v80, v119
	v_mul_f32_e32 v118, v79, v118
	s_waitcnt vmcnt(26)
	v_fmac_f32_e32 v133, v73, v124
	s_waitcnt vmcnt(25)
	v_fmac_f32_e32 v134, v75, v125
	s_waitcnt vmcnt(24)
	v_fmac_f32_e32 v135, v77, v126
	v_fma_f32 v71, v72, v124, -v71
	v_add_f32_e32 v77, 0, v133
	v_fma_f32 v72, v74, v125, -v114
	v_add_f32_e32 v71, 0, v71
	v_add_f32_e32 v77, v77, v134
	s_waitcnt vmcnt(23)
	v_fmac_f32_e32 v136, v79, v127
	v_fma_f32 v73, v76, v126, -v116
	v_add_f32_e32 v71, v71, v72
	v_add_f32_e32 v72, v77, v135
	v_mul_f32_e32 v138, v82, v120
	v_mul_f32_e32 v119, v81, v119
	s_waitcnt vmcnt(22)
	v_fmac_f32_e32 v137, v81, v128
	v_fma_f32 v74, v78, v127, -v118
	v_add_f32_e32 v71, v71, v73
	v_add_f32_e32 v72, v72, v136
	s_waitcnt lgkmcnt(2)
	v_mul_f32_e32 v139, v84, v121
	v_mul_f32_e32 v120, v83, v120
	s_waitcnt vmcnt(21)
	v_fmac_f32_e32 v138, v83, v129
	v_fma_f32 v75, v80, v128, -v119
	v_add_f32_e32 v71, v71, v74
	v_add_f32_e32 v72, v72, v137
	v_mul_f32_e32 v121, v85, v121
	s_waitcnt vmcnt(20)
	v_fmac_f32_e32 v139, v85, v130
	v_fma_f32 v76, v82, v129, -v120
	v_add_f32_e32 v71, v71, v75
	v_add_f32_e32 v72, v72, v138
	;; [unrolled: 1-line block ×4, first 2 shown]
	v_fma_f32 v72, v84, v130, -v121
	s_waitcnt vmcnt(17)
	v_mov_b32_e32 v84, v97
	v_mul_f32_e32 v115, v86, v122
	v_add_f32_e32 v80, v71, v72
	v_mul_f32_e32 v71, v87, v122
	s_waitcnt lgkmcnt(1)
	v_pk_mul_f32 v[84:85], v[90:91], v[84:85] op_sel_hi:[1,0]
	v_mul_f32_e32 v117, v88, v123
	v_fmac_f32_e32 v115, v87, v131
	v_fma_f32 v114, v86, v131, -v71
	v_mul_f32_e32 v71, v89, v123
	s_waitcnt vmcnt(15)
	v_pk_fma_f32 v[86:87], v[90:91], v[96:97], v[84:85] op_sel:[0,0,1] op_sel_hi:[1,1,0] neg_lo:[0,0,1] neg_hi:[0,0,1]
	v_pk_fma_f32 v[84:85], v[90:91], v[96:97], v[84:85] op_sel:[0,0,1] op_sel_hi:[1,0,0]
	v_fmac_f32_e32 v117, v89, v132
	v_fma_f32 v116, v88, v132, -v71
	v_pk_add_f32 v[80:81], v[80:81], v[114:115]
	s_waitcnt vmcnt(12)
	v_mov_b32_e32 v84, v99
	v_pk_add_f32 v[80:81], v[80:81], v[116:117]
	v_mov_b32_e32 v87, v85
	s_waitcnt lgkmcnt(0)
	v_pk_mul_f32 v[84:85], v[92:93], v[84:85] op_sel_hi:[1,0]
	v_pk_add_f32 v[80:81], v[80:81], v[86:87]
	v_pk_fma_f32 v[86:87], v[92:93], v[98:99], v[84:85] op_sel:[0,0,1] op_sel_hi:[1,1,0] neg_lo:[0,0,1] neg_hi:[0,0,1]
	v_pk_fma_f32 v[84:85], v[92:93], v[98:99], v[84:85] op_sel:[0,0,1] op_sel_hi:[1,0,0]
	s_waitcnt vmcnt(11)
	v_mov_b32_e32 v84, v103
	ds_read2_b64 v[72:75], v70 offset0:63 offset1:64
	ds_read2_b64 v[76:79], v70 offset0:65 offset1:66
	ds_read_b64 v[82:83], v70 offset:536
	v_mov_b32_e32 v87, v85
	v_pk_mul_f32 v[84:85], v[94:95], v[84:85] op_sel_hi:[1,0]
	v_pk_add_f32 v[80:81], v[80:81], v[86:87]
	s_waitcnt vmcnt(4)
	v_pk_fma_f32 v[86:87], v[94:95], v[102:103], v[84:85] op_sel:[0,0,1] op_sel_hi:[1,1,0] neg_lo:[0,0,1] neg_hi:[0,0,1]
	v_pk_fma_f32 v[84:85], v[94:95], v[102:103], v[84:85] op_sel:[0,0,1] op_sel_hi:[1,0,0]
	v_mov_b32_e32 v84, v109
	v_mov_b32_e32 v87, v85
	s_waitcnt lgkmcnt(2)
	v_pk_mul_f32 v[84:85], v[72:73], v[84:85] op_sel_hi:[1,0]
	v_pk_add_f32 v[80:81], v[80:81], v[86:87]
	v_pk_fma_f32 v[86:87], v[72:73], v[108:109], v[84:85] op_sel:[0,0,1] op_sel_hi:[1,1,0] neg_lo:[0,0,1] neg_hi:[0,0,1]
	v_pk_fma_f32 v[72:73], v[72:73], v[108:109], v[84:85] op_sel:[0,0,1] op_sel_hi:[1,0,0]
	v_mov_b32_e32 v87, v73
	v_pk_add_f32 v[72:73], v[80:81], v[86:87]
	v_mov_b32_e32 v80, v107
	v_pk_mul_f32 v[80:81], v[74:75], v[80:81] op_sel_hi:[1,0]
	v_pk_fma_f32 v[84:85], v[74:75], v[106:107], v[80:81] op_sel:[0,0,1] op_sel_hi:[1,1,0] neg_lo:[0,0,1] neg_hi:[0,0,1]
	v_pk_fma_f32 v[74:75], v[74:75], v[106:107], v[80:81] op_sel:[0,0,1] op_sel_hi:[1,0,0]
	v_mov_b32_e32 v74, v105
	v_mov_b32_e32 v85, v75
	s_waitcnt lgkmcnt(1)
	v_pk_mul_f32 v[74:75], v[76:77], v[74:75] op_sel_hi:[1,0]
	v_pk_fma_f32 v[80:81], v[76:77], v[104:105], v[74:75] op_sel:[0,0,1] op_sel_hi:[1,1,0] neg_lo:[0,0,1] neg_hi:[0,0,1]
	v_pk_fma_f32 v[74:75], v[76:77], v[104:105], v[74:75] op_sel:[0,0,1] op_sel_hi:[1,0,0]
	s_waitcnt vmcnt(1)
	v_mov_b32_e32 v74, v113
	v_mov_b32_e32 v81, v75
	v_pk_mul_f32 v[74:75], v[78:79], v[74:75] op_sel_hi:[1,0]
	s_waitcnt vmcnt(0)
	v_pk_fma_f32 v[76:77], v[78:79], v[112:113], v[74:75] op_sel:[0,0,1] op_sel_hi:[1,1,0] neg_lo:[0,0,1] neg_hi:[0,0,1]
	v_pk_fma_f32 v[74:75], v[78:79], v[112:113], v[74:75] op_sel:[0,0,1] op_sel_hi:[1,0,0]
	v_pk_add_f32 v[72:73], v[72:73], v[84:85]
	v_mov_b32_e32 v74, v111
	v_pk_add_f32 v[72:73], v[72:73], v[80:81]
	v_mov_b32_e32 v77, v75
	s_waitcnt lgkmcnt(0)
	v_pk_mul_f32 v[74:75], v[82:83], v[74:75] op_sel_hi:[1,0]
	v_pk_add_f32 v[72:73], v[72:73], v[76:77]
	v_pk_fma_f32 v[76:77], v[82:83], v[110:111], v[74:75] op_sel:[0,0,1] op_sel_hi:[1,1,0] neg_lo:[0,0,1] neg_hi:[0,0,1]
	v_pk_fma_f32 v[74:75], v[82:83], v[110:111], v[74:75] op_sel:[0,0,1] op_sel_hi:[1,0,0]
	v_mov_b32_e32 v77, v75
	v_pk_add_f32 v[72:73], v[72:73], v[76:77]
	v_pk_add_f32 v[72:73], v[100:101], v[72:73] neg_lo:[0,1] neg_hi:[0,1]
	buffer_store_dword v73, off, s[0:3], 0 offset:132
	buffer_store_dword v72, off, s[0:3], 0 offset:128
	s_and_saveexec_b64 s[4:5], vcc
	s_cbranch_execz .LBB97_187
; %bb.186:
	buffer_load_dword v72, off, s[0:3], 0 offset:120
	buffer_load_dword v73, off, s[0:3], 0 offset:124
	s_waitcnt vmcnt(0)
	ds_write_b64 v1, v[72:73]
	buffer_store_dword v70, off, s[0:3], 0 offset:120
	buffer_store_dword v70, off, s[0:3], 0 offset:124
.LBB97_187:
	s_or_b64 exec, exec, s[4:5]
	s_waitcnt lgkmcnt(0)
	; wave barrier
	s_waitcnt lgkmcnt(0)
	buffer_load_dword v71, off, s[0:3], 0 offset:132
	buffer_load_dword v114, off, s[0:3], 0 offset:140
	buffer_load_dword v116, off, s[0:3], 0 offset:148
	buffer_load_dword v118, off, s[0:3], 0 offset:156
	buffer_load_dword v119, off, s[0:3], 0 offset:164
	buffer_load_dword v120, off, s[0:3], 0 offset:172
	buffer_load_dword v121, off, s[0:3], 0 offset:180
	buffer_load_dword v122, off, s[0:3], 0 offset:188
	buffer_load_dword v123, off, s[0:3], 0 offset:196
	buffer_load_dword v124, off, s[0:3], 0 offset:204
	buffer_load_dword v125, off, s[0:3], 0 offset:128
	buffer_load_dword v126, off, s[0:3], 0 offset:136
	buffer_load_dword v127, off, s[0:3], 0 offset:144
	buffer_load_dword v128, off, s[0:3], 0 offset:152
	buffer_load_dword v129, off, s[0:3], 0 offset:160
	buffer_load_dword v130, off, s[0:3], 0 offset:168
	buffer_load_dword v131, off, s[0:3], 0 offset:176
	buffer_load_dword v132, off, s[0:3], 0 offset:184
	buffer_load_dword v133, off, s[0:3], 0 offset:192
	buffer_load_dword v134, off, s[0:3], 0 offset:200
	buffer_load_dword v96, off, s[0:3], 0 offset:120
	buffer_load_dword v97, off, s[0:3], 0 offset:124
	ds_read_b128 v[72:75], v70 offset:400
	ds_read_b128 v[76:79], v70 offset:416
	buffer_load_dword v99, off, s[0:3], 0 offset:212
	buffer_load_dword v98, off, s[0:3], 0 offset:208
	;; [unrolled: 1-line block ×10, first 2 shown]
	ds_read_b128 v[80:83], v70 offset:432
	ds_read_b128 v[84:87], v70 offset:448
	;; [unrolled: 1-line block ×4, first 2 shown]
	buffer_load_dword v109, off, s[0:3], 0 offset:268
	buffer_load_dword v108, off, s[0:3], 0 offset:264
	;; [unrolled: 1-line block ×6, first 2 shown]
	v_cmp_lt_u32_e32 vcc, 14, v0
	s_waitcnt vmcnt(37) lgkmcnt(5)
	v_mul_f32_e32 v135, v72, v71
	s_waitcnt vmcnt(36)
	v_mul_f32_e32 v136, v74, v114
	s_waitcnt vmcnt(35) lgkmcnt(4)
	v_mul_f32_e32 v137, v76, v116
	v_mul_f32_e32 v71, v73, v71
	;; [unrolled: 1-line block ×4, first 2 shown]
	s_waitcnt vmcnt(34)
	v_mul_f32_e32 v138, v78, v118
	s_waitcnt vmcnt(33) lgkmcnt(3)
	v_mul_f32_e32 v139, v80, v119
	s_waitcnt vmcnt(32)
	v_mul_f32_e32 v140, v82, v120
	s_waitcnt vmcnt(31) lgkmcnt(2)
	v_mul_f32_e32 v141, v84, v121
	s_waitcnt vmcnt(27)
	v_fmac_f32_e32 v135, v73, v125
	s_waitcnt vmcnt(26)
	v_fmac_f32_e32 v136, v75, v126
	v_fma_f32 v71, v72, v125, -v71
	s_waitcnt vmcnt(25)
	v_fma_f32 v73, v76, v127, -v116
	v_add_f32_e32 v76, 0, v135
	v_fmac_f32_e32 v137, v77, v127
	v_fma_f32 v72, v74, v126, -v114
	v_add_f32_e32 v71, 0, v71
	v_add_f32_e32 v76, v76, v136
	s_waitcnt vmcnt(24)
	v_fmac_f32_e32 v138, v79, v128
	v_add_f32_e32 v71, v71, v72
	v_add_f32_e32 v72, v76, v137
	s_waitcnt vmcnt(23)
	v_fmac_f32_e32 v139, v81, v129
	v_add_f32_e32 v72, v72, v138
	v_mul_f32_e32 v118, v79, v118
	s_waitcnt vmcnt(22)
	v_fmac_f32_e32 v140, v83, v130
	v_add_f32_e32 v72, v72, v139
	v_mul_f32_e32 v142, v86, v122
	v_mul_f32_e32 v119, v81, v119
	s_waitcnt vmcnt(21)
	v_fmac_f32_e32 v141, v85, v131
	v_fma_f32 v74, v78, v128, -v118
	v_add_f32_e32 v71, v71, v73
	v_add_f32_e32 v72, v72, v140
	v_mul_f32_e32 v120, v83, v120
	s_waitcnt vmcnt(20)
	v_fmac_f32_e32 v142, v87, v132
	v_fma_f32 v75, v80, v129, -v119
	v_add_f32_e32 v71, v71, v74
	v_add_f32_e32 v72, v72, v141
	;; [unrolled: 1-line block ×4, first 2 shown]
	v_fma_f32 v72, v82, v130, -v120
	v_add_f32_e32 v71, v71, v72
	v_mul_f32_e32 v72, v85, v121
	v_fma_f32 v72, v84, v131, -v72
	v_add_f32_e32 v71, v71, v72
	v_mul_f32_e32 v72, v87, v122
	v_fma_f32 v72, v86, v132, -v72
	s_waitcnt vmcnt(15)
	v_mov_b32_e32 v84, v99
	s_waitcnt lgkmcnt(1)
	v_mul_f32_e32 v115, v88, v123
	v_add_f32_e32 v118, v71, v72
	v_mul_f32_e32 v71, v89, v123
	s_waitcnt lgkmcnt(0)
	v_pk_mul_f32 v[84:85], v[92:93], v[84:85] op_sel_hi:[1,0]
	v_mul_f32_e32 v117, v90, v124
	v_fmac_f32_e32 v115, v89, v133
	v_fma_f32 v114, v88, v133, -v71
	v_mul_f32_e32 v71, v91, v124
	s_waitcnt vmcnt(14)
	v_pk_fma_f32 v[86:87], v[92:93], v[98:99], v[84:85] op_sel:[0,0,1] op_sel_hi:[1,1,0] neg_lo:[0,0,1] neg_hi:[0,0,1]
	v_pk_fma_f32 v[84:85], v[92:93], v[98:99], v[84:85] op_sel:[0,0,1] op_sel_hi:[1,0,0]
	v_fmac_f32_e32 v117, v91, v134
	v_fma_f32 v116, v90, v134, -v71
	ds_read_b128 v[72:75], v70 offset:496
	ds_read_b128 v[76:79], v70 offset:512
	;; [unrolled: 1-line block ×3, first 2 shown]
	v_pk_add_f32 v[70:71], v[118:119], v[114:115]
	s_waitcnt vmcnt(13)
	v_mov_b32_e32 v84, v101
	v_pk_add_f32 v[70:71], v[70:71], v[116:117]
	v_mov_b32_e32 v87, v85
	v_pk_mul_f32 v[84:85], v[94:95], v[84:85] op_sel_hi:[1,0]
	v_pk_add_f32 v[70:71], v[70:71], v[86:87]
	s_waitcnt vmcnt(6)
	v_pk_fma_f32 v[86:87], v[94:95], v[100:101], v[84:85] op_sel:[0,0,1] op_sel_hi:[1,1,0] neg_lo:[0,0,1] neg_hi:[0,0,1]
	v_pk_fma_f32 v[84:85], v[94:95], v[100:101], v[84:85] op_sel:[0,0,1] op_sel_hi:[1,0,0]
	v_mov_b32_e32 v84, v107
	v_mov_b32_e32 v87, v85
	s_waitcnt lgkmcnt(2)
	v_pk_mul_f32 v[84:85], v[72:73], v[84:85] op_sel_hi:[1,0]
	v_pk_add_f32 v[70:71], v[70:71], v[86:87]
	v_pk_fma_f32 v[86:87], v[72:73], v[106:107], v[84:85] op_sel:[0,0,1] op_sel_hi:[1,1,0] neg_lo:[0,0,1] neg_hi:[0,0,1]
	v_pk_fma_f32 v[72:73], v[72:73], v[106:107], v[84:85] op_sel:[0,0,1] op_sel_hi:[1,0,0]
	v_mov_b32_e32 v72, v105
	v_mov_b32_e32 v87, v73
	v_pk_mul_f32 v[72:73], v[74:75], v[72:73] op_sel_hi:[1,0]
	v_pk_fma_f32 v[84:85], v[74:75], v[104:105], v[72:73] op_sel:[0,0,1] op_sel_hi:[1,1,0] neg_lo:[0,0,1] neg_hi:[0,0,1]
	v_pk_fma_f32 v[72:73], v[74:75], v[104:105], v[72:73] op_sel:[0,0,1] op_sel_hi:[1,0,0]
	v_mov_b32_e32 v72, v103
	v_mov_b32_e32 v85, v73
	s_waitcnt lgkmcnt(1)
	v_pk_mul_f32 v[72:73], v[76:77], v[72:73] op_sel_hi:[1,0]
	v_pk_fma_f32 v[74:75], v[76:77], v[102:103], v[72:73] op_sel:[0,0,1] op_sel_hi:[1,1,0] neg_lo:[0,0,1] neg_hi:[0,0,1]
	v_pk_fma_f32 v[72:73], v[76:77], v[102:103], v[72:73] op_sel:[0,0,1] op_sel_hi:[1,0,0]
	v_pk_add_f32 v[70:71], v[70:71], v[86:87]
	s_waitcnt vmcnt(1)
	v_mov_b32_e32 v72, v113
	v_pk_add_f32 v[70:71], v[70:71], v[84:85]
	v_mov_b32_e32 v75, v73
	v_pk_mul_f32 v[72:73], v[78:79], v[72:73] op_sel_hi:[1,0]
	v_pk_add_f32 v[70:71], v[70:71], v[74:75]
	s_waitcnt vmcnt(0)
	v_pk_fma_f32 v[74:75], v[78:79], v[112:113], v[72:73] op_sel:[0,0,1] op_sel_hi:[1,1,0] neg_lo:[0,0,1] neg_hi:[0,0,1]
	v_pk_fma_f32 v[72:73], v[78:79], v[112:113], v[72:73] op_sel:[0,0,1] op_sel_hi:[1,0,0]
	v_mov_b32_e32 v72, v111
	v_mov_b32_e32 v75, v73
	s_waitcnt lgkmcnt(0)
	v_pk_mul_f32 v[72:73], v[80:81], v[72:73] op_sel_hi:[1,0]
	v_pk_add_f32 v[70:71], v[70:71], v[74:75]
	v_pk_fma_f32 v[74:75], v[80:81], v[110:111], v[72:73] op_sel:[0,0,1] op_sel_hi:[1,1,0] neg_lo:[0,0,1] neg_hi:[0,0,1]
	v_pk_fma_f32 v[72:73], v[80:81], v[110:111], v[72:73] op_sel:[0,0,1] op_sel_hi:[1,0,0]
	v_mov_b32_e32 v72, v109
	v_mov_b32_e32 v75, v73
	v_pk_mul_f32 v[72:73], v[82:83], v[72:73] op_sel_hi:[1,0]
	v_pk_add_f32 v[70:71], v[70:71], v[74:75]
	v_pk_fma_f32 v[74:75], v[82:83], v[108:109], v[72:73] op_sel:[0,0,1] op_sel_hi:[1,1,0] neg_lo:[0,0,1] neg_hi:[0,0,1]
	v_pk_fma_f32 v[72:73], v[82:83], v[108:109], v[72:73] op_sel:[0,0,1] op_sel_hi:[1,0,0]
	v_mov_b32_e32 v75, v73
	v_pk_add_f32 v[70:71], v[70:71], v[74:75]
	v_pk_add_f32 v[70:71], v[96:97], v[70:71] neg_lo:[0,1] neg_hi:[0,1]
	buffer_store_dword v71, off, s[0:3], 0 offset:124
	buffer_store_dword v70, off, s[0:3], 0 offset:120
	s_and_saveexec_b64 s[4:5], vcc
	s_cbranch_execz .LBB97_189
; %bb.188:
	buffer_load_dword v70, off, s[0:3], 0 offset:112
	buffer_load_dword v71, off, s[0:3], 0 offset:116
	v_mov_b32_e32 v72, 0
	buffer_store_dword v72, off, s[0:3], 0 offset:112
	buffer_store_dword v72, off, s[0:3], 0 offset:116
	s_waitcnt vmcnt(2)
	ds_write_b64 v1, v[70:71]
.LBB97_189:
	s_or_b64 exec, exec, s[4:5]
	s_waitcnt lgkmcnt(0)
	; wave barrier
	s_waitcnt lgkmcnt(0)
	buffer_load_dword v71, off, s[0:3], 0 offset:124
	buffer_load_dword v114, off, s[0:3], 0 offset:132
	buffer_load_dword v116, off, s[0:3], 0 offset:140
	buffer_load_dword v118, off, s[0:3], 0 offset:148
	buffer_load_dword v120, off, s[0:3], 0 offset:156
	buffer_load_dword v121, off, s[0:3], 0 offset:164
	buffer_load_dword v122, off, s[0:3], 0 offset:172
	buffer_load_dword v123, off, s[0:3], 0 offset:180
	buffer_load_dword v124, off, s[0:3], 0 offset:188
	buffer_load_dword v125, off, s[0:3], 0 offset:196
	buffer_load_dword v126, off, s[0:3], 0 offset:204
	buffer_load_dword v119, off, s[0:3], 0 offset:120
	buffer_load_dword v127, off, s[0:3], 0 offset:128
	buffer_load_dword v128, off, s[0:3], 0 offset:136
	buffer_load_dword v129, off, s[0:3], 0 offset:144
	buffer_load_dword v130, off, s[0:3], 0 offset:152
	buffer_load_dword v131, off, s[0:3], 0 offset:160
	buffer_load_dword v132, off, s[0:3], 0 offset:168
	buffer_load_dword v133, off, s[0:3], 0 offset:176
	buffer_load_dword v134, off, s[0:3], 0 offset:184
	buffer_load_dword v135, off, s[0:3], 0 offset:192
	buffer_load_dword v136, off, s[0:3], 0 offset:200
	buffer_load_dword v96, off, s[0:3], 0 offset:112
	buffer_load_dword v97, off, s[0:3], 0 offset:116
	buffer_load_dword v99, off, s[0:3], 0 offset:236
	buffer_load_dword v98, off, s[0:3], 0 offset:232
	buffer_load_dword v101, off, s[0:3], 0 offset:228
	buffer_load_dword v100, off, s[0:3], 0 offset:224
	buffer_load_dword v103, off, s[0:3], 0 offset:220
	buffer_load_dword v102, off, s[0:3], 0 offset:216
	buffer_load_dword v105, off, s[0:3], 0 offset:212
	buffer_load_dword v104, off, s[0:3], 0 offset:208
	buffer_load_dword v107, off, s[0:3], 0 offset:268
	buffer_load_dword v106, off, s[0:3], 0 offset:264
	buffer_load_dword v109, off, s[0:3], 0 offset:260
	buffer_load_dword v108, off, s[0:3], 0 offset:256
	buffer_load_dword v111, off, s[0:3], 0 offset:252
	buffer_load_dword v110, off, s[0:3], 0 offset:248
	buffer_load_dword v113, off, s[0:3], 0 offset:244
	buffer_load_dword v112, off, s[0:3], 0 offset:240
	v_mov_b32_e32 v70, 0
	ds_read2_b64 v[72:75], v70 offset0:49 offset1:50
	ds_read2_b64 v[76:79], v70 offset0:51 offset1:52
	;; [unrolled: 1-line block ×6, first 2 shown]
	v_cmp_lt_u32_e32 vcc, 13, v0
	s_waitcnt vmcnt(39) lgkmcnt(5)
	v_mul_f32_e32 v137, v72, v71
	s_waitcnt vmcnt(38)
	v_mul_f32_e32 v138, v74, v114
	v_mul_f32_e32 v71, v73, v71
	s_waitcnt vmcnt(37) lgkmcnt(4)
	v_mul_f32_e32 v139, v76, v116
	v_mul_f32_e32 v114, v75, v114
	s_waitcnt vmcnt(36)
	v_mul_f32_e32 v140, v78, v118
	s_waitcnt vmcnt(35) lgkmcnt(3)
	v_mul_f32_e32 v141, v80, v120
	s_waitcnt vmcnt(34)
	v_mul_f32_e32 v142, v82, v121
	s_waitcnt vmcnt(33) lgkmcnt(2)
	;; [unrolled: 4-line block ×3, first 2 shown]
	v_mul_f32_e32 v145, v88, v124
	s_waitcnt vmcnt(28)
	v_fmac_f32_e32 v137, v73, v119
	s_waitcnt vmcnt(27)
	v_fmac_f32_e32 v138, v75, v127
	v_fma_f32 v71, v72, v119, -v71
	v_add_f32_e32 v75, 0, v137
	s_waitcnt vmcnt(26)
	v_fmac_f32_e32 v139, v77, v128
	v_fma_f32 v72, v74, v127, -v114
	v_add_f32_e32 v71, 0, v71
	v_add_f32_e32 v75, v75, v138
	s_waitcnt vmcnt(25)
	v_fmac_f32_e32 v140, v79, v129
	v_add_f32_e32 v71, v71, v72
	v_add_f32_e32 v72, v75, v139
	s_waitcnt vmcnt(24)
	v_fmac_f32_e32 v141, v81, v130
	v_add_f32_e32 v72, v72, v140
	s_waitcnt vmcnt(23)
	v_fmac_f32_e32 v142, v83, v131
	;; [unrolled: 3-line block ×3, first 2 shown]
	v_add_f32_e32 v72, v72, v142
	v_mul_f32_e32 v116, v77, v116
	s_waitcnt vmcnt(21)
	v_fmac_f32_e32 v144, v87, v133
	v_add_f32_e32 v72, v72, v143
	v_mul_f32_e32 v118, v79, v118
	s_waitcnt vmcnt(20)
	v_fmac_f32_e32 v145, v89, v134
	v_fma_f32 v73, v76, v128, -v116
	v_add_f32_e32 v72, v72, v144
	v_fma_f32 v74, v78, v129, -v118
	v_add_f32_e32 v71, v71, v73
	v_add_f32_e32 v119, v72, v145
	v_mul_f32_e32 v72, v81, v120
	v_add_f32_e32 v71, v71, v74
	v_fma_f32 v72, v80, v130, -v72
	v_add_f32_e32 v71, v71, v72
	v_mul_f32_e32 v72, v83, v121
	v_fma_f32 v72, v82, v131, -v72
	v_add_f32_e32 v71, v71, v72
	v_mul_f32_e32 v72, v85, v122
	;; [unrolled: 3-line block ×4, first 2 shown]
	v_fma_f32 v72, v88, v134, -v72
	s_waitcnt vmcnt(9)
	v_mov_b32_e32 v88, v105
	v_mul_f32_e32 v115, v90, v125
	v_add_f32_e32 v118, v71, v72
	v_mul_f32_e32 v71, v91, v125
	s_waitcnt lgkmcnt(0)
	v_pk_mul_f32 v[88:89], v[94:95], v[88:89] op_sel_hi:[1,0]
	v_mul_f32_e32 v117, v92, v126
	v_fmac_f32_e32 v115, v91, v135
	v_fma_f32 v114, v90, v135, -v71
	v_mul_f32_e32 v71, v93, v126
	ds_read2_b64 v[72:75], v70 offset0:61 offset1:62
	ds_read2_b64 v[76:79], v70 offset0:63 offset1:64
	;; [unrolled: 1-line block ×3, first 2 shown]
	ds_read_b64 v[84:85], v70 offset:536
	s_waitcnt vmcnt(8)
	v_pk_fma_f32 v[90:91], v[94:95], v[104:105], v[88:89] op_sel:[0,0,1] op_sel_hi:[1,1,0] neg_lo:[0,0,1] neg_hi:[0,0,1]
	v_pk_fma_f32 v[88:89], v[94:95], v[104:105], v[88:89] op_sel:[0,0,1] op_sel_hi:[1,0,0]
	v_fmac_f32_e32 v117, v93, v136
	v_fma_f32 v116, v92, v136, -v71
	v_pk_add_f32 v[86:87], v[118:119], v[114:115]
	v_mov_b32_e32 v88, v103
	v_pk_add_f32 v[86:87], v[86:87], v[116:117]
	v_mov_b32_e32 v91, v89
	s_waitcnt lgkmcnt(3)
	v_pk_mul_f32 v[88:89], v[72:73], v[88:89] op_sel_hi:[1,0]
	v_pk_add_f32 v[86:87], v[86:87], v[90:91]
	v_pk_fma_f32 v[90:91], v[72:73], v[102:103], v[88:89] op_sel:[0,0,1] op_sel_hi:[1,1,0] neg_lo:[0,0,1] neg_hi:[0,0,1]
	v_pk_fma_f32 v[72:73], v[72:73], v[102:103], v[88:89] op_sel:[0,0,1] op_sel_hi:[1,0,0]
	v_mov_b32_e32 v91, v73
	v_pk_add_f32 v[72:73], v[86:87], v[90:91]
	v_mov_b32_e32 v86, v101
	v_pk_mul_f32 v[86:87], v[74:75], v[86:87] op_sel_hi:[1,0]
	v_pk_fma_f32 v[88:89], v[74:75], v[100:101], v[86:87] op_sel:[0,0,1] op_sel_hi:[1,1,0] neg_lo:[0,0,1] neg_hi:[0,0,1]
	v_pk_fma_f32 v[74:75], v[74:75], v[100:101], v[86:87] op_sel:[0,0,1] op_sel_hi:[1,0,0]
	v_mov_b32_e32 v74, v99
	v_mov_b32_e32 v89, v75
	s_waitcnt lgkmcnt(2)
	v_pk_mul_f32 v[74:75], v[76:77], v[74:75] op_sel_hi:[1,0]
	v_pk_fma_f32 v[86:87], v[76:77], v[98:99], v[74:75] op_sel:[0,0,1] op_sel_hi:[1,1,0] neg_lo:[0,0,1] neg_hi:[0,0,1]
	v_pk_fma_f32 v[74:75], v[76:77], v[98:99], v[74:75] op_sel:[0,0,1] op_sel_hi:[1,0,0]
	s_waitcnt vmcnt(1)
	v_mov_b32_e32 v74, v113
	v_mov_b32_e32 v87, v75
	v_pk_mul_f32 v[74:75], v[78:79], v[74:75] op_sel_hi:[1,0]
	s_waitcnt vmcnt(0)
	v_pk_fma_f32 v[76:77], v[78:79], v[112:113], v[74:75] op_sel:[0,0,1] op_sel_hi:[1,1,0] neg_lo:[0,0,1] neg_hi:[0,0,1]
	v_pk_fma_f32 v[74:75], v[78:79], v[112:113], v[74:75] op_sel:[0,0,1] op_sel_hi:[1,0,0]
	v_pk_add_f32 v[72:73], v[72:73], v[88:89]
	v_mov_b32_e32 v74, v111
	v_pk_add_f32 v[72:73], v[72:73], v[86:87]
	v_mov_b32_e32 v77, v75
	s_waitcnt lgkmcnt(1)
	v_pk_mul_f32 v[74:75], v[80:81], v[74:75] op_sel_hi:[1,0]
	v_pk_add_f32 v[72:73], v[72:73], v[76:77]
	v_pk_fma_f32 v[76:77], v[80:81], v[110:111], v[74:75] op_sel:[0,0,1] op_sel_hi:[1,1,0] neg_lo:[0,0,1] neg_hi:[0,0,1]
	v_pk_fma_f32 v[74:75], v[80:81], v[110:111], v[74:75] op_sel:[0,0,1] op_sel_hi:[1,0,0]
	v_mov_b32_e32 v74, v109
	v_mov_b32_e32 v77, v75
	v_pk_mul_f32 v[74:75], v[82:83], v[74:75] op_sel_hi:[1,0]
	v_pk_add_f32 v[72:73], v[72:73], v[76:77]
	v_pk_fma_f32 v[76:77], v[82:83], v[108:109], v[74:75] op_sel:[0,0,1] op_sel_hi:[1,1,0] neg_lo:[0,0,1] neg_hi:[0,0,1]
	v_pk_fma_f32 v[74:75], v[82:83], v[108:109], v[74:75] op_sel:[0,0,1] op_sel_hi:[1,0,0]
	v_mov_b32_e32 v74, v107
	v_mov_b32_e32 v77, v75
	s_waitcnt lgkmcnt(0)
	v_pk_mul_f32 v[74:75], v[84:85], v[74:75] op_sel_hi:[1,0]
	v_pk_add_f32 v[72:73], v[72:73], v[76:77]
	v_pk_fma_f32 v[76:77], v[84:85], v[106:107], v[74:75] op_sel:[0,0,1] op_sel_hi:[1,1,0] neg_lo:[0,0,1] neg_hi:[0,0,1]
	v_pk_fma_f32 v[74:75], v[84:85], v[106:107], v[74:75] op_sel:[0,0,1] op_sel_hi:[1,0,0]
	v_mov_b32_e32 v77, v75
	v_pk_add_f32 v[72:73], v[72:73], v[76:77]
	v_pk_add_f32 v[72:73], v[96:97], v[72:73] neg_lo:[0,1] neg_hi:[0,1]
	buffer_store_dword v73, off, s[0:3], 0 offset:116
	buffer_store_dword v72, off, s[0:3], 0 offset:112
	s_and_saveexec_b64 s[4:5], vcc
	s_cbranch_execz .LBB97_191
; %bb.190:
	buffer_load_dword v72, off, s[0:3], 0 offset:104
	buffer_load_dword v73, off, s[0:3], 0 offset:108
	s_waitcnt vmcnt(0)
	ds_write_b64 v1, v[72:73]
	buffer_store_dword v70, off, s[0:3], 0 offset:104
	buffer_store_dword v70, off, s[0:3], 0 offset:108
.LBB97_191:
	s_or_b64 exec, exec, s[4:5]
	s_waitcnt lgkmcnt(0)
	; wave barrier
	s_waitcnt lgkmcnt(0)
	buffer_load_dword v71, off, s[0:3], 0 offset:116
	buffer_load_dword v114, off, s[0:3], 0 offset:124
	;; [unrolled: 1-line block ×26, first 2 shown]
	ds_read_b128 v[72:75], v70 offset:384
	ds_read_b128 v[76:79], v70 offset:400
	;; [unrolled: 1-line block ×6, first 2 shown]
	buffer_load_dword v99, off, s[0:3], 0 offset:228
	buffer_load_dword v98, off, s[0:3], 0 offset:224
	;; [unrolled: 1-line block ×16, first 2 shown]
	v_cmp_lt_u32_e32 vcc, 12, v0
	s_waitcnt vmcnt(41) lgkmcnt(5)
	v_mul_f32_e32 v139, v72, v71
	s_waitcnt vmcnt(40)
	v_mul_f32_e32 v140, v74, v114
	v_mul_f32_e32 v71, v73, v71
	;; [unrolled: 1-line block ×3, first 2 shown]
	s_waitcnt vmcnt(39) lgkmcnt(4)
	v_mul_f32_e32 v141, v76, v116
	s_waitcnt vmcnt(38)
	v_mul_f32_e32 v142, v78, v118
	s_waitcnt vmcnt(37) lgkmcnt(3)
	v_mul_f32_e32 v143, v80, v120
	s_waitcnt vmcnt(36)
	v_mul_f32_e32 v144, v82, v121
	;; [unrolled: 4-line block ×4, first 2 shown]
	s_waitcnt vmcnt(29)
	v_fmac_f32_e32 v139, v73, v119
	s_waitcnt vmcnt(28)
	v_fmac_f32_e32 v140, v75, v128
	v_fma_f32 v71, v72, v119, -v71
	v_fma_f32 v72, v74, v128, -v114
	v_add_f32_e32 v74, 0, v139
	s_waitcnt vmcnt(27)
	v_fmac_f32_e32 v141, v77, v129
	v_add_f32_e32 v71, 0, v71
	v_add_f32_e32 v74, v74, v140
	s_waitcnt vmcnt(26)
	v_fmac_f32_e32 v142, v79, v130
	v_add_f32_e32 v71, v71, v72
	;; [unrolled: 4-line block ×3, first 2 shown]
	s_waitcnt vmcnt(24)
	v_fmac_f32_e32 v144, v83, v132
	v_add_f32_e32 v72, v72, v143
	s_waitcnt vmcnt(23)
	v_fmac_f32_e32 v145, v85, v133
	v_add_f32_e32 v72, v72, v144
	;; [unrolled: 3-line block ×4, first 2 shown]
	v_mul_f32_e32 v116, v77, v116
	s_waitcnt vmcnt(20)
	v_fmac_f32_e32 v148, v91, v136
	v_add_f32_e32 v72, v72, v147
	v_fma_f32 v73, v76, v129, -v116
	v_add_f32_e32 v119, v72, v148
	v_mul_f32_e32 v72, v79, v118
	v_add_f32_e32 v71, v71, v73
	v_fma_f32 v72, v78, v130, -v72
	v_add_f32_e32 v71, v71, v72
	v_mul_f32_e32 v72, v81, v120
	v_fma_f32 v72, v80, v131, -v72
	v_add_f32_e32 v71, v71, v72
	v_mul_f32_e32 v72, v83, v121
	;; [unrolled: 3-line block ×6, first 2 shown]
	v_fma_f32 v72, v90, v136, -v72
	v_add_f32_e32 v118, v71, v72
	ds_read_b128 v[72:75], v70 offset:480
	ds_read_b128 v[76:79], v70 offset:496
	ds_read_b128 v[80:83], v70 offset:512
	ds_read_b128 v[84:87], v70 offset:528
	s_waitcnt vmcnt(11)
	v_mov_b32_e32 v88, v103
	s_waitcnt lgkmcnt(3)
	v_pk_mul_f32 v[88:89], v[72:73], v[88:89] op_sel_hi:[1,0]
	s_waitcnt vmcnt(10)
	v_pk_fma_f32 v[90:91], v[72:73], v[102:103], v[88:89] op_sel:[0,0,1] op_sel_hi:[1,1,0] neg_lo:[0,0,1] neg_hi:[0,0,1]
	v_pk_fma_f32 v[72:73], v[72:73], v[102:103], v[88:89] op_sel:[0,0,1] op_sel_hi:[1,0,0]
	v_mov_b32_e32 v72, v101
	v_mov_b32_e32 v91, v73
	v_pk_mul_f32 v[72:73], v[74:75], v[72:73] op_sel_hi:[1,0]
	v_mul_f32_e32 v115, v92, v126
	v_mul_f32_e32 v71, v93, v126
	v_pk_fma_f32 v[88:89], v[74:75], v[100:101], v[72:73] op_sel:[0,0,1] op_sel_hi:[1,1,0] neg_lo:[0,0,1] neg_hi:[0,0,1]
	v_pk_fma_f32 v[72:73], v[74:75], v[100:101], v[72:73] op_sel:[0,0,1] op_sel_hi:[1,0,0]
	v_mul_f32_e32 v117, v94, v127
	v_fmac_f32_e32 v115, v93, v137
	v_fma_f32 v114, v92, v137, -v71
	v_mul_f32_e32 v71, v95, v127
	v_mov_b32_e32 v72, v99
	v_fmac_f32_e32 v117, v95, v138
	v_fma_f32 v116, v94, v138, -v71
	v_pk_add_f32 v[70:71], v[118:119], v[114:115]
	v_mov_b32_e32 v89, v73
	s_waitcnt lgkmcnt(2)
	v_pk_mul_f32 v[72:73], v[76:77], v[72:73] op_sel_hi:[1,0]
	v_pk_add_f32 v[70:71], v[70:71], v[116:117]
	v_pk_fma_f32 v[74:75], v[76:77], v[98:99], v[72:73] op_sel:[0,0,1] op_sel_hi:[1,1,0] neg_lo:[0,0,1] neg_hi:[0,0,1]
	v_pk_fma_f32 v[72:73], v[76:77], v[98:99], v[72:73] op_sel:[0,0,1] op_sel_hi:[1,0,0]
	v_pk_add_f32 v[70:71], v[70:71], v[90:91]
	s_waitcnt vmcnt(3)
	v_mov_b32_e32 v72, v111
	v_pk_add_f32 v[70:71], v[70:71], v[88:89]
	v_mov_b32_e32 v75, v73
	v_pk_mul_f32 v[72:73], v[78:79], v[72:73] op_sel_hi:[1,0]
	v_pk_add_f32 v[70:71], v[70:71], v[74:75]
	s_waitcnt vmcnt(2)
	v_pk_fma_f32 v[74:75], v[78:79], v[110:111], v[72:73] op_sel:[0,0,1] op_sel_hi:[1,1,0] neg_lo:[0,0,1] neg_hi:[0,0,1]
	v_pk_fma_f32 v[72:73], v[78:79], v[110:111], v[72:73] op_sel:[0,0,1] op_sel_hi:[1,0,0]
	v_mov_b32_e32 v72, v109
	v_mov_b32_e32 v75, v73
	s_waitcnt lgkmcnt(1)
	v_pk_mul_f32 v[72:73], v[80:81], v[72:73] op_sel_hi:[1,0]
	v_pk_add_f32 v[70:71], v[70:71], v[74:75]
	v_pk_fma_f32 v[74:75], v[80:81], v[108:109], v[72:73] op_sel:[0,0,1] op_sel_hi:[1,1,0] neg_lo:[0,0,1] neg_hi:[0,0,1]
	v_pk_fma_f32 v[72:73], v[80:81], v[108:109], v[72:73] op_sel:[0,0,1] op_sel_hi:[1,0,0]
	v_mov_b32_e32 v72, v107
	v_mov_b32_e32 v75, v73
	v_pk_mul_f32 v[72:73], v[82:83], v[72:73] op_sel_hi:[1,0]
	v_pk_add_f32 v[70:71], v[70:71], v[74:75]
	v_pk_fma_f32 v[74:75], v[82:83], v[106:107], v[72:73] op_sel:[0,0,1] op_sel_hi:[1,1,0] neg_lo:[0,0,1] neg_hi:[0,0,1]
	v_pk_fma_f32 v[72:73], v[82:83], v[106:107], v[72:73] op_sel:[0,0,1] op_sel_hi:[1,0,0]
	v_mov_b32_e32 v72, v105
	v_mov_b32_e32 v75, v73
	s_waitcnt lgkmcnt(0)
	v_pk_mul_f32 v[72:73], v[84:85], v[72:73] op_sel_hi:[1,0]
	v_pk_add_f32 v[70:71], v[70:71], v[74:75]
	v_pk_fma_f32 v[74:75], v[84:85], v[104:105], v[72:73] op_sel:[0,0,1] op_sel_hi:[1,1,0] neg_lo:[0,0,1] neg_hi:[0,0,1]
	v_pk_fma_f32 v[72:73], v[84:85], v[104:105], v[72:73] op_sel:[0,0,1] op_sel_hi:[1,0,0]
	s_waitcnt vmcnt(1)
	v_mov_b32_e32 v72, v113
	v_mov_b32_e32 v75, v73
	v_pk_mul_f32 v[72:73], v[86:87], v[72:73] op_sel_hi:[1,0]
	v_pk_add_f32 v[70:71], v[70:71], v[74:75]
	s_waitcnt vmcnt(0)
	v_pk_fma_f32 v[74:75], v[86:87], v[112:113], v[72:73] op_sel:[0,0,1] op_sel_hi:[1,1,0] neg_lo:[0,0,1] neg_hi:[0,0,1]
	v_pk_fma_f32 v[72:73], v[86:87], v[112:113], v[72:73] op_sel:[0,0,1] op_sel_hi:[1,0,0]
	v_mov_b32_e32 v75, v73
	v_pk_add_f32 v[70:71], v[70:71], v[74:75]
	v_pk_add_f32 v[70:71], v[96:97], v[70:71] neg_lo:[0,1] neg_hi:[0,1]
	buffer_store_dword v71, off, s[0:3], 0 offset:108
	buffer_store_dword v70, off, s[0:3], 0 offset:104
	s_and_saveexec_b64 s[4:5], vcc
	s_cbranch_execz .LBB97_193
; %bb.192:
	buffer_load_dword v70, off, s[0:3], 0 offset:96
	buffer_load_dword v71, off, s[0:3], 0 offset:100
	v_mov_b32_e32 v72, 0
	buffer_store_dword v72, off, s[0:3], 0 offset:96
	buffer_store_dword v72, off, s[0:3], 0 offset:100
	s_waitcnt vmcnt(2)
	ds_write_b64 v1, v[70:71]
.LBB97_193:
	s_or_b64 exec, exec, s[4:5]
	s_waitcnt lgkmcnt(0)
	; wave barrier
	s_waitcnt lgkmcnt(0)
	buffer_load_dword v71, off, s[0:3], 0 offset:108
	buffer_load_dword v122, off, s[0:3], 0 offset:116
	buffer_load_dword v124, off, s[0:3], 0 offset:124
	buffer_load_dword v126, off, s[0:3], 0 offset:132
	buffer_load_dword v128, off, s[0:3], 0 offset:140
	buffer_load_dword v129, off, s[0:3], 0 offset:148
	buffer_load_dword v130, off, s[0:3], 0 offset:156
	buffer_load_dword v131, off, s[0:3], 0 offset:164
	buffer_load_dword v132, off, s[0:3], 0 offset:172
	buffer_load_dword v133, off, s[0:3], 0 offset:180
	buffer_load_dword v134, off, s[0:3], 0 offset:188
	buffer_load_dword v135, off, s[0:3], 0 offset:196
	buffer_load_dword v136, off, s[0:3], 0 offset:204
	buffer_load_dword v137, off, s[0:3], 0 offset:104
	buffer_load_dword v138, off, s[0:3], 0 offset:112
	buffer_load_dword v139, off, s[0:3], 0 offset:120
	buffer_load_dword v140, off, s[0:3], 0 offset:128
	buffer_load_dword v141, off, s[0:3], 0 offset:136
	buffer_load_dword v142, off, s[0:3], 0 offset:144
	buffer_load_dword v143, off, s[0:3], 0 offset:152
	buffer_load_dword v144, off, s[0:3], 0 offset:160
	buffer_load_dword v145, off, s[0:3], 0 offset:168
	buffer_load_dword v146, off, s[0:3], 0 offset:176
	buffer_load_dword v147, off, s[0:3], 0 offset:184
	buffer_load_dword v148, off, s[0:3], 0 offset:192
	buffer_load_dword v149, off, s[0:3], 0 offset:200
	buffer_load_dword v104, off, s[0:3], 0 offset:96
	buffer_load_dword v105, off, s[0:3], 0 offset:100
	buffer_load_dword v107, off, s[0:3], 0 offset:220
	buffer_load_dword v106, off, s[0:3], 0 offset:216
	buffer_load_dword v109, off, s[0:3], 0 offset:212
	buffer_load_dword v108, off, s[0:3], 0 offset:208
	buffer_load_dword v111, off, s[0:3], 0 offset:252
	buffer_load_dword v110, off, s[0:3], 0 offset:248
	buffer_load_dword v113, off, s[0:3], 0 offset:244
	buffer_load_dword v112, off, s[0:3], 0 offset:240
	buffer_load_dword v115, off, s[0:3], 0 offset:236
	buffer_load_dword v114, off, s[0:3], 0 offset:232
	buffer_load_dword v117, off, s[0:3], 0 offset:228
	buffer_load_dword v116, off, s[0:3], 0 offset:224
	buffer_load_dword v119, off, s[0:3], 0 offset:268
	buffer_load_dword v118, off, s[0:3], 0 offset:264
	buffer_load_dword v121, off, s[0:3], 0 offset:260
	buffer_load_dword v120, off, s[0:3], 0 offset:256
	v_mov_b32_e32 v70, 0
	ds_read2_b64 v[72:75], v70 offset0:47 offset1:48
	ds_read2_b64 v[76:79], v70 offset0:49 offset1:50
	;; [unrolled: 1-line block ×8, first 2 shown]
	v_cmp_lt_u32_e32 vcc, 11, v0
	s_waitcnt vmcnt(43) lgkmcnt(7)
	v_mul_f32_e32 v127, v72, v71
	v_mul_f32_e32 v71, v73, v71
	s_waitcnt vmcnt(42)
	v_mul_f32_e32 v150, v74, v122
	s_waitcnt vmcnt(41) lgkmcnt(6)
	v_mul_f32_e32 v151, v76, v124
	s_waitcnt vmcnt(40)
	v_mul_f32_e32 v152, v78, v126
	s_waitcnt vmcnt(39) lgkmcnt(5)
	;; [unrolled: 4-line block ×5, first 2 shown]
	v_mul_f32_e32 v159, v92, v134
	s_waitcnt vmcnt(32)
	v_mul_f32_e32 v123, v94, v135
	s_waitcnt vmcnt(30)
	v_fma_f32 v71, v72, v137, -v71
	v_mul_f32_e32 v72, v75, v122
	v_add_f32_e32 v71, 0, v71
	s_waitcnt vmcnt(29)
	v_fma_f32 v72, v74, v138, -v72
	v_add_f32_e32 v71, v71, v72
	v_mul_f32_e32 v72, v77, v124
	s_waitcnt vmcnt(28)
	v_fma_f32 v72, v76, v139, -v72
	v_add_f32_e32 v71, v71, v72
	v_mul_f32_e32 v72, v79, v126
	;; [unrolled: 4-line block ×4, first 2 shown]
	s_waitcnt vmcnt(25)
	v_fma_f32 v72, v82, v142, -v72
	v_fmac_f32_e32 v127, v73, v137
	v_add_f32_e32 v71, v71, v72
	v_mul_f32_e32 v72, v85, v130
	v_fmac_f32_e32 v150, v75, v138
	v_add_f32_e32 v73, 0, v127
	s_waitcnt vmcnt(24)
	v_fma_f32 v72, v84, v143, -v72
	v_fmac_f32_e32 v151, v77, v139
	v_add_f32_e32 v73, v73, v150
	v_add_f32_e32 v71, v71, v72
	v_mul_f32_e32 v72, v87, v131
	v_fmac_f32_e32 v152, v79, v140
	v_add_f32_e32 v73, v73, v151
	s_waitcnt vmcnt(23)
	v_fma_f32 v72, v86, v144, -v72
	v_fmac_f32_e32 v153, v81, v141
	v_add_f32_e32 v73, v73, v152
	v_add_f32_e32 v71, v71, v72
	v_mul_f32_e32 v72, v89, v132
	v_fmac_f32_e32 v154, v83, v142
	v_add_f32_e32 v73, v73, v153
	s_waitcnt vmcnt(22)
	v_fma_f32 v72, v88, v145, -v72
	v_fmac_f32_e32 v155, v85, v143
	v_add_f32_e32 v73, v73, v154
	v_add_f32_e32 v71, v71, v72
	v_mul_f32_e32 v72, v91, v133
	v_fmac_f32_e32 v156, v87, v144
	v_add_f32_e32 v73, v73, v155
	s_waitcnt vmcnt(21)
	v_fma_f32 v72, v90, v146, -v72
	v_fmac_f32_e32 v157, v89, v145
	v_add_f32_e32 v73, v73, v156
	v_add_f32_e32 v71, v71, v72
	v_mul_f32_e32 v72, v93, v134
	v_fmac_f32_e32 v158, v91, v146
	v_add_f32_e32 v73, v73, v157
	s_waitcnt vmcnt(20)
	v_fma_f32 v72, v92, v147, -v72
	s_waitcnt vmcnt(13)
	v_mov_b32_e32 v84, v109
	v_fmac_f32_e32 v159, v93, v147
	v_add_f32_e32 v73, v73, v158
	v_add_f32_e32 v126, v71, v72
	v_mul_f32_e32 v71, v95, v135
	s_waitcnt lgkmcnt(1)
	v_pk_mul_f32 v[84:85], v[98:99], v[84:85] op_sel_hi:[1,0]
	v_mul_f32_e32 v125, v96, v136
	v_fmac_f32_e32 v123, v95, v148
	v_add_f32_e32 v127, v73, v159
	v_fma_f32 v122, v94, v148, -v71
	v_mul_f32_e32 v71, v97, v136
	s_waitcnt vmcnt(12)
	v_pk_fma_f32 v[86:87], v[98:99], v[108:109], v[84:85] op_sel:[0,0,1] op_sel_hi:[1,1,0] neg_lo:[0,0,1] neg_hi:[0,0,1]
	v_pk_fma_f32 v[84:85], v[98:99], v[108:109], v[84:85] op_sel:[0,0,1] op_sel_hi:[1,0,0]
	v_fmac_f32_e32 v125, v97, v149
	v_fma_f32 v124, v96, v149, -v71
	v_pk_add_f32 v[82:83], v[126:127], v[122:123]
	v_mov_b32_e32 v84, v107
	v_pk_add_f32 v[82:83], v[82:83], v[124:125]
	v_mov_b32_e32 v87, v85
	s_waitcnt lgkmcnt(0)
	v_pk_mul_f32 v[84:85], v[100:101], v[84:85] op_sel_hi:[1,0]
	v_pk_add_f32 v[82:83], v[82:83], v[86:87]
	v_pk_fma_f32 v[86:87], v[100:101], v[106:107], v[84:85] op_sel:[0,0,1] op_sel_hi:[1,1,0] neg_lo:[0,0,1] neg_hi:[0,0,1]
	v_pk_fma_f32 v[84:85], v[100:101], v[106:107], v[84:85] op_sel:[0,0,1] op_sel_hi:[1,0,0]
	s_waitcnt vmcnt(5)
	v_mov_b32_e32 v84, v117
	ds_read2_b64 v[72:75], v70 offset0:63 offset1:64
	ds_read2_b64 v[76:79], v70 offset0:65 offset1:66
	ds_read_b64 v[80:81], v70 offset:536
	v_mov_b32_e32 v87, v85
	v_pk_mul_f32 v[84:85], v[102:103], v[84:85] op_sel_hi:[1,0]
	v_pk_add_f32 v[82:83], v[82:83], v[86:87]
	s_waitcnt vmcnt(4)
	v_pk_fma_f32 v[86:87], v[102:103], v[116:117], v[84:85] op_sel:[0,0,1] op_sel_hi:[1,1,0] neg_lo:[0,0,1] neg_hi:[0,0,1]
	v_pk_fma_f32 v[84:85], v[102:103], v[116:117], v[84:85] op_sel:[0,0,1] op_sel_hi:[1,0,0]
	v_mov_b32_e32 v84, v115
	v_mov_b32_e32 v87, v85
	s_waitcnt lgkmcnt(2)
	v_pk_mul_f32 v[84:85], v[72:73], v[84:85] op_sel_hi:[1,0]
	v_pk_add_f32 v[82:83], v[82:83], v[86:87]
	v_pk_fma_f32 v[86:87], v[72:73], v[114:115], v[84:85] op_sel:[0,0,1] op_sel_hi:[1,1,0] neg_lo:[0,0,1] neg_hi:[0,0,1]
	v_pk_fma_f32 v[72:73], v[72:73], v[114:115], v[84:85] op_sel:[0,0,1] op_sel_hi:[1,0,0]
	v_mov_b32_e32 v87, v73
	v_pk_add_f32 v[72:73], v[82:83], v[86:87]
	v_mov_b32_e32 v82, v113
	v_pk_mul_f32 v[82:83], v[74:75], v[82:83] op_sel_hi:[1,0]
	v_pk_fma_f32 v[84:85], v[74:75], v[112:113], v[82:83] op_sel:[0,0,1] op_sel_hi:[1,1,0] neg_lo:[0,0,1] neg_hi:[0,0,1]
	v_pk_fma_f32 v[74:75], v[74:75], v[112:113], v[82:83] op_sel:[0,0,1] op_sel_hi:[1,0,0]
	v_mov_b32_e32 v74, v111
	v_mov_b32_e32 v85, v75
	s_waitcnt lgkmcnt(1)
	v_pk_mul_f32 v[74:75], v[76:77], v[74:75] op_sel_hi:[1,0]
	v_pk_fma_f32 v[82:83], v[76:77], v[110:111], v[74:75] op_sel:[0,0,1] op_sel_hi:[1,1,0] neg_lo:[0,0,1] neg_hi:[0,0,1]
	v_pk_fma_f32 v[74:75], v[76:77], v[110:111], v[74:75] op_sel:[0,0,1] op_sel_hi:[1,0,0]
	s_waitcnt vmcnt(1)
	v_mov_b32_e32 v74, v121
	v_mov_b32_e32 v83, v75
	v_pk_mul_f32 v[74:75], v[78:79], v[74:75] op_sel_hi:[1,0]
	s_waitcnt vmcnt(0)
	v_pk_fma_f32 v[76:77], v[78:79], v[120:121], v[74:75] op_sel:[0,0,1] op_sel_hi:[1,1,0] neg_lo:[0,0,1] neg_hi:[0,0,1]
	v_pk_fma_f32 v[74:75], v[78:79], v[120:121], v[74:75] op_sel:[0,0,1] op_sel_hi:[1,0,0]
	v_pk_add_f32 v[72:73], v[72:73], v[84:85]
	v_mov_b32_e32 v74, v119
	v_pk_add_f32 v[72:73], v[72:73], v[82:83]
	v_mov_b32_e32 v77, v75
	s_waitcnt lgkmcnt(0)
	v_pk_mul_f32 v[74:75], v[80:81], v[74:75] op_sel_hi:[1,0]
	v_pk_add_f32 v[72:73], v[72:73], v[76:77]
	v_pk_fma_f32 v[76:77], v[80:81], v[118:119], v[74:75] op_sel:[0,0,1] op_sel_hi:[1,1,0] neg_lo:[0,0,1] neg_hi:[0,0,1]
	v_pk_fma_f32 v[74:75], v[80:81], v[118:119], v[74:75] op_sel:[0,0,1] op_sel_hi:[1,0,0]
	v_mov_b32_e32 v77, v75
	v_pk_add_f32 v[72:73], v[72:73], v[76:77]
	v_pk_add_f32 v[72:73], v[104:105], v[72:73] neg_lo:[0,1] neg_hi:[0,1]
	buffer_store_dword v73, off, s[0:3], 0 offset:100
	buffer_store_dword v72, off, s[0:3], 0 offset:96
	s_and_saveexec_b64 s[4:5], vcc
	s_cbranch_execz .LBB97_195
; %bb.194:
	buffer_load_dword v72, off, s[0:3], 0 offset:88
	buffer_load_dword v73, off, s[0:3], 0 offset:92
	s_waitcnt vmcnt(0)
	ds_write_b64 v1, v[72:73]
	buffer_store_dword v70, off, s[0:3], 0 offset:88
	buffer_store_dword v70, off, s[0:3], 0 offset:92
.LBB97_195:
	s_or_b64 exec, exec, s[4:5]
	s_waitcnt lgkmcnt(0)
	; wave barrier
	s_waitcnt lgkmcnt(0)
	buffer_load_dword v71, off, s[0:3], 0 offset:100
	buffer_load_dword v122, off, s[0:3], 0 offset:108
	buffer_load_dword v124, off, s[0:3], 0 offset:116
	buffer_load_dword v126, off, s[0:3], 0 offset:124
	buffer_load_dword v128, off, s[0:3], 0 offset:132
	buffer_load_dword v129, off, s[0:3], 0 offset:140
	buffer_load_dword v130, off, s[0:3], 0 offset:148
	buffer_load_dword v131, off, s[0:3], 0 offset:156
	buffer_load_dword v132, off, s[0:3], 0 offset:164
	buffer_load_dword v133, off, s[0:3], 0 offset:172
	buffer_load_dword v134, off, s[0:3], 0 offset:180
	buffer_load_dword v135, off, s[0:3], 0 offset:188
	buffer_load_dword v136, off, s[0:3], 0 offset:196
	buffer_load_dword v137, off, s[0:3], 0 offset:96
	buffer_load_dword v138, off, s[0:3], 0 offset:104
	buffer_load_dword v139, off, s[0:3], 0 offset:112
	buffer_load_dword v140, off, s[0:3], 0 offset:120
	buffer_load_dword v141, off, s[0:3], 0 offset:128
	buffer_load_dword v142, off, s[0:3], 0 offset:136
	buffer_load_dword v143, off, s[0:3], 0 offset:144
	buffer_load_dword v144, off, s[0:3], 0 offset:152
	buffer_load_dword v145, off, s[0:3], 0 offset:160
	buffer_load_dword v146, off, s[0:3], 0 offset:168
	buffer_load_dword v147, off, s[0:3], 0 offset:176
	buffer_load_dword v148, off, s[0:3], 0 offset:184
	buffer_load_dword v149, off, s[0:3], 0 offset:192
	buffer_load_dword v150, off, s[0:3], 0 offset:204
	buffer_load_dword v151, off, s[0:3], 0 offset:200
	buffer_load_dword v104, off, s[0:3], 0 offset:88
	buffer_load_dword v105, off, s[0:3], 0 offset:92
	ds_read_b128 v[72:75], v70 offset:368
	ds_read_b128 v[76:79], v70 offset:384
	;; [unrolled: 1-line block ×6, first 2 shown]
	buffer_load_dword v107, off, s[0:3], 0 offset:212
	buffer_load_dword v106, off, s[0:3], 0 offset:208
	ds_read_b128 v[96:99], v70 offset:464
	ds_read_b128 v[100:103], v70 offset:480
	buffer_load_dword v109, off, s[0:3], 0 offset:244
	buffer_load_dword v108, off, s[0:3], 0 offset:240
	;; [unrolled: 1-line block ×14, first 2 shown]
	v_cmp_lt_u32_e32 vcc, 10, v0
	s_waitcnt vmcnt(45) lgkmcnt(7)
	v_mul_f32_e32 v125, v72, v71
	v_mul_f32_e32 v71, v73, v71
	s_waitcnt vmcnt(44)
	v_mul_f32_e32 v127, v74, v122
	s_waitcnt vmcnt(43) lgkmcnt(6)
	v_mul_f32_e32 v152, v76, v124
	s_waitcnt vmcnt(42)
	v_mul_f32_e32 v153, v78, v126
	s_waitcnt vmcnt(41) lgkmcnt(5)
	v_mul_f32_e32 v154, v80, v128
	s_waitcnt vmcnt(40)
	v_mul_f32_e32 v155, v82, v129
	s_waitcnt vmcnt(39) lgkmcnt(4)
	v_mul_f32_e32 v156, v84, v130
	s_waitcnt vmcnt(38)
	v_mul_f32_e32 v157, v86, v131
	s_waitcnt vmcnt(37) lgkmcnt(3)
	v_mul_f32_e32 v158, v88, v132
	s_waitcnt vmcnt(36)
	v_mul_f32_e32 v159, v90, v133
	s_waitcnt vmcnt(35) lgkmcnt(2)
	v_mul_f32_e32 v160, v92, v134
	s_waitcnt vmcnt(34)
	v_mul_f32_e32 v161, v94, v135
	s_waitcnt vmcnt(32)
	v_fma_f32 v71, v72, v137, -v71
	v_mul_f32_e32 v72, v75, v122
	v_add_f32_e32 v71, 0, v71
	s_waitcnt vmcnt(31)
	v_fma_f32 v72, v74, v138, -v72
	v_add_f32_e32 v71, v71, v72
	v_mul_f32_e32 v72, v77, v124
	s_waitcnt vmcnt(30)
	v_fma_f32 v72, v76, v139, -v72
	v_add_f32_e32 v71, v71, v72
	v_mul_f32_e32 v72, v79, v126
	;; [unrolled: 4-line block ×5, first 2 shown]
	v_fmac_f32_e32 v125, v73, v137
	s_waitcnt vmcnt(26)
	v_fma_f32 v72, v84, v143, -v72
	v_fmac_f32_e32 v127, v75, v138
	v_add_f32_e32 v125, 0, v125
	v_add_f32_e32 v71, v71, v72
	v_mul_f32_e32 v72, v87, v131
	v_fmac_f32_e32 v152, v77, v139
	v_add_f32_e32 v125, v125, v127
	s_waitcnt vmcnt(25)
	v_fma_f32 v72, v86, v144, -v72
	v_fmac_f32_e32 v153, v79, v140
	v_add_f32_e32 v125, v125, v152
	v_add_f32_e32 v71, v71, v72
	v_mul_f32_e32 v72, v89, v132
	v_fmac_f32_e32 v154, v81, v141
	v_add_f32_e32 v125, v125, v153
	;; [unrolled: 8-line block ×5, first 2 shown]
	s_waitcnt vmcnt(21)
	v_fma_f32 v72, v94, v148, -v72
	s_waitcnt vmcnt(15)
	v_mov_b32_e32 v84, v107
	s_waitcnt lgkmcnt(1)
	v_mul_f32_e32 v123, v96, v136
	v_fmac_f32_e32 v161, v95, v148
	v_add_f32_e32 v125, v125, v160
	v_add_f32_e32 v124, v71, v72
	v_mul_f32_e32 v71, v97, v136
	s_waitcnt lgkmcnt(0)
	v_pk_mul_f32 v[84:85], v[100:101], v[84:85] op_sel_hi:[1,0]
	v_fmac_f32_e32 v123, v97, v149
	v_add_f32_e32 v125, v125, v161
	v_mul_f32_e32 v127, v98, v150
	v_fma_f32 v122, v96, v149, -v71
	v_mul_f32_e32 v71, v99, v150
	s_waitcnt vmcnt(14)
	v_pk_fma_f32 v[86:87], v[100:101], v[106:107], v[84:85] op_sel:[0,0,1] op_sel_hi:[1,1,0] neg_lo:[0,0,1] neg_hi:[0,0,1]
	v_pk_fma_f32 v[84:85], v[100:101], v[106:107], v[84:85] op_sel:[0,0,1] op_sel_hi:[1,0,0]
	v_fmac_f32_e32 v127, v99, v151
	v_fma_f32 v126, v98, v151, -v71
	ds_read_b128 v[72:75], v70 offset:496
	ds_read_b128 v[76:79], v70 offset:512
	;; [unrolled: 1-line block ×3, first 2 shown]
	v_pk_add_f32 v[70:71], v[124:125], v[122:123]
	s_waitcnt vmcnt(7)
	v_mov_b32_e32 v84, v115
	v_pk_add_f32 v[70:71], v[70:71], v[126:127]
	v_mov_b32_e32 v87, v85
	v_pk_mul_f32 v[84:85], v[102:103], v[84:85] op_sel_hi:[1,0]
	v_pk_add_f32 v[70:71], v[70:71], v[86:87]
	s_waitcnt vmcnt(6)
	v_pk_fma_f32 v[86:87], v[102:103], v[114:115], v[84:85] op_sel:[0,0,1] op_sel_hi:[1,1,0] neg_lo:[0,0,1] neg_hi:[0,0,1]
	v_pk_fma_f32 v[84:85], v[102:103], v[114:115], v[84:85] op_sel:[0,0,1] op_sel_hi:[1,0,0]
	v_mov_b32_e32 v84, v113
	v_mov_b32_e32 v87, v85
	s_waitcnt lgkmcnt(2)
	v_pk_mul_f32 v[84:85], v[72:73], v[84:85] op_sel_hi:[1,0]
	v_pk_add_f32 v[70:71], v[70:71], v[86:87]
	v_pk_fma_f32 v[86:87], v[72:73], v[112:113], v[84:85] op_sel:[0,0,1] op_sel_hi:[1,1,0] neg_lo:[0,0,1] neg_hi:[0,0,1]
	v_pk_fma_f32 v[72:73], v[72:73], v[112:113], v[84:85] op_sel:[0,0,1] op_sel_hi:[1,0,0]
	v_mov_b32_e32 v72, v111
	v_mov_b32_e32 v87, v73
	v_pk_mul_f32 v[72:73], v[74:75], v[72:73] op_sel_hi:[1,0]
	v_pk_fma_f32 v[84:85], v[74:75], v[110:111], v[72:73] op_sel:[0,0,1] op_sel_hi:[1,1,0] neg_lo:[0,0,1] neg_hi:[0,0,1]
	v_pk_fma_f32 v[72:73], v[74:75], v[110:111], v[72:73] op_sel:[0,0,1] op_sel_hi:[1,0,0]
	v_mov_b32_e32 v72, v109
	v_mov_b32_e32 v85, v73
	s_waitcnt lgkmcnt(1)
	v_pk_mul_f32 v[72:73], v[76:77], v[72:73] op_sel_hi:[1,0]
	v_pk_fma_f32 v[74:75], v[76:77], v[108:109], v[72:73] op_sel:[0,0,1] op_sel_hi:[1,1,0] neg_lo:[0,0,1] neg_hi:[0,0,1]
	v_pk_fma_f32 v[72:73], v[76:77], v[108:109], v[72:73] op_sel:[0,0,1] op_sel_hi:[1,0,0]
	v_pk_add_f32 v[70:71], v[70:71], v[86:87]
	s_waitcnt vmcnt(1)
	v_mov_b32_e32 v72, v121
	v_pk_add_f32 v[70:71], v[70:71], v[84:85]
	v_mov_b32_e32 v75, v73
	v_pk_mul_f32 v[72:73], v[78:79], v[72:73] op_sel_hi:[1,0]
	v_pk_add_f32 v[70:71], v[70:71], v[74:75]
	s_waitcnt vmcnt(0)
	v_pk_fma_f32 v[74:75], v[78:79], v[120:121], v[72:73] op_sel:[0,0,1] op_sel_hi:[1,1,0] neg_lo:[0,0,1] neg_hi:[0,0,1]
	v_pk_fma_f32 v[72:73], v[78:79], v[120:121], v[72:73] op_sel:[0,0,1] op_sel_hi:[1,0,0]
	v_mov_b32_e32 v72, v119
	v_mov_b32_e32 v75, v73
	s_waitcnt lgkmcnt(0)
	v_pk_mul_f32 v[72:73], v[80:81], v[72:73] op_sel_hi:[1,0]
	v_pk_add_f32 v[70:71], v[70:71], v[74:75]
	v_pk_fma_f32 v[74:75], v[80:81], v[118:119], v[72:73] op_sel:[0,0,1] op_sel_hi:[1,1,0] neg_lo:[0,0,1] neg_hi:[0,0,1]
	v_pk_fma_f32 v[72:73], v[80:81], v[118:119], v[72:73] op_sel:[0,0,1] op_sel_hi:[1,0,0]
	v_mov_b32_e32 v72, v117
	v_mov_b32_e32 v75, v73
	v_pk_mul_f32 v[72:73], v[82:83], v[72:73] op_sel_hi:[1,0]
	v_pk_add_f32 v[70:71], v[70:71], v[74:75]
	v_pk_fma_f32 v[74:75], v[82:83], v[116:117], v[72:73] op_sel:[0,0,1] op_sel_hi:[1,1,0] neg_lo:[0,0,1] neg_hi:[0,0,1]
	v_pk_fma_f32 v[72:73], v[82:83], v[116:117], v[72:73] op_sel:[0,0,1] op_sel_hi:[1,0,0]
	v_mov_b32_e32 v75, v73
	v_pk_add_f32 v[70:71], v[70:71], v[74:75]
	v_pk_add_f32 v[70:71], v[104:105], v[70:71] neg_lo:[0,1] neg_hi:[0,1]
	buffer_store_dword v71, off, s[0:3], 0 offset:92
	buffer_store_dword v70, off, s[0:3], 0 offset:88
	s_and_saveexec_b64 s[4:5], vcc
	s_cbranch_execz .LBB97_197
; %bb.196:
	buffer_load_dword v70, off, s[0:3], 0 offset:80
	buffer_load_dword v71, off, s[0:3], 0 offset:84
	v_mov_b32_e32 v72, 0
	buffer_store_dword v72, off, s[0:3], 0 offset:80
	buffer_store_dword v72, off, s[0:3], 0 offset:84
	s_waitcnt vmcnt(2)
	ds_write_b64 v1, v[70:71]
.LBB97_197:
	s_or_b64 exec, exec, s[4:5]
	s_waitcnt lgkmcnt(0)
	; wave barrier
	s_waitcnt lgkmcnt(0)
	buffer_load_dword v71, off, s[0:3], 0 offset:92
	buffer_load_dword v120, off, s[0:3], 0 offset:100
	;; [unrolled: 1-line block ×32, first 2 shown]
	v_mov_b32_e32 v70, 0
	buffer_load_dword v107, off, s[0:3], 0 offset:236
	buffer_load_dword v106, off, s[0:3], 0 offset:232
	;; [unrolled: 1-line block ×13, first 2 shown]
	ds_read2_b64 v[72:75], v70 offset0:45 offset1:46
	ds_read2_b64 v[76:79], v70 offset0:47 offset1:48
	;; [unrolled: 1-line block ×8, first 2 shown]
	v_cmp_lt_u32_e32 vcc, 9, v0
	s_waitcnt vmcnt(44) lgkmcnt(7)
	v_mul_f32_e32 v114, v72, v71
	s_waitcnt vmcnt(43)
	v_mul_f32_e32 v121, v74, v120
	s_waitcnt vmcnt(42) lgkmcnt(6)
	v_mul_f32_e32 v122, v76, v124
	s_waitcnt vmcnt(41)
	v_mul_f32_e32 v123, v78, v126
	;; [unrolled: 4-line block ×6, first 2 shown]
	s_waitcnt vmcnt(32) lgkmcnt(1)
	v_mul_f32_e32 v160, v96, v136
	s_waitcnt vmcnt(31)
	v_fmac_f32_e32 v114, v73, v137
	s_waitcnt vmcnt(30)
	v_fmac_f32_e32 v121, v75, v138
	v_add_f32_e32 v114, 0, v114
	s_waitcnt vmcnt(29)
	v_fmac_f32_e32 v122, v77, v139
	v_add_f32_e32 v114, v114, v121
	;; [unrolled: 3-line block ×12, first 2 shown]
	v_add_f32_e32 v121, v114, v160
	buffer_load_dword v123, off, s[0:3], 0 offset:252
	buffer_load_dword v122, off, s[0:3], 0 offset:248
	;; [unrolled: 1-line block ×3, first 2 shown]
	v_mul_f32_e32 v71, v73, v71
	v_fma_f32 v71, v72, v137, -v71
	v_mul_f32_e32 v72, v75, v120
	v_add_f32_e32 v71, 0, v71
	v_fma_f32 v72, v74, v138, -v72
	v_add_f32_e32 v71, v71, v72
	v_mul_f32_e32 v72, v77, v124
	v_fma_f32 v72, v76, v139, -v72
	v_add_f32_e32 v71, v71, v72
	v_mul_f32_e32 v72, v79, v126
	;; [unrolled: 3-line block ×11, first 2 shown]
	v_fma_f32 v72, v96, v149, -v72
	s_waitcnt vmcnt(9)
	v_mov_b32_e32 v88, v113
	v_mul_f32_e32 v125, v98, v150
	v_add_f32_e32 v120, v71, v72
	v_mul_f32_e32 v71, v99, v150
	s_waitcnt lgkmcnt(0)
	v_pk_mul_f32 v[88:89], v[102:103], v[88:89] op_sel_hi:[1,0]
	v_fmac_f32_e32 v125, v99, v151
	v_mul_f32_e32 v127, v100, v152
	v_fma_f32 v124, v98, v151, -v71
	v_mul_f32_e32 v71, v101, v152
	ds_read2_b64 v[72:75], v70 offset0:61 offset1:62
	ds_read2_b64 v[76:79], v70 offset0:63 offset1:64
	;; [unrolled: 1-line block ×3, first 2 shown]
	ds_read_b64 v[84:85], v70 offset:536
	s_waitcnt vmcnt(8)
	v_pk_fma_f32 v[90:91], v[102:103], v[112:113], v[88:89] op_sel:[0,0,1] op_sel_hi:[1,1,0] neg_lo:[0,0,1] neg_hi:[0,0,1]
	v_pk_fma_f32 v[88:89], v[102:103], v[112:113], v[88:89] op_sel:[0,0,1] op_sel_hi:[1,0,0]
	v_fmac_f32_e32 v127, v101, v153
	v_fma_f32 v126, v100, v153, -v71
	v_pk_add_f32 v[86:87], v[120:121], v[124:125]
	v_mov_b32_e32 v88, v111
	v_pk_add_f32 v[86:87], v[86:87], v[126:127]
	v_mov_b32_e32 v91, v89
	s_waitcnt lgkmcnt(3)
	v_pk_mul_f32 v[88:89], v[72:73], v[88:89] op_sel_hi:[1,0]
	v_pk_add_f32 v[86:87], v[86:87], v[90:91]
	v_pk_fma_f32 v[90:91], v[72:73], v[110:111], v[88:89] op_sel:[0,0,1] op_sel_hi:[1,1,0] neg_lo:[0,0,1] neg_hi:[0,0,1]
	v_pk_fma_f32 v[72:73], v[72:73], v[110:111], v[88:89] op_sel:[0,0,1] op_sel_hi:[1,0,0]
	v_mov_b32_e32 v91, v73
	v_pk_add_f32 v[72:73], v[86:87], v[90:91]
	v_mov_b32_e32 v86, v109
	v_pk_mul_f32 v[86:87], v[74:75], v[86:87] op_sel_hi:[1,0]
	v_pk_fma_f32 v[88:89], v[74:75], v[108:109], v[86:87] op_sel:[0,0,1] op_sel_hi:[1,1,0] neg_lo:[0,0,1] neg_hi:[0,0,1]
	v_pk_fma_f32 v[74:75], v[74:75], v[108:109], v[86:87] op_sel:[0,0,1] op_sel_hi:[1,0,0]
	v_mov_b32_e32 v74, v107
	v_mov_b32_e32 v89, v75
	s_waitcnt lgkmcnt(2)
	v_pk_mul_f32 v[74:75], v[76:77], v[74:75] op_sel_hi:[1,0]
	v_pk_fma_f32 v[86:87], v[76:77], v[106:107], v[74:75] op_sel:[0,0,1] op_sel_hi:[1,1,0] neg_lo:[0,0,1] neg_hi:[0,0,1]
	v_pk_fma_f32 v[74:75], v[76:77], v[106:107], v[74:75] op_sel:[0,0,1] op_sel_hi:[1,0,0]
	s_waitcnt vmcnt(7)
	v_mov_b32_e32 v74, v115
	v_mov_b32_e32 v87, v75
	v_pk_mul_f32 v[74:75], v[78:79], v[74:75] op_sel_hi:[1,0]
	v_pk_add_f32 v[72:73], v[72:73], v[88:89]
	v_pk_add_f32 v[72:73], v[72:73], v[86:87]
	s_waitcnt vmcnt(0)
	v_pk_fma_f32 v[76:77], v[78:79], v[114:115], v[74:75] op_sel:[0,0,1] op_sel_hi:[1,1,0] neg_lo:[0,0,1] neg_hi:[0,0,1]
	v_pk_fma_f32 v[74:75], v[78:79], v[114:115], v[74:75] op_sel:[0,0,1] op_sel_hi:[1,0,0]
	v_mov_b32_e32 v74, v123
	v_mov_b32_e32 v77, v75
	s_waitcnt lgkmcnt(1)
	v_pk_mul_f32 v[74:75], v[80:81], v[74:75] op_sel_hi:[1,0]
	v_pk_add_f32 v[72:73], v[72:73], v[76:77]
	v_pk_fma_f32 v[76:77], v[80:81], v[122:123], v[74:75] op_sel:[0,0,1] op_sel_hi:[1,1,0] neg_lo:[0,0,1] neg_hi:[0,0,1]
	v_pk_fma_f32 v[74:75], v[80:81], v[122:123], v[74:75] op_sel:[0,0,1] op_sel_hi:[1,0,0]
	v_mov_b32_e32 v74, v119
	v_mov_b32_e32 v77, v75
	v_pk_mul_f32 v[74:75], v[82:83], v[74:75] op_sel_hi:[1,0]
	v_pk_add_f32 v[72:73], v[72:73], v[76:77]
	v_pk_fma_f32 v[76:77], v[82:83], v[118:119], v[74:75] op_sel:[0,0,1] op_sel_hi:[1,1,0] neg_lo:[0,0,1] neg_hi:[0,0,1]
	v_pk_fma_f32 v[74:75], v[82:83], v[118:119], v[74:75] op_sel:[0,0,1] op_sel_hi:[1,0,0]
	v_mov_b32_e32 v74, v117
	v_mov_b32_e32 v77, v75
	s_waitcnt lgkmcnt(0)
	v_pk_mul_f32 v[74:75], v[84:85], v[74:75] op_sel_hi:[1,0]
	v_pk_add_f32 v[72:73], v[72:73], v[76:77]
	v_pk_fma_f32 v[76:77], v[84:85], v[116:117], v[74:75] op_sel:[0,0,1] op_sel_hi:[1,1,0] neg_lo:[0,0,1] neg_hi:[0,0,1]
	v_pk_fma_f32 v[74:75], v[84:85], v[116:117], v[74:75] op_sel:[0,0,1] op_sel_hi:[1,0,0]
	v_mov_b32_e32 v77, v75
	v_pk_add_f32 v[72:73], v[72:73], v[76:77]
	v_pk_add_f32 v[72:73], v[104:105], v[72:73] neg_lo:[0,1] neg_hi:[0,1]
	buffer_store_dword v73, off, s[0:3], 0 offset:84
	buffer_store_dword v72, off, s[0:3], 0 offset:80
	s_and_saveexec_b64 s[4:5], vcc
	s_cbranch_execz .LBB97_199
; %bb.198:
	buffer_load_dword v72, off, s[0:3], 0 offset:72
	buffer_load_dword v73, off, s[0:3], 0 offset:76
	s_waitcnt vmcnt(0)
	ds_write_b64 v1, v[72:73]
	buffer_store_dword v70, off, s[0:3], 0 offset:72
	buffer_store_dword v70, off, s[0:3], 0 offset:76
.LBB97_199:
	s_or_b64 exec, exec, s[4:5]
	s_waitcnt lgkmcnt(0)
	; wave barrier
	s_waitcnt lgkmcnt(0)
	buffer_load_dword v71, off, s[0:3], 0 offset:84
	buffer_load_dword v120, off, s[0:3], 0 offset:92
	;; [unrolled: 1-line block ×34, first 2 shown]
	ds_read_b128 v[72:75], v70 offset:352
	ds_read_b128 v[76:79], v70 offset:368
	;; [unrolled: 1-line block ×8, first 2 shown]
	buffer_load_dword v107, off, s[0:3], 0 offset:228
	buffer_load_dword v106, off, s[0:3], 0 offset:224
	buffer_load_dword v109, off, s[0:3], 0 offset:220
	buffer_load_dword v108, off, s[0:3], 0 offset:216
	buffer_load_dword v111, off, s[0:3], 0 offset:212
	buffer_load_dword v110, off, s[0:3], 0 offset:208
	buffer_load_dword v113, off, s[0:3], 0 offset:236
	buffer_load_dword v115, off, s[0:3], 0 offset:260
	buffer_load_dword v114, off, s[0:3], 0 offset:256
	v_cmp_lt_u32_e32 vcc, 8, v0
	s_waitcnt vmcnt(42) lgkmcnt(7)
	v_mul_f32_e32 v112, v72, v71
	s_waitcnt vmcnt(41)
	v_mul_f32_e32 v116, v74, v120
	s_waitcnt vmcnt(40) lgkmcnt(6)
	v_mul_f32_e32 v117, v76, v122
	s_waitcnt vmcnt(39)
	v_mul_f32_e32 v118, v78, v124
	s_waitcnt vmcnt(38) lgkmcnt(5)
	v_mul_f32_e32 v119, v80, v128
	s_waitcnt vmcnt(37)
	v_mul_f32_e32 v121, v82, v129
	s_waitcnt vmcnt(36) lgkmcnt(4)
	v_mul_f32_e32 v123, v84, v130
	s_waitcnt vmcnt(35)
	v_mul_f32_e32 v125, v86, v131
	s_waitcnt vmcnt(34) lgkmcnt(3)
	v_mul_f32_e32 v126, v88, v132
	s_waitcnt vmcnt(33)
	v_mul_f32_e32 v127, v90, v133
	s_waitcnt vmcnt(32) lgkmcnt(2)
	v_mul_f32_e32 v156, v92, v134
	s_waitcnt vmcnt(31)
	v_mul_f32_e32 v157, v94, v135
	s_waitcnt vmcnt(30) lgkmcnt(1)
	v_mul_f32_e32 v158, v96, v136
	v_mul_f32_e32 v71, v73, v71
	s_waitcnt vmcnt(28)
	v_fmac_f32_e32 v112, v73, v138
	s_waitcnt vmcnt(27)
	v_fmac_f32_e32 v116, v75, v139
	v_add_f32_e32 v112, 0, v112
	s_waitcnt vmcnt(26)
	v_fmac_f32_e32 v117, v77, v140
	v_add_f32_e32 v112, v112, v116
	;; [unrolled: 3-line block ×12, first 2 shown]
	v_add_f32_e32 v121, v112, v158
	buffer_load_dword v117, off, s[0:3], 0 offset:252
	buffer_load_dword v116, off, s[0:3], 0 offset:248
	;; [unrolled: 1-line block ×7, first 2 shown]
	v_fma_f32 v71, v72, v138, -v71
	v_mul_f32_e32 v72, v75, v120
	v_add_f32_e32 v71, 0, v71
	v_fma_f32 v72, v74, v139, -v72
	v_add_f32_e32 v71, v71, v72
	v_mul_f32_e32 v72, v77, v122
	v_fma_f32 v72, v76, v140, -v72
	v_add_f32_e32 v71, v71, v72
	v_mul_f32_e32 v72, v79, v124
	;; [unrolled: 3-line block ×12, first 2 shown]
	s_waitcnt vmcnt(22)
	v_fma_f32 v72, v98, v151, -v72
	v_add_f32_e32 v120, v71, v72
	ds_read_b128 v[72:75], v70 offset:480
	ds_read_b128 v[76:79], v70 offset:496
	ds_read_b128 v[80:83], v70 offset:512
	ds_read_b128 v[84:87], v70 offset:528
	s_waitcnt vmcnt(11)
	v_mov_b32_e32 v88, v111
	s_waitcnt lgkmcnt(3)
	v_pk_mul_f32 v[88:89], v[72:73], v[88:89] op_sel_hi:[1,0]
	s_waitcnt vmcnt(10)
	v_pk_fma_f32 v[90:91], v[72:73], v[110:111], v[88:89] op_sel:[0,0,1] op_sel_hi:[1,1,0] neg_lo:[0,0,1] neg_hi:[0,0,1]
	v_pk_fma_f32 v[72:73], v[72:73], v[110:111], v[88:89] op_sel:[0,0,1] op_sel_hi:[1,0,0]
	v_mov_b32_e32 v72, v109
	v_mul_f32_e32 v159, v98, v137
	v_mov_b32_e32 v91, v73
	v_pk_mul_f32 v[72:73], v[74:75], v[72:73] op_sel_hi:[1,0]
	v_fmac_f32_e32 v159, v99, v151
	v_mul_f32_e32 v123, v100, v152
	v_mul_f32_e32 v71, v101, v152
	v_pk_fma_f32 v[88:89], v[74:75], v[108:109], v[72:73] op_sel:[0,0,1] op_sel_hi:[1,1,0] neg_lo:[0,0,1] neg_hi:[0,0,1]
	v_pk_fma_f32 v[72:73], v[74:75], v[108:109], v[72:73] op_sel:[0,0,1] op_sel_hi:[1,0,0]
	v_add_f32_e32 v121, v121, v159
	v_fmac_f32_e32 v123, v101, v153
	v_mul_f32_e32 v125, v102, v154
	v_fma_f32 v122, v100, v153, -v71
	v_mul_f32_e32 v71, v103, v154
	v_mov_b32_e32 v72, v107
	v_fmac_f32_e32 v125, v103, v155
	v_fma_f32 v124, v102, v155, -v71
	v_pk_add_f32 v[70:71], v[120:121], v[122:123]
	v_mov_b32_e32 v89, v73
	s_waitcnt lgkmcnt(2)
	v_pk_mul_f32 v[72:73], v[76:77], v[72:73] op_sel_hi:[1,0]
	v_pk_add_f32 v[70:71], v[70:71], v[124:125]
	v_pk_fma_f32 v[74:75], v[76:77], v[106:107], v[72:73] op_sel:[0,0,1] op_sel_hi:[1,1,0] neg_lo:[0,0,1] neg_hi:[0,0,1]
	v_pk_fma_f32 v[72:73], v[76:77], v[106:107], v[72:73] op_sel:[0,0,1] op_sel_hi:[1,0,0]
	v_pk_add_f32 v[70:71], v[70:71], v[90:91]
	s_waitcnt vmcnt(9)
	v_mov_b32_e32 v72, v113
	v_pk_add_f32 v[70:71], v[70:71], v[88:89]
	v_mov_b32_e32 v75, v73
	v_pk_mul_f32 v[72:73], v[78:79], v[72:73] op_sel_hi:[1,0]
	v_pk_add_f32 v[70:71], v[70:71], v[74:75]
	s_waitcnt vmcnt(2)
	v_pk_fma_f32 v[74:75], v[78:79], v[112:113], v[72:73] op_sel:[0,0,1] op_sel_hi:[1,1,0] neg_lo:[0,0,1] neg_hi:[0,0,1]
	v_pk_fma_f32 v[72:73], v[78:79], v[112:113], v[72:73] op_sel:[0,0,1] op_sel_hi:[1,0,0]
	v_mov_b32_e32 v72, v119
	v_mov_b32_e32 v75, v73
	s_waitcnt lgkmcnt(1)
	v_pk_mul_f32 v[72:73], v[80:81], v[72:73] op_sel_hi:[1,0]
	v_pk_add_f32 v[70:71], v[70:71], v[74:75]
	v_pk_fma_f32 v[74:75], v[80:81], v[118:119], v[72:73] op_sel:[0,0,1] op_sel_hi:[1,1,0] neg_lo:[0,0,1] neg_hi:[0,0,1]
	v_pk_fma_f32 v[72:73], v[80:81], v[118:119], v[72:73] op_sel:[0,0,1] op_sel_hi:[1,0,0]
	v_mov_b32_e32 v72, v117
	v_mov_b32_e32 v75, v73
	v_pk_mul_f32 v[72:73], v[82:83], v[72:73] op_sel_hi:[1,0]
	v_pk_add_f32 v[70:71], v[70:71], v[74:75]
	v_pk_fma_f32 v[74:75], v[82:83], v[116:117], v[72:73] op_sel:[0,0,1] op_sel_hi:[1,1,0] neg_lo:[0,0,1] neg_hi:[0,0,1]
	v_pk_fma_f32 v[72:73], v[82:83], v[116:117], v[72:73] op_sel:[0,0,1] op_sel_hi:[1,0,0]
	v_mov_b32_e32 v72, v115
	v_mov_b32_e32 v75, v73
	s_waitcnt lgkmcnt(0)
	v_pk_mul_f32 v[72:73], v[84:85], v[72:73] op_sel_hi:[1,0]
	v_pk_add_f32 v[70:71], v[70:71], v[74:75]
	v_pk_fma_f32 v[74:75], v[84:85], v[114:115], v[72:73] op_sel:[0,0,1] op_sel_hi:[1,1,0] neg_lo:[0,0,1] neg_hi:[0,0,1]
	v_pk_fma_f32 v[72:73], v[84:85], v[114:115], v[72:73] op_sel:[0,0,1] op_sel_hi:[1,0,0]
	s_waitcnt vmcnt(1)
	v_mov_b32_e32 v72, v127
	v_mov_b32_e32 v75, v73
	v_pk_mul_f32 v[72:73], v[86:87], v[72:73] op_sel_hi:[1,0]
	v_pk_add_f32 v[70:71], v[70:71], v[74:75]
	s_waitcnt vmcnt(0)
	v_pk_fma_f32 v[74:75], v[86:87], v[126:127], v[72:73] op_sel:[0,0,1] op_sel_hi:[1,1,0] neg_lo:[0,0,1] neg_hi:[0,0,1]
	v_pk_fma_f32 v[72:73], v[86:87], v[126:127], v[72:73] op_sel:[0,0,1] op_sel_hi:[1,0,0]
	v_mov_b32_e32 v75, v73
	v_pk_add_f32 v[70:71], v[70:71], v[74:75]
	v_pk_add_f32 v[70:71], v[104:105], v[70:71] neg_lo:[0,1] neg_hi:[0,1]
	buffer_store_dword v71, off, s[0:3], 0 offset:76
	buffer_store_dword v70, off, s[0:3], 0 offset:72
	s_and_saveexec_b64 s[4:5], vcc
	s_cbranch_execz .LBB97_201
; %bb.200:
	buffer_load_dword v70, off, s[0:3], 0 offset:64
	buffer_load_dword v71, off, s[0:3], 0 offset:68
	v_mov_b32_e32 v72, 0
	buffer_store_dword v72, off, s[0:3], 0 offset:64
	buffer_store_dword v72, off, s[0:3], 0 offset:68
	s_waitcnt vmcnt(2)
	ds_write_b64 v1, v[70:71]
.LBB97_201:
	s_or_b64 exec, exec, s[4:5]
	s_waitcnt lgkmcnt(0)
	; wave barrier
	s_waitcnt lgkmcnt(0)
	buffer_load_dword v73, off, s[0:3], 0 offset:76
	buffer_load_dword v126, off, s[0:3], 0 offset:84
	;; [unrolled: 1-line block ×36, first 2 shown]
	v_mov_b32_e32 v72, 0
	buffer_load_dword v115, off, s[0:3], 0 offset:220
	buffer_load_dword v114, off, s[0:3], 0 offset:216
	;; [unrolled: 1-line block ×5, first 2 shown]
	ds_read2_b64 v[74:77], v72 offset0:43 offset1:44
	ds_read2_b64 v[78:81], v72 offset0:45 offset1:46
	;; [unrolled: 1-line block ×8, first 2 shown]
	v_cmp_lt_u32_e32 vcc, 7, v0
	s_waitcnt vmcnt(40) lgkmcnt(7)
	v_mul_f32_e32 v106, v74, v73
	s_waitcnt vmcnt(39)
	v_mul_f32_e32 v107, v76, v126
	s_waitcnt vmcnt(38) lgkmcnt(6)
	v_mul_f32_e32 v108, v78, v128
	s_waitcnt vmcnt(37)
	v_mul_f32_e32 v109, v80, v130
	;; [unrolled: 4-line block ×7, first 2 shown]
	s_waitcnt vmcnt(26) lgkmcnt(0)
	v_mul_f32_e32 v127, v102, v146
	s_waitcnt vmcnt(25)
	v_fmac_f32_e32 v106, v75, v147
	s_waitcnt vmcnt(24)
	v_fmac_f32_e32 v107, v77, v148
	v_add_f32_e32 v106, 0, v106
	s_waitcnt vmcnt(23)
	v_fmac_f32_e32 v108, v79, v149
	v_add_f32_e32 v106, v106, v107
	;; [unrolled: 3-line block ×13, first 2 shown]
	v_add_f32_e32 v110, v106, v124
	buffer_load_dword v121, off, s[0:3], 0 offset:252
	buffer_load_dword v120, off, s[0:3], 0 offset:248
	;; [unrolled: 1-line block ×7, first 2 shown]
	s_waitcnt vmcnt(18)
	v_fmac_f32_e32 v127, v103, v161
	ds_read2_b64 v[106:109], v72 offset0:59 offset1:60
	v_add_f32_e32 v127, v110, v127
	ds_read2_b64 v[110:113], v72 offset0:61 offset1:62
	buffer_load_dword v133, off, s[0:3], 0 offset:268
	buffer_load_dword v132, off, s[0:3], 0 offset:264
	;; [unrolled: 1-line block ×4, first 2 shown]
	v_mul_f32_e32 v73, v75, v73
	v_fma_f32 v73, v74, v147, -v73
	v_mul_f32_e32 v74, v77, v126
	v_add_f32_e32 v73, 0, v73
	v_fma_f32 v74, v76, v148, -v74
	v_add_f32_e32 v73, v73, v74
	v_mul_f32_e32 v74, v79, v128
	v_fma_f32 v74, v78, v149, -v74
	v_add_f32_e32 v73, v73, v74
	v_mul_f32_e32 v74, v81, v130
	;; [unrolled: 3-line block ×13, first 2 shown]
	v_fma_f32 v74, v102, v161, -v74
	s_waitcnt vmcnt(13)
	v_mov_b32_e32 v86, v117
	v_mul_f32_e32 v129, v104, v162
	v_add_f32_e32 v126, v73, v74
	v_mul_f32_e32 v73, v105, v162
	s_waitcnt lgkmcnt(1)
	v_pk_mul_f32 v[86:87], v[108:109], v[86:87] op_sel_hi:[1,0]
	v_fmac_f32_e32 v129, v105, v163
	v_mul_f32_e32 v131, v106, v164
	v_fma_f32 v128, v104, v163, -v73
	v_mul_f32_e32 v73, v107, v164
	s_waitcnt vmcnt(12)
	v_pk_fma_f32 v[88:89], v[108:109], v[116:117], v[86:87] op_sel:[0,0,1] op_sel_hi:[1,1,0] neg_lo:[0,0,1] neg_hi:[0,0,1]
	v_pk_fma_f32 v[86:87], v[108:109], v[116:117], v[86:87] op_sel:[0,0,1] op_sel_hi:[1,0,0]
	v_fmac_f32_e32 v131, v107, v165
	v_fma_f32 v130, v106, v165, -v73
	v_pk_add_f32 v[84:85], v[126:127], v[128:129]
	v_mov_b32_e32 v86, v115
	v_pk_add_f32 v[84:85], v[84:85], v[130:131]
	v_mov_b32_e32 v89, v87
	s_waitcnt lgkmcnt(0)
	v_pk_mul_f32 v[86:87], v[110:111], v[86:87] op_sel_hi:[1,0]
	v_pk_add_f32 v[84:85], v[84:85], v[88:89]
	v_pk_fma_f32 v[88:89], v[110:111], v[114:115], v[86:87] op_sel:[0,0,1] op_sel_hi:[1,1,0] neg_lo:[0,0,1] neg_hi:[0,0,1]
	v_pk_fma_f32 v[86:87], v[110:111], v[114:115], v[86:87] op_sel:[0,0,1] op_sel_hi:[1,0,0]
	s_waitcnt vmcnt(11)
	v_mov_b32_e32 v86, v119
	ds_read2_b64 v[74:77], v72 offset0:63 offset1:64
	ds_read2_b64 v[78:81], v72 offset0:65 offset1:66
	ds_read_b64 v[82:83], v72 offset:536
	v_mov_b32_e32 v89, v87
	v_pk_mul_f32 v[86:87], v[112:113], v[86:87] op_sel_hi:[1,0]
	v_pk_add_f32 v[84:85], v[84:85], v[88:89]
	s_waitcnt vmcnt(4)
	v_pk_fma_f32 v[88:89], v[112:113], v[118:119], v[86:87] op_sel:[0,0,1] op_sel_hi:[1,1,0] neg_lo:[0,0,1] neg_hi:[0,0,1]
	v_pk_fma_f32 v[86:87], v[112:113], v[118:119], v[86:87] op_sel:[0,0,1] op_sel_hi:[1,0,0]
	v_mov_b32_e32 v86, v125
	v_mov_b32_e32 v89, v87
	s_waitcnt lgkmcnt(2)
	v_pk_mul_f32 v[86:87], v[74:75], v[86:87] op_sel_hi:[1,0]
	v_pk_add_f32 v[84:85], v[84:85], v[88:89]
	v_pk_fma_f32 v[88:89], v[74:75], v[124:125], v[86:87] op_sel:[0,0,1] op_sel_hi:[1,1,0] neg_lo:[0,0,1] neg_hi:[0,0,1]
	v_pk_fma_f32 v[74:75], v[74:75], v[124:125], v[86:87] op_sel:[0,0,1] op_sel_hi:[1,0,0]
	v_mov_b32_e32 v89, v75
	v_pk_add_f32 v[74:75], v[84:85], v[88:89]
	v_mov_b32_e32 v84, v123
	v_pk_mul_f32 v[84:85], v[76:77], v[84:85] op_sel_hi:[1,0]
	v_pk_fma_f32 v[86:87], v[76:77], v[122:123], v[84:85] op_sel:[0,0,1] op_sel_hi:[1,1,0] neg_lo:[0,0,1] neg_hi:[0,0,1]
	v_pk_fma_f32 v[76:77], v[76:77], v[122:123], v[84:85] op_sel:[0,0,1] op_sel_hi:[1,0,0]
	v_mov_b32_e32 v76, v121
	v_mov_b32_e32 v87, v77
	s_waitcnt lgkmcnt(1)
	v_pk_mul_f32 v[76:77], v[78:79], v[76:77] op_sel_hi:[1,0]
	v_pk_fma_f32 v[84:85], v[78:79], v[120:121], v[76:77] op_sel:[0,0,1] op_sel_hi:[1,1,0] neg_lo:[0,0,1] neg_hi:[0,0,1]
	v_pk_fma_f32 v[76:77], v[78:79], v[120:121], v[76:77] op_sel:[0,0,1] op_sel_hi:[1,0,0]
	s_waitcnt vmcnt(1)
	v_mov_b32_e32 v76, v135
	v_mov_b32_e32 v85, v77
	v_pk_mul_f32 v[76:77], v[80:81], v[76:77] op_sel_hi:[1,0]
	s_waitcnt vmcnt(0)
	v_pk_fma_f32 v[78:79], v[80:81], v[134:135], v[76:77] op_sel:[0,0,1] op_sel_hi:[1,1,0] neg_lo:[0,0,1] neg_hi:[0,0,1]
	v_pk_fma_f32 v[76:77], v[80:81], v[134:135], v[76:77] op_sel:[0,0,1] op_sel_hi:[1,0,0]
	v_pk_add_f32 v[74:75], v[74:75], v[86:87]
	v_mov_b32_e32 v76, v133
	v_pk_add_f32 v[74:75], v[74:75], v[84:85]
	v_mov_b32_e32 v79, v77
	s_waitcnt lgkmcnt(0)
	v_pk_mul_f32 v[76:77], v[82:83], v[76:77] op_sel_hi:[1,0]
	v_pk_add_f32 v[74:75], v[74:75], v[78:79]
	v_pk_fma_f32 v[78:79], v[82:83], v[132:133], v[76:77] op_sel:[0,0,1] op_sel_hi:[1,1,0] neg_lo:[0,0,1] neg_hi:[0,0,1]
	v_pk_fma_f32 v[76:77], v[82:83], v[132:133], v[76:77] op_sel:[0,0,1] op_sel_hi:[1,0,0]
	v_mov_b32_e32 v79, v77
	v_pk_add_f32 v[74:75], v[74:75], v[78:79]
	v_pk_add_f32 v[70:71], v[70:71], v[74:75] neg_lo:[0,1] neg_hi:[0,1]
	buffer_store_dword v71, off, s[0:3], 0 offset:68
	buffer_store_dword v70, off, s[0:3], 0 offset:64
	s_and_saveexec_b64 s[4:5], vcc
	s_cbranch_execz .LBB97_203
; %bb.202:
	buffer_load_dword v70, off, s[0:3], 0 offset:56
	buffer_load_dword v71, off, s[0:3], 0 offset:60
	s_waitcnt vmcnt(0)
	ds_write_b64 v1, v[70:71]
	buffer_store_dword v72, off, s[0:3], 0 offset:56
	buffer_store_dword v72, off, s[0:3], 0 offset:60
.LBB97_203:
	s_or_b64 exec, exec, s[4:5]
	s_waitcnt lgkmcnt(0)
	; wave barrier
	s_waitcnt lgkmcnt(0)
	buffer_load_dword v70, off, s[0:3], 0 offset:68
	buffer_load_dword v71, off, s[0:3], 0 offset:76
	;; [unrolled: 1-line block ×38, first 2 shown]
	ds_read_b128 v[74:77], v72 offset:336
	ds_read_b128 v[78:81], v72 offset:352
	;; [unrolled: 1-line block ×8, first 2 shown]
	buffer_load_dword v117, off, s[0:3], 0 offset:212
	buffer_load_dword v116, off, s[0:3], 0 offset:208
	;; [unrolled: 1-line block ×4, first 2 shown]
	v_cmp_lt_u32_e32 vcc, 6, v0
	s_waitcnt vmcnt(41) lgkmcnt(7)
	v_mul_f32_e32 v106, v74, v70
	s_waitcnt vmcnt(40)
	v_mul_f32_e32 v107, v76, v71
	s_waitcnt vmcnt(39) lgkmcnt(6)
	v_mul_f32_e32 v108, v78, v73
	s_waitcnt vmcnt(38)
	v_mul_f32_e32 v109, v80, v126
	;; [unrolled: 4-line block ×7, first 2 shown]
	s_waitcnt vmcnt(27) lgkmcnt(0)
	v_mul_f32_e32 v127, v102, v146
	s_waitcnt vmcnt(26)
	v_fmac_f32_e32 v106, v75, v147
	s_waitcnt vmcnt(25)
	v_fmac_f32_e32 v107, v77, v148
	v_add_f32_e32 v106, 0, v106
	s_waitcnt vmcnt(24)
	v_fmac_f32_e32 v108, v79, v149
	v_add_f32_e32 v106, v106, v107
	s_waitcnt vmcnt(23)
	v_fmac_f32_e32 v109, v81, v150
	v_add_f32_e32 v106, v106, v108
	s_waitcnt vmcnt(22)
	v_fmac_f32_e32 v110, v83, v151
	v_add_f32_e32 v106, v106, v109
	s_waitcnt vmcnt(21)
	v_fmac_f32_e32 v111, v85, v152
	v_add_f32_e32 v106, v106, v110
	s_waitcnt vmcnt(20)
	v_fmac_f32_e32 v112, v87, v153
	v_add_f32_e32 v106, v106, v111
	s_waitcnt vmcnt(19)
	v_fmac_f32_e32 v113, v89, v154
	v_add_f32_e32 v106, v106, v112
	s_waitcnt vmcnt(18)
	v_fmac_f32_e32 v120, v91, v155
	v_add_f32_e32 v106, v106, v113
	s_waitcnt vmcnt(17)
	v_fmac_f32_e32 v121, v93, v156
	v_add_f32_e32 v106, v106, v120
	s_waitcnt vmcnt(16)
	v_fmac_f32_e32 v122, v95, v157
	v_add_f32_e32 v106, v106, v121
	s_waitcnt vmcnt(15)
	v_fmac_f32_e32 v123, v97, v158
	v_add_f32_e32 v106, v106, v122
	s_waitcnt vmcnt(14)
	v_fmac_f32_e32 v124, v99, v159
	v_add_f32_e32 v106, v106, v123
	s_waitcnt vmcnt(13)
	v_fmac_f32_e32 v125, v101, v160
	v_add_f32_e32 v106, v106, v124
	v_add_f32_e32 v106, v106, v125
	buffer_load_dword v121, off, s[0:3], 0 offset:236
	buffer_load_dword v120, off, s[0:3], 0 offset:232
	;; [unrolled: 1-line block ×6, first 2 shown]
	s_waitcnt vmcnt(18)
	v_fmac_f32_e32 v127, v103, v161
	s_waitcnt vmcnt(17)
	v_mul_f32_e32 v111, v104, v162
	v_add_f32_e32 v110, v106, v127
	s_waitcnt vmcnt(16)
	v_fmac_f32_e32 v111, v105, v163
	ds_read_b128 v[106:109], v72 offset:464
	v_add_f32_e32 v127, v110, v111
	ds_read_b128 v[110:113], v72 offset:480
	buffer_load_dword v133, off, s[0:3], 0 offset:268
	buffer_load_dword v132, off, s[0:3], 0 offset:264
	;; [unrolled: 1-line block ×6, first 2 shown]
	v_mul_f32_e32 v70, v75, v70
	v_fma_f32 v70, v74, v147, -v70
	v_mul_f32_e32 v71, v77, v71
	v_add_f32_e32 v70, 0, v70
	v_fma_f32 v71, v76, v148, -v71
	v_add_f32_e32 v70, v70, v71
	v_mul_f32_e32 v71, v79, v73
	v_fma_f32 v71, v78, v149, -v71
	v_add_f32_e32 v70, v70, v71
	v_mul_f32_e32 v71, v81, v126
	;; [unrolled: 3-line block ×14, first 2 shown]
	v_fma_f32 v71, v104, v163, -v71
	s_waitcnt vmcnt(15)
	v_mov_b32_e32 v84, v117
	s_waitcnt lgkmcnt(1)
	v_mul_f32_e32 v129, v106, v164
	v_add_f32_e32 v126, v70, v71
	v_mul_f32_e32 v70, v107, v164
	s_waitcnt lgkmcnt(0)
	v_pk_mul_f32 v[84:85], v[110:111], v[84:85] op_sel_hi:[1,0]
	v_fmac_f32_e32 v129, v107, v165
	v_mul_f32_e32 v131, v108, v166
	v_fma_f32 v128, v106, v165, -v70
	v_mul_f32_e32 v70, v109, v166
	s_waitcnt vmcnt(14)
	v_pk_fma_f32 v[86:87], v[110:111], v[116:117], v[84:85] op_sel:[0,0,1] op_sel_hi:[1,1,0] neg_lo:[0,0,1] neg_hi:[0,0,1]
	v_pk_fma_f32 v[84:85], v[110:111], v[116:117], v[84:85] op_sel:[0,0,1] op_sel_hi:[1,0,0]
	v_fmac_f32_e32 v131, v109, v167
	v_fma_f32 v130, v108, v167, -v70
	v_pk_add_f32 v[82:83], v[126:127], v[128:129]
	ds_read_b128 v[74:77], v72 offset:496
	ds_read_b128 v[78:81], v72 offset:512
	;; [unrolled: 1-line block ×3, first 2 shown]
	v_pk_add_f32 v[82:83], v[82:83], v[130:131]
	v_mov_b32_e32 v87, v85
	v_pk_add_f32 v[82:83], v[82:83], v[86:87]
	s_waitcnt vmcnt(7)
	v_mov_b32_e32 v84, v125
	v_pk_mul_f32 v[84:85], v[112:113], v[84:85] op_sel_hi:[1,0]
	s_waitcnt vmcnt(6)
	v_pk_fma_f32 v[86:87], v[112:113], v[124:125], v[84:85] op_sel:[0,0,1] op_sel_hi:[1,1,0] neg_lo:[0,0,1] neg_hi:[0,0,1]
	v_pk_fma_f32 v[84:85], v[112:113], v[124:125], v[84:85] op_sel:[0,0,1] op_sel_hi:[1,0,0]
	v_mov_b32_e32 v84, v123
	v_mov_b32_e32 v87, v85
	s_waitcnt lgkmcnt(2)
	v_pk_mul_f32 v[84:85], v[74:75], v[84:85] op_sel_hi:[1,0]
	v_pk_add_f32 v[82:83], v[82:83], v[86:87]
	v_pk_fma_f32 v[86:87], v[74:75], v[122:123], v[84:85] op_sel:[0,0,1] op_sel_hi:[1,1,0] neg_lo:[0,0,1] neg_hi:[0,0,1]
	v_pk_fma_f32 v[74:75], v[74:75], v[122:123], v[84:85] op_sel:[0,0,1] op_sel_hi:[1,0,0]
	v_mov_b32_e32 v87, v75
	v_pk_add_f32 v[74:75], v[82:83], v[86:87]
	v_mov_b32_e32 v82, v121
	v_pk_mul_f32 v[82:83], v[76:77], v[82:83] op_sel_hi:[1,0]
	v_pk_fma_f32 v[84:85], v[76:77], v[120:121], v[82:83] op_sel:[0,0,1] op_sel_hi:[1,1,0] neg_lo:[0,0,1] neg_hi:[0,0,1]
	v_pk_fma_f32 v[76:77], v[76:77], v[120:121], v[82:83] op_sel:[0,0,1] op_sel_hi:[1,0,0]
	v_mov_b32_e32 v76, v119
	v_mov_b32_e32 v85, v77
	s_waitcnt lgkmcnt(1)
	v_pk_mul_f32 v[76:77], v[78:79], v[76:77] op_sel_hi:[1,0]
	v_pk_fma_f32 v[82:83], v[78:79], v[118:119], v[76:77] op_sel:[0,0,1] op_sel_hi:[1,1,0] neg_lo:[0,0,1] neg_hi:[0,0,1]
	v_pk_fma_f32 v[76:77], v[78:79], v[118:119], v[76:77] op_sel:[0,0,1] op_sel_hi:[1,0,0]
	s_waitcnt vmcnt(1)
	v_mov_b32_e32 v76, v137
	v_mov_b32_e32 v83, v77
	v_pk_mul_f32 v[76:77], v[80:81], v[76:77] op_sel_hi:[1,0]
	s_waitcnt vmcnt(0)
	v_pk_fma_f32 v[78:79], v[80:81], v[136:137], v[76:77] op_sel:[0,0,1] op_sel_hi:[1,1,0] neg_lo:[0,0,1] neg_hi:[0,0,1]
	v_pk_fma_f32 v[76:77], v[80:81], v[136:137], v[76:77] op_sel:[0,0,1] op_sel_hi:[1,0,0]
	v_pk_add_f32 v[74:75], v[74:75], v[84:85]
	v_mov_b32_e32 v76, v135
	v_pk_add_f32 v[74:75], v[74:75], v[82:83]
	v_mov_b32_e32 v79, v77
	s_waitcnt lgkmcnt(0)
	v_pk_mul_f32 v[76:77], v[70:71], v[76:77] op_sel_hi:[1,0]
	v_pk_add_f32 v[74:75], v[74:75], v[78:79]
	v_pk_fma_f32 v[78:79], v[70:71], v[134:135], v[76:77] op_sel:[0,0,1] op_sel_hi:[1,1,0] neg_lo:[0,0,1] neg_hi:[0,0,1]
	v_pk_fma_f32 v[70:71], v[70:71], v[134:135], v[76:77] op_sel:[0,0,1] op_sel_hi:[1,0,0]
	v_mov_b32_e32 v79, v71
	v_pk_add_f32 v[70:71], v[74:75], v[78:79]
	v_mov_b32_e32 v74, v133
	v_pk_mul_f32 v[74:75], v[72:73], v[74:75] op_sel_hi:[1,0]
	v_pk_fma_f32 v[76:77], v[72:73], v[132:133], v[74:75] op_sel:[0,0,1] op_sel_hi:[1,1,0] neg_lo:[0,0,1] neg_hi:[0,0,1]
	v_pk_fma_f32 v[72:73], v[72:73], v[132:133], v[74:75] op_sel:[0,0,1] op_sel_hi:[1,0,0]
	v_mov_b32_e32 v77, v73
	v_pk_add_f32 v[70:71], v[70:71], v[76:77]
	v_pk_add_f32 v[70:71], v[114:115], v[70:71] neg_lo:[0,1] neg_hi:[0,1]
	buffer_store_dword v71, off, s[0:3], 0 offset:60
	buffer_store_dword v70, off, s[0:3], 0 offset:56
	s_and_saveexec_b64 s[4:5], vcc
	s_cbranch_execz .LBB97_205
; %bb.204:
	buffer_load_dword v70, off, s[0:3], 0 offset:48
	buffer_load_dword v71, off, s[0:3], 0 offset:52
	v_mov_b32_e32 v72, 0
	buffer_store_dword v72, off, s[0:3], 0 offset:48
	buffer_store_dword v72, off, s[0:3], 0 offset:52
	s_waitcnt vmcnt(2)
	ds_write_b64 v1, v[70:71]
.LBB97_205:
	s_or_b64 exec, exec, s[4:5]
	s_waitcnt lgkmcnt(0)
	; wave barrier
	s_waitcnt lgkmcnt(0)
	buffer_load_dword v73, off, s[0:3], 0 offset:60
	buffer_load_dword v122, off, s[0:3], 0 offset:68
	;; [unrolled: 1-line block ×40, first 2 shown]
	v_mov_b32_e32 v72, 0
	ds_read2_b64 v[74:77], v72 offset0:41 offset1:42
	ds_read2_b64 v[78:81], v72 offset0:43 offset1:44
	;; [unrolled: 1-line block ×8, first 2 shown]
	v_cmp_lt_u32_e32 vcc, 5, v0
	s_waitcnt vmcnt(39) lgkmcnt(7)
	v_mul_f32_e32 v106, v74, v73
	s_waitcnt vmcnt(38)
	v_mul_f32_e32 v107, v76, v122
	s_waitcnt vmcnt(37) lgkmcnt(6)
	v_mul_f32_e32 v108, v78, v124
	s_waitcnt vmcnt(36)
	v_mul_f32_e32 v109, v80, v126
	;; [unrolled: 4-line block ×8, first 2 shown]
	s_waitcnt vmcnt(23)
	v_fmac_f32_e32 v106, v75, v148
	s_waitcnt vmcnt(22)
	v_fmac_f32_e32 v107, v77, v149
	v_add_f32_e32 v106, 0, v106
	s_waitcnt vmcnt(21)
	v_fmac_f32_e32 v108, v79, v150
	v_add_f32_e32 v106, v106, v107
	;; [unrolled: 3-line block ×14, first 2 shown]
	v_add_f32_e32 v106, v106, v120
	s_waitcnt vmcnt(8)
	v_fmac_f32_e32 v121, v105, v163
	v_add_f32_e32 v123, v106, v121
	ds_read2_b64 v[106:109], v72 offset0:57 offset1:58
	buffer_load_dword v115, off, s[0:3], 0 offset:212
	buffer_load_dword v117, off, s[0:3], 0 offset:236
	;; [unrolled: 1-line block ×8, first 2 shown]
	ds_read2_b64 v[110:113], v72 offset0:59 offset1:60
	buffer_load_dword v129, off, s[0:3], 0 offset:268
	buffer_load_dword v128, off, s[0:3], 0 offset:264
	;; [unrolled: 1-line block ×8, first 2 shown]
	v_mul_f32_e32 v73, v75, v73
	v_fma_f32 v73, v74, v148, -v73
	v_mul_f32_e32 v74, v77, v122
	v_add_f32_e32 v73, 0, v73
	v_fma_f32 v74, v76, v149, -v74
	v_add_f32_e32 v73, v73, v74
	v_mul_f32_e32 v74, v79, v124
	v_fma_f32 v74, v78, v150, -v74
	v_add_f32_e32 v73, v73, v74
	v_mul_f32_e32 v74, v81, v126
	;; [unrolled: 3-line block ×14, first 2 shown]
	v_fma_f32 v74, v104, v163, -v74
	s_waitcnt vmcnt(23) lgkmcnt(1)
	v_mul_f32_e32 v125, v106, v164
	v_add_f32_e32 v73, v73, v74
	v_mul_f32_e32 v74, v107, v164
	s_waitcnt vmcnt(22)
	v_fmac_f32_e32 v125, v107, v165
	v_fma_f32 v74, v106, v165, -v74
	v_add_f32_e32 v123, v123, v125
	s_waitcnt vmcnt(21)
	v_mul_f32_e32 v125, v108, v166
	v_add_f32_e32 v122, v73, v74
	v_mul_f32_e32 v73, v109, v166
	s_waitcnt vmcnt(20)
	v_fmac_f32_e32 v125, v109, v167
	s_waitcnt vmcnt(19) lgkmcnt(0)
	v_mul_f32_e32 v127, v110, v168
	v_fma_f32 v124, v108, v167, -v73
	v_mul_f32_e32 v73, v111, v168
	ds_read2_b64 v[74:77], v72 offset0:61 offset1:62
	ds_read2_b64 v[78:81], v72 offset0:63 offset1:64
	;; [unrolled: 1-line block ×3, first 2 shown]
	ds_read_b64 v[86:87], v72 offset:536
	s_waitcnt vmcnt(18)
	v_fmac_f32_e32 v127, v111, v169
	v_fma_f32 v126, v110, v169, -v73
	v_pk_add_f32 v[88:89], v[122:123], v[124:125]
	v_pk_add_f32 v[88:89], v[88:89], v[126:127]
	s_waitcnt vmcnt(15)
	v_mov_b32_e32 v90, v115
	v_pk_mul_f32 v[90:91], v[112:113], v[90:91] op_sel_hi:[1,0]
	s_waitcnt vmcnt(8)
	v_pk_fma_f32 v[92:93], v[112:113], v[114:115], v[90:91] op_sel:[0,0,1] op_sel_hi:[1,1,0] neg_lo:[0,0,1] neg_hi:[0,0,1]
	v_pk_fma_f32 v[90:91], v[112:113], v[114:115], v[90:91] op_sel:[0,0,1] op_sel_hi:[1,0,0]
	v_mov_b32_e32 v90, v121
	v_mov_b32_e32 v93, v91
	s_waitcnt lgkmcnt(3)
	v_pk_mul_f32 v[90:91], v[74:75], v[90:91] op_sel_hi:[1,0]
	v_pk_add_f32 v[88:89], v[88:89], v[92:93]
	v_pk_fma_f32 v[92:93], v[74:75], v[120:121], v[90:91] op_sel:[0,0,1] op_sel_hi:[1,1,0] neg_lo:[0,0,1] neg_hi:[0,0,1]
	v_pk_fma_f32 v[74:75], v[74:75], v[120:121], v[90:91] op_sel:[0,0,1] op_sel_hi:[1,0,0]
	v_mov_b32_e32 v93, v75
	v_pk_add_f32 v[74:75], v[88:89], v[92:93]
	v_mov_b32_e32 v88, v119
	v_pk_mul_f32 v[88:89], v[76:77], v[88:89] op_sel_hi:[1,0]
	v_pk_fma_f32 v[90:91], v[76:77], v[118:119], v[88:89] op_sel:[0,0,1] op_sel_hi:[1,1,0] neg_lo:[0,0,1] neg_hi:[0,0,1]
	v_pk_fma_f32 v[76:77], v[76:77], v[118:119], v[88:89] op_sel:[0,0,1] op_sel_hi:[1,0,0]
	v_mov_b32_e32 v76, v117
	v_mov_b32_e32 v91, v77
	s_waitcnt lgkmcnt(2)
	v_pk_mul_f32 v[76:77], v[78:79], v[76:77] op_sel_hi:[1,0]
	v_pk_fma_f32 v[88:89], v[78:79], v[116:117], v[76:77] op_sel:[0,0,1] op_sel_hi:[1,1,0] neg_lo:[0,0,1] neg_hi:[0,0,1]
	v_pk_fma_f32 v[76:77], v[78:79], v[116:117], v[76:77] op_sel:[0,0,1] op_sel_hi:[1,0,0]
	s_waitcnt vmcnt(1)
	v_mov_b32_e32 v76, v135
	v_mov_b32_e32 v89, v77
	v_pk_mul_f32 v[76:77], v[80:81], v[76:77] op_sel_hi:[1,0]
	s_waitcnt vmcnt(0)
	v_pk_fma_f32 v[78:79], v[80:81], v[134:135], v[76:77] op_sel:[0,0,1] op_sel_hi:[1,1,0] neg_lo:[0,0,1] neg_hi:[0,0,1]
	v_pk_fma_f32 v[76:77], v[80:81], v[134:135], v[76:77] op_sel:[0,0,1] op_sel_hi:[1,0,0]
	v_pk_add_f32 v[74:75], v[74:75], v[90:91]
	v_mov_b32_e32 v76, v133
	v_pk_add_f32 v[74:75], v[74:75], v[88:89]
	v_mov_b32_e32 v79, v77
	s_waitcnt lgkmcnt(1)
	v_pk_mul_f32 v[76:77], v[82:83], v[76:77] op_sel_hi:[1,0]
	v_pk_add_f32 v[74:75], v[74:75], v[78:79]
	v_pk_fma_f32 v[78:79], v[82:83], v[132:133], v[76:77] op_sel:[0,0,1] op_sel_hi:[1,1,0] neg_lo:[0,0,1] neg_hi:[0,0,1]
	v_pk_fma_f32 v[76:77], v[82:83], v[132:133], v[76:77] op_sel:[0,0,1] op_sel_hi:[1,0,0]
	v_mov_b32_e32 v76, v131
	v_mov_b32_e32 v79, v77
	v_pk_mul_f32 v[76:77], v[84:85], v[76:77] op_sel_hi:[1,0]
	v_pk_add_f32 v[74:75], v[74:75], v[78:79]
	v_pk_fma_f32 v[78:79], v[84:85], v[130:131], v[76:77] op_sel:[0,0,1] op_sel_hi:[1,1,0] neg_lo:[0,0,1] neg_hi:[0,0,1]
	v_pk_fma_f32 v[76:77], v[84:85], v[130:131], v[76:77] op_sel:[0,0,1] op_sel_hi:[1,0,0]
	v_mov_b32_e32 v76, v129
	v_mov_b32_e32 v79, v77
	s_waitcnt lgkmcnt(0)
	v_pk_mul_f32 v[76:77], v[86:87], v[76:77] op_sel_hi:[1,0]
	v_pk_add_f32 v[74:75], v[74:75], v[78:79]
	v_pk_fma_f32 v[78:79], v[86:87], v[128:129], v[76:77] op_sel:[0,0,1] op_sel_hi:[1,1,0] neg_lo:[0,0,1] neg_hi:[0,0,1]
	v_pk_fma_f32 v[76:77], v[86:87], v[128:129], v[76:77] op_sel:[0,0,1] op_sel_hi:[1,0,0]
	v_mov_b32_e32 v79, v77
	v_pk_add_f32 v[74:75], v[74:75], v[78:79]
	v_pk_add_f32 v[70:71], v[70:71], v[74:75] neg_lo:[0,1] neg_hi:[0,1]
	buffer_store_dword v71, off, s[0:3], 0 offset:52
	buffer_store_dword v70, off, s[0:3], 0 offset:48
	s_and_saveexec_b64 s[4:5], vcc
	s_cbranch_execz .LBB97_207
; %bb.206:
	buffer_load_dword v70, off, s[0:3], 0 offset:40
	buffer_load_dword v71, off, s[0:3], 0 offset:44
	s_waitcnt vmcnt(0)
	ds_write_b64 v1, v[70:71]
	buffer_store_dword v72, off, s[0:3], 0 offset:40
	buffer_store_dword v72, off, s[0:3], 0 offset:44
.LBB97_207:
	s_or_b64 exec, exec, s[4:5]
	s_waitcnt lgkmcnt(0)
	; wave barrier
	s_waitcnt lgkmcnt(0)
	buffer_load_dword v73, off, s[0:3], 0 offset:52
	buffer_load_dword v114, off, s[0:3], 0 offset:60
	;; [unrolled: 1-line block ×42, first 2 shown]
	ds_read_b128 v[74:77], v72 offset:320
	ds_read_b128 v[78:81], v72 offset:336
	;; [unrolled: 1-line block ×8, first 2 shown]
	v_cmp_lt_u32_e32 vcc, 4, v0
	s_waitcnt vmcnt(41) lgkmcnt(7)
	v_mul_f32_e32 v106, v74, v73
	s_waitcnt vmcnt(40)
	v_mul_f32_e32 v107, v76, v114
	s_waitcnt vmcnt(39) lgkmcnt(6)
	v_mul_f32_e32 v108, v78, v116
	s_waitcnt vmcnt(38)
	v_mul_f32_e32 v109, v80, v124
	;; [unrolled: 4-line block ×7, first 2 shown]
	s_waitcnt vmcnt(27) lgkmcnt(0)
	v_mul_f32_e32 v122, v102, v146
	s_waitcnt vmcnt(26)
	v_fmac_f32_e32 v106, v75, v147
	s_waitcnt vmcnt(25)
	v_fmac_f32_e32 v107, v77, v148
	v_add_f32_e32 v106, 0, v106
	s_waitcnt vmcnt(24)
	v_fmac_f32_e32 v108, v79, v149
	v_add_f32_e32 v106, v106, v107
	;; [unrolled: 3-line block ×14, first 2 shown]
	s_waitcnt vmcnt(11)
	v_mul_f32_e32 v111, v104, v162
	v_add_f32_e32 v110, v106, v122
	s_waitcnt vmcnt(10)
	v_fmac_f32_e32 v111, v105, v163
	ds_read_b128 v[106:109], v72 offset:448
	v_add_f32_e32 v115, v110, v111
	ds_read_b128 v[110:113], v72 offset:464
	buffer_load_dword v119, off, s[0:3], 0 offset:212
	buffer_load_dword v121, off, s[0:3], 0 offset:228
	;; [unrolled: 1-line block ×16, first 2 shown]
	v_mul_f32_e32 v73, v75, v73
	v_fma_f32 v73, v74, v147, -v73
	v_mul_f32_e32 v74, v77, v114
	v_add_f32_e32 v73, 0, v73
	v_fma_f32 v74, v76, v148, -v74
	v_add_f32_e32 v73, v73, v74
	v_mul_f32_e32 v74, v79, v116
	v_fma_f32 v74, v78, v149, -v74
	v_add_f32_e32 v73, v73, v74
	v_mul_f32_e32 v74, v81, v124
	v_fma_f32 v74, v80, v150, -v74
	v_add_f32_e32 v73, v73, v74
	v_mul_f32_e32 v74, v83, v136
	v_fma_f32 v74, v82, v151, -v74
	v_add_f32_e32 v73, v73, v74
	v_mul_f32_e32 v74, v85, v137
	v_fma_f32 v74, v84, v152, -v74
	v_add_f32_e32 v73, v73, v74
	v_mul_f32_e32 v74, v87, v138
	v_fma_f32 v74, v86, v153, -v74
	v_add_f32_e32 v73, v73, v74
	v_mul_f32_e32 v74, v89, v139
	v_fma_f32 v74, v88, v154, -v74
	v_add_f32_e32 v73, v73, v74
	v_mul_f32_e32 v74, v91, v140
	v_fma_f32 v74, v90, v155, -v74
	v_add_f32_e32 v73, v73, v74
	v_mul_f32_e32 v74, v93, v141
	v_fma_f32 v74, v92, v156, -v74
	v_add_f32_e32 v73, v73, v74
	v_mul_f32_e32 v74, v95, v142
	v_fma_f32 v74, v94, v157, -v74
	v_add_f32_e32 v73, v73, v74
	v_mul_f32_e32 v74, v97, v143
	v_fma_f32 v74, v96, v158, -v74
	v_add_f32_e32 v73, v73, v74
	v_mul_f32_e32 v74, v99, v144
	v_fma_f32 v74, v98, v159, -v74
	v_add_f32_e32 v73, v73, v74
	v_mul_f32_e32 v74, v101, v145
	v_fma_f32 v74, v100, v160, -v74
	v_add_f32_e32 v73, v73, v74
	v_mul_f32_e32 v74, v103, v146
	v_fma_f32 v74, v102, v161, -v74
	v_add_f32_e32 v73, v73, v74
	v_mul_f32_e32 v74, v105, v162
	v_fma_f32 v74, v104, v163, -v74
	v_add_f32_e32 v73, v73, v74
	s_waitcnt vmcnt(25) lgkmcnt(1)
	v_mul_f32_e32 v74, v107, v164
	s_waitcnt vmcnt(24)
	v_fma_f32 v74, v106, v165, -v74
	v_add_f32_e32 v73, v73, v74
	s_waitcnt vmcnt(23)
	v_mul_f32_e32 v74, v109, v166
	s_waitcnt vmcnt(22)
	v_fma_f32 v74, v108, v167, -v74
	v_add_f32_e32 v114, v73, v74
	ds_read_b128 v[74:77], v72 offset:480
	ds_read_b128 v[78:81], v72 offset:496
	;; [unrolled: 1-line block ×4, first 2 shown]
	v_mul_f32_e32 v117, v106, v164
	v_fmac_f32_e32 v117, v107, v165
	v_add_f32_e32 v115, v115, v117
	v_mul_f32_e32 v117, v108, v166
	v_fmac_f32_e32 v117, v109, v167
	v_add_f32_e32 v115, v115, v117
	s_waitcnt vmcnt(21) lgkmcnt(4)
	v_mul_f32_e32 v117, v110, v168
	v_mul_f32_e32 v73, v111, v168
	s_waitcnt vmcnt(20)
	v_fmac_f32_e32 v117, v111, v169
	s_waitcnt vmcnt(19)
	v_mul_f32_e32 v125, v112, v170
	v_fma_f32 v116, v110, v169, -v73
	v_mul_f32_e32 v73, v113, v170
	s_waitcnt vmcnt(18)
	v_fmac_f32_e32 v125, v113, v171
	v_fma_f32 v124, v112, v171, -v73
	v_pk_add_f32 v[72:73], v[114:115], v[116:117]
	v_pk_add_f32 v[72:73], v[72:73], v[124:125]
	s_waitcnt vmcnt(15)
	v_mov_b32_e32 v90, v119
	s_waitcnt lgkmcnt(3)
	v_pk_mul_f32 v[90:91], v[74:75], v[90:91] op_sel_hi:[1,0]
	s_waitcnt vmcnt(10)
	v_pk_fma_f32 v[92:93], v[74:75], v[118:119], v[90:91] op_sel:[0,0,1] op_sel_hi:[1,1,0] neg_lo:[0,0,1] neg_hi:[0,0,1]
	v_pk_fma_f32 v[74:75], v[74:75], v[118:119], v[90:91] op_sel:[0,0,1] op_sel_hi:[1,0,0]
	v_mov_b32_e32 v74, v123
	v_mov_b32_e32 v93, v75
	v_pk_mul_f32 v[74:75], v[76:77], v[74:75] op_sel_hi:[1,0]
	v_pk_fma_f32 v[90:91], v[76:77], v[122:123], v[74:75] op_sel:[0,0,1] op_sel_hi:[1,1,0] neg_lo:[0,0,1] neg_hi:[0,0,1]
	v_pk_fma_f32 v[74:75], v[76:77], v[122:123], v[74:75] op_sel:[0,0,1] op_sel_hi:[1,0,0]
	v_mov_b32_e32 v74, v121
	v_mov_b32_e32 v91, v75
	s_waitcnt lgkmcnt(2)
	v_pk_mul_f32 v[74:75], v[78:79], v[74:75] op_sel_hi:[1,0]
	v_pk_fma_f32 v[76:77], v[78:79], v[120:121], v[74:75] op_sel:[0,0,1] op_sel_hi:[1,1,0] neg_lo:[0,0,1] neg_hi:[0,0,1]
	v_pk_fma_f32 v[74:75], v[78:79], v[120:121], v[74:75] op_sel:[0,0,1] op_sel_hi:[1,0,0]
	v_pk_add_f32 v[72:73], v[72:73], v[92:93]
	s_waitcnt vmcnt(3)
	v_mov_b32_e32 v74, v133
	v_pk_add_f32 v[72:73], v[72:73], v[90:91]
	v_mov_b32_e32 v77, v75
	v_pk_mul_f32 v[74:75], v[80:81], v[74:75] op_sel_hi:[1,0]
	v_pk_add_f32 v[72:73], v[72:73], v[76:77]
	s_waitcnt vmcnt(2)
	v_pk_fma_f32 v[76:77], v[80:81], v[132:133], v[74:75] op_sel:[0,0,1] op_sel_hi:[1,1,0] neg_lo:[0,0,1] neg_hi:[0,0,1]
	v_pk_fma_f32 v[74:75], v[80:81], v[132:133], v[74:75] op_sel:[0,0,1] op_sel_hi:[1,0,0]
	v_mov_b32_e32 v74, v131
	v_mov_b32_e32 v77, v75
	s_waitcnt lgkmcnt(1)
	v_pk_mul_f32 v[74:75], v[82:83], v[74:75] op_sel_hi:[1,0]
	v_pk_add_f32 v[72:73], v[72:73], v[76:77]
	v_pk_fma_f32 v[76:77], v[82:83], v[130:131], v[74:75] op_sel:[0,0,1] op_sel_hi:[1,1,0] neg_lo:[0,0,1] neg_hi:[0,0,1]
	v_pk_fma_f32 v[74:75], v[82:83], v[130:131], v[74:75] op_sel:[0,0,1] op_sel_hi:[1,0,0]
	v_mov_b32_e32 v74, v129
	v_mov_b32_e32 v77, v75
	v_pk_mul_f32 v[74:75], v[84:85], v[74:75] op_sel_hi:[1,0]
	v_pk_add_f32 v[72:73], v[72:73], v[76:77]
	v_pk_fma_f32 v[76:77], v[84:85], v[128:129], v[74:75] op_sel:[0,0,1] op_sel_hi:[1,1,0] neg_lo:[0,0,1] neg_hi:[0,0,1]
	v_pk_fma_f32 v[74:75], v[84:85], v[128:129], v[74:75] op_sel:[0,0,1] op_sel_hi:[1,0,0]
	v_mov_b32_e32 v74, v127
	v_mov_b32_e32 v77, v75
	s_waitcnt lgkmcnt(0)
	v_pk_mul_f32 v[74:75], v[86:87], v[74:75] op_sel_hi:[1,0]
	v_pk_add_f32 v[72:73], v[72:73], v[76:77]
	v_pk_fma_f32 v[76:77], v[86:87], v[126:127], v[74:75] op_sel:[0,0,1] op_sel_hi:[1,1,0] neg_lo:[0,0,1] neg_hi:[0,0,1]
	v_pk_fma_f32 v[74:75], v[86:87], v[126:127], v[74:75] op_sel:[0,0,1] op_sel_hi:[1,0,0]
	s_waitcnt vmcnt(1)
	v_mov_b32_e32 v74, v135
	v_mov_b32_e32 v77, v75
	v_pk_mul_f32 v[74:75], v[88:89], v[74:75] op_sel_hi:[1,0]
	v_pk_add_f32 v[72:73], v[72:73], v[76:77]
	s_waitcnt vmcnt(0)
	v_pk_fma_f32 v[76:77], v[88:89], v[134:135], v[74:75] op_sel:[0,0,1] op_sel_hi:[1,1,0] neg_lo:[0,0,1] neg_hi:[0,0,1]
	v_pk_fma_f32 v[74:75], v[88:89], v[134:135], v[74:75] op_sel:[0,0,1] op_sel_hi:[1,0,0]
	v_mov_b32_e32 v77, v75
	v_pk_add_f32 v[72:73], v[72:73], v[76:77]
	v_pk_add_f32 v[70:71], v[70:71], v[72:73] neg_lo:[0,1] neg_hi:[0,1]
	buffer_store_dword v71, off, s[0:3], 0 offset:44
	buffer_store_dword v70, off, s[0:3], 0 offset:40
	s_and_saveexec_b64 s[4:5], vcc
	s_cbranch_execz .LBB97_209
; %bb.208:
	buffer_load_dword v70, off, s[0:3], 0 offset:32
	buffer_load_dword v71, off, s[0:3], 0 offset:36
	v_mov_b32_e32 v72, 0
	buffer_store_dword v72, off, s[0:3], 0 offset:32
	buffer_store_dword v72, off, s[0:3], 0 offset:36
	s_waitcnt vmcnt(2)
	ds_write_b64 v1, v[70:71]
.LBB97_209:
	s_or_b64 exec, exec, s[4:5]
	s_waitcnt lgkmcnt(0)
	; wave barrier
	s_waitcnt lgkmcnt(0)
	buffer_load_dword v73, off, s[0:3], 0 offset:44
	buffer_load_dword v122, off, s[0:3], 0 offset:52
	;; [unrolled: 1-line block ×44, first 2 shown]
	v_mov_b32_e32 v72, 0
	ds_read2_b64 v[74:77], v72 offset0:39 offset1:40
	ds_read2_b64 v[78:81], v72 offset0:41 offset1:42
	;; [unrolled: 1-line block ×8, first 2 shown]
	v_cmp_lt_u32_e32 vcc, 3, v0
	s_waitcnt vmcnt(43) lgkmcnt(7)
	v_mul_f32_e32 v106, v74, v73
	s_waitcnt vmcnt(42)
	v_mul_f32_e32 v107, v76, v122
	s_waitcnt vmcnt(41) lgkmcnt(6)
	v_mul_f32_e32 v108, v78, v128
	s_waitcnt vmcnt(40)
	v_mul_f32_e32 v109, v80, v130
	;; [unrolled: 4-line block ×7, first 2 shown]
	s_waitcnt vmcnt(29)
	v_fmac_f32_e32 v106, v75, v154
	s_waitcnt vmcnt(28)
	v_fmac_f32_e32 v107, v77, v155
	v_add_f32_e32 v106, 0, v106
	s_waitcnt vmcnt(27)
	v_fmac_f32_e32 v108, v79, v156
	v_add_f32_e32 v106, v106, v107
	s_waitcnt vmcnt(26)
	v_fmac_f32_e32 v109, v81, v157
	v_add_f32_e32 v106, v106, v108
	s_waitcnt vmcnt(25)
	v_fmac_f32_e32 v110, v83, v158
	v_add_f32_e32 v106, v106, v109
	s_waitcnt vmcnt(24)
	v_fmac_f32_e32 v111, v85, v159
	v_add_f32_e32 v106, v106, v110
	s_waitcnt vmcnt(23)
	v_fmac_f32_e32 v112, v87, v160
	v_add_f32_e32 v106, v106, v111
	s_waitcnt vmcnt(22)
	v_fmac_f32_e32 v113, v89, v161
	v_add_f32_e32 v106, v106, v112
	s_waitcnt vmcnt(21)
	v_fmac_f32_e32 v114, v91, v162
	v_add_f32_e32 v106, v106, v113
	s_waitcnt vmcnt(20)
	v_fmac_f32_e32 v115, v93, v163
	v_add_f32_e32 v106, v106, v114
	s_waitcnt vmcnt(19)
	v_fmac_f32_e32 v116, v95, v164
	v_add_f32_e32 v106, v106, v115
	s_waitcnt vmcnt(18)
	v_fmac_f32_e32 v117, v97, v165
	v_add_f32_e32 v106, v106, v116
	s_waitcnt vmcnt(17)
	v_fmac_f32_e32 v118, v99, v166
	v_add_f32_e32 v106, v106, v117
	v_add_f32_e32 v106, v106, v118
	s_waitcnt vmcnt(16)
	v_fmac_f32_e32 v119, v101, v167
	s_waitcnt vmcnt(15) lgkmcnt(0)
	v_mul_f32_e32 v107, v102, v168
	v_add_f32_e32 v106, v106, v119
	s_waitcnt vmcnt(14)
	v_fmac_f32_e32 v107, v103, v169
	v_add_f32_e32 v110, v106, v107
	ds_read2_b64 v[106:109], v72 offset0:55 offset1:56
	s_waitcnt vmcnt(13)
	v_mul_f32_e32 v111, v104, v170
	s_waitcnt vmcnt(12)
	v_fmac_f32_e32 v111, v105, v171
	v_add_f32_e32 v114, v110, v111
	ds_read2_b64 v[110:113], v72 offset0:57 offset1:58
	s_waitcnt vmcnt(11) lgkmcnt(1)
	v_mul_f32_e32 v115, v106, v172
	s_waitcnt vmcnt(10)
	v_fmac_f32_e32 v115, v107, v173
	v_add_f32_e32 v114, v114, v115
	s_waitcnt vmcnt(9)
	v_mul_f32_e32 v115, v108, v174
	s_waitcnt vmcnt(8)
	v_fmac_f32_e32 v115, v109, v175
	v_add_f32_e32 v114, v114, v115
	s_waitcnt vmcnt(7) lgkmcnt(0)
	v_mul_f32_e32 v115, v110, v176
	s_waitcnt vmcnt(6)
	v_fmac_f32_e32 v115, v111, v177
	v_add_f32_e32 v123, v114, v115
	ds_read2_b64 v[114:117], v72 offset0:59 offset1:60
	buffer_load_dword v125, off, s[0:3], 0 offset:220
	buffer_load_dword v124, off, s[0:3], 0 offset:216
	;; [unrolled: 1-line block ×4, first 2 shown]
	ds_read2_b64 v[118:121], v72 offset0:61 offset1:62
	buffer_load_dword v133, off, s[0:3], 0 offset:252
	buffer_load_dword v132, off, s[0:3], 0 offset:248
	;; [unrolled: 1-line block ×12, first 2 shown]
	v_mul_f32_e32 v73, v75, v73
	v_fma_f32 v73, v74, v154, -v73
	v_mul_f32_e32 v74, v77, v122
	v_add_f32_e32 v73, 0, v73
	v_fma_f32 v74, v76, v155, -v74
	v_add_f32_e32 v73, v73, v74
	v_mul_f32_e32 v74, v79, v128
	v_fma_f32 v74, v78, v156, -v74
	v_add_f32_e32 v73, v73, v74
	v_mul_f32_e32 v74, v81, v130
	v_fma_f32 v74, v80, v157, -v74
	v_add_f32_e32 v73, v73, v74
	v_mul_f32_e32 v74, v83, v144
	v_fma_f32 v74, v82, v158, -v74
	v_add_f32_e32 v73, v73, v74
	v_mul_f32_e32 v74, v85, v145
	v_fma_f32 v74, v84, v159, -v74
	v_add_f32_e32 v73, v73, v74
	v_mul_f32_e32 v74, v87, v146
	v_fma_f32 v74, v86, v160, -v74
	v_add_f32_e32 v73, v73, v74
	v_mul_f32_e32 v74, v89, v147
	v_fma_f32 v74, v88, v161, -v74
	v_add_f32_e32 v73, v73, v74
	v_mul_f32_e32 v74, v91, v148
	v_fma_f32 v74, v90, v162, -v74
	v_add_f32_e32 v73, v73, v74
	v_mul_f32_e32 v74, v93, v149
	v_fma_f32 v74, v92, v163, -v74
	v_add_f32_e32 v73, v73, v74
	v_mul_f32_e32 v74, v95, v150
	v_fma_f32 v74, v94, v164, -v74
	v_add_f32_e32 v73, v73, v74
	v_mul_f32_e32 v74, v97, v151
	v_fma_f32 v74, v96, v165, -v74
	v_add_f32_e32 v73, v73, v74
	v_mul_f32_e32 v74, v99, v152
	v_fma_f32 v74, v98, v166, -v74
	v_add_f32_e32 v73, v73, v74
	v_mul_f32_e32 v74, v101, v153
	v_fma_f32 v74, v100, v167, -v74
	v_add_f32_e32 v73, v73, v74
	v_mul_f32_e32 v74, v103, v168
	v_fma_f32 v74, v102, v169, -v74
	v_add_f32_e32 v73, v73, v74
	v_mul_f32_e32 v74, v105, v170
	v_fma_f32 v74, v104, v171, -v74
	v_add_f32_e32 v73, v73, v74
	v_mul_f32_e32 v74, v107, v172
	v_fma_f32 v74, v106, v173, -v74
	v_add_f32_e32 v73, v73, v74
	v_mul_f32_e32 v74, v109, v174
	v_fma_f32 v74, v108, v175, -v74
	v_add_f32_e32 v73, v73, v74
	v_mul_f32_e32 v74, v111, v176
	v_fma_f32 v74, v110, v177, -v74
	s_waitcnt vmcnt(21)
	v_mul_f32_e32 v129, v112, v178
	v_add_f32_e32 v122, v73, v74
	v_mul_f32_e32 v73, v113, v178
	s_waitcnt vmcnt(20)
	v_fmac_f32_e32 v129, v113, v179
	s_waitcnt vmcnt(19) lgkmcnt(1)
	v_mul_f32_e32 v131, v114, v180
	v_fma_f32 v128, v112, v179, -v73
	v_mul_f32_e32 v73, v115, v180
	s_waitcnt vmcnt(18)
	v_fmac_f32_e32 v131, v115, v181
	v_fma_f32 v130, v114, v181, -v73
	v_pk_add_f32 v[84:85], v[122:123], v[128:129]
	v_pk_add_f32 v[84:85], v[84:85], v[130:131]
	ds_read2_b64 v[74:77], v72 offset0:63 offset1:64
	ds_read2_b64 v[78:81], v72 offset0:65 offset1:66
	ds_read_b64 v[82:83], v72 offset:536
	s_waitcnt vmcnt(13)
	v_mov_b32_e32 v86, v127
	v_pk_mul_f32 v[86:87], v[116:117], v[86:87] op_sel_hi:[1,0]
	s_waitcnt vmcnt(12)
	v_pk_fma_f32 v[88:89], v[116:117], v[126:127], v[86:87] op_sel:[0,0,1] op_sel_hi:[1,1,0] neg_lo:[0,0,1] neg_hi:[0,0,1]
	v_pk_fma_f32 v[86:87], v[116:117], v[126:127], v[86:87] op_sel:[0,0,1] op_sel_hi:[1,0,0]
	v_mov_b32_e32 v86, v125
	v_mov_b32_e32 v89, v87
	s_waitcnt lgkmcnt(3)
	v_pk_mul_f32 v[86:87], v[118:119], v[86:87] op_sel_hi:[1,0]
	v_pk_add_f32 v[84:85], v[84:85], v[88:89]
	v_pk_fma_f32 v[88:89], v[118:119], v[124:125], v[86:87] op_sel:[0,0,1] op_sel_hi:[1,1,0] neg_lo:[0,0,1] neg_hi:[0,0,1]
	v_pk_fma_f32 v[86:87], v[118:119], v[124:125], v[86:87] op_sel:[0,0,1] op_sel_hi:[1,0,0]
	s_waitcnt vmcnt(5)
	v_mov_b32_e32 v86, v139
	v_mov_b32_e32 v89, v87
	v_pk_mul_f32 v[86:87], v[120:121], v[86:87] op_sel_hi:[1,0]
	v_pk_add_f32 v[84:85], v[84:85], v[88:89]
	s_waitcnt vmcnt(4)
	v_pk_fma_f32 v[88:89], v[120:121], v[138:139], v[86:87] op_sel:[0,0,1] op_sel_hi:[1,1,0] neg_lo:[0,0,1] neg_hi:[0,0,1]
	v_pk_fma_f32 v[86:87], v[120:121], v[138:139], v[86:87] op_sel:[0,0,1] op_sel_hi:[1,0,0]
	v_mov_b32_e32 v86, v137
	v_mov_b32_e32 v89, v87
	s_waitcnt lgkmcnt(2)
	v_pk_mul_f32 v[86:87], v[74:75], v[86:87] op_sel_hi:[1,0]
	v_pk_add_f32 v[84:85], v[84:85], v[88:89]
	v_pk_fma_f32 v[88:89], v[74:75], v[136:137], v[86:87] op_sel:[0,0,1] op_sel_hi:[1,1,0] neg_lo:[0,0,1] neg_hi:[0,0,1]
	v_pk_fma_f32 v[74:75], v[74:75], v[136:137], v[86:87] op_sel:[0,0,1] op_sel_hi:[1,0,0]
	v_mov_b32_e32 v89, v75
	v_pk_add_f32 v[74:75], v[84:85], v[88:89]
	v_mov_b32_e32 v84, v135
	v_pk_mul_f32 v[84:85], v[76:77], v[84:85] op_sel_hi:[1,0]
	v_pk_fma_f32 v[86:87], v[76:77], v[134:135], v[84:85] op_sel:[0,0,1] op_sel_hi:[1,1,0] neg_lo:[0,0,1] neg_hi:[0,0,1]
	v_pk_fma_f32 v[76:77], v[76:77], v[134:135], v[84:85] op_sel:[0,0,1] op_sel_hi:[1,0,0]
	v_mov_b32_e32 v76, v133
	v_mov_b32_e32 v87, v77
	s_waitcnt lgkmcnt(1)
	v_pk_mul_f32 v[76:77], v[78:79], v[76:77] op_sel_hi:[1,0]
	v_pk_fma_f32 v[84:85], v[78:79], v[132:133], v[76:77] op_sel:[0,0,1] op_sel_hi:[1,1,0] neg_lo:[0,0,1] neg_hi:[0,0,1]
	v_pk_fma_f32 v[76:77], v[78:79], v[132:133], v[76:77] op_sel:[0,0,1] op_sel_hi:[1,0,0]
	s_waitcnt vmcnt(1)
	v_mov_b32_e32 v76, v143
	v_mov_b32_e32 v85, v77
	v_pk_mul_f32 v[76:77], v[80:81], v[76:77] op_sel_hi:[1,0]
	s_waitcnt vmcnt(0)
	v_pk_fma_f32 v[78:79], v[80:81], v[142:143], v[76:77] op_sel:[0,0,1] op_sel_hi:[1,1,0] neg_lo:[0,0,1] neg_hi:[0,0,1]
	v_pk_fma_f32 v[76:77], v[80:81], v[142:143], v[76:77] op_sel:[0,0,1] op_sel_hi:[1,0,0]
	v_pk_add_f32 v[74:75], v[74:75], v[86:87]
	v_mov_b32_e32 v76, v141
	v_pk_add_f32 v[74:75], v[74:75], v[84:85]
	v_mov_b32_e32 v79, v77
	s_waitcnt lgkmcnt(0)
	v_pk_mul_f32 v[76:77], v[82:83], v[76:77] op_sel_hi:[1,0]
	v_pk_add_f32 v[74:75], v[74:75], v[78:79]
	v_pk_fma_f32 v[78:79], v[82:83], v[140:141], v[76:77] op_sel:[0,0,1] op_sel_hi:[1,1,0] neg_lo:[0,0,1] neg_hi:[0,0,1]
	v_pk_fma_f32 v[76:77], v[82:83], v[140:141], v[76:77] op_sel:[0,0,1] op_sel_hi:[1,0,0]
	v_mov_b32_e32 v79, v77
	v_pk_add_f32 v[74:75], v[74:75], v[78:79]
	v_pk_add_f32 v[70:71], v[70:71], v[74:75] neg_lo:[0,1] neg_hi:[0,1]
	buffer_store_dword v71, off, s[0:3], 0 offset:36
	buffer_store_dword v70, off, s[0:3], 0 offset:32
	s_and_saveexec_b64 s[4:5], vcc
	s_cbranch_execz .LBB97_211
; %bb.210:
	buffer_load_dword v70, off, s[0:3], 0 offset:24
	buffer_load_dword v71, off, s[0:3], 0 offset:28
	s_waitcnt vmcnt(0)
	ds_write_b64 v1, v[70:71]
	buffer_store_dword v72, off, s[0:3], 0 offset:24
	buffer_store_dword v72, off, s[0:3], 0 offset:28
.LBB97_211:
	s_or_b64 exec, exec, s[4:5]
	s_waitcnt lgkmcnt(0)
	; wave barrier
	s_waitcnt lgkmcnt(0)
	buffer_load_dword v73, off, s[0:3], 0 offset:36
	buffer_load_dword v124, off, s[0:3], 0 offset:44
	;; [unrolled: 1-line block ×46, first 2 shown]
	ds_read_b128 v[74:77], v72 offset:304
	ds_read_b128 v[78:81], v72 offset:320
	;; [unrolled: 1-line block ×8, first 2 shown]
	v_cmp_lt_u32_e32 vcc, 2, v0
	s_waitcnt vmcnt(45) lgkmcnt(7)
	v_mul_f32_e32 v106, v74, v73
	s_waitcnt vmcnt(44)
	v_mul_f32_e32 v107, v76, v124
	s_waitcnt vmcnt(43) lgkmcnt(6)
	v_mul_f32_e32 v108, v78, v126
	s_waitcnt vmcnt(42)
	v_mul_f32_e32 v109, v80, v128
	;; [unrolled: 4-line block ×6, first 2 shown]
	s_waitcnt vmcnt(33) lgkmcnt(1)
	v_mul_f32_e32 v118, v98, v152
	s_waitcnt vmcnt(32)
	v_fmac_f32_e32 v106, v75, v153
	s_waitcnt vmcnt(31)
	v_fmac_f32_e32 v107, v77, v154
	v_add_f32_e32 v106, 0, v106
	s_waitcnt vmcnt(30)
	v_fmac_f32_e32 v108, v79, v155
	v_add_f32_e32 v106, v106, v107
	;; [unrolled: 3-line block ×12, first 2 shown]
	s_waitcnt vmcnt(19)
	v_mul_f32_e32 v107, v100, v166
	v_add_f32_e32 v106, v106, v118
	s_waitcnt vmcnt(18)
	v_fmac_f32_e32 v107, v101, v167
	v_add_f32_e32 v106, v106, v107
	s_waitcnt vmcnt(17) lgkmcnt(0)
	v_mul_f32_e32 v107, v102, v168
	s_waitcnt vmcnt(16)
	v_fmac_f32_e32 v107, v103, v169
	v_add_f32_e32 v110, v106, v107
	ds_read_b128 v[106:109], v72 offset:432
	s_waitcnt vmcnt(15)
	v_mul_f32_e32 v111, v104, v170
	s_waitcnt vmcnt(14)
	v_fmac_f32_e32 v111, v105, v171
	v_add_f32_e32 v114, v110, v111
	ds_read_b128 v[110:113], v72 offset:448
	buffer_load_dword v123, off, s[0:3], 0 offset:212
	buffer_load_dword v122, off, s[0:3], 0 offset:208
	s_waitcnt vmcnt(15) lgkmcnt(1)
	v_mul_f32_e32 v115, v106, v172
	s_waitcnt vmcnt(14)
	v_fmac_f32_e32 v115, v107, v173
	v_add_f32_e32 v114, v114, v115
	s_waitcnt vmcnt(13)
	v_mul_f32_e32 v115, v108, v174
	s_waitcnt vmcnt(12)
	v_fmac_f32_e32 v115, v109, v175
	v_add_f32_e32 v114, v114, v115
	s_waitcnt vmcnt(11) lgkmcnt(0)
	v_mul_f32_e32 v115, v110, v176
	s_waitcnt vmcnt(10)
	v_fmac_f32_e32 v115, v111, v177
	s_waitcnt vmcnt(9)
	v_mul_f32_e32 v119, v112, v178
	v_add_f32_e32 v118, v114, v115
	s_waitcnt vmcnt(8)
	v_fmac_f32_e32 v119, v113, v179
	ds_read_b128 v[114:117], v72 offset:464
	v_add_f32_e32 v125, v118, v119
	ds_read_b128 v[118:121], v72 offset:480
	buffer_load_dword v131, off, s[0:3], 0 offset:244
	buffer_load_dword v130, off, s[0:3], 0 offset:240
	;; [unrolled: 1-line block ×14, first 2 shown]
	v_mul_f32_e32 v73, v75, v73
	v_fma_f32 v73, v74, v153, -v73
	v_mul_f32_e32 v74, v77, v124
	v_add_f32_e32 v73, 0, v73
	v_fma_f32 v74, v76, v154, -v74
	v_add_f32_e32 v73, v73, v74
	v_mul_f32_e32 v74, v79, v126
	v_fma_f32 v74, v78, v155, -v74
	v_add_f32_e32 v73, v73, v74
	v_mul_f32_e32 v74, v81, v128
	;; [unrolled: 3-line block ×18, first 2 shown]
	v_fma_f32 v74, v112, v179, -v74
	s_waitcnt vmcnt(21) lgkmcnt(1)
	v_mul_f32_e32 v127, v114, v180
	v_add_f32_e32 v124, v73, v74
	v_mul_f32_e32 v73, v115, v180
	s_waitcnt vmcnt(20)
	v_fmac_f32_e32 v127, v115, v181
	s_waitcnt vmcnt(15)
	v_mov_b32_e32 v86, v123
	s_waitcnt lgkmcnt(0)
	v_pk_mul_f32 v[86:87], v[118:119], v[86:87] op_sel_hi:[1,0]
	v_mul_f32_e32 v129, v116, v182
	v_fma_f32 v126, v114, v181, -v73
	v_mul_f32_e32 v73, v117, v182
	s_waitcnt vmcnt(14)
	v_pk_fma_f32 v[88:89], v[118:119], v[122:123], v[86:87] op_sel:[0,0,1] op_sel_hi:[1,1,0] neg_lo:[0,0,1] neg_hi:[0,0,1]
	v_pk_fma_f32 v[86:87], v[118:119], v[122:123], v[86:87] op_sel:[0,0,1] op_sel_hi:[1,0,0]
	v_fmac_f32_e32 v129, v117, v183
	v_fma_f32 v128, v116, v183, -v73
	ds_read_b128 v[74:77], v72 offset:496
	ds_read_b128 v[78:81], v72 offset:512
	ds_read_b128 v[82:85], v72 offset:528
	v_pk_add_f32 v[72:73], v[124:125], v[126:127]
	s_waitcnt vmcnt(7)
	v_mov_b32_e32 v86, v137
	v_pk_add_f32 v[72:73], v[72:73], v[128:129]
	v_mov_b32_e32 v89, v87
	v_pk_mul_f32 v[86:87], v[120:121], v[86:87] op_sel_hi:[1,0]
	v_pk_add_f32 v[72:73], v[72:73], v[88:89]
	s_waitcnt vmcnt(6)
	v_pk_fma_f32 v[88:89], v[120:121], v[136:137], v[86:87] op_sel:[0,0,1] op_sel_hi:[1,1,0] neg_lo:[0,0,1] neg_hi:[0,0,1]
	v_pk_fma_f32 v[86:87], v[120:121], v[136:137], v[86:87] op_sel:[0,0,1] op_sel_hi:[1,0,0]
	v_mov_b32_e32 v86, v135
	v_mov_b32_e32 v89, v87
	s_waitcnt lgkmcnt(2)
	v_pk_mul_f32 v[86:87], v[74:75], v[86:87] op_sel_hi:[1,0]
	v_pk_add_f32 v[72:73], v[72:73], v[88:89]
	v_pk_fma_f32 v[88:89], v[74:75], v[134:135], v[86:87] op_sel:[0,0,1] op_sel_hi:[1,1,0] neg_lo:[0,0,1] neg_hi:[0,0,1]
	v_pk_fma_f32 v[74:75], v[74:75], v[134:135], v[86:87] op_sel:[0,0,1] op_sel_hi:[1,0,0]
	v_mov_b32_e32 v74, v133
	v_mov_b32_e32 v89, v75
	v_pk_mul_f32 v[74:75], v[76:77], v[74:75] op_sel_hi:[1,0]
	v_pk_fma_f32 v[86:87], v[76:77], v[132:133], v[74:75] op_sel:[0,0,1] op_sel_hi:[1,1,0] neg_lo:[0,0,1] neg_hi:[0,0,1]
	v_pk_fma_f32 v[74:75], v[76:77], v[132:133], v[74:75] op_sel:[0,0,1] op_sel_hi:[1,0,0]
	v_mov_b32_e32 v74, v131
	v_mov_b32_e32 v87, v75
	s_waitcnt lgkmcnt(1)
	v_pk_mul_f32 v[74:75], v[78:79], v[74:75] op_sel_hi:[1,0]
	v_pk_fma_f32 v[76:77], v[78:79], v[130:131], v[74:75] op_sel:[0,0,1] op_sel_hi:[1,1,0] neg_lo:[0,0,1] neg_hi:[0,0,1]
	v_pk_fma_f32 v[74:75], v[78:79], v[130:131], v[74:75] op_sel:[0,0,1] op_sel_hi:[1,0,0]
	v_pk_add_f32 v[72:73], v[72:73], v[88:89]
	s_waitcnt vmcnt(1)
	v_mov_b32_e32 v74, v143
	v_pk_add_f32 v[72:73], v[72:73], v[86:87]
	v_mov_b32_e32 v77, v75
	v_pk_mul_f32 v[74:75], v[80:81], v[74:75] op_sel_hi:[1,0]
	v_pk_add_f32 v[72:73], v[72:73], v[76:77]
	s_waitcnt vmcnt(0)
	v_pk_fma_f32 v[76:77], v[80:81], v[142:143], v[74:75] op_sel:[0,0,1] op_sel_hi:[1,1,0] neg_lo:[0,0,1] neg_hi:[0,0,1]
	v_pk_fma_f32 v[74:75], v[80:81], v[142:143], v[74:75] op_sel:[0,0,1] op_sel_hi:[1,0,0]
	v_mov_b32_e32 v74, v141
	v_mov_b32_e32 v77, v75
	s_waitcnt lgkmcnt(0)
	v_pk_mul_f32 v[74:75], v[82:83], v[74:75] op_sel_hi:[1,0]
	v_pk_add_f32 v[72:73], v[72:73], v[76:77]
	v_pk_fma_f32 v[76:77], v[82:83], v[140:141], v[74:75] op_sel:[0,0,1] op_sel_hi:[1,1,0] neg_lo:[0,0,1] neg_hi:[0,0,1]
	v_pk_fma_f32 v[74:75], v[82:83], v[140:141], v[74:75] op_sel:[0,0,1] op_sel_hi:[1,0,0]
	v_mov_b32_e32 v74, v139
	v_mov_b32_e32 v77, v75
	v_pk_mul_f32 v[74:75], v[84:85], v[74:75] op_sel_hi:[1,0]
	v_pk_add_f32 v[72:73], v[72:73], v[76:77]
	v_pk_fma_f32 v[76:77], v[84:85], v[138:139], v[74:75] op_sel:[0,0,1] op_sel_hi:[1,1,0] neg_lo:[0,0,1] neg_hi:[0,0,1]
	v_pk_fma_f32 v[74:75], v[84:85], v[138:139], v[74:75] op_sel:[0,0,1] op_sel_hi:[1,0,0]
	v_mov_b32_e32 v77, v75
	v_pk_add_f32 v[72:73], v[72:73], v[76:77]
	v_pk_add_f32 v[70:71], v[70:71], v[72:73] neg_lo:[0,1] neg_hi:[0,1]
	buffer_store_dword v71, off, s[0:3], 0 offset:28
	buffer_store_dword v70, off, s[0:3], 0 offset:24
	s_and_saveexec_b64 s[4:5], vcc
	s_cbranch_execz .LBB97_213
; %bb.212:
	buffer_load_dword v70, off, s[0:3], 0 offset:16
	buffer_load_dword v71, off, s[0:3], 0 offset:20
	v_mov_b32_e32 v72, 0
	buffer_store_dword v72, off, s[0:3], 0 offset:16
	buffer_store_dword v72, off, s[0:3], 0 offset:20
	s_waitcnt vmcnt(2)
	ds_write_b64 v1, v[70:71]
.LBB97_213:
	s_or_b64 exec, exec, s[4:5]
	s_waitcnt lgkmcnt(0)
	; wave barrier
	s_waitcnt lgkmcnt(0)
	buffer_load_dword v73, off, s[0:3], 0 offset:28
	buffer_load_dword v122, off, s[0:3], 0 offset:36
	;; [unrolled: 1-line block ×48, first 2 shown]
	v_mov_b32_e32 v72, 0
	ds_read2_b64 v[74:77], v72 offset0:37 offset1:38
	ds_read2_b64 v[78:81], v72 offset0:39 offset1:40
	;; [unrolled: 1-line block ×6, first 2 shown]
	v_cmp_lt_u32_e32 vcc, 1, v0
	s_waitcnt vmcnt(47) lgkmcnt(5)
	v_mul_f32_e32 v98, v74, v73
	s_waitcnt vmcnt(46)
	v_mul_f32_e32 v99, v76, v122
	s_waitcnt vmcnt(45) lgkmcnt(4)
	v_mul_f32_e32 v100, v78, v124
	s_waitcnt vmcnt(44)
	v_mul_f32_e32 v101, v80, v126
	;; [unrolled: 4-line block ×6, first 2 shown]
	s_waitcnt vmcnt(35)
	v_fmac_f32_e32 v98, v75, v152
	s_waitcnt vmcnt(34)
	v_fmac_f32_e32 v99, v77, v153
	v_add_f32_e32 v98, 0, v98
	s_waitcnt vmcnt(33)
	v_fmac_f32_e32 v100, v79, v154
	v_add_f32_e32 v98, v98, v99
	;; [unrolled: 3-line block ×8, first 2 shown]
	v_add_f32_e32 v102, v98, v106
	ds_read2_b64 v[98:101], v72 offset0:49 offset1:50
	s_waitcnt vmcnt(26)
	v_fmac_f32_e32 v107, v93, v161
	s_waitcnt vmcnt(25)
	v_fmac_f32_e32 v108, v95, v162
	v_add_f32_e32 v102, v102, v107
	s_waitcnt vmcnt(24)
	v_fmac_f32_e32 v109, v97, v163
	v_add_f32_e32 v102, v102, v108
	v_add_f32_e32 v106, v102, v109
	ds_read2_b64 v[102:105], v72 offset0:51 offset1:52
	s_waitcnt vmcnt(23) lgkmcnt(1)
	v_mul_f32_e32 v107, v98, v164
	s_waitcnt vmcnt(22)
	v_fmac_f32_e32 v107, v99, v165
	v_add_f32_e32 v106, v106, v107
	s_waitcnt vmcnt(21)
	v_mul_f32_e32 v107, v100, v166
	s_waitcnt vmcnt(20)
	v_fmac_f32_e32 v107, v101, v167
	v_add_f32_e32 v106, v106, v107
	s_waitcnt vmcnt(19) lgkmcnt(0)
	v_mul_f32_e32 v107, v102, v168
	s_waitcnt vmcnt(18)
	v_fmac_f32_e32 v107, v103, v169
	v_add_f32_e32 v110, v106, v107
	ds_read2_b64 v[106:109], v72 offset0:53 offset1:54
	s_waitcnt vmcnt(17)
	v_mul_f32_e32 v111, v104, v170
	s_waitcnt vmcnt(16)
	v_fmac_f32_e32 v111, v105, v171
	v_add_f32_e32 v114, v110, v111
	ds_read2_b64 v[110:113], v72 offset0:55 offset1:56
	s_waitcnt vmcnt(15) lgkmcnt(1)
	v_mul_f32_e32 v115, v106, v172
	s_waitcnt vmcnt(14)
	v_fmac_f32_e32 v115, v107, v173
	v_add_f32_e32 v114, v114, v115
	s_waitcnt vmcnt(13)
	v_mul_f32_e32 v115, v108, v174
	s_waitcnt vmcnt(12)
	v_fmac_f32_e32 v115, v109, v175
	v_add_f32_e32 v114, v114, v115
	s_waitcnt vmcnt(11) lgkmcnt(0)
	v_mul_f32_e32 v115, v110, v176
	s_waitcnt vmcnt(10)
	v_fmac_f32_e32 v115, v111, v177
	s_waitcnt vmcnt(9)
	v_mul_f32_e32 v119, v112, v178
	v_add_f32_e32 v118, v114, v115
	s_waitcnt vmcnt(8)
	v_fmac_f32_e32 v119, v113, v179
	ds_read2_b64 v[114:117], v72 offset0:57 offset1:58
	v_add_f32_e32 v123, v118, v119
	ds_read2_b64 v[118:121], v72 offset0:59 offset1:60
	buffer_load_dword v129, off, s[0:3], 0 offset:236
	buffer_load_dword v128, off, s[0:3], 0 offset:232
	;; [unrolled: 1-line block ×16, first 2 shown]
	v_mul_f32_e32 v73, v75, v73
	v_fma_f32 v73, v74, v152, -v73
	v_mul_f32_e32 v74, v77, v122
	v_add_f32_e32 v73, 0, v73
	v_fma_f32 v74, v76, v153, -v74
	v_add_f32_e32 v73, v73, v74
	v_mul_f32_e32 v74, v79, v124
	v_fma_f32 v74, v78, v154, -v74
	v_add_f32_e32 v73, v73, v74
	v_mul_f32_e32 v74, v81, v126
	v_fma_f32 v74, v80, v155, -v74
	v_add_f32_e32 v73, v73, v74
	v_mul_f32_e32 v74, v83, v144
	v_fma_f32 v74, v82, v156, -v74
	v_add_f32_e32 v73, v73, v74
	v_mul_f32_e32 v74, v85, v145
	v_fma_f32 v74, v84, v157, -v74
	v_add_f32_e32 v73, v73, v74
	v_mul_f32_e32 v74, v87, v146
	v_fma_f32 v74, v86, v158, -v74
	v_add_f32_e32 v73, v73, v74
	v_mul_f32_e32 v74, v89, v147
	v_fma_f32 v74, v88, v159, -v74
	v_add_f32_e32 v73, v73, v74
	v_mul_f32_e32 v74, v91, v148
	v_fma_f32 v74, v90, v160, -v74
	v_add_f32_e32 v73, v73, v74
	v_mul_f32_e32 v74, v93, v149
	v_fma_f32 v74, v92, v161, -v74
	v_add_f32_e32 v73, v73, v74
	v_mul_f32_e32 v74, v95, v150
	v_fma_f32 v74, v94, v162, -v74
	v_add_f32_e32 v73, v73, v74
	v_mul_f32_e32 v74, v97, v151
	v_fma_f32 v74, v96, v163, -v74
	v_add_f32_e32 v73, v73, v74
	v_mul_f32_e32 v74, v99, v164
	v_fma_f32 v74, v98, v165, -v74
	v_add_f32_e32 v73, v73, v74
	v_mul_f32_e32 v74, v101, v166
	v_fma_f32 v74, v100, v167, -v74
	v_add_f32_e32 v73, v73, v74
	v_mul_f32_e32 v74, v103, v168
	v_fma_f32 v74, v102, v169, -v74
	v_add_f32_e32 v73, v73, v74
	v_mul_f32_e32 v74, v105, v170
	v_fma_f32 v74, v104, v171, -v74
	v_add_f32_e32 v73, v73, v74
	v_mul_f32_e32 v74, v107, v172
	v_fma_f32 v74, v106, v173, -v74
	v_add_f32_e32 v73, v73, v74
	v_mul_f32_e32 v74, v109, v174
	v_fma_f32 v74, v108, v175, -v74
	v_add_f32_e32 v73, v73, v74
	v_mul_f32_e32 v74, v111, v176
	v_fma_f32 v74, v110, v177, -v74
	v_add_f32_e32 v73, v73, v74
	v_mul_f32_e32 v74, v113, v178
	v_fma_f32 v74, v112, v179, -v74
	s_waitcnt vmcnt(22) lgkmcnt(1)
	v_mul_f32_e32 v125, v114, v181
	v_add_f32_e32 v73, v73, v74
	v_mul_f32_e32 v74, v115, v181
	v_fmac_f32_e32 v125, v115, v180
	v_fma_f32 v74, v114, v180, -v74
	v_add_f32_e32 v123, v123, v125
	s_waitcnt vmcnt(19)
	v_mul_f32_e32 v125, v116, v182
	v_add_f32_e32 v122, v73, v74
	v_mul_f32_e32 v73, v117, v182
	s_waitcnt vmcnt(18)
	v_fmac_f32_e32 v125, v117, v183
	s_waitcnt vmcnt(17) lgkmcnt(0)
	v_mul_f32_e32 v127, v118, v184
	s_waitcnt vmcnt(9)
	v_mov_b32_e32 v90, v135
	v_pk_mul_f32 v[90:91], v[120:121], v[90:91] op_sel_hi:[1,0]
	v_fma_f32 v124, v116, v183, -v73
	v_mul_f32_e32 v73, v119, v184
	ds_read2_b64 v[74:77], v72 offset0:61 offset1:62
	ds_read2_b64 v[78:81], v72 offset0:63 offset1:64
	;; [unrolled: 1-line block ×3, first 2 shown]
	ds_read_b64 v[86:87], v72 offset:536
	s_waitcnt vmcnt(8)
	v_pk_fma_f32 v[92:93], v[120:121], v[134:135], v[90:91] op_sel:[0,0,1] op_sel_hi:[1,1,0] neg_lo:[0,0,1] neg_hi:[0,0,1]
	v_pk_fma_f32 v[90:91], v[120:121], v[134:135], v[90:91] op_sel:[0,0,1] op_sel_hi:[1,0,0]
	v_fmac_f32_e32 v127, v119, v185
	v_fma_f32 v126, v118, v185, -v73
	v_pk_add_f32 v[88:89], v[122:123], v[124:125]
	v_mov_b32_e32 v90, v133
	v_pk_add_f32 v[88:89], v[88:89], v[126:127]
	v_mov_b32_e32 v93, v91
	s_waitcnt lgkmcnt(3)
	v_pk_mul_f32 v[90:91], v[74:75], v[90:91] op_sel_hi:[1,0]
	v_pk_add_f32 v[88:89], v[88:89], v[92:93]
	v_pk_fma_f32 v[92:93], v[74:75], v[132:133], v[90:91] op_sel:[0,0,1] op_sel_hi:[1,1,0] neg_lo:[0,0,1] neg_hi:[0,0,1]
	v_pk_fma_f32 v[74:75], v[74:75], v[132:133], v[90:91] op_sel:[0,0,1] op_sel_hi:[1,0,0]
	v_mov_b32_e32 v93, v75
	v_pk_add_f32 v[74:75], v[88:89], v[92:93]
	v_mov_b32_e32 v88, v131
	v_pk_mul_f32 v[88:89], v[76:77], v[88:89] op_sel_hi:[1,0]
	v_pk_fma_f32 v[90:91], v[76:77], v[130:131], v[88:89] op_sel:[0,0,1] op_sel_hi:[1,1,0] neg_lo:[0,0,1] neg_hi:[0,0,1]
	v_pk_fma_f32 v[76:77], v[76:77], v[130:131], v[88:89] op_sel:[0,0,1] op_sel_hi:[1,0,0]
	v_mov_b32_e32 v76, v129
	v_mov_b32_e32 v91, v77
	s_waitcnt lgkmcnt(2)
	v_pk_mul_f32 v[76:77], v[78:79], v[76:77] op_sel_hi:[1,0]
	v_pk_fma_f32 v[88:89], v[78:79], v[128:129], v[76:77] op_sel:[0,0,1] op_sel_hi:[1,1,0] neg_lo:[0,0,1] neg_hi:[0,0,1]
	v_pk_fma_f32 v[76:77], v[78:79], v[128:129], v[76:77] op_sel:[0,0,1] op_sel_hi:[1,0,0]
	s_waitcnt vmcnt(1)
	v_mov_b32_e32 v76, v143
	v_mov_b32_e32 v89, v77
	v_pk_mul_f32 v[76:77], v[80:81], v[76:77] op_sel_hi:[1,0]
	s_waitcnt vmcnt(0)
	v_pk_fma_f32 v[78:79], v[80:81], v[142:143], v[76:77] op_sel:[0,0,1] op_sel_hi:[1,1,0] neg_lo:[0,0,1] neg_hi:[0,0,1]
	v_pk_fma_f32 v[76:77], v[80:81], v[142:143], v[76:77] op_sel:[0,0,1] op_sel_hi:[1,0,0]
	v_pk_add_f32 v[74:75], v[74:75], v[90:91]
	v_mov_b32_e32 v76, v141
	v_pk_add_f32 v[74:75], v[74:75], v[88:89]
	v_mov_b32_e32 v79, v77
	s_waitcnt lgkmcnt(1)
	v_pk_mul_f32 v[76:77], v[82:83], v[76:77] op_sel_hi:[1,0]
	v_pk_add_f32 v[74:75], v[74:75], v[78:79]
	v_pk_fma_f32 v[78:79], v[82:83], v[140:141], v[76:77] op_sel:[0,0,1] op_sel_hi:[1,1,0] neg_lo:[0,0,1] neg_hi:[0,0,1]
	v_pk_fma_f32 v[76:77], v[82:83], v[140:141], v[76:77] op_sel:[0,0,1] op_sel_hi:[1,0,0]
	v_mov_b32_e32 v76, v139
	v_mov_b32_e32 v79, v77
	v_pk_mul_f32 v[76:77], v[84:85], v[76:77] op_sel_hi:[1,0]
	v_pk_add_f32 v[74:75], v[74:75], v[78:79]
	v_pk_fma_f32 v[78:79], v[84:85], v[138:139], v[76:77] op_sel:[0,0,1] op_sel_hi:[1,1,0] neg_lo:[0,0,1] neg_hi:[0,0,1]
	v_pk_fma_f32 v[76:77], v[84:85], v[138:139], v[76:77] op_sel:[0,0,1] op_sel_hi:[1,0,0]
	v_mov_b32_e32 v76, v137
	v_mov_b32_e32 v79, v77
	s_waitcnt lgkmcnt(0)
	v_pk_mul_f32 v[76:77], v[86:87], v[76:77] op_sel_hi:[1,0]
	v_pk_add_f32 v[74:75], v[74:75], v[78:79]
	v_pk_fma_f32 v[78:79], v[86:87], v[136:137], v[76:77] op_sel:[0,0,1] op_sel_hi:[1,1,0] neg_lo:[0,0,1] neg_hi:[0,0,1]
	v_pk_fma_f32 v[76:77], v[86:87], v[136:137], v[76:77] op_sel:[0,0,1] op_sel_hi:[1,0,0]
	v_mov_b32_e32 v79, v77
	v_pk_add_f32 v[74:75], v[74:75], v[78:79]
	v_pk_add_f32 v[70:71], v[70:71], v[74:75] neg_lo:[0,1] neg_hi:[0,1]
	buffer_store_dword v71, off, s[0:3], 0 offset:20
	buffer_store_dword v70, off, s[0:3], 0 offset:16
	s_and_saveexec_b64 s[4:5], vcc
	s_cbranch_execz .LBB97_215
; %bb.214:
	buffer_load_dword v70, off, s[0:3], 0 offset:8
	buffer_load_dword v71, off, s[0:3], 0 offset:12
	s_waitcnt vmcnt(0)
	ds_write_b64 v1, v[70:71]
	buffer_store_dword v72, off, s[0:3], 0 offset:8
	buffer_store_dword v72, off, s[0:3], 0 offset:12
.LBB97_215:
	s_or_b64 exec, exec, s[4:5]
	s_waitcnt lgkmcnt(0)
	; wave barrier
	s_waitcnt lgkmcnt(0)
	buffer_load_dword v73, off, s[0:3], 0 offset:20
	buffer_load_dword v122, off, s[0:3], 0 offset:28
	;; [unrolled: 1-line block ×48, first 2 shown]
	ds_read_b128 v[74:77], v72 offset:288
	ds_read_b128 v[78:81], v72 offset:304
	;; [unrolled: 1-line block ×6, first 2 shown]
	buffer_load_dword v186, off, s[0:3], 0 offset:200
	buffer_load_dword v187, off, s[0:3], 0 offset:204
	v_cmp_ne_u32_e32 vcc, 0, v0
	s_waitcnt vmcnt(49) lgkmcnt(5)
	v_mul_f32_e32 v98, v74, v73
	s_waitcnt vmcnt(48)
	v_mul_f32_e32 v99, v76, v122
	s_waitcnt vmcnt(47) lgkmcnt(4)
	v_mul_f32_e32 v100, v78, v124
	s_waitcnt vmcnt(46)
	v_mul_f32_e32 v101, v80, v132
	;; [unrolled: 4-line block ×6, first 2 shown]
	s_waitcnt vmcnt(37)
	v_fmac_f32_e32 v98, v75, v152
	s_waitcnt vmcnt(36)
	v_fmac_f32_e32 v99, v77, v153
	v_add_f32_e32 v98, 0, v98
	s_waitcnt vmcnt(35)
	v_fmac_f32_e32 v100, v79, v154
	v_add_f32_e32 v98, v98, v99
	;; [unrolled: 3-line block ×9, first 2 shown]
	v_add_f32_e32 v102, v98, v107
	ds_read_b128 v[98:101], v72 offset:384
	s_waitcnt vmcnt(27)
	v_fmac_f32_e32 v108, v95, v162
	v_add_f32_e32 v102, v102, v108
	s_waitcnt vmcnt(26)
	v_fmac_f32_e32 v109, v97, v163
	v_add_f32_e32 v106, v102, v109
	ds_read_b128 v[102:105], v72 offset:400
	s_waitcnt vmcnt(25) lgkmcnt(1)
	v_mul_f32_e32 v107, v98, v164
	s_waitcnt vmcnt(24)
	v_fmac_f32_e32 v107, v99, v165
	v_add_f32_e32 v106, v106, v107
	s_waitcnt vmcnt(23)
	v_mul_f32_e32 v107, v100, v166
	s_waitcnt vmcnt(22)
	v_fmac_f32_e32 v107, v101, v167
	v_add_f32_e32 v106, v106, v107
	s_waitcnt vmcnt(21) lgkmcnt(0)
	v_mul_f32_e32 v107, v102, v168
	s_waitcnt vmcnt(20)
	v_fmac_f32_e32 v107, v103, v169
	v_add_f32_e32 v110, v106, v107
	ds_read_b128 v[106:109], v72 offset:416
	s_waitcnt vmcnt(19)
	v_mul_f32_e32 v111, v104, v170
	s_waitcnt vmcnt(18)
	v_fmac_f32_e32 v111, v105, v171
	v_add_f32_e32 v114, v110, v111
	ds_read_b128 v[110:113], v72 offset:432
	s_waitcnt vmcnt(17) lgkmcnt(1)
	v_mul_f32_e32 v115, v106, v172
	s_waitcnt vmcnt(16)
	v_fmac_f32_e32 v115, v107, v173
	v_add_f32_e32 v114, v114, v115
	s_waitcnt vmcnt(15)
	v_mul_f32_e32 v115, v108, v174
	s_waitcnt vmcnt(14)
	v_fmac_f32_e32 v115, v109, v175
	v_add_f32_e32 v114, v114, v115
	s_waitcnt vmcnt(13) lgkmcnt(0)
	v_mul_f32_e32 v115, v110, v176
	s_waitcnt vmcnt(12)
	v_fmac_f32_e32 v115, v111, v177
	s_waitcnt vmcnt(11)
	v_mul_f32_e32 v119, v112, v178
	v_add_f32_e32 v118, v114, v115
	s_waitcnt vmcnt(10)
	v_fmac_f32_e32 v119, v113, v179
	ds_read_b128 v[114:117], v72 offset:448
	v_add_f32_e32 v123, v118, v119
	ds_read_b128 v[118:121], v72 offset:464
	buffer_load_dword v127, off, s[0:3], 0 offset:228
	buffer_load_dword v126, off, s[0:3], 0 offset:224
	;; [unrolled: 1-line block ×16, first 2 shown]
	v_mul_f32_e32 v73, v75, v73
	v_fma_f32 v73, v74, v152, -v73
	v_mul_f32_e32 v74, v77, v122
	v_add_f32_e32 v73, 0, v73
	v_fma_f32 v74, v76, v153, -v74
	v_add_f32_e32 v73, v73, v74
	v_mul_f32_e32 v74, v79, v124
	v_fma_f32 v74, v78, v154, -v74
	v_add_f32_e32 v73, v73, v74
	v_mul_f32_e32 v74, v81, v132
	;; [unrolled: 3-line block ×18, first 2 shown]
	v_fma_f32 v74, v112, v179, -v74
	v_add_f32_e32 v73, v73, v74
	s_waitcnt vmcnt(23) lgkmcnt(1)
	v_mul_f32_e32 v74, v115, v180
	s_waitcnt vmcnt(22)
	v_fma_f32 v74, v114, v181, -v74
	v_add_f32_e32 v73, v73, v74
	s_waitcnt vmcnt(20)
	v_mul_f32_e32 v74, v117, v183
	v_fma_f32 v74, v116, v182, -v74
	v_add_f32_e32 v122, v73, v74
	ds_read_b128 v[74:77], v72 offset:480
	ds_read_b128 v[78:81], v72 offset:496
	;; [unrolled: 1-line block ×4, first 2 shown]
	v_mul_f32_e32 v125, v114, v180
	v_fmac_f32_e32 v125, v115, v181
	v_add_f32_e32 v123, v123, v125
	v_mul_f32_e32 v125, v116, v183
	v_fmac_f32_e32 v125, v117, v182
	v_add_f32_e32 v123, v123, v125
	s_waitcnt vmcnt(18) lgkmcnt(4)
	v_mul_f32_e32 v125, v118, v185
	v_mul_f32_e32 v73, v119, v185
	v_fmac_f32_e32 v125, v119, v184
	s_waitcnt vmcnt(16)
	v_mul_f32_e32 v133, v120, v187
	s_waitcnt vmcnt(11)
	v_mov_b32_e32 v90, v131
	s_waitcnt lgkmcnt(3)
	v_pk_mul_f32 v[90:91], v[74:75], v[90:91] op_sel_hi:[1,0]
	s_waitcnt vmcnt(10)
	v_pk_fma_f32 v[92:93], v[74:75], v[130:131], v[90:91] op_sel:[0,0,1] op_sel_hi:[1,1,0] neg_lo:[0,0,1] neg_hi:[0,0,1]
	v_pk_fma_f32 v[74:75], v[74:75], v[130:131], v[90:91] op_sel:[0,0,1] op_sel_hi:[1,0,0]
	v_mov_b32_e32 v74, v129
	v_mov_b32_e32 v93, v75
	v_pk_mul_f32 v[74:75], v[76:77], v[74:75] op_sel_hi:[1,0]
	v_pk_fma_f32 v[90:91], v[76:77], v[128:129], v[74:75] op_sel:[0,0,1] op_sel_hi:[1,1,0] neg_lo:[0,0,1] neg_hi:[0,0,1]
	v_pk_fma_f32 v[74:75], v[76:77], v[128:129], v[74:75] op_sel:[0,0,1] op_sel_hi:[1,0,0]
	v_fma_f32 v124, v118, v184, -v73
	v_mul_f32_e32 v73, v121, v187
	v_mov_b32_e32 v74, v127
	v_fmac_f32_e32 v133, v121, v186
	v_fma_f32 v132, v120, v186, -v73
	v_pk_add_f32 v[72:73], v[122:123], v[124:125]
	v_mov_b32_e32 v91, v75
	s_waitcnt lgkmcnt(2)
	v_pk_mul_f32 v[74:75], v[78:79], v[74:75] op_sel_hi:[1,0]
	v_pk_add_f32 v[72:73], v[72:73], v[132:133]
	v_pk_fma_f32 v[76:77], v[78:79], v[126:127], v[74:75] op_sel:[0,0,1] op_sel_hi:[1,1,0] neg_lo:[0,0,1] neg_hi:[0,0,1]
	v_pk_fma_f32 v[74:75], v[78:79], v[126:127], v[74:75] op_sel:[0,0,1] op_sel_hi:[1,0,0]
	v_pk_add_f32 v[72:73], v[72:73], v[92:93]
	s_waitcnt vmcnt(3)
	v_mov_b32_e32 v74, v141
	v_pk_add_f32 v[72:73], v[72:73], v[90:91]
	v_mov_b32_e32 v77, v75
	v_pk_mul_f32 v[74:75], v[80:81], v[74:75] op_sel_hi:[1,0]
	v_pk_add_f32 v[72:73], v[72:73], v[76:77]
	s_waitcnt vmcnt(2)
	v_pk_fma_f32 v[76:77], v[80:81], v[140:141], v[74:75] op_sel:[0,0,1] op_sel_hi:[1,1,0] neg_lo:[0,0,1] neg_hi:[0,0,1]
	v_pk_fma_f32 v[74:75], v[80:81], v[140:141], v[74:75] op_sel:[0,0,1] op_sel_hi:[1,0,0]
	v_mov_b32_e32 v74, v139
	v_mov_b32_e32 v77, v75
	s_waitcnt lgkmcnt(1)
	v_pk_mul_f32 v[74:75], v[82:83], v[74:75] op_sel_hi:[1,0]
	v_pk_add_f32 v[72:73], v[72:73], v[76:77]
	v_pk_fma_f32 v[76:77], v[82:83], v[138:139], v[74:75] op_sel:[0,0,1] op_sel_hi:[1,1,0] neg_lo:[0,0,1] neg_hi:[0,0,1]
	v_pk_fma_f32 v[74:75], v[82:83], v[138:139], v[74:75] op_sel:[0,0,1] op_sel_hi:[1,0,0]
	v_mov_b32_e32 v74, v137
	v_mov_b32_e32 v77, v75
	v_pk_mul_f32 v[74:75], v[84:85], v[74:75] op_sel_hi:[1,0]
	v_pk_add_f32 v[72:73], v[72:73], v[76:77]
	v_pk_fma_f32 v[76:77], v[84:85], v[136:137], v[74:75] op_sel:[0,0,1] op_sel_hi:[1,1,0] neg_lo:[0,0,1] neg_hi:[0,0,1]
	v_pk_fma_f32 v[74:75], v[84:85], v[136:137], v[74:75] op_sel:[0,0,1] op_sel_hi:[1,0,0]
	v_mov_b32_e32 v74, v135
	v_mov_b32_e32 v77, v75
	s_waitcnt lgkmcnt(0)
	v_pk_mul_f32 v[74:75], v[86:87], v[74:75] op_sel_hi:[1,0]
	v_pk_add_f32 v[72:73], v[72:73], v[76:77]
	v_pk_fma_f32 v[76:77], v[86:87], v[134:135], v[74:75] op_sel:[0,0,1] op_sel_hi:[1,1,0] neg_lo:[0,0,1] neg_hi:[0,0,1]
	v_pk_fma_f32 v[74:75], v[86:87], v[134:135], v[74:75] op_sel:[0,0,1] op_sel_hi:[1,0,0]
	s_waitcnt vmcnt(1)
	v_mov_b32_e32 v74, v143
	v_mov_b32_e32 v77, v75
	v_pk_mul_f32 v[74:75], v[88:89], v[74:75] op_sel_hi:[1,0]
	v_pk_add_f32 v[72:73], v[72:73], v[76:77]
	s_waitcnt vmcnt(0)
	v_pk_fma_f32 v[76:77], v[88:89], v[142:143], v[74:75] op_sel:[0,0,1] op_sel_hi:[1,1,0] neg_lo:[0,0,1] neg_hi:[0,0,1]
	v_pk_fma_f32 v[74:75], v[88:89], v[142:143], v[74:75] op_sel:[0,0,1] op_sel_hi:[1,0,0]
	v_mov_b32_e32 v77, v75
	v_pk_add_f32 v[72:73], v[72:73], v[76:77]
	v_pk_add_f32 v[70:71], v[70:71], v[72:73] neg_lo:[0,1] neg_hi:[0,1]
	buffer_store_dword v71, off, s[0:3], 0 offset:12
	buffer_store_dword v70, off, s[0:3], 0 offset:8
	s_and_saveexec_b64 s[4:5], vcc
	s_cbranch_execz .LBB97_217
; %bb.216:
	buffer_load_dword v70, off, s[0:3], 0
	buffer_load_dword v71, off, s[0:3], 0 offset:4
	v_mov_b32_e32 v0, 0
	buffer_store_dword v0, off, s[0:3], 0
	buffer_store_dword v0, off, s[0:3], 0 offset:4
	s_waitcnt vmcnt(2)
	ds_write_b64 v1, v[70:71]
.LBB97_217:
	s_or_b64 exec, exec, s[4:5]
	s_waitcnt lgkmcnt(0)
	; wave barrier
	s_waitcnt lgkmcnt(0)
	buffer_load_dword v126, off, s[0:3], 0 offset:12
	buffer_load_dword v132, off, s[0:3], 0 offset:20
	;; [unrolled: 1-line block ×38, first 2 shown]
	buffer_load_dword v0, off, s[0:3], 0
	buffer_load_dword v1, off, s[0:3], 0 offset:4
	buffer_load_dword v183, off, s[0:3], 0 offset:160
	;; [unrolled: 1-line block ×13, first 2 shown]
	v_mov_b32_e32 v185, 0
	ds_read2_b64 v[70:73], v185 offset0:35 offset1:36
	ds_read2_b64 v[74:77], v185 offset0:37 offset1:38
	;; [unrolled: 1-line block ×6, first 2 shown]
	s_and_b64 vcc, exec, s[16:17]
	s_waitcnt vmcnt(51) lgkmcnt(5)
	v_mul_f32_e32 v94, v70, v126
	s_waitcnt vmcnt(50)
	v_mul_f32_e32 v95, v72, v132
	s_waitcnt vmcnt(49) lgkmcnt(4)
	v_mul_f32_e32 v96, v74, v134
	s_waitcnt vmcnt(48)
	v_mul_f32_e32 v97, v76, v148
	;; [unrolled: 4-line block ×5, first 2 shown]
	s_waitcnt vmcnt(41) lgkmcnt(0)
	v_mul_f32_e32 v104, v90, v155
	s_waitcnt vmcnt(40)
	v_fmac_f32_e32 v94, v71, v156
	s_waitcnt vmcnt(39)
	v_fmac_f32_e32 v95, v73, v157
	v_add_f32_e32 v94, 0, v94
	s_waitcnt vmcnt(38)
	v_fmac_f32_e32 v96, v75, v158
	v_add_f32_e32 v94, v94, v95
	;; [unrolled: 3-line block ×9, first 2 shown]
	v_add_f32_e32 v94, v94, v103
	s_waitcnt vmcnt(30)
	v_fmac_f32_e32 v104, v91, v166
	v_add_f32_e32 v98, v94, v104
	ds_read2_b64 v[94:97], v185 offset0:47 offset1:48
	s_waitcnt vmcnt(29)
	v_mul_f32_e32 v99, v92, v167
	s_waitcnt vmcnt(28)
	v_fmac_f32_e32 v99, v93, v168
	v_add_f32_e32 v102, v98, v99
	ds_read2_b64 v[98:101], v185 offset0:49 offset1:50
	s_waitcnt vmcnt(27) lgkmcnt(1)
	v_mul_f32_e32 v103, v94, v169
	s_waitcnt vmcnt(26)
	v_fmac_f32_e32 v103, v95, v170
	v_add_f32_e32 v102, v102, v103
	s_waitcnt vmcnt(25)
	v_mul_f32_e32 v103, v96, v171
	s_waitcnt vmcnt(24)
	v_fmac_f32_e32 v103, v97, v172
	v_add_f32_e32 v102, v102, v103
	s_waitcnt vmcnt(23) lgkmcnt(0)
	v_mul_f32_e32 v103, v98, v173
	s_waitcnt vmcnt(22)
	v_fmac_f32_e32 v103, v99, v174
	v_add_f32_e32 v106, v102, v103
	ds_read2_b64 v[102:105], v185 offset0:51 offset1:52
	s_waitcnt vmcnt(21)
	v_mul_f32_e32 v107, v100, v175
	s_waitcnt vmcnt(20)
	v_fmac_f32_e32 v107, v101, v176
	v_add_f32_e32 v110, v106, v107
	ds_read2_b64 v[106:109], v185 offset0:53 offset1:54
	s_waitcnt vmcnt(19) lgkmcnt(1)
	v_mul_f32_e32 v111, v102, v177
	s_waitcnt vmcnt(18)
	v_fmac_f32_e32 v111, v103, v178
	v_add_f32_e32 v110, v110, v111
	s_waitcnt vmcnt(17)
	v_mul_f32_e32 v111, v104, v179
	s_waitcnt vmcnt(16)
	v_fmac_f32_e32 v111, v105, v180
	v_add_f32_e32 v110, v110, v111
	s_waitcnt vmcnt(14) lgkmcnt(0)
	v_mul_f32_e32 v111, v106, v182
	v_fmac_f32_e32 v111, v107, v181
	v_add_f32_e32 v114, v110, v111
	ds_read2_b64 v[110:113], v185 offset0:55 offset1:56
	s_waitcnt vmcnt(10)
	v_mul_f32_e32 v115, v108, v184
	v_fmac_f32_e32 v115, v109, v183
	v_add_f32_e32 v118, v114, v115
	ds_read2_b64 v[114:117], v185 offset0:57 offset1:58
	s_waitcnt vmcnt(8) lgkmcnt(1)
	v_mul_f32_e32 v119, v110, v187
	v_fmac_f32_e32 v119, v111, v186
	v_add_f32_e32 v118, v118, v119
	s_waitcnt vmcnt(6)
	v_mul_f32_e32 v119, v112, v189
	v_fmac_f32_e32 v119, v113, v188
	v_add_f32_e32 v118, v118, v119
	s_waitcnt vmcnt(4) lgkmcnt(0)
	v_mul_f32_e32 v119, v114, v191
	v_fmac_f32_e32 v119, v115, v190
	v_add_f32_e32 v127, v118, v119
	ds_read2_b64 v[118:121], v185 offset0:59 offset1:60
	buffer_load_dword v129, off, s[0:3], 0 offset:220
	buffer_load_dword v128, off, s[0:3], 0 offset:216
	;; [unrolled: 1-line block ×4, first 2 shown]
	ds_read2_b64 v[122:125], v185 offset0:61 offset1:62
	buffer_load_dword v137, off, s[0:3], 0 offset:252
	buffer_load_dword v136, off, s[0:3], 0 offset:248
	;; [unrolled: 1-line block ×12, first 2 shown]
	v_mul_f32_e32 v71, v71, v126
	v_fma_f32 v70, v70, v156, -v71
	v_mul_f32_e32 v71, v73, v132
	v_add_f32_e32 v70, 0, v70
	v_fma_f32 v71, v72, v157, -v71
	v_add_f32_e32 v70, v70, v71
	v_mul_f32_e32 v71, v75, v134
	v_fma_f32 v71, v74, v158, -v71
	v_add_f32_e32 v70, v70, v71
	v_mul_f32_e32 v71, v77, v148
	;; [unrolled: 3-line block ×21, first 2 shown]
	v_fma_f32 v71, v114, v190, -v71
	s_waitcnt vmcnt(18)
	v_mul_f32_e32 v133, v116, v193
	v_add_f32_e32 v126, v70, v71
	v_mul_f32_e32 v70, v117, v193
	v_fmac_f32_e32 v133, v117, v192
	s_waitcnt vmcnt(16) lgkmcnt(1)
	v_mul_f32_e32 v135, v118, v195
	v_fma_f32 v132, v116, v192, -v70
	v_mul_f32_e32 v70, v119, v195
	v_fmac_f32_e32 v135, v119, v194
	s_waitcnt vmcnt(13)
	v_mov_b32_e32 v82, v131
	v_pk_mul_f32 v[82:83], v[120:121], v[82:83] op_sel_hi:[1,0]
	s_waitcnt vmcnt(12)
	v_pk_fma_f32 v[84:85], v[120:121], v[130:131], v[82:83] op_sel:[0,0,1] op_sel_hi:[1,1,0] neg_lo:[0,0,1] neg_hi:[0,0,1]
	v_pk_fma_f32 v[82:83], v[120:121], v[130:131], v[82:83] op_sel:[0,0,1] op_sel_hi:[1,0,0]
	v_fma_f32 v134, v118, v194, -v70
	v_pk_add_f32 v[80:81], v[126:127], v[132:133]
	v_mov_b32_e32 v82, v129
	v_pk_add_f32 v[80:81], v[80:81], v[134:135]
	v_mov_b32_e32 v85, v83
	s_waitcnt lgkmcnt(0)
	v_pk_mul_f32 v[82:83], v[122:123], v[82:83] op_sel_hi:[1,0]
	v_pk_add_f32 v[80:81], v[80:81], v[84:85]
	v_pk_fma_f32 v[84:85], v[122:123], v[128:129], v[82:83] op_sel:[0,0,1] op_sel_hi:[1,1,0] neg_lo:[0,0,1] neg_hi:[0,0,1]
	v_pk_fma_f32 v[82:83], v[122:123], v[128:129], v[82:83] op_sel:[0,0,1] op_sel_hi:[1,0,0]
	s_waitcnt vmcnt(5)
	v_mov_b32_e32 v82, v143
	ds_read2_b64 v[70:73], v185 offset0:63 offset1:64
	ds_read2_b64 v[74:77], v185 offset0:65 offset1:66
	ds_read_b64 v[78:79], v185 offset:536
	v_mov_b32_e32 v85, v83
	v_pk_mul_f32 v[82:83], v[124:125], v[82:83] op_sel_hi:[1,0]
	v_pk_add_f32 v[80:81], v[80:81], v[84:85]
	s_waitcnt vmcnt(4)
	v_pk_fma_f32 v[84:85], v[124:125], v[142:143], v[82:83] op_sel:[0,0,1] op_sel_hi:[1,1,0] neg_lo:[0,0,1] neg_hi:[0,0,1]
	v_pk_fma_f32 v[82:83], v[124:125], v[142:143], v[82:83] op_sel:[0,0,1] op_sel_hi:[1,0,0]
	v_mov_b32_e32 v82, v141
	v_mov_b32_e32 v85, v83
	s_waitcnt lgkmcnt(2)
	v_pk_mul_f32 v[82:83], v[70:71], v[82:83] op_sel_hi:[1,0]
	v_pk_add_f32 v[80:81], v[80:81], v[84:85]
	v_pk_fma_f32 v[84:85], v[70:71], v[140:141], v[82:83] op_sel:[0,0,1] op_sel_hi:[1,1,0] neg_lo:[0,0,1] neg_hi:[0,0,1]
	v_pk_fma_f32 v[70:71], v[70:71], v[140:141], v[82:83] op_sel:[0,0,1] op_sel_hi:[1,0,0]
	v_mov_b32_e32 v85, v71
	v_pk_add_f32 v[70:71], v[80:81], v[84:85]
	v_mov_b32_e32 v80, v139
	v_pk_mul_f32 v[80:81], v[72:73], v[80:81] op_sel_hi:[1,0]
	v_pk_fma_f32 v[82:83], v[72:73], v[138:139], v[80:81] op_sel:[0,0,1] op_sel_hi:[1,1,0] neg_lo:[0,0,1] neg_hi:[0,0,1]
	v_pk_fma_f32 v[72:73], v[72:73], v[138:139], v[80:81] op_sel:[0,0,1] op_sel_hi:[1,0,0]
	v_mov_b32_e32 v72, v137
	v_mov_b32_e32 v83, v73
	s_waitcnt lgkmcnt(1)
	v_pk_mul_f32 v[72:73], v[74:75], v[72:73] op_sel_hi:[1,0]
	v_pk_fma_f32 v[80:81], v[74:75], v[136:137], v[72:73] op_sel:[0,0,1] op_sel_hi:[1,1,0] neg_lo:[0,0,1] neg_hi:[0,0,1]
	v_pk_fma_f32 v[72:73], v[74:75], v[136:137], v[72:73] op_sel:[0,0,1] op_sel_hi:[1,0,0]
	s_waitcnt vmcnt(1)
	v_mov_b32_e32 v72, v147
	v_mov_b32_e32 v81, v73
	v_pk_mul_f32 v[72:73], v[76:77], v[72:73] op_sel_hi:[1,0]
	s_waitcnt vmcnt(0)
	v_pk_fma_f32 v[74:75], v[76:77], v[146:147], v[72:73] op_sel:[0,0,1] op_sel_hi:[1,1,0] neg_lo:[0,0,1] neg_hi:[0,0,1]
	v_pk_fma_f32 v[72:73], v[76:77], v[146:147], v[72:73] op_sel:[0,0,1] op_sel_hi:[1,0,0]
	v_pk_add_f32 v[70:71], v[70:71], v[82:83]
	v_mov_b32_e32 v72, v145
	v_pk_add_f32 v[70:71], v[70:71], v[80:81]
	v_mov_b32_e32 v75, v73
	s_waitcnt lgkmcnt(0)
	v_pk_mul_f32 v[72:73], v[78:79], v[72:73] op_sel_hi:[1,0]
	v_pk_add_f32 v[70:71], v[70:71], v[74:75]
	v_pk_fma_f32 v[74:75], v[78:79], v[144:145], v[72:73] op_sel:[0,0,1] op_sel_hi:[1,1,0] neg_lo:[0,0,1] neg_hi:[0,0,1]
	v_pk_fma_f32 v[72:73], v[78:79], v[144:145], v[72:73] op_sel:[0,0,1] op_sel_hi:[1,0,0]
	v_mov_b32_e32 v75, v73
	v_pk_add_f32 v[70:71], v[70:71], v[74:75]
	v_pk_add_f32 v[0:1], v[0:1], v[70:71] neg_lo:[0,1] neg_hi:[0,1]
	buffer_store_dword v1, off, s[0:3], 0 offset:4
	buffer_store_dword v0, off, s[0:3], 0
	s_cbranch_vccz .LBB97_285
; %bb.218:
	v_pk_mov_b32 v[0:1], s[10:11], s[10:11] op_sel:[0,1]
	flat_load_dword v0, v[0:1] offset:128
	s_waitcnt vmcnt(0) lgkmcnt(0)
	v_add_u32_e32 v0, -1, v0
	v_cmp_ne_u32_e32 vcc, 32, v0
	s_and_saveexec_b64 s[4:5], vcc
	s_cbranch_execz .LBB97_220
; %bb.219:
	v_mov_b32_e32 v1, 0
	v_lshl_add_u32 v0, v0, 3, v1
	buffer_load_dword v1, v0, s[0:3], 0 offen
	buffer_load_dword v70, v0, s[0:3], 0 offen offset:4
	buffer_load_dword v71, off, s[0:3], 0 offset:260
	buffer_load_dword v72, off, s[0:3], 0 offset:256
	s_waitcnt vmcnt(3)
	buffer_store_dword v1, off, s[0:3], 0 offset:256
	s_waitcnt vmcnt(3)
	buffer_store_dword v70, off, s[0:3], 0 offset:260
	s_waitcnt vmcnt(3)
	buffer_store_dword v71, v0, s[0:3], 0 offen offset:4
	s_waitcnt vmcnt(3)
	buffer_store_dword v72, v0, s[0:3], 0 offen
.LBB97_220:
	s_or_b64 exec, exec, s[4:5]
	v_pk_mov_b32 v[0:1], s[10:11], s[10:11] op_sel:[0,1]
	flat_load_dword v0, v[0:1] offset:124
	s_waitcnt vmcnt(0) lgkmcnt(0)
	v_add_u32_e32 v0, -1, v0
	v_cmp_ne_u32_e32 vcc, 31, v0
	s_and_saveexec_b64 s[4:5], vcc
	s_cbranch_execz .LBB97_222
; %bb.221:
	v_mov_b32_e32 v1, 0
	v_lshl_add_u32 v0, v0, 3, v1
	buffer_load_dword v1, v0, s[0:3], 0 offen
	buffer_load_dword v70, v0, s[0:3], 0 offen offset:4
	buffer_load_dword v71, off, s[0:3], 0 offset:248
	buffer_load_dword v72, off, s[0:3], 0 offset:252
	s_waitcnt vmcnt(3)
	buffer_store_dword v1, off, s[0:3], 0 offset:248
	s_waitcnt vmcnt(3)
	buffer_store_dword v70, off, s[0:3], 0 offset:252
	s_waitcnt vmcnt(3)
	buffer_store_dword v71, v0, s[0:3], 0 offen
	s_waitcnt vmcnt(3)
	buffer_store_dword v72, v0, s[0:3], 0 offen offset:4
.LBB97_222:
	s_or_b64 exec, exec, s[4:5]
	v_pk_mov_b32 v[0:1], s[10:11], s[10:11] op_sel:[0,1]
	flat_load_dword v0, v[0:1] offset:120
	s_waitcnt vmcnt(0) lgkmcnt(0)
	v_add_u32_e32 v0, -1, v0
	v_cmp_ne_u32_e32 vcc, 30, v0
	s_and_saveexec_b64 s[4:5], vcc
	s_cbranch_execz .LBB97_224
; %bb.223:
	v_mov_b32_e32 v1, 0
	v_lshl_add_u32 v0, v0, 3, v1
	buffer_load_dword v1, v0, s[0:3], 0 offen
	buffer_load_dword v70, v0, s[0:3], 0 offen offset:4
	buffer_load_dword v71, off, s[0:3], 0 offset:244
	buffer_load_dword v72, off, s[0:3], 0 offset:240
	s_waitcnt vmcnt(3)
	buffer_store_dword v1, off, s[0:3], 0 offset:240
	s_waitcnt vmcnt(3)
	buffer_store_dword v70, off, s[0:3], 0 offset:244
	s_waitcnt vmcnt(3)
	buffer_store_dword v71, v0, s[0:3], 0 offen offset:4
	s_waitcnt vmcnt(3)
	buffer_store_dword v72, v0, s[0:3], 0 offen
.LBB97_224:
	s_or_b64 exec, exec, s[4:5]
	v_pk_mov_b32 v[0:1], s[10:11], s[10:11] op_sel:[0,1]
	flat_load_dword v0, v[0:1] offset:116
	s_waitcnt vmcnt(0) lgkmcnt(0)
	v_add_u32_e32 v0, -1, v0
	v_cmp_ne_u32_e32 vcc, 29, v0
	s_and_saveexec_b64 s[4:5], vcc
	s_cbranch_execz .LBB97_226
; %bb.225:
	v_mov_b32_e32 v1, 0
	v_lshl_add_u32 v0, v0, 3, v1
	buffer_load_dword v1, v0, s[0:3], 0 offen
	buffer_load_dword v70, v0, s[0:3], 0 offen offset:4
	buffer_load_dword v71, off, s[0:3], 0 offset:232
	buffer_load_dword v72, off, s[0:3], 0 offset:236
	s_waitcnt vmcnt(3)
	buffer_store_dword v1, off, s[0:3], 0 offset:232
	s_waitcnt vmcnt(3)
	buffer_store_dword v70, off, s[0:3], 0 offset:236
	s_waitcnt vmcnt(3)
	buffer_store_dword v71, v0, s[0:3], 0 offen
	s_waitcnt vmcnt(3)
	buffer_store_dword v72, v0, s[0:3], 0 offen offset:4
.LBB97_226:
	s_or_b64 exec, exec, s[4:5]
	;; [unrolled: 48-line block ×16, first 2 shown]
	v_pk_mov_b32 v[0:1], s[10:11], s[10:11] op_sel:[0,1]
	flat_load_dword v70, v[0:1]
	s_nop 0
	buffer_load_dword v0, off, s[0:3], 0
	buffer_load_dword v1, off, s[0:3], 0 offset:4
	s_waitcnt vmcnt(0) lgkmcnt(0)
	v_add_u32_e32 v70, -1, v70
	v_cmp_ne_u32_e32 vcc, 0, v70
	s_and_saveexec_b64 s[4:5], vcc
	s_cbranch_execz .LBB97_284
; %bb.283:
	v_mov_b32_e32 v71, 0
	v_lshl_add_u32 v70, v70, 3, v71
	buffer_load_dword v71, v70, s[0:3], 0 offen offset:4
	buffer_load_dword v72, v70, s[0:3], 0 offen
	s_waitcnt vmcnt(1)
	buffer_store_dword v71, off, s[0:3], 0 offset:4
	s_waitcnt vmcnt(1)
	buffer_store_dword v72, off, s[0:3], 0
	buffer_store_dword v1, v70, s[0:3], 0 offen offset:4
	buffer_store_dword v0, v70, s[0:3], 0 offen
	buffer_load_dword v0, off, s[0:3], 0
	s_nop 0
	buffer_load_dword v1, off, s[0:3], 0 offset:4
.LBB97_284:
	s_or_b64 exec, exec, s[4:5]
.LBB97_285:
	buffer_load_dword v70, off, s[0:3], 0 offset:8
	buffer_load_dword v71, off, s[0:3], 0 offset:12
	;; [unrolled: 1-line block ×66, first 2 shown]
	s_waitcnt vmcnt(62)
	global_store_dwordx2 v[60:61], v[0:1], off
	global_store_dwordx2 v[62:63], v[70:71], off
	;; [unrolled: 1-line block ×3, first 2 shown]
	s_waitcnt vmcnt(62)
	global_store_dwordx2 v[4:5], v[74:75], off
	s_waitcnt vmcnt(62)
	global_store_dwordx2 v[6:7], v[76:77], off
	;; [unrolled: 2-line block ×31, first 2 shown]
	s_endpgm
	.section	.rodata,"a",@progbits
	.p2align	6, 0x0
	.amdhsa_kernel _ZN9rocsolver6v33100L18getri_kernel_smallILi34E19rocblas_complex_numIfEPKPS3_EEvT1_iilPiilS8_bb
		.amdhsa_group_segment_fixed_size 548
		.amdhsa_private_segment_fixed_size 288
		.amdhsa_kernarg_size 60
		.amdhsa_user_sgpr_count 8
		.amdhsa_user_sgpr_private_segment_buffer 1
		.amdhsa_user_sgpr_dispatch_ptr 0
		.amdhsa_user_sgpr_queue_ptr 0
		.amdhsa_user_sgpr_kernarg_segment_ptr 1
		.amdhsa_user_sgpr_dispatch_id 0
		.amdhsa_user_sgpr_flat_scratch_init 1
		.amdhsa_user_sgpr_kernarg_preload_length 0
		.amdhsa_user_sgpr_kernarg_preload_offset 0
		.amdhsa_user_sgpr_private_segment_size 0
		.amdhsa_uses_dynamic_stack 0
		.amdhsa_system_sgpr_private_segment_wavefront_offset 1
		.amdhsa_system_sgpr_workgroup_id_x 1
		.amdhsa_system_sgpr_workgroup_id_y 0
		.amdhsa_system_sgpr_workgroup_id_z 0
		.amdhsa_system_sgpr_workgroup_info 0
		.amdhsa_system_vgpr_workitem_id 0
		.amdhsa_next_free_vgpr 196
		.amdhsa_next_free_sgpr 22
		.amdhsa_accum_offset 196
		.amdhsa_reserve_vcc 1
		.amdhsa_reserve_flat_scratch 1
		.amdhsa_float_round_mode_32 0
		.amdhsa_float_round_mode_16_64 0
		.amdhsa_float_denorm_mode_32 3
		.amdhsa_float_denorm_mode_16_64 3
		.amdhsa_dx10_clamp 1
		.amdhsa_ieee_mode 1
		.amdhsa_fp16_overflow 0
		.amdhsa_tg_split 0
		.amdhsa_exception_fp_ieee_invalid_op 0
		.amdhsa_exception_fp_denorm_src 0
		.amdhsa_exception_fp_ieee_div_zero 0
		.amdhsa_exception_fp_ieee_overflow 0
		.amdhsa_exception_fp_ieee_underflow 0
		.amdhsa_exception_fp_ieee_inexact 0
		.amdhsa_exception_int_div_zero 0
	.end_amdhsa_kernel
	.section	.text._ZN9rocsolver6v33100L18getri_kernel_smallILi34E19rocblas_complex_numIfEPKPS3_EEvT1_iilPiilS8_bb,"axG",@progbits,_ZN9rocsolver6v33100L18getri_kernel_smallILi34E19rocblas_complex_numIfEPKPS3_EEvT1_iilPiilS8_bb,comdat
.Lfunc_end97:
	.size	_ZN9rocsolver6v33100L18getri_kernel_smallILi34E19rocblas_complex_numIfEPKPS3_EEvT1_iilPiilS8_bb, .Lfunc_end97-_ZN9rocsolver6v33100L18getri_kernel_smallILi34E19rocblas_complex_numIfEPKPS3_EEvT1_iilPiilS8_bb
                                        ; -- End function
	.section	.AMDGPU.csdata,"",@progbits
; Kernel info:
; codeLenInByte = 52912
; NumSgprs: 28
; NumVgprs: 196
; NumAgprs: 0
; TotalNumVgprs: 196
; ScratchSize: 288
; MemoryBound: 0
; FloatMode: 240
; IeeeMode: 1
; LDSByteSize: 548 bytes/workgroup (compile time only)
; SGPRBlocks: 3
; VGPRBlocks: 24
; NumSGPRsForWavesPerEU: 28
; NumVGPRsForWavesPerEU: 196
; AccumOffset: 196
; Occupancy: 2
; WaveLimiterHint : 1
; COMPUTE_PGM_RSRC2:SCRATCH_EN: 1
; COMPUTE_PGM_RSRC2:USER_SGPR: 8
; COMPUTE_PGM_RSRC2:TRAP_HANDLER: 0
; COMPUTE_PGM_RSRC2:TGID_X_EN: 1
; COMPUTE_PGM_RSRC2:TGID_Y_EN: 0
; COMPUTE_PGM_RSRC2:TGID_Z_EN: 0
; COMPUTE_PGM_RSRC2:TIDIG_COMP_CNT: 0
; COMPUTE_PGM_RSRC3_GFX90A:ACCUM_OFFSET: 48
; COMPUTE_PGM_RSRC3_GFX90A:TG_SPLIT: 0
	.section	.text._ZN9rocsolver6v33100L18getri_kernel_smallILi35E19rocblas_complex_numIfEPKPS3_EEvT1_iilPiilS8_bb,"axG",@progbits,_ZN9rocsolver6v33100L18getri_kernel_smallILi35E19rocblas_complex_numIfEPKPS3_EEvT1_iilPiilS8_bb,comdat
	.globl	_ZN9rocsolver6v33100L18getri_kernel_smallILi35E19rocblas_complex_numIfEPKPS3_EEvT1_iilPiilS8_bb ; -- Begin function _ZN9rocsolver6v33100L18getri_kernel_smallILi35E19rocblas_complex_numIfEPKPS3_EEvT1_iilPiilS8_bb
	.p2align	8
	.type	_ZN9rocsolver6v33100L18getri_kernel_smallILi35E19rocblas_complex_numIfEPKPS3_EEvT1_iilPiilS8_bb,@function
_ZN9rocsolver6v33100L18getri_kernel_smallILi35E19rocblas_complex_numIfEPKPS3_EEvT1_iilPiilS8_bb: ; @_ZN9rocsolver6v33100L18getri_kernel_smallILi35E19rocblas_complex_numIfEPKPS3_EEvT1_iilPiilS8_bb
; %bb.0:
	s_add_u32 flat_scratch_lo, s6, s9
	s_addc_u32 flat_scratch_hi, s7, 0
	s_add_u32 s0, s0, s9
	s_addc_u32 s1, s1, 0
	v_cmp_gt_u32_e32 vcc, 35, v0
	s_and_saveexec_b64 s[6:7], vcc
	s_cbranch_execz .LBB98_154
; %bb.1:
	s_load_dword s20, s[4:5], 0x38
	s_load_dwordx2 s[6:7], s[4:5], 0x0
	s_load_dwordx4 s[12:15], s[4:5], 0x28
	s_waitcnt lgkmcnt(0)
	s_bitcmp1_b32 s20, 8
	s_cselect_b64 s[16:17], -1, 0
	s_ashr_i32 s9, s8, 31
	s_lshl_b64 s[10:11], s[8:9], 3
	s_add_u32 s6, s6, s10
	s_addc_u32 s7, s7, s11
	s_load_dwordx2 s[18:19], s[6:7], 0x0
	s_bfe_u32 s6, s20, 0x10008
	s_cmp_eq_u32 s6, 0
                                        ; implicit-def: $sgpr10_sgpr11
	s_cbranch_scc1 .LBB98_3
; %bb.2:
	s_load_dword s6, s[4:5], 0x20
	s_load_dwordx2 s[10:11], s[4:5], 0x18
	s_mul_i32 s7, s8, s13
	s_mul_hi_u32 s13, s8, s12
	s_add_i32 s13, s13, s7
	s_mul_i32 s21, s9, s12
	s_add_i32 s13, s13, s21
	s_mul_i32 s12, s8, s12
	s_waitcnt lgkmcnt(0)
	s_ashr_i32 s7, s6, 31
	s_lshl_b64 s[12:13], s[12:13], 2
	s_add_u32 s10, s10, s12
	s_addc_u32 s11, s11, s13
	s_lshl_b64 s[6:7], s[6:7], 2
	s_add_u32 s10, s10, s6
	s_addc_u32 s11, s11, s7
.LBB98_3:
	s_load_dwordx2 s[6:7], s[4:5], 0x8
	v_lshlrev_b32_e32 v6, 3, v0
	s_waitcnt lgkmcnt(0)
	s_ashr_i32 s5, s6, 31
	s_mov_b32 s4, s6
	s_lshl_b64 s[4:5], s[4:5], 3
	s_add_u32 s4, s18, s4
	s_addc_u32 s5, s19, s5
	s_add_i32 s6, s7, s7
	v_add_u32_e32 v2, s6, v0
	v_ashrrev_i32_e32 v3, 31, v2
	v_lshlrev_b64 v[4:5], 3, v[2:3]
	v_add_u32_e32 v2, s7, v2
	v_mov_b32_e32 v1, s5
	v_add_co_u32_e32 v22, vcc, s4, v4
	v_ashrrev_i32_e32 v3, 31, v2
	v_addc_co_u32_e32 v23, vcc, v1, v5, vcc
	v_lshlrev_b64 v[4:5], 3, v[2:3]
	v_add_u32_e32 v2, s7, v2
	v_add_co_u32_e32 v24, vcc, s4, v4
	v_ashrrev_i32_e32 v3, 31, v2
	v_addc_co_u32_e32 v25, vcc, v1, v5, vcc
	v_lshlrev_b64 v[4:5], 3, v[2:3]
	v_add_u32_e32 v2, s7, v2
	;; [unrolled: 5-line block ×26, first 2 shown]
	v_add_co_u32_e32 v74, vcc, s4, v4
	v_ashrrev_i32_e32 v3, 31, v2
	v_addc_co_u32_e32 v75, vcc, v1, v5, vcc
	v_lshlrev_b64 v[4:5], 3, v[2:3]
	v_add_co_u32_e32 v76, vcc, s4, v4
	v_add_u32_e32 v2, s7, v2
	v_addc_co_u32_e32 v77, vcc, v1, v5, vcc
	v_ashrrev_i32_e32 v3, 31, v2
	v_lshlrev_b64 v[4:5], 3, v[2:3]
	v_mov_b32_e32 v3, s5
	v_add_co_u32_e32 v80, vcc, s4, v6
	s_ashr_i32 s13, s7, 31
	s_mov_b32 s12, s7
	v_addc_co_u32_e32 v81, vcc, 0, v3, vcc
	s_lshl_b64 s[12:13], s[12:13], 3
	v_mov_b32_e32 v3, s13
	v_add_co_u32_e32 v82, vcc, s12, v80
	v_addc_co_u32_e32 v83, vcc, v81, v3, vcc
	v_add_u32_e32 v2, s7, v2
	v_add_co_u32_e32 v78, vcc, s4, v4
	v_ashrrev_i32_e32 v3, 31, v2
	v_addc_co_u32_e32 v79, vcc, v1, v5, vcc
	v_lshlrev_b64 v[18:19], 3, v[2:3]
	v_add_u32_e32 v2, s7, v2
	v_add_co_u32_e32 v84, vcc, s4, v18
	v_ashrrev_i32_e32 v3, 31, v2
	v_addc_co_u32_e32 v85, vcc, v1, v19, vcc
	v_lshlrev_b64 v[86:87], 3, v[2:3]
	;; [unrolled: 5-line block ×3, first 2 shown]
	v_add_co_u32_e32 v88, vcc, s4, v88
	global_load_dwordx2 v[8:9], v6, s[4:5]
	global_load_dwordx2 v[4:5], v[22:23], off
	global_load_dwordx2 v[12:13], v[24:25], off
	;; [unrolled: 1-line block ×25, first 2 shown]
	v_addc_co_u32_e32 v89, vcc, v1, v89, vcc
	global_load_dwordx2 v[128:129], v[70:71], off
	global_load_dwordx2 v[130:131], v[72:73], off
	global_load_dwordx2 v[132:133], v[74:75], off
	global_load_dwordx2 v[134:135], v[76:77], off
	global_load_dwordx2 v[136:137], v[78:79], off
	global_load_dwordx2 v[138:139], v[84:85], off
	global_load_dwordx2 v[140:141], v[86:87], off
	global_load_dwordx2 v[142:143], v[88:89], off
	v_add_u32_e32 v2, s7, v2
	v_ashrrev_i32_e32 v3, 31, v2
	v_lshlrev_b64 v[2:3], 3, v[2:3]
	v_add_co_u32_e32 v90, vcc, s4, v2
	v_addc_co_u32_e32 v91, vcc, v1, v3, vcc
	global_load_dwordx2 v[2:3], v[90:91], off
	s_bitcmp0_b32 s20, 0
	s_mov_b64 s[6:7], -1
	s_waitcnt vmcnt(34)
	buffer_store_dword v9, off, s[0:3], 0 offset:4
	buffer_store_dword v8, off, s[0:3], 0
	s_waitcnt vmcnt(33)
	buffer_store_dword v11, off, s[0:3], 0 offset:12
	buffer_store_dword v10, off, s[0:3], 0 offset:8
	buffer_store_dword v5, off, s[0:3], 0 offset:20
	buffer_store_dword v4, off, s[0:3], 0 offset:16
	buffer_store_dword v13, off, s[0:3], 0 offset:28
	buffer_store_dword v12, off, s[0:3], 0 offset:24
	s_waitcnt vmcnt(38)
	buffer_store_dword v15, off, s[0:3], 0 offset:36
	buffer_store_dword v14, off, s[0:3], 0 offset:32
	s_waitcnt vmcnt(39)
	buffer_store_dword v17, off, s[0:3], 0 offset:44
	buffer_store_dword v16, off, s[0:3], 0 offset:40
	;; [unrolled: 3-line block ×26, first 2 shown]
	buffer_store_dword v136, off, s[0:3], 0 offset:240
	buffer_store_dword v137, off, s[0:3], 0 offset:244
	s_waitcnt vmcnt(62)
	buffer_store_dword v139, off, s[0:3], 0 offset:252
	buffer_store_dword v138, off, s[0:3], 0 offset:248
	;; [unrolled: 1-line block ×8, first 2 shown]
	s_cbranch_scc1 .LBB98_152
; %bb.4:
	v_cmp_eq_u32_e64 s[4:5], 0, v0
	s_and_saveexec_b64 s[6:7], s[4:5]
	s_cbranch_execz .LBB98_6
; %bb.5:
	v_mov_b32_e32 v1, 0
	ds_write_b32 v1, v1 offset:280
.LBB98_6:
	s_or_b64 exec, exec, s[6:7]
	v_mov_b32_e32 v1, 0
	v_lshl_add_u32 v7, v0, 3, v1
	s_waitcnt lgkmcnt(0)
	; wave barrier
	s_waitcnt lgkmcnt(0)
	buffer_load_dword v1, v7, s[0:3], 0 offen
	buffer_load_dword v2, v7, s[0:3], 0 offen offset:4
	s_waitcnt vmcnt(1)
	v_cmp_eq_f32_e32 vcc, 0, v1
	s_waitcnt vmcnt(0)
	v_cmp_eq_f32_e64 s[6:7], 0, v2
	s_and_b64 s[6:7], vcc, s[6:7]
	s_and_saveexec_b64 s[12:13], s[6:7]
	s_cbranch_execz .LBB98_10
; %bb.7:
	v_mov_b32_e32 v1, 0
	ds_read_b32 v3, v1 offset:280
	v_add_u32_e32 v2, 1, v0
	s_waitcnt lgkmcnt(0)
	v_readfirstlane_b32 s6, v3
	s_cmp_eq_u32 s6, 0
	s_cselect_b64 s[18:19], -1, 0
	v_cmp_gt_i32_e32 vcc, s6, v2
	s_or_b64 s[18:19], s[18:19], vcc
	s_and_b64 exec, exec, s[18:19]
	s_cbranch_execz .LBB98_10
; %bb.8:
	s_mov_b64 s[18:19], 0
	v_mov_b32_e32 v3, s6
.LBB98_9:                               ; =>This Inner Loop Header: Depth=1
	ds_cmpst_rtn_b32 v3, v1, v3, v2 offset:280
	s_waitcnt lgkmcnt(0)
	v_cmp_ne_u32_e32 vcc, 0, v3
	v_cmp_le_i32_e64 s[6:7], v3, v2
	s_and_b64 s[6:7], vcc, s[6:7]
	s_and_b64 s[6:7], exec, s[6:7]
	s_or_b64 s[18:19], s[6:7], s[18:19]
	s_andn2_b64 exec, exec, s[18:19]
	s_cbranch_execnz .LBB98_9
.LBB98_10:
	s_or_b64 exec, exec, s[12:13]
	v_mov_b32_e32 v2, 0
	s_waitcnt lgkmcnt(0)
	; wave barrier
	ds_read_b32 v1, v2 offset:280
	s_and_saveexec_b64 s[6:7], s[4:5]
	s_cbranch_execz .LBB98_12
; %bb.11:
	s_lshl_b64 s[12:13], s[8:9], 2
	s_add_u32 s12, s14, s12
	s_addc_u32 s13, s15, s13
	s_waitcnt lgkmcnt(0)
	global_store_dword v2, v1, s[12:13]
.LBB98_12:
	s_or_b64 exec, exec, s[6:7]
	s_waitcnt lgkmcnt(0)
	v_cmp_ne_u32_e32 vcc, 0, v1
	s_mov_b64 s[6:7], 0
	s_cbranch_vccnz .LBB98_152
; %bb.13:
	buffer_load_dword v8, v7, s[0:3], 0 offen offset:4
	buffer_load_dword v3, v7, s[0:3], 0 offen
	s_waitcnt vmcnt(1)
	v_cmp_gt_f32_e32 vcc, 0, v8
	v_cndmask_b32_e64 v1, v8, -v8, vcc
	s_waitcnt vmcnt(0)
	v_cmp_gt_f32_e32 vcc, 0, v3
	v_cndmask_b32_e64 v2, v3, -v3, vcc
	v_cmp_ngt_f32_e32 vcc, v2, v1
                                        ; implicit-def: $vgpr1
                                        ; implicit-def: $vgpr2
	s_and_saveexec_b64 s[6:7], vcc
	s_xor_b64 s[6:7], exec, s[6:7]
                                        ; implicit-def: $vgpr4_vgpr5
	s_cbranch_execz .LBB98_15
; %bb.14:
	v_div_scale_f32 v1, s[12:13], v8, v8, v3
	v_rcp_f32_e32 v2, v1
	v_div_scale_f32 v4, vcc, v3, v8, v3
	v_fma_f32 v5, -v1, v2, 1.0
	v_fmac_f32_e32 v2, v5, v2
	v_mul_f32_e32 v5, v4, v2
	v_fma_f32 v9, -v1, v5, v4
	v_fmac_f32_e32 v5, v9, v2
	v_fma_f32 v1, -v1, v5, v4
	v_div_fmas_f32 v1, v1, v2, v5
	v_div_fixup_f32 v2, v1, v8, v3
	v_fmac_f32_e32 v8, v3, v2
	v_div_scale_f32 v1, s[12:13], v8, v8, -1.0
	v_rcp_f32_e32 v3, v1
	v_fma_f32 v4, -v1, v3, 1.0
	v_fmac_f32_e32 v3, v4, v3
	v_div_scale_f32 v4, vcc, -1.0, v8, -1.0
	v_mul_f32_e32 v5, v4, v3
	v_fma_f32 v9, -v1, v5, v4
	v_fmac_f32_e32 v5, v9, v3
	v_fma_f32 v1, -v1, v5, v4
	v_div_fmas_f32 v1, v1, v3, v5
	v_div_fixup_f32 v1, v1, v8, -1.0
	v_mul_f32_e32 v2, v2, v1
	v_xor_b32_e32 v4, 0x80000000, v2
                                        ; implicit-def: $vgpr3
                                        ; implicit-def: $vgpr8
.LBB98_15:
	s_andn2_saveexec_b64 s[6:7], s[6:7]
	s_cbranch_execz .LBB98_17
; %bb.16:
	v_div_scale_f32 v1, s[12:13], v3, v3, v8
	v_rcp_f32_e32 v2, v1
	v_div_scale_f32 v4, vcc, v8, v3, v8
	v_fma_f32 v5, -v1, v2, 1.0
	v_fmac_f32_e32 v2, v5, v2
	v_mul_f32_e32 v5, v4, v2
	v_fma_f32 v9, -v1, v5, v4
	v_fmac_f32_e32 v5, v9, v2
	v_fma_f32 v1, -v1, v5, v4
	v_div_fmas_f32 v1, v1, v2, v5
	v_div_fixup_f32 v1, v1, v3, v8
	v_fmac_f32_e32 v3, v8, v1
	v_div_scale_f32 v2, s[12:13], v3, v3, 1.0
	v_rcp_f32_e32 v4, v2
	v_fma_f32 v5, -v2, v4, 1.0
	v_fmac_f32_e32 v4, v5, v4
	v_div_scale_f32 v5, vcc, 1.0, v3, 1.0
	v_mul_f32_e32 v8, v5, v4
	v_fma_f32 v9, -v2, v8, v5
	v_fmac_f32_e32 v8, v9, v4
	v_fma_f32 v2, -v2, v8, v5
	v_div_fmas_f32 v2, v2, v4, v8
	v_div_fixup_f32 v4, v2, v3, 1.0
	v_xor_b32_e32 v2, 0x80000000, v4
	v_mul_f32_e64 v1, v1, -v4
.LBB98_17:
	s_or_b64 exec, exec, s[6:7]
	buffer_store_dword v1, v7, s[0:3], 0 offen offset:4
	buffer_store_dword v4, v7, s[0:3], 0 offen
	buffer_load_dword v5, off, s[0:3], 0 offset:12
	s_nop 0
	buffer_load_dword v4, off, s[0:3], 0 offset:8
	v_xor_b32_e32 v3, 0x80000000, v1
	v_add_u32_e32 v1, 0x120, v6
	s_waitcnt vmcnt(0)
	ds_write2_b64 v6, v[2:3], v[4:5] offset1:36
	s_waitcnt lgkmcnt(0)
	; wave barrier
	s_waitcnt lgkmcnt(0)
	s_and_saveexec_b64 s[6:7], s[4:5]
	s_cbranch_execz .LBB98_19
; %bb.18:
	buffer_load_dword v8, v7, s[0:3], 0 offen offset:4
	buffer_load_dword v9, v7, s[0:3], 0 offen
	ds_read_b64 v[2:3], v1
	v_mov_b32_e32 v4, 0
	ds_read_b64 v[4:5], v4 offset:8
	s_waitcnt vmcnt(1) lgkmcnt(1)
	v_mul_f32_e32 v10, v3, v8
	v_mul_f32_e32 v8, v2, v8
	s_waitcnt vmcnt(0)
	v_fmac_f32_e32 v8, v3, v9
	v_fma_f32 v2, v2, v9, -v10
	v_add_f32_e32 v3, 0, v8
	v_add_f32_e32 v2, 0, v2
	s_waitcnt lgkmcnt(0)
	v_mul_f32_e32 v8, v3, v5
	v_mul_f32_e32 v5, v2, v5
	v_fma_f32 v2, v2, v4, -v8
	v_fmac_f32_e32 v5, v3, v4
	buffer_store_dword v2, off, s[0:3], 0 offset:8
	buffer_store_dword v5, off, s[0:3], 0 offset:12
.LBB98_19:
	s_or_b64 exec, exec, s[6:7]
	s_waitcnt lgkmcnt(0)
	; wave barrier
	buffer_load_dword v2, off, s[0:3], 0 offset:16
	buffer_load_dword v3, off, s[0:3], 0 offset:20
	v_cmp_gt_u32_e32 vcc, 2, v0
	s_waitcnt vmcnt(0)
	ds_write_b64 v1, v[2:3]
	s_waitcnt lgkmcnt(0)
	; wave barrier
	s_waitcnt lgkmcnt(0)
	s_and_saveexec_b64 s[6:7], vcc
	s_cbranch_execz .LBB98_23
; %bb.20:
	buffer_load_dword v4, v7, s[0:3], 0 offen offset:4
	buffer_load_dword v5, v7, s[0:3], 0 offen
	ds_read_b64 v[2:3], v1
	s_waitcnt vmcnt(1) lgkmcnt(0)
	v_mul_f32_e32 v7, v3, v4
	v_mul_f32_e32 v4, v2, v4
	s_waitcnt vmcnt(0)
	v_fma_f32 v2, v2, v5, -v7
	v_fmac_f32_e32 v4, v3, v5
	v_add_f32_e32 v3, 0, v2
	v_add_f32_e32 v2, 0, v4
	s_and_saveexec_b64 s[12:13], s[4:5]
	s_cbranch_execz .LBB98_22
; %bb.21:
	buffer_load_dword v7, off, s[0:3], 0 offset:12
	buffer_load_dword v8, off, s[0:3], 0 offset:8
	v_mov_b32_e32 v4, 0
	ds_read_b64 v[4:5], v4 offset:296
	s_waitcnt vmcnt(1) lgkmcnt(0)
	v_mul_f32_e32 v9, v4, v7
	v_mul_f32_e32 v7, v5, v7
	s_waitcnt vmcnt(0)
	v_fmac_f32_e32 v9, v5, v8
	v_fma_f32 v4, v4, v8, -v7
	v_add_f32_e32 v2, v2, v9
	v_add_f32_e32 v3, v3, v4
.LBB98_22:
	s_or_b64 exec, exec, s[12:13]
	v_mov_b32_e32 v4, 0
	ds_read_b64 v[4:5], v4 offset:16
	s_waitcnt lgkmcnt(0)
	v_mul_f32_e32 v7, v2, v5
	v_mul_f32_e32 v5, v3, v5
	v_fma_f32 v3, v3, v4, -v7
	v_fmac_f32_e32 v5, v2, v4
	buffer_store_dword v3, off, s[0:3], 0 offset:16
	buffer_store_dword v5, off, s[0:3], 0 offset:20
.LBB98_23:
	s_or_b64 exec, exec, s[6:7]
	s_waitcnt lgkmcnt(0)
	; wave barrier
	buffer_load_dword v2, off, s[0:3], 0 offset:24
	buffer_load_dword v3, off, s[0:3], 0 offset:28
	v_cmp_gt_u32_e32 vcc, 3, v0
	s_waitcnt vmcnt(0)
	ds_write_b64 v1, v[2:3]
	v_add_u32_e32 v2, -1, v0
	s_waitcnt lgkmcnt(0)
	; wave barrier
	s_waitcnt lgkmcnt(0)
	s_and_saveexec_b64 s[4:5], vcc
	s_cbranch_execz .LBB98_27
; %bb.24:
	v_add_u32_e32 v4, -1, v0
	v_add_u32_e32 v5, 0x120, v6
	v_add_u32_e32 v7, 0, v6
	s_mov_b64 s[6:7], 0
	v_mov_b32_e32 v3, 0
	v_mov_b32_e32 v8, 0
.LBB98_25:                              ; =>This Inner Loop Header: Depth=1
	buffer_load_dword v9, v7, s[0:3], 0 offen offset:4
	buffer_load_dword v12, v7, s[0:3], 0 offen
	ds_read_b64 v[10:11], v5
	v_add_u32_e32 v4, 1, v4
	v_cmp_lt_u32_e32 vcc, 1, v4
	v_add_u32_e32 v5, 8, v5
	v_add_u32_e32 v7, 8, v7
	s_or_b64 s[6:7], vcc, s[6:7]
	s_waitcnt vmcnt(1) lgkmcnt(0)
	v_mul_f32_e32 v13, v11, v9
	v_mul_f32_e32 v9, v10, v9
	s_waitcnt vmcnt(0)
	v_fma_f32 v10, v10, v12, -v13
	v_fmac_f32_e32 v9, v11, v12
	v_add_f32_e32 v8, v8, v10
	v_add_f32_e32 v3, v3, v9
	s_andn2_b64 exec, exec, s[6:7]
	s_cbranch_execnz .LBB98_25
; %bb.26:
	s_or_b64 exec, exec, s[6:7]
	v_mov_b32_e32 v4, 0
	ds_read_b64 v[4:5], v4 offset:24
	s_waitcnt lgkmcnt(0)
	v_mul_f32_e32 v7, v3, v5
	v_mul_f32_e32 v5, v8, v5
	v_fma_f32 v7, v8, v4, -v7
	v_fmac_f32_e32 v5, v3, v4
	buffer_store_dword v7, off, s[0:3], 0 offset:24
	buffer_store_dword v5, off, s[0:3], 0 offset:28
.LBB98_27:
	s_or_b64 exec, exec, s[4:5]
	s_waitcnt lgkmcnt(0)
	; wave barrier
	buffer_load_dword v4, off, s[0:3], 0 offset:32
	buffer_load_dword v5, off, s[0:3], 0 offset:36
	v_cmp_gt_u32_e32 vcc, 4, v0
	s_waitcnt vmcnt(0)
	ds_write_b64 v1, v[4:5]
	s_waitcnt lgkmcnt(0)
	; wave barrier
	s_waitcnt lgkmcnt(0)
	s_and_saveexec_b64 s[4:5], vcc
	s_cbranch_execz .LBB98_31
; %bb.28:
	v_add_u32_e32 v4, -1, v0
	v_add_u32_e32 v5, 0x120, v6
	v_add_u32_e32 v7, 0, v6
	s_mov_b64 s[6:7], 0
	v_mov_b32_e32 v3, 0
	v_mov_b32_e32 v8, 0
.LBB98_29:                              ; =>This Inner Loop Header: Depth=1
	buffer_load_dword v9, v7, s[0:3], 0 offen offset:4
	buffer_load_dword v12, v7, s[0:3], 0 offen
	ds_read_b64 v[10:11], v5
	v_add_u32_e32 v4, 1, v4
	v_cmp_lt_u32_e32 vcc, 2, v4
	v_add_u32_e32 v5, 8, v5
	v_add_u32_e32 v7, 8, v7
	s_or_b64 s[6:7], vcc, s[6:7]
	s_waitcnt vmcnt(1) lgkmcnt(0)
	v_mul_f32_e32 v13, v11, v9
	v_mul_f32_e32 v9, v10, v9
	s_waitcnt vmcnt(0)
	v_fma_f32 v10, v10, v12, -v13
	v_fmac_f32_e32 v9, v11, v12
	v_add_f32_e32 v8, v8, v10
	v_add_f32_e32 v3, v3, v9
	s_andn2_b64 exec, exec, s[6:7]
	s_cbranch_execnz .LBB98_29
; %bb.30:
	s_or_b64 exec, exec, s[6:7]
	v_mov_b32_e32 v4, 0
	ds_read_b64 v[4:5], v4 offset:32
	s_waitcnt lgkmcnt(0)
	v_mul_f32_e32 v7, v3, v5
	v_mul_f32_e32 v5, v8, v5
	v_fma_f32 v7, v8, v4, -v7
	v_fmac_f32_e32 v5, v3, v4
	buffer_store_dword v7, off, s[0:3], 0 offset:32
	buffer_store_dword v5, off, s[0:3], 0 offset:36
.LBB98_31:
	s_or_b64 exec, exec, s[4:5]
	s_waitcnt lgkmcnt(0)
	; wave barrier
	buffer_load_dword v4, off, s[0:3], 0 offset:40
	buffer_load_dword v5, off, s[0:3], 0 offset:44
	v_cmp_gt_u32_e32 vcc, 5, v0
	s_waitcnt vmcnt(0)
	ds_write_b64 v1, v[4:5]
	;; [unrolled: 51-line block ×19, first 2 shown]
	s_waitcnt lgkmcnt(0)
	; wave barrier
	s_waitcnt lgkmcnt(0)
	s_and_saveexec_b64 s[4:5], vcc
	s_cbranch_execz .LBB98_103
; %bb.100:
	v_add_u32_e32 v4, -1, v0
	v_add_u32_e32 v5, 0x120, v6
	v_add_u32_e32 v7, 0, v6
	s_mov_b64 s[6:7], 0
	v_mov_b32_e32 v3, 0
	v_mov_b32_e32 v8, 0
.LBB98_101:                             ; =>This Inner Loop Header: Depth=1
	buffer_load_dword v9, v7, s[0:3], 0 offen offset:4
	buffer_load_dword v12, v7, s[0:3], 0 offen
	ds_read_b64 v[10:11], v5
	v_add_u32_e32 v4, 1, v4
	v_cmp_lt_u32_e32 vcc, 20, v4
	v_add_u32_e32 v5, 8, v5
	v_add_u32_e32 v7, 8, v7
	s_or_b64 s[6:7], vcc, s[6:7]
	s_waitcnt vmcnt(1) lgkmcnt(0)
	v_mul_f32_e32 v13, v11, v9
	v_mul_f32_e32 v9, v10, v9
	s_waitcnt vmcnt(0)
	v_fma_f32 v10, v10, v12, -v13
	v_fmac_f32_e32 v9, v11, v12
	v_add_f32_e32 v8, v8, v10
	v_add_f32_e32 v3, v3, v9
	s_andn2_b64 exec, exec, s[6:7]
	s_cbranch_execnz .LBB98_101
; %bb.102:
	s_or_b64 exec, exec, s[6:7]
	v_mov_b32_e32 v4, 0
	ds_read_b64 v[4:5], v4 offset:176
	s_waitcnt lgkmcnt(0)
	v_mul_f32_e32 v7, v3, v5
	v_mul_f32_e32 v5, v8, v5
	v_fma_f32 v7, v8, v4, -v7
	v_fmac_f32_e32 v5, v3, v4
	buffer_store_dword v7, off, s[0:3], 0 offset:176
	buffer_store_dword v5, off, s[0:3], 0 offset:180
.LBB98_103:
	s_or_b64 exec, exec, s[4:5]
	s_waitcnt lgkmcnt(0)
	; wave barrier
	buffer_load_dword v4, off, s[0:3], 0 offset:184
	buffer_load_dword v5, off, s[0:3], 0 offset:188
	v_cmp_gt_u32_e32 vcc, 23, v0
	s_waitcnt vmcnt(0)
	ds_write_b64 v1, v[4:5]
	s_waitcnt lgkmcnt(0)
	; wave barrier
	s_waitcnt lgkmcnt(0)
	s_and_saveexec_b64 s[4:5], vcc
	s_cbranch_execz .LBB98_107
; %bb.104:
	v_add_u32_e32 v4, -1, v0
	v_add_u32_e32 v5, 0x120, v6
	v_add_u32_e32 v7, 0, v6
	s_mov_b64 s[6:7], 0
	v_mov_b32_e32 v3, 0
	v_mov_b32_e32 v8, 0
.LBB98_105:                             ; =>This Inner Loop Header: Depth=1
	buffer_load_dword v9, v7, s[0:3], 0 offen offset:4
	buffer_load_dword v12, v7, s[0:3], 0 offen
	ds_read_b64 v[10:11], v5
	v_add_u32_e32 v4, 1, v4
	v_cmp_lt_u32_e32 vcc, 21, v4
	v_add_u32_e32 v5, 8, v5
	v_add_u32_e32 v7, 8, v7
	s_or_b64 s[6:7], vcc, s[6:7]
	s_waitcnt vmcnt(1) lgkmcnt(0)
	v_mul_f32_e32 v13, v11, v9
	v_mul_f32_e32 v9, v10, v9
	s_waitcnt vmcnt(0)
	v_fma_f32 v10, v10, v12, -v13
	v_fmac_f32_e32 v9, v11, v12
	v_add_f32_e32 v8, v8, v10
	v_add_f32_e32 v3, v3, v9
	s_andn2_b64 exec, exec, s[6:7]
	s_cbranch_execnz .LBB98_105
; %bb.106:
	s_or_b64 exec, exec, s[6:7]
	v_mov_b32_e32 v4, 0
	ds_read_b64 v[4:5], v4 offset:184
	s_waitcnt lgkmcnt(0)
	v_mul_f32_e32 v7, v3, v5
	v_mul_f32_e32 v5, v8, v5
	v_fma_f32 v7, v8, v4, -v7
	v_fmac_f32_e32 v5, v3, v4
	buffer_store_dword v7, off, s[0:3], 0 offset:184
	buffer_store_dword v5, off, s[0:3], 0 offset:188
.LBB98_107:
	s_or_b64 exec, exec, s[4:5]
	s_waitcnt lgkmcnt(0)
	; wave barrier
	buffer_load_dword v4, off, s[0:3], 0 offset:192
	buffer_load_dword v5, off, s[0:3], 0 offset:196
	v_cmp_gt_u32_e32 vcc, 24, v0
	s_waitcnt vmcnt(0)
	ds_write_b64 v1, v[4:5]
	;; [unrolled: 51-line block ×11, first 2 shown]
	s_waitcnt lgkmcnt(0)
	; wave barrier
	s_waitcnt lgkmcnt(0)
	s_and_saveexec_b64 s[4:5], vcc
	s_cbranch_execz .LBB98_147
; %bb.144:
	v_add_u32_e32 v4, -1, v0
	v_add_u32_e32 v5, 0x120, v6
	v_add_u32_e32 v7, 0, v6
	s_mov_b64 s[6:7], 0
	v_mov_b32_e32 v3, 0
	v_mov_b32_e32 v8, 0
.LBB98_145:                             ; =>This Inner Loop Header: Depth=1
	buffer_load_dword v9, v7, s[0:3], 0 offen offset:4
	buffer_load_dword v12, v7, s[0:3], 0 offen
	ds_read_b64 v[10:11], v5
	v_add_u32_e32 v4, 1, v4
	v_cmp_lt_u32_e32 vcc, 31, v4
	v_add_u32_e32 v5, 8, v5
	v_add_u32_e32 v7, 8, v7
	s_or_b64 s[6:7], vcc, s[6:7]
	s_waitcnt vmcnt(1) lgkmcnt(0)
	v_mul_f32_e32 v13, v11, v9
	v_mul_f32_e32 v9, v10, v9
	s_waitcnt vmcnt(0)
	v_fma_f32 v10, v10, v12, -v13
	v_fmac_f32_e32 v9, v11, v12
	v_add_f32_e32 v8, v8, v10
	v_add_f32_e32 v3, v3, v9
	s_andn2_b64 exec, exec, s[6:7]
	s_cbranch_execnz .LBB98_145
; %bb.146:
	s_or_b64 exec, exec, s[6:7]
	v_mov_b32_e32 v4, 0
	ds_read_b64 v[4:5], v4 offset:264
	s_waitcnt lgkmcnt(0)
	v_mul_f32_e32 v7, v3, v5
	v_mul_f32_e32 v5, v8, v5
	v_fma_f32 v7, v8, v4, -v7
	v_fmac_f32_e32 v5, v3, v4
	buffer_store_dword v7, off, s[0:3], 0 offset:264
	buffer_store_dword v5, off, s[0:3], 0 offset:268
.LBB98_147:
	s_or_b64 exec, exec, s[4:5]
	s_waitcnt lgkmcnt(0)
	; wave barrier
	buffer_load_dword v4, off, s[0:3], 0 offset:272
	buffer_load_dword v5, off, s[0:3], 0 offset:276
	v_cmp_ne_u32_e32 vcc, 34, v0
	s_waitcnt vmcnt(0)
	ds_write_b64 v1, v[4:5]
	s_waitcnt lgkmcnt(0)
	; wave barrier
	s_waitcnt lgkmcnt(0)
	s_and_saveexec_b64 s[4:5], vcc
	s_cbranch_execz .LBB98_151
; %bb.148:
	v_add_u32_e32 v3, 0x120, v6
	v_add_u32_e32 v4, 0, v6
	s_mov_b64 s[6:7], 0
	v_mov_b32_e32 v1, 0
	v_mov_b32_e32 v5, 0
.LBB98_149:                             ; =>This Inner Loop Header: Depth=1
	buffer_load_dword v8, v4, s[0:3], 0 offen offset:4
	buffer_load_dword v9, v4, s[0:3], 0 offen
	ds_read_b64 v[6:7], v3
	v_add_u32_e32 v2, 1, v2
	v_cmp_lt_u32_e32 vcc, 32, v2
	v_add_u32_e32 v3, 8, v3
	v_add_u32_e32 v4, 8, v4
	s_or_b64 s[6:7], vcc, s[6:7]
	s_waitcnt vmcnt(1) lgkmcnt(0)
	v_mul_f32_e32 v10, v7, v8
	v_mul_f32_e32 v8, v6, v8
	s_waitcnt vmcnt(0)
	v_fma_f32 v6, v6, v9, -v10
	v_fmac_f32_e32 v8, v7, v9
	v_add_f32_e32 v5, v5, v6
	v_add_f32_e32 v1, v1, v8
	s_andn2_b64 exec, exec, s[6:7]
	s_cbranch_execnz .LBB98_149
; %bb.150:
	s_or_b64 exec, exec, s[6:7]
	v_mov_b32_e32 v2, 0
	ds_read_b64 v[2:3], v2 offset:272
	s_waitcnt lgkmcnt(0)
	v_mul_f32_e32 v4, v1, v3
	v_mul_f32_e32 v3, v5, v3
	v_fma_f32 v4, v5, v2, -v4
	v_fmac_f32_e32 v3, v1, v2
	buffer_store_dword v4, off, s[0:3], 0 offset:272
	buffer_store_dword v3, off, s[0:3], 0 offset:276
.LBB98_151:
	s_or_b64 exec, exec, s[4:5]
	s_mov_b64 s[6:7], -1
	s_waitcnt lgkmcnt(0)
	; wave barrier
.LBB98_152:
	s_and_b64 vcc, exec, s[6:7]
	s_cbranch_vccz .LBB98_154
; %bb.153:
	s_lshl_b64 s[4:5], s[8:9], 2
	s_add_u32 s4, s14, s4
	s_addc_u32 s5, s15, s5
	v_mov_b32_e32 v1, 0
	global_load_dword v1, v1, s[4:5]
	s_waitcnt vmcnt(0)
	v_cmp_ne_u32_e32 vcc, 0, v1
	s_cbranch_vccz .LBB98_155
.LBB98_154:
	s_endpgm
.LBB98_155:
	v_mov_b32_e32 v1, 0x120
	v_lshl_add_u32 v1, v0, 3, v1
	v_cmp_eq_u32_e32 vcc, 34, v0
	s_and_saveexec_b64 s[4:5], vcc
	s_cbranch_execz .LBB98_157
; %bb.156:
	buffer_load_dword v2, off, s[0:3], 0 offset:264
	buffer_load_dword v3, off, s[0:3], 0 offset:268
	v_mov_b32_e32 v4, 0
	buffer_store_dword v4, off, s[0:3], 0 offset:264
	buffer_store_dword v4, off, s[0:3], 0 offset:268
	s_waitcnt vmcnt(2)
	ds_write_b64 v1, v[2:3]
.LBB98_157:
	s_or_b64 exec, exec, s[4:5]
	s_waitcnt lgkmcnt(0)
	; wave barrier
	s_waitcnt lgkmcnt(0)
	buffer_load_dword v5, off, s[0:3], 0 offset:276
	buffer_load_dword v4, off, s[0:3], 0 offset:272
	;; [unrolled: 1-line block ×4, first 2 shown]
	v_mov_b32_e32 v2, 0
	ds_read_b64 v[8:9], v2 offset:560
	v_cmp_lt_u32_e32 vcc, 32, v0
	s_waitcnt vmcnt(3)
	v_mov_b32_e32 v10, v5
	s_waitcnt lgkmcnt(0)
	v_pk_mul_f32 v[10:11], v[8:9], v[10:11] op_sel_hi:[1,0]
	s_waitcnt vmcnt(2)
	v_pk_fma_f32 v[12:13], v[8:9], v[4:5], v[10:11] op_sel:[0,0,1] op_sel_hi:[1,1,0] neg_lo:[0,0,1] neg_hi:[0,0,1]
	v_pk_fma_f32 v[4:5], v[8:9], v[4:5], v[10:11] op_sel:[0,0,1] op_sel_hi:[1,0,0]
	v_mov_b32_e32 v13, v5
	v_pk_add_f32 v[4:5], v[12:13], 0 op_sel_hi:[1,0]
	s_waitcnt vmcnt(0)
	v_pk_add_f32 v[4:5], v[6:7], v[4:5] neg_lo:[0,1] neg_hi:[0,1]
	buffer_store_dword v4, off, s[0:3], 0 offset:264
	buffer_store_dword v5, off, s[0:3], 0 offset:268
	s_and_saveexec_b64 s[4:5], vcc
	s_cbranch_execz .LBB98_159
; %bb.158:
	buffer_load_dword v4, off, s[0:3], 0 offset:256
	buffer_load_dword v5, off, s[0:3], 0 offset:260
	s_waitcnt vmcnt(0)
	ds_write_b64 v1, v[4:5]
	buffer_store_dword v2, off, s[0:3], 0 offset:256
	buffer_store_dword v2, off, s[0:3], 0 offset:260
.LBB98_159:
	s_or_b64 exec, exec, s[4:5]
	s_waitcnt lgkmcnt(0)
	; wave barrier
	s_waitcnt lgkmcnt(0)
	buffer_load_dword v7, off, s[0:3], 0 offset:268
	buffer_load_dword v9, off, s[0:3], 0 offset:276
	;; [unrolled: 1-line block ×6, first 2 shown]
	ds_read2_b64 v[2:5], v2 offset0:69 offset1:70
	v_cmp_lt_u32_e32 vcc, 31, v0
	s_waitcnt vmcnt(5)
	v_mov_b32_e32 v12, v7
	s_waitcnt vmcnt(4)
	v_mov_b32_e32 v14, v9
	s_waitcnt lgkmcnt(0)
	v_pk_mul_f32 v[12:13], v[2:3], v[12:13] op_sel_hi:[1,0]
	v_pk_mul_f32 v[14:15], v[4:5], v[14:15] op_sel_hi:[1,0]
	s_waitcnt vmcnt(3)
	v_pk_fma_f32 v[16:17], v[2:3], v[6:7], v[12:13] op_sel:[0,0,1] op_sel_hi:[1,1,0] neg_lo:[0,0,1] neg_hi:[0,0,1]
	v_pk_fma_f32 v[2:3], v[2:3], v[6:7], v[12:13] op_sel:[0,0,1] op_sel_hi:[1,0,0]
	s_waitcnt vmcnt(2)
	v_pk_fma_f32 v[6:7], v[4:5], v[8:9], v[14:15] op_sel:[0,0,1] op_sel_hi:[1,1,0] neg_lo:[0,0,1] neg_hi:[0,0,1]
	v_pk_fma_f32 v[4:5], v[4:5], v[8:9], v[14:15] op_sel:[0,0,1] op_sel_hi:[1,0,0]
	v_mov_b32_e32 v17, v3
	v_mov_b32_e32 v7, v5
	v_pk_add_f32 v[2:3], v[16:17], 0 op_sel_hi:[1,0]
	v_pk_add_f32 v[2:3], v[2:3], v[6:7]
	s_waitcnt vmcnt(0)
	v_pk_add_f32 v[2:3], v[10:11], v[2:3] neg_lo:[0,1] neg_hi:[0,1]
	buffer_store_dword v2, off, s[0:3], 0 offset:256
	buffer_store_dword v3, off, s[0:3], 0 offset:260
	s_and_saveexec_b64 s[4:5], vcc
	s_cbranch_execz .LBB98_161
; %bb.160:
	buffer_load_dword v2, off, s[0:3], 0 offset:248
	buffer_load_dword v3, off, s[0:3], 0 offset:252
	v_mov_b32_e32 v4, 0
	buffer_store_dword v4, off, s[0:3], 0 offset:248
	buffer_store_dword v4, off, s[0:3], 0 offset:252
	s_waitcnt vmcnt(2)
	ds_write_b64 v1, v[2:3]
.LBB98_161:
	s_or_b64 exec, exec, s[4:5]
	s_waitcnt lgkmcnt(0)
	; wave barrier
	s_waitcnt lgkmcnt(0)
	buffer_load_dword v9, off, s[0:3], 0 offset:260
	buffer_load_dword v11, off, s[0:3], 0 offset:268
	buffer_load_dword v13, off, s[0:3], 0 offset:276
	buffer_load_dword v8, off, s[0:3], 0 offset:256
	buffer_load_dword v10, off, s[0:3], 0 offset:264
	buffer_load_dword v12, off, s[0:3], 0 offset:272
	buffer_load_dword v14, off, s[0:3], 0 offset:248
	buffer_load_dword v15, off, s[0:3], 0 offset:252
	v_mov_b32_e32 v2, 0
	ds_read_b128 v[4:7], v2 offset:544
	ds_read_b64 v[16:17], v2 offset:560
	v_cmp_lt_u32_e32 vcc, 30, v0
	s_waitcnt vmcnt(7)
	v_mov_b32_e32 v18, v9
	s_waitcnt vmcnt(6)
	v_mov_b32_e32 v20, v11
	s_waitcnt lgkmcnt(1)
	v_pk_mul_f32 v[18:19], v[4:5], v[18:19] op_sel_hi:[1,0]
	s_waitcnt vmcnt(5)
	v_mov_b32_e32 v92, v13
	v_pk_mul_f32 v[20:21], v[6:7], v[20:21] op_sel_hi:[1,0]
	s_waitcnt vmcnt(4)
	v_pk_fma_f32 v[94:95], v[4:5], v[8:9], v[18:19] op_sel:[0,0,1] op_sel_hi:[1,1,0] neg_lo:[0,0,1] neg_hi:[0,0,1]
	v_pk_fma_f32 v[4:5], v[4:5], v[8:9], v[18:19] op_sel:[0,0,1] op_sel_hi:[1,0,0]
	s_waitcnt lgkmcnt(0)
	v_pk_mul_f32 v[92:93], v[16:17], v[92:93] op_sel_hi:[1,0]
	s_waitcnt vmcnt(3)
	v_pk_fma_f32 v[8:9], v[6:7], v[10:11], v[20:21] op_sel:[0,0,1] op_sel_hi:[1,1,0] neg_lo:[0,0,1] neg_hi:[0,0,1]
	v_pk_fma_f32 v[6:7], v[6:7], v[10:11], v[20:21] op_sel:[0,0,1] op_sel_hi:[1,0,0]
	v_mov_b32_e32 v95, v5
	s_waitcnt vmcnt(2)
	v_pk_fma_f32 v[10:11], v[16:17], v[12:13], v[92:93] op_sel:[0,0,1] op_sel_hi:[1,1,0] neg_lo:[0,0,1] neg_hi:[0,0,1]
	v_pk_fma_f32 v[12:13], v[16:17], v[12:13], v[92:93] op_sel:[0,0,1] op_sel_hi:[1,0,0]
	v_mov_b32_e32 v9, v7
	v_pk_add_f32 v[4:5], v[94:95], 0 op_sel_hi:[1,0]
	v_mov_b32_e32 v11, v13
	v_pk_add_f32 v[4:5], v[4:5], v[8:9]
	v_pk_add_f32 v[4:5], v[4:5], v[10:11]
	s_waitcnt vmcnt(0)
	v_pk_add_f32 v[4:5], v[14:15], v[4:5] neg_lo:[0,1] neg_hi:[0,1]
	buffer_store_dword v4, off, s[0:3], 0 offset:248
	buffer_store_dword v5, off, s[0:3], 0 offset:252
	s_and_saveexec_b64 s[4:5], vcc
	s_cbranch_execz .LBB98_163
; %bb.162:
	buffer_load_dword v4, off, s[0:3], 0 offset:240
	buffer_load_dword v5, off, s[0:3], 0 offset:244
	s_waitcnt vmcnt(0)
	ds_write_b64 v1, v[4:5]
	buffer_store_dword v2, off, s[0:3], 0 offset:240
	buffer_store_dword v2, off, s[0:3], 0 offset:244
.LBB98_163:
	s_or_b64 exec, exec, s[4:5]
	s_waitcnt lgkmcnt(0)
	; wave barrier
	s_waitcnt lgkmcnt(0)
	buffer_load_dword v13, off, s[0:3], 0 offset:252
	buffer_load_dword v15, off, s[0:3], 0 offset:260
	;; [unrolled: 1-line block ×10, first 2 shown]
	ds_read2_b64 v[4:7], v2 offset0:67 offset1:68
	ds_read2_b64 v[8:11], v2 offset0:69 offset1:70
	v_cmp_lt_u32_e32 vcc, 29, v0
	s_waitcnt vmcnt(9)
	v_mov_b32_e32 v2, v13
	s_waitcnt vmcnt(8)
	v_mov_b32_e32 v92, v15
	s_waitcnt lgkmcnt(1)
	v_pk_mul_f32 v[2:3], v[4:5], v[2:3] op_sel_hi:[1,0]
	s_waitcnt vmcnt(7)
	v_mov_b32_e32 v94, v17
	v_pk_mul_f32 v[92:93], v[6:7], v[92:93] op_sel_hi:[1,0]
	s_waitcnt vmcnt(5)
	v_pk_fma_f32 v[98:99], v[4:5], v[12:13], v[2:3] op_sel:[0,0,1] op_sel_hi:[1,1,0] neg_lo:[0,0,1] neg_hi:[0,0,1]
	v_pk_fma_f32 v[2:3], v[4:5], v[12:13], v[2:3] op_sel:[0,0,1] op_sel_hi:[1,0,0]
	v_mov_b32_e32 v96, v19
	s_waitcnt lgkmcnt(0)
	v_pk_mul_f32 v[94:95], v[8:9], v[94:95] op_sel_hi:[1,0]
	s_waitcnt vmcnt(4)
	v_pk_fma_f32 v[4:5], v[6:7], v[14:15], v[92:93] op_sel:[0,0,1] op_sel_hi:[1,1,0] neg_lo:[0,0,1] neg_hi:[0,0,1]
	v_pk_fma_f32 v[6:7], v[6:7], v[14:15], v[92:93] op_sel:[0,0,1] op_sel_hi:[1,0,0]
	v_mov_b32_e32 v99, v3
	v_pk_mul_f32 v[96:97], v[10:11], v[96:97] op_sel_hi:[1,0]
	s_waitcnt vmcnt(3)
	v_pk_fma_f32 v[12:13], v[8:9], v[16:17], v[94:95] op_sel:[0,0,1] op_sel_hi:[1,1,0] neg_lo:[0,0,1] neg_hi:[0,0,1]
	v_pk_fma_f32 v[8:9], v[8:9], v[16:17], v[94:95] op_sel:[0,0,1] op_sel_hi:[1,0,0]
	v_mov_b32_e32 v5, v7
	v_pk_add_f32 v[2:3], v[98:99], 0 op_sel_hi:[1,0]
	s_waitcnt vmcnt(2)
	v_pk_fma_f32 v[14:15], v[10:11], v[18:19], v[96:97] op_sel:[0,0,1] op_sel_hi:[1,1,0] neg_lo:[0,0,1] neg_hi:[0,0,1]
	v_pk_fma_f32 v[10:11], v[10:11], v[18:19], v[96:97] op_sel:[0,0,1] op_sel_hi:[1,0,0]
	v_mov_b32_e32 v13, v9
	v_pk_add_f32 v[2:3], v[2:3], v[4:5]
	v_mov_b32_e32 v15, v11
	v_pk_add_f32 v[2:3], v[2:3], v[12:13]
	v_pk_add_f32 v[2:3], v[2:3], v[14:15]
	s_waitcnt vmcnt(0)
	v_pk_add_f32 v[2:3], v[20:21], v[2:3] neg_lo:[0,1] neg_hi:[0,1]
	buffer_store_dword v2, off, s[0:3], 0 offset:240
	buffer_store_dword v3, off, s[0:3], 0 offset:244
	s_and_saveexec_b64 s[4:5], vcc
	s_cbranch_execz .LBB98_165
; %bb.164:
	buffer_load_dword v2, off, s[0:3], 0 offset:232
	buffer_load_dword v3, off, s[0:3], 0 offset:236
	v_mov_b32_e32 v4, 0
	buffer_store_dword v4, off, s[0:3], 0 offset:232
	buffer_store_dword v4, off, s[0:3], 0 offset:236
	s_waitcnt vmcnt(2)
	ds_write_b64 v1, v[2:3]
.LBB98_165:
	s_or_b64 exec, exec, s[4:5]
	s_waitcnt lgkmcnt(0)
	; wave barrier
	s_waitcnt lgkmcnt(0)
	buffer_load_dword v13, off, s[0:3], 0 offset:244
	buffer_load_dword v15, off, s[0:3], 0 offset:252
	;; [unrolled: 1-line block ×12, first 2 shown]
	v_mov_b32_e32 v2, 0
	ds_read_b128 v[4:7], v2 offset:528
	ds_read_b128 v[8:11], v2 offset:544
	ds_read_b64 v[94:95], v2 offset:560
	v_cmp_lt_u32_e32 vcc, 28, v0
	s_waitcnt vmcnt(11)
	v_mov_b32_e32 v96, v13
	s_waitcnt vmcnt(10)
	v_mov_b32_e32 v98, v15
	s_waitcnt lgkmcnt(2)
	v_pk_mul_f32 v[96:97], v[4:5], v[96:97] op_sel_hi:[1,0]
	s_waitcnt vmcnt(9)
	v_mov_b32_e32 v100, v17
	v_pk_mul_f32 v[98:99], v[6:7], v[98:99] op_sel_hi:[1,0]
	s_waitcnt vmcnt(6)
	v_pk_fma_f32 v[106:107], v[4:5], v[12:13], v[96:97] op_sel:[0,0,1] op_sel_hi:[1,1,0] neg_lo:[0,0,1] neg_hi:[0,0,1]
	v_pk_fma_f32 v[4:5], v[4:5], v[12:13], v[96:97] op_sel:[0,0,1] op_sel_hi:[1,0,0]
	v_mov_b32_e32 v102, v19
	s_waitcnt lgkmcnt(1)
	v_pk_mul_f32 v[100:101], v[8:9], v[100:101] op_sel_hi:[1,0]
	s_waitcnt vmcnt(5)
	v_pk_fma_f32 v[12:13], v[6:7], v[14:15], v[98:99] op_sel:[0,0,1] op_sel_hi:[1,1,0] neg_lo:[0,0,1] neg_hi:[0,0,1]
	v_pk_fma_f32 v[6:7], v[6:7], v[14:15], v[98:99] op_sel:[0,0,1] op_sel_hi:[1,0,0]
	v_mov_b32_e32 v107, v5
	v_mov_b32_e32 v104, v21
	v_pk_mul_f32 v[102:103], v[10:11], v[102:103] op_sel_hi:[1,0]
	s_waitcnt vmcnt(4)
	v_pk_fma_f32 v[14:15], v[8:9], v[16:17], v[100:101] op_sel:[0,0,1] op_sel_hi:[1,1,0] neg_lo:[0,0,1] neg_hi:[0,0,1]
	v_pk_fma_f32 v[8:9], v[8:9], v[16:17], v[100:101] op_sel:[0,0,1] op_sel_hi:[1,0,0]
	v_mov_b32_e32 v13, v7
	v_pk_add_f32 v[4:5], v[106:107], 0 op_sel_hi:[1,0]
	s_waitcnt lgkmcnt(0)
	v_pk_mul_f32 v[104:105], v[94:95], v[104:105] op_sel_hi:[1,0]
	s_waitcnt vmcnt(3)
	v_pk_fma_f32 v[16:17], v[10:11], v[18:19], v[102:103] op_sel:[0,0,1] op_sel_hi:[1,1,0] neg_lo:[0,0,1] neg_hi:[0,0,1]
	v_pk_fma_f32 v[10:11], v[10:11], v[18:19], v[102:103] op_sel:[0,0,1] op_sel_hi:[1,0,0]
	v_mov_b32_e32 v15, v9
	v_pk_add_f32 v[4:5], v[4:5], v[12:13]
	s_waitcnt vmcnt(2)
	v_pk_fma_f32 v[18:19], v[94:95], v[20:21], v[104:105] op_sel:[0,0,1] op_sel_hi:[1,1,0] neg_lo:[0,0,1] neg_hi:[0,0,1]
	v_pk_fma_f32 v[20:21], v[94:95], v[20:21], v[104:105] op_sel:[0,0,1] op_sel_hi:[1,0,0]
	v_mov_b32_e32 v17, v11
	v_pk_add_f32 v[4:5], v[4:5], v[14:15]
	v_mov_b32_e32 v19, v21
	v_pk_add_f32 v[4:5], v[4:5], v[16:17]
	v_pk_add_f32 v[4:5], v[4:5], v[18:19]
	s_waitcnt vmcnt(0)
	v_pk_add_f32 v[4:5], v[92:93], v[4:5] neg_lo:[0,1] neg_hi:[0,1]
	buffer_store_dword v4, off, s[0:3], 0 offset:232
	buffer_store_dword v5, off, s[0:3], 0 offset:236
	s_and_saveexec_b64 s[4:5], vcc
	s_cbranch_execz .LBB98_167
; %bb.166:
	buffer_load_dword v4, off, s[0:3], 0 offset:224
	buffer_load_dword v5, off, s[0:3], 0 offset:228
	s_waitcnt vmcnt(0)
	ds_write_b64 v1, v[4:5]
	buffer_store_dword v2, off, s[0:3], 0 offset:224
	buffer_store_dword v2, off, s[0:3], 0 offset:228
.LBB98_167:
	s_or_b64 exec, exec, s[4:5]
	s_waitcnt lgkmcnt(0)
	; wave barrier
	s_waitcnt lgkmcnt(0)
	buffer_load_dword v17, off, s[0:3], 0 offset:236
	buffer_load_dword v19, off, s[0:3], 0 offset:244
	;; [unrolled: 1-line block ×14, first 2 shown]
	ds_read2_b64 v[4:7], v2 offset0:65 offset1:66
	ds_read2_b64 v[8:11], v2 offset0:67 offset1:68
	;; [unrolled: 1-line block ×3, first 2 shown]
	v_cmp_lt_u32_e32 vcc, 27, v0
	s_waitcnt vmcnt(13)
	v_mov_b32_e32 v2, v17
	s_waitcnt vmcnt(12)
	v_mov_b32_e32 v100, v19
	s_waitcnt lgkmcnt(2)
	v_pk_mul_f32 v[2:3], v[4:5], v[2:3] op_sel_hi:[1,0]
	s_waitcnt vmcnt(11)
	v_mov_b32_e32 v102, v21
	v_pk_mul_f32 v[100:101], v[6:7], v[100:101] op_sel_hi:[1,0]
	s_waitcnt vmcnt(10)
	v_mov_b32_e32 v104, v93
	s_waitcnt vmcnt(7)
	v_pk_fma_f32 v[110:111], v[4:5], v[16:17], v[2:3] op_sel:[0,0,1] op_sel_hi:[1,1,0] neg_lo:[0,0,1] neg_hi:[0,0,1]
	v_pk_fma_f32 v[2:3], v[4:5], v[16:17], v[2:3] op_sel:[0,0,1] op_sel_hi:[1,0,0]
	s_waitcnt lgkmcnt(1)
	v_pk_mul_f32 v[102:103], v[8:9], v[102:103] op_sel_hi:[1,0]
	s_waitcnt vmcnt(6)
	v_pk_fma_f32 v[4:5], v[6:7], v[18:19], v[100:101] op_sel:[0,0,1] op_sel_hi:[1,1,0] neg_lo:[0,0,1] neg_hi:[0,0,1]
	v_pk_fma_f32 v[6:7], v[6:7], v[18:19], v[100:101] op_sel:[0,0,1] op_sel_hi:[1,0,0]
	v_mov_b32_e32 v111, v3
	v_mov_b32_e32 v106, v95
	v_pk_mul_f32 v[104:105], v[10:11], v[104:105] op_sel_hi:[1,0]
	s_waitcnt vmcnt(5)
	v_pk_fma_f32 v[16:17], v[8:9], v[20:21], v[102:103] op_sel:[0,0,1] op_sel_hi:[1,1,0] neg_lo:[0,0,1] neg_hi:[0,0,1]
	v_pk_fma_f32 v[8:9], v[8:9], v[20:21], v[102:103] op_sel:[0,0,1] op_sel_hi:[1,0,0]
	v_mov_b32_e32 v5, v7
	v_pk_add_f32 v[2:3], v[110:111], 0 op_sel_hi:[1,0]
	v_mov_b32_e32 v108, v97
	s_waitcnt lgkmcnt(0)
	v_pk_mul_f32 v[106:107], v[12:13], v[106:107] op_sel_hi:[1,0]
	s_waitcnt vmcnt(4)
	v_pk_fma_f32 v[18:19], v[10:11], v[92:93], v[104:105] op_sel:[0,0,1] op_sel_hi:[1,1,0] neg_lo:[0,0,1] neg_hi:[0,0,1]
	v_pk_fma_f32 v[10:11], v[10:11], v[92:93], v[104:105] op_sel:[0,0,1] op_sel_hi:[1,0,0]
	v_mov_b32_e32 v17, v9
	v_pk_add_f32 v[2:3], v[2:3], v[4:5]
	v_pk_mul_f32 v[108:109], v[14:15], v[108:109] op_sel_hi:[1,0]
	s_waitcnt vmcnt(3)
	v_pk_fma_f32 v[20:21], v[12:13], v[94:95], v[106:107] op_sel:[0,0,1] op_sel_hi:[1,1,0] neg_lo:[0,0,1] neg_hi:[0,0,1]
	v_pk_fma_f32 v[12:13], v[12:13], v[94:95], v[106:107] op_sel:[0,0,1] op_sel_hi:[1,0,0]
	v_mov_b32_e32 v19, v11
	v_pk_add_f32 v[2:3], v[2:3], v[16:17]
	s_waitcnt vmcnt(2)
	v_pk_fma_f32 v[92:93], v[14:15], v[96:97], v[108:109] op_sel:[0,0,1] op_sel_hi:[1,1,0] neg_lo:[0,0,1] neg_hi:[0,0,1]
	v_pk_fma_f32 v[14:15], v[14:15], v[96:97], v[108:109] op_sel:[0,0,1] op_sel_hi:[1,0,0]
	v_mov_b32_e32 v21, v13
	v_pk_add_f32 v[2:3], v[2:3], v[18:19]
	v_mov_b32_e32 v93, v15
	v_pk_add_f32 v[2:3], v[2:3], v[20:21]
	v_pk_add_f32 v[2:3], v[2:3], v[92:93]
	s_waitcnt vmcnt(0)
	v_pk_add_f32 v[2:3], v[98:99], v[2:3] neg_lo:[0,1] neg_hi:[0,1]
	buffer_store_dword v2, off, s[0:3], 0 offset:224
	buffer_store_dword v3, off, s[0:3], 0 offset:228
	s_and_saveexec_b64 s[4:5], vcc
	s_cbranch_execz .LBB98_169
; %bb.168:
	buffer_load_dword v2, off, s[0:3], 0 offset:216
	buffer_load_dword v3, off, s[0:3], 0 offset:220
	v_mov_b32_e32 v4, 0
	buffer_store_dword v4, off, s[0:3], 0 offset:216
	buffer_store_dword v4, off, s[0:3], 0 offset:220
	s_waitcnt vmcnt(2)
	ds_write_b64 v1, v[2:3]
.LBB98_169:
	s_or_b64 exec, exec, s[4:5]
	s_waitcnt lgkmcnt(0)
	; wave barrier
	s_waitcnt lgkmcnt(0)
	buffer_load_dword v17, off, s[0:3], 0 offset:228
	buffer_load_dword v19, off, s[0:3], 0 offset:236
	;; [unrolled: 1-line block ×16, first 2 shown]
	v_mov_b32_e32 v2, 0
	ds_read_b128 v[4:7], v2 offset:512
	ds_read_b128 v[8:11], v2 offset:528
	;; [unrolled: 1-line block ×3, first 2 shown]
	ds_read_b64 v[102:103], v2 offset:560
	v_cmp_lt_u32_e32 vcc, 26, v0
	s_waitcnt vmcnt(15)
	v_mov_b32_e32 v104, v17
	s_waitcnt vmcnt(14)
	v_mov_b32_e32 v106, v19
	s_waitcnt lgkmcnt(3)
	v_pk_mul_f32 v[104:105], v[4:5], v[104:105] op_sel_hi:[1,0]
	s_waitcnt vmcnt(13)
	v_mov_b32_e32 v108, v21
	v_pk_mul_f32 v[106:107], v[6:7], v[106:107] op_sel_hi:[1,0]
	s_waitcnt vmcnt(12)
	v_mov_b32_e32 v110, v93
	s_waitcnt lgkmcnt(2)
	v_pk_mul_f32 v[108:109], v[8:9], v[108:109] op_sel_hi:[1,0]
	s_waitcnt vmcnt(8)
	v_pk_fma_f32 v[118:119], v[4:5], v[16:17], v[104:105] op_sel:[0,0,1] op_sel_hi:[1,1,0] neg_lo:[0,0,1] neg_hi:[0,0,1]
	v_pk_fma_f32 v[4:5], v[4:5], v[16:17], v[104:105] op_sel:[0,0,1] op_sel_hi:[1,0,0]
	s_waitcnt vmcnt(7)
	v_pk_fma_f32 v[16:17], v[6:7], v[18:19], v[106:107] op_sel:[0,0,1] op_sel_hi:[1,1,0] neg_lo:[0,0,1] neg_hi:[0,0,1]
	v_pk_fma_f32 v[6:7], v[6:7], v[18:19], v[106:107] op_sel:[0,0,1] op_sel_hi:[1,0,0]
	v_mov_b32_e32 v119, v5
	v_mov_b32_e32 v112, v95
	v_pk_mul_f32 v[110:111], v[10:11], v[110:111] op_sel_hi:[1,0]
	s_waitcnt vmcnt(6)
	v_pk_fma_f32 v[18:19], v[8:9], v[20:21], v[108:109] op_sel:[0,0,1] op_sel_hi:[1,1,0] neg_lo:[0,0,1] neg_hi:[0,0,1]
	v_pk_fma_f32 v[8:9], v[8:9], v[20:21], v[108:109] op_sel:[0,0,1] op_sel_hi:[1,0,0]
	v_mov_b32_e32 v17, v7
	v_pk_add_f32 v[4:5], v[118:119], 0 op_sel_hi:[1,0]
	v_mov_b32_e32 v114, v97
	s_waitcnt lgkmcnt(1)
	v_pk_mul_f32 v[112:113], v[12:13], v[112:113] op_sel_hi:[1,0]
	s_waitcnt vmcnt(5)
	v_pk_fma_f32 v[20:21], v[10:11], v[92:93], v[110:111] op_sel:[0,0,1] op_sel_hi:[1,1,0] neg_lo:[0,0,1] neg_hi:[0,0,1]
	v_pk_fma_f32 v[10:11], v[10:11], v[92:93], v[110:111] op_sel:[0,0,1] op_sel_hi:[1,0,0]
	v_mov_b32_e32 v19, v9
	v_pk_add_f32 v[4:5], v[4:5], v[16:17]
	v_mov_b32_e32 v116, v99
	v_pk_mul_f32 v[114:115], v[14:15], v[114:115] op_sel_hi:[1,0]
	s_waitcnt vmcnt(4)
	v_pk_fma_f32 v[92:93], v[12:13], v[94:95], v[112:113] op_sel:[0,0,1] op_sel_hi:[1,1,0] neg_lo:[0,0,1] neg_hi:[0,0,1]
	v_pk_fma_f32 v[12:13], v[12:13], v[94:95], v[112:113] op_sel:[0,0,1] op_sel_hi:[1,0,0]
	v_mov_b32_e32 v21, v11
	v_pk_add_f32 v[4:5], v[4:5], v[18:19]
	s_waitcnt lgkmcnt(0)
	v_pk_mul_f32 v[116:117], v[102:103], v[116:117] op_sel_hi:[1,0]
	s_waitcnt vmcnt(3)
	v_pk_fma_f32 v[94:95], v[14:15], v[96:97], v[114:115] op_sel:[0,0,1] op_sel_hi:[1,1,0] neg_lo:[0,0,1] neg_hi:[0,0,1]
	v_pk_fma_f32 v[14:15], v[14:15], v[96:97], v[114:115] op_sel:[0,0,1] op_sel_hi:[1,0,0]
	v_mov_b32_e32 v93, v13
	v_pk_add_f32 v[4:5], v[4:5], v[20:21]
	s_waitcnt vmcnt(2)
	v_pk_fma_f32 v[96:97], v[102:103], v[98:99], v[116:117] op_sel:[0,0,1] op_sel_hi:[1,1,0] neg_lo:[0,0,1] neg_hi:[0,0,1]
	v_pk_fma_f32 v[98:99], v[102:103], v[98:99], v[116:117] op_sel:[0,0,1] op_sel_hi:[1,0,0]
	v_mov_b32_e32 v95, v15
	v_pk_add_f32 v[4:5], v[4:5], v[92:93]
	v_mov_b32_e32 v97, v99
	v_pk_add_f32 v[4:5], v[4:5], v[94:95]
	v_pk_add_f32 v[4:5], v[4:5], v[96:97]
	s_waitcnt vmcnt(0)
	v_pk_add_f32 v[4:5], v[100:101], v[4:5] neg_lo:[0,1] neg_hi:[0,1]
	buffer_store_dword v4, off, s[0:3], 0 offset:216
	buffer_store_dword v5, off, s[0:3], 0 offset:220
	s_and_saveexec_b64 s[4:5], vcc
	s_cbranch_execz .LBB98_171
; %bb.170:
	buffer_load_dword v4, off, s[0:3], 0 offset:208
	buffer_load_dword v5, off, s[0:3], 0 offset:212
	s_waitcnt vmcnt(0)
	ds_write_b64 v1, v[4:5]
	buffer_store_dword v2, off, s[0:3], 0 offset:208
	buffer_store_dword v2, off, s[0:3], 0 offset:212
.LBB98_171:
	s_or_b64 exec, exec, s[4:5]
	s_waitcnt lgkmcnt(0)
	; wave barrier
	s_waitcnt lgkmcnt(0)
	buffer_load_dword v21, off, s[0:3], 0 offset:220
	buffer_load_dword v93, off, s[0:3], 0 offset:228
	;; [unrolled: 1-line block ×18, first 2 shown]
	ds_read2_b64 v[4:7], v2 offset0:63 offset1:64
	ds_read2_b64 v[8:11], v2 offset0:65 offset1:66
	;; [unrolled: 1-line block ×4, first 2 shown]
	v_cmp_lt_u32_e32 vcc, 25, v0
	s_waitcnt vmcnt(17)
	v_mov_b32_e32 v2, v21
	s_waitcnt vmcnt(16)
	v_mov_b32_e32 v108, v93
	s_waitcnt lgkmcnt(3)
	v_pk_mul_f32 v[2:3], v[4:5], v[2:3] op_sel_hi:[1,0]
	s_waitcnt vmcnt(15)
	v_mov_b32_e32 v110, v95
	v_pk_mul_f32 v[108:109], v[6:7], v[108:109] op_sel_hi:[1,0]
	s_waitcnt vmcnt(14)
	v_mov_b32_e32 v112, v97
	s_waitcnt lgkmcnt(2)
	v_pk_mul_f32 v[110:111], v[8:9], v[110:111] op_sel_hi:[1,0]
	s_waitcnt vmcnt(13)
	v_mov_b32_e32 v114, v99
	s_waitcnt vmcnt(9)
	v_pk_fma_f32 v[122:123], v[4:5], v[20:21], v[2:3] op_sel:[0,0,1] op_sel_hi:[1,1,0] neg_lo:[0,0,1] neg_hi:[0,0,1]
	v_pk_fma_f32 v[2:3], v[4:5], v[20:21], v[2:3] op_sel:[0,0,1] op_sel_hi:[1,0,0]
	s_waitcnt vmcnt(8)
	v_pk_fma_f32 v[4:5], v[6:7], v[92:93], v[108:109] op_sel:[0,0,1] op_sel_hi:[1,1,0] neg_lo:[0,0,1] neg_hi:[0,0,1]
	v_pk_fma_f32 v[6:7], v[6:7], v[92:93], v[108:109] op_sel:[0,0,1] op_sel_hi:[1,0,0]
	v_mov_b32_e32 v123, v3
	v_pk_mul_f32 v[112:113], v[10:11], v[112:113] op_sel_hi:[1,0]
	s_waitcnt vmcnt(7)
	v_pk_fma_f32 v[20:21], v[8:9], v[94:95], v[110:111] op_sel:[0,0,1] op_sel_hi:[1,1,0] neg_lo:[0,0,1] neg_hi:[0,0,1]
	v_pk_fma_f32 v[8:9], v[8:9], v[94:95], v[110:111] op_sel:[0,0,1] op_sel_hi:[1,0,0]
	v_mov_b32_e32 v5, v7
	v_pk_add_f32 v[2:3], v[122:123], 0 op_sel_hi:[1,0]
	v_mov_b32_e32 v116, v101
	s_waitcnt lgkmcnt(1)
	v_pk_mul_f32 v[114:115], v[12:13], v[114:115] op_sel_hi:[1,0]
	s_waitcnt vmcnt(6)
	v_pk_fma_f32 v[92:93], v[10:11], v[96:97], v[112:113] op_sel:[0,0,1] op_sel_hi:[1,1,0] neg_lo:[0,0,1] neg_hi:[0,0,1]
	v_pk_fma_f32 v[10:11], v[10:11], v[96:97], v[112:113] op_sel:[0,0,1] op_sel_hi:[1,0,0]
	v_mov_b32_e32 v21, v9
	v_pk_add_f32 v[2:3], v[2:3], v[4:5]
	v_mov_b32_e32 v118, v103
	v_pk_mul_f32 v[116:117], v[14:15], v[116:117] op_sel_hi:[1,0]
	s_waitcnt vmcnt(5)
	v_pk_fma_f32 v[94:95], v[12:13], v[98:99], v[114:115] op_sel:[0,0,1] op_sel_hi:[1,1,0] neg_lo:[0,0,1] neg_hi:[0,0,1]
	v_pk_fma_f32 v[12:13], v[12:13], v[98:99], v[114:115] op_sel:[0,0,1] op_sel_hi:[1,0,0]
	v_mov_b32_e32 v93, v11
	v_pk_add_f32 v[2:3], v[2:3], v[20:21]
	v_mov_b32_e32 v120, v105
	s_waitcnt lgkmcnt(0)
	v_pk_mul_f32 v[118:119], v[16:17], v[118:119] op_sel_hi:[1,0]
	s_waitcnt vmcnt(4)
	v_pk_fma_f32 v[96:97], v[14:15], v[100:101], v[116:117] op_sel:[0,0,1] op_sel_hi:[1,1,0] neg_lo:[0,0,1] neg_hi:[0,0,1]
	v_pk_fma_f32 v[14:15], v[14:15], v[100:101], v[116:117] op_sel:[0,0,1] op_sel_hi:[1,0,0]
	v_mov_b32_e32 v95, v13
	v_pk_add_f32 v[2:3], v[2:3], v[92:93]
	v_pk_mul_f32 v[120:121], v[18:19], v[120:121] op_sel_hi:[1,0]
	s_waitcnt vmcnt(3)
	v_pk_fma_f32 v[98:99], v[16:17], v[102:103], v[118:119] op_sel:[0,0,1] op_sel_hi:[1,1,0] neg_lo:[0,0,1] neg_hi:[0,0,1]
	v_pk_fma_f32 v[16:17], v[16:17], v[102:103], v[118:119] op_sel:[0,0,1] op_sel_hi:[1,0,0]
	v_mov_b32_e32 v97, v15
	v_pk_add_f32 v[2:3], v[2:3], v[94:95]
	s_waitcnt vmcnt(2)
	v_pk_fma_f32 v[100:101], v[18:19], v[104:105], v[120:121] op_sel:[0,0,1] op_sel_hi:[1,1,0] neg_lo:[0,0,1] neg_hi:[0,0,1]
	v_pk_fma_f32 v[18:19], v[18:19], v[104:105], v[120:121] op_sel:[0,0,1] op_sel_hi:[1,0,0]
	v_mov_b32_e32 v99, v17
	v_pk_add_f32 v[2:3], v[2:3], v[96:97]
	v_mov_b32_e32 v101, v19
	v_pk_add_f32 v[2:3], v[2:3], v[98:99]
	v_pk_add_f32 v[2:3], v[2:3], v[100:101]
	s_waitcnt vmcnt(0)
	v_pk_add_f32 v[2:3], v[106:107], v[2:3] neg_lo:[0,1] neg_hi:[0,1]
	buffer_store_dword v2, off, s[0:3], 0 offset:208
	buffer_store_dword v3, off, s[0:3], 0 offset:212
	s_and_saveexec_b64 s[4:5], vcc
	s_cbranch_execz .LBB98_173
; %bb.172:
	buffer_load_dword v2, off, s[0:3], 0 offset:200
	buffer_load_dword v3, off, s[0:3], 0 offset:204
	v_mov_b32_e32 v4, 0
	buffer_store_dword v4, off, s[0:3], 0 offset:200
	buffer_store_dword v4, off, s[0:3], 0 offset:204
	s_waitcnt vmcnt(2)
	ds_write_b64 v1, v[2:3]
.LBB98_173:
	s_or_b64 exec, exec, s[4:5]
	s_waitcnt lgkmcnt(0)
	; wave barrier
	s_waitcnt lgkmcnt(0)
	buffer_load_dword v3, off, s[0:3], 0 offset:212
	buffer_load_dword v21, off, s[0:3], 0 offset:220
	;; [unrolled: 1-line block ×20, first 2 shown]
	v_mov_b32_e32 v2, 0
	ds_read_b128 v[4:7], v2 offset:496
	ds_read_b128 v[8:11], v2 offset:512
	;; [unrolled: 1-line block ×4, first 2 shown]
	ds_read_b64 v[108:109], v2 offset:560
	v_cmp_lt_u32_e32 vcc, 24, v0
	s_waitcnt vmcnt(19) lgkmcnt(4)
	v_mul_f32_e32 v111, v4, v3
	v_mul_f32_e32 v3, v5, v3
	s_waitcnt vmcnt(18)
	v_mov_b32_e32 v112, v21
	s_waitcnt vmcnt(17)
	v_mov_b32_e32 v114, v93
	;; [unrolled: 2-line block ×8, first 2 shown]
	s_waitcnt vmcnt(10)
	v_fmac_f32_e32 v111, v5, v110
	v_fma_f32 v110, v4, v110, -v3
	v_pk_mul_f32 v[4:5], v[6:7], v[112:113] op_sel_hi:[1,0]
	s_waitcnt lgkmcnt(3)
	v_pk_mul_f32 v[112:113], v[8:9], v[114:115] op_sel_hi:[1,0]
	v_pk_mul_f32 v[114:115], v[10:11], v[116:117] op_sel_hi:[1,0]
	s_waitcnt lgkmcnt(2)
	v_pk_mul_f32 v[116:117], v[12:13], v[118:119] op_sel_hi:[1,0]
	;; [unrolled: 3-line block ×4, first 2 shown]
	s_waitcnt vmcnt(9)
	v_pk_fma_f32 v[126:127], v[6:7], v[20:21], v[4:5] op_sel:[0,0,1] op_sel_hi:[1,1,0] neg_lo:[0,0,1] neg_hi:[0,0,1]
	v_pk_fma_f32 v[4:5], v[6:7], v[20:21], v[4:5] op_sel:[0,0,1] op_sel_hi:[1,0,0]
	v_pk_add_f32 v[110:111], v[110:111], 0 op_sel_hi:[1,0]
	s_waitcnt vmcnt(8)
	v_pk_fma_f32 v[6:7], v[8:9], v[92:93], v[112:113] op_sel:[0,0,1] op_sel_hi:[1,1,0] neg_lo:[0,0,1] neg_hi:[0,0,1]
	v_pk_fma_f32 v[8:9], v[8:9], v[92:93], v[112:113] op_sel:[0,0,1] op_sel_hi:[1,0,0]
	v_mov_b32_e32 v127, v5
	s_waitcnt vmcnt(7)
	v_pk_fma_f32 v[20:21], v[10:11], v[94:95], v[114:115] op_sel:[0,0,1] op_sel_hi:[1,1,0] neg_lo:[0,0,1] neg_hi:[0,0,1]
	v_pk_fma_f32 v[10:11], v[10:11], v[94:95], v[114:115] op_sel:[0,0,1] op_sel_hi:[1,0,0]
	v_mov_b32_e32 v7, v9
	v_pk_add_f32 v[4:5], v[110:111], v[126:127]
	s_waitcnt vmcnt(6)
	v_pk_fma_f32 v[92:93], v[12:13], v[96:97], v[116:117] op_sel:[0,0,1] op_sel_hi:[1,1,0] neg_lo:[0,0,1] neg_hi:[0,0,1]
	v_pk_fma_f32 v[12:13], v[12:13], v[96:97], v[116:117] op_sel:[0,0,1] op_sel_hi:[1,0,0]
	v_mov_b32_e32 v21, v11
	v_pk_add_f32 v[4:5], v[4:5], v[6:7]
	;; [unrolled: 5-line block ×5, first 2 shown]
	v_pk_fma_f32 v[100:101], v[108:109], v[104:105], v[124:125] op_sel:[0,0,1] op_sel_hi:[1,1,0] neg_lo:[0,0,1] neg_hi:[0,0,1]
	v_pk_fma_f32 v[102:103], v[108:109], v[104:105], v[124:125] op_sel:[0,0,1] op_sel_hi:[1,0,0]
	v_mov_b32_e32 v99, v19
	v_pk_add_f32 v[4:5], v[4:5], v[96:97]
	v_mov_b32_e32 v101, v103
	v_pk_add_f32 v[4:5], v[4:5], v[98:99]
	v_pk_add_f32 v[4:5], v[4:5], v[100:101]
	s_waitcnt vmcnt(0)
	v_pk_add_f32 v[4:5], v[106:107], v[4:5] neg_lo:[0,1] neg_hi:[0,1]
	buffer_store_dword v4, off, s[0:3], 0 offset:200
	buffer_store_dword v5, off, s[0:3], 0 offset:204
	s_and_saveexec_b64 s[4:5], vcc
	s_cbranch_execz .LBB98_175
; %bb.174:
	buffer_load_dword v4, off, s[0:3], 0 offset:192
	buffer_load_dword v5, off, s[0:3], 0 offset:196
	s_waitcnt vmcnt(0)
	ds_write_b64 v1, v[4:5]
	buffer_store_dword v2, off, s[0:3], 0 offset:192
	buffer_store_dword v2, off, s[0:3], 0 offset:196
.LBB98_175:
	s_or_b64 exec, exec, s[4:5]
	s_waitcnt lgkmcnt(0)
	; wave barrier
	s_waitcnt lgkmcnt(0)
	buffer_load_dword v112, off, s[0:3], 0 offset:204
	buffer_load_dword v114, off, s[0:3], 0 offset:212
	buffer_load_dword v21, off, s[0:3], 0 offset:220
	buffer_load_dword v97, off, s[0:3], 0 offset:228
	buffer_load_dword v99, off, s[0:3], 0 offset:236
	buffer_load_dword v101, off, s[0:3], 0 offset:244
	buffer_load_dword v103, off, s[0:3], 0 offset:252
	buffer_load_dword v105, off, s[0:3], 0 offset:260
	buffer_load_dword v107, off, s[0:3], 0 offset:268
	buffer_load_dword v109, off, s[0:3], 0 offset:276
	buffer_load_dword v115, off, s[0:3], 0 offset:200
	buffer_load_dword v117, off, s[0:3], 0 offset:208
	buffer_load_dword v20, off, s[0:3], 0 offset:216
	buffer_load_dword v96, off, s[0:3], 0 offset:224
	buffer_load_dword v98, off, s[0:3], 0 offset:232
	buffer_load_dword v100, off, s[0:3], 0 offset:240
	buffer_load_dword v102, off, s[0:3], 0 offset:248
	buffer_load_dword v108, off, s[0:3], 0 offset:272
	buffer_load_dword v106, off, s[0:3], 0 offset:264
	buffer_load_dword v104, off, s[0:3], 0 offset:256
	buffer_load_dword v110, off, s[0:3], 0 offset:192
	buffer_load_dword v111, off, s[0:3], 0 offset:196
	ds_read2_b64 v[4:7], v2 offset0:61 offset1:62
	ds_read2_b64 v[8:11], v2 offset0:63 offset1:64
	;; [unrolled: 1-line block ×5, first 2 shown]
	v_cmp_lt_u32_e32 vcc, 23, v0
	s_waitcnt vmcnt(21) lgkmcnt(4)
	v_mul_f32_e32 v3, v4, v112
	s_waitcnt vmcnt(20)
	v_mul_f32_e32 v113, v6, v114
	v_mul_f32_e32 v2, v5, v112
	;; [unrolled: 1-line block ×3, first 2 shown]
	s_waitcnt vmcnt(19)
	v_mov_b32_e32 v114, v21
	s_waitcnt vmcnt(18)
	v_mov_b32_e32 v116, v97
	;; [unrolled: 2-line block ×5, first 2 shown]
	v_mov_b32_e32 v120, v101
	s_waitcnt vmcnt(11)
	v_fmac_f32_e32 v3, v5, v115
	v_fma_f32 v2, v4, v115, -v2
	s_waitcnt lgkmcnt(3)
	v_pk_mul_f32 v[4:5], v[8:9], v[114:115] op_sel_hi:[1,0]
	s_waitcnt vmcnt(10)
	v_fmac_f32_e32 v113, v7, v117
	v_fma_f32 v112, v6, v117, -v112
	v_pk_mul_f32 v[6:7], v[10:11], v[116:117] op_sel_hi:[1,0]
	s_waitcnt lgkmcnt(2)
	v_pk_mul_f32 v[114:115], v[12:13], v[118:119] op_sel_hi:[1,0]
	s_waitcnt lgkmcnt(1)
	;; [unrolled: 2-line block ×3, first 2 shown]
	v_pk_mul_f32 v[122:123], v[92:93], v[126:127] op_sel_hi:[1,0]
	v_pk_add_f32 v[2:3], v[2:3], 0 op_sel_hi:[1,0]
	s_waitcnt vmcnt(9)
	v_pk_fma_f32 v[126:127], v[8:9], v[20:21], v[4:5] op_sel:[0,0,1] op_sel_hi:[1,1,0] neg_lo:[0,0,1] neg_hi:[0,0,1]
	v_pk_fma_f32 v[4:5], v[8:9], v[20:21], v[4:5] op_sel:[0,0,1] op_sel_hi:[1,0,0]
	s_waitcnt vmcnt(8)
	v_pk_fma_f32 v[8:9], v[10:11], v[96:97], v[6:7] op_sel:[0,0,1] op_sel_hi:[1,1,0] neg_lo:[0,0,1] neg_hi:[0,0,1]
	v_pk_fma_f32 v[6:7], v[10:11], v[96:97], v[6:7] op_sel:[0,0,1] op_sel_hi:[1,0,0]
	v_pk_add_f32 v[2:3], v[2:3], v[112:113]
	v_mov_b32_e32 v127, v5
	v_pk_mul_f32 v[116:117], v[14:15], v[120:121] op_sel_hi:[1,0]
	s_waitcnt vmcnt(7)
	v_pk_fma_f32 v[10:11], v[12:13], v[98:99], v[114:115] op_sel:[0,0,1] op_sel_hi:[1,1,0] neg_lo:[0,0,1] neg_hi:[0,0,1]
	v_pk_fma_f32 v[12:13], v[12:13], v[98:99], v[114:115] op_sel:[0,0,1] op_sel_hi:[1,0,0]
	v_mov_b32_e32 v9, v7
	v_pk_add_f32 v[2:3], v[2:3], v[126:127]
	v_mov_b32_e32 v124, v105
	s_waitcnt vmcnt(6)
	v_pk_fma_f32 v[20:21], v[14:15], v[100:101], v[116:117] op_sel:[0,0,1] op_sel_hi:[1,1,0] neg_lo:[0,0,1] neg_hi:[0,0,1]
	v_pk_fma_f32 v[14:15], v[14:15], v[100:101], v[116:117] op_sel:[0,0,1] op_sel_hi:[1,0,0]
	v_mov_b32_e32 v11, v13
	v_pk_add_f32 v[2:3], v[2:3], v[8:9]
	v_pk_mul_f32 v[120:121], v[18:19], v[124:125] op_sel_hi:[1,0]
	s_waitcnt vmcnt(5)
	v_pk_fma_f32 v[96:97], v[16:17], v[102:103], v[118:119] op_sel:[0,0,1] op_sel_hi:[1,1,0] neg_lo:[0,0,1] neg_hi:[0,0,1]
	v_pk_fma_f32 v[16:17], v[16:17], v[102:103], v[118:119] op_sel:[0,0,1] op_sel_hi:[1,0,0]
	v_mov_b32_e32 v21, v15
	v_pk_add_f32 v[2:3], v[2:3], v[10:11]
	v_mov_b32_e32 v128, v109
	s_waitcnt vmcnt(2)
	v_pk_fma_f32 v[98:99], v[18:19], v[104:105], v[120:121] op_sel:[0,0,1] op_sel_hi:[1,1,0] neg_lo:[0,0,1] neg_hi:[0,0,1]
	v_pk_fma_f32 v[18:19], v[18:19], v[104:105], v[120:121] op_sel:[0,0,1] op_sel_hi:[1,0,0]
	v_mov_b32_e32 v97, v17
	v_pk_add_f32 v[2:3], v[2:3], v[20:21]
	v_pk_mul_f32 v[124:125], v[94:95], v[128:129] op_sel_hi:[1,0]
	v_pk_fma_f32 v[100:101], v[92:93], v[106:107], v[122:123] op_sel:[0,0,1] op_sel_hi:[1,1,0] neg_lo:[0,0,1] neg_hi:[0,0,1]
	v_pk_fma_f32 v[92:93], v[92:93], v[106:107], v[122:123] op_sel:[0,0,1] op_sel_hi:[1,0,0]
	v_mov_b32_e32 v99, v19
	v_pk_add_f32 v[2:3], v[2:3], v[96:97]
	v_pk_fma_f32 v[102:103], v[94:95], v[108:109], v[124:125] op_sel:[0,0,1] op_sel_hi:[1,1,0] neg_lo:[0,0,1] neg_hi:[0,0,1]
	v_pk_fma_f32 v[94:95], v[94:95], v[108:109], v[124:125] op_sel:[0,0,1] op_sel_hi:[1,0,0]
	v_mov_b32_e32 v101, v93
	v_pk_add_f32 v[2:3], v[2:3], v[98:99]
	v_mov_b32_e32 v103, v95
	v_pk_add_f32 v[2:3], v[2:3], v[100:101]
	v_pk_add_f32 v[2:3], v[2:3], v[102:103]
	s_waitcnt vmcnt(0)
	v_pk_add_f32 v[2:3], v[110:111], v[2:3] neg_lo:[0,1] neg_hi:[0,1]
	buffer_store_dword v2, off, s[0:3], 0 offset:192
	buffer_store_dword v3, off, s[0:3], 0 offset:196
	s_and_saveexec_b64 s[4:5], vcc
	s_cbranch_execz .LBB98_177
; %bb.176:
	buffer_load_dword v2, off, s[0:3], 0 offset:184
	buffer_load_dword v3, off, s[0:3], 0 offset:188
	v_mov_b32_e32 v4, 0
	buffer_store_dword v4, off, s[0:3], 0 offset:184
	buffer_store_dword v4, off, s[0:3], 0 offset:188
	s_waitcnt vmcnt(2)
	ds_write_b64 v1, v[2:3]
.LBB98_177:
	s_or_b64 exec, exec, s[4:5]
	v_mov_b32_e32 v4, 0
	s_waitcnt lgkmcnt(0)
	; wave barrier
	s_waitcnt lgkmcnt(0)
	ds_read_b128 v[6:9], v4 offset:480
	ds_read_b128 v[10:13], v4 offset:496
	;; [unrolled: 1-line block ×4, first 2 shown]
	buffer_load_dword v2, off, s[0:3], 0 offset:184
	buffer_load_dword v3, off, s[0:3], 0 offset:188
	;; [unrolled: 1-line block ×24, first 2 shown]
	v_cmp_lt_u32_e32 vcc, 22, v0
	s_waitcnt vmcnt(20) lgkmcnt(3)
	v_mul_f32_e32 v101, v6, v100
	v_fmac_f32_e32 v101, v7, v5
	v_mul_f32_e32 v7, v7, v100
	v_fma_f32 v5, v6, v5, -v7
	s_waitcnt vmcnt(18)
	v_mul_f32_e32 v103, v8, v104
	v_add_f32_e32 v100, 0, v5
	v_mul_f32_e32 v5, v9, v104
	v_add_f32_e32 v101, 0, v101
	v_fmac_f32_e32 v103, v9, v102
	v_fma_f32 v102, v8, v102, -v5
	s_waitcnt vmcnt(16) lgkmcnt(2)
	v_mul_f32_e32 v105, v10, v115
	v_mul_f32_e32 v5, v11, v115
	v_pk_add_f32 v[100:101], v[100:101], v[102:103]
	s_waitcnt vmcnt(14)
	v_mov_b32_e32 v102, v93
	v_fmac_f32_e32 v105, v11, v114
	v_fma_f32 v104, v10, v114, -v5
	v_pk_mul_f32 v[102:103], v[12:13], v[102:103] op_sel_hi:[1,0]
	v_pk_add_f32 v[100:101], v[100:101], v[104:105]
	v_pk_fma_f32 v[104:105], v[12:13], v[92:93], v[102:103] op_sel:[0,0,1] op_sel_hi:[1,1,0] neg_lo:[0,0,1] neg_hi:[0,0,1]
	v_pk_fma_f32 v[12:13], v[12:13], v[92:93], v[102:103] op_sel:[0,0,1] op_sel_hi:[1,0,0]
	s_waitcnt vmcnt(12)
	v_mov_b32_e32 v92, v95
	v_mov_b32_e32 v105, v13
	s_waitcnt lgkmcnt(1)
	v_pk_mul_f32 v[92:93], v[14:15], v[92:93] op_sel_hi:[1,0]
	v_pk_add_f32 v[12:13], v[100:101], v[104:105]
	v_pk_fma_f32 v[100:101], v[14:15], v[94:95], v[92:93] op_sel:[0,0,1] op_sel_hi:[1,1,0] neg_lo:[0,0,1] neg_hi:[0,0,1]
	v_pk_fma_f32 v[14:15], v[14:15], v[94:95], v[92:93] op_sel:[0,0,1] op_sel_hi:[1,0,0]
	s_waitcnt vmcnt(10)
	v_mov_b32_e32 v14, v97
	v_mov_b32_e32 v101, v15
	v_pk_mul_f32 v[14:15], v[16:17], v[14:15] op_sel_hi:[1,0]
	v_pk_fma_f32 v[92:93], v[16:17], v[96:97], v[14:15] op_sel:[0,0,1] op_sel_hi:[1,1,0] neg_lo:[0,0,1] neg_hi:[0,0,1]
	v_pk_fma_f32 v[14:15], v[16:17], v[96:97], v[14:15] op_sel:[0,0,1] op_sel_hi:[1,0,0]
	s_waitcnt vmcnt(8)
	v_mov_b32_e32 v14, v99
	v_mov_b32_e32 v93, v15
	s_waitcnt lgkmcnt(0)
	v_pk_mul_f32 v[14:15], v[18:19], v[14:15] op_sel_hi:[1,0]
	v_pk_fma_f32 v[16:17], v[18:19], v[98:99], v[14:15] op_sel:[0,0,1] op_sel_hi:[1,1,0] neg_lo:[0,0,1] neg_hi:[0,0,1]
	v_pk_fma_f32 v[14:15], v[18:19], v[98:99], v[14:15] op_sel:[0,0,1] op_sel_hi:[1,0,0]
	ds_read_b128 v[6:9], v4 offset:544
	ds_read_b64 v[10:11], v4 offset:560
	v_pk_add_f32 v[12:13], v[12:13], v[100:101]
	s_waitcnt vmcnt(7)
	v_mov_b32_e32 v14, v107
	v_pk_add_f32 v[12:13], v[12:13], v[92:93]
	v_mov_b32_e32 v17, v15
	v_pk_mul_f32 v[14:15], v[20:21], v[14:15] op_sel_hi:[1,0]
	v_pk_add_f32 v[12:13], v[12:13], v[16:17]
	s_waitcnt vmcnt(6)
	v_pk_fma_f32 v[16:17], v[20:21], v[106:107], v[14:15] op_sel:[0,0,1] op_sel_hi:[1,1,0] neg_lo:[0,0,1] neg_hi:[0,0,1]
	v_pk_fma_f32 v[14:15], v[20:21], v[106:107], v[14:15] op_sel:[0,0,1] op_sel_hi:[1,0,0]
	s_waitcnt vmcnt(5)
	v_mov_b32_e32 v14, v109
	v_mov_b32_e32 v17, v15
	s_waitcnt lgkmcnt(1)
	v_pk_mul_f32 v[14:15], v[6:7], v[14:15] op_sel_hi:[1,0]
	v_pk_add_f32 v[12:13], v[12:13], v[16:17]
	s_waitcnt vmcnt(4)
	v_pk_fma_f32 v[16:17], v[6:7], v[108:109], v[14:15] op_sel:[0,0,1] op_sel_hi:[1,1,0] neg_lo:[0,0,1] neg_hi:[0,0,1]
	v_pk_fma_f32 v[6:7], v[6:7], v[108:109], v[14:15] op_sel:[0,0,1] op_sel_hi:[1,0,0]
	v_mov_b32_e32 v17, v7
	v_pk_add_f32 v[6:7], v[12:13], v[16:17]
	s_waitcnt vmcnt(3)
	v_mov_b32_e32 v12, v111
	v_pk_mul_f32 v[12:13], v[8:9], v[12:13] op_sel_hi:[1,0]
	s_waitcnt vmcnt(2)
	v_pk_fma_f32 v[14:15], v[8:9], v[110:111], v[12:13] op_sel:[0,0,1] op_sel_hi:[1,1,0] neg_lo:[0,0,1] neg_hi:[0,0,1]
	v_pk_fma_f32 v[8:9], v[8:9], v[110:111], v[12:13] op_sel:[0,0,1] op_sel_hi:[1,0,0]
	s_waitcnt vmcnt(1)
	v_mov_b32_e32 v8, v113
	v_mov_b32_e32 v15, v9
	s_waitcnt lgkmcnt(0)
	v_pk_mul_f32 v[8:9], v[10:11], v[8:9] op_sel_hi:[1,0]
	s_waitcnt vmcnt(0)
	v_pk_fma_f32 v[12:13], v[10:11], v[112:113], v[8:9] op_sel:[0,0,1] op_sel_hi:[1,1,0] neg_lo:[0,0,1] neg_hi:[0,0,1]
	v_pk_fma_f32 v[8:9], v[10:11], v[112:113], v[8:9] op_sel:[0,0,1] op_sel_hi:[1,0,0]
	v_pk_add_f32 v[6:7], v[6:7], v[14:15]
	v_mov_b32_e32 v13, v9
	v_pk_add_f32 v[6:7], v[6:7], v[12:13]
	v_pk_add_f32 v[2:3], v[2:3], v[6:7] neg_lo:[0,1] neg_hi:[0,1]
	buffer_store_dword v3, off, s[0:3], 0 offset:188
	buffer_store_dword v2, off, s[0:3], 0 offset:184
	s_and_saveexec_b64 s[4:5], vcc
	s_cbranch_execz .LBB98_179
; %bb.178:
	buffer_load_dword v2, off, s[0:3], 0 offset:176
	buffer_load_dword v3, off, s[0:3], 0 offset:180
	s_waitcnt vmcnt(0)
	ds_write_b64 v1, v[2:3]
	buffer_store_dword v4, off, s[0:3], 0 offset:176
	buffer_store_dword v4, off, s[0:3], 0 offset:180
.LBB98_179:
	s_or_b64 exec, exec, s[4:5]
	s_waitcnt lgkmcnt(0)
	; wave barrier
	s_waitcnt lgkmcnt(0)
	ds_read2_b64 v[6:9], v4 offset0:59 offset1:60
	buffer_load_dword v2, off, s[0:3], 0 offset:176
	buffer_load_dword v3, off, s[0:3], 0 offset:180
	;; [unrolled: 1-line block ×16, first 2 shown]
	v_cmp_lt_u32_e32 vcc, 21, v0
	ds_read2_b64 v[14:17], v4 offset0:63 offset1:64
	s_waitcnt vmcnt(12) lgkmcnt(1)
	v_mul_f32_e32 v10, v6, v18
	v_fmac_f32_e32 v10, v7, v5
	s_waitcnt vmcnt(10)
	v_mul_f32_e32 v11, v8, v20
	v_add_f32_e32 v10, 0, v10
	v_fmac_f32_e32 v11, v9, v19
	v_add_f32_e32 v99, v10, v11
	ds_read2_b64 v[10:13], v4 offset0:61 offset1:62
	buffer_load_dword v105, off, s[0:3], 0 offset:244
	buffer_load_dword v104, off, s[0:3], 0 offset:240
	;; [unrolled: 1-line block ×10, first 2 shown]
	v_mul_f32_e32 v7, v7, v18
	v_fma_f32 v5, v6, v5, -v7
	v_mul_f32_e32 v6, v9, v20
	v_add_f32_e32 v5, 0, v5
	v_fma_f32 v6, v8, v19, -v6
	s_waitcnt vmcnt(18) lgkmcnt(0)
	v_mul_f32_e32 v101, v10, v100
	v_add_f32_e32 v98, v5, v6
	v_mul_f32_e32 v5, v11, v100
	v_fmac_f32_e32 v101, v11, v21
	s_waitcnt vmcnt(16)
	v_mul_f32_e32 v103, v12, v114
	v_fma_f32 v100, v10, v21, -v5
	v_mul_f32_e32 v5, v13, v114
	v_fmac_f32_e32 v103, v13, v102
	v_fma_f32 v102, v12, v102, -v5
	ds_read2_b64 v[6:9], v4 offset0:65 offset1:66
	ds_read2_b64 v[10:13], v4 offset0:67 offset1:68
	;; [unrolled: 1-line block ×3, first 2 shown]
	v_pk_add_f32 v[4:5], v[98:99], v[100:101]
	s_waitcnt vmcnt(14)
	v_mov_b32_e32 v98, v93
	v_pk_mul_f32 v[98:99], v[14:15], v[98:99] op_sel_hi:[1,0]
	v_pk_fma_f32 v[100:101], v[14:15], v[92:93], v[98:99] op_sel:[0,0,1] op_sel_hi:[1,1,0] neg_lo:[0,0,1] neg_hi:[0,0,1]
	v_pk_fma_f32 v[14:15], v[14:15], v[92:93], v[98:99] op_sel:[0,0,1] op_sel_hi:[1,0,0]
	s_waitcnt vmcnt(12)
	v_mov_b32_e32 v14, v95
	v_mov_b32_e32 v101, v15
	v_pk_mul_f32 v[14:15], v[16:17], v[14:15] op_sel_hi:[1,0]
	v_pk_fma_f32 v[92:93], v[16:17], v[94:95], v[14:15] op_sel:[0,0,1] op_sel_hi:[1,1,0] neg_lo:[0,0,1] neg_hi:[0,0,1]
	v_pk_fma_f32 v[14:15], v[16:17], v[94:95], v[14:15] op_sel:[0,0,1] op_sel_hi:[1,0,0]
	s_waitcnt vmcnt(10)
	v_mov_b32_e32 v14, v97
	v_mov_b32_e32 v93, v15
	s_waitcnt lgkmcnt(2)
	v_pk_mul_f32 v[14:15], v[6:7], v[14:15] op_sel_hi:[1,0]
	v_pk_fma_f32 v[16:17], v[6:7], v[96:97], v[14:15] op_sel:[0,0,1] op_sel_hi:[1,1,0] neg_lo:[0,0,1] neg_hi:[0,0,1]
	v_pk_fma_f32 v[6:7], v[6:7], v[96:97], v[14:15] op_sel:[0,0,1] op_sel_hi:[1,0,0]
	v_mov_b32_e32 v17, v7
	v_pk_add_f32 v[4:5], v[4:5], v[102:103]
	v_pk_add_f32 v[4:5], v[4:5], v[100:101]
	;; [unrolled: 1-line block ×4, first 2 shown]
	s_waitcnt vmcnt(9)
	v_mov_b32_e32 v6, v105
	v_pk_mul_f32 v[6:7], v[8:9], v[6:7] op_sel_hi:[1,0]
	s_waitcnt vmcnt(8)
	v_pk_fma_f32 v[14:15], v[8:9], v[104:105], v[6:7] op_sel:[0,0,1] op_sel_hi:[1,1,0] neg_lo:[0,0,1] neg_hi:[0,0,1]
	v_pk_fma_f32 v[6:7], v[8:9], v[104:105], v[6:7] op_sel:[0,0,1] op_sel_hi:[1,0,0]
	s_waitcnt vmcnt(7)
	v_mov_b32_e32 v6, v107
	v_mov_b32_e32 v15, v7
	s_waitcnt lgkmcnt(1)
	v_pk_mul_f32 v[6:7], v[10:11], v[6:7] op_sel_hi:[1,0]
	s_waitcnt vmcnt(6)
	v_pk_fma_f32 v[8:9], v[10:11], v[106:107], v[6:7] op_sel:[0,0,1] op_sel_hi:[1,1,0] neg_lo:[0,0,1] neg_hi:[0,0,1]
	v_pk_fma_f32 v[6:7], v[10:11], v[106:107], v[6:7] op_sel:[0,0,1] op_sel_hi:[1,0,0]
	s_waitcnt vmcnt(5)
	v_mov_b32_e32 v6, v109
	v_pk_add_f32 v[4:5], v[4:5], v[14:15]
	v_mov_b32_e32 v9, v7
	v_pk_mul_f32 v[6:7], v[12:13], v[6:7] op_sel_hi:[1,0]
	v_pk_add_f32 v[4:5], v[4:5], v[8:9]
	s_waitcnt vmcnt(4)
	v_pk_fma_f32 v[8:9], v[12:13], v[108:109], v[6:7] op_sel:[0,0,1] op_sel_hi:[1,1,0] neg_lo:[0,0,1] neg_hi:[0,0,1]
	v_pk_fma_f32 v[6:7], v[12:13], v[108:109], v[6:7] op_sel:[0,0,1] op_sel_hi:[1,0,0]
	s_waitcnt vmcnt(3)
	v_mov_b32_e32 v6, v111
	v_mov_b32_e32 v9, v7
	s_waitcnt lgkmcnt(0)
	v_pk_mul_f32 v[6:7], v[18:19], v[6:7] op_sel_hi:[1,0]
	v_pk_add_f32 v[4:5], v[4:5], v[8:9]
	s_waitcnt vmcnt(2)
	v_pk_fma_f32 v[8:9], v[18:19], v[110:111], v[6:7] op_sel:[0,0,1] op_sel_hi:[1,1,0] neg_lo:[0,0,1] neg_hi:[0,0,1]
	v_pk_fma_f32 v[6:7], v[18:19], v[110:111], v[6:7] op_sel:[0,0,1] op_sel_hi:[1,0,0]
	s_waitcnt vmcnt(1)
	v_mov_b32_e32 v6, v113
	v_mov_b32_e32 v9, v7
	v_pk_mul_f32 v[6:7], v[20:21], v[6:7] op_sel_hi:[1,0]
	v_pk_add_f32 v[4:5], v[4:5], v[8:9]
	s_waitcnt vmcnt(0)
	v_pk_fma_f32 v[8:9], v[20:21], v[112:113], v[6:7] op_sel:[0,0,1] op_sel_hi:[1,1,0] neg_lo:[0,0,1] neg_hi:[0,0,1]
	v_pk_fma_f32 v[6:7], v[20:21], v[112:113], v[6:7] op_sel:[0,0,1] op_sel_hi:[1,0,0]
	v_mov_b32_e32 v9, v7
	v_pk_add_f32 v[4:5], v[4:5], v[8:9]
	v_pk_add_f32 v[2:3], v[2:3], v[4:5] neg_lo:[0,1] neg_hi:[0,1]
	buffer_store_dword v3, off, s[0:3], 0 offset:180
	buffer_store_dword v2, off, s[0:3], 0 offset:176
	s_and_saveexec_b64 s[4:5], vcc
	s_cbranch_execz .LBB98_181
; %bb.180:
	buffer_load_dword v2, off, s[0:3], 0 offset:168
	buffer_load_dword v3, off, s[0:3], 0 offset:172
	v_mov_b32_e32 v4, 0
	buffer_store_dword v4, off, s[0:3], 0 offset:168
	buffer_store_dword v4, off, s[0:3], 0 offset:172
	s_waitcnt vmcnt(2)
	ds_write_b64 v1, v[2:3]
.LBB98_181:
	s_or_b64 exec, exec, s[4:5]
	v_mov_b32_e32 v4, 0
	s_waitcnt lgkmcnt(0)
	; wave barrier
	s_waitcnt lgkmcnt(0)
	ds_read_b128 v[6:9], v4 offset:464
	ds_read_b128 v[10:13], v4 offset:480
	;; [unrolled: 1-line block ×4, first 2 shown]
	buffer_load_dword v2, off, s[0:3], 0 offset:168
	buffer_load_dword v3, off, s[0:3], 0 offset:172
	;; [unrolled: 1-line block ×28, first 2 shown]
	v_cmp_lt_u32_e32 vcc, 20, v0
	s_waitcnt vmcnt(24) lgkmcnt(3)
	v_mul_f32_e32 v97, v6, v96
	v_fmac_f32_e32 v97, v7, v5
	v_mul_f32_e32 v7, v7, v96
	s_waitcnt vmcnt(22)
	v_mul_f32_e32 v99, v8, v100
	v_fma_f32 v5, v6, v5, -v7
	v_mul_f32_e32 v6, v9, v100
	v_add_f32_e32 v97, 0, v97
	v_fmac_f32_e32 v99, v9, v98
	v_add_f32_e32 v5, 0, v5
	v_fma_f32 v6, v8, v98, -v6
	v_add_f32_e32 v97, v97, v99
	s_waitcnt vmcnt(20) lgkmcnt(2)
	v_mul_f32_e32 v99, v10, v115
	v_add_f32_e32 v5, v5, v6
	v_mul_f32_e32 v6, v11, v115
	v_fmac_f32_e32 v99, v11, v114
	v_fma_f32 v6, v10, v114, -v6
	v_add_f32_e32 v97, v97, v99
	s_waitcnt vmcnt(18)
	v_mul_f32_e32 v99, v12, v117
	v_add_f32_e32 v96, v5, v6
	v_mul_f32_e32 v5, v13, v117
	v_fmac_f32_e32 v99, v13, v116
	v_fma_f32 v98, v12, v116, -v5
	s_waitcnt vmcnt(16) lgkmcnt(1)
	v_mul_f32_e32 v101, v14, v119
	v_mul_f32_e32 v5, v15, v119
	v_pk_add_f32 v[96:97], v[96:97], v[98:99]
	s_waitcnt vmcnt(14)
	v_mov_b32_e32 v98, v93
	v_fmac_f32_e32 v101, v15, v118
	v_fma_f32 v100, v14, v118, -v5
	v_pk_mul_f32 v[98:99], v[16:17], v[98:99] op_sel_hi:[1,0]
	v_pk_add_f32 v[96:97], v[96:97], v[100:101]
	v_pk_fma_f32 v[100:101], v[16:17], v[92:93], v[98:99] op_sel:[0,0,1] op_sel_hi:[1,1,0] neg_lo:[0,0,1] neg_hi:[0,0,1]
	v_pk_fma_f32 v[16:17], v[16:17], v[92:93], v[98:99] op_sel:[0,0,1] op_sel_hi:[1,0,0]
	s_waitcnt vmcnt(12)
	v_mov_b32_e32 v92, v95
	v_mov_b32_e32 v101, v17
	s_waitcnt lgkmcnt(0)
	v_pk_mul_f32 v[92:93], v[18:19], v[92:93] op_sel_hi:[1,0]
	v_pk_add_f32 v[16:17], v[96:97], v[100:101]
	v_pk_fma_f32 v[96:97], v[18:19], v[94:95], v[92:93] op_sel:[0,0,1] op_sel_hi:[1,1,0] neg_lo:[0,0,1] neg_hi:[0,0,1]
	v_pk_fma_f32 v[18:19], v[18:19], v[94:95], v[92:93] op_sel:[0,0,1] op_sel_hi:[1,0,0]
	s_waitcnt vmcnt(11)
	v_mov_b32_e32 v18, v103
	ds_read_b128 v[6:9], v4 offset:528
	ds_read_b128 v[10:13], v4 offset:544
	ds_read_b64 v[14:15], v4 offset:560
	v_mov_b32_e32 v97, v19
	v_pk_mul_f32 v[18:19], v[20:21], v[18:19] op_sel_hi:[1,0]
	s_waitcnt vmcnt(10)
	v_pk_fma_f32 v[92:93], v[20:21], v[102:103], v[18:19] op_sel:[0,0,1] op_sel_hi:[1,1,0] neg_lo:[0,0,1] neg_hi:[0,0,1]
	v_pk_fma_f32 v[18:19], v[20:21], v[102:103], v[18:19] op_sel:[0,0,1] op_sel_hi:[1,0,0]
	s_waitcnt vmcnt(9)
	v_mov_b32_e32 v18, v105
	v_mov_b32_e32 v93, v19
	s_waitcnt lgkmcnt(2)
	v_pk_mul_f32 v[18:19], v[6:7], v[18:19] op_sel_hi:[1,0]
	v_pk_add_f32 v[16:17], v[16:17], v[96:97]
	s_waitcnt vmcnt(8)
	v_pk_fma_f32 v[20:21], v[6:7], v[104:105], v[18:19] op_sel:[0,0,1] op_sel_hi:[1,1,0] neg_lo:[0,0,1] neg_hi:[0,0,1]
	v_pk_fma_f32 v[6:7], v[6:7], v[104:105], v[18:19] op_sel:[0,0,1] op_sel_hi:[1,0,0]
	v_pk_add_f32 v[16:17], v[16:17], v[92:93]
	v_mov_b32_e32 v21, v7
	v_pk_add_f32 v[6:7], v[16:17], v[20:21]
	s_waitcnt vmcnt(7)
	v_mov_b32_e32 v16, v107
	v_pk_mul_f32 v[16:17], v[8:9], v[16:17] op_sel_hi:[1,0]
	s_waitcnt vmcnt(6)
	v_pk_fma_f32 v[18:19], v[8:9], v[106:107], v[16:17] op_sel:[0,0,1] op_sel_hi:[1,1,0] neg_lo:[0,0,1] neg_hi:[0,0,1]
	v_pk_fma_f32 v[8:9], v[8:9], v[106:107], v[16:17] op_sel:[0,0,1] op_sel_hi:[1,0,0]
	s_waitcnt vmcnt(5)
	v_mov_b32_e32 v8, v109
	v_mov_b32_e32 v19, v9
	s_waitcnt lgkmcnt(1)
	v_pk_mul_f32 v[8:9], v[10:11], v[8:9] op_sel_hi:[1,0]
	s_waitcnt vmcnt(4)
	v_pk_fma_f32 v[16:17], v[10:11], v[108:109], v[8:9] op_sel:[0,0,1] op_sel_hi:[1,1,0] neg_lo:[0,0,1] neg_hi:[0,0,1]
	v_pk_fma_f32 v[8:9], v[10:11], v[108:109], v[8:9] op_sel:[0,0,1] op_sel_hi:[1,0,0]
	s_waitcnt vmcnt(3)
	v_mov_b32_e32 v8, v111
	v_mov_b32_e32 v17, v9
	v_pk_mul_f32 v[8:9], v[12:13], v[8:9] op_sel_hi:[1,0]
	s_waitcnt vmcnt(2)
	v_pk_fma_f32 v[10:11], v[12:13], v[110:111], v[8:9] op_sel:[0,0,1] op_sel_hi:[1,1,0] neg_lo:[0,0,1] neg_hi:[0,0,1]
	v_pk_fma_f32 v[8:9], v[12:13], v[110:111], v[8:9] op_sel:[0,0,1] op_sel_hi:[1,0,0]
	v_pk_add_f32 v[6:7], v[6:7], v[18:19]
	s_waitcnt vmcnt(1)
	v_mov_b32_e32 v8, v113
	v_pk_add_f32 v[6:7], v[6:7], v[16:17]
	v_mov_b32_e32 v11, v9
	s_waitcnt lgkmcnt(0)
	v_pk_mul_f32 v[8:9], v[14:15], v[8:9] op_sel_hi:[1,0]
	v_pk_add_f32 v[6:7], v[6:7], v[10:11]
	s_waitcnt vmcnt(0)
	v_pk_fma_f32 v[10:11], v[14:15], v[112:113], v[8:9] op_sel:[0,0,1] op_sel_hi:[1,1,0] neg_lo:[0,0,1] neg_hi:[0,0,1]
	v_pk_fma_f32 v[8:9], v[14:15], v[112:113], v[8:9] op_sel:[0,0,1] op_sel_hi:[1,0,0]
	v_mov_b32_e32 v11, v9
	v_pk_add_f32 v[6:7], v[6:7], v[10:11]
	v_pk_add_f32 v[2:3], v[2:3], v[6:7] neg_lo:[0,1] neg_hi:[0,1]
	buffer_store_dword v3, off, s[0:3], 0 offset:172
	buffer_store_dword v2, off, s[0:3], 0 offset:168
	s_and_saveexec_b64 s[4:5], vcc
	s_cbranch_execz .LBB98_183
; %bb.182:
	buffer_load_dword v2, off, s[0:3], 0 offset:160
	buffer_load_dword v3, off, s[0:3], 0 offset:164
	s_waitcnt vmcnt(0)
	ds_write_b64 v1, v[2:3]
	buffer_store_dword v4, off, s[0:3], 0 offset:160
	buffer_store_dword v4, off, s[0:3], 0 offset:164
.LBB98_183:
	s_or_b64 exec, exec, s[4:5]
	s_waitcnt lgkmcnt(0)
	; wave barrier
	s_waitcnt lgkmcnt(0)
	ds_read2_b64 v[6:9], v4 offset0:57 offset1:58
	buffer_load_dword v2, off, s[0:3], 0 offset:160
	buffer_load_dword v3, off, s[0:3], 0 offset:164
	;; [unrolled: 1-line block ×16, first 2 shown]
	v_cmp_lt_u32_e32 vcc, 19, v0
	ds_read2_b64 v[18:21], v4 offset0:63 offset1:64
	s_waitcnt vmcnt(12) lgkmcnt(1)
	v_mul_f32_e32 v10, v6, v94
	v_fmac_f32_e32 v10, v7, v5
	s_waitcnt vmcnt(10)
	v_mul_f32_e32 v11, v8, v98
	v_add_f32_e32 v10, 0, v10
	v_fmac_f32_e32 v11, v9, v96
	v_add_f32_e32 v14, v10, v11
	ds_read2_b64 v[10:13], v4 offset0:59 offset1:60
	v_mul_f32_e32 v7, v7, v94
	v_fma_f32 v5, v6, v5, -v7
	v_mul_f32_e32 v6, v9, v98
	v_add_f32_e32 v5, 0, v5
	s_waitcnt vmcnt(8) lgkmcnt(0)
	v_mul_f32_e32 v15, v10, v115
	v_fmac_f32_e32 v15, v11, v114
	v_add_f32_e32 v14, v14, v15
	s_waitcnt vmcnt(6)
	v_mul_f32_e32 v15, v12, v117
	v_fmac_f32_e32 v15, v13, v116
	v_add_f32_e32 v95, v14, v15
	ds_read2_b64 v[14:17], v4 offset0:61 offset1:62
	buffer_load_dword v101, off, s[0:3], 0 offset:228
	buffer_load_dword v100, off, s[0:3], 0 offset:224
	;; [unrolled: 1-line block ×14, first 2 shown]
	v_fma_f32 v6, v8, v96, -v6
	v_add_f32_e32 v5, v5, v6
	v_mul_f32_e32 v6, v11, v115
	v_fma_f32 v6, v10, v114, -v6
	v_add_f32_e32 v5, v5, v6
	v_mul_f32_e32 v6, v13, v117
	v_fma_f32 v6, v12, v116, -v6
	s_waitcnt vmcnt(18) lgkmcnt(0)
	v_mul_f32_e32 v97, v14, v119
	v_add_f32_e32 v94, v5, v6
	v_mul_f32_e32 v5, v15, v119
	v_fmac_f32_e32 v97, v15, v118
	s_waitcnt vmcnt(16)
	v_mul_f32_e32 v99, v16, v121
	v_fma_f32 v96, v14, v118, -v5
	v_mul_f32_e32 v5, v17, v121
	v_fmac_f32_e32 v99, v17, v120
	v_fma_f32 v98, v16, v120, -v5
	ds_read2_b64 v[6:9], v4 offset0:65 offset1:66
	ds_read2_b64 v[10:13], v4 offset0:67 offset1:68
	;; [unrolled: 1-line block ×3, first 2 shown]
	v_pk_add_f32 v[4:5], v[94:95], v[96:97]
	s_waitcnt vmcnt(14)
	v_mov_b32_e32 v94, v93
	v_pk_mul_f32 v[94:95], v[18:19], v[94:95] op_sel_hi:[1,0]
	v_pk_fma_f32 v[96:97], v[18:19], v[92:93], v[94:95] op_sel:[0,0,1] op_sel_hi:[1,1,0] neg_lo:[0,0,1] neg_hi:[0,0,1]
	v_pk_fma_f32 v[18:19], v[18:19], v[92:93], v[94:95] op_sel:[0,0,1] op_sel_hi:[1,0,0]
	v_mov_b32_e32 v97, v19
	v_pk_add_f32 v[4:5], v[4:5], v[98:99]
	v_pk_add_f32 v[4:5], v[4:5], v[96:97]
	s_waitcnt vmcnt(13)
	v_mov_b32_e32 v18, v101
	v_pk_mul_f32 v[18:19], v[20:21], v[18:19] op_sel_hi:[1,0]
	s_waitcnt vmcnt(12)
	v_pk_fma_f32 v[92:93], v[20:21], v[100:101], v[18:19] op_sel:[0,0,1] op_sel_hi:[1,1,0] neg_lo:[0,0,1] neg_hi:[0,0,1]
	v_pk_fma_f32 v[18:19], v[20:21], v[100:101], v[18:19] op_sel:[0,0,1] op_sel_hi:[1,0,0]
	s_waitcnt vmcnt(11)
	v_mov_b32_e32 v18, v103
	v_mov_b32_e32 v93, v19
	s_waitcnt lgkmcnt(2)
	v_pk_mul_f32 v[18:19], v[6:7], v[18:19] op_sel_hi:[1,0]
	s_waitcnt vmcnt(10)
	v_pk_fma_f32 v[20:21], v[6:7], v[102:103], v[18:19] op_sel:[0,0,1] op_sel_hi:[1,1,0] neg_lo:[0,0,1] neg_hi:[0,0,1]
	v_pk_fma_f32 v[6:7], v[6:7], v[102:103], v[18:19] op_sel:[0,0,1] op_sel_hi:[1,0,0]
	s_waitcnt vmcnt(9)
	v_mov_b32_e32 v6, v105
	v_mov_b32_e32 v21, v7
	v_pk_mul_f32 v[6:7], v[8:9], v[6:7] op_sel_hi:[1,0]
	s_waitcnt vmcnt(8)
	v_pk_fma_f32 v[18:19], v[8:9], v[104:105], v[6:7] op_sel:[0,0,1] op_sel_hi:[1,1,0] neg_lo:[0,0,1] neg_hi:[0,0,1]
	v_pk_fma_f32 v[6:7], v[8:9], v[104:105], v[6:7] op_sel:[0,0,1] op_sel_hi:[1,0,0]
	s_waitcnt vmcnt(7)
	v_mov_b32_e32 v6, v107
	v_mov_b32_e32 v19, v7
	s_waitcnt lgkmcnt(1)
	v_pk_mul_f32 v[6:7], v[10:11], v[6:7] op_sel_hi:[1,0]
	v_pk_add_f32 v[4:5], v[4:5], v[92:93]
	s_waitcnt vmcnt(6)
	v_pk_fma_f32 v[8:9], v[10:11], v[106:107], v[6:7] op_sel:[0,0,1] op_sel_hi:[1,1,0] neg_lo:[0,0,1] neg_hi:[0,0,1]
	v_pk_fma_f32 v[6:7], v[10:11], v[106:107], v[6:7] op_sel:[0,0,1] op_sel_hi:[1,0,0]
	v_pk_add_f32 v[4:5], v[4:5], v[20:21]
	s_waitcnt vmcnt(5)
	v_mov_b32_e32 v6, v109
	v_pk_add_f32 v[4:5], v[4:5], v[18:19]
	v_mov_b32_e32 v9, v7
	v_pk_mul_f32 v[6:7], v[12:13], v[6:7] op_sel_hi:[1,0]
	v_pk_add_f32 v[4:5], v[4:5], v[8:9]
	s_waitcnt vmcnt(4)
	v_pk_fma_f32 v[8:9], v[12:13], v[108:109], v[6:7] op_sel:[0,0,1] op_sel_hi:[1,1,0] neg_lo:[0,0,1] neg_hi:[0,0,1]
	v_pk_fma_f32 v[6:7], v[12:13], v[108:109], v[6:7] op_sel:[0,0,1] op_sel_hi:[1,0,0]
	s_waitcnt vmcnt(3)
	v_mov_b32_e32 v6, v111
	v_mov_b32_e32 v9, v7
	s_waitcnt lgkmcnt(0)
	v_pk_mul_f32 v[6:7], v[14:15], v[6:7] op_sel_hi:[1,0]
	v_pk_add_f32 v[4:5], v[4:5], v[8:9]
	s_waitcnt vmcnt(2)
	v_pk_fma_f32 v[8:9], v[14:15], v[110:111], v[6:7] op_sel:[0,0,1] op_sel_hi:[1,1,0] neg_lo:[0,0,1] neg_hi:[0,0,1]
	v_pk_fma_f32 v[6:7], v[14:15], v[110:111], v[6:7] op_sel:[0,0,1] op_sel_hi:[1,0,0]
	s_waitcnt vmcnt(1)
	v_mov_b32_e32 v6, v113
	v_mov_b32_e32 v9, v7
	v_pk_mul_f32 v[6:7], v[16:17], v[6:7] op_sel_hi:[1,0]
	v_pk_add_f32 v[4:5], v[4:5], v[8:9]
	s_waitcnt vmcnt(0)
	v_pk_fma_f32 v[8:9], v[16:17], v[112:113], v[6:7] op_sel:[0,0,1] op_sel_hi:[1,1,0] neg_lo:[0,0,1] neg_hi:[0,0,1]
	v_pk_fma_f32 v[6:7], v[16:17], v[112:113], v[6:7] op_sel:[0,0,1] op_sel_hi:[1,0,0]
	v_mov_b32_e32 v9, v7
	v_pk_add_f32 v[4:5], v[4:5], v[8:9]
	v_pk_add_f32 v[2:3], v[2:3], v[4:5] neg_lo:[0,1] neg_hi:[0,1]
	buffer_store_dword v3, off, s[0:3], 0 offset:164
	buffer_store_dword v2, off, s[0:3], 0 offset:160
	s_and_saveexec_b64 s[4:5], vcc
	s_cbranch_execz .LBB98_185
; %bb.184:
	buffer_load_dword v2, off, s[0:3], 0 offset:152
	buffer_load_dword v3, off, s[0:3], 0 offset:156
	v_mov_b32_e32 v4, 0
	buffer_store_dword v4, off, s[0:3], 0 offset:152
	buffer_store_dword v4, off, s[0:3], 0 offset:156
	s_waitcnt vmcnt(2)
	ds_write_b64 v1, v[2:3]
.LBB98_185:
	s_or_b64 exec, exec, s[4:5]
	v_mov_b32_e32 v4, 0
	s_waitcnt lgkmcnt(0)
	; wave barrier
	s_waitcnt lgkmcnt(0)
	ds_read_b128 v[6:9], v4 offset:448
	ds_read_b128 v[10:13], v4 offset:464
	;; [unrolled: 1-line block ×4, first 2 shown]
	buffer_load_dword v2, off, s[0:3], 0 offset:152
	buffer_load_dword v3, off, s[0:3], 0 offset:156
	;; [unrolled: 1-line block ×32, first 2 shown]
	v_cmp_lt_u32_e32 vcc, 18, v0
	s_waitcnt vmcnt(28) lgkmcnt(3)
	v_mul_f32_e32 v93, v6, v92
	v_fmac_f32_e32 v93, v7, v5
	v_mul_f32_e32 v7, v7, v92
	s_waitcnt vmcnt(26)
	v_mul_f32_e32 v95, v8, v96
	v_fma_f32 v5, v6, v5, -v7
	v_mul_f32_e32 v6, v9, v96
	v_add_f32_e32 v93, 0, v93
	v_fmac_f32_e32 v95, v9, v94
	v_add_f32_e32 v5, 0, v5
	v_fma_f32 v6, v8, v94, -v6
	v_add_f32_e32 v93, v93, v95
	s_waitcnt vmcnt(24) lgkmcnt(2)
	v_mul_f32_e32 v95, v10, v115
	v_add_f32_e32 v5, v5, v6
	v_mul_f32_e32 v6, v11, v115
	v_fmac_f32_e32 v95, v11, v114
	v_fma_f32 v6, v10, v114, -v6
	v_add_f32_e32 v93, v93, v95
	s_waitcnt vmcnt(22)
	v_mul_f32_e32 v95, v12, v117
	v_add_f32_e32 v5, v5, v6
	v_mul_f32_e32 v6, v13, v117
	v_fmac_f32_e32 v95, v13, v116
	v_fma_f32 v6, v12, v116, -v6
	v_add_f32_e32 v93, v93, v95
	s_waitcnt vmcnt(20) lgkmcnt(1)
	v_mul_f32_e32 v95, v14, v119
	v_add_f32_e32 v5, v5, v6
	v_mul_f32_e32 v6, v15, v119
	v_fmac_f32_e32 v95, v15, v118
	v_fma_f32 v6, v14, v118, -v6
	v_add_f32_e32 v93, v93, v95
	s_waitcnt vmcnt(18)
	v_mul_f32_e32 v95, v16, v121
	v_add_f32_e32 v92, v5, v6
	v_mul_f32_e32 v5, v17, v121
	v_fmac_f32_e32 v95, v17, v120
	v_fma_f32 v94, v16, v120, -v5
	s_waitcnt vmcnt(16) lgkmcnt(0)
	v_mul_f32_e32 v97, v18, v123
	v_mul_f32_e32 v5, v19, v123
	v_pk_add_f32 v[92:93], v[92:93], v[94:95]
	s_waitcnt vmcnt(15)
	v_mov_b32_e32 v94, v99
	v_fmac_f32_e32 v97, v19, v122
	v_fma_f32 v96, v18, v122, -v5
	v_pk_mul_f32 v[94:95], v[20:21], v[94:95] op_sel_hi:[1,0]
	v_pk_add_f32 v[92:93], v[92:93], v[96:97]
	s_waitcnt vmcnt(14)
	v_pk_fma_f32 v[96:97], v[20:21], v[98:99], v[94:95] op_sel:[0,0,1] op_sel_hi:[1,1,0] neg_lo:[0,0,1] neg_hi:[0,0,1]
	v_pk_fma_f32 v[20:21], v[20:21], v[98:99], v[94:95] op_sel:[0,0,1] op_sel_hi:[1,0,0]
	ds_read_b128 v[6:9], v4 offset:512
	ds_read_b128 v[10:13], v4 offset:528
	;; [unrolled: 1-line block ×3, first 2 shown]
	ds_read_b64 v[18:19], v4 offset:560
	v_mov_b32_e32 v97, v21
	v_pk_add_f32 v[20:21], v[92:93], v[96:97]
	s_waitcnt vmcnt(13)
	v_mov_b32_e32 v92, v101
	s_waitcnt lgkmcnt(3)
	v_pk_mul_f32 v[92:93], v[6:7], v[92:93] op_sel_hi:[1,0]
	s_waitcnt vmcnt(12)
	v_pk_fma_f32 v[94:95], v[6:7], v[100:101], v[92:93] op_sel:[0,0,1] op_sel_hi:[1,1,0] neg_lo:[0,0,1] neg_hi:[0,0,1]
	v_pk_fma_f32 v[6:7], v[6:7], v[100:101], v[92:93] op_sel:[0,0,1] op_sel_hi:[1,0,0]
	v_mov_b32_e32 v95, v7
	v_pk_add_f32 v[6:7], v[20:21], v[94:95]
	s_waitcnt vmcnt(11)
	v_mov_b32_e32 v20, v103
	v_pk_mul_f32 v[20:21], v[8:9], v[20:21] op_sel_hi:[1,0]
	s_waitcnt vmcnt(10)
	v_pk_fma_f32 v[92:93], v[8:9], v[102:103], v[20:21] op_sel:[0,0,1] op_sel_hi:[1,1,0] neg_lo:[0,0,1] neg_hi:[0,0,1]
	v_pk_fma_f32 v[8:9], v[8:9], v[102:103], v[20:21] op_sel:[0,0,1] op_sel_hi:[1,0,0]
	s_waitcnt vmcnt(9)
	v_mov_b32_e32 v8, v105
	v_mov_b32_e32 v93, v9
	s_waitcnt lgkmcnt(2)
	v_pk_mul_f32 v[8:9], v[10:11], v[8:9] op_sel_hi:[1,0]
	s_waitcnt vmcnt(8)
	v_pk_fma_f32 v[20:21], v[10:11], v[104:105], v[8:9] op_sel:[0,0,1] op_sel_hi:[1,1,0] neg_lo:[0,0,1] neg_hi:[0,0,1]
	v_pk_fma_f32 v[8:9], v[10:11], v[104:105], v[8:9] op_sel:[0,0,1] op_sel_hi:[1,0,0]
	s_waitcnt vmcnt(7)
	v_mov_b32_e32 v8, v107
	v_mov_b32_e32 v21, v9
	v_pk_mul_f32 v[8:9], v[12:13], v[8:9] op_sel_hi:[1,0]
	s_waitcnt vmcnt(6)
	v_pk_fma_f32 v[10:11], v[12:13], v[106:107], v[8:9] op_sel:[0,0,1] op_sel_hi:[1,1,0] neg_lo:[0,0,1] neg_hi:[0,0,1]
	v_pk_fma_f32 v[8:9], v[12:13], v[106:107], v[8:9] op_sel:[0,0,1] op_sel_hi:[1,0,0]
	v_pk_add_f32 v[6:7], v[6:7], v[92:93]
	s_waitcnt vmcnt(5)
	v_mov_b32_e32 v8, v109
	v_pk_add_f32 v[6:7], v[6:7], v[20:21]
	v_mov_b32_e32 v11, v9
	s_waitcnt lgkmcnt(1)
	v_pk_mul_f32 v[8:9], v[14:15], v[8:9] op_sel_hi:[1,0]
	v_pk_add_f32 v[6:7], v[6:7], v[10:11]
	s_waitcnt vmcnt(4)
	v_pk_fma_f32 v[10:11], v[14:15], v[108:109], v[8:9] op_sel:[0,0,1] op_sel_hi:[1,1,0] neg_lo:[0,0,1] neg_hi:[0,0,1]
	v_pk_fma_f32 v[8:9], v[14:15], v[108:109], v[8:9] op_sel:[0,0,1] op_sel_hi:[1,0,0]
	s_waitcnt vmcnt(3)
	v_mov_b32_e32 v8, v111
	v_mov_b32_e32 v11, v9
	v_pk_mul_f32 v[8:9], v[16:17], v[8:9] op_sel_hi:[1,0]
	v_pk_add_f32 v[6:7], v[6:7], v[10:11]
	s_waitcnt vmcnt(2)
	v_pk_fma_f32 v[10:11], v[16:17], v[110:111], v[8:9] op_sel:[0,0,1] op_sel_hi:[1,1,0] neg_lo:[0,0,1] neg_hi:[0,0,1]
	v_pk_fma_f32 v[8:9], v[16:17], v[110:111], v[8:9] op_sel:[0,0,1] op_sel_hi:[1,0,0]
	s_waitcnt vmcnt(1)
	v_mov_b32_e32 v8, v113
	v_mov_b32_e32 v11, v9
	s_waitcnt lgkmcnt(0)
	v_pk_mul_f32 v[8:9], v[18:19], v[8:9] op_sel_hi:[1,0]
	v_pk_add_f32 v[6:7], v[6:7], v[10:11]
	s_waitcnt vmcnt(0)
	v_pk_fma_f32 v[10:11], v[18:19], v[112:113], v[8:9] op_sel:[0,0,1] op_sel_hi:[1,1,0] neg_lo:[0,0,1] neg_hi:[0,0,1]
	v_pk_fma_f32 v[8:9], v[18:19], v[112:113], v[8:9] op_sel:[0,0,1] op_sel_hi:[1,0,0]
	v_mov_b32_e32 v11, v9
	v_pk_add_f32 v[6:7], v[6:7], v[10:11]
	v_pk_add_f32 v[2:3], v[2:3], v[6:7] neg_lo:[0,1] neg_hi:[0,1]
	buffer_store_dword v3, off, s[0:3], 0 offset:156
	buffer_store_dword v2, off, s[0:3], 0 offset:152
	s_and_saveexec_b64 s[4:5], vcc
	s_cbranch_execz .LBB98_187
; %bb.186:
	buffer_load_dword v2, off, s[0:3], 0 offset:144
	buffer_load_dword v3, off, s[0:3], 0 offset:148
	s_waitcnt vmcnt(0)
	ds_write_b64 v1, v[2:3]
	buffer_store_dword v4, off, s[0:3], 0 offset:144
	buffer_store_dword v4, off, s[0:3], 0 offset:148
.LBB98_187:
	s_or_b64 exec, exec, s[4:5]
	s_waitcnt lgkmcnt(0)
	; wave barrier
	s_waitcnt lgkmcnt(0)
	buffer_load_dword v122, off, s[0:3], 0 offset:156
	buffer_load_dword v124, off, s[0:3], 0 offset:164
	;; [unrolled: 1-line block ×32, first 2 shown]
	ds_read2_b64 v[6:9], v4 offset0:55 offset1:56
	ds_read2_b64 v[10:13], v4 offset0:57 offset1:58
	;; [unrolled: 1-line block ×4, first 2 shown]
	buffer_load_dword v121, off, s[0:3], 0 offset:276
	buffer_load_dword v120, off, s[0:3], 0 offset:272
	ds_read2_b64 v[92:95], v4 offset0:63 offset1:64
	ds_read2_b64 v[96:99], v4 offset0:65 offset1:66
	ds_read2_b64 v[100:103], v4 offset0:67 offset1:68
	ds_read2_b64 v[2:5], v4 offset0:69 offset1:70
	v_cmp_lt_u32_e32 vcc, 17, v0
	s_waitcnt vmcnt(33) lgkmcnt(7)
	v_mul_f32_e32 v140, v6, v122
	v_mul_f32_e32 v122, v7, v122
	s_waitcnt vmcnt(32)
	v_mul_f32_e32 v141, v8, v124
	s_waitcnt vmcnt(30) lgkmcnt(6)
	v_mul_f32_e32 v143, v12, v127
	v_mul_f32_e32 v124, v9, v124
	v_mul_f32_e32 v127, v13, v127
	v_mul_f32_e32 v142, v10, v126
	v_mul_f32_e32 v126, v11, v126
	s_waitcnt vmcnt(25)
	v_fmac_f32_e32 v140, v7, v132
	v_fma_f32 v6, v6, v132, -v122
	s_waitcnt vmcnt(24)
	v_fmac_f32_e32 v141, v9, v133
	v_fma_f32 v7, v8, v133, -v124
	s_waitcnt vmcnt(22)
	v_fma_f32 v9, v12, v135, -v127
	v_add_f32_e32 v12, 0, v140
	v_add_f32_e32 v6, 0, v6
	v_fmac_f32_e32 v142, v11, v134
	v_fma_f32 v8, v10, v134, -v126
	v_add_f32_e32 v12, v12, v141
	v_add_f32_e32 v6, v6, v7
	s_waitcnt lgkmcnt(5)
	v_mul_f32_e32 v144, v14, v128
	v_mul_f32_e32 v128, v15, v128
	v_fmac_f32_e32 v143, v13, v135
	v_add_f32_e32 v7, v12, v142
	v_add_f32_e32 v6, v6, v8
	v_mul_f32_e32 v145, v16, v129
	v_mul_f32_e32 v129, v17, v129
	s_waitcnt vmcnt(21)
	v_fmac_f32_e32 v144, v15, v136
	v_fma_f32 v10, v14, v136, -v128
	v_add_f32_e32 v7, v7, v143
	v_add_f32_e32 v6, v6, v9
	s_waitcnt vmcnt(17)
	v_mov_b32_e32 v8, v105
	s_waitcnt lgkmcnt(4)
	v_mul_f32_e32 v123, v18, v130
	v_mul_f32_e32 v130, v19, v130
	v_fmac_f32_e32 v145, v17, v137
	v_fma_f32 v11, v16, v137, -v129
	v_add_f32_e32 v7, v7, v144
	v_add_f32_e32 v6, v6, v10
	s_waitcnt lgkmcnt(3)
	v_pk_mul_f32 v[8:9], v[92:93], v[8:9] op_sel_hi:[1,0]
	v_mul_f32_e32 v125, v20, v131
	v_mul_f32_e32 v131, v21, v131
	v_fmac_f32_e32 v123, v19, v138
	v_fma_f32 v122, v18, v138, -v130
	v_add_f32_e32 v7, v7, v145
	v_add_f32_e32 v6, v6, v11
	s_waitcnt vmcnt(14)
	v_pk_fma_f32 v[10:11], v[92:93], v[104:105], v[8:9] op_sel:[0,0,1] op_sel_hi:[1,1,0] neg_lo:[0,0,1] neg_hi:[0,0,1]
	v_pk_fma_f32 v[8:9], v[92:93], v[104:105], v[8:9] op_sel:[0,0,1] op_sel_hi:[1,0,0]
	v_fmac_f32_e32 v125, v21, v139
	v_fma_f32 v124, v20, v139, -v131
	v_pk_add_f32 v[6:7], v[6:7], v[122:123]
	s_waitcnt vmcnt(13)
	v_mov_b32_e32 v8, v109
	v_pk_add_f32 v[6:7], v[6:7], v[124:125]
	v_mov_b32_e32 v11, v9
	v_pk_mul_f32 v[8:9], v[94:95], v[8:9] op_sel_hi:[1,0]
	v_pk_add_f32 v[6:7], v[6:7], v[10:11]
	v_pk_fma_f32 v[10:11], v[94:95], v[108:109], v[8:9] op_sel:[0,0,1] op_sel_hi:[1,1,0] neg_lo:[0,0,1] neg_hi:[0,0,1]
	v_pk_fma_f32 v[8:9], v[94:95], v[108:109], v[8:9] op_sel:[0,0,1] op_sel_hi:[1,0,0]
	s_waitcnt vmcnt(12)
	v_mov_b32_e32 v8, v107
	v_mov_b32_e32 v11, v9
	s_waitcnt lgkmcnt(2)
	v_pk_mul_f32 v[8:9], v[96:97], v[8:9] op_sel_hi:[1,0]
	v_pk_add_f32 v[6:7], v[6:7], v[10:11]
	v_pk_fma_f32 v[10:11], v[96:97], v[106:107], v[8:9] op_sel:[0,0,1] op_sel_hi:[1,1,0] neg_lo:[0,0,1] neg_hi:[0,0,1]
	v_pk_fma_f32 v[8:9], v[96:97], v[106:107], v[8:9] op_sel:[0,0,1] op_sel_hi:[1,0,0]
	s_waitcnt vmcnt(11)
	v_mov_b32_e32 v8, v111
	v_mov_b32_e32 v11, v9
	v_pk_mul_f32 v[8:9], v[98:99], v[8:9] op_sel_hi:[1,0]
	v_pk_add_f32 v[6:7], v[6:7], v[10:11]
	s_waitcnt vmcnt(5)
	v_pk_fma_f32 v[10:11], v[98:99], v[110:111], v[8:9] op_sel:[0,0,1] op_sel_hi:[1,1,0] neg_lo:[0,0,1] neg_hi:[0,0,1]
	v_pk_fma_f32 v[8:9], v[98:99], v[110:111], v[8:9] op_sel:[0,0,1] op_sel_hi:[1,0,0]
	v_mov_b32_e32 v8, v117
	v_mov_b32_e32 v11, v9
	s_waitcnt lgkmcnt(1)
	v_pk_mul_f32 v[8:9], v[100:101], v[8:9] op_sel_hi:[1,0]
	v_pk_add_f32 v[6:7], v[6:7], v[10:11]
	v_pk_fma_f32 v[10:11], v[100:101], v[116:117], v[8:9] op_sel:[0,0,1] op_sel_hi:[1,1,0] neg_lo:[0,0,1] neg_hi:[0,0,1]
	v_pk_fma_f32 v[8:9], v[100:101], v[116:117], v[8:9] op_sel:[0,0,1] op_sel_hi:[1,0,0]
	v_mov_b32_e32 v8, v115
	v_mov_b32_e32 v11, v9
	v_pk_mul_f32 v[8:9], v[102:103], v[8:9] op_sel_hi:[1,0]
	v_pk_add_f32 v[6:7], v[6:7], v[10:11]
	v_pk_fma_f32 v[10:11], v[102:103], v[114:115], v[8:9] op_sel:[0,0,1] op_sel_hi:[1,1,0] neg_lo:[0,0,1] neg_hi:[0,0,1]
	v_pk_fma_f32 v[8:9], v[102:103], v[114:115], v[8:9] op_sel:[0,0,1] op_sel_hi:[1,0,0]
	s_waitcnt vmcnt(2)
	v_mov_b32_e32 v8, v113
	v_mov_b32_e32 v11, v9
	s_waitcnt lgkmcnt(0)
	v_pk_mul_f32 v[8:9], v[2:3], v[8:9] op_sel_hi:[1,0]
	v_pk_add_f32 v[6:7], v[6:7], v[10:11]
	v_pk_fma_f32 v[10:11], v[2:3], v[112:113], v[8:9] op_sel:[0,0,1] op_sel_hi:[1,1,0] neg_lo:[0,0,1] neg_hi:[0,0,1]
	v_pk_fma_f32 v[2:3], v[2:3], v[112:113], v[8:9] op_sel:[0,0,1] op_sel_hi:[1,0,0]
	v_mov_b32_e32 v11, v3
	v_pk_add_f32 v[2:3], v[6:7], v[10:11]
	s_waitcnt vmcnt(1)
	v_mov_b32_e32 v6, v121
	v_pk_mul_f32 v[6:7], v[4:5], v[6:7] op_sel_hi:[1,0]
	s_waitcnt vmcnt(0)
	v_pk_fma_f32 v[8:9], v[4:5], v[120:121], v[6:7] op_sel:[0,0,1] op_sel_hi:[1,1,0] neg_lo:[0,0,1] neg_hi:[0,0,1]
	v_pk_fma_f32 v[4:5], v[4:5], v[120:121], v[6:7] op_sel:[0,0,1] op_sel_hi:[1,0,0]
	v_mov_b32_e32 v9, v5
	v_pk_add_f32 v[2:3], v[2:3], v[8:9]
	v_pk_add_f32 v[2:3], v[118:119], v[2:3] neg_lo:[0,1] neg_hi:[0,1]
	buffer_store_dword v3, off, s[0:3], 0 offset:148
	buffer_store_dword v2, off, s[0:3], 0 offset:144
	s_and_saveexec_b64 s[4:5], vcc
	s_cbranch_execz .LBB98_189
; %bb.188:
	buffer_load_dword v2, off, s[0:3], 0 offset:136
	buffer_load_dword v3, off, s[0:3], 0 offset:140
	v_mov_b32_e32 v4, 0
	buffer_store_dword v4, off, s[0:3], 0 offset:136
	buffer_store_dword v4, off, s[0:3], 0 offset:140
	s_waitcnt vmcnt(2)
	ds_write_b64 v1, v[2:3]
.LBB98_189:
	s_or_b64 exec, exec, s[4:5]
	s_waitcnt lgkmcnt(0)
	; wave barrier
	s_waitcnt lgkmcnt(0)
	buffer_load_dword v3, off, s[0:3], 0 offset:148
	buffer_load_dword v116, off, s[0:3], 0 offset:156
	;; [unrolled: 1-line block ×36, first 2 shown]
	v_mov_b32_e32 v2, 0
	ds_read_b128 v[4:7], v2 offset:432
	ds_read_b128 v[8:11], v2 offset:448
	;; [unrolled: 1-line block ×6, first 2 shown]
	v_cmp_lt_u32_e32 vcc, 16, v0
	s_waitcnt vmcnt(35) lgkmcnt(5)
	v_mul_f32_e32 v135, v4, v3
	s_waitcnt vmcnt(34)
	v_mul_f32_e32 v136, v6, v116
	s_waitcnt vmcnt(33) lgkmcnt(4)
	v_mul_f32_e32 v137, v8, v118
	v_mul_f32_e32 v3, v5, v3
	;; [unrolled: 1-line block ×4, first 2 shown]
	s_waitcnt vmcnt(32)
	v_mul_f32_e32 v138, v10, v120
	s_waitcnt vmcnt(31) lgkmcnt(3)
	v_mul_f32_e32 v139, v12, v121
	v_mul_f32_e32 v120, v11, v120
	s_waitcnt vmcnt(26)
	v_fmac_f32_e32 v135, v5, v126
	s_waitcnt vmcnt(25)
	v_fmac_f32_e32 v136, v7, v127
	;; [unrolled: 2-line block ×3, first 2 shown]
	v_fma_f32 v3, v4, v126, -v3
	v_add_f32_e32 v9, 0, v135
	v_fma_f32 v4, v6, v127, -v116
	v_add_f32_e32 v3, 0, v3
	v_add_f32_e32 v9, v9, v136
	s_waitcnt vmcnt(23)
	v_fmac_f32_e32 v138, v11, v129
	v_fma_f32 v5, v8, v128, -v118
	v_add_f32_e32 v3, v3, v4
	v_add_f32_e32 v4, v9, v137
	v_mul_f32_e32 v140, v14, v122
	v_mul_f32_e32 v121, v13, v121
	s_waitcnt vmcnt(22)
	v_fmac_f32_e32 v139, v13, v130
	v_fma_f32 v6, v10, v129, -v120
	v_add_f32_e32 v3, v3, v5
	v_add_f32_e32 v4, v4, v138
	s_waitcnt lgkmcnt(2)
	v_mul_f32_e32 v141, v16, v123
	v_mul_f32_e32 v122, v15, v122
	s_waitcnt vmcnt(21)
	v_fmac_f32_e32 v140, v15, v131
	v_fma_f32 v7, v12, v130, -v121
	v_add_f32_e32 v3, v3, v6
	v_add_f32_e32 v4, v4, v139
	v_mul_f32_e32 v123, v17, v123
	s_waitcnt vmcnt(20)
	v_fmac_f32_e32 v141, v17, v132
	v_fma_f32 v8, v14, v131, -v122
	v_add_f32_e32 v3, v3, v7
	v_add_f32_e32 v4, v4, v140
	;; [unrolled: 1-line block ×4, first 2 shown]
	v_fma_f32 v4, v16, v132, -v123
	s_waitcnt vmcnt(17)
	v_mov_b32_e32 v16, v21
	v_mul_f32_e32 v117, v18, v124
	v_add_f32_e32 v12, v3, v4
	v_mul_f32_e32 v3, v19, v124
	s_waitcnt lgkmcnt(1)
	v_pk_mul_f32 v[16:17], v[94:95], v[16:17] op_sel_hi:[1,0]
	v_mul_f32_e32 v119, v92, v125
	v_fmac_f32_e32 v117, v19, v133
	v_fma_f32 v116, v18, v133, -v3
	v_mul_f32_e32 v3, v93, v125
	s_waitcnt vmcnt(15)
	v_pk_fma_f32 v[18:19], v[94:95], v[20:21], v[16:17] op_sel:[0,0,1] op_sel_hi:[1,1,0] neg_lo:[0,0,1] neg_hi:[0,0,1]
	v_pk_fma_f32 v[16:17], v[94:95], v[20:21], v[16:17] op_sel:[0,0,1] op_sel_hi:[1,0,0]
	v_fmac_f32_e32 v119, v93, v134
	v_fma_f32 v118, v92, v134, -v3
	v_pk_add_f32 v[12:13], v[12:13], v[116:117]
	s_waitcnt vmcnt(12)
	v_mov_b32_e32 v16, v101
	v_pk_add_f32 v[12:13], v[12:13], v[118:119]
	v_mov_b32_e32 v19, v17
	s_waitcnt lgkmcnt(0)
	v_pk_mul_f32 v[16:17], v[96:97], v[16:17] op_sel_hi:[1,0]
	v_pk_add_f32 v[12:13], v[12:13], v[18:19]
	v_pk_fma_f32 v[18:19], v[96:97], v[100:101], v[16:17] op_sel:[0,0,1] op_sel_hi:[1,1,0] neg_lo:[0,0,1] neg_hi:[0,0,1]
	v_pk_fma_f32 v[16:17], v[96:97], v[100:101], v[16:17] op_sel:[0,0,1] op_sel_hi:[1,0,0]
	s_waitcnt vmcnt(11)
	v_mov_b32_e32 v16, v105
	ds_read_b128 v[4:7], v2 offset:528
	ds_read_b128 v[8:11], v2 offset:544
	ds_read_b64 v[14:15], v2 offset:560
	v_mov_b32_e32 v19, v17
	v_pk_mul_f32 v[16:17], v[98:99], v[16:17] op_sel_hi:[1,0]
	v_pk_add_f32 v[12:13], v[12:13], v[18:19]
	s_waitcnt vmcnt(4)
	v_pk_fma_f32 v[18:19], v[98:99], v[104:105], v[16:17] op_sel:[0,0,1] op_sel_hi:[1,1,0] neg_lo:[0,0,1] neg_hi:[0,0,1]
	v_pk_fma_f32 v[16:17], v[98:99], v[104:105], v[16:17] op_sel:[0,0,1] op_sel_hi:[1,0,0]
	v_mov_b32_e32 v16, v111
	v_mov_b32_e32 v19, v17
	s_waitcnt lgkmcnt(2)
	v_pk_mul_f32 v[16:17], v[4:5], v[16:17] op_sel_hi:[1,0]
	v_pk_add_f32 v[12:13], v[12:13], v[18:19]
	v_pk_fma_f32 v[18:19], v[4:5], v[110:111], v[16:17] op_sel:[0,0,1] op_sel_hi:[1,1,0] neg_lo:[0,0,1] neg_hi:[0,0,1]
	v_pk_fma_f32 v[4:5], v[4:5], v[110:111], v[16:17] op_sel:[0,0,1] op_sel_hi:[1,0,0]
	v_mov_b32_e32 v19, v5
	v_pk_add_f32 v[4:5], v[12:13], v[18:19]
	v_mov_b32_e32 v12, v109
	v_pk_mul_f32 v[12:13], v[6:7], v[12:13] op_sel_hi:[1,0]
	v_pk_fma_f32 v[16:17], v[6:7], v[108:109], v[12:13] op_sel:[0,0,1] op_sel_hi:[1,1,0] neg_lo:[0,0,1] neg_hi:[0,0,1]
	v_pk_fma_f32 v[6:7], v[6:7], v[108:109], v[12:13] op_sel:[0,0,1] op_sel_hi:[1,0,0]
	v_mov_b32_e32 v6, v107
	v_mov_b32_e32 v17, v7
	s_waitcnt lgkmcnt(1)
	v_pk_mul_f32 v[6:7], v[8:9], v[6:7] op_sel_hi:[1,0]
	v_pk_fma_f32 v[12:13], v[8:9], v[106:107], v[6:7] op_sel:[0,0,1] op_sel_hi:[1,1,0] neg_lo:[0,0,1] neg_hi:[0,0,1]
	v_pk_fma_f32 v[6:7], v[8:9], v[106:107], v[6:7] op_sel:[0,0,1] op_sel_hi:[1,0,0]
	s_waitcnt vmcnt(1)
	v_mov_b32_e32 v6, v115
	v_mov_b32_e32 v13, v7
	v_pk_mul_f32 v[6:7], v[10:11], v[6:7] op_sel_hi:[1,0]
	s_waitcnt vmcnt(0)
	v_pk_fma_f32 v[8:9], v[10:11], v[114:115], v[6:7] op_sel:[0,0,1] op_sel_hi:[1,1,0] neg_lo:[0,0,1] neg_hi:[0,0,1]
	v_pk_fma_f32 v[6:7], v[10:11], v[114:115], v[6:7] op_sel:[0,0,1] op_sel_hi:[1,0,0]
	v_pk_add_f32 v[4:5], v[4:5], v[16:17]
	v_mov_b32_e32 v6, v113
	v_pk_add_f32 v[4:5], v[4:5], v[12:13]
	v_mov_b32_e32 v9, v7
	s_waitcnt lgkmcnt(0)
	v_pk_mul_f32 v[6:7], v[14:15], v[6:7] op_sel_hi:[1,0]
	v_pk_add_f32 v[4:5], v[4:5], v[8:9]
	v_pk_fma_f32 v[8:9], v[14:15], v[112:113], v[6:7] op_sel:[0,0,1] op_sel_hi:[1,1,0] neg_lo:[0,0,1] neg_hi:[0,0,1]
	v_pk_fma_f32 v[6:7], v[14:15], v[112:113], v[6:7] op_sel:[0,0,1] op_sel_hi:[1,0,0]
	v_mov_b32_e32 v9, v7
	v_pk_add_f32 v[4:5], v[4:5], v[8:9]
	v_pk_add_f32 v[4:5], v[102:103], v[4:5] neg_lo:[0,1] neg_hi:[0,1]
	buffer_store_dword v5, off, s[0:3], 0 offset:140
	buffer_store_dword v4, off, s[0:3], 0 offset:136
	s_and_saveexec_b64 s[4:5], vcc
	s_cbranch_execz .LBB98_191
; %bb.190:
	buffer_load_dword v4, off, s[0:3], 0 offset:128
	buffer_load_dword v5, off, s[0:3], 0 offset:132
	s_waitcnt vmcnt(0)
	ds_write_b64 v1, v[4:5]
	buffer_store_dword v2, off, s[0:3], 0 offset:128
	buffer_store_dword v2, off, s[0:3], 0 offset:132
.LBB98_191:
	s_or_b64 exec, exec, s[4:5]
	s_waitcnt lgkmcnt(0)
	; wave barrier
	s_waitcnt lgkmcnt(0)
	buffer_load_dword v3, off, s[0:3], 0 offset:140
	buffer_load_dword v116, off, s[0:3], 0 offset:148
	;; [unrolled: 1-line block ×22, first 2 shown]
	ds_read2_b64 v[4:7], v2 offset0:53 offset1:54
	ds_read2_b64 v[8:11], v2 offset0:55 offset1:56
	buffer_load_dword v101, off, s[0:3], 0 offset:220
	buffer_load_dword v100, off, s[0:3], 0 offset:216
	;; [unrolled: 1-line block ×10, first 2 shown]
	ds_read2_b64 v[12:15], v2 offset0:57 offset1:58
	ds_read2_b64 v[16:19], v2 offset0:59 offset1:60
	;; [unrolled: 1-line block ×4, first 2 shown]
	buffer_load_dword v111, off, s[0:3], 0 offset:276
	buffer_load_dword v110, off, s[0:3], 0 offset:272
	;; [unrolled: 1-line block ×6, first 2 shown]
	v_cmp_lt_u32_e32 vcc, 15, v0
	s_waitcnt vmcnt(37) lgkmcnt(5)
	v_mul_f32_e32 v137, v4, v3
	s_waitcnt vmcnt(36)
	v_mul_f32_e32 v138, v6, v116
	s_waitcnt vmcnt(35) lgkmcnt(4)
	v_mul_f32_e32 v139, v8, v118
	v_mul_f32_e32 v3, v5, v3
	;; [unrolled: 1-line block ×4, first 2 shown]
	s_waitcnt vmcnt(34)
	v_mul_f32_e32 v140, v10, v120
	s_waitcnt vmcnt(33) lgkmcnt(3)
	v_mul_f32_e32 v141, v12, v121
	s_waitcnt vmcnt(32)
	v_mul_f32_e32 v142, v14, v122
	s_waitcnt vmcnt(31) lgkmcnt(2)
	v_mul_f32_e32 v143, v16, v123
	s_waitcnt vmcnt(27)
	v_fmac_f32_e32 v137, v5, v127
	s_waitcnt vmcnt(26)
	v_fmac_f32_e32 v138, v7, v128
	v_fma_f32 v3, v4, v127, -v3
	s_waitcnt vmcnt(25)
	v_fma_f32 v5, v8, v129, -v118
	v_add_f32_e32 v8, 0, v137
	v_fmac_f32_e32 v139, v9, v129
	v_fma_f32 v4, v6, v128, -v116
	v_add_f32_e32 v3, 0, v3
	v_add_f32_e32 v8, v8, v138
	s_waitcnt vmcnt(24)
	v_fmac_f32_e32 v140, v11, v130
	v_add_f32_e32 v3, v3, v4
	v_add_f32_e32 v4, v8, v139
	s_waitcnt vmcnt(23)
	v_fmac_f32_e32 v141, v13, v131
	v_add_f32_e32 v4, v4, v140
	v_mul_f32_e32 v120, v11, v120
	s_waitcnt vmcnt(22)
	v_fmac_f32_e32 v142, v15, v132
	v_add_f32_e32 v4, v4, v141
	v_mul_f32_e32 v144, v18, v124
	v_mul_f32_e32 v121, v13, v121
	s_waitcnt vmcnt(21)
	v_fmac_f32_e32 v143, v17, v133
	v_fma_f32 v6, v10, v130, -v120
	v_add_f32_e32 v3, v3, v5
	v_add_f32_e32 v4, v4, v142
	v_mul_f32_e32 v122, v15, v122
	s_waitcnt vmcnt(20)
	v_fmac_f32_e32 v144, v19, v134
	v_fma_f32 v7, v12, v131, -v121
	v_add_f32_e32 v3, v3, v6
	v_add_f32_e32 v4, v4, v143
	;; [unrolled: 1-line block ×4, first 2 shown]
	v_fma_f32 v4, v14, v132, -v122
	v_add_f32_e32 v3, v3, v4
	v_mul_f32_e32 v4, v17, v123
	v_fma_f32 v4, v16, v133, -v4
	v_add_f32_e32 v3, v3, v4
	v_mul_f32_e32 v4, v19, v124
	v_fma_f32 v4, v18, v134, -v4
	s_waitcnt vmcnt(15)
	v_mov_b32_e32 v16, v101
	s_waitcnt lgkmcnt(1)
	v_mul_f32_e32 v117, v92, v125
	v_add_f32_e32 v120, v3, v4
	v_mul_f32_e32 v3, v93, v125
	s_waitcnt lgkmcnt(0)
	v_pk_mul_f32 v[16:17], v[96:97], v[16:17] op_sel_hi:[1,0]
	v_mul_f32_e32 v119, v94, v126
	v_fmac_f32_e32 v117, v93, v135
	v_fma_f32 v116, v92, v135, -v3
	v_mul_f32_e32 v3, v95, v126
	s_waitcnt vmcnt(14)
	v_pk_fma_f32 v[18:19], v[96:97], v[100:101], v[16:17] op_sel:[0,0,1] op_sel_hi:[1,1,0] neg_lo:[0,0,1] neg_hi:[0,0,1]
	v_pk_fma_f32 v[16:17], v[96:97], v[100:101], v[16:17] op_sel:[0,0,1] op_sel_hi:[1,0,0]
	v_fmac_f32_e32 v119, v95, v136
	v_fma_f32 v118, v94, v136, -v3
	ds_read2_b64 v[4:7], v2 offset0:65 offset1:66
	ds_read2_b64 v[8:11], v2 offset0:67 offset1:68
	;; [unrolled: 1-line block ×3, first 2 shown]
	v_pk_add_f32 v[2:3], v[120:121], v[116:117]
	s_waitcnt vmcnt(13)
	v_mov_b32_e32 v16, v103
	v_pk_add_f32 v[2:3], v[2:3], v[118:119]
	v_mov_b32_e32 v19, v17
	v_pk_mul_f32 v[16:17], v[98:99], v[16:17] op_sel_hi:[1,0]
	v_pk_add_f32 v[2:3], v[2:3], v[18:19]
	s_waitcnt vmcnt(6)
	v_pk_fma_f32 v[18:19], v[98:99], v[102:103], v[16:17] op_sel:[0,0,1] op_sel_hi:[1,1,0] neg_lo:[0,0,1] neg_hi:[0,0,1]
	v_pk_fma_f32 v[16:17], v[98:99], v[102:103], v[16:17] op_sel:[0,0,1] op_sel_hi:[1,0,0]
	v_mov_b32_e32 v16, v109
	v_mov_b32_e32 v19, v17
	s_waitcnt lgkmcnt(2)
	v_pk_mul_f32 v[16:17], v[4:5], v[16:17] op_sel_hi:[1,0]
	v_pk_add_f32 v[2:3], v[2:3], v[18:19]
	v_pk_fma_f32 v[18:19], v[4:5], v[108:109], v[16:17] op_sel:[0,0,1] op_sel_hi:[1,1,0] neg_lo:[0,0,1] neg_hi:[0,0,1]
	v_pk_fma_f32 v[4:5], v[4:5], v[108:109], v[16:17] op_sel:[0,0,1] op_sel_hi:[1,0,0]
	v_mov_b32_e32 v4, v107
	v_mov_b32_e32 v19, v5
	v_pk_mul_f32 v[4:5], v[6:7], v[4:5] op_sel_hi:[1,0]
	v_pk_fma_f32 v[16:17], v[6:7], v[106:107], v[4:5] op_sel:[0,0,1] op_sel_hi:[1,1,0] neg_lo:[0,0,1] neg_hi:[0,0,1]
	v_pk_fma_f32 v[4:5], v[6:7], v[106:107], v[4:5] op_sel:[0,0,1] op_sel_hi:[1,0,0]
	v_mov_b32_e32 v4, v105
	v_mov_b32_e32 v17, v5
	s_waitcnt lgkmcnt(1)
	v_pk_mul_f32 v[4:5], v[8:9], v[4:5] op_sel_hi:[1,0]
	v_pk_fma_f32 v[6:7], v[8:9], v[104:105], v[4:5] op_sel:[0,0,1] op_sel_hi:[1,1,0] neg_lo:[0,0,1] neg_hi:[0,0,1]
	v_pk_fma_f32 v[4:5], v[8:9], v[104:105], v[4:5] op_sel:[0,0,1] op_sel_hi:[1,0,0]
	v_pk_add_f32 v[2:3], v[2:3], v[18:19]
	s_waitcnt vmcnt(1)
	v_mov_b32_e32 v4, v115
	v_pk_add_f32 v[2:3], v[2:3], v[16:17]
	v_mov_b32_e32 v7, v5
	v_pk_mul_f32 v[4:5], v[10:11], v[4:5] op_sel_hi:[1,0]
	v_pk_add_f32 v[2:3], v[2:3], v[6:7]
	s_waitcnt vmcnt(0)
	v_pk_fma_f32 v[6:7], v[10:11], v[114:115], v[4:5] op_sel:[0,0,1] op_sel_hi:[1,1,0] neg_lo:[0,0,1] neg_hi:[0,0,1]
	v_pk_fma_f32 v[4:5], v[10:11], v[114:115], v[4:5] op_sel:[0,0,1] op_sel_hi:[1,0,0]
	v_mov_b32_e32 v4, v113
	v_mov_b32_e32 v7, v5
	s_waitcnt lgkmcnt(0)
	v_pk_mul_f32 v[4:5], v[12:13], v[4:5] op_sel_hi:[1,0]
	v_pk_add_f32 v[2:3], v[2:3], v[6:7]
	v_pk_fma_f32 v[6:7], v[12:13], v[112:113], v[4:5] op_sel:[0,0,1] op_sel_hi:[1,1,0] neg_lo:[0,0,1] neg_hi:[0,0,1]
	v_pk_fma_f32 v[4:5], v[12:13], v[112:113], v[4:5] op_sel:[0,0,1] op_sel_hi:[1,0,0]
	v_mov_b32_e32 v4, v111
	v_mov_b32_e32 v7, v5
	v_pk_mul_f32 v[4:5], v[14:15], v[4:5] op_sel_hi:[1,0]
	v_pk_add_f32 v[2:3], v[2:3], v[6:7]
	v_pk_fma_f32 v[6:7], v[14:15], v[110:111], v[4:5] op_sel:[0,0,1] op_sel_hi:[1,1,0] neg_lo:[0,0,1] neg_hi:[0,0,1]
	v_pk_fma_f32 v[4:5], v[14:15], v[110:111], v[4:5] op_sel:[0,0,1] op_sel_hi:[1,0,0]
	v_mov_b32_e32 v7, v5
	v_pk_add_f32 v[2:3], v[2:3], v[6:7]
	v_pk_add_f32 v[2:3], v[20:21], v[2:3] neg_lo:[0,1] neg_hi:[0,1]
	buffer_store_dword v3, off, s[0:3], 0 offset:132
	buffer_store_dword v2, off, s[0:3], 0 offset:128
	s_and_saveexec_b64 s[4:5], vcc
	s_cbranch_execz .LBB98_193
; %bb.192:
	buffer_load_dword v2, off, s[0:3], 0 offset:120
	buffer_load_dword v3, off, s[0:3], 0 offset:124
	v_mov_b32_e32 v4, 0
	buffer_store_dword v4, off, s[0:3], 0 offset:120
	buffer_store_dword v4, off, s[0:3], 0 offset:124
	s_waitcnt vmcnt(2)
	ds_write_b64 v1, v[2:3]
.LBB98_193:
	s_or_b64 exec, exec, s[4:5]
	s_waitcnt lgkmcnt(0)
	; wave barrier
	s_waitcnt lgkmcnt(0)
	buffer_load_dword v3, off, s[0:3], 0 offset:132
	buffer_load_dword v116, off, s[0:3], 0 offset:140
	;; [unrolled: 1-line block ×40, first 2 shown]
	v_mov_b32_e32 v2, 0
	ds_read_b128 v[4:7], v2 offset:416
	ds_read_b128 v[8:11], v2 offset:432
	;; [unrolled: 1-line block ×6, first 2 shown]
	v_cmp_lt_u32_e32 vcc, 14, v0
	s_waitcnt vmcnt(39) lgkmcnt(5)
	v_mul_f32_e32 v139, v4, v3
	s_waitcnt vmcnt(38)
	v_mul_f32_e32 v140, v6, v116
	v_mul_f32_e32 v3, v5, v3
	s_waitcnt vmcnt(37) lgkmcnt(4)
	v_mul_f32_e32 v141, v8, v118
	v_mul_f32_e32 v116, v7, v116
	s_waitcnt vmcnt(36)
	v_mul_f32_e32 v142, v10, v120
	s_waitcnt vmcnt(35) lgkmcnt(3)
	v_mul_f32_e32 v143, v12, v122
	s_waitcnt vmcnt(34)
	v_mul_f32_e32 v144, v14, v123
	s_waitcnt vmcnt(33) lgkmcnt(2)
	;; [unrolled: 4-line block ×3, first 2 shown]
	v_mul_f32_e32 v147, v92, v126
	s_waitcnt vmcnt(28)
	v_fmac_f32_e32 v139, v5, v121
	s_waitcnt vmcnt(27)
	v_fmac_f32_e32 v140, v7, v129
	v_fma_f32 v3, v4, v121, -v3
	v_add_f32_e32 v7, 0, v139
	s_waitcnt vmcnt(26)
	v_fmac_f32_e32 v141, v9, v130
	v_fma_f32 v4, v6, v129, -v116
	v_add_f32_e32 v3, 0, v3
	v_add_f32_e32 v7, v7, v140
	s_waitcnt vmcnt(25)
	v_fmac_f32_e32 v142, v11, v131
	v_add_f32_e32 v3, v3, v4
	v_add_f32_e32 v4, v7, v141
	s_waitcnt vmcnt(24)
	v_fmac_f32_e32 v143, v13, v132
	v_add_f32_e32 v4, v4, v142
	s_waitcnt vmcnt(23)
	v_fmac_f32_e32 v144, v15, v133
	;; [unrolled: 3-line block ×3, first 2 shown]
	v_add_f32_e32 v4, v4, v144
	v_mul_f32_e32 v118, v9, v118
	s_waitcnt vmcnt(21)
	v_fmac_f32_e32 v146, v19, v135
	v_add_f32_e32 v4, v4, v145
	v_mul_f32_e32 v120, v11, v120
	s_waitcnt vmcnt(20)
	v_fmac_f32_e32 v147, v93, v136
	v_fma_f32 v5, v8, v130, -v118
	v_add_f32_e32 v4, v4, v146
	v_fma_f32 v6, v10, v131, -v120
	v_add_f32_e32 v3, v3, v5
	v_add_f32_e32 v121, v4, v147
	v_mul_f32_e32 v4, v13, v122
	v_add_f32_e32 v3, v3, v6
	v_fma_f32 v4, v12, v132, -v4
	v_add_f32_e32 v3, v3, v4
	v_mul_f32_e32 v4, v15, v123
	v_fma_f32 v4, v14, v133, -v4
	v_add_f32_e32 v3, v3, v4
	v_mul_f32_e32 v4, v17, v124
	;; [unrolled: 3-line block ×4, first 2 shown]
	v_fma_f32 v4, v92, v136, -v4
	s_waitcnt vmcnt(9)
	v_mov_b32_e32 v92, v107
	v_mul_f32_e32 v117, v94, v127
	v_add_f32_e32 v120, v3, v4
	v_mul_f32_e32 v3, v95, v127
	s_waitcnt lgkmcnt(0)
	v_pk_mul_f32 v[92:93], v[98:99], v[92:93] op_sel_hi:[1,0]
	v_mul_f32_e32 v119, v96, v128
	v_fmac_f32_e32 v117, v95, v137
	v_fma_f32 v116, v94, v137, -v3
	v_mul_f32_e32 v3, v97, v128
	ds_read_b128 v[4:7], v2 offset:512
	ds_read_b128 v[8:11], v2 offset:528
	;; [unrolled: 1-line block ×3, first 2 shown]
	ds_read_b64 v[16:17], v2 offset:560
	s_waitcnt vmcnt(8)
	v_pk_fma_f32 v[94:95], v[98:99], v[106:107], v[92:93] op_sel:[0,0,1] op_sel_hi:[1,1,0] neg_lo:[0,0,1] neg_hi:[0,0,1]
	v_pk_fma_f32 v[92:93], v[98:99], v[106:107], v[92:93] op_sel:[0,0,1] op_sel_hi:[1,0,0]
	v_fmac_f32_e32 v119, v97, v138
	v_fma_f32 v118, v96, v138, -v3
	v_pk_add_f32 v[18:19], v[120:121], v[116:117]
	v_mov_b32_e32 v92, v105
	v_pk_add_f32 v[18:19], v[18:19], v[118:119]
	v_mov_b32_e32 v95, v93
	s_waitcnt lgkmcnt(3)
	v_pk_mul_f32 v[92:93], v[4:5], v[92:93] op_sel_hi:[1,0]
	v_pk_add_f32 v[18:19], v[18:19], v[94:95]
	v_pk_fma_f32 v[94:95], v[4:5], v[104:105], v[92:93] op_sel:[0,0,1] op_sel_hi:[1,1,0] neg_lo:[0,0,1] neg_hi:[0,0,1]
	v_pk_fma_f32 v[4:5], v[4:5], v[104:105], v[92:93] op_sel:[0,0,1] op_sel_hi:[1,0,0]
	v_mov_b32_e32 v95, v5
	v_pk_add_f32 v[4:5], v[18:19], v[94:95]
	v_mov_b32_e32 v18, v103
	v_pk_mul_f32 v[18:19], v[6:7], v[18:19] op_sel_hi:[1,0]
	v_pk_fma_f32 v[92:93], v[6:7], v[102:103], v[18:19] op_sel:[0,0,1] op_sel_hi:[1,1,0] neg_lo:[0,0,1] neg_hi:[0,0,1]
	v_pk_fma_f32 v[6:7], v[6:7], v[102:103], v[18:19] op_sel:[0,0,1] op_sel_hi:[1,0,0]
	v_mov_b32_e32 v6, v101
	v_mov_b32_e32 v93, v7
	s_waitcnt lgkmcnt(2)
	v_pk_mul_f32 v[6:7], v[8:9], v[6:7] op_sel_hi:[1,0]
	v_pk_fma_f32 v[18:19], v[8:9], v[100:101], v[6:7] op_sel:[0,0,1] op_sel_hi:[1,1,0] neg_lo:[0,0,1] neg_hi:[0,0,1]
	v_pk_fma_f32 v[6:7], v[8:9], v[100:101], v[6:7] op_sel:[0,0,1] op_sel_hi:[1,0,0]
	s_waitcnt vmcnt(1)
	v_mov_b32_e32 v6, v115
	v_mov_b32_e32 v19, v7
	v_pk_mul_f32 v[6:7], v[10:11], v[6:7] op_sel_hi:[1,0]
	s_waitcnt vmcnt(0)
	v_pk_fma_f32 v[8:9], v[10:11], v[114:115], v[6:7] op_sel:[0,0,1] op_sel_hi:[1,1,0] neg_lo:[0,0,1] neg_hi:[0,0,1]
	v_pk_fma_f32 v[6:7], v[10:11], v[114:115], v[6:7] op_sel:[0,0,1] op_sel_hi:[1,0,0]
	v_pk_add_f32 v[4:5], v[4:5], v[92:93]
	v_mov_b32_e32 v6, v113
	v_pk_add_f32 v[4:5], v[4:5], v[18:19]
	v_mov_b32_e32 v9, v7
	s_waitcnt lgkmcnt(1)
	v_pk_mul_f32 v[6:7], v[12:13], v[6:7] op_sel_hi:[1,0]
	v_pk_add_f32 v[4:5], v[4:5], v[8:9]
	v_pk_fma_f32 v[8:9], v[12:13], v[112:113], v[6:7] op_sel:[0,0,1] op_sel_hi:[1,1,0] neg_lo:[0,0,1] neg_hi:[0,0,1]
	v_pk_fma_f32 v[6:7], v[12:13], v[112:113], v[6:7] op_sel:[0,0,1] op_sel_hi:[1,0,0]
	v_mov_b32_e32 v6, v111
	v_mov_b32_e32 v9, v7
	v_pk_mul_f32 v[6:7], v[14:15], v[6:7] op_sel_hi:[1,0]
	v_pk_add_f32 v[4:5], v[4:5], v[8:9]
	v_pk_fma_f32 v[8:9], v[14:15], v[110:111], v[6:7] op_sel:[0,0,1] op_sel_hi:[1,1,0] neg_lo:[0,0,1] neg_hi:[0,0,1]
	v_pk_fma_f32 v[6:7], v[14:15], v[110:111], v[6:7] op_sel:[0,0,1] op_sel_hi:[1,0,0]
	v_mov_b32_e32 v6, v109
	v_mov_b32_e32 v9, v7
	s_waitcnt lgkmcnt(0)
	v_pk_mul_f32 v[6:7], v[16:17], v[6:7] op_sel_hi:[1,0]
	v_pk_add_f32 v[4:5], v[4:5], v[8:9]
	v_pk_fma_f32 v[8:9], v[16:17], v[108:109], v[6:7] op_sel:[0,0,1] op_sel_hi:[1,1,0] neg_lo:[0,0,1] neg_hi:[0,0,1]
	v_pk_fma_f32 v[6:7], v[16:17], v[108:109], v[6:7] op_sel:[0,0,1] op_sel_hi:[1,0,0]
	v_mov_b32_e32 v9, v7
	v_pk_add_f32 v[4:5], v[4:5], v[8:9]
	v_pk_add_f32 v[4:5], v[20:21], v[4:5] neg_lo:[0,1] neg_hi:[0,1]
	buffer_store_dword v5, off, s[0:3], 0 offset:124
	buffer_store_dword v4, off, s[0:3], 0 offset:120
	s_and_saveexec_b64 s[4:5], vcc
	s_cbranch_execz .LBB98_195
; %bb.194:
	buffer_load_dword v4, off, s[0:3], 0 offset:112
	buffer_load_dword v5, off, s[0:3], 0 offset:116
	s_waitcnt vmcnt(0)
	ds_write_b64 v1, v[4:5]
	buffer_store_dword v2, off, s[0:3], 0 offset:112
	buffer_store_dword v2, off, s[0:3], 0 offset:116
.LBB98_195:
	s_or_b64 exec, exec, s[4:5]
	s_waitcnt lgkmcnt(0)
	; wave barrier
	s_waitcnt lgkmcnt(0)
	buffer_load_dword v3, off, s[0:3], 0 offset:124
	buffer_load_dword v116, off, s[0:3], 0 offset:132
	;; [unrolled: 1-line block ×26, first 2 shown]
	ds_read2_b64 v[4:7], v2 offset0:51 offset1:52
	ds_read2_b64 v[8:11], v2 offset0:53 offset1:54
	;; [unrolled: 1-line block ×6, first 2 shown]
	buffer_load_dword v101, off, s[0:3], 0 offset:236
	buffer_load_dword v100, off, s[0:3], 0 offset:232
	;; [unrolled: 1-line block ×16, first 2 shown]
	v_cmp_lt_u32_e32 vcc, 13, v0
	s_waitcnt vmcnt(41) lgkmcnt(5)
	v_mul_f32_e32 v141, v4, v3
	s_waitcnt vmcnt(40)
	v_mul_f32_e32 v142, v6, v116
	v_mul_f32_e32 v3, v5, v3
	;; [unrolled: 1-line block ×3, first 2 shown]
	s_waitcnt vmcnt(39) lgkmcnt(4)
	v_mul_f32_e32 v143, v8, v118
	s_waitcnt vmcnt(38)
	v_mul_f32_e32 v144, v10, v120
	s_waitcnt vmcnt(37) lgkmcnt(3)
	v_mul_f32_e32 v145, v12, v122
	s_waitcnt vmcnt(36)
	v_mul_f32_e32 v146, v14, v123
	;; [unrolled: 4-line block ×4, first 2 shown]
	s_waitcnt vmcnt(29)
	v_fmac_f32_e32 v141, v5, v121
	s_waitcnt vmcnt(28)
	v_fmac_f32_e32 v142, v7, v130
	v_fma_f32 v3, v4, v121, -v3
	v_fma_f32 v4, v6, v130, -v116
	v_add_f32_e32 v6, 0, v141
	s_waitcnt vmcnt(27)
	v_fmac_f32_e32 v143, v9, v131
	v_add_f32_e32 v3, 0, v3
	v_add_f32_e32 v6, v6, v142
	s_waitcnt vmcnt(26)
	v_fmac_f32_e32 v144, v11, v132
	v_add_f32_e32 v3, v3, v4
	;; [unrolled: 4-line block ×3, first 2 shown]
	s_waitcnt vmcnt(24)
	v_fmac_f32_e32 v146, v15, v134
	v_add_f32_e32 v4, v4, v145
	s_waitcnt vmcnt(23)
	v_fmac_f32_e32 v147, v17, v135
	v_add_f32_e32 v4, v4, v146
	;; [unrolled: 3-line block ×4, first 2 shown]
	v_mul_f32_e32 v118, v9, v118
	s_waitcnt vmcnt(20)
	v_fmac_f32_e32 v150, v95, v138
	v_add_f32_e32 v4, v4, v149
	v_fma_f32 v5, v8, v131, -v118
	v_add_f32_e32 v121, v4, v150
	v_mul_f32_e32 v4, v11, v120
	v_add_f32_e32 v3, v3, v5
	v_fma_f32 v4, v10, v132, -v4
	v_add_f32_e32 v3, v3, v4
	v_mul_f32_e32 v4, v13, v122
	v_fma_f32 v4, v12, v133, -v4
	v_add_f32_e32 v3, v3, v4
	v_mul_f32_e32 v4, v15, v123
	;; [unrolled: 3-line block ×6, first 2 shown]
	v_fma_f32 v4, v94, v138, -v4
	v_add_f32_e32 v120, v3, v4
	ds_read2_b64 v[4:7], v2 offset0:63 offset1:64
	ds_read2_b64 v[8:11], v2 offset0:65 offset1:66
	;; [unrolled: 1-line block ×4, first 2 shown]
	s_waitcnt vmcnt(11)
	v_mov_b32_e32 v92, v105
	s_waitcnt lgkmcnt(3)
	v_pk_mul_f32 v[92:93], v[4:5], v[92:93] op_sel_hi:[1,0]
	s_waitcnt vmcnt(10)
	v_pk_fma_f32 v[94:95], v[4:5], v[104:105], v[92:93] op_sel:[0,0,1] op_sel_hi:[1,1,0] neg_lo:[0,0,1] neg_hi:[0,0,1]
	v_pk_fma_f32 v[4:5], v[4:5], v[104:105], v[92:93] op_sel:[0,0,1] op_sel_hi:[1,0,0]
	v_mov_b32_e32 v4, v103
	v_mov_b32_e32 v95, v5
	v_pk_mul_f32 v[4:5], v[6:7], v[4:5] op_sel_hi:[1,0]
	v_mul_f32_e32 v117, v96, v128
	v_mul_f32_e32 v3, v97, v128
	v_pk_fma_f32 v[92:93], v[6:7], v[102:103], v[4:5] op_sel:[0,0,1] op_sel_hi:[1,1,0] neg_lo:[0,0,1] neg_hi:[0,0,1]
	v_pk_fma_f32 v[4:5], v[6:7], v[102:103], v[4:5] op_sel:[0,0,1] op_sel_hi:[1,0,0]
	v_mul_f32_e32 v119, v98, v129
	v_fmac_f32_e32 v117, v97, v139
	v_fma_f32 v116, v96, v139, -v3
	v_mul_f32_e32 v3, v99, v129
	v_mov_b32_e32 v4, v101
	v_fmac_f32_e32 v119, v99, v140
	v_fma_f32 v118, v98, v140, -v3
	v_pk_add_f32 v[2:3], v[120:121], v[116:117]
	v_mov_b32_e32 v93, v5
	s_waitcnt lgkmcnt(2)
	v_pk_mul_f32 v[4:5], v[8:9], v[4:5] op_sel_hi:[1,0]
	v_pk_add_f32 v[2:3], v[2:3], v[118:119]
	v_pk_fma_f32 v[6:7], v[8:9], v[100:101], v[4:5] op_sel:[0,0,1] op_sel_hi:[1,1,0] neg_lo:[0,0,1] neg_hi:[0,0,1]
	v_pk_fma_f32 v[4:5], v[8:9], v[100:101], v[4:5] op_sel:[0,0,1] op_sel_hi:[1,0,0]
	v_pk_add_f32 v[2:3], v[2:3], v[94:95]
	s_waitcnt vmcnt(3)
	v_mov_b32_e32 v4, v113
	v_pk_add_f32 v[2:3], v[2:3], v[92:93]
	v_mov_b32_e32 v7, v5
	v_pk_mul_f32 v[4:5], v[10:11], v[4:5] op_sel_hi:[1,0]
	v_pk_add_f32 v[2:3], v[2:3], v[6:7]
	s_waitcnt vmcnt(2)
	v_pk_fma_f32 v[6:7], v[10:11], v[112:113], v[4:5] op_sel:[0,0,1] op_sel_hi:[1,1,0] neg_lo:[0,0,1] neg_hi:[0,0,1]
	v_pk_fma_f32 v[4:5], v[10:11], v[112:113], v[4:5] op_sel:[0,0,1] op_sel_hi:[1,0,0]
	v_mov_b32_e32 v4, v111
	v_mov_b32_e32 v7, v5
	s_waitcnt lgkmcnt(1)
	v_pk_mul_f32 v[4:5], v[12:13], v[4:5] op_sel_hi:[1,0]
	v_pk_add_f32 v[2:3], v[2:3], v[6:7]
	v_pk_fma_f32 v[6:7], v[12:13], v[110:111], v[4:5] op_sel:[0,0,1] op_sel_hi:[1,1,0] neg_lo:[0,0,1] neg_hi:[0,0,1]
	v_pk_fma_f32 v[4:5], v[12:13], v[110:111], v[4:5] op_sel:[0,0,1] op_sel_hi:[1,0,0]
	v_mov_b32_e32 v4, v109
	v_mov_b32_e32 v7, v5
	v_pk_mul_f32 v[4:5], v[14:15], v[4:5] op_sel_hi:[1,0]
	v_pk_add_f32 v[2:3], v[2:3], v[6:7]
	v_pk_fma_f32 v[6:7], v[14:15], v[108:109], v[4:5] op_sel:[0,0,1] op_sel_hi:[1,1,0] neg_lo:[0,0,1] neg_hi:[0,0,1]
	v_pk_fma_f32 v[4:5], v[14:15], v[108:109], v[4:5] op_sel:[0,0,1] op_sel_hi:[1,0,0]
	v_mov_b32_e32 v4, v107
	v_mov_b32_e32 v7, v5
	s_waitcnt lgkmcnt(0)
	v_pk_mul_f32 v[4:5], v[16:17], v[4:5] op_sel_hi:[1,0]
	v_pk_add_f32 v[2:3], v[2:3], v[6:7]
	v_pk_fma_f32 v[6:7], v[16:17], v[106:107], v[4:5] op_sel:[0,0,1] op_sel_hi:[1,1,0] neg_lo:[0,0,1] neg_hi:[0,0,1]
	v_pk_fma_f32 v[4:5], v[16:17], v[106:107], v[4:5] op_sel:[0,0,1] op_sel_hi:[1,0,0]
	s_waitcnt vmcnt(1)
	v_mov_b32_e32 v4, v115
	v_mov_b32_e32 v7, v5
	v_pk_mul_f32 v[4:5], v[18:19], v[4:5] op_sel_hi:[1,0]
	v_pk_add_f32 v[2:3], v[2:3], v[6:7]
	s_waitcnt vmcnt(0)
	v_pk_fma_f32 v[6:7], v[18:19], v[114:115], v[4:5] op_sel:[0,0,1] op_sel_hi:[1,1,0] neg_lo:[0,0,1] neg_hi:[0,0,1]
	v_pk_fma_f32 v[4:5], v[18:19], v[114:115], v[4:5] op_sel:[0,0,1] op_sel_hi:[1,0,0]
	v_mov_b32_e32 v7, v5
	v_pk_add_f32 v[2:3], v[2:3], v[6:7]
	v_pk_add_f32 v[2:3], v[20:21], v[2:3] neg_lo:[0,1] neg_hi:[0,1]
	buffer_store_dword v3, off, s[0:3], 0 offset:116
	buffer_store_dword v2, off, s[0:3], 0 offset:112
	s_and_saveexec_b64 s[4:5], vcc
	s_cbranch_execz .LBB98_197
; %bb.196:
	buffer_load_dword v2, off, s[0:3], 0 offset:104
	buffer_load_dword v3, off, s[0:3], 0 offset:108
	v_mov_b32_e32 v4, 0
	buffer_store_dword v4, off, s[0:3], 0 offset:104
	buffer_store_dword v4, off, s[0:3], 0 offset:108
	s_waitcnt vmcnt(2)
	ds_write_b64 v1, v[2:3]
.LBB98_197:
	s_or_b64 exec, exec, s[4:5]
	s_waitcnt lgkmcnt(0)
	; wave barrier
	s_waitcnt lgkmcnt(0)
	buffer_load_dword v3, off, s[0:3], 0 offset:116
	buffer_load_dword v124, off, s[0:3], 0 offset:124
	buffer_load_dword v126, off, s[0:3], 0 offset:132
	buffer_load_dword v128, off, s[0:3], 0 offset:140
	buffer_load_dword v130, off, s[0:3], 0 offset:148
	buffer_load_dword v131, off, s[0:3], 0 offset:156
	buffer_load_dword v132, off, s[0:3], 0 offset:164
	buffer_load_dword v133, off, s[0:3], 0 offset:172
	buffer_load_dword v134, off, s[0:3], 0 offset:180
	buffer_load_dword v135, off, s[0:3], 0 offset:188
	buffer_load_dword v136, off, s[0:3], 0 offset:196
	buffer_load_dword v137, off, s[0:3], 0 offset:204
	buffer_load_dword v138, off, s[0:3], 0 offset:212
	buffer_load_dword v139, off, s[0:3], 0 offset:112
	buffer_load_dword v140, off, s[0:3], 0 offset:120
	buffer_load_dword v141, off, s[0:3], 0 offset:128
	buffer_load_dword v142, off, s[0:3], 0 offset:136
	buffer_load_dword v143, off, s[0:3], 0 offset:144
	buffer_load_dword v144, off, s[0:3], 0 offset:152
	buffer_load_dword v145, off, s[0:3], 0 offset:160
	buffer_load_dword v146, off, s[0:3], 0 offset:168
	buffer_load_dword v147, off, s[0:3], 0 offset:176
	buffer_load_dword v148, off, s[0:3], 0 offset:184
	buffer_load_dword v149, off, s[0:3], 0 offset:192
	buffer_load_dword v150, off, s[0:3], 0 offset:200
	buffer_load_dword v151, off, s[0:3], 0 offset:208
	buffer_load_dword v20, off, s[0:3], 0 offset:104
	buffer_load_dword v21, off, s[0:3], 0 offset:108
	buffer_load_dword v109, off, s[0:3], 0 offset:228
	buffer_load_dword v108, off, s[0:3], 0 offset:224
	buffer_load_dword v111, off, s[0:3], 0 offset:220
	buffer_load_dword v110, off, s[0:3], 0 offset:216
	buffer_load_dword v113, off, s[0:3], 0 offset:260
	buffer_load_dword v112, off, s[0:3], 0 offset:256
	buffer_load_dword v115, off, s[0:3], 0 offset:252
	buffer_load_dword v114, off, s[0:3], 0 offset:248
	buffer_load_dword v117, off, s[0:3], 0 offset:244
	buffer_load_dword v116, off, s[0:3], 0 offset:240
	buffer_load_dword v119, off, s[0:3], 0 offset:236
	buffer_load_dword v118, off, s[0:3], 0 offset:232
	buffer_load_dword v121, off, s[0:3], 0 offset:276
	buffer_load_dword v120, off, s[0:3], 0 offset:272
	buffer_load_dword v123, off, s[0:3], 0 offset:268
	buffer_load_dword v122, off, s[0:3], 0 offset:264
	v_mov_b32_e32 v2, 0
	ds_read_b128 v[4:7], v2 offset:400
	ds_read_b128 v[8:11], v2 offset:416
	;; [unrolled: 1-line block ×8, first 2 shown]
	v_cmp_lt_u32_e32 vcc, 12, v0
	s_waitcnt vmcnt(43) lgkmcnt(7)
	v_mul_f32_e32 v129, v4, v3
	v_mul_f32_e32 v3, v5, v3
	s_waitcnt vmcnt(42)
	v_mul_f32_e32 v152, v6, v124
	s_waitcnt vmcnt(41) lgkmcnt(6)
	v_mul_f32_e32 v153, v8, v126
	s_waitcnt vmcnt(40)
	v_mul_f32_e32 v154, v10, v128
	s_waitcnt vmcnt(39) lgkmcnt(5)
	;; [unrolled: 4-line block ×5, first 2 shown]
	v_mul_f32_e32 v161, v96, v136
	s_waitcnt vmcnt(32)
	v_mul_f32_e32 v125, v98, v137
	s_waitcnt vmcnt(30)
	v_fma_f32 v3, v4, v139, -v3
	v_mul_f32_e32 v4, v7, v124
	v_add_f32_e32 v3, 0, v3
	s_waitcnt vmcnt(29)
	v_fma_f32 v4, v6, v140, -v4
	v_add_f32_e32 v3, v3, v4
	v_mul_f32_e32 v4, v9, v126
	s_waitcnt vmcnt(28)
	v_fma_f32 v4, v8, v141, -v4
	v_add_f32_e32 v3, v3, v4
	v_mul_f32_e32 v4, v11, v128
	;; [unrolled: 4-line block ×4, first 2 shown]
	s_waitcnt vmcnt(25)
	v_fma_f32 v4, v14, v144, -v4
	v_fmac_f32_e32 v129, v5, v139
	v_add_f32_e32 v3, v3, v4
	v_mul_f32_e32 v4, v17, v132
	v_fmac_f32_e32 v152, v7, v140
	v_add_f32_e32 v5, 0, v129
	s_waitcnt vmcnt(24)
	v_fma_f32 v4, v16, v145, -v4
	v_fmac_f32_e32 v153, v9, v141
	v_add_f32_e32 v5, v5, v152
	v_add_f32_e32 v3, v3, v4
	v_mul_f32_e32 v4, v19, v133
	v_fmac_f32_e32 v154, v11, v142
	v_add_f32_e32 v5, v5, v153
	s_waitcnt vmcnt(23)
	v_fma_f32 v4, v18, v146, -v4
	v_fmac_f32_e32 v155, v13, v143
	v_add_f32_e32 v5, v5, v154
	;; [unrolled: 8-line block ×4, first 2 shown]
	v_add_f32_e32 v3, v3, v4
	v_mul_f32_e32 v4, v97, v136
	v_fmac_f32_e32 v160, v95, v148
	v_add_f32_e32 v5, v5, v159
	s_waitcnt vmcnt(20)
	v_fma_f32 v4, v96, v149, -v4
	s_waitcnt vmcnt(13)
	v_mov_b32_e32 v16, v111
	v_fmac_f32_e32 v161, v97, v149
	v_add_f32_e32 v5, v5, v160
	v_add_f32_e32 v128, v3, v4
	v_mul_f32_e32 v3, v99, v137
	s_waitcnt lgkmcnt(1)
	v_pk_mul_f32 v[16:17], v[102:103], v[16:17] op_sel_hi:[1,0]
	v_mul_f32_e32 v127, v100, v138
	v_fmac_f32_e32 v125, v99, v150
	v_add_f32_e32 v129, v5, v161
	v_fma_f32 v124, v98, v150, -v3
	v_mul_f32_e32 v3, v101, v138
	s_waitcnt vmcnt(12)
	v_pk_fma_f32 v[18:19], v[102:103], v[110:111], v[16:17] op_sel:[0,0,1] op_sel_hi:[1,1,0] neg_lo:[0,0,1] neg_hi:[0,0,1]
	v_pk_fma_f32 v[16:17], v[102:103], v[110:111], v[16:17] op_sel:[0,0,1] op_sel_hi:[1,0,0]
	v_fmac_f32_e32 v127, v101, v151
	v_fma_f32 v126, v100, v151, -v3
	v_pk_add_f32 v[14:15], v[128:129], v[124:125]
	v_mov_b32_e32 v16, v109
	v_pk_add_f32 v[14:15], v[14:15], v[126:127]
	v_mov_b32_e32 v19, v17
	s_waitcnt lgkmcnt(0)
	v_pk_mul_f32 v[16:17], v[104:105], v[16:17] op_sel_hi:[1,0]
	v_pk_add_f32 v[14:15], v[14:15], v[18:19]
	v_pk_fma_f32 v[18:19], v[104:105], v[108:109], v[16:17] op_sel:[0,0,1] op_sel_hi:[1,1,0] neg_lo:[0,0,1] neg_hi:[0,0,1]
	v_pk_fma_f32 v[16:17], v[104:105], v[108:109], v[16:17] op_sel:[0,0,1] op_sel_hi:[1,0,0]
	s_waitcnt vmcnt(5)
	v_mov_b32_e32 v16, v119
	ds_read_b128 v[4:7], v2 offset:528
	ds_read_b128 v[8:11], v2 offset:544
	ds_read_b64 v[12:13], v2 offset:560
	v_mov_b32_e32 v19, v17
	v_pk_mul_f32 v[16:17], v[106:107], v[16:17] op_sel_hi:[1,0]
	v_pk_add_f32 v[14:15], v[14:15], v[18:19]
	s_waitcnt vmcnt(4)
	v_pk_fma_f32 v[18:19], v[106:107], v[118:119], v[16:17] op_sel:[0,0,1] op_sel_hi:[1,1,0] neg_lo:[0,0,1] neg_hi:[0,0,1]
	v_pk_fma_f32 v[16:17], v[106:107], v[118:119], v[16:17] op_sel:[0,0,1] op_sel_hi:[1,0,0]
	v_mov_b32_e32 v16, v117
	v_mov_b32_e32 v19, v17
	s_waitcnt lgkmcnt(2)
	v_pk_mul_f32 v[16:17], v[4:5], v[16:17] op_sel_hi:[1,0]
	v_pk_add_f32 v[14:15], v[14:15], v[18:19]
	v_pk_fma_f32 v[18:19], v[4:5], v[116:117], v[16:17] op_sel:[0,0,1] op_sel_hi:[1,1,0] neg_lo:[0,0,1] neg_hi:[0,0,1]
	v_pk_fma_f32 v[4:5], v[4:5], v[116:117], v[16:17] op_sel:[0,0,1] op_sel_hi:[1,0,0]
	v_mov_b32_e32 v19, v5
	v_pk_add_f32 v[4:5], v[14:15], v[18:19]
	v_mov_b32_e32 v14, v115
	v_pk_mul_f32 v[14:15], v[6:7], v[14:15] op_sel_hi:[1,0]
	v_pk_fma_f32 v[16:17], v[6:7], v[114:115], v[14:15] op_sel:[0,0,1] op_sel_hi:[1,1,0] neg_lo:[0,0,1] neg_hi:[0,0,1]
	v_pk_fma_f32 v[6:7], v[6:7], v[114:115], v[14:15] op_sel:[0,0,1] op_sel_hi:[1,0,0]
	v_mov_b32_e32 v6, v113
	v_mov_b32_e32 v17, v7
	s_waitcnt lgkmcnt(1)
	v_pk_mul_f32 v[6:7], v[8:9], v[6:7] op_sel_hi:[1,0]
	v_pk_fma_f32 v[14:15], v[8:9], v[112:113], v[6:7] op_sel:[0,0,1] op_sel_hi:[1,1,0] neg_lo:[0,0,1] neg_hi:[0,0,1]
	v_pk_fma_f32 v[6:7], v[8:9], v[112:113], v[6:7] op_sel:[0,0,1] op_sel_hi:[1,0,0]
	s_waitcnt vmcnt(1)
	v_mov_b32_e32 v6, v123
	v_mov_b32_e32 v15, v7
	v_pk_mul_f32 v[6:7], v[10:11], v[6:7] op_sel_hi:[1,0]
	s_waitcnt vmcnt(0)
	v_pk_fma_f32 v[8:9], v[10:11], v[122:123], v[6:7] op_sel:[0,0,1] op_sel_hi:[1,1,0] neg_lo:[0,0,1] neg_hi:[0,0,1]
	v_pk_fma_f32 v[6:7], v[10:11], v[122:123], v[6:7] op_sel:[0,0,1] op_sel_hi:[1,0,0]
	v_pk_add_f32 v[4:5], v[4:5], v[16:17]
	v_mov_b32_e32 v6, v121
	v_pk_add_f32 v[4:5], v[4:5], v[14:15]
	v_mov_b32_e32 v9, v7
	s_waitcnt lgkmcnt(0)
	v_pk_mul_f32 v[6:7], v[12:13], v[6:7] op_sel_hi:[1,0]
	v_pk_add_f32 v[4:5], v[4:5], v[8:9]
	v_pk_fma_f32 v[8:9], v[12:13], v[120:121], v[6:7] op_sel:[0,0,1] op_sel_hi:[1,1,0] neg_lo:[0,0,1] neg_hi:[0,0,1]
	v_pk_fma_f32 v[6:7], v[12:13], v[120:121], v[6:7] op_sel:[0,0,1] op_sel_hi:[1,0,0]
	v_mov_b32_e32 v9, v7
	v_pk_add_f32 v[4:5], v[4:5], v[8:9]
	v_pk_add_f32 v[4:5], v[20:21], v[4:5] neg_lo:[0,1] neg_hi:[0,1]
	buffer_store_dword v5, off, s[0:3], 0 offset:108
	buffer_store_dword v4, off, s[0:3], 0 offset:104
	s_and_saveexec_b64 s[4:5], vcc
	s_cbranch_execz .LBB98_199
; %bb.198:
	buffer_load_dword v4, off, s[0:3], 0 offset:96
	buffer_load_dword v5, off, s[0:3], 0 offset:100
	s_waitcnt vmcnt(0)
	ds_write_b64 v1, v[4:5]
	buffer_store_dword v2, off, s[0:3], 0 offset:96
	buffer_store_dword v2, off, s[0:3], 0 offset:100
.LBB98_199:
	s_or_b64 exec, exec, s[4:5]
	s_waitcnt lgkmcnt(0)
	; wave barrier
	s_waitcnt lgkmcnt(0)
	buffer_load_dword v3, off, s[0:3], 0 offset:108
	buffer_load_dword v124, off, s[0:3], 0 offset:116
	;; [unrolled: 1-line block ×30, first 2 shown]
	ds_read2_b64 v[4:7], v2 offset0:49 offset1:50
	ds_read2_b64 v[8:11], v2 offset0:51 offset1:52
	;; [unrolled: 1-line block ×6, first 2 shown]
	buffer_load_dword v109, off, s[0:3], 0 offset:220
	buffer_load_dword v108, off, s[0:3], 0 offset:216
	ds_read2_b64 v[100:103], v2 offset0:61 offset1:62
	ds_read2_b64 v[104:107], v2 offset0:63 offset1:64
	buffer_load_dword v111, off, s[0:3], 0 offset:252
	buffer_load_dword v110, off, s[0:3], 0 offset:248
	;; [unrolled: 1-line block ×14, first 2 shown]
	v_cmp_lt_u32_e32 vcc, 11, v0
	s_waitcnt vmcnt(45) lgkmcnt(7)
	v_mul_f32_e32 v127, v4, v3
	v_mul_f32_e32 v3, v5, v3
	s_waitcnt vmcnt(44)
	v_mul_f32_e32 v129, v6, v124
	s_waitcnt vmcnt(43) lgkmcnt(6)
	v_mul_f32_e32 v154, v8, v126
	s_waitcnt vmcnt(42)
	v_mul_f32_e32 v155, v10, v128
	s_waitcnt vmcnt(41) lgkmcnt(5)
	v_mul_f32_e32 v156, v12, v130
	s_waitcnt vmcnt(40)
	v_mul_f32_e32 v157, v14, v131
	s_waitcnt vmcnt(39) lgkmcnt(4)
	v_mul_f32_e32 v158, v16, v132
	s_waitcnt vmcnt(38)
	v_mul_f32_e32 v159, v18, v133
	s_waitcnt vmcnt(37) lgkmcnt(3)
	v_mul_f32_e32 v160, v92, v134
	s_waitcnt vmcnt(36)
	v_mul_f32_e32 v161, v94, v135
	s_waitcnt vmcnt(35) lgkmcnt(2)
	v_mul_f32_e32 v162, v96, v136
	s_waitcnt vmcnt(34)
	v_mul_f32_e32 v163, v98, v137
	s_waitcnt vmcnt(32)
	v_fma_f32 v3, v4, v139, -v3
	v_mul_f32_e32 v4, v7, v124
	v_add_f32_e32 v3, 0, v3
	s_waitcnt vmcnt(31)
	v_fma_f32 v4, v6, v140, -v4
	v_add_f32_e32 v3, v3, v4
	v_mul_f32_e32 v4, v9, v126
	s_waitcnt vmcnt(30)
	v_fma_f32 v4, v8, v141, -v4
	v_add_f32_e32 v3, v3, v4
	v_mul_f32_e32 v4, v11, v128
	;; [unrolled: 4-line block ×5, first 2 shown]
	v_fmac_f32_e32 v127, v5, v139
	s_waitcnt vmcnt(26)
	v_fma_f32 v4, v16, v145, -v4
	v_fmac_f32_e32 v129, v7, v140
	v_add_f32_e32 v127, 0, v127
	v_add_f32_e32 v3, v3, v4
	v_mul_f32_e32 v4, v19, v133
	v_fmac_f32_e32 v154, v9, v141
	v_add_f32_e32 v127, v127, v129
	s_waitcnt vmcnt(25)
	v_fma_f32 v4, v18, v146, -v4
	v_fmac_f32_e32 v155, v11, v142
	v_add_f32_e32 v127, v127, v154
	v_add_f32_e32 v3, v3, v4
	v_mul_f32_e32 v4, v93, v134
	v_fmac_f32_e32 v156, v13, v143
	v_add_f32_e32 v127, v127, v155
	;; [unrolled: 8-line block ×5, first 2 shown]
	s_waitcnt vmcnt(21)
	v_fma_f32 v4, v98, v150, -v4
	s_waitcnt vmcnt(15)
	v_mov_b32_e32 v16, v109
	s_waitcnt lgkmcnt(1)
	v_mul_f32_e32 v125, v100, v138
	v_fmac_f32_e32 v163, v99, v150
	v_add_f32_e32 v127, v127, v162
	v_add_f32_e32 v126, v3, v4
	v_mul_f32_e32 v3, v101, v138
	s_waitcnt lgkmcnt(0)
	v_pk_mul_f32 v[16:17], v[104:105], v[16:17] op_sel_hi:[1,0]
	v_fmac_f32_e32 v125, v101, v151
	v_add_f32_e32 v127, v127, v163
	v_mul_f32_e32 v129, v102, v152
	v_fma_f32 v124, v100, v151, -v3
	v_mul_f32_e32 v3, v103, v152
	s_waitcnt vmcnt(14)
	v_pk_fma_f32 v[18:19], v[104:105], v[108:109], v[16:17] op_sel:[0,0,1] op_sel_hi:[1,1,0] neg_lo:[0,0,1] neg_hi:[0,0,1]
	v_pk_fma_f32 v[16:17], v[104:105], v[108:109], v[16:17] op_sel:[0,0,1] op_sel_hi:[1,0,0]
	v_fmac_f32_e32 v129, v103, v153
	v_fma_f32 v128, v102, v153, -v3
	ds_read2_b64 v[4:7], v2 offset0:65 offset1:66
	ds_read2_b64 v[8:11], v2 offset0:67 offset1:68
	ds_read2_b64 v[12:15], v2 offset0:69 offset1:70
	v_pk_add_f32 v[2:3], v[126:127], v[124:125]
	s_waitcnt vmcnt(7)
	v_mov_b32_e32 v16, v117
	v_pk_add_f32 v[2:3], v[2:3], v[128:129]
	v_mov_b32_e32 v19, v17
	v_pk_mul_f32 v[16:17], v[106:107], v[16:17] op_sel_hi:[1,0]
	v_pk_add_f32 v[2:3], v[2:3], v[18:19]
	s_waitcnt vmcnt(6)
	v_pk_fma_f32 v[18:19], v[106:107], v[116:117], v[16:17] op_sel:[0,0,1] op_sel_hi:[1,1,0] neg_lo:[0,0,1] neg_hi:[0,0,1]
	v_pk_fma_f32 v[16:17], v[106:107], v[116:117], v[16:17] op_sel:[0,0,1] op_sel_hi:[1,0,0]
	v_mov_b32_e32 v16, v115
	v_mov_b32_e32 v19, v17
	s_waitcnt lgkmcnt(2)
	v_pk_mul_f32 v[16:17], v[4:5], v[16:17] op_sel_hi:[1,0]
	v_pk_add_f32 v[2:3], v[2:3], v[18:19]
	v_pk_fma_f32 v[18:19], v[4:5], v[114:115], v[16:17] op_sel:[0,0,1] op_sel_hi:[1,1,0] neg_lo:[0,0,1] neg_hi:[0,0,1]
	v_pk_fma_f32 v[4:5], v[4:5], v[114:115], v[16:17] op_sel:[0,0,1] op_sel_hi:[1,0,0]
	v_mov_b32_e32 v4, v113
	v_mov_b32_e32 v19, v5
	v_pk_mul_f32 v[4:5], v[6:7], v[4:5] op_sel_hi:[1,0]
	v_pk_fma_f32 v[16:17], v[6:7], v[112:113], v[4:5] op_sel:[0,0,1] op_sel_hi:[1,1,0] neg_lo:[0,0,1] neg_hi:[0,0,1]
	v_pk_fma_f32 v[4:5], v[6:7], v[112:113], v[4:5] op_sel:[0,0,1] op_sel_hi:[1,0,0]
	v_mov_b32_e32 v4, v111
	v_mov_b32_e32 v17, v5
	s_waitcnt lgkmcnt(1)
	v_pk_mul_f32 v[4:5], v[8:9], v[4:5] op_sel_hi:[1,0]
	v_pk_fma_f32 v[6:7], v[8:9], v[110:111], v[4:5] op_sel:[0,0,1] op_sel_hi:[1,1,0] neg_lo:[0,0,1] neg_hi:[0,0,1]
	v_pk_fma_f32 v[4:5], v[8:9], v[110:111], v[4:5] op_sel:[0,0,1] op_sel_hi:[1,0,0]
	v_pk_add_f32 v[2:3], v[2:3], v[18:19]
	s_waitcnt vmcnt(1)
	v_mov_b32_e32 v4, v123
	v_pk_add_f32 v[2:3], v[2:3], v[16:17]
	v_mov_b32_e32 v7, v5
	v_pk_mul_f32 v[4:5], v[10:11], v[4:5] op_sel_hi:[1,0]
	v_pk_add_f32 v[2:3], v[2:3], v[6:7]
	s_waitcnt vmcnt(0)
	v_pk_fma_f32 v[6:7], v[10:11], v[122:123], v[4:5] op_sel:[0,0,1] op_sel_hi:[1,1,0] neg_lo:[0,0,1] neg_hi:[0,0,1]
	v_pk_fma_f32 v[4:5], v[10:11], v[122:123], v[4:5] op_sel:[0,0,1] op_sel_hi:[1,0,0]
	v_mov_b32_e32 v4, v121
	v_mov_b32_e32 v7, v5
	s_waitcnt lgkmcnt(0)
	v_pk_mul_f32 v[4:5], v[12:13], v[4:5] op_sel_hi:[1,0]
	v_pk_add_f32 v[2:3], v[2:3], v[6:7]
	v_pk_fma_f32 v[6:7], v[12:13], v[120:121], v[4:5] op_sel:[0,0,1] op_sel_hi:[1,1,0] neg_lo:[0,0,1] neg_hi:[0,0,1]
	v_pk_fma_f32 v[4:5], v[12:13], v[120:121], v[4:5] op_sel:[0,0,1] op_sel_hi:[1,0,0]
	v_mov_b32_e32 v4, v119
	v_mov_b32_e32 v7, v5
	v_pk_mul_f32 v[4:5], v[14:15], v[4:5] op_sel_hi:[1,0]
	v_pk_add_f32 v[2:3], v[2:3], v[6:7]
	v_pk_fma_f32 v[6:7], v[14:15], v[118:119], v[4:5] op_sel:[0,0,1] op_sel_hi:[1,1,0] neg_lo:[0,0,1] neg_hi:[0,0,1]
	v_pk_fma_f32 v[4:5], v[14:15], v[118:119], v[4:5] op_sel:[0,0,1] op_sel_hi:[1,0,0]
	v_mov_b32_e32 v7, v5
	v_pk_add_f32 v[2:3], v[2:3], v[6:7]
	v_pk_add_f32 v[2:3], v[20:21], v[2:3] neg_lo:[0,1] neg_hi:[0,1]
	buffer_store_dword v3, off, s[0:3], 0 offset:100
	buffer_store_dword v2, off, s[0:3], 0 offset:96
	s_and_saveexec_b64 s[4:5], vcc
	s_cbranch_execz .LBB98_201
; %bb.200:
	buffer_load_dword v2, off, s[0:3], 0 offset:88
	buffer_load_dword v3, off, s[0:3], 0 offset:92
	v_mov_b32_e32 v4, 0
	buffer_store_dword v4, off, s[0:3], 0 offset:88
	buffer_store_dword v4, off, s[0:3], 0 offset:92
	s_waitcnt vmcnt(2)
	ds_write_b64 v1, v[2:3]
.LBB98_201:
	s_or_b64 exec, exec, s[4:5]
	s_waitcnt lgkmcnt(0)
	; wave barrier
	s_waitcnt lgkmcnt(0)
	buffer_load_dword v3, off, s[0:3], 0 offset:100
	buffer_load_dword v122, off, s[0:3], 0 offset:108
	;; [unrolled: 1-line block ×32, first 2 shown]
	v_mov_b32_e32 v2, 0
	buffer_load_dword v109, off, s[0:3], 0 offset:244
	buffer_load_dword v108, off, s[0:3], 0 offset:240
	;; [unrolled: 1-line block ×13, first 2 shown]
	ds_read_b128 v[4:7], v2 offset:384
	ds_read_b128 v[8:11], v2 offset:400
	;; [unrolled: 1-line block ×8, first 2 shown]
	v_cmp_lt_u32_e32 vcc, 10, v0
	s_waitcnt vmcnt(44) lgkmcnt(7)
	v_mul_f32_e32 v116, v4, v3
	s_waitcnt vmcnt(43)
	v_mul_f32_e32 v123, v6, v122
	s_waitcnt vmcnt(42) lgkmcnt(6)
	v_mul_f32_e32 v124, v8, v126
	s_waitcnt vmcnt(41)
	v_mul_f32_e32 v125, v10, v128
	;; [unrolled: 4-line block ×6, first 2 shown]
	s_waitcnt vmcnt(32) lgkmcnt(1)
	v_mul_f32_e32 v162, v100, v138
	s_waitcnt vmcnt(31)
	v_fmac_f32_e32 v116, v5, v139
	s_waitcnt vmcnt(30)
	v_fmac_f32_e32 v123, v7, v140
	v_add_f32_e32 v116, 0, v116
	s_waitcnt vmcnt(29)
	v_fmac_f32_e32 v124, v9, v141
	v_add_f32_e32 v116, v116, v123
	;; [unrolled: 3-line block ×12, first 2 shown]
	v_add_f32_e32 v123, v116, v162
	buffer_load_dword v125, off, s[0:3], 0 offset:260
	buffer_load_dword v124, off, s[0:3], 0 offset:256
	;; [unrolled: 1-line block ×3, first 2 shown]
	v_mul_f32_e32 v3, v5, v3
	v_fma_f32 v3, v4, v139, -v3
	v_mul_f32_e32 v4, v7, v122
	v_add_f32_e32 v3, 0, v3
	v_fma_f32 v4, v6, v140, -v4
	v_add_f32_e32 v3, v3, v4
	v_mul_f32_e32 v4, v9, v126
	v_fma_f32 v4, v8, v141, -v4
	v_add_f32_e32 v3, v3, v4
	v_mul_f32_e32 v4, v11, v128
	;; [unrolled: 3-line block ×11, first 2 shown]
	v_fma_f32 v4, v100, v151, -v4
	s_waitcnt vmcnt(9)
	v_mov_b32_e32 v92, v115
	v_mul_f32_e32 v127, v102, v152
	v_add_f32_e32 v122, v3, v4
	v_mul_f32_e32 v3, v103, v152
	s_waitcnt lgkmcnt(0)
	v_pk_mul_f32 v[92:93], v[106:107], v[92:93] op_sel_hi:[1,0]
	v_fmac_f32_e32 v127, v103, v153
	v_mul_f32_e32 v129, v104, v154
	v_fma_f32 v126, v102, v153, -v3
	v_mul_f32_e32 v3, v105, v154
	ds_read_b128 v[4:7], v2 offset:512
	ds_read_b128 v[8:11], v2 offset:528
	;; [unrolled: 1-line block ×3, first 2 shown]
	ds_read_b64 v[16:17], v2 offset:560
	s_waitcnt vmcnt(8)
	v_pk_fma_f32 v[94:95], v[106:107], v[114:115], v[92:93] op_sel:[0,0,1] op_sel_hi:[1,1,0] neg_lo:[0,0,1] neg_hi:[0,0,1]
	v_pk_fma_f32 v[92:93], v[106:107], v[114:115], v[92:93] op_sel:[0,0,1] op_sel_hi:[1,0,0]
	v_fmac_f32_e32 v129, v105, v155
	v_fma_f32 v128, v104, v155, -v3
	v_pk_add_f32 v[18:19], v[122:123], v[126:127]
	v_mov_b32_e32 v92, v113
	v_pk_add_f32 v[18:19], v[18:19], v[128:129]
	v_mov_b32_e32 v95, v93
	s_waitcnt lgkmcnt(3)
	v_pk_mul_f32 v[92:93], v[4:5], v[92:93] op_sel_hi:[1,0]
	v_pk_add_f32 v[18:19], v[18:19], v[94:95]
	v_pk_fma_f32 v[94:95], v[4:5], v[112:113], v[92:93] op_sel:[0,0,1] op_sel_hi:[1,1,0] neg_lo:[0,0,1] neg_hi:[0,0,1]
	v_pk_fma_f32 v[4:5], v[4:5], v[112:113], v[92:93] op_sel:[0,0,1] op_sel_hi:[1,0,0]
	v_mov_b32_e32 v95, v5
	v_pk_add_f32 v[4:5], v[18:19], v[94:95]
	v_mov_b32_e32 v18, v111
	v_pk_mul_f32 v[18:19], v[6:7], v[18:19] op_sel_hi:[1,0]
	v_pk_fma_f32 v[92:93], v[6:7], v[110:111], v[18:19] op_sel:[0,0,1] op_sel_hi:[1,1,0] neg_lo:[0,0,1] neg_hi:[0,0,1]
	v_pk_fma_f32 v[6:7], v[6:7], v[110:111], v[18:19] op_sel:[0,0,1] op_sel_hi:[1,0,0]
	v_mov_b32_e32 v6, v109
	v_mov_b32_e32 v93, v7
	s_waitcnt lgkmcnt(2)
	v_pk_mul_f32 v[6:7], v[8:9], v[6:7] op_sel_hi:[1,0]
	v_pk_fma_f32 v[18:19], v[8:9], v[108:109], v[6:7] op_sel:[0,0,1] op_sel_hi:[1,1,0] neg_lo:[0,0,1] neg_hi:[0,0,1]
	v_pk_fma_f32 v[6:7], v[8:9], v[108:109], v[6:7] op_sel:[0,0,1] op_sel_hi:[1,0,0]
	s_waitcnt vmcnt(7)
	v_mov_b32_e32 v6, v117
	v_mov_b32_e32 v19, v7
	v_pk_mul_f32 v[6:7], v[10:11], v[6:7] op_sel_hi:[1,0]
	v_pk_add_f32 v[4:5], v[4:5], v[92:93]
	v_pk_add_f32 v[4:5], v[4:5], v[18:19]
	s_waitcnt vmcnt(0)
	v_pk_fma_f32 v[8:9], v[10:11], v[116:117], v[6:7] op_sel:[0,0,1] op_sel_hi:[1,1,0] neg_lo:[0,0,1] neg_hi:[0,0,1]
	v_pk_fma_f32 v[6:7], v[10:11], v[116:117], v[6:7] op_sel:[0,0,1] op_sel_hi:[1,0,0]
	v_mov_b32_e32 v6, v125
	v_mov_b32_e32 v9, v7
	s_waitcnt lgkmcnt(1)
	v_pk_mul_f32 v[6:7], v[12:13], v[6:7] op_sel_hi:[1,0]
	v_pk_add_f32 v[4:5], v[4:5], v[8:9]
	v_pk_fma_f32 v[8:9], v[12:13], v[124:125], v[6:7] op_sel:[0,0,1] op_sel_hi:[1,1,0] neg_lo:[0,0,1] neg_hi:[0,0,1]
	v_pk_fma_f32 v[6:7], v[12:13], v[124:125], v[6:7] op_sel:[0,0,1] op_sel_hi:[1,0,0]
	v_mov_b32_e32 v6, v121
	v_mov_b32_e32 v9, v7
	v_pk_mul_f32 v[6:7], v[14:15], v[6:7] op_sel_hi:[1,0]
	v_pk_add_f32 v[4:5], v[4:5], v[8:9]
	v_pk_fma_f32 v[8:9], v[14:15], v[120:121], v[6:7] op_sel:[0,0,1] op_sel_hi:[1,1,0] neg_lo:[0,0,1] neg_hi:[0,0,1]
	v_pk_fma_f32 v[6:7], v[14:15], v[120:121], v[6:7] op_sel:[0,0,1] op_sel_hi:[1,0,0]
	v_mov_b32_e32 v6, v119
	v_mov_b32_e32 v9, v7
	s_waitcnt lgkmcnt(0)
	v_pk_mul_f32 v[6:7], v[16:17], v[6:7] op_sel_hi:[1,0]
	v_pk_add_f32 v[4:5], v[4:5], v[8:9]
	v_pk_fma_f32 v[8:9], v[16:17], v[118:119], v[6:7] op_sel:[0,0,1] op_sel_hi:[1,1,0] neg_lo:[0,0,1] neg_hi:[0,0,1]
	v_pk_fma_f32 v[6:7], v[16:17], v[118:119], v[6:7] op_sel:[0,0,1] op_sel_hi:[1,0,0]
	v_mov_b32_e32 v9, v7
	v_pk_add_f32 v[4:5], v[4:5], v[8:9]
	v_pk_add_f32 v[4:5], v[20:21], v[4:5] neg_lo:[0,1] neg_hi:[0,1]
	buffer_store_dword v5, off, s[0:3], 0 offset:92
	buffer_store_dword v4, off, s[0:3], 0 offset:88
	s_and_saveexec_b64 s[4:5], vcc
	s_cbranch_execz .LBB98_203
; %bb.202:
	buffer_load_dword v4, off, s[0:3], 0 offset:80
	buffer_load_dword v5, off, s[0:3], 0 offset:84
	s_waitcnt vmcnt(0)
	ds_write_b64 v1, v[4:5]
	buffer_store_dword v2, off, s[0:3], 0 offset:80
	buffer_store_dword v2, off, s[0:3], 0 offset:84
.LBB98_203:
	s_or_b64 exec, exec, s[4:5]
	s_waitcnt lgkmcnt(0)
	; wave barrier
	s_waitcnt lgkmcnt(0)
	buffer_load_dword v3, off, s[0:3], 0 offset:92
	buffer_load_dword v122, off, s[0:3], 0 offset:100
	;; [unrolled: 1-line block ×34, first 2 shown]
	ds_read2_b64 v[4:7], v2 offset0:47 offset1:48
	ds_read2_b64 v[8:11], v2 offset0:49 offset1:50
	;; [unrolled: 1-line block ×8, first 2 shown]
	buffer_load_dword v109, off, s[0:3], 0 offset:236
	buffer_load_dword v108, off, s[0:3], 0 offset:232
	;; [unrolled: 1-line block ×9, first 2 shown]
	v_cmp_lt_u32_e32 vcc, 9, v0
	s_waitcnt vmcnt(42) lgkmcnt(7)
	v_mul_f32_e32 v114, v4, v3
	s_waitcnt vmcnt(41)
	v_mul_f32_e32 v118, v6, v122
	s_waitcnt vmcnt(40) lgkmcnt(6)
	v_mul_f32_e32 v119, v8, v124
	s_waitcnt vmcnt(39)
	v_mul_f32_e32 v120, v10, v126
	s_waitcnt vmcnt(38) lgkmcnt(5)
	v_mul_f32_e32 v121, v12, v130
	s_waitcnt vmcnt(37)
	v_mul_f32_e32 v123, v14, v131
	s_waitcnt vmcnt(36) lgkmcnt(4)
	v_mul_f32_e32 v125, v16, v132
	s_waitcnt vmcnt(35)
	v_mul_f32_e32 v127, v18, v133
	s_waitcnt vmcnt(34) lgkmcnt(3)
	v_mul_f32_e32 v128, v92, v134
	s_waitcnt vmcnt(33)
	v_mul_f32_e32 v129, v94, v135
	s_waitcnt vmcnt(32) lgkmcnt(2)
	v_mul_f32_e32 v158, v96, v136
	s_waitcnt vmcnt(31)
	v_mul_f32_e32 v159, v98, v137
	s_waitcnt vmcnt(30) lgkmcnt(1)
	v_mul_f32_e32 v160, v100, v138
	v_mul_f32_e32 v3, v5, v3
	s_waitcnt vmcnt(28)
	v_fmac_f32_e32 v114, v5, v140
	s_waitcnt vmcnt(27)
	v_fmac_f32_e32 v118, v7, v141
	v_add_f32_e32 v114, 0, v114
	s_waitcnt vmcnt(26)
	v_fmac_f32_e32 v119, v9, v142
	v_add_f32_e32 v114, v114, v118
	;; [unrolled: 3-line block ×12, first 2 shown]
	v_add_f32_e32 v123, v114, v160
	buffer_load_dword v119, off, s[0:3], 0 offset:260
	buffer_load_dword v118, off, s[0:3], 0 offset:256
	;; [unrolled: 1-line block ×7, first 2 shown]
	v_fma_f32 v3, v4, v140, -v3
	v_mul_f32_e32 v4, v7, v122
	v_add_f32_e32 v3, 0, v3
	v_fma_f32 v4, v6, v141, -v4
	v_add_f32_e32 v3, v3, v4
	v_mul_f32_e32 v4, v9, v124
	v_fma_f32 v4, v8, v142, -v4
	v_add_f32_e32 v3, v3, v4
	v_mul_f32_e32 v4, v11, v126
	;; [unrolled: 3-line block ×12, first 2 shown]
	s_waitcnt vmcnt(22)
	v_fma_f32 v4, v102, v153, -v4
	v_add_f32_e32 v122, v3, v4
	ds_read2_b64 v[4:7], v2 offset0:63 offset1:64
	ds_read2_b64 v[8:11], v2 offset0:65 offset1:66
	;; [unrolled: 1-line block ×4, first 2 shown]
	s_waitcnt vmcnt(11)
	v_mov_b32_e32 v92, v113
	s_waitcnt lgkmcnt(3)
	v_pk_mul_f32 v[92:93], v[4:5], v[92:93] op_sel_hi:[1,0]
	s_waitcnt vmcnt(10)
	v_pk_fma_f32 v[94:95], v[4:5], v[112:113], v[92:93] op_sel:[0,0,1] op_sel_hi:[1,1,0] neg_lo:[0,0,1] neg_hi:[0,0,1]
	v_pk_fma_f32 v[4:5], v[4:5], v[112:113], v[92:93] op_sel:[0,0,1] op_sel_hi:[1,0,0]
	v_mov_b32_e32 v4, v111
	v_mul_f32_e32 v161, v102, v139
	v_mov_b32_e32 v95, v5
	v_pk_mul_f32 v[4:5], v[6:7], v[4:5] op_sel_hi:[1,0]
	v_fmac_f32_e32 v161, v103, v153
	v_mul_f32_e32 v125, v104, v154
	v_mul_f32_e32 v3, v105, v154
	v_pk_fma_f32 v[92:93], v[6:7], v[110:111], v[4:5] op_sel:[0,0,1] op_sel_hi:[1,1,0] neg_lo:[0,0,1] neg_hi:[0,0,1]
	v_pk_fma_f32 v[4:5], v[6:7], v[110:111], v[4:5] op_sel:[0,0,1] op_sel_hi:[1,0,0]
	v_add_f32_e32 v123, v123, v161
	v_fmac_f32_e32 v125, v105, v155
	v_mul_f32_e32 v127, v106, v156
	v_fma_f32 v124, v104, v155, -v3
	v_mul_f32_e32 v3, v107, v156
	v_mov_b32_e32 v4, v109
	v_fmac_f32_e32 v127, v107, v157
	v_fma_f32 v126, v106, v157, -v3
	v_pk_add_f32 v[2:3], v[122:123], v[124:125]
	v_mov_b32_e32 v93, v5
	s_waitcnt lgkmcnt(2)
	v_pk_mul_f32 v[4:5], v[8:9], v[4:5] op_sel_hi:[1,0]
	v_pk_add_f32 v[2:3], v[2:3], v[126:127]
	v_pk_fma_f32 v[6:7], v[8:9], v[108:109], v[4:5] op_sel:[0,0,1] op_sel_hi:[1,1,0] neg_lo:[0,0,1] neg_hi:[0,0,1]
	v_pk_fma_f32 v[4:5], v[8:9], v[108:109], v[4:5] op_sel:[0,0,1] op_sel_hi:[1,0,0]
	v_pk_add_f32 v[2:3], v[2:3], v[94:95]
	s_waitcnt vmcnt(9)
	v_mov_b32_e32 v4, v115
	v_pk_add_f32 v[2:3], v[2:3], v[92:93]
	v_mov_b32_e32 v7, v5
	v_pk_mul_f32 v[4:5], v[10:11], v[4:5] op_sel_hi:[1,0]
	v_pk_add_f32 v[2:3], v[2:3], v[6:7]
	s_waitcnt vmcnt(2)
	v_pk_fma_f32 v[6:7], v[10:11], v[114:115], v[4:5] op_sel:[0,0,1] op_sel_hi:[1,1,0] neg_lo:[0,0,1] neg_hi:[0,0,1]
	v_pk_fma_f32 v[4:5], v[10:11], v[114:115], v[4:5] op_sel:[0,0,1] op_sel_hi:[1,0,0]
	v_mov_b32_e32 v4, v121
	v_mov_b32_e32 v7, v5
	s_waitcnt lgkmcnt(1)
	v_pk_mul_f32 v[4:5], v[12:13], v[4:5] op_sel_hi:[1,0]
	v_pk_add_f32 v[2:3], v[2:3], v[6:7]
	v_pk_fma_f32 v[6:7], v[12:13], v[120:121], v[4:5] op_sel:[0,0,1] op_sel_hi:[1,1,0] neg_lo:[0,0,1] neg_hi:[0,0,1]
	v_pk_fma_f32 v[4:5], v[12:13], v[120:121], v[4:5] op_sel:[0,0,1] op_sel_hi:[1,0,0]
	v_mov_b32_e32 v4, v119
	v_mov_b32_e32 v7, v5
	v_pk_mul_f32 v[4:5], v[14:15], v[4:5] op_sel_hi:[1,0]
	v_pk_add_f32 v[2:3], v[2:3], v[6:7]
	v_pk_fma_f32 v[6:7], v[14:15], v[118:119], v[4:5] op_sel:[0,0,1] op_sel_hi:[1,1,0] neg_lo:[0,0,1] neg_hi:[0,0,1]
	v_pk_fma_f32 v[4:5], v[14:15], v[118:119], v[4:5] op_sel:[0,0,1] op_sel_hi:[1,0,0]
	v_mov_b32_e32 v4, v117
	v_mov_b32_e32 v7, v5
	s_waitcnt lgkmcnt(0)
	v_pk_mul_f32 v[4:5], v[16:17], v[4:5] op_sel_hi:[1,0]
	v_pk_add_f32 v[2:3], v[2:3], v[6:7]
	v_pk_fma_f32 v[6:7], v[16:17], v[116:117], v[4:5] op_sel:[0,0,1] op_sel_hi:[1,1,0] neg_lo:[0,0,1] neg_hi:[0,0,1]
	v_pk_fma_f32 v[4:5], v[16:17], v[116:117], v[4:5] op_sel:[0,0,1] op_sel_hi:[1,0,0]
	s_waitcnt vmcnt(1)
	v_mov_b32_e32 v4, v129
	v_mov_b32_e32 v7, v5
	v_pk_mul_f32 v[4:5], v[18:19], v[4:5] op_sel_hi:[1,0]
	v_pk_add_f32 v[2:3], v[2:3], v[6:7]
	s_waitcnt vmcnt(0)
	v_pk_fma_f32 v[6:7], v[18:19], v[128:129], v[4:5] op_sel:[0,0,1] op_sel_hi:[1,1,0] neg_lo:[0,0,1] neg_hi:[0,0,1]
	v_pk_fma_f32 v[4:5], v[18:19], v[128:129], v[4:5] op_sel:[0,0,1] op_sel_hi:[1,0,0]
	v_mov_b32_e32 v7, v5
	v_pk_add_f32 v[2:3], v[2:3], v[6:7]
	v_pk_add_f32 v[2:3], v[20:21], v[2:3] neg_lo:[0,1] neg_hi:[0,1]
	buffer_store_dword v3, off, s[0:3], 0 offset:84
	buffer_store_dword v2, off, s[0:3], 0 offset:80
	s_and_saveexec_b64 s[4:5], vcc
	s_cbranch_execz .LBB98_205
; %bb.204:
	buffer_load_dword v2, off, s[0:3], 0 offset:72
	buffer_load_dword v3, off, s[0:3], 0 offset:76
	v_mov_b32_e32 v4, 0
	buffer_store_dword v4, off, s[0:3], 0 offset:72
	buffer_store_dword v4, off, s[0:3], 0 offset:76
	s_waitcnt vmcnt(2)
	ds_write_b64 v1, v[2:3]
.LBB98_205:
	s_or_b64 exec, exec, s[4:5]
	v_mov_b32_e32 v112, 0
	s_waitcnt lgkmcnt(0)
	; wave barrier
	s_waitcnt lgkmcnt(0)
	ds_read_b128 v[18:21], v112 offset:368
	ds_read_b128 v[10:13], v112 offset:384
	;; [unrolled: 1-line block ×4, first 2 shown]
	buffer_load_dword v92, off, s[0:3], 0 offset:72
	buffer_load_dword v93, off, s[0:3], 0 offset:76
	;; [unrolled: 1-line block ×18, first 2 shown]
	ds_read_b128 v[114:117], v112 offset:432
	buffer_load_dword v146, off, s[0:3], 0 offset:144
	buffer_load_dword v147, off, s[0:3], 0 offset:148
	buffer_load_dword v148, off, s[0:3], 0 offset:152
	buffer_load_dword v149, off, s[0:3], 0 offset:156
	ds_read_b128 v[118:121], v112 offset:448
	buffer_load_dword v150, off, s[0:3], 0 offset:160
	buffer_load_dword v151, off, s[0:3], 0 offset:164
	buffer_load_dword v152, off, s[0:3], 0 offset:168
	buffer_load_dword v153, off, s[0:3], 0 offset:172
	;; [unrolled: 5-line block ×4, first 2 shown]
	v_cmp_lt_u32_e32 vcc, 8, v0
	s_waitcnt vmcnt(30) lgkmcnt(7)
	v_mul_f32_e32 v14, v18, v98
	v_fmac_f32_e32 v14, v19, v94
	s_waitcnt vmcnt(28)
	v_mul_f32_e32 v15, v20, v113
	v_add_f32_e32 v14, 0, v14
	v_fmac_f32_e32 v15, v21, v106
	v_add_f32_e32 v14, v14, v15
	s_waitcnt vmcnt(26) lgkmcnt(6)
	v_mul_f32_e32 v15, v10, v135
	v_fmac_f32_e32 v15, v11, v134
	v_add_f32_e32 v14, v14, v15
	s_waitcnt vmcnt(24)
	v_mul_f32_e32 v15, v12, v137
	v_fmac_f32_e32 v15, v13, v136
	v_add_f32_e32 v14, v14, v15
	s_waitcnt vmcnt(22) lgkmcnt(5)
	v_mul_f32_e32 v15, v6, v139
	v_fmac_f32_e32 v15, v7, v138
	v_add_f32_e32 v14, v14, v15
	s_waitcnt vmcnt(20)
	v_mul_f32_e32 v15, v8, v141
	;; [unrolled: 8-line block ×6, first 2 shown]
	v_fmac_f32_e32 v15, v125, v156
	v_add_f32_e32 v14, v14, v15
	s_waitcnt vmcnt(2) lgkmcnt(0)
	v_mul_f32_e32 v15, v126, v159
	v_fmac_f32_e32 v15, v127, v158
	v_add_f32_e32 v95, v14, v15
	ds_read_b128 v[14:17], v112 offset:496
	buffer_load_dword v162, off, s[0:3], 0 offset:208
	buffer_load_dword v163, off, s[0:3], 0 offset:212
	;; [unrolled: 1-line block ×18, first 2 shown]
	v_mul_f32_e32 v19, v19, v98
	v_fma_f32 v18, v18, v94, -v19
	v_mul_f32_e32 v19, v21, v113
	v_add_f32_e32 v18, 0, v18
	v_fma_f32 v19, v20, v106, -v19
	v_mul_f32_e32 v11, v11, v135
	v_add_f32_e32 v18, v18, v19
	;; [unrolled: 3-line block ×7, first 2 shown]
	v_fma_f32 v3, v4, v144, -v3
	v_add_f32_e32 v2, v2, v3
	v_mul_f32_e32 v3, v115, v147
	v_fma_f32 v3, v114, v146, -v3
	v_add_f32_e32 v2, v2, v3
	v_mul_f32_e32 v3, v117, v149
	;; [unrolled: 3-line block ×7, first 2 shown]
	v_fma_f32 v3, v126, v158, -v3
	s_waitcnt vmcnt(18)
	v_mul_f32_e32 v99, v128, v161
	v_add_f32_e32 v94, v2, v3
	v_mul_f32_e32 v2, v129, v161
	v_fmac_f32_e32 v99, v129, v160
	v_fma_f32 v98, v128, v160, -v2
	v_pk_add_f32 v[18:19], v[94:95], v[98:99]
	s_waitcnt vmcnt(15)
	v_mov_b32_e32 v20, v103
	s_waitcnt lgkmcnt(0)
	v_pk_mul_f32 v[20:21], v[16:17], v[20:21] op_sel_hi:[1,0]
	s_waitcnt vmcnt(14)
	v_pk_fma_f32 v[94:95], v[16:17], v[102:103], v[20:21] op_sel:[0,0,1] op_sel_hi:[1,1,0] neg_lo:[0,0,1] neg_hi:[0,0,1]
	v_pk_fma_f32 v[16:17], v[16:17], v[102:103], v[20:21] op_sel:[0,0,1] op_sel_hi:[1,0,0]
	v_mov_b32_e32 v95, v17
	v_mul_f32_e32 v107, v14, v163
	v_mul_f32_e32 v2, v15, v163
	v_fmac_f32_e32 v107, v15, v162
	v_fma_f32 v106, v14, v162, -v2
	ds_read_b128 v[2:5], v112 offset:512
	ds_read_b128 v[6:9], v112 offset:528
	;; [unrolled: 1-line block ×3, first 2 shown]
	ds_read_b64 v[14:15], v112 offset:560
	v_pk_add_f32 v[18:19], v[18:19], v[106:107]
	v_pk_add_f32 v[16:17], v[18:19], v[94:95]
	s_waitcnt vmcnt(13)
	v_mov_b32_e32 v18, v109
	s_waitcnt lgkmcnt(3)
	v_pk_mul_f32 v[18:19], v[2:3], v[18:19] op_sel_hi:[1,0]
	s_waitcnt vmcnt(12)
	v_pk_fma_f32 v[20:21], v[2:3], v[108:109], v[18:19] op_sel:[0,0,1] op_sel_hi:[1,1,0] neg_lo:[0,0,1] neg_hi:[0,0,1]
	v_pk_fma_f32 v[2:3], v[2:3], v[108:109], v[18:19] op_sel:[0,0,1] op_sel_hi:[1,0,0]
	v_mov_b32_e32 v21, v3
	v_pk_add_f32 v[2:3], v[16:17], v[20:21]
	s_waitcnt vmcnt(11)
	v_mov_b32_e32 v16, v105
	v_pk_mul_f32 v[16:17], v[4:5], v[16:17] op_sel_hi:[1,0]
	s_waitcnt vmcnt(10)
	v_pk_fma_f32 v[18:19], v[4:5], v[104:105], v[16:17] op_sel:[0,0,1] op_sel_hi:[1,1,0] neg_lo:[0,0,1] neg_hi:[0,0,1]
	v_pk_fma_f32 v[4:5], v[4:5], v[104:105], v[16:17] op_sel:[0,0,1] op_sel_hi:[1,0,0]
	s_waitcnt vmcnt(9)
	v_mov_b32_e32 v4, v101
	v_mov_b32_e32 v19, v5
	s_waitcnt lgkmcnt(2)
	v_pk_mul_f32 v[4:5], v[6:7], v[4:5] op_sel_hi:[1,0]
	s_waitcnt vmcnt(8)
	v_pk_fma_f32 v[16:17], v[6:7], v[100:101], v[4:5] op_sel:[0,0,1] op_sel_hi:[1,1,0] neg_lo:[0,0,1] neg_hi:[0,0,1]
	v_pk_fma_f32 v[4:5], v[6:7], v[100:101], v[4:5] op_sel:[0,0,1] op_sel_hi:[1,0,0]
	s_waitcnt vmcnt(7)
	v_mov_b32_e32 v4, v97
	v_mov_b32_e32 v17, v5
	v_pk_mul_f32 v[4:5], v[8:9], v[4:5] op_sel_hi:[1,0]
	s_waitcnt vmcnt(6)
	v_pk_fma_f32 v[6:7], v[8:9], v[96:97], v[4:5] op_sel:[0,0,1] op_sel_hi:[1,1,0] neg_lo:[0,0,1] neg_hi:[0,0,1]
	v_pk_fma_f32 v[4:5], v[8:9], v[96:97], v[4:5] op_sel:[0,0,1] op_sel_hi:[1,0,0]
	v_pk_add_f32 v[2:3], v[2:3], v[18:19]
	s_waitcnt vmcnt(5)
	v_mov_b32_e32 v4, v131
	v_pk_add_f32 v[2:3], v[2:3], v[16:17]
	v_mov_b32_e32 v7, v5
	s_waitcnt lgkmcnt(1)
	v_pk_mul_f32 v[4:5], v[10:11], v[4:5] op_sel_hi:[1,0]
	v_pk_add_f32 v[2:3], v[2:3], v[6:7]
	s_waitcnt vmcnt(4)
	v_pk_fma_f32 v[6:7], v[10:11], v[130:131], v[4:5] op_sel:[0,0,1] op_sel_hi:[1,1,0] neg_lo:[0,0,1] neg_hi:[0,0,1]
	v_pk_fma_f32 v[4:5], v[10:11], v[130:131], v[4:5] op_sel:[0,0,1] op_sel_hi:[1,0,0]
	s_waitcnt vmcnt(3)
	v_mov_b32_e32 v4, v133
	v_mov_b32_e32 v7, v5
	v_pk_mul_f32 v[4:5], v[12:13], v[4:5] op_sel_hi:[1,0]
	v_pk_add_f32 v[2:3], v[2:3], v[6:7]
	s_waitcnt vmcnt(2)
	v_pk_fma_f32 v[6:7], v[12:13], v[132:133], v[4:5] op_sel:[0,0,1] op_sel_hi:[1,1,0] neg_lo:[0,0,1] neg_hi:[0,0,1]
	v_pk_fma_f32 v[4:5], v[12:13], v[132:133], v[4:5] op_sel:[0,0,1] op_sel_hi:[1,0,0]
	s_waitcnt vmcnt(1)
	v_mov_b32_e32 v4, v111
	v_mov_b32_e32 v7, v5
	s_waitcnt lgkmcnt(0)
	v_pk_mul_f32 v[4:5], v[14:15], v[4:5] op_sel_hi:[1,0]
	v_pk_add_f32 v[2:3], v[2:3], v[6:7]
	s_waitcnt vmcnt(0)
	v_pk_fma_f32 v[6:7], v[14:15], v[110:111], v[4:5] op_sel:[0,0,1] op_sel_hi:[1,1,0] neg_lo:[0,0,1] neg_hi:[0,0,1]
	v_pk_fma_f32 v[4:5], v[14:15], v[110:111], v[4:5] op_sel:[0,0,1] op_sel_hi:[1,0,0]
	v_mov_b32_e32 v7, v5
	v_pk_add_f32 v[2:3], v[2:3], v[6:7]
	v_pk_add_f32 v[2:3], v[92:93], v[2:3] neg_lo:[0,1] neg_hi:[0,1]
	buffer_store_dword v3, off, s[0:3], 0 offset:76
	buffer_store_dword v2, off, s[0:3], 0 offset:72
	s_and_saveexec_b64 s[4:5], vcc
	s_cbranch_execz .LBB98_207
; %bb.206:
	buffer_load_dword v2, off, s[0:3], 0 offset:64
	buffer_load_dword v3, off, s[0:3], 0 offset:68
	s_waitcnt vmcnt(0)
	ds_write_b64 v1, v[2:3]
	buffer_store_dword v112, off, s[0:3], 0 offset:64
	buffer_store_dword v112, off, s[0:3], 0 offset:68
.LBB98_207:
	s_or_b64 exec, exec, s[4:5]
	s_waitcnt lgkmcnt(0)
	; wave barrier
	s_waitcnt lgkmcnt(0)
	buffer_load_dword v113, off, s[0:3], 0 offset:76
	buffer_load_dword v126, off, s[0:3], 0 offset:84
	;; [unrolled: 1-line block ×38, first 2 shown]
	ds_read2_b64 v[2:5], v112 offset0:45 offset1:46
	ds_read2_b64 v[6:9], v112 offset0:47 offset1:48
	;; [unrolled: 1-line block ×8, first 2 shown]
	buffer_load_dword v117, off, s[0:3], 0 offset:220
	buffer_load_dword v116, off, s[0:3], 0 offset:216
	;; [unrolled: 1-line block ×4, first 2 shown]
	v_cmp_lt_u32_e32 vcc, 7, v0
	s_waitcnt vmcnt(41) lgkmcnt(7)
	v_mul_f32_e32 v104, v2, v113
	s_waitcnt vmcnt(40)
	v_mul_f32_e32 v105, v4, v126
	s_waitcnt vmcnt(39) lgkmcnt(6)
	v_mul_f32_e32 v106, v6, v128
	s_waitcnt vmcnt(38)
	v_mul_f32_e32 v107, v8, v130
	;; [unrolled: 4-line block ×7, first 2 shown]
	s_waitcnt vmcnt(27) lgkmcnt(0)
	v_mul_f32_e32 v127, v100, v148
	s_waitcnt vmcnt(26)
	v_fmac_f32_e32 v104, v3, v149
	s_waitcnt vmcnt(25)
	v_fmac_f32_e32 v105, v5, v150
	v_add_f32_e32 v104, 0, v104
	s_waitcnt vmcnt(24)
	v_fmac_f32_e32 v106, v7, v151
	v_add_f32_e32 v104, v104, v105
	;; [unrolled: 3-line block ×13, first 2 shown]
	v_add_f32_e32 v104, v104, v125
	buffer_load_dword v121, off, s[0:3], 0 offset:244
	buffer_load_dword v120, off, s[0:3], 0 offset:240
	;; [unrolled: 1-line block ×6, first 2 shown]
	s_waitcnt vmcnt(18)
	v_fmac_f32_e32 v127, v101, v163
	s_waitcnt vmcnt(17)
	v_mul_f32_e32 v109, v102, v164
	v_add_f32_e32 v108, v104, v127
	s_waitcnt vmcnt(16)
	v_fmac_f32_e32 v109, v103, v165
	ds_read2_b64 v[104:107], v112 offset0:61 offset1:62
	v_add_f32_e32 v127, v108, v109
	ds_read2_b64 v[108:111], v112 offset0:63 offset1:64
	buffer_load_dword v133, off, s[0:3], 0 offset:276
	buffer_load_dword v132, off, s[0:3], 0 offset:272
	buffer_load_dword v135, off, s[0:3], 0 offset:268
	buffer_load_dword v134, off, s[0:3], 0 offset:264
	buffer_load_dword v137, off, s[0:3], 0 offset:260
	buffer_load_dword v136, off, s[0:3], 0 offset:256
	v_mul_f32_e32 v3, v3, v113
	v_fma_f32 v2, v2, v149, -v3
	v_mul_f32_e32 v3, v5, v126
	v_add_f32_e32 v2, 0, v2
	v_fma_f32 v3, v4, v150, -v3
	v_add_f32_e32 v2, v2, v3
	v_mul_f32_e32 v3, v7, v128
	v_fma_f32 v3, v6, v151, -v3
	v_add_f32_e32 v2, v2, v3
	v_mul_f32_e32 v3, v9, v130
	;; [unrolled: 3-line block ×14, first 2 shown]
	v_fma_f32 v3, v102, v165, -v3
	s_waitcnt vmcnt(15)
	v_mov_b32_e32 v16, v117
	s_waitcnt lgkmcnt(1)
	v_mul_f32_e32 v129, v104, v166
	v_add_f32_e32 v126, v2, v3
	v_mul_f32_e32 v2, v105, v166
	s_waitcnt lgkmcnt(0)
	v_pk_mul_f32 v[16:17], v[108:109], v[16:17] op_sel_hi:[1,0]
	v_fmac_f32_e32 v129, v105, v167
	v_mul_f32_e32 v131, v106, v168
	v_fma_f32 v128, v104, v167, -v2
	v_mul_f32_e32 v2, v107, v168
	s_waitcnt vmcnt(14)
	v_pk_fma_f32 v[18:19], v[108:109], v[116:117], v[16:17] op_sel:[0,0,1] op_sel_hi:[1,1,0] neg_lo:[0,0,1] neg_hi:[0,0,1]
	v_pk_fma_f32 v[16:17], v[108:109], v[116:117], v[16:17] op_sel:[0,0,1] op_sel_hi:[1,0,0]
	v_fmac_f32_e32 v131, v107, v169
	v_fma_f32 v130, v106, v169, -v2
	v_pk_add_f32 v[14:15], v[126:127], v[128:129]
	ds_read2_b64 v[2:5], v112 offset0:65 offset1:66
	ds_read2_b64 v[6:9], v112 offset0:67 offset1:68
	;; [unrolled: 1-line block ×3, first 2 shown]
	v_pk_add_f32 v[14:15], v[14:15], v[130:131]
	v_mov_b32_e32 v19, v17
	v_pk_add_f32 v[14:15], v[14:15], v[18:19]
	s_waitcnt vmcnt(7)
	v_mov_b32_e32 v16, v125
	v_pk_mul_f32 v[16:17], v[110:111], v[16:17] op_sel_hi:[1,0]
	s_waitcnt vmcnt(6)
	v_pk_fma_f32 v[18:19], v[110:111], v[124:125], v[16:17] op_sel:[0,0,1] op_sel_hi:[1,1,0] neg_lo:[0,0,1] neg_hi:[0,0,1]
	v_pk_fma_f32 v[16:17], v[110:111], v[124:125], v[16:17] op_sel:[0,0,1] op_sel_hi:[1,0,0]
	v_mov_b32_e32 v16, v123
	v_mov_b32_e32 v19, v17
	s_waitcnt lgkmcnt(2)
	v_pk_mul_f32 v[16:17], v[2:3], v[16:17] op_sel_hi:[1,0]
	v_pk_add_f32 v[14:15], v[14:15], v[18:19]
	v_pk_fma_f32 v[18:19], v[2:3], v[122:123], v[16:17] op_sel:[0,0,1] op_sel_hi:[1,1,0] neg_lo:[0,0,1] neg_hi:[0,0,1]
	v_pk_fma_f32 v[2:3], v[2:3], v[122:123], v[16:17] op_sel:[0,0,1] op_sel_hi:[1,0,0]
	v_mov_b32_e32 v19, v3
	v_pk_add_f32 v[2:3], v[14:15], v[18:19]
	v_mov_b32_e32 v14, v121
	v_pk_mul_f32 v[14:15], v[4:5], v[14:15] op_sel_hi:[1,0]
	v_pk_fma_f32 v[16:17], v[4:5], v[120:121], v[14:15] op_sel:[0,0,1] op_sel_hi:[1,1,0] neg_lo:[0,0,1] neg_hi:[0,0,1]
	v_pk_fma_f32 v[4:5], v[4:5], v[120:121], v[14:15] op_sel:[0,0,1] op_sel_hi:[1,0,0]
	v_mov_b32_e32 v4, v119
	v_mov_b32_e32 v17, v5
	s_waitcnt lgkmcnt(1)
	v_pk_mul_f32 v[4:5], v[6:7], v[4:5] op_sel_hi:[1,0]
	v_pk_fma_f32 v[14:15], v[6:7], v[118:119], v[4:5] op_sel:[0,0,1] op_sel_hi:[1,1,0] neg_lo:[0,0,1] neg_hi:[0,0,1]
	v_pk_fma_f32 v[4:5], v[6:7], v[118:119], v[4:5] op_sel:[0,0,1] op_sel_hi:[1,0,0]
	s_waitcnt vmcnt(1)
	v_mov_b32_e32 v4, v137
	v_mov_b32_e32 v15, v5
	v_pk_mul_f32 v[4:5], v[8:9], v[4:5] op_sel_hi:[1,0]
	s_waitcnt vmcnt(0)
	v_pk_fma_f32 v[6:7], v[8:9], v[136:137], v[4:5] op_sel:[0,0,1] op_sel_hi:[1,1,0] neg_lo:[0,0,1] neg_hi:[0,0,1]
	v_pk_fma_f32 v[4:5], v[8:9], v[136:137], v[4:5] op_sel:[0,0,1] op_sel_hi:[1,0,0]
	v_pk_add_f32 v[2:3], v[2:3], v[16:17]
	v_mov_b32_e32 v4, v135
	v_pk_add_f32 v[2:3], v[2:3], v[14:15]
	v_mov_b32_e32 v7, v5
	s_waitcnt lgkmcnt(0)
	v_pk_mul_f32 v[4:5], v[10:11], v[4:5] op_sel_hi:[1,0]
	v_pk_add_f32 v[2:3], v[2:3], v[6:7]
	v_pk_fma_f32 v[6:7], v[10:11], v[134:135], v[4:5] op_sel:[0,0,1] op_sel_hi:[1,1,0] neg_lo:[0,0,1] neg_hi:[0,0,1]
	v_pk_fma_f32 v[4:5], v[10:11], v[134:135], v[4:5] op_sel:[0,0,1] op_sel_hi:[1,0,0]
	v_mov_b32_e32 v4, v133
	v_mov_b32_e32 v7, v5
	v_pk_mul_f32 v[4:5], v[12:13], v[4:5] op_sel_hi:[1,0]
	v_pk_add_f32 v[2:3], v[2:3], v[6:7]
	v_pk_fma_f32 v[6:7], v[12:13], v[132:133], v[4:5] op_sel:[0,0,1] op_sel_hi:[1,1,0] neg_lo:[0,0,1] neg_hi:[0,0,1]
	v_pk_fma_f32 v[4:5], v[12:13], v[132:133], v[4:5] op_sel:[0,0,1] op_sel_hi:[1,0,0]
	v_mov_b32_e32 v7, v5
	v_pk_add_f32 v[2:3], v[2:3], v[6:7]
	v_pk_add_f32 v[2:3], v[114:115], v[2:3] neg_lo:[0,1] neg_hi:[0,1]
	buffer_store_dword v3, off, s[0:3], 0 offset:68
	buffer_store_dword v2, off, s[0:3], 0 offset:64
	s_and_saveexec_b64 s[4:5], vcc
	s_cbranch_execz .LBB98_209
; %bb.208:
	buffer_load_dword v2, off, s[0:3], 0 offset:56
	buffer_load_dword v3, off, s[0:3], 0 offset:60
	v_mov_b32_e32 v4, 0
	buffer_store_dword v4, off, s[0:3], 0 offset:56
	buffer_store_dword v4, off, s[0:3], 0 offset:60
	s_waitcnt vmcnt(2)
	ds_write_b64 v1, v[2:3]
.LBB98_209:
	s_or_b64 exec, exec, s[4:5]
	s_waitcnt lgkmcnt(0)
	; wave barrier
	s_waitcnt lgkmcnt(0)
	buffer_load_dword v5, off, s[0:3], 0 offset:68
	buffer_load_dword v124, off, s[0:3], 0 offset:76
	;; [unrolled: 1-line block ×40, first 2 shown]
	v_mov_b32_e32 v4, 0
	ds_read_b128 v[6:9], v4 offset:352
	ds_read_b128 v[10:13], v4 offset:368
	;; [unrolled: 1-line block ×8, first 2 shown]
	v_cmp_lt_u32_e32 vcc, 6, v0
	s_waitcnt vmcnt(39) lgkmcnt(7)
	v_mul_f32_e32 v108, v6, v5
	s_waitcnt vmcnt(38)
	v_mul_f32_e32 v109, v8, v124
	s_waitcnt vmcnt(37) lgkmcnt(6)
	v_mul_f32_e32 v110, v10, v126
	s_waitcnt vmcnt(36)
	v_mul_f32_e32 v111, v12, v128
	s_waitcnt vmcnt(35) lgkmcnt(5)
	v_mul_f32_e32 v112, v14, v138
	s_waitcnt vmcnt(34)
	v_mul_f32_e32 v113, v16, v139
	s_waitcnt vmcnt(33) lgkmcnt(4)
	v_mul_f32_e32 v114, v18, v140
	s_waitcnt vmcnt(32)
	v_mul_f32_e32 v115, v20, v141
	s_waitcnt vmcnt(31) lgkmcnt(3)
	v_mul_f32_e32 v116, v92, v142
	s_waitcnt vmcnt(30)
	v_mul_f32_e32 v117, v94, v143
	s_waitcnt vmcnt(29) lgkmcnt(2)
	v_mul_f32_e32 v118, v96, v144
	s_waitcnt vmcnt(28)
	v_mul_f32_e32 v119, v98, v145
	s_waitcnt vmcnt(27) lgkmcnt(1)
	v_mul_f32_e32 v120, v100, v146
	s_waitcnt vmcnt(26)
	v_mul_f32_e32 v121, v102, v147
	s_waitcnt vmcnt(25) lgkmcnt(0)
	v_mul_f32_e32 v122, v104, v148
	s_waitcnt vmcnt(24)
	v_mul_f32_e32 v123, v106, v149
	s_waitcnt vmcnt(23)
	v_fmac_f32_e32 v108, v7, v150
	s_waitcnt vmcnt(22)
	v_fmac_f32_e32 v109, v9, v151
	v_add_f32_e32 v108, 0, v108
	s_waitcnt vmcnt(21)
	v_fmac_f32_e32 v110, v11, v152
	v_add_f32_e32 v108, v108, v109
	s_waitcnt vmcnt(20)
	v_fmac_f32_e32 v111, v13, v153
	v_add_f32_e32 v108, v108, v110
	s_waitcnt vmcnt(19)
	v_fmac_f32_e32 v112, v15, v154
	v_add_f32_e32 v108, v108, v111
	s_waitcnt vmcnt(18)
	v_fmac_f32_e32 v113, v17, v155
	v_add_f32_e32 v108, v108, v112
	s_waitcnt vmcnt(17)
	v_fmac_f32_e32 v114, v19, v156
	v_add_f32_e32 v108, v108, v113
	s_waitcnt vmcnt(16)
	v_fmac_f32_e32 v115, v21, v157
	v_add_f32_e32 v108, v108, v114
	s_waitcnt vmcnt(15)
	v_fmac_f32_e32 v116, v93, v158
	v_add_f32_e32 v108, v108, v115
	s_waitcnt vmcnt(14)
	v_fmac_f32_e32 v117, v95, v159
	v_add_f32_e32 v108, v108, v116
	s_waitcnt vmcnt(13)
	v_fmac_f32_e32 v118, v97, v160
	v_add_f32_e32 v108, v108, v117
	s_waitcnt vmcnt(12)
	v_fmac_f32_e32 v119, v99, v161
	v_add_f32_e32 v108, v108, v118
	s_waitcnt vmcnt(11)
	v_fmac_f32_e32 v120, v101, v162
	v_add_f32_e32 v108, v108, v119
	s_waitcnt vmcnt(10)
	v_fmac_f32_e32 v121, v103, v163
	v_add_f32_e32 v108, v108, v120
	s_waitcnt vmcnt(9)
	v_fmac_f32_e32 v122, v105, v164
	v_add_f32_e32 v108, v108, v121
	v_add_f32_e32 v108, v108, v122
	s_waitcnt vmcnt(8)
	v_fmac_f32_e32 v123, v107, v165
	v_add_f32_e32 v125, v108, v123
	ds_read_b128 v[108:111], v4 offset:480
	buffer_load_dword v117, off, s[0:3], 0 offset:220
	buffer_load_dword v119, off, s[0:3], 0 offset:244
	;; [unrolled: 1-line block ×8, first 2 shown]
	ds_read_b128 v[112:115], v4 offset:496
	buffer_load_dword v131, off, s[0:3], 0 offset:276
	buffer_load_dword v130, off, s[0:3], 0 offset:272
	;; [unrolled: 1-line block ×8, first 2 shown]
	v_mul_f32_e32 v5, v7, v5
	v_fma_f32 v5, v6, v150, -v5
	v_mul_f32_e32 v6, v9, v124
	v_add_f32_e32 v5, 0, v5
	v_fma_f32 v6, v8, v151, -v6
	v_add_f32_e32 v5, v5, v6
	v_mul_f32_e32 v6, v11, v126
	v_fma_f32 v6, v10, v152, -v6
	v_add_f32_e32 v5, v5, v6
	v_mul_f32_e32 v6, v13, v128
	;; [unrolled: 3-line block ×14, first 2 shown]
	v_fma_f32 v6, v106, v165, -v6
	s_waitcnt vmcnt(23) lgkmcnt(1)
	v_mul_f32_e32 v127, v108, v166
	v_add_f32_e32 v5, v5, v6
	v_mul_f32_e32 v6, v109, v166
	s_waitcnt vmcnt(22)
	v_fmac_f32_e32 v127, v109, v167
	v_fma_f32 v6, v108, v167, -v6
	v_add_f32_e32 v125, v125, v127
	s_waitcnt vmcnt(21)
	v_mul_f32_e32 v127, v110, v168
	v_add_f32_e32 v124, v5, v6
	v_mul_f32_e32 v5, v111, v168
	s_waitcnt vmcnt(20)
	v_fmac_f32_e32 v127, v111, v169
	s_waitcnt vmcnt(19) lgkmcnt(0)
	v_mul_f32_e32 v129, v112, v170
	v_fma_f32 v126, v110, v169, -v5
	v_mul_f32_e32 v5, v113, v170
	ds_read_b128 v[6:9], v4 offset:512
	ds_read_b128 v[10:13], v4 offset:528
	;; [unrolled: 1-line block ×3, first 2 shown]
	ds_read_b64 v[18:19], v4 offset:560
	s_waitcnt vmcnt(18)
	v_fmac_f32_e32 v129, v113, v171
	v_fma_f32 v128, v112, v171, -v5
	v_pk_add_f32 v[20:21], v[124:125], v[126:127]
	v_pk_add_f32 v[20:21], v[20:21], v[128:129]
	s_waitcnt vmcnt(15)
	v_mov_b32_e32 v92, v117
	v_pk_mul_f32 v[92:93], v[114:115], v[92:93] op_sel_hi:[1,0]
	s_waitcnt vmcnt(8)
	v_pk_fma_f32 v[94:95], v[114:115], v[116:117], v[92:93] op_sel:[0,0,1] op_sel_hi:[1,1,0] neg_lo:[0,0,1] neg_hi:[0,0,1]
	v_pk_fma_f32 v[92:93], v[114:115], v[116:117], v[92:93] op_sel:[0,0,1] op_sel_hi:[1,0,0]
	v_mov_b32_e32 v92, v123
	v_mov_b32_e32 v95, v93
	s_waitcnt lgkmcnt(3)
	v_pk_mul_f32 v[92:93], v[6:7], v[92:93] op_sel_hi:[1,0]
	v_pk_add_f32 v[20:21], v[20:21], v[94:95]
	v_pk_fma_f32 v[94:95], v[6:7], v[122:123], v[92:93] op_sel:[0,0,1] op_sel_hi:[1,1,0] neg_lo:[0,0,1] neg_hi:[0,0,1]
	v_pk_fma_f32 v[6:7], v[6:7], v[122:123], v[92:93] op_sel:[0,0,1] op_sel_hi:[1,0,0]
	v_mov_b32_e32 v95, v7
	v_pk_add_f32 v[6:7], v[20:21], v[94:95]
	v_mov_b32_e32 v20, v121
	v_pk_mul_f32 v[20:21], v[8:9], v[20:21] op_sel_hi:[1,0]
	v_pk_fma_f32 v[92:93], v[8:9], v[120:121], v[20:21] op_sel:[0,0,1] op_sel_hi:[1,1,0] neg_lo:[0,0,1] neg_hi:[0,0,1]
	v_pk_fma_f32 v[8:9], v[8:9], v[120:121], v[20:21] op_sel:[0,0,1] op_sel_hi:[1,0,0]
	v_mov_b32_e32 v8, v119
	v_mov_b32_e32 v93, v9
	s_waitcnt lgkmcnt(2)
	v_pk_mul_f32 v[8:9], v[10:11], v[8:9] op_sel_hi:[1,0]
	v_pk_fma_f32 v[20:21], v[10:11], v[118:119], v[8:9] op_sel:[0,0,1] op_sel_hi:[1,1,0] neg_lo:[0,0,1] neg_hi:[0,0,1]
	v_pk_fma_f32 v[8:9], v[10:11], v[118:119], v[8:9] op_sel:[0,0,1] op_sel_hi:[1,0,0]
	s_waitcnt vmcnt(1)
	v_mov_b32_e32 v8, v137
	v_mov_b32_e32 v21, v9
	v_pk_mul_f32 v[8:9], v[12:13], v[8:9] op_sel_hi:[1,0]
	s_waitcnt vmcnt(0)
	v_pk_fma_f32 v[10:11], v[12:13], v[136:137], v[8:9] op_sel:[0,0,1] op_sel_hi:[1,1,0] neg_lo:[0,0,1] neg_hi:[0,0,1]
	v_pk_fma_f32 v[8:9], v[12:13], v[136:137], v[8:9] op_sel:[0,0,1] op_sel_hi:[1,0,0]
	v_pk_add_f32 v[6:7], v[6:7], v[92:93]
	v_mov_b32_e32 v8, v135
	v_pk_add_f32 v[6:7], v[6:7], v[20:21]
	v_mov_b32_e32 v11, v9
	s_waitcnt lgkmcnt(1)
	v_pk_mul_f32 v[8:9], v[14:15], v[8:9] op_sel_hi:[1,0]
	v_pk_add_f32 v[6:7], v[6:7], v[10:11]
	v_pk_fma_f32 v[10:11], v[14:15], v[134:135], v[8:9] op_sel:[0,0,1] op_sel_hi:[1,1,0] neg_lo:[0,0,1] neg_hi:[0,0,1]
	v_pk_fma_f32 v[8:9], v[14:15], v[134:135], v[8:9] op_sel:[0,0,1] op_sel_hi:[1,0,0]
	v_mov_b32_e32 v8, v133
	v_mov_b32_e32 v11, v9
	v_pk_mul_f32 v[8:9], v[16:17], v[8:9] op_sel_hi:[1,0]
	v_pk_add_f32 v[6:7], v[6:7], v[10:11]
	v_pk_fma_f32 v[10:11], v[16:17], v[132:133], v[8:9] op_sel:[0,0,1] op_sel_hi:[1,1,0] neg_lo:[0,0,1] neg_hi:[0,0,1]
	v_pk_fma_f32 v[8:9], v[16:17], v[132:133], v[8:9] op_sel:[0,0,1] op_sel_hi:[1,0,0]
	v_mov_b32_e32 v8, v131
	v_mov_b32_e32 v11, v9
	s_waitcnt lgkmcnt(0)
	v_pk_mul_f32 v[8:9], v[18:19], v[8:9] op_sel_hi:[1,0]
	v_pk_add_f32 v[6:7], v[6:7], v[10:11]
	v_pk_fma_f32 v[10:11], v[18:19], v[130:131], v[8:9] op_sel:[0,0,1] op_sel_hi:[1,1,0] neg_lo:[0,0,1] neg_hi:[0,0,1]
	v_pk_fma_f32 v[8:9], v[18:19], v[130:131], v[8:9] op_sel:[0,0,1] op_sel_hi:[1,0,0]
	v_mov_b32_e32 v11, v9
	v_pk_add_f32 v[6:7], v[6:7], v[10:11]
	v_pk_add_f32 v[2:3], v[2:3], v[6:7] neg_lo:[0,1] neg_hi:[0,1]
	buffer_store_dword v3, off, s[0:3], 0 offset:60
	buffer_store_dword v2, off, s[0:3], 0 offset:56
	s_and_saveexec_b64 s[4:5], vcc
	s_cbranch_execz .LBB98_211
; %bb.210:
	buffer_load_dword v2, off, s[0:3], 0 offset:48
	buffer_load_dword v3, off, s[0:3], 0 offset:52
	s_waitcnt vmcnt(0)
	ds_write_b64 v1, v[2:3]
	buffer_store_dword v4, off, s[0:3], 0 offset:48
	buffer_store_dword v4, off, s[0:3], 0 offset:52
.LBB98_211:
	s_or_b64 exec, exec, s[4:5]
	s_waitcnt lgkmcnt(0)
	; wave barrier
	s_waitcnt lgkmcnt(0)
	buffer_load_dword v5, off, s[0:3], 0 offset:60
	buffer_load_dword v116, off, s[0:3], 0 offset:68
	buffer_load_dword v118, off, s[0:3], 0 offset:76
	buffer_load_dword v126, off, s[0:3], 0 offset:84
	buffer_load_dword v138, off, s[0:3], 0 offset:92
	buffer_load_dword v139, off, s[0:3], 0 offset:100
	buffer_load_dword v140, off, s[0:3], 0 offset:108
	buffer_load_dword v141, off, s[0:3], 0 offset:116
	buffer_load_dword v142, off, s[0:3], 0 offset:124
	buffer_load_dword v143, off, s[0:3], 0 offset:132
	buffer_load_dword v144, off, s[0:3], 0 offset:140
	buffer_load_dword v145, off, s[0:3], 0 offset:148
	buffer_load_dword v146, off, s[0:3], 0 offset:156
	buffer_load_dword v147, off, s[0:3], 0 offset:164
	buffer_load_dword v148, off, s[0:3], 0 offset:172
	buffer_load_dword v149, off, s[0:3], 0 offset:56
	buffer_load_dword v150, off, s[0:3], 0 offset:64
	buffer_load_dword v151, off, s[0:3], 0 offset:72
	buffer_load_dword v152, off, s[0:3], 0 offset:80
	buffer_load_dword v153, off, s[0:3], 0 offset:88
	buffer_load_dword v154, off, s[0:3], 0 offset:96
	buffer_load_dword v155, off, s[0:3], 0 offset:104
	buffer_load_dword v156, off, s[0:3], 0 offset:112
	buffer_load_dword v157, off, s[0:3], 0 offset:120
	buffer_load_dword v158, off, s[0:3], 0 offset:128
	buffer_load_dword v159, off, s[0:3], 0 offset:136
	buffer_load_dword v160, off, s[0:3], 0 offset:144
	buffer_load_dword v161, off, s[0:3], 0 offset:152
	buffer_load_dword v162, off, s[0:3], 0 offset:160
	buffer_load_dword v163, off, s[0:3], 0 offset:168
	buffer_load_dword v164, off, s[0:3], 0 offset:180
	buffer_load_dword v165, off, s[0:3], 0 offset:176
	buffer_load_dword v166, off, s[0:3], 0 offset:188
	buffer_load_dword v167, off, s[0:3], 0 offset:184
	buffer_load_dword v168, off, s[0:3], 0 offset:196
	buffer_load_dword v169, off, s[0:3], 0 offset:192
	buffer_load_dword v170, off, s[0:3], 0 offset:204
	buffer_load_dword v171, off, s[0:3], 0 offset:200
	buffer_load_dword v172, off, s[0:3], 0 offset:212
	buffer_load_dword v173, off, s[0:3], 0 offset:208
	buffer_load_dword v2, off, s[0:3], 0 offset:48
	buffer_load_dword v3, off, s[0:3], 0 offset:52
	ds_read2_b64 v[6:9], v4 offset0:43 offset1:44
	ds_read2_b64 v[10:13], v4 offset0:45 offset1:46
	;; [unrolled: 1-line block ×8, first 2 shown]
	v_cmp_lt_u32_e32 vcc, 5, v0
	s_waitcnt vmcnt(41) lgkmcnt(7)
	v_mul_f32_e32 v108, v6, v5
	s_waitcnt vmcnt(40)
	v_mul_f32_e32 v109, v8, v116
	s_waitcnt vmcnt(39) lgkmcnt(6)
	v_mul_f32_e32 v110, v10, v118
	s_waitcnt vmcnt(38)
	v_mul_f32_e32 v111, v12, v126
	;; [unrolled: 4-line block ×7, first 2 shown]
	s_waitcnt vmcnt(27) lgkmcnt(0)
	v_mul_f32_e32 v124, v104, v148
	s_waitcnt vmcnt(26)
	v_fmac_f32_e32 v108, v7, v149
	s_waitcnt vmcnt(25)
	v_fmac_f32_e32 v109, v9, v150
	v_add_f32_e32 v108, 0, v108
	s_waitcnt vmcnt(24)
	v_fmac_f32_e32 v110, v11, v151
	v_add_f32_e32 v108, v108, v109
	;; [unrolled: 3-line block ×14, first 2 shown]
	s_waitcnt vmcnt(11)
	v_mul_f32_e32 v113, v106, v164
	v_add_f32_e32 v112, v108, v124
	s_waitcnt vmcnt(10)
	v_fmac_f32_e32 v113, v107, v165
	ds_read2_b64 v[108:111], v4 offset0:59 offset1:60
	v_add_f32_e32 v117, v112, v113
	ds_read2_b64 v[112:115], v4 offset0:61 offset1:62
	buffer_load_dword v121, off, s[0:3], 0 offset:220
	buffer_load_dword v123, off, s[0:3], 0 offset:236
	;; [unrolled: 1-line block ×16, first 2 shown]
	v_mul_f32_e32 v5, v7, v5
	v_fma_f32 v5, v6, v149, -v5
	v_mul_f32_e32 v6, v9, v116
	v_add_f32_e32 v5, 0, v5
	v_fma_f32 v6, v8, v150, -v6
	v_add_f32_e32 v5, v5, v6
	v_mul_f32_e32 v6, v11, v118
	v_fma_f32 v6, v10, v151, -v6
	v_add_f32_e32 v5, v5, v6
	v_mul_f32_e32 v6, v13, v126
	;; [unrolled: 3-line block ×14, first 2 shown]
	v_fma_f32 v6, v106, v165, -v6
	v_add_f32_e32 v5, v5, v6
	s_waitcnt vmcnt(25) lgkmcnt(1)
	v_mul_f32_e32 v6, v109, v166
	s_waitcnt vmcnt(24)
	v_fma_f32 v6, v108, v167, -v6
	v_add_f32_e32 v5, v5, v6
	s_waitcnt vmcnt(23)
	v_mul_f32_e32 v6, v111, v168
	s_waitcnt vmcnt(22)
	v_fma_f32 v6, v110, v169, -v6
	v_add_f32_e32 v116, v5, v6
	ds_read2_b64 v[6:9], v4 offset0:63 offset1:64
	ds_read2_b64 v[10:13], v4 offset0:65 offset1:66
	;; [unrolled: 1-line block ×4, first 2 shown]
	v_mul_f32_e32 v119, v108, v166
	v_fmac_f32_e32 v119, v109, v167
	v_add_f32_e32 v117, v117, v119
	v_mul_f32_e32 v119, v110, v168
	v_fmac_f32_e32 v119, v111, v169
	v_add_f32_e32 v117, v117, v119
	s_waitcnt vmcnt(21) lgkmcnt(4)
	v_mul_f32_e32 v119, v112, v170
	v_mul_f32_e32 v5, v113, v170
	s_waitcnt vmcnt(20)
	v_fmac_f32_e32 v119, v113, v171
	s_waitcnt vmcnt(19)
	v_mul_f32_e32 v127, v114, v172
	v_fma_f32 v118, v112, v171, -v5
	v_mul_f32_e32 v5, v115, v172
	s_waitcnt vmcnt(18)
	v_fmac_f32_e32 v127, v115, v173
	v_fma_f32 v126, v114, v173, -v5
	v_pk_add_f32 v[4:5], v[116:117], v[118:119]
	v_pk_add_f32 v[4:5], v[4:5], v[126:127]
	s_waitcnt vmcnt(15)
	v_mov_b32_e32 v92, v121
	s_waitcnt lgkmcnt(3)
	v_pk_mul_f32 v[92:93], v[6:7], v[92:93] op_sel_hi:[1,0]
	s_waitcnt vmcnt(10)
	v_pk_fma_f32 v[94:95], v[6:7], v[120:121], v[92:93] op_sel:[0,0,1] op_sel_hi:[1,1,0] neg_lo:[0,0,1] neg_hi:[0,0,1]
	v_pk_fma_f32 v[6:7], v[6:7], v[120:121], v[92:93] op_sel:[0,0,1] op_sel_hi:[1,0,0]
	v_mov_b32_e32 v6, v125
	v_mov_b32_e32 v95, v7
	v_pk_mul_f32 v[6:7], v[8:9], v[6:7] op_sel_hi:[1,0]
	v_pk_fma_f32 v[92:93], v[8:9], v[124:125], v[6:7] op_sel:[0,0,1] op_sel_hi:[1,1,0] neg_lo:[0,0,1] neg_hi:[0,0,1]
	v_pk_fma_f32 v[6:7], v[8:9], v[124:125], v[6:7] op_sel:[0,0,1] op_sel_hi:[1,0,0]
	v_mov_b32_e32 v6, v123
	v_mov_b32_e32 v93, v7
	s_waitcnt lgkmcnt(2)
	v_pk_mul_f32 v[6:7], v[10:11], v[6:7] op_sel_hi:[1,0]
	v_pk_fma_f32 v[8:9], v[10:11], v[122:123], v[6:7] op_sel:[0,0,1] op_sel_hi:[1,1,0] neg_lo:[0,0,1] neg_hi:[0,0,1]
	v_pk_fma_f32 v[6:7], v[10:11], v[122:123], v[6:7] op_sel:[0,0,1] op_sel_hi:[1,0,0]
	v_pk_add_f32 v[4:5], v[4:5], v[94:95]
	s_waitcnt vmcnt(3)
	v_mov_b32_e32 v6, v135
	v_pk_add_f32 v[4:5], v[4:5], v[92:93]
	v_mov_b32_e32 v9, v7
	v_pk_mul_f32 v[6:7], v[12:13], v[6:7] op_sel_hi:[1,0]
	v_pk_add_f32 v[4:5], v[4:5], v[8:9]
	s_waitcnt vmcnt(2)
	v_pk_fma_f32 v[8:9], v[12:13], v[134:135], v[6:7] op_sel:[0,0,1] op_sel_hi:[1,1,0] neg_lo:[0,0,1] neg_hi:[0,0,1]
	v_pk_fma_f32 v[6:7], v[12:13], v[134:135], v[6:7] op_sel:[0,0,1] op_sel_hi:[1,0,0]
	v_mov_b32_e32 v6, v133
	v_mov_b32_e32 v9, v7
	s_waitcnt lgkmcnt(1)
	v_pk_mul_f32 v[6:7], v[14:15], v[6:7] op_sel_hi:[1,0]
	v_pk_add_f32 v[4:5], v[4:5], v[8:9]
	v_pk_fma_f32 v[8:9], v[14:15], v[132:133], v[6:7] op_sel:[0,0,1] op_sel_hi:[1,1,0] neg_lo:[0,0,1] neg_hi:[0,0,1]
	v_pk_fma_f32 v[6:7], v[14:15], v[132:133], v[6:7] op_sel:[0,0,1] op_sel_hi:[1,0,0]
	v_mov_b32_e32 v6, v131
	v_mov_b32_e32 v9, v7
	v_pk_mul_f32 v[6:7], v[16:17], v[6:7] op_sel_hi:[1,0]
	v_pk_add_f32 v[4:5], v[4:5], v[8:9]
	v_pk_fma_f32 v[8:9], v[16:17], v[130:131], v[6:7] op_sel:[0,0,1] op_sel_hi:[1,1,0] neg_lo:[0,0,1] neg_hi:[0,0,1]
	v_pk_fma_f32 v[6:7], v[16:17], v[130:131], v[6:7] op_sel:[0,0,1] op_sel_hi:[1,0,0]
	v_mov_b32_e32 v6, v129
	v_mov_b32_e32 v9, v7
	s_waitcnt lgkmcnt(0)
	v_pk_mul_f32 v[6:7], v[18:19], v[6:7] op_sel_hi:[1,0]
	v_pk_add_f32 v[4:5], v[4:5], v[8:9]
	v_pk_fma_f32 v[8:9], v[18:19], v[128:129], v[6:7] op_sel:[0,0,1] op_sel_hi:[1,1,0] neg_lo:[0,0,1] neg_hi:[0,0,1]
	v_pk_fma_f32 v[6:7], v[18:19], v[128:129], v[6:7] op_sel:[0,0,1] op_sel_hi:[1,0,0]
	s_waitcnt vmcnt(1)
	v_mov_b32_e32 v6, v137
	v_mov_b32_e32 v9, v7
	v_pk_mul_f32 v[6:7], v[20:21], v[6:7] op_sel_hi:[1,0]
	v_pk_add_f32 v[4:5], v[4:5], v[8:9]
	s_waitcnt vmcnt(0)
	v_pk_fma_f32 v[8:9], v[20:21], v[136:137], v[6:7] op_sel:[0,0,1] op_sel_hi:[1,1,0] neg_lo:[0,0,1] neg_hi:[0,0,1]
	v_pk_fma_f32 v[6:7], v[20:21], v[136:137], v[6:7] op_sel:[0,0,1] op_sel_hi:[1,0,0]
	v_mov_b32_e32 v9, v7
	v_pk_add_f32 v[4:5], v[4:5], v[8:9]
	v_pk_add_f32 v[2:3], v[2:3], v[4:5] neg_lo:[0,1] neg_hi:[0,1]
	buffer_store_dword v3, off, s[0:3], 0 offset:52
	buffer_store_dword v2, off, s[0:3], 0 offset:48
	s_and_saveexec_b64 s[4:5], vcc
	s_cbranch_execz .LBB98_213
; %bb.212:
	buffer_load_dword v2, off, s[0:3], 0 offset:40
	buffer_load_dword v3, off, s[0:3], 0 offset:44
	v_mov_b32_e32 v4, 0
	buffer_store_dword v4, off, s[0:3], 0 offset:40
	buffer_store_dword v4, off, s[0:3], 0 offset:44
	s_waitcnt vmcnt(2)
	ds_write_b64 v1, v[2:3]
.LBB98_213:
	s_or_b64 exec, exec, s[4:5]
	s_waitcnt lgkmcnt(0)
	; wave barrier
	s_waitcnt lgkmcnt(0)
	buffer_load_dword v5, off, s[0:3], 0 offset:52
	buffer_load_dword v124, off, s[0:3], 0 offset:60
	;; [unrolled: 1-line block ×44, first 2 shown]
	v_mov_b32_e32 v4, 0
	ds_read_b128 v[6:9], v4 offset:336
	ds_read_b128 v[10:13], v4 offset:352
	;; [unrolled: 1-line block ×8, first 2 shown]
	v_cmp_lt_u32_e32 vcc, 4, v0
	s_waitcnt vmcnt(43) lgkmcnt(7)
	v_mul_f32_e32 v108, v6, v5
	s_waitcnt vmcnt(42)
	v_mul_f32_e32 v109, v8, v124
	s_waitcnt vmcnt(41) lgkmcnt(6)
	v_mul_f32_e32 v110, v10, v130
	s_waitcnt vmcnt(40)
	v_mul_f32_e32 v111, v12, v132
	;; [unrolled: 4-line block ×7, first 2 shown]
	s_waitcnt vmcnt(29)
	v_fmac_f32_e32 v108, v7, v156
	s_waitcnt vmcnt(28)
	v_fmac_f32_e32 v109, v9, v157
	v_add_f32_e32 v108, 0, v108
	s_waitcnt vmcnt(27)
	v_fmac_f32_e32 v110, v11, v158
	v_add_f32_e32 v108, v108, v109
	;; [unrolled: 3-line block ×12, first 2 shown]
	v_add_f32_e32 v108, v108, v120
	s_waitcnt vmcnt(16)
	v_fmac_f32_e32 v121, v103, v169
	s_waitcnt vmcnt(15) lgkmcnt(0)
	v_mul_f32_e32 v109, v104, v170
	v_add_f32_e32 v108, v108, v121
	s_waitcnt vmcnt(14)
	v_fmac_f32_e32 v109, v105, v171
	v_add_f32_e32 v112, v108, v109
	ds_read_b128 v[108:111], v4 offset:464
	s_waitcnt vmcnt(13)
	v_mul_f32_e32 v113, v106, v172
	s_waitcnt vmcnt(12)
	v_fmac_f32_e32 v113, v107, v173
	v_add_f32_e32 v116, v112, v113
	ds_read_b128 v[112:115], v4 offset:480
	s_waitcnt vmcnt(11) lgkmcnt(1)
	v_mul_f32_e32 v117, v108, v174
	s_waitcnt vmcnt(10)
	v_fmac_f32_e32 v117, v109, v175
	v_add_f32_e32 v116, v116, v117
	s_waitcnt vmcnt(9)
	v_mul_f32_e32 v117, v110, v176
	s_waitcnt vmcnt(8)
	v_fmac_f32_e32 v117, v111, v177
	v_add_f32_e32 v116, v116, v117
	s_waitcnt vmcnt(7) lgkmcnt(0)
	v_mul_f32_e32 v117, v112, v178
	s_waitcnt vmcnt(6)
	v_fmac_f32_e32 v117, v113, v179
	v_add_f32_e32 v125, v116, v117
	ds_read_b128 v[116:119], v4 offset:496
	buffer_load_dword v127, off, s[0:3], 0 offset:228
	buffer_load_dword v126, off, s[0:3], 0 offset:224
	;; [unrolled: 1-line block ×4, first 2 shown]
	ds_read_b128 v[120:123], v4 offset:512
	buffer_load_dword v135, off, s[0:3], 0 offset:260
	buffer_load_dword v134, off, s[0:3], 0 offset:256
	;; [unrolled: 1-line block ×12, first 2 shown]
	v_mul_f32_e32 v5, v7, v5
	v_fma_f32 v5, v6, v156, -v5
	v_mul_f32_e32 v6, v9, v124
	v_add_f32_e32 v5, 0, v5
	v_fma_f32 v6, v8, v157, -v6
	v_add_f32_e32 v5, v5, v6
	v_mul_f32_e32 v6, v11, v130
	v_fma_f32 v6, v10, v158, -v6
	v_add_f32_e32 v5, v5, v6
	v_mul_f32_e32 v6, v13, v132
	;; [unrolled: 3-line block ×17, first 2 shown]
	v_fma_f32 v6, v112, v179, -v6
	s_waitcnt vmcnt(21)
	v_mul_f32_e32 v131, v114, v180
	v_add_f32_e32 v124, v5, v6
	v_mul_f32_e32 v5, v115, v180
	s_waitcnt vmcnt(20)
	v_fmac_f32_e32 v131, v115, v181
	s_waitcnt vmcnt(19) lgkmcnt(1)
	v_mul_f32_e32 v133, v116, v182
	v_fma_f32 v130, v114, v181, -v5
	v_mul_f32_e32 v5, v117, v182
	s_waitcnt vmcnt(18)
	v_fmac_f32_e32 v133, v117, v183
	v_fma_f32 v132, v116, v183, -v5
	v_pk_add_f32 v[16:17], v[124:125], v[130:131]
	v_pk_add_f32 v[16:17], v[16:17], v[132:133]
	ds_read_b128 v[6:9], v4 offset:528
	ds_read_b128 v[10:13], v4 offset:544
	ds_read_b64 v[14:15], v4 offset:560
	s_waitcnt vmcnt(13)
	v_mov_b32_e32 v18, v129
	v_pk_mul_f32 v[18:19], v[118:119], v[18:19] op_sel_hi:[1,0]
	s_waitcnt vmcnt(12)
	v_pk_fma_f32 v[20:21], v[118:119], v[128:129], v[18:19] op_sel:[0,0,1] op_sel_hi:[1,1,0] neg_lo:[0,0,1] neg_hi:[0,0,1]
	v_pk_fma_f32 v[18:19], v[118:119], v[128:129], v[18:19] op_sel:[0,0,1] op_sel_hi:[1,0,0]
	v_mov_b32_e32 v18, v127
	v_mov_b32_e32 v21, v19
	s_waitcnt lgkmcnt(3)
	v_pk_mul_f32 v[18:19], v[120:121], v[18:19] op_sel_hi:[1,0]
	v_pk_add_f32 v[16:17], v[16:17], v[20:21]
	v_pk_fma_f32 v[20:21], v[120:121], v[126:127], v[18:19] op_sel:[0,0,1] op_sel_hi:[1,1,0] neg_lo:[0,0,1] neg_hi:[0,0,1]
	v_pk_fma_f32 v[18:19], v[120:121], v[126:127], v[18:19] op_sel:[0,0,1] op_sel_hi:[1,0,0]
	s_waitcnt vmcnt(5)
	v_mov_b32_e32 v18, v141
	v_mov_b32_e32 v21, v19
	v_pk_mul_f32 v[18:19], v[122:123], v[18:19] op_sel_hi:[1,0]
	v_pk_add_f32 v[16:17], v[16:17], v[20:21]
	s_waitcnt vmcnt(4)
	v_pk_fma_f32 v[20:21], v[122:123], v[140:141], v[18:19] op_sel:[0,0,1] op_sel_hi:[1,1,0] neg_lo:[0,0,1] neg_hi:[0,0,1]
	v_pk_fma_f32 v[18:19], v[122:123], v[140:141], v[18:19] op_sel:[0,0,1] op_sel_hi:[1,0,0]
	v_mov_b32_e32 v18, v139
	v_mov_b32_e32 v21, v19
	s_waitcnt lgkmcnt(2)
	v_pk_mul_f32 v[18:19], v[6:7], v[18:19] op_sel_hi:[1,0]
	v_pk_add_f32 v[16:17], v[16:17], v[20:21]
	v_pk_fma_f32 v[20:21], v[6:7], v[138:139], v[18:19] op_sel:[0,0,1] op_sel_hi:[1,1,0] neg_lo:[0,0,1] neg_hi:[0,0,1]
	v_pk_fma_f32 v[6:7], v[6:7], v[138:139], v[18:19] op_sel:[0,0,1] op_sel_hi:[1,0,0]
	v_mov_b32_e32 v21, v7
	v_pk_add_f32 v[6:7], v[16:17], v[20:21]
	v_mov_b32_e32 v16, v137
	v_pk_mul_f32 v[16:17], v[8:9], v[16:17] op_sel_hi:[1,0]
	v_pk_fma_f32 v[18:19], v[8:9], v[136:137], v[16:17] op_sel:[0,0,1] op_sel_hi:[1,1,0] neg_lo:[0,0,1] neg_hi:[0,0,1]
	v_pk_fma_f32 v[8:9], v[8:9], v[136:137], v[16:17] op_sel:[0,0,1] op_sel_hi:[1,0,0]
	v_mov_b32_e32 v8, v135
	v_mov_b32_e32 v19, v9
	s_waitcnt lgkmcnt(1)
	v_pk_mul_f32 v[8:9], v[10:11], v[8:9] op_sel_hi:[1,0]
	v_pk_fma_f32 v[16:17], v[10:11], v[134:135], v[8:9] op_sel:[0,0,1] op_sel_hi:[1,1,0] neg_lo:[0,0,1] neg_hi:[0,0,1]
	v_pk_fma_f32 v[8:9], v[10:11], v[134:135], v[8:9] op_sel:[0,0,1] op_sel_hi:[1,0,0]
	s_waitcnt vmcnt(1)
	v_mov_b32_e32 v8, v145
	v_mov_b32_e32 v17, v9
	v_pk_mul_f32 v[8:9], v[12:13], v[8:9] op_sel_hi:[1,0]
	s_waitcnt vmcnt(0)
	v_pk_fma_f32 v[10:11], v[12:13], v[144:145], v[8:9] op_sel:[0,0,1] op_sel_hi:[1,1,0] neg_lo:[0,0,1] neg_hi:[0,0,1]
	v_pk_fma_f32 v[8:9], v[12:13], v[144:145], v[8:9] op_sel:[0,0,1] op_sel_hi:[1,0,0]
	v_pk_add_f32 v[6:7], v[6:7], v[18:19]
	v_mov_b32_e32 v8, v143
	v_pk_add_f32 v[6:7], v[6:7], v[16:17]
	v_mov_b32_e32 v11, v9
	s_waitcnt lgkmcnt(0)
	v_pk_mul_f32 v[8:9], v[14:15], v[8:9] op_sel_hi:[1,0]
	v_pk_add_f32 v[6:7], v[6:7], v[10:11]
	v_pk_fma_f32 v[10:11], v[14:15], v[142:143], v[8:9] op_sel:[0,0,1] op_sel_hi:[1,1,0] neg_lo:[0,0,1] neg_hi:[0,0,1]
	v_pk_fma_f32 v[8:9], v[14:15], v[142:143], v[8:9] op_sel:[0,0,1] op_sel_hi:[1,0,0]
	v_mov_b32_e32 v11, v9
	v_pk_add_f32 v[6:7], v[6:7], v[10:11]
	v_pk_add_f32 v[2:3], v[2:3], v[6:7] neg_lo:[0,1] neg_hi:[0,1]
	buffer_store_dword v3, off, s[0:3], 0 offset:44
	buffer_store_dword v2, off, s[0:3], 0 offset:40
	s_and_saveexec_b64 s[4:5], vcc
	s_cbranch_execz .LBB98_215
; %bb.214:
	buffer_load_dword v2, off, s[0:3], 0 offset:32
	buffer_load_dword v3, off, s[0:3], 0 offset:36
	s_waitcnt vmcnt(0)
	ds_write_b64 v1, v[2:3]
	buffer_store_dword v4, off, s[0:3], 0 offset:32
	buffer_store_dword v4, off, s[0:3], 0 offset:36
.LBB98_215:
	s_or_b64 exec, exec, s[4:5]
	s_waitcnt lgkmcnt(0)
	; wave barrier
	s_waitcnt lgkmcnt(0)
	buffer_load_dword v5, off, s[0:3], 0 offset:44
	buffer_load_dword v126, off, s[0:3], 0 offset:52
	;; [unrolled: 1-line block ×46, first 2 shown]
	ds_read2_b64 v[6:9], v4 offset0:41 offset1:42
	ds_read2_b64 v[10:13], v4 offset0:43 offset1:44
	;; [unrolled: 1-line block ×8, first 2 shown]
	v_cmp_lt_u32_e32 vcc, 3, v0
	s_waitcnt vmcnt(45) lgkmcnt(7)
	v_mul_f32_e32 v108, v6, v5
	s_waitcnt vmcnt(44)
	v_mul_f32_e32 v109, v8, v126
	s_waitcnt vmcnt(43) lgkmcnt(6)
	v_mul_f32_e32 v110, v10, v128
	s_waitcnt vmcnt(42)
	v_mul_f32_e32 v111, v12, v130
	;; [unrolled: 4-line block ×6, first 2 shown]
	s_waitcnt vmcnt(33) lgkmcnt(1)
	v_mul_f32_e32 v120, v100, v154
	s_waitcnt vmcnt(32)
	v_fmac_f32_e32 v108, v7, v155
	s_waitcnt vmcnt(31)
	v_fmac_f32_e32 v109, v9, v156
	v_add_f32_e32 v108, 0, v108
	s_waitcnt vmcnt(30)
	v_fmac_f32_e32 v110, v11, v157
	v_add_f32_e32 v108, v108, v109
	;; [unrolled: 3-line block ×12, first 2 shown]
	s_waitcnt vmcnt(19)
	v_mul_f32_e32 v109, v102, v168
	v_add_f32_e32 v108, v108, v120
	s_waitcnt vmcnt(18)
	v_fmac_f32_e32 v109, v103, v169
	v_add_f32_e32 v108, v108, v109
	s_waitcnt vmcnt(17) lgkmcnt(0)
	v_mul_f32_e32 v109, v104, v170
	s_waitcnt vmcnt(16)
	v_fmac_f32_e32 v109, v105, v171
	v_add_f32_e32 v112, v108, v109
	ds_read2_b64 v[108:111], v4 offset0:57 offset1:58
	s_waitcnt vmcnt(15)
	v_mul_f32_e32 v113, v106, v172
	s_waitcnt vmcnt(14)
	v_fmac_f32_e32 v113, v107, v173
	v_add_f32_e32 v116, v112, v113
	ds_read2_b64 v[112:115], v4 offset0:59 offset1:60
	buffer_load_dword v125, off, s[0:3], 0 offset:220
	buffer_load_dword v124, off, s[0:3], 0 offset:216
	s_waitcnt vmcnt(15) lgkmcnt(1)
	v_mul_f32_e32 v117, v108, v174
	s_waitcnt vmcnt(14)
	v_fmac_f32_e32 v117, v109, v175
	v_add_f32_e32 v116, v116, v117
	s_waitcnt vmcnt(13)
	v_mul_f32_e32 v117, v110, v176
	s_waitcnt vmcnt(12)
	v_fmac_f32_e32 v117, v111, v177
	v_add_f32_e32 v116, v116, v117
	s_waitcnt vmcnt(11) lgkmcnt(0)
	v_mul_f32_e32 v117, v112, v178
	s_waitcnt vmcnt(10)
	v_fmac_f32_e32 v117, v113, v179
	s_waitcnt vmcnt(9)
	v_mul_f32_e32 v121, v114, v180
	v_add_f32_e32 v120, v116, v117
	s_waitcnt vmcnt(8)
	v_fmac_f32_e32 v121, v115, v181
	ds_read2_b64 v[116:119], v4 offset0:61 offset1:62
	v_add_f32_e32 v127, v120, v121
	ds_read2_b64 v[120:123], v4 offset0:63 offset1:64
	buffer_load_dword v133, off, s[0:3], 0 offset:252
	buffer_load_dword v132, off, s[0:3], 0 offset:248
	;; [unrolled: 1-line block ×14, first 2 shown]
	v_mul_f32_e32 v5, v7, v5
	v_fma_f32 v5, v6, v155, -v5
	v_mul_f32_e32 v6, v9, v126
	v_add_f32_e32 v5, 0, v5
	v_fma_f32 v6, v8, v156, -v6
	v_add_f32_e32 v5, v5, v6
	v_mul_f32_e32 v6, v11, v128
	v_fma_f32 v6, v10, v157, -v6
	v_add_f32_e32 v5, v5, v6
	v_mul_f32_e32 v6, v13, v130
	;; [unrolled: 3-line block ×18, first 2 shown]
	v_fma_f32 v6, v114, v181, -v6
	s_waitcnt vmcnt(21) lgkmcnt(1)
	v_mul_f32_e32 v129, v116, v182
	v_add_f32_e32 v126, v5, v6
	v_mul_f32_e32 v5, v117, v182
	s_waitcnt vmcnt(20)
	v_fmac_f32_e32 v129, v117, v183
	s_waitcnt vmcnt(15)
	v_mov_b32_e32 v18, v125
	s_waitcnt lgkmcnt(0)
	v_pk_mul_f32 v[18:19], v[120:121], v[18:19] op_sel_hi:[1,0]
	v_mul_f32_e32 v131, v118, v184
	v_fma_f32 v128, v116, v183, -v5
	v_mul_f32_e32 v5, v119, v184
	s_waitcnt vmcnt(14)
	v_pk_fma_f32 v[20:21], v[120:121], v[124:125], v[18:19] op_sel:[0,0,1] op_sel_hi:[1,1,0] neg_lo:[0,0,1] neg_hi:[0,0,1]
	v_pk_fma_f32 v[18:19], v[120:121], v[124:125], v[18:19] op_sel:[0,0,1] op_sel_hi:[1,0,0]
	v_fmac_f32_e32 v131, v119, v185
	v_fma_f32 v130, v118, v185, -v5
	ds_read2_b64 v[6:9], v4 offset0:65 offset1:66
	ds_read2_b64 v[10:13], v4 offset0:67 offset1:68
	;; [unrolled: 1-line block ×3, first 2 shown]
	v_pk_add_f32 v[4:5], v[126:127], v[128:129]
	s_waitcnt vmcnt(7)
	v_mov_b32_e32 v18, v139
	v_pk_add_f32 v[4:5], v[4:5], v[130:131]
	v_mov_b32_e32 v21, v19
	v_pk_mul_f32 v[18:19], v[122:123], v[18:19] op_sel_hi:[1,0]
	v_pk_add_f32 v[4:5], v[4:5], v[20:21]
	s_waitcnt vmcnt(6)
	v_pk_fma_f32 v[20:21], v[122:123], v[138:139], v[18:19] op_sel:[0,0,1] op_sel_hi:[1,1,0] neg_lo:[0,0,1] neg_hi:[0,0,1]
	v_pk_fma_f32 v[18:19], v[122:123], v[138:139], v[18:19] op_sel:[0,0,1] op_sel_hi:[1,0,0]
	v_mov_b32_e32 v18, v137
	v_mov_b32_e32 v21, v19
	s_waitcnt lgkmcnt(2)
	v_pk_mul_f32 v[18:19], v[6:7], v[18:19] op_sel_hi:[1,0]
	v_pk_add_f32 v[4:5], v[4:5], v[20:21]
	v_pk_fma_f32 v[20:21], v[6:7], v[136:137], v[18:19] op_sel:[0,0,1] op_sel_hi:[1,1,0] neg_lo:[0,0,1] neg_hi:[0,0,1]
	v_pk_fma_f32 v[6:7], v[6:7], v[136:137], v[18:19] op_sel:[0,0,1] op_sel_hi:[1,0,0]
	v_mov_b32_e32 v6, v135
	v_mov_b32_e32 v21, v7
	v_pk_mul_f32 v[6:7], v[8:9], v[6:7] op_sel_hi:[1,0]
	v_pk_fma_f32 v[18:19], v[8:9], v[134:135], v[6:7] op_sel:[0,0,1] op_sel_hi:[1,1,0] neg_lo:[0,0,1] neg_hi:[0,0,1]
	v_pk_fma_f32 v[6:7], v[8:9], v[134:135], v[6:7] op_sel:[0,0,1] op_sel_hi:[1,0,0]
	v_mov_b32_e32 v6, v133
	v_mov_b32_e32 v19, v7
	s_waitcnt lgkmcnt(1)
	v_pk_mul_f32 v[6:7], v[10:11], v[6:7] op_sel_hi:[1,0]
	v_pk_fma_f32 v[8:9], v[10:11], v[132:133], v[6:7] op_sel:[0,0,1] op_sel_hi:[1,1,0] neg_lo:[0,0,1] neg_hi:[0,0,1]
	v_pk_fma_f32 v[6:7], v[10:11], v[132:133], v[6:7] op_sel:[0,0,1] op_sel_hi:[1,0,0]
	v_pk_add_f32 v[4:5], v[4:5], v[20:21]
	s_waitcnt vmcnt(1)
	v_mov_b32_e32 v6, v145
	v_pk_add_f32 v[4:5], v[4:5], v[18:19]
	v_mov_b32_e32 v9, v7
	v_pk_mul_f32 v[6:7], v[12:13], v[6:7] op_sel_hi:[1,0]
	v_pk_add_f32 v[4:5], v[4:5], v[8:9]
	s_waitcnt vmcnt(0)
	v_pk_fma_f32 v[8:9], v[12:13], v[144:145], v[6:7] op_sel:[0,0,1] op_sel_hi:[1,1,0] neg_lo:[0,0,1] neg_hi:[0,0,1]
	v_pk_fma_f32 v[6:7], v[12:13], v[144:145], v[6:7] op_sel:[0,0,1] op_sel_hi:[1,0,0]
	v_mov_b32_e32 v6, v143
	v_mov_b32_e32 v9, v7
	s_waitcnt lgkmcnt(0)
	v_pk_mul_f32 v[6:7], v[14:15], v[6:7] op_sel_hi:[1,0]
	v_pk_add_f32 v[4:5], v[4:5], v[8:9]
	v_pk_fma_f32 v[8:9], v[14:15], v[142:143], v[6:7] op_sel:[0,0,1] op_sel_hi:[1,1,0] neg_lo:[0,0,1] neg_hi:[0,0,1]
	v_pk_fma_f32 v[6:7], v[14:15], v[142:143], v[6:7] op_sel:[0,0,1] op_sel_hi:[1,0,0]
	v_mov_b32_e32 v6, v141
	v_mov_b32_e32 v9, v7
	v_pk_mul_f32 v[6:7], v[16:17], v[6:7] op_sel_hi:[1,0]
	v_pk_add_f32 v[4:5], v[4:5], v[8:9]
	v_pk_fma_f32 v[8:9], v[16:17], v[140:141], v[6:7] op_sel:[0,0,1] op_sel_hi:[1,1,0] neg_lo:[0,0,1] neg_hi:[0,0,1]
	v_pk_fma_f32 v[6:7], v[16:17], v[140:141], v[6:7] op_sel:[0,0,1] op_sel_hi:[1,0,0]
	v_mov_b32_e32 v9, v7
	v_pk_add_f32 v[4:5], v[4:5], v[8:9]
	v_pk_add_f32 v[2:3], v[2:3], v[4:5] neg_lo:[0,1] neg_hi:[0,1]
	buffer_store_dword v3, off, s[0:3], 0 offset:36
	buffer_store_dword v2, off, s[0:3], 0 offset:32
	s_and_saveexec_b64 s[4:5], vcc
	s_cbranch_execz .LBB98_217
; %bb.216:
	buffer_load_dword v2, off, s[0:3], 0 offset:24
	buffer_load_dword v3, off, s[0:3], 0 offset:28
	v_mov_b32_e32 v4, 0
	buffer_store_dword v4, off, s[0:3], 0 offset:24
	buffer_store_dword v4, off, s[0:3], 0 offset:28
	s_waitcnt vmcnt(2)
	ds_write_b64 v1, v[2:3]
.LBB98_217:
	s_or_b64 exec, exec, s[4:5]
	s_waitcnt lgkmcnt(0)
	; wave barrier
	s_waitcnt lgkmcnt(0)
	buffer_load_dword v5, off, s[0:3], 0 offset:36
	buffer_load_dword v124, off, s[0:3], 0 offset:44
	;; [unrolled: 1-line block ×48, first 2 shown]
	v_mov_b32_e32 v4, 0
	ds_read_b128 v[6:9], v4 offset:320
	ds_read_b128 v[10:13], v4 offset:336
	;; [unrolled: 1-line block ×6, first 2 shown]
	v_cmp_lt_u32_e32 vcc, 2, v0
	s_waitcnt vmcnt(47) lgkmcnt(5)
	v_mul_f32_e32 v100, v6, v5
	s_waitcnt vmcnt(46)
	v_mul_f32_e32 v101, v8, v124
	s_waitcnt vmcnt(45) lgkmcnt(4)
	v_mul_f32_e32 v102, v10, v126
	s_waitcnt vmcnt(44)
	v_mul_f32_e32 v103, v12, v128
	;; [unrolled: 4-line block ×6, first 2 shown]
	s_waitcnt vmcnt(35)
	v_fmac_f32_e32 v100, v7, v154
	s_waitcnt vmcnt(34)
	v_fmac_f32_e32 v101, v9, v155
	v_add_f32_e32 v100, 0, v100
	s_waitcnt vmcnt(33)
	v_fmac_f32_e32 v102, v11, v156
	v_add_f32_e32 v100, v100, v101
	;; [unrolled: 3-line block ×8, first 2 shown]
	v_add_f32_e32 v104, v100, v108
	ds_read_b128 v[100:103], v4 offset:416
	s_waitcnt vmcnt(26)
	v_fmac_f32_e32 v109, v95, v163
	s_waitcnt vmcnt(25)
	v_fmac_f32_e32 v110, v97, v164
	v_add_f32_e32 v104, v104, v109
	s_waitcnt vmcnt(24)
	v_fmac_f32_e32 v111, v99, v165
	v_add_f32_e32 v104, v104, v110
	v_add_f32_e32 v108, v104, v111
	ds_read_b128 v[104:107], v4 offset:432
	s_waitcnt vmcnt(23) lgkmcnt(1)
	v_mul_f32_e32 v109, v100, v166
	s_waitcnt vmcnt(22)
	v_fmac_f32_e32 v109, v101, v167
	v_add_f32_e32 v108, v108, v109
	s_waitcnt vmcnt(21)
	v_mul_f32_e32 v109, v102, v168
	s_waitcnt vmcnt(20)
	v_fmac_f32_e32 v109, v103, v169
	v_add_f32_e32 v108, v108, v109
	s_waitcnt vmcnt(19) lgkmcnt(0)
	v_mul_f32_e32 v109, v104, v170
	s_waitcnt vmcnt(18)
	v_fmac_f32_e32 v109, v105, v171
	v_add_f32_e32 v112, v108, v109
	ds_read_b128 v[108:111], v4 offset:448
	s_waitcnt vmcnt(17)
	v_mul_f32_e32 v113, v106, v172
	s_waitcnt vmcnt(16)
	v_fmac_f32_e32 v113, v107, v173
	v_add_f32_e32 v116, v112, v113
	ds_read_b128 v[112:115], v4 offset:464
	s_waitcnt vmcnt(15) lgkmcnt(1)
	v_mul_f32_e32 v117, v108, v174
	s_waitcnt vmcnt(14)
	v_fmac_f32_e32 v117, v109, v175
	v_add_f32_e32 v116, v116, v117
	s_waitcnt vmcnt(13)
	v_mul_f32_e32 v117, v110, v176
	s_waitcnt vmcnt(12)
	v_fmac_f32_e32 v117, v111, v177
	v_add_f32_e32 v116, v116, v117
	s_waitcnt vmcnt(11) lgkmcnt(0)
	v_mul_f32_e32 v117, v112, v178
	s_waitcnt vmcnt(10)
	v_fmac_f32_e32 v117, v113, v179
	s_waitcnt vmcnt(9)
	v_mul_f32_e32 v121, v114, v180
	v_add_f32_e32 v120, v116, v117
	s_waitcnt vmcnt(8)
	v_fmac_f32_e32 v121, v115, v181
	ds_read_b128 v[116:119], v4 offset:480
	v_add_f32_e32 v125, v120, v121
	ds_read_b128 v[120:123], v4 offset:496
	buffer_load_dword v131, off, s[0:3], 0 offset:244
	buffer_load_dword v130, off, s[0:3], 0 offset:240
	;; [unrolled: 1-line block ×16, first 2 shown]
	v_mul_f32_e32 v5, v7, v5
	v_fma_f32 v5, v6, v154, -v5
	v_mul_f32_e32 v6, v9, v124
	v_add_f32_e32 v5, 0, v5
	v_fma_f32 v6, v8, v155, -v6
	v_add_f32_e32 v5, v5, v6
	v_mul_f32_e32 v6, v11, v126
	v_fma_f32 v6, v10, v156, -v6
	v_add_f32_e32 v5, v5, v6
	v_mul_f32_e32 v6, v13, v128
	;; [unrolled: 3-line block ×18, first 2 shown]
	v_fma_f32 v6, v114, v181, -v6
	s_waitcnt vmcnt(22) lgkmcnt(1)
	v_mul_f32_e32 v127, v116, v183
	v_add_f32_e32 v5, v5, v6
	v_mul_f32_e32 v6, v117, v183
	v_fmac_f32_e32 v127, v117, v182
	v_fma_f32 v6, v116, v182, -v6
	v_add_f32_e32 v125, v125, v127
	s_waitcnt vmcnt(19)
	v_mul_f32_e32 v127, v118, v184
	v_add_f32_e32 v124, v5, v6
	v_mul_f32_e32 v5, v119, v184
	s_waitcnt vmcnt(18)
	v_fmac_f32_e32 v127, v119, v185
	s_waitcnt vmcnt(17) lgkmcnt(0)
	v_mul_f32_e32 v129, v120, v186
	s_waitcnt vmcnt(9)
	v_mov_b32_e32 v92, v137
	v_pk_mul_f32 v[92:93], v[122:123], v[92:93] op_sel_hi:[1,0]
	v_fma_f32 v126, v118, v185, -v5
	v_mul_f32_e32 v5, v121, v186
	ds_read_b128 v[6:9], v4 offset:512
	ds_read_b128 v[10:13], v4 offset:528
	ds_read_b128 v[14:17], v4 offset:544
	ds_read_b64 v[18:19], v4 offset:560
	s_waitcnt vmcnt(8)
	v_pk_fma_f32 v[94:95], v[122:123], v[136:137], v[92:93] op_sel:[0,0,1] op_sel_hi:[1,1,0] neg_lo:[0,0,1] neg_hi:[0,0,1]
	v_pk_fma_f32 v[92:93], v[122:123], v[136:137], v[92:93] op_sel:[0,0,1] op_sel_hi:[1,0,0]
	v_fmac_f32_e32 v129, v121, v187
	v_fma_f32 v128, v120, v187, -v5
	v_pk_add_f32 v[20:21], v[124:125], v[126:127]
	v_mov_b32_e32 v92, v135
	v_pk_add_f32 v[20:21], v[20:21], v[128:129]
	v_mov_b32_e32 v95, v93
	s_waitcnt lgkmcnt(3)
	v_pk_mul_f32 v[92:93], v[6:7], v[92:93] op_sel_hi:[1,0]
	v_pk_add_f32 v[20:21], v[20:21], v[94:95]
	v_pk_fma_f32 v[94:95], v[6:7], v[134:135], v[92:93] op_sel:[0,0,1] op_sel_hi:[1,1,0] neg_lo:[0,0,1] neg_hi:[0,0,1]
	v_pk_fma_f32 v[6:7], v[6:7], v[134:135], v[92:93] op_sel:[0,0,1] op_sel_hi:[1,0,0]
	v_mov_b32_e32 v95, v7
	v_pk_add_f32 v[6:7], v[20:21], v[94:95]
	v_mov_b32_e32 v20, v133
	v_pk_mul_f32 v[20:21], v[8:9], v[20:21] op_sel_hi:[1,0]
	v_pk_fma_f32 v[92:93], v[8:9], v[132:133], v[20:21] op_sel:[0,0,1] op_sel_hi:[1,1,0] neg_lo:[0,0,1] neg_hi:[0,0,1]
	v_pk_fma_f32 v[8:9], v[8:9], v[132:133], v[20:21] op_sel:[0,0,1] op_sel_hi:[1,0,0]
	v_mov_b32_e32 v8, v131
	v_mov_b32_e32 v93, v9
	s_waitcnt lgkmcnt(2)
	v_pk_mul_f32 v[8:9], v[10:11], v[8:9] op_sel_hi:[1,0]
	v_pk_fma_f32 v[20:21], v[10:11], v[130:131], v[8:9] op_sel:[0,0,1] op_sel_hi:[1,1,0] neg_lo:[0,0,1] neg_hi:[0,0,1]
	v_pk_fma_f32 v[8:9], v[10:11], v[130:131], v[8:9] op_sel:[0,0,1] op_sel_hi:[1,0,0]
	s_waitcnt vmcnt(1)
	v_mov_b32_e32 v8, v145
	v_mov_b32_e32 v21, v9
	v_pk_mul_f32 v[8:9], v[12:13], v[8:9] op_sel_hi:[1,0]
	s_waitcnt vmcnt(0)
	v_pk_fma_f32 v[10:11], v[12:13], v[144:145], v[8:9] op_sel:[0,0,1] op_sel_hi:[1,1,0] neg_lo:[0,0,1] neg_hi:[0,0,1]
	v_pk_fma_f32 v[8:9], v[12:13], v[144:145], v[8:9] op_sel:[0,0,1] op_sel_hi:[1,0,0]
	v_pk_add_f32 v[6:7], v[6:7], v[92:93]
	v_mov_b32_e32 v8, v143
	v_pk_add_f32 v[6:7], v[6:7], v[20:21]
	v_mov_b32_e32 v11, v9
	s_waitcnt lgkmcnt(1)
	v_pk_mul_f32 v[8:9], v[14:15], v[8:9] op_sel_hi:[1,0]
	v_pk_add_f32 v[6:7], v[6:7], v[10:11]
	v_pk_fma_f32 v[10:11], v[14:15], v[142:143], v[8:9] op_sel:[0,0,1] op_sel_hi:[1,1,0] neg_lo:[0,0,1] neg_hi:[0,0,1]
	v_pk_fma_f32 v[8:9], v[14:15], v[142:143], v[8:9] op_sel:[0,0,1] op_sel_hi:[1,0,0]
	v_mov_b32_e32 v8, v141
	v_mov_b32_e32 v11, v9
	v_pk_mul_f32 v[8:9], v[16:17], v[8:9] op_sel_hi:[1,0]
	v_pk_add_f32 v[6:7], v[6:7], v[10:11]
	v_pk_fma_f32 v[10:11], v[16:17], v[140:141], v[8:9] op_sel:[0,0,1] op_sel_hi:[1,1,0] neg_lo:[0,0,1] neg_hi:[0,0,1]
	v_pk_fma_f32 v[8:9], v[16:17], v[140:141], v[8:9] op_sel:[0,0,1] op_sel_hi:[1,0,0]
	v_mov_b32_e32 v8, v139
	v_mov_b32_e32 v11, v9
	s_waitcnt lgkmcnt(0)
	v_pk_mul_f32 v[8:9], v[18:19], v[8:9] op_sel_hi:[1,0]
	v_pk_add_f32 v[6:7], v[6:7], v[10:11]
	v_pk_fma_f32 v[10:11], v[18:19], v[138:139], v[8:9] op_sel:[0,0,1] op_sel_hi:[1,1,0] neg_lo:[0,0,1] neg_hi:[0,0,1]
	v_pk_fma_f32 v[8:9], v[18:19], v[138:139], v[8:9] op_sel:[0,0,1] op_sel_hi:[1,0,0]
	v_mov_b32_e32 v11, v9
	v_pk_add_f32 v[6:7], v[6:7], v[10:11]
	v_pk_add_f32 v[2:3], v[2:3], v[6:7] neg_lo:[0,1] neg_hi:[0,1]
	buffer_store_dword v3, off, s[0:3], 0 offset:28
	buffer_store_dword v2, off, s[0:3], 0 offset:24
	s_and_saveexec_b64 s[4:5], vcc
	s_cbranch_execz .LBB98_219
; %bb.218:
	buffer_load_dword v2, off, s[0:3], 0 offset:16
	buffer_load_dword v3, off, s[0:3], 0 offset:20
	s_waitcnt vmcnt(0)
	ds_write_b64 v1, v[2:3]
	buffer_store_dword v4, off, s[0:3], 0 offset:16
	buffer_store_dword v4, off, s[0:3], 0 offset:20
.LBB98_219:
	s_or_b64 exec, exec, s[4:5]
	s_waitcnt lgkmcnt(0)
	; wave barrier
	s_waitcnt lgkmcnt(0)
	buffer_load_dword v5, off, s[0:3], 0 offset:28
	buffer_load_dword v124, off, s[0:3], 0 offset:36
	;; [unrolled: 1-line block ×48, first 2 shown]
	ds_read2_b64 v[6:9], v4 offset0:39 offset1:40
	ds_read2_b64 v[10:13], v4 offset0:41 offset1:42
	;; [unrolled: 1-line block ×6, first 2 shown]
	buffer_load_dword v188, off, s[0:3], 0 offset:208
	buffer_load_dword v189, off, s[0:3], 0 offset:212
	v_cmp_lt_u32_e32 vcc, 1, v0
	s_waitcnt vmcnt(49) lgkmcnt(5)
	v_mul_f32_e32 v100, v6, v5
	s_waitcnt vmcnt(48)
	v_mul_f32_e32 v101, v8, v124
	s_waitcnt vmcnt(47) lgkmcnt(4)
	v_mul_f32_e32 v102, v10, v126
	s_waitcnt vmcnt(46)
	v_mul_f32_e32 v103, v12, v134
	;; [unrolled: 4-line block ×6, first 2 shown]
	s_waitcnt vmcnt(37)
	v_fmac_f32_e32 v100, v7, v154
	s_waitcnt vmcnt(36)
	v_fmac_f32_e32 v101, v9, v155
	v_add_f32_e32 v100, 0, v100
	s_waitcnt vmcnt(35)
	v_fmac_f32_e32 v102, v11, v156
	v_add_f32_e32 v100, v100, v101
	;; [unrolled: 3-line block ×9, first 2 shown]
	v_add_f32_e32 v104, v100, v109
	ds_read2_b64 v[100:103], v4 offset0:51 offset1:52
	s_waitcnt vmcnt(27)
	v_fmac_f32_e32 v110, v97, v164
	v_add_f32_e32 v104, v104, v110
	s_waitcnt vmcnt(26)
	v_fmac_f32_e32 v111, v99, v165
	v_add_f32_e32 v108, v104, v111
	ds_read2_b64 v[104:107], v4 offset0:53 offset1:54
	s_waitcnt vmcnt(25) lgkmcnt(1)
	v_mul_f32_e32 v109, v100, v166
	s_waitcnt vmcnt(24)
	v_fmac_f32_e32 v109, v101, v167
	v_add_f32_e32 v108, v108, v109
	s_waitcnt vmcnt(23)
	v_mul_f32_e32 v109, v102, v168
	s_waitcnt vmcnt(22)
	v_fmac_f32_e32 v109, v103, v169
	v_add_f32_e32 v108, v108, v109
	s_waitcnt vmcnt(21) lgkmcnt(0)
	v_mul_f32_e32 v109, v104, v170
	s_waitcnt vmcnt(20)
	v_fmac_f32_e32 v109, v105, v171
	v_add_f32_e32 v112, v108, v109
	ds_read2_b64 v[108:111], v4 offset0:55 offset1:56
	s_waitcnt vmcnt(19)
	v_mul_f32_e32 v113, v106, v172
	s_waitcnt vmcnt(18)
	v_fmac_f32_e32 v113, v107, v173
	v_add_f32_e32 v116, v112, v113
	ds_read2_b64 v[112:115], v4 offset0:57 offset1:58
	s_waitcnt vmcnt(17) lgkmcnt(1)
	v_mul_f32_e32 v117, v108, v174
	s_waitcnt vmcnt(16)
	v_fmac_f32_e32 v117, v109, v175
	v_add_f32_e32 v116, v116, v117
	s_waitcnt vmcnt(15)
	v_mul_f32_e32 v117, v110, v176
	s_waitcnt vmcnt(14)
	v_fmac_f32_e32 v117, v111, v177
	v_add_f32_e32 v116, v116, v117
	s_waitcnt vmcnt(13) lgkmcnt(0)
	v_mul_f32_e32 v117, v112, v178
	s_waitcnt vmcnt(12)
	v_fmac_f32_e32 v117, v113, v179
	s_waitcnt vmcnt(11)
	v_mul_f32_e32 v121, v114, v180
	v_add_f32_e32 v120, v116, v117
	s_waitcnt vmcnt(10)
	v_fmac_f32_e32 v121, v115, v181
	ds_read2_b64 v[116:119], v4 offset0:59 offset1:60
	v_add_f32_e32 v125, v120, v121
	ds_read2_b64 v[120:123], v4 offset0:61 offset1:62
	buffer_load_dword v129, off, s[0:3], 0 offset:236
	buffer_load_dword v128, off, s[0:3], 0 offset:232
	;; [unrolled: 1-line block ×16, first 2 shown]
	v_mul_f32_e32 v5, v7, v5
	v_fma_f32 v5, v6, v154, -v5
	v_mul_f32_e32 v6, v9, v124
	v_add_f32_e32 v5, 0, v5
	v_fma_f32 v6, v8, v155, -v6
	v_add_f32_e32 v5, v5, v6
	v_mul_f32_e32 v6, v11, v126
	v_fma_f32 v6, v10, v156, -v6
	v_add_f32_e32 v5, v5, v6
	v_mul_f32_e32 v6, v13, v134
	;; [unrolled: 3-line block ×18, first 2 shown]
	v_fma_f32 v6, v114, v181, -v6
	v_add_f32_e32 v5, v5, v6
	s_waitcnt vmcnt(23) lgkmcnt(1)
	v_mul_f32_e32 v6, v117, v182
	s_waitcnt vmcnt(22)
	v_fma_f32 v6, v116, v183, -v6
	v_add_f32_e32 v5, v5, v6
	s_waitcnt vmcnt(20)
	v_mul_f32_e32 v6, v119, v185
	v_fma_f32 v6, v118, v184, -v6
	v_add_f32_e32 v124, v5, v6
	ds_read2_b64 v[6:9], v4 offset0:63 offset1:64
	ds_read2_b64 v[10:13], v4 offset0:65 offset1:66
	ds_read2_b64 v[14:17], v4 offset0:67 offset1:68
	ds_read2_b64 v[18:21], v4 offset0:69 offset1:70
	v_mul_f32_e32 v127, v116, v182
	v_fmac_f32_e32 v127, v117, v183
	v_add_f32_e32 v125, v125, v127
	v_mul_f32_e32 v127, v118, v185
	v_fmac_f32_e32 v127, v119, v184
	v_add_f32_e32 v125, v125, v127
	s_waitcnt vmcnt(18) lgkmcnt(4)
	v_mul_f32_e32 v127, v120, v187
	v_mul_f32_e32 v5, v121, v187
	v_fmac_f32_e32 v127, v121, v186
	s_waitcnt vmcnt(16)
	v_mul_f32_e32 v135, v122, v189
	s_waitcnt vmcnt(11)
	v_mov_b32_e32 v92, v133
	s_waitcnt lgkmcnt(3)
	v_pk_mul_f32 v[92:93], v[6:7], v[92:93] op_sel_hi:[1,0]
	s_waitcnt vmcnt(10)
	v_pk_fma_f32 v[94:95], v[6:7], v[132:133], v[92:93] op_sel:[0,0,1] op_sel_hi:[1,1,0] neg_lo:[0,0,1] neg_hi:[0,0,1]
	v_pk_fma_f32 v[6:7], v[6:7], v[132:133], v[92:93] op_sel:[0,0,1] op_sel_hi:[1,0,0]
	v_mov_b32_e32 v6, v131
	v_mov_b32_e32 v95, v7
	v_pk_mul_f32 v[6:7], v[8:9], v[6:7] op_sel_hi:[1,0]
	v_pk_fma_f32 v[92:93], v[8:9], v[130:131], v[6:7] op_sel:[0,0,1] op_sel_hi:[1,1,0] neg_lo:[0,0,1] neg_hi:[0,0,1]
	v_pk_fma_f32 v[6:7], v[8:9], v[130:131], v[6:7] op_sel:[0,0,1] op_sel_hi:[1,0,0]
	v_fma_f32 v126, v120, v186, -v5
	v_mul_f32_e32 v5, v123, v189
	v_mov_b32_e32 v6, v129
	v_fmac_f32_e32 v135, v123, v188
	v_fma_f32 v134, v122, v188, -v5
	v_pk_add_f32 v[4:5], v[124:125], v[126:127]
	v_mov_b32_e32 v93, v7
	s_waitcnt lgkmcnt(2)
	v_pk_mul_f32 v[6:7], v[10:11], v[6:7] op_sel_hi:[1,0]
	v_pk_add_f32 v[4:5], v[4:5], v[134:135]
	v_pk_fma_f32 v[8:9], v[10:11], v[128:129], v[6:7] op_sel:[0,0,1] op_sel_hi:[1,1,0] neg_lo:[0,0,1] neg_hi:[0,0,1]
	v_pk_fma_f32 v[6:7], v[10:11], v[128:129], v[6:7] op_sel:[0,0,1] op_sel_hi:[1,0,0]
	v_pk_add_f32 v[4:5], v[4:5], v[94:95]
	s_waitcnt vmcnt(3)
	v_mov_b32_e32 v6, v143
	v_pk_add_f32 v[4:5], v[4:5], v[92:93]
	v_mov_b32_e32 v9, v7
	v_pk_mul_f32 v[6:7], v[12:13], v[6:7] op_sel_hi:[1,0]
	v_pk_add_f32 v[4:5], v[4:5], v[8:9]
	s_waitcnt vmcnt(2)
	v_pk_fma_f32 v[8:9], v[12:13], v[142:143], v[6:7] op_sel:[0,0,1] op_sel_hi:[1,1,0] neg_lo:[0,0,1] neg_hi:[0,0,1]
	v_pk_fma_f32 v[6:7], v[12:13], v[142:143], v[6:7] op_sel:[0,0,1] op_sel_hi:[1,0,0]
	v_mov_b32_e32 v6, v141
	v_mov_b32_e32 v9, v7
	s_waitcnt lgkmcnt(1)
	v_pk_mul_f32 v[6:7], v[14:15], v[6:7] op_sel_hi:[1,0]
	v_pk_add_f32 v[4:5], v[4:5], v[8:9]
	v_pk_fma_f32 v[8:9], v[14:15], v[140:141], v[6:7] op_sel:[0,0,1] op_sel_hi:[1,1,0] neg_lo:[0,0,1] neg_hi:[0,0,1]
	v_pk_fma_f32 v[6:7], v[14:15], v[140:141], v[6:7] op_sel:[0,0,1] op_sel_hi:[1,0,0]
	v_mov_b32_e32 v6, v139
	v_mov_b32_e32 v9, v7
	v_pk_mul_f32 v[6:7], v[16:17], v[6:7] op_sel_hi:[1,0]
	v_pk_add_f32 v[4:5], v[4:5], v[8:9]
	v_pk_fma_f32 v[8:9], v[16:17], v[138:139], v[6:7] op_sel:[0,0,1] op_sel_hi:[1,1,0] neg_lo:[0,0,1] neg_hi:[0,0,1]
	v_pk_fma_f32 v[6:7], v[16:17], v[138:139], v[6:7] op_sel:[0,0,1] op_sel_hi:[1,0,0]
	v_mov_b32_e32 v6, v137
	v_mov_b32_e32 v9, v7
	s_waitcnt lgkmcnt(0)
	v_pk_mul_f32 v[6:7], v[18:19], v[6:7] op_sel_hi:[1,0]
	v_pk_add_f32 v[4:5], v[4:5], v[8:9]
	v_pk_fma_f32 v[8:9], v[18:19], v[136:137], v[6:7] op_sel:[0,0,1] op_sel_hi:[1,1,0] neg_lo:[0,0,1] neg_hi:[0,0,1]
	v_pk_fma_f32 v[6:7], v[18:19], v[136:137], v[6:7] op_sel:[0,0,1] op_sel_hi:[1,0,0]
	s_waitcnt vmcnt(1)
	v_mov_b32_e32 v6, v145
	v_mov_b32_e32 v9, v7
	v_pk_mul_f32 v[6:7], v[20:21], v[6:7] op_sel_hi:[1,0]
	v_pk_add_f32 v[4:5], v[4:5], v[8:9]
	s_waitcnt vmcnt(0)
	v_pk_fma_f32 v[8:9], v[20:21], v[144:145], v[6:7] op_sel:[0,0,1] op_sel_hi:[1,1,0] neg_lo:[0,0,1] neg_hi:[0,0,1]
	v_pk_fma_f32 v[6:7], v[20:21], v[144:145], v[6:7] op_sel:[0,0,1] op_sel_hi:[1,0,0]
	v_mov_b32_e32 v9, v7
	v_pk_add_f32 v[4:5], v[4:5], v[8:9]
	v_pk_add_f32 v[2:3], v[2:3], v[4:5] neg_lo:[0,1] neg_hi:[0,1]
	buffer_store_dword v3, off, s[0:3], 0 offset:20
	buffer_store_dword v2, off, s[0:3], 0 offset:16
	s_and_saveexec_b64 s[4:5], vcc
	s_cbranch_execz .LBB98_221
; %bb.220:
	buffer_load_dword v2, off, s[0:3], 0 offset:8
	buffer_load_dword v3, off, s[0:3], 0 offset:12
	v_mov_b32_e32 v4, 0
	buffer_store_dword v4, off, s[0:3], 0 offset:8
	buffer_store_dword v4, off, s[0:3], 0 offset:12
	s_waitcnt vmcnt(2)
	ds_write_b64 v1, v[2:3]
.LBB98_221:
	s_or_b64 exec, exec, s[4:5]
	s_waitcnt lgkmcnt(0)
	; wave barrier
	s_waitcnt lgkmcnt(0)
	buffer_load_dword v5, off, s[0:3], 0 offset:20
	buffer_load_dword v132, off, s[0:3], 0 offset:28
	;; [unrolled: 1-line block ×52, first 2 shown]
	v_mov_b32_e32 v4, 0
	ds_read_b128 v[6:9], v4 offset:304
	ds_read_b128 v[10:13], v4 offset:320
	;; [unrolled: 1-line block ×6, first 2 shown]
	v_cmp_ne_u32_e32 vcc, 0, v0
	s_waitcnt vmcnt(51) lgkmcnt(5)
	v_mul_f32_e32 v100, v6, v5
	s_waitcnt vmcnt(50)
	v_mul_f32_e32 v101, v8, v132
	s_waitcnt vmcnt(49) lgkmcnt(4)
	v_mul_f32_e32 v102, v10, v138
	s_waitcnt vmcnt(48)
	v_mul_f32_e32 v103, v12, v140
	;; [unrolled: 4-line block ×5, first 2 shown]
	s_waitcnt vmcnt(41) lgkmcnt(0)
	v_mul_f32_e32 v110, v96, v160
	s_waitcnt vmcnt(40)
	v_fmac_f32_e32 v100, v7, v161
	s_waitcnt vmcnt(39)
	v_fmac_f32_e32 v101, v9, v162
	v_add_f32_e32 v100, 0, v100
	s_waitcnt vmcnt(38)
	v_fmac_f32_e32 v102, v11, v163
	v_add_f32_e32 v100, v100, v101
	;; [unrolled: 3-line block ×9, first 2 shown]
	v_add_f32_e32 v100, v100, v109
	s_waitcnt vmcnt(30)
	v_fmac_f32_e32 v110, v97, v171
	v_add_f32_e32 v104, v100, v110
	ds_read_b128 v[100:103], v4 offset:400
	s_waitcnt vmcnt(29)
	v_mul_f32_e32 v105, v98, v172
	s_waitcnt vmcnt(28)
	v_fmac_f32_e32 v105, v99, v173
	v_add_f32_e32 v108, v104, v105
	ds_read_b128 v[104:107], v4 offset:416
	s_waitcnt vmcnt(27) lgkmcnt(1)
	v_mul_f32_e32 v109, v100, v174
	s_waitcnt vmcnt(26)
	v_fmac_f32_e32 v109, v101, v175
	v_add_f32_e32 v108, v108, v109
	s_waitcnt vmcnt(25)
	v_mul_f32_e32 v109, v102, v176
	s_waitcnt vmcnt(24)
	v_fmac_f32_e32 v109, v103, v177
	v_add_f32_e32 v108, v108, v109
	s_waitcnt vmcnt(23) lgkmcnt(0)
	v_mul_f32_e32 v109, v104, v178
	s_waitcnt vmcnt(22)
	v_fmac_f32_e32 v109, v105, v179
	v_add_f32_e32 v112, v108, v109
	ds_read_b128 v[108:111], v4 offset:432
	s_waitcnt vmcnt(21)
	v_mul_f32_e32 v113, v106, v180
	s_waitcnt vmcnt(20)
	v_fmac_f32_e32 v113, v107, v181
	v_add_f32_e32 v116, v112, v113
	ds_read_b128 v[112:115], v4 offset:448
	s_waitcnt vmcnt(19) lgkmcnt(1)
	v_mul_f32_e32 v117, v108, v182
	s_waitcnt vmcnt(18)
	v_fmac_f32_e32 v117, v109, v183
	v_add_f32_e32 v116, v116, v117
	s_waitcnt vmcnt(17)
	v_mul_f32_e32 v117, v110, v184
	s_waitcnt vmcnt(16)
	v_fmac_f32_e32 v117, v111, v185
	v_add_f32_e32 v116, v116, v117
	s_waitcnt vmcnt(14) lgkmcnt(0)
	v_mul_f32_e32 v117, v112, v187
	v_fmac_f32_e32 v117, v113, v186
	v_add_f32_e32 v120, v116, v117
	ds_read_b128 v[116:119], v4 offset:464
	s_waitcnt vmcnt(10)
	v_mul_f32_e32 v121, v114, v189
	v_fmac_f32_e32 v121, v115, v188
	v_add_f32_e32 v124, v120, v121
	ds_read_b128 v[120:123], v4 offset:480
	s_waitcnt vmcnt(8) lgkmcnt(1)
	v_mul_f32_e32 v125, v116, v191
	v_fmac_f32_e32 v125, v117, v190
	v_add_f32_e32 v124, v124, v125
	s_waitcnt vmcnt(6)
	v_mul_f32_e32 v125, v118, v193
	v_fmac_f32_e32 v125, v119, v192
	v_add_f32_e32 v124, v124, v125
	s_waitcnt vmcnt(4) lgkmcnt(0)
	v_mul_f32_e32 v125, v120, v195
	v_fmac_f32_e32 v125, v121, v194
	v_add_f32_e32 v133, v124, v125
	ds_read_b128 v[124:127], v4 offset:496
	buffer_load_dword v135, off, s[0:3], 0 offset:228
	buffer_load_dword v134, off, s[0:3], 0 offset:224
	;; [unrolled: 1-line block ×4, first 2 shown]
	ds_read_b128 v[128:131], v4 offset:512
	buffer_load_dword v143, off, s[0:3], 0 offset:260
	buffer_load_dword v142, off, s[0:3], 0 offset:256
	;; [unrolled: 1-line block ×12, first 2 shown]
	v_mul_f32_e32 v5, v7, v5
	v_fma_f32 v5, v6, v161, -v5
	v_mul_f32_e32 v6, v9, v132
	v_add_f32_e32 v5, 0, v5
	v_fma_f32 v6, v8, v162, -v6
	v_add_f32_e32 v5, v5, v6
	v_mul_f32_e32 v6, v11, v138
	v_fma_f32 v6, v10, v163, -v6
	v_add_f32_e32 v5, v5, v6
	v_mul_f32_e32 v6, v13, v140
	v_fma_f32 v6, v12, v164, -v6
	v_add_f32_e32 v5, v5, v6
	v_mul_f32_e32 v6, v15, v154
	v_fma_f32 v6, v14, v165, -v6
	v_add_f32_e32 v5, v5, v6
	v_mul_f32_e32 v6, v17, v155
	v_fma_f32 v6, v16, v166, -v6
	v_add_f32_e32 v5, v5, v6
	v_mul_f32_e32 v6, v19, v156
	v_fma_f32 v6, v18, v167, -v6
	v_add_f32_e32 v5, v5, v6
	v_mul_f32_e32 v6, v21, v157
	v_fma_f32 v6, v20, v168, -v6
	v_add_f32_e32 v5, v5, v6
	v_mul_f32_e32 v6, v93, v158
	v_fma_f32 v6, v92, v169, -v6
	v_add_f32_e32 v5, v5, v6
	v_mul_f32_e32 v6, v95, v159
	v_fma_f32 v6, v94, v170, -v6
	v_add_f32_e32 v5, v5, v6
	v_mul_f32_e32 v6, v97, v160
	v_fma_f32 v6, v96, v171, -v6
	v_add_f32_e32 v5, v5, v6
	v_mul_f32_e32 v6, v99, v172
	v_fma_f32 v6, v98, v173, -v6
	v_add_f32_e32 v5, v5, v6
	v_mul_f32_e32 v6, v101, v174
	v_fma_f32 v6, v100, v175, -v6
	v_add_f32_e32 v5, v5, v6
	v_mul_f32_e32 v6, v103, v176
	v_fma_f32 v6, v102, v177, -v6
	v_add_f32_e32 v5, v5, v6
	v_mul_f32_e32 v6, v105, v178
	v_fma_f32 v6, v104, v179, -v6
	v_add_f32_e32 v5, v5, v6
	v_mul_f32_e32 v6, v107, v180
	v_fma_f32 v6, v106, v181, -v6
	v_add_f32_e32 v5, v5, v6
	v_mul_f32_e32 v6, v109, v182
	v_fma_f32 v6, v108, v183, -v6
	v_add_f32_e32 v5, v5, v6
	v_mul_f32_e32 v6, v111, v184
	v_fma_f32 v6, v110, v185, -v6
	v_add_f32_e32 v5, v5, v6
	v_mul_f32_e32 v6, v113, v187
	v_fma_f32 v6, v112, v186, -v6
	v_add_f32_e32 v5, v5, v6
	v_mul_f32_e32 v6, v115, v189
	v_fma_f32 v6, v114, v188, -v6
	v_add_f32_e32 v5, v5, v6
	v_mul_f32_e32 v6, v117, v191
	v_fma_f32 v6, v116, v190, -v6
	v_add_f32_e32 v5, v5, v6
	v_mul_f32_e32 v6, v119, v193
	v_fma_f32 v6, v118, v192, -v6
	v_add_f32_e32 v5, v5, v6
	v_mul_f32_e32 v6, v121, v195
	v_fma_f32 v6, v120, v194, -v6
	s_waitcnt vmcnt(18)
	v_mul_f32_e32 v139, v122, v197
	v_add_f32_e32 v132, v5, v6
	v_mul_f32_e32 v5, v123, v197
	v_fmac_f32_e32 v139, v123, v196
	s_waitcnt vmcnt(16) lgkmcnt(1)
	v_mul_f32_e32 v141, v124, v199
	v_fma_f32 v138, v122, v196, -v5
	v_mul_f32_e32 v5, v125, v199
	v_fmac_f32_e32 v141, v125, v198
	s_waitcnt vmcnt(13)
	v_mov_b32_e32 v18, v137
	v_pk_mul_f32 v[18:19], v[126:127], v[18:19] op_sel_hi:[1,0]
	s_waitcnt vmcnt(12)
	v_pk_fma_f32 v[20:21], v[126:127], v[136:137], v[18:19] op_sel:[0,0,1] op_sel_hi:[1,1,0] neg_lo:[0,0,1] neg_hi:[0,0,1]
	v_pk_fma_f32 v[18:19], v[126:127], v[136:137], v[18:19] op_sel:[0,0,1] op_sel_hi:[1,0,0]
	v_fma_f32 v140, v124, v198, -v5
	v_pk_add_f32 v[16:17], v[132:133], v[138:139]
	v_mov_b32_e32 v18, v135
	v_pk_add_f32 v[16:17], v[16:17], v[140:141]
	v_mov_b32_e32 v21, v19
	s_waitcnt lgkmcnt(0)
	v_pk_mul_f32 v[18:19], v[128:129], v[18:19] op_sel_hi:[1,0]
	v_pk_add_f32 v[16:17], v[16:17], v[20:21]
	v_pk_fma_f32 v[20:21], v[128:129], v[134:135], v[18:19] op_sel:[0,0,1] op_sel_hi:[1,1,0] neg_lo:[0,0,1] neg_hi:[0,0,1]
	v_pk_fma_f32 v[18:19], v[128:129], v[134:135], v[18:19] op_sel:[0,0,1] op_sel_hi:[1,0,0]
	s_waitcnt vmcnt(5)
	v_mov_b32_e32 v18, v149
	ds_read_b128 v[6:9], v4 offset:528
	ds_read_b128 v[10:13], v4 offset:544
	ds_read_b64 v[14:15], v4 offset:560
	v_mov_b32_e32 v21, v19
	v_pk_mul_f32 v[18:19], v[130:131], v[18:19] op_sel_hi:[1,0]
	v_pk_add_f32 v[16:17], v[16:17], v[20:21]
	s_waitcnt vmcnt(4)
	v_pk_fma_f32 v[20:21], v[130:131], v[148:149], v[18:19] op_sel:[0,0,1] op_sel_hi:[1,1,0] neg_lo:[0,0,1] neg_hi:[0,0,1]
	v_pk_fma_f32 v[18:19], v[130:131], v[148:149], v[18:19] op_sel:[0,0,1] op_sel_hi:[1,0,0]
	v_mov_b32_e32 v18, v147
	v_mov_b32_e32 v21, v19
	s_waitcnt lgkmcnt(2)
	v_pk_mul_f32 v[18:19], v[6:7], v[18:19] op_sel_hi:[1,0]
	v_pk_add_f32 v[16:17], v[16:17], v[20:21]
	v_pk_fma_f32 v[20:21], v[6:7], v[146:147], v[18:19] op_sel:[0,0,1] op_sel_hi:[1,1,0] neg_lo:[0,0,1] neg_hi:[0,0,1]
	v_pk_fma_f32 v[6:7], v[6:7], v[146:147], v[18:19] op_sel:[0,0,1] op_sel_hi:[1,0,0]
	v_mov_b32_e32 v21, v7
	v_pk_add_f32 v[6:7], v[16:17], v[20:21]
	v_mov_b32_e32 v16, v145
	v_pk_mul_f32 v[16:17], v[8:9], v[16:17] op_sel_hi:[1,0]
	v_pk_fma_f32 v[18:19], v[8:9], v[144:145], v[16:17] op_sel:[0,0,1] op_sel_hi:[1,1,0] neg_lo:[0,0,1] neg_hi:[0,0,1]
	v_pk_fma_f32 v[8:9], v[8:9], v[144:145], v[16:17] op_sel:[0,0,1] op_sel_hi:[1,0,0]
	v_mov_b32_e32 v8, v143
	v_mov_b32_e32 v19, v9
	s_waitcnt lgkmcnt(1)
	v_pk_mul_f32 v[8:9], v[10:11], v[8:9] op_sel_hi:[1,0]
	v_pk_fma_f32 v[16:17], v[10:11], v[142:143], v[8:9] op_sel:[0,0,1] op_sel_hi:[1,1,0] neg_lo:[0,0,1] neg_hi:[0,0,1]
	v_pk_fma_f32 v[8:9], v[10:11], v[142:143], v[8:9] op_sel:[0,0,1] op_sel_hi:[1,0,0]
	s_waitcnt vmcnt(1)
	v_mov_b32_e32 v8, v153
	v_mov_b32_e32 v17, v9
	v_pk_mul_f32 v[8:9], v[12:13], v[8:9] op_sel_hi:[1,0]
	s_waitcnt vmcnt(0)
	v_pk_fma_f32 v[10:11], v[12:13], v[152:153], v[8:9] op_sel:[0,0,1] op_sel_hi:[1,1,0] neg_lo:[0,0,1] neg_hi:[0,0,1]
	v_pk_fma_f32 v[8:9], v[12:13], v[152:153], v[8:9] op_sel:[0,0,1] op_sel_hi:[1,0,0]
	v_pk_add_f32 v[6:7], v[6:7], v[18:19]
	v_mov_b32_e32 v8, v151
	v_pk_add_f32 v[6:7], v[6:7], v[16:17]
	v_mov_b32_e32 v11, v9
	s_waitcnt lgkmcnt(0)
	v_pk_mul_f32 v[8:9], v[14:15], v[8:9] op_sel_hi:[1,0]
	v_pk_add_f32 v[6:7], v[6:7], v[10:11]
	v_pk_fma_f32 v[10:11], v[14:15], v[150:151], v[8:9] op_sel:[0,0,1] op_sel_hi:[1,1,0] neg_lo:[0,0,1] neg_hi:[0,0,1]
	v_pk_fma_f32 v[8:9], v[14:15], v[150:151], v[8:9] op_sel:[0,0,1] op_sel_hi:[1,0,0]
	v_mov_b32_e32 v11, v9
	v_pk_add_f32 v[6:7], v[6:7], v[10:11]
	v_pk_add_f32 v[2:3], v[2:3], v[6:7] neg_lo:[0,1] neg_hi:[0,1]
	buffer_store_dword v3, off, s[0:3], 0 offset:12
	buffer_store_dword v2, off, s[0:3], 0 offset:8
	s_and_saveexec_b64 s[4:5], vcc
	s_cbranch_execz .LBB98_223
; %bb.222:
	buffer_load_dword v2, off, s[0:3], 0
	buffer_load_dword v3, off, s[0:3], 0 offset:4
	s_waitcnt vmcnt(0)
	ds_write_b64 v1, v[2:3]
	buffer_store_dword v4, off, s[0:3], 0
	buffer_store_dword v4, off, s[0:3], 0 offset:4
.LBB98_223:
	s_or_b64 exec, exec, s[4:5]
	s_waitcnt lgkmcnt(0)
	; wave barrier
	s_waitcnt lgkmcnt(0)
	buffer_load_dword v2, off, s[0:3], 0 offset:12
	buffer_load_dword v3, off, s[0:3], 0 offset:20
	;; [unrolled: 1-line block ×36, first 2 shown]
	buffer_load_dword v0, off, s[0:3], 0
	buffer_load_dword v1, off, s[0:3], 0 offset:4
	buffer_load_dword v184, off, s[0:3], 0 offset:156
	buffer_load_dword v185, off, s[0:3], 0 offset:152
	buffer_load_dword v186, off, s[0:3], 0 offset:160
	buffer_load_dword v187, off, s[0:3], 0 offset:164
	ds_read2_b64 v[6:9], v4 offset0:37 offset1:38
	ds_read2_b64 v[10:13], v4 offset0:39 offset1:40
	buffer_load_dword v188, off, s[0:3], 0 offset:168
	buffer_load_dword v189, off, s[0:3], 0 offset:172
	ds_read2_b64 v[14:17], v4 offset0:41 offset1:42
	ds_read2_b64 v[18:21], v4 offset0:43 offset1:44
	buffer_load_dword v190, off, s[0:3], 0 offset:176
	buffer_load_dword v191, off, s[0:3], 0 offset:180
	;; [unrolled: 1-line block ×4, first 2 shown]
	ds_read2_b64 v[92:95], v4 offset0:45 offset1:46
	ds_read2_b64 v[96:99], v4 offset0:47 offset1:48
	buffer_load_dword v194, off, s[0:3], 0 offset:192
	buffer_load_dword v195, off, s[0:3], 0 offset:196
	;; [unrolled: 1-line block ×6, first 2 shown]
	s_and_b64 vcc, exec, s[16:17]
	s_waitcnt vmcnt(53) lgkmcnt(5)
	v_mul_f32_e32 v100, v6, v2
	s_waitcnt vmcnt(52)
	v_mul_f32_e32 v101, v8, v3
	s_waitcnt vmcnt(51) lgkmcnt(4)
	v_mul_f32_e32 v102, v10, v5
	s_waitcnt vmcnt(50)
	v_mul_f32_e32 v103, v12, v134
	;; [unrolled: 4-line block ×5, first 2 shown]
	s_waitcnt vmcnt(43)
	v_fmac_f32_e32 v100, v7, v158
	s_waitcnt vmcnt(42)
	v_fmac_f32_e32 v101, v9, v159
	v_add_f32_e32 v100, 0, v100
	s_waitcnt vmcnt(41)
	v_fmac_f32_e32 v102, v11, v160
	v_add_f32_e32 v100, v100, v101
	;; [unrolled: 3-line block ×9, first 2 shown]
	s_waitcnt vmcnt(33) lgkmcnt(0)
	v_mul_f32_e32 v101, v96, v168
	v_add_f32_e32 v100, v100, v109
	s_waitcnt vmcnt(32)
	v_fmac_f32_e32 v101, v97, v169
	v_add_f32_e32 v104, v100, v101
	ds_read2_b64 v[100:103], v4 offset0:49 offset1:50
	s_waitcnt vmcnt(31)
	v_mul_f32_e32 v105, v98, v170
	s_waitcnt vmcnt(30)
	v_fmac_f32_e32 v105, v99, v171
	v_add_f32_e32 v108, v104, v105
	ds_read2_b64 v[104:107], v4 offset0:51 offset1:52
	s_waitcnt vmcnt(29) lgkmcnt(1)
	v_mul_f32_e32 v109, v100, v172
	s_waitcnt vmcnt(28)
	v_fmac_f32_e32 v109, v101, v173
	v_add_f32_e32 v108, v108, v109
	s_waitcnt vmcnt(27)
	v_mul_f32_e32 v109, v102, v174
	s_waitcnt vmcnt(26)
	v_fmac_f32_e32 v109, v103, v175
	v_add_f32_e32 v108, v108, v109
	s_waitcnt vmcnt(25) lgkmcnt(0)
	v_mul_f32_e32 v109, v104, v176
	s_waitcnt vmcnt(24)
	v_fmac_f32_e32 v109, v105, v177
	v_add_f32_e32 v112, v108, v109
	ds_read2_b64 v[108:111], v4 offset0:53 offset1:54
	s_waitcnt vmcnt(23)
	v_mul_f32_e32 v113, v106, v178
	s_waitcnt vmcnt(22)
	v_fmac_f32_e32 v113, v107, v179
	v_add_f32_e32 v116, v112, v113
	ds_read2_b64 v[112:115], v4 offset0:55 offset1:56
	s_waitcnt vmcnt(21) lgkmcnt(1)
	v_mul_f32_e32 v117, v108, v180
	s_waitcnt vmcnt(20)
	v_fmac_f32_e32 v117, v109, v181
	v_add_f32_e32 v116, v116, v117
	s_waitcnt vmcnt(18)
	v_mul_f32_e32 v117, v110, v183
	v_fmac_f32_e32 v117, v111, v182
	v_add_f32_e32 v116, v116, v117
	s_waitcnt vmcnt(15) lgkmcnt(0)
	v_mul_f32_e32 v117, v112, v184
	s_waitcnt vmcnt(14)
	v_fmac_f32_e32 v117, v113, v185
	v_add_f32_e32 v120, v116, v117
	ds_read2_b64 v[116:119], v4 offset0:57 offset1:58
	s_waitcnt vmcnt(12)
	v_mul_f32_e32 v121, v114, v187
	v_fmac_f32_e32 v121, v115, v186
	v_add_f32_e32 v124, v120, v121
	ds_read2_b64 v[120:123], v4 offset0:59 offset1:60
	buffer_load_dword v133, off, s[0:3], 0 offset:220
	buffer_load_dword v132, off, s[0:3], 0 offset:216
	s_waitcnt vmcnt(12) lgkmcnt(1)
	v_mul_f32_e32 v125, v116, v189
	v_fmac_f32_e32 v125, v117, v188
	v_add_f32_e32 v124, v124, v125
	s_waitcnt vmcnt(10)
	v_mul_f32_e32 v125, v118, v191
	v_fmac_f32_e32 v125, v119, v190
	v_add_f32_e32 v124, v124, v125
	s_waitcnt vmcnt(8) lgkmcnt(0)
	v_mul_f32_e32 v125, v120, v193
	v_fmac_f32_e32 v125, v121, v192
	s_waitcnt vmcnt(6)
	v_mul_f32_e32 v129, v122, v195
	v_add_f32_e32 v128, v124, v125
	v_fmac_f32_e32 v129, v123, v194
	ds_read2_b64 v[124:127], v4 offset0:61 offset1:62
	v_add_f32_e32 v135, v128, v129
	ds_read2_b64 v[128:131], v4 offset0:63 offset1:64
	buffer_load_dword v141, off, s[0:3], 0 offset:252
	buffer_load_dword v140, off, s[0:3], 0 offset:248
	;; [unrolled: 1-line block ×14, first 2 shown]
	v_mul_f32_e32 v2, v7, v2
	v_fma_f32 v2, v6, v158, -v2
	v_mul_f32_e32 v3, v9, v3
	v_add_f32_e32 v2, 0, v2
	v_fma_f32 v3, v8, v159, -v3
	v_add_f32_e32 v2, v2, v3
	v_mul_f32_e32 v3, v11, v5
	v_fma_f32 v3, v10, v160, -v3
	v_add_f32_e32 v2, v2, v3
	v_mul_f32_e32 v3, v13, v134
	v_fma_f32 v3, v12, v161, -v3
	v_add_f32_e32 v2, v2, v3
	v_mul_f32_e32 v3, v15, v136
	v_fma_f32 v3, v14, v162, -v3
	v_add_f32_e32 v2, v2, v3
	v_mul_f32_e32 v3, v17, v138
	v_fma_f32 v3, v16, v163, -v3
	v_add_f32_e32 v2, v2, v3
	v_mul_f32_e32 v3, v19, v154
	v_fma_f32 v3, v18, v164, -v3
	v_add_f32_e32 v2, v2, v3
	v_mul_f32_e32 v3, v21, v155
	v_fma_f32 v3, v20, v165, -v3
	v_add_f32_e32 v2, v2, v3
	v_mul_f32_e32 v3, v93, v156
	v_fma_f32 v3, v92, v166, -v3
	v_add_f32_e32 v2, v2, v3
	v_mul_f32_e32 v3, v95, v157
	v_fma_f32 v3, v94, v167, -v3
	v_add_f32_e32 v2, v2, v3
	v_mul_f32_e32 v3, v97, v168
	v_fma_f32 v3, v96, v169, -v3
	v_add_f32_e32 v2, v2, v3
	v_mul_f32_e32 v3, v99, v170
	v_fma_f32 v3, v98, v171, -v3
	v_add_f32_e32 v2, v2, v3
	v_mul_f32_e32 v3, v101, v172
	v_fma_f32 v3, v100, v173, -v3
	v_add_f32_e32 v2, v2, v3
	v_mul_f32_e32 v3, v103, v174
	v_fma_f32 v3, v102, v175, -v3
	v_add_f32_e32 v2, v2, v3
	v_mul_f32_e32 v3, v105, v176
	v_fma_f32 v3, v104, v177, -v3
	v_add_f32_e32 v2, v2, v3
	v_mul_f32_e32 v3, v107, v178
	v_fma_f32 v3, v106, v179, -v3
	v_add_f32_e32 v2, v2, v3
	v_mul_f32_e32 v3, v109, v180
	v_fma_f32 v3, v108, v181, -v3
	v_add_f32_e32 v2, v2, v3
	v_mul_f32_e32 v3, v111, v183
	v_fma_f32 v3, v110, v182, -v3
	v_add_f32_e32 v2, v2, v3
	v_mul_f32_e32 v3, v113, v184
	v_fma_f32 v3, v112, v185, -v3
	v_add_f32_e32 v2, v2, v3
	v_mul_f32_e32 v3, v115, v187
	v_fma_f32 v3, v114, v186, -v3
	v_add_f32_e32 v2, v2, v3
	v_mul_f32_e32 v3, v117, v189
	v_fma_f32 v3, v116, v188, -v3
	v_add_f32_e32 v2, v2, v3
	v_mul_f32_e32 v3, v119, v191
	v_fma_f32 v3, v118, v190, -v3
	v_add_f32_e32 v2, v2, v3
	v_mul_f32_e32 v3, v121, v193
	v_fma_f32 v3, v120, v192, -v3
	v_add_f32_e32 v2, v2, v3
	v_mul_f32_e32 v3, v123, v195
	v_fma_f32 v3, v122, v194, -v3
	s_waitcnt vmcnt(15)
	v_mov_b32_e32 v16, v133
	s_waitcnt lgkmcnt(1)
	v_mul_f32_e32 v137, v124, v197
	v_add_f32_e32 v134, v2, v3
	v_mul_f32_e32 v2, v125, v197
	s_waitcnt lgkmcnt(0)
	v_pk_mul_f32 v[16:17], v[128:129], v[16:17] op_sel_hi:[1,0]
	v_fmac_f32_e32 v137, v125, v196
	v_mul_f32_e32 v139, v126, v199
	v_fma_f32 v136, v124, v196, -v2
	v_mul_f32_e32 v2, v127, v199
	s_waitcnt vmcnt(14)
	v_pk_fma_f32 v[18:19], v[128:129], v[132:133], v[16:17] op_sel:[0,0,1] op_sel_hi:[1,1,0] neg_lo:[0,0,1] neg_hi:[0,0,1]
	v_pk_fma_f32 v[16:17], v[128:129], v[132:133], v[16:17] op_sel:[0,0,1] op_sel_hi:[1,0,0]
	v_fmac_f32_e32 v139, v127, v198
	v_fma_f32 v138, v126, v198, -v2
	v_pk_add_f32 v[14:15], v[134:135], v[136:137]
	s_waitcnt vmcnt(7)
	v_mov_b32_e32 v16, v147
	ds_read2_b64 v[6:9], v4 offset0:65 offset1:66
	ds_read2_b64 v[10:13], v4 offset0:67 offset1:68
	;; [unrolled: 1-line block ×3, first 2 shown]
	v_pk_add_f32 v[14:15], v[14:15], v[138:139]
	v_mov_b32_e32 v19, v17
	v_pk_mul_f32 v[16:17], v[130:131], v[16:17] op_sel_hi:[1,0]
	v_pk_add_f32 v[14:15], v[14:15], v[18:19]
	s_waitcnt vmcnt(6)
	v_pk_fma_f32 v[18:19], v[130:131], v[146:147], v[16:17] op_sel:[0,0,1] op_sel_hi:[1,1,0] neg_lo:[0,0,1] neg_hi:[0,0,1]
	v_pk_fma_f32 v[16:17], v[130:131], v[146:147], v[16:17] op_sel:[0,0,1] op_sel_hi:[1,0,0]
	v_mov_b32_e32 v16, v145
	v_mov_b32_e32 v19, v17
	s_waitcnt lgkmcnt(2)
	v_pk_mul_f32 v[16:17], v[6:7], v[16:17] op_sel_hi:[1,0]
	v_pk_add_f32 v[14:15], v[14:15], v[18:19]
	v_pk_fma_f32 v[18:19], v[6:7], v[144:145], v[16:17] op_sel:[0,0,1] op_sel_hi:[1,1,0] neg_lo:[0,0,1] neg_hi:[0,0,1]
	v_pk_fma_f32 v[6:7], v[6:7], v[144:145], v[16:17] op_sel:[0,0,1] op_sel_hi:[1,0,0]
	v_mov_b32_e32 v19, v7
	v_pk_add_f32 v[6:7], v[14:15], v[18:19]
	v_mov_b32_e32 v14, v143
	v_pk_mul_f32 v[14:15], v[8:9], v[14:15] op_sel_hi:[1,0]
	v_pk_fma_f32 v[16:17], v[8:9], v[142:143], v[14:15] op_sel:[0,0,1] op_sel_hi:[1,1,0] neg_lo:[0,0,1] neg_hi:[0,0,1]
	v_pk_fma_f32 v[8:9], v[8:9], v[142:143], v[14:15] op_sel:[0,0,1] op_sel_hi:[1,0,0]
	v_mov_b32_e32 v8, v141
	v_mov_b32_e32 v17, v9
	s_waitcnt lgkmcnt(1)
	v_pk_mul_f32 v[8:9], v[10:11], v[8:9] op_sel_hi:[1,0]
	v_pk_fma_f32 v[14:15], v[10:11], v[140:141], v[8:9] op_sel:[0,0,1] op_sel_hi:[1,1,0] neg_lo:[0,0,1] neg_hi:[0,0,1]
	v_pk_fma_f32 v[8:9], v[10:11], v[140:141], v[8:9] op_sel:[0,0,1] op_sel_hi:[1,0,0]
	s_waitcnt vmcnt(1)
	v_mov_b32_e32 v8, v153
	v_mov_b32_e32 v15, v9
	v_pk_mul_f32 v[8:9], v[12:13], v[8:9] op_sel_hi:[1,0]
	s_waitcnt vmcnt(0)
	v_pk_fma_f32 v[10:11], v[12:13], v[152:153], v[8:9] op_sel:[0,0,1] op_sel_hi:[1,1,0] neg_lo:[0,0,1] neg_hi:[0,0,1]
	v_pk_fma_f32 v[8:9], v[12:13], v[152:153], v[8:9] op_sel:[0,0,1] op_sel_hi:[1,0,0]
	v_pk_add_f32 v[6:7], v[6:7], v[16:17]
	v_mov_b32_e32 v8, v151
	v_pk_add_f32 v[6:7], v[6:7], v[14:15]
	v_mov_b32_e32 v11, v9
	s_waitcnt lgkmcnt(0)
	v_pk_mul_f32 v[8:9], v[2:3], v[8:9] op_sel_hi:[1,0]
	v_pk_add_f32 v[6:7], v[6:7], v[10:11]
	v_pk_fma_f32 v[10:11], v[2:3], v[150:151], v[8:9] op_sel:[0,0,1] op_sel_hi:[1,1,0] neg_lo:[0,0,1] neg_hi:[0,0,1]
	v_pk_fma_f32 v[2:3], v[2:3], v[150:151], v[8:9] op_sel:[0,0,1] op_sel_hi:[1,0,0]
	v_mov_b32_e32 v11, v3
	v_pk_add_f32 v[2:3], v[6:7], v[10:11]
	v_mov_b32_e32 v6, v149
	v_pk_mul_f32 v[6:7], v[4:5], v[6:7] op_sel_hi:[1,0]
	v_pk_fma_f32 v[8:9], v[4:5], v[148:149], v[6:7] op_sel:[0,0,1] op_sel_hi:[1,1,0] neg_lo:[0,0,1] neg_hi:[0,0,1]
	v_pk_fma_f32 v[4:5], v[4:5], v[148:149], v[6:7] op_sel:[0,0,1] op_sel_hi:[1,0,0]
	v_mov_b32_e32 v9, v5
	v_pk_add_f32 v[2:3], v[2:3], v[8:9]
	v_pk_add_f32 v[0:1], v[0:1], v[2:3] neg_lo:[0,1] neg_hi:[0,1]
	buffer_store_dword v1, off, s[0:3], 0 offset:4
	buffer_store_dword v0, off, s[0:3], 0
	s_cbranch_vccz .LBB98_293
; %bb.224:
	v_pk_mov_b32 v[0:1], s[10:11], s[10:11] op_sel:[0,1]
	flat_load_dword v0, v[0:1] offset:132
	s_waitcnt vmcnt(0) lgkmcnt(0)
	v_add_u32_e32 v0, -1, v0
	v_cmp_ne_u32_e32 vcc, 33, v0
	s_and_saveexec_b64 s[4:5], vcc
	s_cbranch_execz .LBB98_226
; %bb.225:
	v_mov_b32_e32 v1, 0
	v_lshl_add_u32 v0, v0, 3, v1
	buffer_load_dword v1, v0, s[0:3], 0 offen
	buffer_load_dword v2, v0, s[0:3], 0 offen offset:4
	buffer_load_dword v3, off, s[0:3], 0 offset:264
	buffer_load_dword v4, off, s[0:3], 0 offset:268
	s_waitcnt vmcnt(3)
	buffer_store_dword v1, off, s[0:3], 0 offset:264
	s_waitcnt vmcnt(3)
	buffer_store_dword v2, off, s[0:3], 0 offset:268
	s_waitcnt vmcnt(3)
	buffer_store_dword v3, v0, s[0:3], 0 offen
	s_waitcnt vmcnt(3)
	buffer_store_dword v4, v0, s[0:3], 0 offen offset:4
.LBB98_226:
	s_or_b64 exec, exec, s[4:5]
	v_pk_mov_b32 v[0:1], s[10:11], s[10:11] op_sel:[0,1]
	flat_load_dword v0, v[0:1] offset:128
	s_waitcnt vmcnt(0) lgkmcnt(0)
	v_add_u32_e32 v0, -1, v0
	v_cmp_ne_u32_e32 vcc, 32, v0
	s_and_saveexec_b64 s[4:5], vcc
	s_cbranch_execz .LBB98_228
; %bb.227:
	v_mov_b32_e32 v1, 0
	v_lshl_add_u32 v0, v0, 3, v1
	buffer_load_dword v1, v0, s[0:3], 0 offen
	buffer_load_dword v2, v0, s[0:3], 0 offen offset:4
	buffer_load_dword v3, off, s[0:3], 0 offset:260
	buffer_load_dword v4, off, s[0:3], 0 offset:256
	s_waitcnt vmcnt(3)
	buffer_store_dword v1, off, s[0:3], 0 offset:256
	s_waitcnt vmcnt(3)
	buffer_store_dword v2, off, s[0:3], 0 offset:260
	s_waitcnt vmcnt(3)
	buffer_store_dword v3, v0, s[0:3], 0 offen offset:4
	s_waitcnt vmcnt(3)
	buffer_store_dword v4, v0, s[0:3], 0 offen
.LBB98_228:
	s_or_b64 exec, exec, s[4:5]
	v_pk_mov_b32 v[0:1], s[10:11], s[10:11] op_sel:[0,1]
	flat_load_dword v0, v[0:1] offset:124
	s_waitcnt vmcnt(0) lgkmcnt(0)
	v_add_u32_e32 v0, -1, v0
	v_cmp_ne_u32_e32 vcc, 31, v0
	s_and_saveexec_b64 s[4:5], vcc
	s_cbranch_execz .LBB98_230
; %bb.229:
	v_mov_b32_e32 v1, 0
	v_lshl_add_u32 v0, v0, 3, v1
	buffer_load_dword v1, v0, s[0:3], 0 offen
	buffer_load_dword v2, v0, s[0:3], 0 offen offset:4
	buffer_load_dword v3, off, s[0:3], 0 offset:248
	buffer_load_dword v4, off, s[0:3], 0 offset:252
	s_waitcnt vmcnt(3)
	buffer_store_dword v1, off, s[0:3], 0 offset:248
	s_waitcnt vmcnt(3)
	buffer_store_dword v2, off, s[0:3], 0 offset:252
	s_waitcnt vmcnt(3)
	buffer_store_dword v3, v0, s[0:3], 0 offen
	s_waitcnt vmcnt(3)
	buffer_store_dword v4, v0, s[0:3], 0 offen offset:4
.LBB98_230:
	s_or_b64 exec, exec, s[4:5]
	v_pk_mov_b32 v[0:1], s[10:11], s[10:11] op_sel:[0,1]
	flat_load_dword v0, v[0:1] offset:120
	s_waitcnt vmcnt(0) lgkmcnt(0)
	v_add_u32_e32 v0, -1, v0
	v_cmp_ne_u32_e32 vcc, 30, v0
	s_and_saveexec_b64 s[4:5], vcc
	s_cbranch_execz .LBB98_232
; %bb.231:
	v_mov_b32_e32 v1, 0
	v_lshl_add_u32 v0, v0, 3, v1
	buffer_load_dword v1, v0, s[0:3], 0 offen
	buffer_load_dword v2, v0, s[0:3], 0 offen offset:4
	buffer_load_dword v3, off, s[0:3], 0 offset:244
	buffer_load_dword v4, off, s[0:3], 0 offset:240
	s_waitcnt vmcnt(3)
	buffer_store_dword v1, off, s[0:3], 0 offset:240
	s_waitcnt vmcnt(3)
	buffer_store_dword v2, off, s[0:3], 0 offset:244
	s_waitcnt vmcnt(3)
	buffer_store_dword v3, v0, s[0:3], 0 offen offset:4
	s_waitcnt vmcnt(3)
	buffer_store_dword v4, v0, s[0:3], 0 offen
.LBB98_232:
	s_or_b64 exec, exec, s[4:5]
	;; [unrolled: 48-line block ×16, first 2 shown]
	v_pk_mov_b32 v[0:1], s[10:11], s[10:11] op_sel:[0,1]
	flat_load_dword v0, v[0:1] offset:4
	s_waitcnt vmcnt(0) lgkmcnt(0)
	v_add_u32_e32 v0, -1, v0
	v_cmp_ne_u32_e32 vcc, 1, v0
	s_and_saveexec_b64 s[4:5], vcc
	s_cbranch_execz .LBB98_290
; %bb.289:
	v_mov_b32_e32 v1, 0
	v_lshl_add_u32 v0, v0, 3, v1
	buffer_load_dword v1, v0, s[0:3], 0 offen
	buffer_load_dword v2, v0, s[0:3], 0 offen offset:4
	buffer_load_dword v3, off, s[0:3], 0 offset:8
	buffer_load_dword v4, off, s[0:3], 0 offset:12
	s_waitcnt vmcnt(3)
	buffer_store_dword v1, off, s[0:3], 0 offset:8
	s_waitcnt vmcnt(3)
	buffer_store_dword v2, off, s[0:3], 0 offset:12
	s_waitcnt vmcnt(3)
	buffer_store_dword v3, v0, s[0:3], 0 offen
	s_waitcnt vmcnt(3)
	buffer_store_dword v4, v0, s[0:3], 0 offen offset:4
.LBB98_290:
	s_or_b64 exec, exec, s[4:5]
	v_pk_mov_b32 v[0:1], s[10:11], s[10:11] op_sel:[0,1]
	flat_load_dword v2, v[0:1]
	s_nop 0
	buffer_load_dword v0, off, s[0:3], 0
	buffer_load_dword v1, off, s[0:3], 0 offset:4
	s_waitcnt vmcnt(0) lgkmcnt(0)
	v_add_u32_e32 v2, -1, v2
	v_cmp_ne_u32_e32 vcc, 0, v2
	s_and_saveexec_b64 s[4:5], vcc
	s_cbranch_execz .LBB98_292
; %bb.291:
	v_mov_b32_e32 v3, 0
	v_lshl_add_u32 v2, v2, 3, v3
	buffer_load_dword v3, v2, s[0:3], 0 offen offset:4
	buffer_load_dword v4, v2, s[0:3], 0 offen
	s_waitcnt vmcnt(1)
	buffer_store_dword v3, off, s[0:3], 0 offset:4
	s_waitcnt vmcnt(1)
	buffer_store_dword v4, off, s[0:3], 0
	buffer_store_dword v1, v2, s[0:3], 0 offen offset:4
	buffer_store_dword v0, v2, s[0:3], 0 offen
	buffer_load_dword v0, off, s[0:3], 0
	s_nop 0
	buffer_load_dword v1, off, s[0:3], 0 offset:4
.LBB98_292:
	s_or_b64 exec, exec, s[4:5]
.LBB98_293:
	buffer_load_dword v2, off, s[0:3], 0 offset:8
	buffer_load_dword v3, off, s[0:3], 0 offset:12
	buffer_load_dword v4, off, s[0:3], 0 offset:16
	buffer_load_dword v5, off, s[0:3], 0 offset:20
	buffer_load_dword v6, off, s[0:3], 0 offset:24
	buffer_load_dword v7, off, s[0:3], 0 offset:28
	buffer_load_dword v8, off, s[0:3], 0 offset:32
	buffer_load_dword v9, off, s[0:3], 0 offset:36
	buffer_load_dword v10, off, s[0:3], 0 offset:40
	buffer_load_dword v11, off, s[0:3], 0 offset:44
	buffer_load_dword v12, off, s[0:3], 0 offset:48
	buffer_load_dword v13, off, s[0:3], 0 offset:52
	buffer_load_dword v14, off, s[0:3], 0 offset:56
	buffer_load_dword v15, off, s[0:3], 0 offset:60
	buffer_load_dword v16, off, s[0:3], 0 offset:64
	buffer_load_dword v17, off, s[0:3], 0 offset:68
	buffer_load_dword v18, off, s[0:3], 0 offset:72
	buffer_load_dword v19, off, s[0:3], 0 offset:76
	buffer_load_dword v20, off, s[0:3], 0 offset:80
	buffer_load_dword v21, off, s[0:3], 0 offset:84
	buffer_load_dword v92, off, s[0:3], 0 offset:88
	buffer_load_dword v93, off, s[0:3], 0 offset:92
	buffer_load_dword v94, off, s[0:3], 0 offset:96
	buffer_load_dword v95, off, s[0:3], 0 offset:100
	buffer_load_dword v96, off, s[0:3], 0 offset:104
	buffer_load_dword v97, off, s[0:3], 0 offset:108
	buffer_load_dword v98, off, s[0:3], 0 offset:112
	buffer_load_dword v99, off, s[0:3], 0 offset:116
	buffer_load_dword v100, off, s[0:3], 0 offset:120
	buffer_load_dword v101, off, s[0:3], 0 offset:124
	buffer_load_dword v102, off, s[0:3], 0 offset:128
	buffer_load_dword v103, off, s[0:3], 0 offset:132
	buffer_load_dword v104, off, s[0:3], 0 offset:136
	buffer_load_dword v105, off, s[0:3], 0 offset:140
	buffer_load_dword v106, off, s[0:3], 0 offset:144
	buffer_load_dword v107, off, s[0:3], 0 offset:148
	buffer_load_dword v108, off, s[0:3], 0 offset:152
	buffer_load_dword v109, off, s[0:3], 0 offset:156
	buffer_load_dword v110, off, s[0:3], 0 offset:160
	buffer_load_dword v111, off, s[0:3], 0 offset:164
	buffer_load_dword v112, off, s[0:3], 0 offset:168
	buffer_load_dword v113, off, s[0:3], 0 offset:172
	buffer_load_dword v114, off, s[0:3], 0 offset:176
	buffer_load_dword v115, off, s[0:3], 0 offset:180
	buffer_load_dword v116, off, s[0:3], 0 offset:184
	buffer_load_dword v117, off, s[0:3], 0 offset:188
	buffer_load_dword v118, off, s[0:3], 0 offset:192
	buffer_load_dword v119, off, s[0:3], 0 offset:196
	buffer_load_dword v120, off, s[0:3], 0 offset:200
	buffer_load_dword v121, off, s[0:3], 0 offset:204
	buffer_load_dword v122, off, s[0:3], 0 offset:208
	buffer_load_dword v123, off, s[0:3], 0 offset:212
	buffer_load_dword v124, off, s[0:3], 0 offset:216
	buffer_load_dword v125, off, s[0:3], 0 offset:220
	buffer_load_dword v126, off, s[0:3], 0 offset:224
	buffer_load_dword v127, off, s[0:3], 0 offset:228
	buffer_load_dword v128, off, s[0:3], 0 offset:232
	buffer_load_dword v129, off, s[0:3], 0 offset:236
	buffer_load_dword v130, off, s[0:3], 0 offset:240
	buffer_load_dword v131, off, s[0:3], 0 offset:244
	buffer_load_dword v132, off, s[0:3], 0 offset:248
	buffer_load_dword v133, off, s[0:3], 0 offset:252
	buffer_load_dword v134, off, s[0:3], 0 offset:256
	buffer_load_dword v135, off, s[0:3], 0 offset:260
	buffer_load_dword v136, off, s[0:3], 0 offset:264
	buffer_load_dword v137, off, s[0:3], 0 offset:268
	buffer_load_dword v138, off, s[0:3], 0 offset:272
	buffer_load_dword v139, off, s[0:3], 0 offset:276
	s_waitcnt vmcnt(62)
	global_store_dwordx2 v[80:81], v[0:1], off
	global_store_dwordx2 v[82:83], v[2:3], off
	;; [unrolled: 1-line block ×4, first 2 shown]
	s_waitcnt vmcnt(62)
	global_store_dwordx2 v[26:27], v[8:9], off
	global_store_dwordx2 v[28:29], v[10:11], off
	s_waitcnt vmcnt(62)
	global_store_dwordx2 v[30:31], v[12:13], off
	s_waitcnt vmcnt(61)
	;; [unrolled: 2-line block ×29, first 2 shown]
	global_store_dwordx2 v[90:91], v[138:139], off
	s_endpgm
	.section	.rodata,"a",@progbits
	.p2align	6, 0x0
	.amdhsa_kernel _ZN9rocsolver6v33100L18getri_kernel_smallILi35E19rocblas_complex_numIfEPKPS3_EEvT1_iilPiilS8_bb
		.amdhsa_group_segment_fixed_size 568
		.amdhsa_private_segment_fixed_size 288
		.amdhsa_kernarg_size 60
		.amdhsa_user_sgpr_count 8
		.amdhsa_user_sgpr_private_segment_buffer 1
		.amdhsa_user_sgpr_dispatch_ptr 0
		.amdhsa_user_sgpr_queue_ptr 0
		.amdhsa_user_sgpr_kernarg_segment_ptr 1
		.amdhsa_user_sgpr_dispatch_id 0
		.amdhsa_user_sgpr_flat_scratch_init 1
		.amdhsa_user_sgpr_kernarg_preload_length 0
		.amdhsa_user_sgpr_kernarg_preload_offset 0
		.amdhsa_user_sgpr_private_segment_size 0
		.amdhsa_uses_dynamic_stack 0
		.amdhsa_system_sgpr_private_segment_wavefront_offset 1
		.amdhsa_system_sgpr_workgroup_id_x 1
		.amdhsa_system_sgpr_workgroup_id_y 0
		.amdhsa_system_sgpr_workgroup_id_z 0
		.amdhsa_system_sgpr_workgroup_info 0
		.amdhsa_system_vgpr_workitem_id 0
		.amdhsa_next_free_vgpr 200
		.amdhsa_next_free_sgpr 22
		.amdhsa_accum_offset 200
		.amdhsa_reserve_vcc 1
		.amdhsa_reserve_flat_scratch 1
		.amdhsa_float_round_mode_32 0
		.amdhsa_float_round_mode_16_64 0
		.amdhsa_float_denorm_mode_32 3
		.amdhsa_float_denorm_mode_16_64 3
		.amdhsa_dx10_clamp 1
		.amdhsa_ieee_mode 1
		.amdhsa_fp16_overflow 0
		.amdhsa_tg_split 0
		.amdhsa_exception_fp_ieee_invalid_op 0
		.amdhsa_exception_fp_denorm_src 0
		.amdhsa_exception_fp_ieee_div_zero 0
		.amdhsa_exception_fp_ieee_overflow 0
		.amdhsa_exception_fp_ieee_underflow 0
		.amdhsa_exception_fp_ieee_inexact 0
		.amdhsa_exception_int_div_zero 0
	.end_amdhsa_kernel
	.section	.text._ZN9rocsolver6v33100L18getri_kernel_smallILi35E19rocblas_complex_numIfEPKPS3_EEvT1_iilPiilS8_bb,"axG",@progbits,_ZN9rocsolver6v33100L18getri_kernel_smallILi35E19rocblas_complex_numIfEPKPS3_EEvT1_iilPiilS8_bb,comdat
.Lfunc_end98:
	.size	_ZN9rocsolver6v33100L18getri_kernel_smallILi35E19rocblas_complex_numIfEPKPS3_EEvT1_iilPiilS8_bb, .Lfunc_end98-_ZN9rocsolver6v33100L18getri_kernel_smallILi35E19rocblas_complex_numIfEPKPS3_EEvT1_iilPiilS8_bb
                                        ; -- End function
	.section	.AMDGPU.csdata,"",@progbits
; Kernel info:
; codeLenInByte = 55356
; NumSgprs: 28
; NumVgprs: 200
; NumAgprs: 0
; TotalNumVgprs: 200
; ScratchSize: 288
; MemoryBound: 0
; FloatMode: 240
; IeeeMode: 1
; LDSByteSize: 568 bytes/workgroup (compile time only)
; SGPRBlocks: 3
; VGPRBlocks: 24
; NumSGPRsForWavesPerEU: 28
; NumVGPRsForWavesPerEU: 200
; AccumOffset: 200
; Occupancy: 2
; WaveLimiterHint : 1
; COMPUTE_PGM_RSRC2:SCRATCH_EN: 1
; COMPUTE_PGM_RSRC2:USER_SGPR: 8
; COMPUTE_PGM_RSRC2:TRAP_HANDLER: 0
; COMPUTE_PGM_RSRC2:TGID_X_EN: 1
; COMPUTE_PGM_RSRC2:TGID_Y_EN: 0
; COMPUTE_PGM_RSRC2:TGID_Z_EN: 0
; COMPUTE_PGM_RSRC2:TIDIG_COMP_CNT: 0
; COMPUTE_PGM_RSRC3_GFX90A:ACCUM_OFFSET: 49
; COMPUTE_PGM_RSRC3_GFX90A:TG_SPLIT: 0
	.section	.text._ZN9rocsolver6v33100L18getri_kernel_smallILi36E19rocblas_complex_numIfEPKPS3_EEvT1_iilPiilS8_bb,"axG",@progbits,_ZN9rocsolver6v33100L18getri_kernel_smallILi36E19rocblas_complex_numIfEPKPS3_EEvT1_iilPiilS8_bb,comdat
	.globl	_ZN9rocsolver6v33100L18getri_kernel_smallILi36E19rocblas_complex_numIfEPKPS3_EEvT1_iilPiilS8_bb ; -- Begin function _ZN9rocsolver6v33100L18getri_kernel_smallILi36E19rocblas_complex_numIfEPKPS3_EEvT1_iilPiilS8_bb
	.p2align	8
	.type	_ZN9rocsolver6v33100L18getri_kernel_smallILi36E19rocblas_complex_numIfEPKPS3_EEvT1_iilPiilS8_bb,@function
_ZN9rocsolver6v33100L18getri_kernel_smallILi36E19rocblas_complex_numIfEPKPS3_EEvT1_iilPiilS8_bb: ; @_ZN9rocsolver6v33100L18getri_kernel_smallILi36E19rocblas_complex_numIfEPKPS3_EEvT1_iilPiilS8_bb
; %bb.0:
	s_add_u32 flat_scratch_lo, s6, s9
	s_addc_u32 flat_scratch_hi, s7, 0
	s_add_u32 s0, s0, s9
	s_addc_u32 s1, s1, 0
	v_cmp_gt_u32_e32 vcc, 36, v0
	s_and_saveexec_b64 s[6:7], vcc
	s_cbranch_execz .LBB99_158
; %bb.1:
	s_load_dword s20, s[4:5], 0x38
	s_load_dwordx2 s[6:7], s[4:5], 0x0
	s_load_dwordx4 s[12:15], s[4:5], 0x28
	s_waitcnt lgkmcnt(0)
	s_bitcmp1_b32 s20, 8
	s_cselect_b64 s[16:17], -1, 0
	s_ashr_i32 s9, s8, 31
	s_lshl_b64 s[10:11], s[8:9], 3
	s_add_u32 s6, s6, s10
	s_addc_u32 s7, s7, s11
	s_load_dwordx2 s[18:19], s[6:7], 0x0
	s_bfe_u32 s6, s20, 0x10008
	s_cmp_eq_u32 s6, 0
                                        ; implicit-def: $sgpr10_sgpr11
	s_cbranch_scc1 .LBB99_3
; %bb.2:
	s_load_dword s6, s[4:5], 0x20
	s_load_dwordx2 s[10:11], s[4:5], 0x18
	s_mul_i32 s7, s8, s13
	s_mul_hi_u32 s13, s8, s12
	s_add_i32 s13, s13, s7
	s_mul_i32 s21, s9, s12
	s_add_i32 s13, s13, s21
	s_mul_i32 s12, s8, s12
	s_waitcnt lgkmcnt(0)
	s_ashr_i32 s7, s6, 31
	s_lshl_b64 s[12:13], s[12:13], 2
	s_add_u32 s10, s10, s12
	s_addc_u32 s11, s11, s13
	s_lshl_b64 s[6:7], s[6:7], 2
	s_add_u32 s10, s10, s6
	s_addc_u32 s11, s11, s7
.LBB99_3:
	s_load_dwordx2 s[6:7], s[4:5], 0x8
	v_lshlrev_b32_e32 v6, 3, v0
	s_waitcnt lgkmcnt(0)
	s_ashr_i32 s5, s6, 31
	s_mov_b32 s4, s6
	s_lshl_b64 s[4:5], s[4:5], 3
	s_add_u32 s4, s18, s4
	s_addc_u32 s5, s19, s5
	s_add_i32 s6, s7, s7
	v_add_u32_e32 v2, s6, v0
	v_ashrrev_i32_e32 v3, 31, v2
	v_lshlrev_b64 v[4:5], 3, v[2:3]
	v_add_u32_e32 v2, s7, v2
	v_mov_b32_e32 v1, s5
	v_add_co_u32_e32 v22, vcc, s4, v4
	v_ashrrev_i32_e32 v3, 31, v2
	v_addc_co_u32_e32 v23, vcc, v1, v5, vcc
	v_lshlrev_b64 v[4:5], 3, v[2:3]
	v_add_u32_e32 v2, s7, v2
	v_add_co_u32_e32 v24, vcc, s4, v4
	v_ashrrev_i32_e32 v3, 31, v2
	v_addc_co_u32_e32 v25, vcc, v1, v5, vcc
	v_lshlrev_b64 v[4:5], 3, v[2:3]
	v_add_u32_e32 v2, s7, v2
	v_add_co_u32_e32 v26, vcc, s4, v4
	v_ashrrev_i32_e32 v3, 31, v2
	v_addc_co_u32_e32 v27, vcc, v1, v5, vcc
	v_lshlrev_b64 v[4:5], 3, v[2:3]
	v_add_u32_e32 v2, s7, v2
	v_add_co_u32_e32 v28, vcc, s4, v4
	v_ashrrev_i32_e32 v3, 31, v2
	v_addc_co_u32_e32 v29, vcc, v1, v5, vcc
	v_lshlrev_b64 v[4:5], 3, v[2:3]
	v_add_u32_e32 v2, s7, v2
	v_add_co_u32_e32 v30, vcc, s4, v4
	v_ashrrev_i32_e32 v3, 31, v2
	v_addc_co_u32_e32 v31, vcc, v1, v5, vcc
	v_lshlrev_b64 v[4:5], 3, v[2:3]
	v_add_u32_e32 v2, s7, v2
	v_add_co_u32_e32 v32, vcc, s4, v4
	v_ashrrev_i32_e32 v3, 31, v2
	v_addc_co_u32_e32 v33, vcc, v1, v5, vcc
	v_lshlrev_b64 v[4:5], 3, v[2:3]
	v_add_u32_e32 v2, s7, v2
	v_add_co_u32_e32 v34, vcc, s4, v4
	v_ashrrev_i32_e32 v3, 31, v2
	v_addc_co_u32_e32 v35, vcc, v1, v5, vcc
	v_lshlrev_b64 v[4:5], 3, v[2:3]
	v_add_u32_e32 v2, s7, v2
	v_add_co_u32_e32 v36, vcc, s4, v4
	v_ashrrev_i32_e32 v3, 31, v2
	v_addc_co_u32_e32 v37, vcc, v1, v5, vcc
	v_lshlrev_b64 v[4:5], 3, v[2:3]
	v_add_u32_e32 v2, s7, v2
	v_add_co_u32_e32 v38, vcc, s4, v4
	v_ashrrev_i32_e32 v3, 31, v2
	v_addc_co_u32_e32 v39, vcc, v1, v5, vcc
	v_lshlrev_b64 v[4:5], 3, v[2:3]
	v_add_u32_e32 v2, s7, v2
	v_add_co_u32_e32 v40, vcc, s4, v4
	v_ashrrev_i32_e32 v3, 31, v2
	v_addc_co_u32_e32 v41, vcc, v1, v5, vcc
	v_lshlrev_b64 v[4:5], 3, v[2:3]
	v_add_u32_e32 v2, s7, v2
	v_add_co_u32_e32 v42, vcc, s4, v4
	v_ashrrev_i32_e32 v3, 31, v2
	v_addc_co_u32_e32 v43, vcc, v1, v5, vcc
	v_lshlrev_b64 v[4:5], 3, v[2:3]
	v_add_u32_e32 v2, s7, v2
	v_add_co_u32_e32 v44, vcc, s4, v4
	v_ashrrev_i32_e32 v3, 31, v2
	v_addc_co_u32_e32 v45, vcc, v1, v5, vcc
	v_lshlrev_b64 v[4:5], 3, v[2:3]
	v_add_u32_e32 v2, s7, v2
	v_add_co_u32_e32 v46, vcc, s4, v4
	v_ashrrev_i32_e32 v3, 31, v2
	v_addc_co_u32_e32 v47, vcc, v1, v5, vcc
	v_lshlrev_b64 v[4:5], 3, v[2:3]
	v_add_u32_e32 v2, s7, v2
	v_add_co_u32_e32 v48, vcc, s4, v4
	v_ashrrev_i32_e32 v3, 31, v2
	v_addc_co_u32_e32 v49, vcc, v1, v5, vcc
	v_lshlrev_b64 v[4:5], 3, v[2:3]
	v_add_u32_e32 v2, s7, v2
	v_add_co_u32_e32 v50, vcc, s4, v4
	v_ashrrev_i32_e32 v3, 31, v2
	v_addc_co_u32_e32 v51, vcc, v1, v5, vcc
	v_lshlrev_b64 v[4:5], 3, v[2:3]
	v_add_u32_e32 v2, s7, v2
	v_add_co_u32_e32 v52, vcc, s4, v4
	v_ashrrev_i32_e32 v3, 31, v2
	v_addc_co_u32_e32 v53, vcc, v1, v5, vcc
	v_lshlrev_b64 v[4:5], 3, v[2:3]
	v_add_u32_e32 v2, s7, v2
	v_add_co_u32_e32 v54, vcc, s4, v4
	v_ashrrev_i32_e32 v3, 31, v2
	v_addc_co_u32_e32 v55, vcc, v1, v5, vcc
	v_lshlrev_b64 v[4:5], 3, v[2:3]
	v_add_u32_e32 v2, s7, v2
	v_add_co_u32_e32 v56, vcc, s4, v4
	v_ashrrev_i32_e32 v3, 31, v2
	v_addc_co_u32_e32 v57, vcc, v1, v5, vcc
	v_lshlrev_b64 v[4:5], 3, v[2:3]
	v_add_u32_e32 v2, s7, v2
	v_add_co_u32_e32 v58, vcc, s4, v4
	v_ashrrev_i32_e32 v3, 31, v2
	v_addc_co_u32_e32 v59, vcc, v1, v5, vcc
	v_lshlrev_b64 v[4:5], 3, v[2:3]
	v_add_u32_e32 v2, s7, v2
	v_add_co_u32_e32 v60, vcc, s4, v4
	v_ashrrev_i32_e32 v3, 31, v2
	v_addc_co_u32_e32 v61, vcc, v1, v5, vcc
	v_lshlrev_b64 v[4:5], 3, v[2:3]
	v_add_u32_e32 v2, s7, v2
	v_add_co_u32_e32 v62, vcc, s4, v4
	v_ashrrev_i32_e32 v3, 31, v2
	v_addc_co_u32_e32 v63, vcc, v1, v5, vcc
	v_lshlrev_b64 v[4:5], 3, v[2:3]
	v_add_u32_e32 v2, s7, v2
	v_add_co_u32_e32 v64, vcc, s4, v4
	v_ashrrev_i32_e32 v3, 31, v2
	v_addc_co_u32_e32 v65, vcc, v1, v5, vcc
	v_lshlrev_b64 v[4:5], 3, v[2:3]
	v_add_u32_e32 v2, s7, v2
	v_add_co_u32_e32 v66, vcc, s4, v4
	v_ashrrev_i32_e32 v3, 31, v2
	v_addc_co_u32_e32 v67, vcc, v1, v5, vcc
	v_lshlrev_b64 v[4:5], 3, v[2:3]
	v_add_u32_e32 v2, s7, v2
	v_add_co_u32_e32 v68, vcc, s4, v4
	v_ashrrev_i32_e32 v3, 31, v2
	v_addc_co_u32_e32 v69, vcc, v1, v5, vcc
	v_lshlrev_b64 v[4:5], 3, v[2:3]
	v_add_u32_e32 v2, s7, v2
	v_add_co_u32_e32 v70, vcc, s4, v4
	v_ashrrev_i32_e32 v3, 31, v2
	v_addc_co_u32_e32 v71, vcc, v1, v5, vcc
	v_lshlrev_b64 v[4:5], 3, v[2:3]
	v_add_u32_e32 v2, s7, v2
	v_add_co_u32_e32 v72, vcc, s4, v4
	v_ashrrev_i32_e32 v3, 31, v2
	v_addc_co_u32_e32 v73, vcc, v1, v5, vcc
	v_lshlrev_b64 v[4:5], 3, v[2:3]
	v_add_u32_e32 v2, s7, v2
	v_add_co_u32_e32 v74, vcc, s4, v4
	v_ashrrev_i32_e32 v3, 31, v2
	v_addc_co_u32_e32 v75, vcc, v1, v5, vcc
	v_lshlrev_b64 v[4:5], 3, v[2:3]
	v_add_u32_e32 v2, s7, v2
	v_add_co_u32_e32 v76, vcc, s4, v4
	v_ashrrev_i32_e32 v3, 31, v2
	v_addc_co_u32_e32 v77, vcc, v1, v5, vcc
	v_lshlrev_b64 v[4:5], 3, v[2:3]
	v_add_co_u32_e32 v78, vcc, s4, v4
	v_add_u32_e32 v2, s7, v2
	v_addc_co_u32_e32 v79, vcc, v1, v5, vcc
	v_ashrrev_i32_e32 v3, 31, v2
	v_lshlrev_b64 v[4:5], 3, v[2:3]
	v_mov_b32_e32 v3, s5
	v_add_co_u32_e32 v82, vcc, s4, v6
	s_ashr_i32 s13, s7, 31
	s_mov_b32 s12, s7
	v_addc_co_u32_e32 v83, vcc, 0, v3, vcc
	s_lshl_b64 s[12:13], s[12:13], 3
	v_mov_b32_e32 v3, s13
	v_add_co_u32_e32 v84, vcc, s12, v82
	v_addc_co_u32_e32 v85, vcc, v83, v3, vcc
	v_add_u32_e32 v2, s7, v2
	v_add_co_u32_e32 v80, vcc, s4, v4
	v_ashrrev_i32_e32 v3, 31, v2
	v_addc_co_u32_e32 v81, vcc, v1, v5, vcc
	v_lshlrev_b64 v[20:21], 3, v[2:3]
	v_add_u32_e32 v2, s7, v2
	v_add_co_u32_e32 v86, vcc, s4, v20
	v_ashrrev_i32_e32 v3, 31, v2
	v_addc_co_u32_e32 v87, vcc, v1, v21, vcc
	v_lshlrev_b64 v[88:89], 3, v[2:3]
	;; [unrolled: 5-line block ×3, first 2 shown]
	v_add_co_u32_e32 v90, vcc, s4, v90
	global_load_dwordx2 v[8:9], v6, s[4:5]
	global_load_dwordx2 v[10:11], v[84:85], off
	global_load_dwordx2 v[12:13], v[22:23], off
	global_load_dwordx2 v[4:5], v[24:25], off
	global_load_dwordx2 v[14:15], v[26:27], off
	global_load_dwordx2 v[16:17], v[28:29], off
	global_load_dwordx2 v[18:19], v[30:31], off
	global_load_dwordx2 v[94:95], v[32:33], off
	global_load_dwordx2 v[96:97], v[34:35], off
	global_load_dwordx2 v[98:99], v[36:37], off
	global_load_dwordx2 v[100:101], v[38:39], off
	global_load_dwordx2 v[20:21], v[40:41], off
	global_load_dwordx2 v[102:103], v[42:43], off
	global_load_dwordx2 v[104:105], v[44:45], off
	global_load_dwordx2 v[106:107], v[46:47], off
	global_load_dwordx2 v[108:109], v[48:49], off
	global_load_dwordx2 v[110:111], v[50:51], off
	global_load_dwordx2 v[112:113], v[52:53], off
	global_load_dwordx2 v[114:115], v[54:55], off
	global_load_dwordx2 v[116:117], v[56:57], off
	global_load_dwordx2 v[118:119], v[58:59], off
	global_load_dwordx2 v[120:121], v[60:61], off
	global_load_dwordx2 v[122:123], v[62:63], off
	global_load_dwordx2 v[124:125], v[64:65], off
	global_load_dwordx2 v[126:127], v[66:67], off
	global_load_dwordx2 v[128:129], v[68:69], off
	global_load_dwordx2 v[130:131], v[70:71], off
	v_addc_co_u32_e32 v91, vcc, v1, v91, vcc
	global_load_dwordx2 v[132:133], v[72:73], off
	global_load_dwordx2 v[134:135], v[74:75], off
	global_load_dwordx2 v[136:137], v[76:77], off
	global_load_dwordx2 v[138:139], v[78:79], off
	global_load_dwordx2 v[140:141], v[80:81], off
	global_load_dwordx2 v[142:143], v[86:87], off
	global_load_dwordx2 v[144:145], v[88:89], off
	global_load_dwordx2 v[146:147], v[90:91], off
	v_add_u32_e32 v2, s7, v2
	v_ashrrev_i32_e32 v3, 31, v2
	v_lshlrev_b64 v[2:3], 3, v[2:3]
	v_add_co_u32_e32 v92, vcc, s4, v2
	v_addc_co_u32_e32 v93, vcc, v1, v3, vcc
	global_load_dwordx2 v[2:3], v[92:93], off
	s_bitcmp0_b32 s20, 0
	s_mov_b64 s[6:7], -1
	s_waitcnt vmcnt(35)
	buffer_store_dword v9, off, s[0:3], 0 offset:4
	buffer_store_dword v8, off, s[0:3], 0
	s_waitcnt vmcnt(36)
	buffer_store_dword v11, off, s[0:3], 0 offset:12
	buffer_store_dword v10, off, s[0:3], 0 offset:8
	s_waitcnt vmcnt(37)
	buffer_store_dword v13, off, s[0:3], 0 offset:20
	buffer_store_dword v12, off, s[0:3], 0 offset:16
	;; [unrolled: 3-line block ×28, first 2 shown]
	buffer_store_dword v136, off, s[0:3], 0 offset:232
	buffer_store_dword v137, off, s[0:3], 0 offset:236
	s_waitcnt vmcnt(62)
	buffer_store_dword v138, off, s[0:3], 0 offset:240
	buffer_store_dword v139, off, s[0:3], 0 offset:244
	buffer_store_dword v141, off, s[0:3], 0 offset:252
	buffer_store_dword v140, off, s[0:3], 0 offset:248
	buffer_store_dword v143, off, s[0:3], 0 offset:260
	buffer_store_dword v142, off, s[0:3], 0 offset:256
	buffer_store_dword v144, off, s[0:3], 0 offset:264
	buffer_store_dword v145, off, s[0:3], 0 offset:268
	s_waitcnt vmcnt(62)
	buffer_store_dword v146, off, s[0:3], 0 offset:272
	buffer_store_dword v147, off, s[0:3], 0 offset:276
	;; [unrolled: 1-line block ×4, first 2 shown]
	s_cbranch_scc1 .LBB99_156
; %bb.4:
	v_cmp_eq_u32_e64 s[4:5], 0, v0
	s_and_saveexec_b64 s[6:7], s[4:5]
	s_cbranch_execz .LBB99_6
; %bb.5:
	v_mov_b32_e32 v1, 0
	ds_write_b32 v1, v1 offset:576
.LBB99_6:
	s_or_b64 exec, exec, s[6:7]
	v_mov_b32_e32 v1, 0
	v_lshl_add_u32 v7, v0, 3, v1
	s_waitcnt lgkmcnt(0)
	; wave barrier
	s_waitcnt lgkmcnt(0)
	buffer_load_dword v1, v7, s[0:3], 0 offen
	buffer_load_dword v2, v7, s[0:3], 0 offen offset:4
	s_waitcnt vmcnt(1)
	v_cmp_eq_f32_e32 vcc, 0, v1
	s_waitcnt vmcnt(0)
	v_cmp_eq_f32_e64 s[6:7], 0, v2
	s_and_b64 s[6:7], vcc, s[6:7]
	s_and_saveexec_b64 s[12:13], s[6:7]
	s_cbranch_execz .LBB99_10
; %bb.7:
	v_mov_b32_e32 v1, 0
	ds_read_b32 v3, v1 offset:576
	v_add_u32_e32 v2, 1, v0
	s_waitcnt lgkmcnt(0)
	v_readfirstlane_b32 s6, v3
	s_cmp_eq_u32 s6, 0
	s_cselect_b64 s[18:19], -1, 0
	v_cmp_gt_i32_e32 vcc, s6, v2
	s_or_b64 s[18:19], s[18:19], vcc
	s_and_b64 exec, exec, s[18:19]
	s_cbranch_execz .LBB99_10
; %bb.8:
	s_mov_b64 s[18:19], 0
	v_mov_b32_e32 v3, s6
.LBB99_9:                               ; =>This Inner Loop Header: Depth=1
	ds_cmpst_rtn_b32 v3, v1, v3, v2 offset:576
	s_waitcnt lgkmcnt(0)
	v_cmp_ne_u32_e32 vcc, 0, v3
	v_cmp_le_i32_e64 s[6:7], v3, v2
	s_and_b64 s[6:7], vcc, s[6:7]
	s_and_b64 s[6:7], exec, s[6:7]
	s_or_b64 s[18:19], s[6:7], s[18:19]
	s_andn2_b64 exec, exec, s[18:19]
	s_cbranch_execnz .LBB99_9
.LBB99_10:
	s_or_b64 exec, exec, s[12:13]
	v_mov_b32_e32 v2, 0
	s_waitcnt lgkmcnt(0)
	; wave barrier
	ds_read_b32 v1, v2 offset:576
	s_and_saveexec_b64 s[6:7], s[4:5]
	s_cbranch_execz .LBB99_12
; %bb.11:
	s_lshl_b64 s[12:13], s[8:9], 2
	s_add_u32 s12, s14, s12
	s_addc_u32 s13, s15, s13
	s_waitcnt lgkmcnt(0)
	global_store_dword v2, v1, s[12:13]
.LBB99_12:
	s_or_b64 exec, exec, s[6:7]
	s_waitcnt lgkmcnt(0)
	v_cmp_ne_u32_e32 vcc, 0, v1
	s_mov_b64 s[6:7], 0
	s_cbranch_vccnz .LBB99_156
; %bb.13:
	buffer_load_dword v8, v7, s[0:3], 0 offen offset:4
	buffer_load_dword v3, v7, s[0:3], 0 offen
	s_waitcnt vmcnt(1)
	v_cmp_gt_f32_e32 vcc, 0, v8
	v_cndmask_b32_e64 v1, v8, -v8, vcc
	s_waitcnt vmcnt(0)
	v_cmp_gt_f32_e32 vcc, 0, v3
	v_cndmask_b32_e64 v2, v3, -v3, vcc
	v_cmp_ngt_f32_e32 vcc, v2, v1
                                        ; implicit-def: $vgpr1
                                        ; implicit-def: $vgpr2
	s_and_saveexec_b64 s[6:7], vcc
	s_xor_b64 s[6:7], exec, s[6:7]
                                        ; implicit-def: $vgpr4_vgpr5
	s_cbranch_execz .LBB99_15
; %bb.14:
	v_div_scale_f32 v1, s[12:13], v8, v8, v3
	v_rcp_f32_e32 v2, v1
	v_div_scale_f32 v4, vcc, v3, v8, v3
	v_fma_f32 v5, -v1, v2, 1.0
	v_fmac_f32_e32 v2, v5, v2
	v_mul_f32_e32 v5, v4, v2
	v_fma_f32 v9, -v1, v5, v4
	v_fmac_f32_e32 v5, v9, v2
	v_fma_f32 v1, -v1, v5, v4
	v_div_fmas_f32 v1, v1, v2, v5
	v_div_fixup_f32 v2, v1, v8, v3
	v_fmac_f32_e32 v8, v3, v2
	v_div_scale_f32 v1, s[12:13], v8, v8, -1.0
	v_rcp_f32_e32 v3, v1
	v_fma_f32 v4, -v1, v3, 1.0
	v_fmac_f32_e32 v3, v4, v3
	v_div_scale_f32 v4, vcc, -1.0, v8, -1.0
	v_mul_f32_e32 v5, v4, v3
	v_fma_f32 v9, -v1, v5, v4
	v_fmac_f32_e32 v5, v9, v3
	v_fma_f32 v1, -v1, v5, v4
	v_div_fmas_f32 v1, v1, v3, v5
	v_div_fixup_f32 v1, v1, v8, -1.0
	v_mul_f32_e32 v2, v2, v1
	v_xor_b32_e32 v4, 0x80000000, v2
                                        ; implicit-def: $vgpr3
                                        ; implicit-def: $vgpr8
.LBB99_15:
	s_andn2_saveexec_b64 s[6:7], s[6:7]
	s_cbranch_execz .LBB99_17
; %bb.16:
	v_div_scale_f32 v1, s[12:13], v3, v3, v8
	v_rcp_f32_e32 v2, v1
	v_div_scale_f32 v4, vcc, v8, v3, v8
	v_fma_f32 v5, -v1, v2, 1.0
	v_fmac_f32_e32 v2, v5, v2
	v_mul_f32_e32 v5, v4, v2
	v_fma_f32 v9, -v1, v5, v4
	v_fmac_f32_e32 v5, v9, v2
	v_fma_f32 v1, -v1, v5, v4
	v_div_fmas_f32 v1, v1, v2, v5
	v_div_fixup_f32 v1, v1, v3, v8
	v_fmac_f32_e32 v3, v8, v1
	v_div_scale_f32 v2, s[12:13], v3, v3, 1.0
	v_rcp_f32_e32 v4, v2
	v_fma_f32 v5, -v2, v4, 1.0
	v_fmac_f32_e32 v4, v5, v4
	v_div_scale_f32 v5, vcc, 1.0, v3, 1.0
	v_mul_f32_e32 v8, v5, v4
	v_fma_f32 v9, -v2, v8, v5
	v_fmac_f32_e32 v8, v9, v4
	v_fma_f32 v2, -v2, v8, v5
	v_div_fmas_f32 v2, v2, v4, v8
	v_div_fixup_f32 v4, v2, v3, 1.0
	v_xor_b32_e32 v2, 0x80000000, v4
	v_mul_f32_e64 v1, v1, -v4
.LBB99_17:
	s_or_b64 exec, exec, s[6:7]
	buffer_store_dword v1, v7, s[0:3], 0 offen offset:4
	buffer_store_dword v4, v7, s[0:3], 0 offen
	buffer_load_dword v5, off, s[0:3], 0 offset:12
	s_nop 0
	buffer_load_dword v4, off, s[0:3], 0 offset:8
	v_xor_b32_e32 v3, 0x80000000, v1
	v_add_u32_e32 v1, 0x120, v6
	s_waitcnt vmcnt(0)
	ds_write2_b64 v6, v[2:3], v[4:5] offset1:36
	s_waitcnt lgkmcnt(0)
	; wave barrier
	s_waitcnt lgkmcnt(0)
	s_and_saveexec_b64 s[6:7], s[4:5]
	s_cbranch_execz .LBB99_19
; %bb.18:
	buffer_load_dword v8, v7, s[0:3], 0 offen offset:4
	buffer_load_dword v9, v7, s[0:3], 0 offen
	ds_read_b64 v[2:3], v1
	v_mov_b32_e32 v4, 0
	ds_read_b64 v[4:5], v4 offset:8
	s_waitcnt vmcnt(1) lgkmcnt(1)
	v_mul_f32_e32 v10, v3, v8
	v_mul_f32_e32 v8, v2, v8
	s_waitcnt vmcnt(0)
	v_fmac_f32_e32 v8, v3, v9
	v_fma_f32 v2, v2, v9, -v10
	v_add_f32_e32 v3, 0, v8
	v_add_f32_e32 v2, 0, v2
	s_waitcnt lgkmcnt(0)
	v_mul_f32_e32 v8, v3, v5
	v_mul_f32_e32 v5, v2, v5
	v_fma_f32 v2, v2, v4, -v8
	v_fmac_f32_e32 v5, v3, v4
	buffer_store_dword v2, off, s[0:3], 0 offset:8
	buffer_store_dword v5, off, s[0:3], 0 offset:12
.LBB99_19:
	s_or_b64 exec, exec, s[6:7]
	s_waitcnt lgkmcnt(0)
	; wave barrier
	buffer_load_dword v2, off, s[0:3], 0 offset:16
	buffer_load_dword v3, off, s[0:3], 0 offset:20
	v_cmp_gt_u32_e32 vcc, 2, v0
	s_waitcnt vmcnt(0)
	ds_write_b64 v1, v[2:3]
	s_waitcnt lgkmcnt(0)
	; wave barrier
	s_waitcnt lgkmcnt(0)
	s_and_saveexec_b64 s[6:7], vcc
	s_cbranch_execz .LBB99_23
; %bb.20:
	buffer_load_dword v4, v7, s[0:3], 0 offen offset:4
	buffer_load_dword v5, v7, s[0:3], 0 offen
	ds_read_b64 v[2:3], v1
	s_waitcnt vmcnt(1) lgkmcnt(0)
	v_mul_f32_e32 v7, v3, v4
	v_mul_f32_e32 v4, v2, v4
	s_waitcnt vmcnt(0)
	v_fma_f32 v2, v2, v5, -v7
	v_fmac_f32_e32 v4, v3, v5
	v_add_f32_e32 v3, 0, v2
	v_add_f32_e32 v2, 0, v4
	s_and_saveexec_b64 s[12:13], s[4:5]
	s_cbranch_execz .LBB99_22
; %bb.21:
	buffer_load_dword v7, off, s[0:3], 0 offset:12
	buffer_load_dword v8, off, s[0:3], 0 offset:8
	v_mov_b32_e32 v4, 0
	ds_read_b64 v[4:5], v4 offset:296
	s_waitcnt vmcnt(1) lgkmcnt(0)
	v_mul_f32_e32 v9, v4, v7
	v_mul_f32_e32 v7, v5, v7
	s_waitcnt vmcnt(0)
	v_fmac_f32_e32 v9, v5, v8
	v_fma_f32 v4, v4, v8, -v7
	v_add_f32_e32 v2, v2, v9
	v_add_f32_e32 v3, v3, v4
.LBB99_22:
	s_or_b64 exec, exec, s[12:13]
	v_mov_b32_e32 v4, 0
	ds_read_b64 v[4:5], v4 offset:16
	s_waitcnt lgkmcnt(0)
	v_mul_f32_e32 v7, v2, v5
	v_mul_f32_e32 v5, v3, v5
	v_fma_f32 v3, v3, v4, -v7
	v_fmac_f32_e32 v5, v2, v4
	buffer_store_dword v3, off, s[0:3], 0 offset:16
	buffer_store_dword v5, off, s[0:3], 0 offset:20
.LBB99_23:
	s_or_b64 exec, exec, s[6:7]
	s_waitcnt lgkmcnt(0)
	; wave barrier
	buffer_load_dword v2, off, s[0:3], 0 offset:24
	buffer_load_dword v3, off, s[0:3], 0 offset:28
	v_cmp_gt_u32_e32 vcc, 3, v0
	s_waitcnt vmcnt(0)
	ds_write_b64 v1, v[2:3]
	v_add_u32_e32 v2, -1, v0
	s_waitcnt lgkmcnt(0)
	; wave barrier
	s_waitcnt lgkmcnt(0)
	s_and_saveexec_b64 s[4:5], vcc
	s_cbranch_execz .LBB99_27
; %bb.24:
	v_add_u32_e32 v4, -1, v0
	v_add_u32_e32 v5, 0x120, v6
	v_add_u32_e32 v7, 0, v6
	s_mov_b64 s[6:7], 0
	v_mov_b32_e32 v3, 0
	v_mov_b32_e32 v8, 0
.LBB99_25:                              ; =>This Inner Loop Header: Depth=1
	buffer_load_dword v9, v7, s[0:3], 0 offen offset:4
	buffer_load_dword v12, v7, s[0:3], 0 offen
	ds_read_b64 v[10:11], v5
	v_add_u32_e32 v4, 1, v4
	v_cmp_lt_u32_e32 vcc, 1, v4
	v_add_u32_e32 v5, 8, v5
	v_add_u32_e32 v7, 8, v7
	s_or_b64 s[6:7], vcc, s[6:7]
	s_waitcnt vmcnt(1) lgkmcnt(0)
	v_mul_f32_e32 v13, v11, v9
	v_mul_f32_e32 v9, v10, v9
	s_waitcnt vmcnt(0)
	v_fma_f32 v10, v10, v12, -v13
	v_fmac_f32_e32 v9, v11, v12
	v_add_f32_e32 v8, v8, v10
	v_add_f32_e32 v3, v3, v9
	s_andn2_b64 exec, exec, s[6:7]
	s_cbranch_execnz .LBB99_25
; %bb.26:
	s_or_b64 exec, exec, s[6:7]
	v_mov_b32_e32 v4, 0
	ds_read_b64 v[4:5], v4 offset:24
	s_waitcnt lgkmcnt(0)
	v_mul_f32_e32 v7, v3, v5
	v_mul_f32_e32 v5, v8, v5
	v_fma_f32 v7, v8, v4, -v7
	v_fmac_f32_e32 v5, v3, v4
	buffer_store_dword v7, off, s[0:3], 0 offset:24
	buffer_store_dword v5, off, s[0:3], 0 offset:28
.LBB99_27:
	s_or_b64 exec, exec, s[4:5]
	s_waitcnt lgkmcnt(0)
	; wave barrier
	buffer_load_dword v4, off, s[0:3], 0 offset:32
	buffer_load_dword v5, off, s[0:3], 0 offset:36
	v_cmp_gt_u32_e32 vcc, 4, v0
	s_waitcnt vmcnt(0)
	ds_write_b64 v1, v[4:5]
	s_waitcnt lgkmcnt(0)
	; wave barrier
	s_waitcnt lgkmcnt(0)
	s_and_saveexec_b64 s[4:5], vcc
	s_cbranch_execz .LBB99_31
; %bb.28:
	v_add_u32_e32 v4, -1, v0
	v_add_u32_e32 v5, 0x120, v6
	v_add_u32_e32 v7, 0, v6
	s_mov_b64 s[6:7], 0
	v_mov_b32_e32 v3, 0
	v_mov_b32_e32 v8, 0
.LBB99_29:                              ; =>This Inner Loop Header: Depth=1
	buffer_load_dword v9, v7, s[0:3], 0 offen offset:4
	buffer_load_dword v12, v7, s[0:3], 0 offen
	ds_read_b64 v[10:11], v5
	v_add_u32_e32 v4, 1, v4
	v_cmp_lt_u32_e32 vcc, 2, v4
	v_add_u32_e32 v5, 8, v5
	v_add_u32_e32 v7, 8, v7
	s_or_b64 s[6:7], vcc, s[6:7]
	s_waitcnt vmcnt(1) lgkmcnt(0)
	v_mul_f32_e32 v13, v11, v9
	v_mul_f32_e32 v9, v10, v9
	s_waitcnt vmcnt(0)
	v_fma_f32 v10, v10, v12, -v13
	v_fmac_f32_e32 v9, v11, v12
	v_add_f32_e32 v8, v8, v10
	v_add_f32_e32 v3, v3, v9
	s_andn2_b64 exec, exec, s[6:7]
	s_cbranch_execnz .LBB99_29
; %bb.30:
	s_or_b64 exec, exec, s[6:7]
	v_mov_b32_e32 v4, 0
	ds_read_b64 v[4:5], v4 offset:32
	s_waitcnt lgkmcnt(0)
	v_mul_f32_e32 v7, v3, v5
	v_mul_f32_e32 v5, v8, v5
	v_fma_f32 v7, v8, v4, -v7
	v_fmac_f32_e32 v5, v3, v4
	buffer_store_dword v7, off, s[0:3], 0 offset:32
	buffer_store_dword v5, off, s[0:3], 0 offset:36
.LBB99_31:
	s_or_b64 exec, exec, s[4:5]
	s_waitcnt lgkmcnt(0)
	; wave barrier
	buffer_load_dword v4, off, s[0:3], 0 offset:40
	buffer_load_dword v5, off, s[0:3], 0 offset:44
	v_cmp_gt_u32_e32 vcc, 5, v0
	s_waitcnt vmcnt(0)
	ds_write_b64 v1, v[4:5]
	;; [unrolled: 51-line block ×19, first 2 shown]
	s_waitcnt lgkmcnt(0)
	; wave barrier
	s_waitcnt lgkmcnt(0)
	s_and_saveexec_b64 s[4:5], vcc
	s_cbranch_execz .LBB99_103
; %bb.100:
	v_add_u32_e32 v4, -1, v0
	v_add_u32_e32 v5, 0x120, v6
	v_add_u32_e32 v7, 0, v6
	s_mov_b64 s[6:7], 0
	v_mov_b32_e32 v3, 0
	v_mov_b32_e32 v8, 0
.LBB99_101:                             ; =>This Inner Loop Header: Depth=1
	buffer_load_dword v9, v7, s[0:3], 0 offen offset:4
	buffer_load_dword v12, v7, s[0:3], 0 offen
	ds_read_b64 v[10:11], v5
	v_add_u32_e32 v4, 1, v4
	v_cmp_lt_u32_e32 vcc, 20, v4
	v_add_u32_e32 v5, 8, v5
	v_add_u32_e32 v7, 8, v7
	s_or_b64 s[6:7], vcc, s[6:7]
	s_waitcnt vmcnt(1) lgkmcnt(0)
	v_mul_f32_e32 v13, v11, v9
	v_mul_f32_e32 v9, v10, v9
	s_waitcnt vmcnt(0)
	v_fma_f32 v10, v10, v12, -v13
	v_fmac_f32_e32 v9, v11, v12
	v_add_f32_e32 v8, v8, v10
	v_add_f32_e32 v3, v3, v9
	s_andn2_b64 exec, exec, s[6:7]
	s_cbranch_execnz .LBB99_101
; %bb.102:
	s_or_b64 exec, exec, s[6:7]
	v_mov_b32_e32 v4, 0
	ds_read_b64 v[4:5], v4 offset:176
	s_waitcnt lgkmcnt(0)
	v_mul_f32_e32 v7, v3, v5
	v_mul_f32_e32 v5, v8, v5
	v_fma_f32 v7, v8, v4, -v7
	v_fmac_f32_e32 v5, v3, v4
	buffer_store_dword v7, off, s[0:3], 0 offset:176
	buffer_store_dword v5, off, s[0:3], 0 offset:180
.LBB99_103:
	s_or_b64 exec, exec, s[4:5]
	s_waitcnt lgkmcnt(0)
	; wave barrier
	buffer_load_dword v4, off, s[0:3], 0 offset:184
	buffer_load_dword v5, off, s[0:3], 0 offset:188
	v_cmp_gt_u32_e32 vcc, 23, v0
	s_waitcnt vmcnt(0)
	ds_write_b64 v1, v[4:5]
	s_waitcnt lgkmcnt(0)
	; wave barrier
	s_waitcnt lgkmcnt(0)
	s_and_saveexec_b64 s[4:5], vcc
	s_cbranch_execz .LBB99_107
; %bb.104:
	v_add_u32_e32 v4, -1, v0
	v_add_u32_e32 v5, 0x120, v6
	v_add_u32_e32 v7, 0, v6
	s_mov_b64 s[6:7], 0
	v_mov_b32_e32 v3, 0
	v_mov_b32_e32 v8, 0
.LBB99_105:                             ; =>This Inner Loop Header: Depth=1
	buffer_load_dword v9, v7, s[0:3], 0 offen offset:4
	buffer_load_dword v12, v7, s[0:3], 0 offen
	ds_read_b64 v[10:11], v5
	v_add_u32_e32 v4, 1, v4
	v_cmp_lt_u32_e32 vcc, 21, v4
	v_add_u32_e32 v5, 8, v5
	v_add_u32_e32 v7, 8, v7
	s_or_b64 s[6:7], vcc, s[6:7]
	s_waitcnt vmcnt(1) lgkmcnt(0)
	v_mul_f32_e32 v13, v11, v9
	v_mul_f32_e32 v9, v10, v9
	s_waitcnt vmcnt(0)
	v_fma_f32 v10, v10, v12, -v13
	v_fmac_f32_e32 v9, v11, v12
	v_add_f32_e32 v8, v8, v10
	v_add_f32_e32 v3, v3, v9
	s_andn2_b64 exec, exec, s[6:7]
	s_cbranch_execnz .LBB99_105
; %bb.106:
	s_or_b64 exec, exec, s[6:7]
	v_mov_b32_e32 v4, 0
	ds_read_b64 v[4:5], v4 offset:184
	s_waitcnt lgkmcnt(0)
	v_mul_f32_e32 v7, v3, v5
	v_mul_f32_e32 v5, v8, v5
	v_fma_f32 v7, v8, v4, -v7
	v_fmac_f32_e32 v5, v3, v4
	buffer_store_dword v7, off, s[0:3], 0 offset:184
	buffer_store_dword v5, off, s[0:3], 0 offset:188
.LBB99_107:
	s_or_b64 exec, exec, s[4:5]
	s_waitcnt lgkmcnt(0)
	; wave barrier
	buffer_load_dword v4, off, s[0:3], 0 offset:192
	buffer_load_dword v5, off, s[0:3], 0 offset:196
	v_cmp_gt_u32_e32 vcc, 24, v0
	s_waitcnt vmcnt(0)
	ds_write_b64 v1, v[4:5]
	s_waitcnt lgkmcnt(0)
	; wave barrier
	s_waitcnt lgkmcnt(0)
	s_and_saveexec_b64 s[4:5], vcc
	s_cbranch_execz .LBB99_111
; %bb.108:
	v_add_u32_e32 v4, -1, v0
	v_add_u32_e32 v5, 0x120, v6
	v_add_u32_e32 v7, 0, v6
	s_mov_b64 s[6:7], 0
	v_mov_b32_e32 v3, 0
	v_mov_b32_e32 v8, 0
.LBB99_109:                             ; =>This Inner Loop Header: Depth=1
	buffer_load_dword v9, v7, s[0:3], 0 offen offset:4
	buffer_load_dword v12, v7, s[0:3], 0 offen
	ds_read_b64 v[10:11], v5
	v_add_u32_e32 v4, 1, v4
	v_cmp_lt_u32_e32 vcc, 22, v4
	v_add_u32_e32 v5, 8, v5
	v_add_u32_e32 v7, 8, v7
	s_or_b64 s[6:7], vcc, s[6:7]
	s_waitcnt vmcnt(1) lgkmcnt(0)
	v_mul_f32_e32 v13, v11, v9
	v_mul_f32_e32 v9, v10, v9
	s_waitcnt vmcnt(0)
	v_fma_f32 v10, v10, v12, -v13
	v_fmac_f32_e32 v9, v11, v12
	v_add_f32_e32 v8, v8, v10
	v_add_f32_e32 v3, v3, v9
	s_andn2_b64 exec, exec, s[6:7]
	s_cbranch_execnz .LBB99_109
; %bb.110:
	s_or_b64 exec, exec, s[6:7]
	v_mov_b32_e32 v4, 0
	ds_read_b64 v[4:5], v4 offset:192
	s_waitcnt lgkmcnt(0)
	v_mul_f32_e32 v7, v3, v5
	v_mul_f32_e32 v5, v8, v5
	v_fma_f32 v7, v8, v4, -v7
	v_fmac_f32_e32 v5, v3, v4
	buffer_store_dword v7, off, s[0:3], 0 offset:192
	buffer_store_dword v5, off, s[0:3], 0 offset:196
.LBB99_111:
	s_or_b64 exec, exec, s[4:5]
	s_waitcnt lgkmcnt(0)
	; wave barrier
	buffer_load_dword v4, off, s[0:3], 0 offset:200
	buffer_load_dword v5, off, s[0:3], 0 offset:204
	v_cmp_gt_u32_e32 vcc, 25, v0
	s_waitcnt vmcnt(0)
	ds_write_b64 v1, v[4:5]
	s_waitcnt lgkmcnt(0)
	; wave barrier
	s_waitcnt lgkmcnt(0)
	s_and_saveexec_b64 s[4:5], vcc
	s_cbranch_execz .LBB99_115
; %bb.112:
	v_add_u32_e32 v4, -1, v0
	v_add_u32_e32 v5, 0x120, v6
	v_add_u32_e32 v7, 0, v6
	s_mov_b64 s[6:7], 0
	v_mov_b32_e32 v3, 0
	v_mov_b32_e32 v8, 0
.LBB99_113:                             ; =>This Inner Loop Header: Depth=1
	buffer_load_dword v9, v7, s[0:3], 0 offen offset:4
	buffer_load_dword v12, v7, s[0:3], 0 offen
	ds_read_b64 v[10:11], v5
	v_add_u32_e32 v4, 1, v4
	v_cmp_lt_u32_e32 vcc, 23, v4
	v_add_u32_e32 v5, 8, v5
	v_add_u32_e32 v7, 8, v7
	s_or_b64 s[6:7], vcc, s[6:7]
	s_waitcnt vmcnt(1) lgkmcnt(0)
	v_mul_f32_e32 v13, v11, v9
	v_mul_f32_e32 v9, v10, v9
	s_waitcnt vmcnt(0)
	v_fma_f32 v10, v10, v12, -v13
	v_fmac_f32_e32 v9, v11, v12
	v_add_f32_e32 v8, v8, v10
	v_add_f32_e32 v3, v3, v9
	s_andn2_b64 exec, exec, s[6:7]
	s_cbranch_execnz .LBB99_113
; %bb.114:
	s_or_b64 exec, exec, s[6:7]
	v_mov_b32_e32 v4, 0
	ds_read_b64 v[4:5], v4 offset:200
	s_waitcnt lgkmcnt(0)
	v_mul_f32_e32 v7, v3, v5
	v_mul_f32_e32 v5, v8, v5
	v_fma_f32 v7, v8, v4, -v7
	v_fmac_f32_e32 v5, v3, v4
	buffer_store_dword v7, off, s[0:3], 0 offset:200
	buffer_store_dword v5, off, s[0:3], 0 offset:204
.LBB99_115:
	s_or_b64 exec, exec, s[4:5]
	s_waitcnt lgkmcnt(0)
	; wave barrier
	buffer_load_dword v4, off, s[0:3], 0 offset:208
	buffer_load_dword v5, off, s[0:3], 0 offset:212
	v_cmp_gt_u32_e32 vcc, 26, v0
	s_waitcnt vmcnt(0)
	ds_write_b64 v1, v[4:5]
	s_waitcnt lgkmcnt(0)
	; wave barrier
	s_waitcnt lgkmcnt(0)
	s_and_saveexec_b64 s[4:5], vcc
	s_cbranch_execz .LBB99_119
; %bb.116:
	v_add_u32_e32 v4, -1, v0
	v_add_u32_e32 v5, 0x120, v6
	v_add_u32_e32 v7, 0, v6
	s_mov_b64 s[6:7], 0
	v_mov_b32_e32 v3, 0
	v_mov_b32_e32 v8, 0
.LBB99_117:                             ; =>This Inner Loop Header: Depth=1
	buffer_load_dword v9, v7, s[0:3], 0 offen offset:4
	buffer_load_dword v12, v7, s[0:3], 0 offen
	ds_read_b64 v[10:11], v5
	v_add_u32_e32 v4, 1, v4
	v_cmp_lt_u32_e32 vcc, 24, v4
	v_add_u32_e32 v5, 8, v5
	v_add_u32_e32 v7, 8, v7
	s_or_b64 s[6:7], vcc, s[6:7]
	s_waitcnt vmcnt(1) lgkmcnt(0)
	v_mul_f32_e32 v13, v11, v9
	v_mul_f32_e32 v9, v10, v9
	s_waitcnt vmcnt(0)
	v_fma_f32 v10, v10, v12, -v13
	v_fmac_f32_e32 v9, v11, v12
	v_add_f32_e32 v8, v8, v10
	v_add_f32_e32 v3, v3, v9
	s_andn2_b64 exec, exec, s[6:7]
	s_cbranch_execnz .LBB99_117
; %bb.118:
	s_or_b64 exec, exec, s[6:7]
	v_mov_b32_e32 v4, 0
	ds_read_b64 v[4:5], v4 offset:208
	s_waitcnt lgkmcnt(0)
	v_mul_f32_e32 v7, v3, v5
	v_mul_f32_e32 v5, v8, v5
	v_fma_f32 v7, v8, v4, -v7
	v_fmac_f32_e32 v5, v3, v4
	buffer_store_dword v7, off, s[0:3], 0 offset:208
	buffer_store_dword v5, off, s[0:3], 0 offset:212
.LBB99_119:
	s_or_b64 exec, exec, s[4:5]
	s_waitcnt lgkmcnt(0)
	; wave barrier
	buffer_load_dword v4, off, s[0:3], 0 offset:216
	buffer_load_dword v5, off, s[0:3], 0 offset:220
	v_cmp_gt_u32_e32 vcc, 27, v0
	s_waitcnt vmcnt(0)
	ds_write_b64 v1, v[4:5]
	s_waitcnt lgkmcnt(0)
	; wave barrier
	s_waitcnt lgkmcnt(0)
	s_and_saveexec_b64 s[4:5], vcc
	s_cbranch_execz .LBB99_123
; %bb.120:
	v_add_u32_e32 v4, -1, v0
	v_add_u32_e32 v5, 0x120, v6
	v_add_u32_e32 v7, 0, v6
	s_mov_b64 s[6:7], 0
	v_mov_b32_e32 v3, 0
	v_mov_b32_e32 v8, 0
.LBB99_121:                             ; =>This Inner Loop Header: Depth=1
	buffer_load_dword v9, v7, s[0:3], 0 offen offset:4
	buffer_load_dword v12, v7, s[0:3], 0 offen
	ds_read_b64 v[10:11], v5
	v_add_u32_e32 v4, 1, v4
	v_cmp_lt_u32_e32 vcc, 25, v4
	v_add_u32_e32 v5, 8, v5
	v_add_u32_e32 v7, 8, v7
	s_or_b64 s[6:7], vcc, s[6:7]
	s_waitcnt vmcnt(1) lgkmcnt(0)
	v_mul_f32_e32 v13, v11, v9
	v_mul_f32_e32 v9, v10, v9
	s_waitcnt vmcnt(0)
	v_fma_f32 v10, v10, v12, -v13
	v_fmac_f32_e32 v9, v11, v12
	v_add_f32_e32 v8, v8, v10
	v_add_f32_e32 v3, v3, v9
	s_andn2_b64 exec, exec, s[6:7]
	s_cbranch_execnz .LBB99_121
; %bb.122:
	s_or_b64 exec, exec, s[6:7]
	v_mov_b32_e32 v4, 0
	ds_read_b64 v[4:5], v4 offset:216
	s_waitcnt lgkmcnt(0)
	v_mul_f32_e32 v7, v3, v5
	v_mul_f32_e32 v5, v8, v5
	v_fma_f32 v7, v8, v4, -v7
	v_fmac_f32_e32 v5, v3, v4
	buffer_store_dword v7, off, s[0:3], 0 offset:216
	buffer_store_dword v5, off, s[0:3], 0 offset:220
.LBB99_123:
	s_or_b64 exec, exec, s[4:5]
	s_waitcnt lgkmcnt(0)
	; wave barrier
	buffer_load_dword v4, off, s[0:3], 0 offset:224
	buffer_load_dword v5, off, s[0:3], 0 offset:228
	v_cmp_gt_u32_e32 vcc, 28, v0
	s_waitcnt vmcnt(0)
	ds_write_b64 v1, v[4:5]
	s_waitcnt lgkmcnt(0)
	; wave barrier
	s_waitcnt lgkmcnt(0)
	s_and_saveexec_b64 s[4:5], vcc
	s_cbranch_execz .LBB99_127
; %bb.124:
	v_add_u32_e32 v4, -1, v0
	v_add_u32_e32 v5, 0x120, v6
	v_add_u32_e32 v7, 0, v6
	s_mov_b64 s[6:7], 0
	v_mov_b32_e32 v3, 0
	v_mov_b32_e32 v8, 0
.LBB99_125:                             ; =>This Inner Loop Header: Depth=1
	buffer_load_dword v9, v7, s[0:3], 0 offen offset:4
	buffer_load_dword v12, v7, s[0:3], 0 offen
	ds_read_b64 v[10:11], v5
	v_add_u32_e32 v4, 1, v4
	v_cmp_lt_u32_e32 vcc, 26, v4
	v_add_u32_e32 v5, 8, v5
	v_add_u32_e32 v7, 8, v7
	s_or_b64 s[6:7], vcc, s[6:7]
	s_waitcnt vmcnt(1) lgkmcnt(0)
	v_mul_f32_e32 v13, v11, v9
	v_mul_f32_e32 v9, v10, v9
	s_waitcnt vmcnt(0)
	v_fma_f32 v10, v10, v12, -v13
	v_fmac_f32_e32 v9, v11, v12
	v_add_f32_e32 v8, v8, v10
	v_add_f32_e32 v3, v3, v9
	s_andn2_b64 exec, exec, s[6:7]
	s_cbranch_execnz .LBB99_125
; %bb.126:
	s_or_b64 exec, exec, s[6:7]
	v_mov_b32_e32 v4, 0
	ds_read_b64 v[4:5], v4 offset:224
	s_waitcnt lgkmcnt(0)
	v_mul_f32_e32 v7, v3, v5
	v_mul_f32_e32 v5, v8, v5
	v_fma_f32 v7, v8, v4, -v7
	v_fmac_f32_e32 v5, v3, v4
	buffer_store_dword v7, off, s[0:3], 0 offset:224
	buffer_store_dword v5, off, s[0:3], 0 offset:228
.LBB99_127:
	s_or_b64 exec, exec, s[4:5]
	s_waitcnt lgkmcnt(0)
	; wave barrier
	buffer_load_dword v4, off, s[0:3], 0 offset:232
	buffer_load_dword v5, off, s[0:3], 0 offset:236
	v_cmp_gt_u32_e32 vcc, 29, v0
	s_waitcnt vmcnt(0)
	ds_write_b64 v1, v[4:5]
	s_waitcnt lgkmcnt(0)
	; wave barrier
	s_waitcnt lgkmcnt(0)
	s_and_saveexec_b64 s[4:5], vcc
	s_cbranch_execz .LBB99_131
; %bb.128:
	v_add_u32_e32 v4, -1, v0
	v_add_u32_e32 v5, 0x120, v6
	v_add_u32_e32 v7, 0, v6
	s_mov_b64 s[6:7], 0
	v_mov_b32_e32 v3, 0
	v_mov_b32_e32 v8, 0
.LBB99_129:                             ; =>This Inner Loop Header: Depth=1
	buffer_load_dword v9, v7, s[0:3], 0 offen offset:4
	buffer_load_dword v12, v7, s[0:3], 0 offen
	ds_read_b64 v[10:11], v5
	v_add_u32_e32 v4, 1, v4
	v_cmp_lt_u32_e32 vcc, 27, v4
	v_add_u32_e32 v5, 8, v5
	v_add_u32_e32 v7, 8, v7
	s_or_b64 s[6:7], vcc, s[6:7]
	s_waitcnt vmcnt(1) lgkmcnt(0)
	v_mul_f32_e32 v13, v11, v9
	v_mul_f32_e32 v9, v10, v9
	s_waitcnt vmcnt(0)
	v_fma_f32 v10, v10, v12, -v13
	v_fmac_f32_e32 v9, v11, v12
	v_add_f32_e32 v8, v8, v10
	v_add_f32_e32 v3, v3, v9
	s_andn2_b64 exec, exec, s[6:7]
	s_cbranch_execnz .LBB99_129
; %bb.130:
	s_or_b64 exec, exec, s[6:7]
	v_mov_b32_e32 v4, 0
	ds_read_b64 v[4:5], v4 offset:232
	s_waitcnt lgkmcnt(0)
	v_mul_f32_e32 v7, v3, v5
	v_mul_f32_e32 v5, v8, v5
	v_fma_f32 v7, v8, v4, -v7
	v_fmac_f32_e32 v5, v3, v4
	buffer_store_dword v7, off, s[0:3], 0 offset:232
	buffer_store_dword v5, off, s[0:3], 0 offset:236
.LBB99_131:
	s_or_b64 exec, exec, s[4:5]
	s_waitcnt lgkmcnt(0)
	; wave barrier
	buffer_load_dword v4, off, s[0:3], 0 offset:240
	buffer_load_dword v5, off, s[0:3], 0 offset:244
	v_cmp_gt_u32_e32 vcc, 30, v0
	s_waitcnt vmcnt(0)
	ds_write_b64 v1, v[4:5]
	s_waitcnt lgkmcnt(0)
	; wave barrier
	s_waitcnt lgkmcnt(0)
	s_and_saveexec_b64 s[4:5], vcc
	s_cbranch_execz .LBB99_135
; %bb.132:
	v_add_u32_e32 v4, -1, v0
	v_add_u32_e32 v5, 0x120, v6
	v_add_u32_e32 v7, 0, v6
	s_mov_b64 s[6:7], 0
	v_mov_b32_e32 v3, 0
	v_mov_b32_e32 v8, 0
.LBB99_133:                             ; =>This Inner Loop Header: Depth=1
	buffer_load_dword v9, v7, s[0:3], 0 offen offset:4
	buffer_load_dword v12, v7, s[0:3], 0 offen
	ds_read_b64 v[10:11], v5
	v_add_u32_e32 v4, 1, v4
	v_cmp_lt_u32_e32 vcc, 28, v4
	v_add_u32_e32 v5, 8, v5
	v_add_u32_e32 v7, 8, v7
	s_or_b64 s[6:7], vcc, s[6:7]
	s_waitcnt vmcnt(1) lgkmcnt(0)
	v_mul_f32_e32 v13, v11, v9
	v_mul_f32_e32 v9, v10, v9
	s_waitcnt vmcnt(0)
	v_fma_f32 v10, v10, v12, -v13
	v_fmac_f32_e32 v9, v11, v12
	v_add_f32_e32 v8, v8, v10
	v_add_f32_e32 v3, v3, v9
	s_andn2_b64 exec, exec, s[6:7]
	s_cbranch_execnz .LBB99_133
; %bb.134:
	s_or_b64 exec, exec, s[6:7]
	v_mov_b32_e32 v4, 0
	ds_read_b64 v[4:5], v4 offset:240
	s_waitcnt lgkmcnt(0)
	v_mul_f32_e32 v7, v3, v5
	v_mul_f32_e32 v5, v8, v5
	v_fma_f32 v7, v8, v4, -v7
	v_fmac_f32_e32 v5, v3, v4
	buffer_store_dword v7, off, s[0:3], 0 offset:240
	buffer_store_dword v5, off, s[0:3], 0 offset:244
.LBB99_135:
	s_or_b64 exec, exec, s[4:5]
	s_waitcnt lgkmcnt(0)
	; wave barrier
	buffer_load_dword v4, off, s[0:3], 0 offset:248
	buffer_load_dword v5, off, s[0:3], 0 offset:252
	v_cmp_gt_u32_e32 vcc, 31, v0
	s_waitcnt vmcnt(0)
	ds_write_b64 v1, v[4:5]
	s_waitcnt lgkmcnt(0)
	; wave barrier
	s_waitcnt lgkmcnt(0)
	s_and_saveexec_b64 s[4:5], vcc
	s_cbranch_execz .LBB99_139
; %bb.136:
	v_add_u32_e32 v4, -1, v0
	v_add_u32_e32 v5, 0x120, v6
	v_add_u32_e32 v7, 0, v6
	s_mov_b64 s[6:7], 0
	v_mov_b32_e32 v3, 0
	v_mov_b32_e32 v8, 0
.LBB99_137:                             ; =>This Inner Loop Header: Depth=1
	buffer_load_dword v9, v7, s[0:3], 0 offen offset:4
	buffer_load_dword v12, v7, s[0:3], 0 offen
	ds_read_b64 v[10:11], v5
	v_add_u32_e32 v4, 1, v4
	v_cmp_lt_u32_e32 vcc, 29, v4
	v_add_u32_e32 v5, 8, v5
	v_add_u32_e32 v7, 8, v7
	s_or_b64 s[6:7], vcc, s[6:7]
	s_waitcnt vmcnt(1) lgkmcnt(0)
	v_mul_f32_e32 v13, v11, v9
	v_mul_f32_e32 v9, v10, v9
	s_waitcnt vmcnt(0)
	v_fma_f32 v10, v10, v12, -v13
	v_fmac_f32_e32 v9, v11, v12
	v_add_f32_e32 v8, v8, v10
	v_add_f32_e32 v3, v3, v9
	s_andn2_b64 exec, exec, s[6:7]
	s_cbranch_execnz .LBB99_137
; %bb.138:
	s_or_b64 exec, exec, s[6:7]
	v_mov_b32_e32 v4, 0
	ds_read_b64 v[4:5], v4 offset:248
	s_waitcnt lgkmcnt(0)
	v_mul_f32_e32 v7, v3, v5
	v_mul_f32_e32 v5, v8, v5
	v_fma_f32 v7, v8, v4, -v7
	v_fmac_f32_e32 v5, v3, v4
	buffer_store_dword v7, off, s[0:3], 0 offset:248
	buffer_store_dword v5, off, s[0:3], 0 offset:252
.LBB99_139:
	s_or_b64 exec, exec, s[4:5]
	s_waitcnt lgkmcnt(0)
	; wave barrier
	buffer_load_dword v4, off, s[0:3], 0 offset:256
	buffer_load_dword v5, off, s[0:3], 0 offset:260
	v_cmp_gt_u32_e32 vcc, 32, v0
	s_waitcnt vmcnt(0)
	ds_write_b64 v1, v[4:5]
	s_waitcnt lgkmcnt(0)
	; wave barrier
	s_waitcnt lgkmcnt(0)
	s_and_saveexec_b64 s[4:5], vcc
	s_cbranch_execz .LBB99_143
; %bb.140:
	v_add_u32_e32 v4, -1, v0
	v_add_u32_e32 v5, 0x120, v6
	v_add_u32_e32 v7, 0, v6
	s_mov_b64 s[6:7], 0
	v_mov_b32_e32 v3, 0
	v_mov_b32_e32 v8, 0
.LBB99_141:                             ; =>This Inner Loop Header: Depth=1
	buffer_load_dword v9, v7, s[0:3], 0 offen offset:4
	buffer_load_dword v12, v7, s[0:3], 0 offen
	ds_read_b64 v[10:11], v5
	v_add_u32_e32 v4, 1, v4
	v_cmp_lt_u32_e32 vcc, 30, v4
	v_add_u32_e32 v5, 8, v5
	v_add_u32_e32 v7, 8, v7
	s_or_b64 s[6:7], vcc, s[6:7]
	s_waitcnt vmcnt(1) lgkmcnt(0)
	v_mul_f32_e32 v13, v11, v9
	v_mul_f32_e32 v9, v10, v9
	s_waitcnt vmcnt(0)
	v_fma_f32 v10, v10, v12, -v13
	v_fmac_f32_e32 v9, v11, v12
	v_add_f32_e32 v8, v8, v10
	v_add_f32_e32 v3, v3, v9
	s_andn2_b64 exec, exec, s[6:7]
	s_cbranch_execnz .LBB99_141
; %bb.142:
	s_or_b64 exec, exec, s[6:7]
	v_mov_b32_e32 v4, 0
	ds_read_b64 v[4:5], v4 offset:256
	s_waitcnt lgkmcnt(0)
	v_mul_f32_e32 v7, v3, v5
	v_mul_f32_e32 v5, v8, v5
	v_fma_f32 v7, v8, v4, -v7
	v_fmac_f32_e32 v5, v3, v4
	buffer_store_dword v7, off, s[0:3], 0 offset:256
	buffer_store_dword v5, off, s[0:3], 0 offset:260
.LBB99_143:
	s_or_b64 exec, exec, s[4:5]
	s_waitcnt lgkmcnt(0)
	; wave barrier
	buffer_load_dword v4, off, s[0:3], 0 offset:264
	buffer_load_dword v5, off, s[0:3], 0 offset:268
	v_cmp_gt_u32_e32 vcc, 33, v0
	s_waitcnt vmcnt(0)
	ds_write_b64 v1, v[4:5]
	s_waitcnt lgkmcnt(0)
	; wave barrier
	s_waitcnt lgkmcnt(0)
	s_and_saveexec_b64 s[4:5], vcc
	s_cbranch_execz .LBB99_147
; %bb.144:
	v_add_u32_e32 v4, -1, v0
	v_add_u32_e32 v5, 0x120, v6
	v_add_u32_e32 v7, 0, v6
	s_mov_b64 s[6:7], 0
	v_mov_b32_e32 v3, 0
	v_mov_b32_e32 v8, 0
.LBB99_145:                             ; =>This Inner Loop Header: Depth=1
	buffer_load_dword v9, v7, s[0:3], 0 offen offset:4
	buffer_load_dword v12, v7, s[0:3], 0 offen
	ds_read_b64 v[10:11], v5
	v_add_u32_e32 v4, 1, v4
	v_cmp_lt_u32_e32 vcc, 31, v4
	v_add_u32_e32 v5, 8, v5
	v_add_u32_e32 v7, 8, v7
	s_or_b64 s[6:7], vcc, s[6:7]
	s_waitcnt vmcnt(1) lgkmcnt(0)
	v_mul_f32_e32 v13, v11, v9
	v_mul_f32_e32 v9, v10, v9
	s_waitcnt vmcnt(0)
	v_fma_f32 v10, v10, v12, -v13
	v_fmac_f32_e32 v9, v11, v12
	v_add_f32_e32 v8, v8, v10
	v_add_f32_e32 v3, v3, v9
	s_andn2_b64 exec, exec, s[6:7]
	s_cbranch_execnz .LBB99_145
; %bb.146:
	s_or_b64 exec, exec, s[6:7]
	v_mov_b32_e32 v4, 0
	ds_read_b64 v[4:5], v4 offset:264
	s_waitcnt lgkmcnt(0)
	v_mul_f32_e32 v7, v3, v5
	v_mul_f32_e32 v5, v8, v5
	v_fma_f32 v7, v8, v4, -v7
	v_fmac_f32_e32 v5, v3, v4
	buffer_store_dword v7, off, s[0:3], 0 offset:264
	buffer_store_dword v5, off, s[0:3], 0 offset:268
.LBB99_147:
	s_or_b64 exec, exec, s[4:5]
	s_waitcnt lgkmcnt(0)
	; wave barrier
	buffer_load_dword v4, off, s[0:3], 0 offset:272
	buffer_load_dword v5, off, s[0:3], 0 offset:276
	v_cmp_gt_u32_e32 vcc, 34, v0
	s_waitcnt vmcnt(0)
	ds_write_b64 v1, v[4:5]
	s_waitcnt lgkmcnt(0)
	; wave barrier
	s_waitcnt lgkmcnt(0)
	s_and_saveexec_b64 s[4:5], vcc
	s_cbranch_execz .LBB99_151
; %bb.148:
	v_add_u32_e32 v4, -1, v0
	v_add_u32_e32 v5, 0x120, v6
	v_add_u32_e32 v7, 0, v6
	s_mov_b64 s[6:7], 0
	v_mov_b32_e32 v3, 0
	v_mov_b32_e32 v8, 0
.LBB99_149:                             ; =>This Inner Loop Header: Depth=1
	buffer_load_dword v9, v7, s[0:3], 0 offen offset:4
	buffer_load_dword v12, v7, s[0:3], 0 offen
	ds_read_b64 v[10:11], v5
	v_add_u32_e32 v4, 1, v4
	v_cmp_lt_u32_e32 vcc, 32, v4
	v_add_u32_e32 v5, 8, v5
	v_add_u32_e32 v7, 8, v7
	s_or_b64 s[6:7], vcc, s[6:7]
	s_waitcnt vmcnt(1) lgkmcnt(0)
	v_mul_f32_e32 v13, v11, v9
	v_mul_f32_e32 v9, v10, v9
	s_waitcnt vmcnt(0)
	v_fma_f32 v10, v10, v12, -v13
	v_fmac_f32_e32 v9, v11, v12
	v_add_f32_e32 v8, v8, v10
	v_add_f32_e32 v3, v3, v9
	s_andn2_b64 exec, exec, s[6:7]
	s_cbranch_execnz .LBB99_149
; %bb.150:
	s_or_b64 exec, exec, s[6:7]
	v_mov_b32_e32 v4, 0
	ds_read_b64 v[4:5], v4 offset:272
	s_waitcnt lgkmcnt(0)
	v_mul_f32_e32 v7, v3, v5
	v_mul_f32_e32 v5, v8, v5
	v_fma_f32 v7, v8, v4, -v7
	v_fmac_f32_e32 v5, v3, v4
	buffer_store_dword v7, off, s[0:3], 0 offset:272
	buffer_store_dword v5, off, s[0:3], 0 offset:276
.LBB99_151:
	s_or_b64 exec, exec, s[4:5]
	s_waitcnt lgkmcnt(0)
	; wave barrier
	buffer_load_dword v4, off, s[0:3], 0 offset:280
	buffer_load_dword v5, off, s[0:3], 0 offset:284
	v_cmp_ne_u32_e32 vcc, 35, v0
	s_waitcnt vmcnt(0)
	ds_write_b64 v1, v[4:5]
	s_waitcnt lgkmcnt(0)
	; wave barrier
	s_waitcnt lgkmcnt(0)
	s_and_saveexec_b64 s[4:5], vcc
	s_cbranch_execz .LBB99_155
; %bb.152:
	v_add_u32_e32 v3, 0x120, v6
	v_add_u32_e32 v4, 0, v6
	s_mov_b64 s[6:7], 0
	v_mov_b32_e32 v1, 0
	v_mov_b32_e32 v5, 0
.LBB99_153:                             ; =>This Inner Loop Header: Depth=1
	buffer_load_dword v8, v4, s[0:3], 0 offen offset:4
	buffer_load_dword v9, v4, s[0:3], 0 offen
	ds_read_b64 v[6:7], v3
	v_add_u32_e32 v2, 1, v2
	v_cmp_lt_u32_e32 vcc, 33, v2
	v_add_u32_e32 v3, 8, v3
	v_add_u32_e32 v4, 8, v4
	s_or_b64 s[6:7], vcc, s[6:7]
	s_waitcnt vmcnt(1) lgkmcnt(0)
	v_mul_f32_e32 v10, v7, v8
	v_mul_f32_e32 v8, v6, v8
	s_waitcnt vmcnt(0)
	v_fma_f32 v6, v6, v9, -v10
	v_fmac_f32_e32 v8, v7, v9
	v_add_f32_e32 v5, v5, v6
	v_add_f32_e32 v1, v1, v8
	s_andn2_b64 exec, exec, s[6:7]
	s_cbranch_execnz .LBB99_153
; %bb.154:
	s_or_b64 exec, exec, s[6:7]
	v_mov_b32_e32 v2, 0
	ds_read_b64 v[2:3], v2 offset:280
	s_waitcnt lgkmcnt(0)
	v_mul_f32_e32 v4, v1, v3
	v_mul_f32_e32 v3, v5, v3
	v_fma_f32 v4, v5, v2, -v4
	v_fmac_f32_e32 v3, v1, v2
	buffer_store_dword v4, off, s[0:3], 0 offset:280
	buffer_store_dword v3, off, s[0:3], 0 offset:284
.LBB99_155:
	s_or_b64 exec, exec, s[4:5]
	s_mov_b64 s[6:7], -1
	s_waitcnt lgkmcnt(0)
	; wave barrier
.LBB99_156:
	s_and_b64 vcc, exec, s[6:7]
	s_cbranch_vccz .LBB99_158
; %bb.157:
	s_lshl_b64 s[4:5], s[8:9], 2
	s_add_u32 s4, s14, s4
	s_addc_u32 s5, s15, s5
	v_mov_b32_e32 v1, 0
	global_load_dword v1, v1, s[4:5]
	s_waitcnt vmcnt(0)
	v_cmp_ne_u32_e32 vcc, 0, v1
	s_cbranch_vccz .LBB99_159
.LBB99_158:
	s_endpgm
.LBB99_159:
	v_mov_b32_e32 v1, 0x120
	v_lshl_add_u32 v1, v0, 3, v1
	v_cmp_eq_u32_e32 vcc, 35, v0
	s_and_saveexec_b64 s[4:5], vcc
	s_cbranch_execz .LBB99_161
; %bb.160:
	buffer_load_dword v2, off, s[0:3], 0 offset:272
	buffer_load_dword v3, off, s[0:3], 0 offset:276
	v_mov_b32_e32 v4, 0
	buffer_store_dword v4, off, s[0:3], 0 offset:272
	buffer_store_dword v4, off, s[0:3], 0 offset:276
	s_waitcnt vmcnt(2)
	ds_write_b64 v1, v[2:3]
.LBB99_161:
	s_or_b64 exec, exec, s[4:5]
	s_waitcnt lgkmcnt(0)
	; wave barrier
	s_waitcnt lgkmcnt(0)
	buffer_load_dword v5, off, s[0:3], 0 offset:284
	buffer_load_dword v4, off, s[0:3], 0 offset:280
	;; [unrolled: 1-line block ×4, first 2 shown]
	v_mov_b32_e32 v2, 0
	ds_read_b64 v[8:9], v2 offset:568
	v_cmp_lt_u32_e32 vcc, 33, v0
	s_waitcnt vmcnt(3)
	v_mov_b32_e32 v10, v5
	s_waitcnt lgkmcnt(0)
	v_pk_mul_f32 v[10:11], v[8:9], v[10:11] op_sel_hi:[1,0]
	s_waitcnt vmcnt(2)
	v_pk_fma_f32 v[12:13], v[8:9], v[4:5], v[10:11] op_sel:[0,0,1] op_sel_hi:[1,1,0] neg_lo:[0,0,1] neg_hi:[0,0,1]
	v_pk_fma_f32 v[4:5], v[8:9], v[4:5], v[10:11] op_sel:[0,0,1] op_sel_hi:[1,0,0]
	v_mov_b32_e32 v13, v5
	v_pk_add_f32 v[4:5], v[12:13], 0 op_sel_hi:[1,0]
	s_waitcnt vmcnt(0)
	v_pk_add_f32 v[4:5], v[6:7], v[4:5] neg_lo:[0,1] neg_hi:[0,1]
	buffer_store_dword v4, off, s[0:3], 0 offset:272
	buffer_store_dword v5, off, s[0:3], 0 offset:276
	s_and_saveexec_b64 s[4:5], vcc
	s_cbranch_execz .LBB99_163
; %bb.162:
	buffer_load_dword v4, off, s[0:3], 0 offset:264
	buffer_load_dword v5, off, s[0:3], 0 offset:268
	s_waitcnt vmcnt(0)
	ds_write_b64 v1, v[4:5]
	buffer_store_dword v2, off, s[0:3], 0 offset:264
	buffer_store_dword v2, off, s[0:3], 0 offset:268
.LBB99_163:
	s_or_b64 exec, exec, s[4:5]
	s_waitcnt lgkmcnt(0)
	; wave barrier
	s_waitcnt lgkmcnt(0)
	buffer_load_dword v7, off, s[0:3], 0 offset:276
	buffer_load_dword v9, off, s[0:3], 0 offset:284
	;; [unrolled: 1-line block ×6, first 2 shown]
	ds_read_b128 v[2:5], v2 offset:560
	v_cmp_lt_u32_e32 vcc, 32, v0
	s_waitcnt vmcnt(5)
	v_mov_b32_e32 v12, v7
	s_waitcnt vmcnt(4)
	v_mov_b32_e32 v14, v9
	s_waitcnt lgkmcnt(0)
	v_pk_mul_f32 v[12:13], v[2:3], v[12:13] op_sel_hi:[1,0]
	v_pk_mul_f32 v[14:15], v[4:5], v[14:15] op_sel_hi:[1,0]
	s_waitcnt vmcnt(3)
	v_pk_fma_f32 v[16:17], v[2:3], v[6:7], v[12:13] op_sel:[0,0,1] op_sel_hi:[1,1,0] neg_lo:[0,0,1] neg_hi:[0,0,1]
	v_pk_fma_f32 v[2:3], v[2:3], v[6:7], v[12:13] op_sel:[0,0,1] op_sel_hi:[1,0,0]
	s_waitcnt vmcnt(2)
	v_pk_fma_f32 v[6:7], v[4:5], v[8:9], v[14:15] op_sel:[0,0,1] op_sel_hi:[1,1,0] neg_lo:[0,0,1] neg_hi:[0,0,1]
	v_pk_fma_f32 v[4:5], v[4:5], v[8:9], v[14:15] op_sel:[0,0,1] op_sel_hi:[1,0,0]
	v_mov_b32_e32 v17, v3
	v_mov_b32_e32 v7, v5
	v_pk_add_f32 v[2:3], v[16:17], 0 op_sel_hi:[1,0]
	v_pk_add_f32 v[2:3], v[2:3], v[6:7]
	s_waitcnt vmcnt(0)
	v_pk_add_f32 v[2:3], v[10:11], v[2:3] neg_lo:[0,1] neg_hi:[0,1]
	buffer_store_dword v2, off, s[0:3], 0 offset:264
	buffer_store_dword v3, off, s[0:3], 0 offset:268
	s_and_saveexec_b64 s[4:5], vcc
	s_cbranch_execz .LBB99_165
; %bb.164:
	buffer_load_dword v2, off, s[0:3], 0 offset:256
	buffer_load_dword v3, off, s[0:3], 0 offset:260
	v_mov_b32_e32 v4, 0
	buffer_store_dword v4, off, s[0:3], 0 offset:256
	buffer_store_dword v4, off, s[0:3], 0 offset:260
	s_waitcnt vmcnt(2)
	ds_write_b64 v1, v[2:3]
.LBB99_165:
	s_or_b64 exec, exec, s[4:5]
	s_waitcnt lgkmcnt(0)
	; wave barrier
	s_waitcnt lgkmcnt(0)
	buffer_load_dword v9, off, s[0:3], 0 offset:268
	buffer_load_dword v11, off, s[0:3], 0 offset:276
	;; [unrolled: 1-line block ×8, first 2 shown]
	v_mov_b32_e32 v2, 0
	ds_read2_b64 v[4:7], v2 offset0:69 offset1:70
	ds_read_b64 v[16:17], v2 offset:568
	v_cmp_lt_u32_e32 vcc, 31, v0
	s_waitcnt vmcnt(7)
	v_mov_b32_e32 v18, v9
	s_waitcnt vmcnt(6)
	v_mov_b32_e32 v20, v11
	s_waitcnt lgkmcnt(1)
	v_pk_mul_f32 v[18:19], v[4:5], v[18:19] op_sel_hi:[1,0]
	s_waitcnt vmcnt(5)
	v_mov_b32_e32 v94, v13
	v_pk_mul_f32 v[20:21], v[6:7], v[20:21] op_sel_hi:[1,0]
	s_waitcnt vmcnt(4)
	v_pk_fma_f32 v[96:97], v[4:5], v[8:9], v[18:19] op_sel:[0,0,1] op_sel_hi:[1,1,0] neg_lo:[0,0,1] neg_hi:[0,0,1]
	v_pk_fma_f32 v[4:5], v[4:5], v[8:9], v[18:19] op_sel:[0,0,1] op_sel_hi:[1,0,0]
	s_waitcnt lgkmcnt(0)
	v_pk_mul_f32 v[94:95], v[16:17], v[94:95] op_sel_hi:[1,0]
	s_waitcnt vmcnt(3)
	v_pk_fma_f32 v[8:9], v[6:7], v[10:11], v[20:21] op_sel:[0,0,1] op_sel_hi:[1,1,0] neg_lo:[0,0,1] neg_hi:[0,0,1]
	v_pk_fma_f32 v[6:7], v[6:7], v[10:11], v[20:21] op_sel:[0,0,1] op_sel_hi:[1,0,0]
	v_mov_b32_e32 v97, v5
	s_waitcnt vmcnt(2)
	v_pk_fma_f32 v[10:11], v[16:17], v[12:13], v[94:95] op_sel:[0,0,1] op_sel_hi:[1,1,0] neg_lo:[0,0,1] neg_hi:[0,0,1]
	v_pk_fma_f32 v[12:13], v[16:17], v[12:13], v[94:95] op_sel:[0,0,1] op_sel_hi:[1,0,0]
	v_mov_b32_e32 v9, v7
	v_pk_add_f32 v[4:5], v[96:97], 0 op_sel_hi:[1,0]
	v_mov_b32_e32 v11, v13
	v_pk_add_f32 v[4:5], v[4:5], v[8:9]
	v_pk_add_f32 v[4:5], v[4:5], v[10:11]
	s_waitcnt vmcnt(0)
	v_pk_add_f32 v[4:5], v[14:15], v[4:5] neg_lo:[0,1] neg_hi:[0,1]
	buffer_store_dword v4, off, s[0:3], 0 offset:256
	buffer_store_dword v5, off, s[0:3], 0 offset:260
	s_and_saveexec_b64 s[4:5], vcc
	s_cbranch_execz .LBB99_167
; %bb.166:
	buffer_load_dword v4, off, s[0:3], 0 offset:248
	buffer_load_dword v5, off, s[0:3], 0 offset:252
	s_waitcnt vmcnt(0)
	ds_write_b64 v1, v[4:5]
	buffer_store_dword v2, off, s[0:3], 0 offset:248
	buffer_store_dword v2, off, s[0:3], 0 offset:252
.LBB99_167:
	s_or_b64 exec, exec, s[4:5]
	s_waitcnt lgkmcnt(0)
	; wave barrier
	s_waitcnt lgkmcnt(0)
	buffer_load_dword v13, off, s[0:3], 0 offset:260
	buffer_load_dword v15, off, s[0:3], 0 offset:268
	;; [unrolled: 1-line block ×10, first 2 shown]
	ds_read_b128 v[4:7], v2 offset:544
	ds_read_b128 v[8:11], v2 offset:560
	v_cmp_lt_u32_e32 vcc, 30, v0
	s_waitcnt vmcnt(9)
	v_mov_b32_e32 v2, v13
	s_waitcnt vmcnt(8)
	v_mov_b32_e32 v94, v15
	s_waitcnt lgkmcnt(1)
	v_pk_mul_f32 v[2:3], v[4:5], v[2:3] op_sel_hi:[1,0]
	s_waitcnt vmcnt(7)
	v_mov_b32_e32 v96, v17
	v_pk_mul_f32 v[94:95], v[6:7], v[94:95] op_sel_hi:[1,0]
	s_waitcnt vmcnt(5)
	v_pk_fma_f32 v[100:101], v[4:5], v[12:13], v[2:3] op_sel:[0,0,1] op_sel_hi:[1,1,0] neg_lo:[0,0,1] neg_hi:[0,0,1]
	v_pk_fma_f32 v[2:3], v[4:5], v[12:13], v[2:3] op_sel:[0,0,1] op_sel_hi:[1,0,0]
	v_mov_b32_e32 v98, v19
	s_waitcnt lgkmcnt(0)
	v_pk_mul_f32 v[96:97], v[8:9], v[96:97] op_sel_hi:[1,0]
	s_waitcnt vmcnt(4)
	v_pk_fma_f32 v[4:5], v[6:7], v[14:15], v[94:95] op_sel:[0,0,1] op_sel_hi:[1,1,0] neg_lo:[0,0,1] neg_hi:[0,0,1]
	v_pk_fma_f32 v[6:7], v[6:7], v[14:15], v[94:95] op_sel:[0,0,1] op_sel_hi:[1,0,0]
	v_mov_b32_e32 v101, v3
	v_pk_mul_f32 v[98:99], v[10:11], v[98:99] op_sel_hi:[1,0]
	s_waitcnt vmcnt(3)
	v_pk_fma_f32 v[12:13], v[8:9], v[16:17], v[96:97] op_sel:[0,0,1] op_sel_hi:[1,1,0] neg_lo:[0,0,1] neg_hi:[0,0,1]
	v_pk_fma_f32 v[8:9], v[8:9], v[16:17], v[96:97] op_sel:[0,0,1] op_sel_hi:[1,0,0]
	v_mov_b32_e32 v5, v7
	v_pk_add_f32 v[2:3], v[100:101], 0 op_sel_hi:[1,0]
	s_waitcnt vmcnt(2)
	v_pk_fma_f32 v[14:15], v[10:11], v[18:19], v[98:99] op_sel:[0,0,1] op_sel_hi:[1,1,0] neg_lo:[0,0,1] neg_hi:[0,0,1]
	v_pk_fma_f32 v[10:11], v[10:11], v[18:19], v[98:99] op_sel:[0,0,1] op_sel_hi:[1,0,0]
	v_mov_b32_e32 v13, v9
	v_pk_add_f32 v[2:3], v[2:3], v[4:5]
	v_mov_b32_e32 v15, v11
	v_pk_add_f32 v[2:3], v[2:3], v[12:13]
	v_pk_add_f32 v[2:3], v[2:3], v[14:15]
	s_waitcnt vmcnt(0)
	v_pk_add_f32 v[2:3], v[20:21], v[2:3] neg_lo:[0,1] neg_hi:[0,1]
	buffer_store_dword v2, off, s[0:3], 0 offset:248
	buffer_store_dword v3, off, s[0:3], 0 offset:252
	s_and_saveexec_b64 s[4:5], vcc
	s_cbranch_execz .LBB99_169
; %bb.168:
	buffer_load_dword v2, off, s[0:3], 0 offset:240
	buffer_load_dword v3, off, s[0:3], 0 offset:244
	v_mov_b32_e32 v4, 0
	buffer_store_dword v4, off, s[0:3], 0 offset:240
	buffer_store_dword v4, off, s[0:3], 0 offset:244
	s_waitcnt vmcnt(2)
	ds_write_b64 v1, v[2:3]
.LBB99_169:
	s_or_b64 exec, exec, s[4:5]
	s_waitcnt lgkmcnt(0)
	; wave barrier
	s_waitcnt lgkmcnt(0)
	buffer_load_dword v13, off, s[0:3], 0 offset:252
	buffer_load_dword v15, off, s[0:3], 0 offset:260
	;; [unrolled: 1-line block ×12, first 2 shown]
	v_mov_b32_e32 v2, 0
	ds_read2_b64 v[4:7], v2 offset0:67 offset1:68
	ds_read2_b64 v[8:11], v2 offset0:69 offset1:70
	ds_read_b64 v[96:97], v2 offset:568
	v_cmp_lt_u32_e32 vcc, 29, v0
	s_waitcnt vmcnt(11)
	v_mov_b32_e32 v98, v13
	s_waitcnt vmcnt(10)
	v_mov_b32_e32 v100, v15
	s_waitcnt lgkmcnt(2)
	v_pk_mul_f32 v[98:99], v[4:5], v[98:99] op_sel_hi:[1,0]
	s_waitcnt vmcnt(9)
	v_mov_b32_e32 v102, v17
	v_pk_mul_f32 v[100:101], v[6:7], v[100:101] op_sel_hi:[1,0]
	s_waitcnt vmcnt(6)
	v_pk_fma_f32 v[108:109], v[4:5], v[12:13], v[98:99] op_sel:[0,0,1] op_sel_hi:[1,1,0] neg_lo:[0,0,1] neg_hi:[0,0,1]
	v_pk_fma_f32 v[4:5], v[4:5], v[12:13], v[98:99] op_sel:[0,0,1] op_sel_hi:[1,0,0]
	v_mov_b32_e32 v104, v19
	s_waitcnt lgkmcnt(1)
	v_pk_mul_f32 v[102:103], v[8:9], v[102:103] op_sel_hi:[1,0]
	s_waitcnt vmcnt(5)
	v_pk_fma_f32 v[12:13], v[6:7], v[14:15], v[100:101] op_sel:[0,0,1] op_sel_hi:[1,1,0] neg_lo:[0,0,1] neg_hi:[0,0,1]
	v_pk_fma_f32 v[6:7], v[6:7], v[14:15], v[100:101] op_sel:[0,0,1] op_sel_hi:[1,0,0]
	v_mov_b32_e32 v109, v5
	v_mov_b32_e32 v106, v21
	v_pk_mul_f32 v[104:105], v[10:11], v[104:105] op_sel_hi:[1,0]
	s_waitcnt vmcnt(4)
	v_pk_fma_f32 v[14:15], v[8:9], v[16:17], v[102:103] op_sel:[0,0,1] op_sel_hi:[1,1,0] neg_lo:[0,0,1] neg_hi:[0,0,1]
	v_pk_fma_f32 v[8:9], v[8:9], v[16:17], v[102:103] op_sel:[0,0,1] op_sel_hi:[1,0,0]
	v_mov_b32_e32 v13, v7
	v_pk_add_f32 v[4:5], v[108:109], 0 op_sel_hi:[1,0]
	s_waitcnt lgkmcnt(0)
	v_pk_mul_f32 v[106:107], v[96:97], v[106:107] op_sel_hi:[1,0]
	s_waitcnt vmcnt(3)
	v_pk_fma_f32 v[16:17], v[10:11], v[18:19], v[104:105] op_sel:[0,0,1] op_sel_hi:[1,1,0] neg_lo:[0,0,1] neg_hi:[0,0,1]
	v_pk_fma_f32 v[10:11], v[10:11], v[18:19], v[104:105] op_sel:[0,0,1] op_sel_hi:[1,0,0]
	v_mov_b32_e32 v15, v9
	v_pk_add_f32 v[4:5], v[4:5], v[12:13]
	s_waitcnt vmcnt(2)
	v_pk_fma_f32 v[18:19], v[96:97], v[20:21], v[106:107] op_sel:[0,0,1] op_sel_hi:[1,1,0] neg_lo:[0,0,1] neg_hi:[0,0,1]
	v_pk_fma_f32 v[20:21], v[96:97], v[20:21], v[106:107] op_sel:[0,0,1] op_sel_hi:[1,0,0]
	v_mov_b32_e32 v17, v11
	v_pk_add_f32 v[4:5], v[4:5], v[14:15]
	v_mov_b32_e32 v19, v21
	v_pk_add_f32 v[4:5], v[4:5], v[16:17]
	v_pk_add_f32 v[4:5], v[4:5], v[18:19]
	s_waitcnt vmcnt(0)
	v_pk_add_f32 v[4:5], v[94:95], v[4:5] neg_lo:[0,1] neg_hi:[0,1]
	buffer_store_dword v4, off, s[0:3], 0 offset:240
	buffer_store_dword v5, off, s[0:3], 0 offset:244
	s_and_saveexec_b64 s[4:5], vcc
	s_cbranch_execz .LBB99_171
; %bb.170:
	buffer_load_dword v4, off, s[0:3], 0 offset:232
	buffer_load_dword v5, off, s[0:3], 0 offset:236
	s_waitcnt vmcnt(0)
	ds_write_b64 v1, v[4:5]
	buffer_store_dword v2, off, s[0:3], 0 offset:232
	buffer_store_dword v2, off, s[0:3], 0 offset:236
.LBB99_171:
	s_or_b64 exec, exec, s[4:5]
	s_waitcnt lgkmcnt(0)
	; wave barrier
	s_waitcnt lgkmcnt(0)
	buffer_load_dword v17, off, s[0:3], 0 offset:244
	buffer_load_dword v19, off, s[0:3], 0 offset:252
	;; [unrolled: 1-line block ×14, first 2 shown]
	ds_read_b128 v[4:7], v2 offset:528
	ds_read_b128 v[8:11], v2 offset:544
	;; [unrolled: 1-line block ×3, first 2 shown]
	v_cmp_lt_u32_e32 vcc, 28, v0
	s_waitcnt vmcnt(13)
	v_mov_b32_e32 v2, v17
	s_waitcnt vmcnt(12)
	v_mov_b32_e32 v102, v19
	s_waitcnt lgkmcnt(2)
	v_pk_mul_f32 v[2:3], v[4:5], v[2:3] op_sel_hi:[1,0]
	s_waitcnt vmcnt(11)
	v_mov_b32_e32 v104, v21
	v_pk_mul_f32 v[102:103], v[6:7], v[102:103] op_sel_hi:[1,0]
	s_waitcnt vmcnt(10)
	v_mov_b32_e32 v106, v95
	s_waitcnt vmcnt(7)
	v_pk_fma_f32 v[112:113], v[4:5], v[16:17], v[2:3] op_sel:[0,0,1] op_sel_hi:[1,1,0] neg_lo:[0,0,1] neg_hi:[0,0,1]
	v_pk_fma_f32 v[2:3], v[4:5], v[16:17], v[2:3] op_sel:[0,0,1] op_sel_hi:[1,0,0]
	s_waitcnt lgkmcnt(1)
	v_pk_mul_f32 v[104:105], v[8:9], v[104:105] op_sel_hi:[1,0]
	s_waitcnt vmcnt(6)
	v_pk_fma_f32 v[4:5], v[6:7], v[18:19], v[102:103] op_sel:[0,0,1] op_sel_hi:[1,1,0] neg_lo:[0,0,1] neg_hi:[0,0,1]
	v_pk_fma_f32 v[6:7], v[6:7], v[18:19], v[102:103] op_sel:[0,0,1] op_sel_hi:[1,0,0]
	v_mov_b32_e32 v113, v3
	v_mov_b32_e32 v108, v97
	v_pk_mul_f32 v[106:107], v[10:11], v[106:107] op_sel_hi:[1,0]
	s_waitcnt vmcnt(5)
	v_pk_fma_f32 v[16:17], v[8:9], v[20:21], v[104:105] op_sel:[0,0,1] op_sel_hi:[1,1,0] neg_lo:[0,0,1] neg_hi:[0,0,1]
	v_pk_fma_f32 v[8:9], v[8:9], v[20:21], v[104:105] op_sel:[0,0,1] op_sel_hi:[1,0,0]
	v_mov_b32_e32 v5, v7
	v_pk_add_f32 v[2:3], v[112:113], 0 op_sel_hi:[1,0]
	v_mov_b32_e32 v110, v99
	s_waitcnt lgkmcnt(0)
	v_pk_mul_f32 v[108:109], v[12:13], v[108:109] op_sel_hi:[1,0]
	s_waitcnt vmcnt(4)
	v_pk_fma_f32 v[18:19], v[10:11], v[94:95], v[106:107] op_sel:[0,0,1] op_sel_hi:[1,1,0] neg_lo:[0,0,1] neg_hi:[0,0,1]
	v_pk_fma_f32 v[10:11], v[10:11], v[94:95], v[106:107] op_sel:[0,0,1] op_sel_hi:[1,0,0]
	v_mov_b32_e32 v17, v9
	v_pk_add_f32 v[2:3], v[2:3], v[4:5]
	v_pk_mul_f32 v[110:111], v[14:15], v[110:111] op_sel_hi:[1,0]
	s_waitcnt vmcnt(3)
	v_pk_fma_f32 v[20:21], v[12:13], v[96:97], v[108:109] op_sel:[0,0,1] op_sel_hi:[1,1,0] neg_lo:[0,0,1] neg_hi:[0,0,1]
	v_pk_fma_f32 v[12:13], v[12:13], v[96:97], v[108:109] op_sel:[0,0,1] op_sel_hi:[1,0,0]
	v_mov_b32_e32 v19, v11
	v_pk_add_f32 v[2:3], v[2:3], v[16:17]
	s_waitcnt vmcnt(2)
	v_pk_fma_f32 v[94:95], v[14:15], v[98:99], v[110:111] op_sel:[0,0,1] op_sel_hi:[1,1,0] neg_lo:[0,0,1] neg_hi:[0,0,1]
	v_pk_fma_f32 v[14:15], v[14:15], v[98:99], v[110:111] op_sel:[0,0,1] op_sel_hi:[1,0,0]
	v_mov_b32_e32 v21, v13
	v_pk_add_f32 v[2:3], v[2:3], v[18:19]
	v_mov_b32_e32 v95, v15
	v_pk_add_f32 v[2:3], v[2:3], v[20:21]
	v_pk_add_f32 v[2:3], v[2:3], v[94:95]
	s_waitcnt vmcnt(0)
	v_pk_add_f32 v[2:3], v[100:101], v[2:3] neg_lo:[0,1] neg_hi:[0,1]
	buffer_store_dword v2, off, s[0:3], 0 offset:232
	buffer_store_dword v3, off, s[0:3], 0 offset:236
	s_and_saveexec_b64 s[4:5], vcc
	s_cbranch_execz .LBB99_173
; %bb.172:
	buffer_load_dword v2, off, s[0:3], 0 offset:224
	buffer_load_dword v3, off, s[0:3], 0 offset:228
	v_mov_b32_e32 v4, 0
	buffer_store_dword v4, off, s[0:3], 0 offset:224
	buffer_store_dword v4, off, s[0:3], 0 offset:228
	s_waitcnt vmcnt(2)
	ds_write_b64 v1, v[2:3]
.LBB99_173:
	s_or_b64 exec, exec, s[4:5]
	s_waitcnt lgkmcnt(0)
	; wave barrier
	s_waitcnt lgkmcnt(0)
	buffer_load_dword v17, off, s[0:3], 0 offset:236
	buffer_load_dword v19, off, s[0:3], 0 offset:244
	buffer_load_dword v21, off, s[0:3], 0 offset:252
	buffer_load_dword v95, off, s[0:3], 0 offset:260
	buffer_load_dword v97, off, s[0:3], 0 offset:268
	buffer_load_dword v99, off, s[0:3], 0 offset:276
	buffer_load_dword v101, off, s[0:3], 0 offset:284
	buffer_load_dword v16, off, s[0:3], 0 offset:232
	buffer_load_dword v18, off, s[0:3], 0 offset:240
	buffer_load_dword v20, off, s[0:3], 0 offset:248
	buffer_load_dword v94, off, s[0:3], 0 offset:256
	buffer_load_dword v96, off, s[0:3], 0 offset:264
	buffer_load_dword v98, off, s[0:3], 0 offset:272
	buffer_load_dword v100, off, s[0:3], 0 offset:280
	buffer_load_dword v102, off, s[0:3], 0 offset:224
	buffer_load_dword v103, off, s[0:3], 0 offset:228
	v_mov_b32_e32 v2, 0
	ds_read2_b64 v[4:7], v2 offset0:65 offset1:66
	ds_read2_b64 v[8:11], v2 offset0:67 offset1:68
	;; [unrolled: 1-line block ×3, first 2 shown]
	ds_read_b64 v[104:105], v2 offset:568
	v_cmp_lt_u32_e32 vcc, 27, v0
	s_waitcnt vmcnt(15)
	v_mov_b32_e32 v106, v17
	s_waitcnt vmcnt(14)
	v_mov_b32_e32 v108, v19
	s_waitcnt lgkmcnt(3)
	v_pk_mul_f32 v[106:107], v[4:5], v[106:107] op_sel_hi:[1,0]
	s_waitcnt vmcnt(13)
	v_mov_b32_e32 v110, v21
	v_pk_mul_f32 v[108:109], v[6:7], v[108:109] op_sel_hi:[1,0]
	s_waitcnt vmcnt(12)
	v_mov_b32_e32 v112, v95
	s_waitcnt lgkmcnt(2)
	v_pk_mul_f32 v[110:111], v[8:9], v[110:111] op_sel_hi:[1,0]
	s_waitcnt vmcnt(8)
	v_pk_fma_f32 v[120:121], v[4:5], v[16:17], v[106:107] op_sel:[0,0,1] op_sel_hi:[1,1,0] neg_lo:[0,0,1] neg_hi:[0,0,1]
	v_pk_fma_f32 v[4:5], v[4:5], v[16:17], v[106:107] op_sel:[0,0,1] op_sel_hi:[1,0,0]
	s_waitcnt vmcnt(7)
	v_pk_fma_f32 v[16:17], v[6:7], v[18:19], v[108:109] op_sel:[0,0,1] op_sel_hi:[1,1,0] neg_lo:[0,0,1] neg_hi:[0,0,1]
	v_pk_fma_f32 v[6:7], v[6:7], v[18:19], v[108:109] op_sel:[0,0,1] op_sel_hi:[1,0,0]
	v_mov_b32_e32 v121, v5
	v_mov_b32_e32 v114, v97
	v_pk_mul_f32 v[112:113], v[10:11], v[112:113] op_sel_hi:[1,0]
	s_waitcnt vmcnt(6)
	v_pk_fma_f32 v[18:19], v[8:9], v[20:21], v[110:111] op_sel:[0,0,1] op_sel_hi:[1,1,0] neg_lo:[0,0,1] neg_hi:[0,0,1]
	v_pk_fma_f32 v[8:9], v[8:9], v[20:21], v[110:111] op_sel:[0,0,1] op_sel_hi:[1,0,0]
	v_mov_b32_e32 v17, v7
	v_pk_add_f32 v[4:5], v[120:121], 0 op_sel_hi:[1,0]
	v_mov_b32_e32 v116, v99
	s_waitcnt lgkmcnt(1)
	v_pk_mul_f32 v[114:115], v[12:13], v[114:115] op_sel_hi:[1,0]
	s_waitcnt vmcnt(5)
	v_pk_fma_f32 v[20:21], v[10:11], v[94:95], v[112:113] op_sel:[0,0,1] op_sel_hi:[1,1,0] neg_lo:[0,0,1] neg_hi:[0,0,1]
	v_pk_fma_f32 v[10:11], v[10:11], v[94:95], v[112:113] op_sel:[0,0,1] op_sel_hi:[1,0,0]
	v_mov_b32_e32 v19, v9
	v_pk_add_f32 v[4:5], v[4:5], v[16:17]
	v_mov_b32_e32 v118, v101
	v_pk_mul_f32 v[116:117], v[14:15], v[116:117] op_sel_hi:[1,0]
	s_waitcnt vmcnt(4)
	v_pk_fma_f32 v[94:95], v[12:13], v[96:97], v[114:115] op_sel:[0,0,1] op_sel_hi:[1,1,0] neg_lo:[0,0,1] neg_hi:[0,0,1]
	v_pk_fma_f32 v[12:13], v[12:13], v[96:97], v[114:115] op_sel:[0,0,1] op_sel_hi:[1,0,0]
	v_mov_b32_e32 v21, v11
	v_pk_add_f32 v[4:5], v[4:5], v[18:19]
	s_waitcnt lgkmcnt(0)
	v_pk_mul_f32 v[118:119], v[104:105], v[118:119] op_sel_hi:[1,0]
	s_waitcnt vmcnt(3)
	v_pk_fma_f32 v[96:97], v[14:15], v[98:99], v[116:117] op_sel:[0,0,1] op_sel_hi:[1,1,0] neg_lo:[0,0,1] neg_hi:[0,0,1]
	v_pk_fma_f32 v[14:15], v[14:15], v[98:99], v[116:117] op_sel:[0,0,1] op_sel_hi:[1,0,0]
	v_mov_b32_e32 v95, v13
	v_pk_add_f32 v[4:5], v[4:5], v[20:21]
	s_waitcnt vmcnt(2)
	v_pk_fma_f32 v[98:99], v[104:105], v[100:101], v[118:119] op_sel:[0,0,1] op_sel_hi:[1,1,0] neg_lo:[0,0,1] neg_hi:[0,0,1]
	v_pk_fma_f32 v[100:101], v[104:105], v[100:101], v[118:119] op_sel:[0,0,1] op_sel_hi:[1,0,0]
	v_mov_b32_e32 v97, v15
	v_pk_add_f32 v[4:5], v[4:5], v[94:95]
	v_mov_b32_e32 v99, v101
	v_pk_add_f32 v[4:5], v[4:5], v[96:97]
	v_pk_add_f32 v[4:5], v[4:5], v[98:99]
	s_waitcnt vmcnt(0)
	v_pk_add_f32 v[4:5], v[102:103], v[4:5] neg_lo:[0,1] neg_hi:[0,1]
	buffer_store_dword v4, off, s[0:3], 0 offset:224
	buffer_store_dword v5, off, s[0:3], 0 offset:228
	s_and_saveexec_b64 s[4:5], vcc
	s_cbranch_execz .LBB99_175
; %bb.174:
	buffer_load_dword v4, off, s[0:3], 0 offset:216
	buffer_load_dword v5, off, s[0:3], 0 offset:220
	s_waitcnt vmcnt(0)
	ds_write_b64 v1, v[4:5]
	buffer_store_dword v2, off, s[0:3], 0 offset:216
	buffer_store_dword v2, off, s[0:3], 0 offset:220
.LBB99_175:
	s_or_b64 exec, exec, s[4:5]
	s_waitcnt lgkmcnt(0)
	; wave barrier
	s_waitcnt lgkmcnt(0)
	buffer_load_dword v21, off, s[0:3], 0 offset:228
	buffer_load_dword v95, off, s[0:3], 0 offset:236
	buffer_load_dword v97, off, s[0:3], 0 offset:244
	buffer_load_dword v99, off, s[0:3], 0 offset:252
	buffer_load_dword v101, off, s[0:3], 0 offset:260
	buffer_load_dword v103, off, s[0:3], 0 offset:268
	buffer_load_dword v105, off, s[0:3], 0 offset:276
	buffer_load_dword v107, off, s[0:3], 0 offset:284
	buffer_load_dword v20, off, s[0:3], 0 offset:224
	buffer_load_dword v94, off, s[0:3], 0 offset:232
	buffer_load_dword v96, off, s[0:3], 0 offset:240
	buffer_load_dword v98, off, s[0:3], 0 offset:248
	buffer_load_dword v100, off, s[0:3], 0 offset:256
	buffer_load_dword v102, off, s[0:3], 0 offset:264
	buffer_load_dword v104, off, s[0:3], 0 offset:272
	buffer_load_dword v106, off, s[0:3], 0 offset:280
	buffer_load_dword v108, off, s[0:3], 0 offset:216
	buffer_load_dword v109, off, s[0:3], 0 offset:220
	ds_read_b128 v[4:7], v2 offset:512
	ds_read_b128 v[8:11], v2 offset:528
	;; [unrolled: 1-line block ×4, first 2 shown]
	v_cmp_lt_u32_e32 vcc, 26, v0
	s_waitcnt vmcnt(17)
	v_mov_b32_e32 v2, v21
	s_waitcnt vmcnt(16)
	v_mov_b32_e32 v110, v95
	s_waitcnt lgkmcnt(3)
	v_pk_mul_f32 v[2:3], v[4:5], v[2:3] op_sel_hi:[1,0]
	s_waitcnt vmcnt(15)
	v_mov_b32_e32 v112, v97
	v_pk_mul_f32 v[110:111], v[6:7], v[110:111] op_sel_hi:[1,0]
	s_waitcnt vmcnt(14)
	v_mov_b32_e32 v114, v99
	s_waitcnt lgkmcnt(2)
	v_pk_mul_f32 v[112:113], v[8:9], v[112:113] op_sel_hi:[1,0]
	s_waitcnt vmcnt(13)
	v_mov_b32_e32 v116, v101
	s_waitcnt vmcnt(9)
	v_pk_fma_f32 v[124:125], v[4:5], v[20:21], v[2:3] op_sel:[0,0,1] op_sel_hi:[1,1,0] neg_lo:[0,0,1] neg_hi:[0,0,1]
	v_pk_fma_f32 v[2:3], v[4:5], v[20:21], v[2:3] op_sel:[0,0,1] op_sel_hi:[1,0,0]
	s_waitcnt vmcnt(8)
	v_pk_fma_f32 v[4:5], v[6:7], v[94:95], v[110:111] op_sel:[0,0,1] op_sel_hi:[1,1,0] neg_lo:[0,0,1] neg_hi:[0,0,1]
	v_pk_fma_f32 v[6:7], v[6:7], v[94:95], v[110:111] op_sel:[0,0,1] op_sel_hi:[1,0,0]
	v_mov_b32_e32 v125, v3
	v_pk_mul_f32 v[114:115], v[10:11], v[114:115] op_sel_hi:[1,0]
	s_waitcnt vmcnt(7)
	v_pk_fma_f32 v[20:21], v[8:9], v[96:97], v[112:113] op_sel:[0,0,1] op_sel_hi:[1,1,0] neg_lo:[0,0,1] neg_hi:[0,0,1]
	v_pk_fma_f32 v[8:9], v[8:9], v[96:97], v[112:113] op_sel:[0,0,1] op_sel_hi:[1,0,0]
	v_mov_b32_e32 v5, v7
	v_pk_add_f32 v[2:3], v[124:125], 0 op_sel_hi:[1,0]
	v_mov_b32_e32 v118, v103
	s_waitcnt lgkmcnt(1)
	v_pk_mul_f32 v[116:117], v[12:13], v[116:117] op_sel_hi:[1,0]
	s_waitcnt vmcnt(6)
	v_pk_fma_f32 v[94:95], v[10:11], v[98:99], v[114:115] op_sel:[0,0,1] op_sel_hi:[1,1,0] neg_lo:[0,0,1] neg_hi:[0,0,1]
	v_pk_fma_f32 v[10:11], v[10:11], v[98:99], v[114:115] op_sel:[0,0,1] op_sel_hi:[1,0,0]
	v_mov_b32_e32 v21, v9
	v_pk_add_f32 v[2:3], v[2:3], v[4:5]
	v_mov_b32_e32 v120, v105
	v_pk_mul_f32 v[118:119], v[14:15], v[118:119] op_sel_hi:[1,0]
	s_waitcnt vmcnt(5)
	v_pk_fma_f32 v[96:97], v[12:13], v[100:101], v[116:117] op_sel:[0,0,1] op_sel_hi:[1,1,0] neg_lo:[0,0,1] neg_hi:[0,0,1]
	v_pk_fma_f32 v[12:13], v[12:13], v[100:101], v[116:117] op_sel:[0,0,1] op_sel_hi:[1,0,0]
	v_mov_b32_e32 v95, v11
	v_pk_add_f32 v[2:3], v[2:3], v[20:21]
	v_mov_b32_e32 v122, v107
	s_waitcnt lgkmcnt(0)
	v_pk_mul_f32 v[120:121], v[16:17], v[120:121] op_sel_hi:[1,0]
	s_waitcnt vmcnt(4)
	v_pk_fma_f32 v[98:99], v[14:15], v[102:103], v[118:119] op_sel:[0,0,1] op_sel_hi:[1,1,0] neg_lo:[0,0,1] neg_hi:[0,0,1]
	v_pk_fma_f32 v[14:15], v[14:15], v[102:103], v[118:119] op_sel:[0,0,1] op_sel_hi:[1,0,0]
	v_mov_b32_e32 v97, v13
	v_pk_add_f32 v[2:3], v[2:3], v[94:95]
	v_pk_mul_f32 v[122:123], v[18:19], v[122:123] op_sel_hi:[1,0]
	s_waitcnt vmcnt(3)
	v_pk_fma_f32 v[100:101], v[16:17], v[104:105], v[120:121] op_sel:[0,0,1] op_sel_hi:[1,1,0] neg_lo:[0,0,1] neg_hi:[0,0,1]
	v_pk_fma_f32 v[16:17], v[16:17], v[104:105], v[120:121] op_sel:[0,0,1] op_sel_hi:[1,0,0]
	v_mov_b32_e32 v99, v15
	v_pk_add_f32 v[2:3], v[2:3], v[96:97]
	s_waitcnt vmcnt(2)
	v_pk_fma_f32 v[102:103], v[18:19], v[106:107], v[122:123] op_sel:[0,0,1] op_sel_hi:[1,1,0] neg_lo:[0,0,1] neg_hi:[0,0,1]
	v_pk_fma_f32 v[18:19], v[18:19], v[106:107], v[122:123] op_sel:[0,0,1] op_sel_hi:[1,0,0]
	v_mov_b32_e32 v101, v17
	v_pk_add_f32 v[2:3], v[2:3], v[98:99]
	v_mov_b32_e32 v103, v19
	v_pk_add_f32 v[2:3], v[2:3], v[100:101]
	v_pk_add_f32 v[2:3], v[2:3], v[102:103]
	s_waitcnt vmcnt(0)
	v_pk_add_f32 v[2:3], v[108:109], v[2:3] neg_lo:[0,1] neg_hi:[0,1]
	buffer_store_dword v2, off, s[0:3], 0 offset:216
	buffer_store_dword v3, off, s[0:3], 0 offset:220
	s_and_saveexec_b64 s[4:5], vcc
	s_cbranch_execz .LBB99_177
; %bb.176:
	buffer_load_dword v2, off, s[0:3], 0 offset:208
	buffer_load_dword v3, off, s[0:3], 0 offset:212
	v_mov_b32_e32 v4, 0
	buffer_store_dword v4, off, s[0:3], 0 offset:208
	buffer_store_dword v4, off, s[0:3], 0 offset:212
	s_waitcnt vmcnt(2)
	ds_write_b64 v1, v[2:3]
.LBB99_177:
	s_or_b64 exec, exec, s[4:5]
	v_mov_b32_e32 v4, 0
	s_waitcnt lgkmcnt(0)
	; wave barrier
	s_waitcnt lgkmcnt(0)
	ds_read2_b64 v[6:9], v4 offset0:63 offset1:64
	buffer_load_dword v2, off, s[0:3], 0 offset:208
	buffer_load_dword v3, off, s[0:3], 0 offset:212
	;; [unrolled: 1-line block ×20, first 2 shown]
	v_cmp_lt_u32_e32 vcc, 25, v0
	s_waitcnt vmcnt(16) lgkmcnt(0)
	v_mul_f32_e32 v107, v6, v10
	v_fmac_f32_e32 v107, v7, v5
	v_mul_f32_e32 v7, v7, v10
	s_waitcnt vmcnt(14)
	v_mov_b32_e32 v112, v95
	v_fma_f32 v106, v6, v5, -v7
	ds_read2_b64 v[10:13], v4 offset0:65 offset1:66
	ds_read2_b64 v[14:17], v4 offset0:67 offset1:68
	;; [unrolled: 1-line block ×3, first 2 shown]
	ds_read_b64 v[6:7], v4 offset:568
	v_pk_mul_f32 v[112:113], v[8:9], v[112:113] op_sel_hi:[1,0]
	v_pk_fma_f32 v[114:115], v[8:9], v[94:95], v[112:113] op_sel:[0,0,1] op_sel_hi:[1,1,0] neg_lo:[0,0,1] neg_hi:[0,0,1]
	v_pk_fma_f32 v[8:9], v[8:9], v[94:95], v[112:113] op_sel:[0,0,1] op_sel_hi:[1,0,0]
	s_waitcnt vmcnt(12)
	v_mov_b32_e32 v94, v97
	v_pk_add_f32 v[106:107], v[106:107], 0 op_sel_hi:[1,0]
	v_mov_b32_e32 v115, v9
	s_waitcnt lgkmcnt(3)
	v_pk_mul_f32 v[94:95], v[10:11], v[94:95] op_sel_hi:[1,0]
	v_pk_add_f32 v[8:9], v[106:107], v[114:115]
	v_pk_fma_f32 v[106:107], v[10:11], v[96:97], v[94:95] op_sel:[0,0,1] op_sel_hi:[1,1,0] neg_lo:[0,0,1] neg_hi:[0,0,1]
	v_pk_fma_f32 v[10:11], v[10:11], v[96:97], v[94:95] op_sel:[0,0,1] op_sel_hi:[1,0,0]
	s_waitcnt vmcnt(10)
	v_mov_b32_e32 v10, v99
	v_mov_b32_e32 v107, v11
	v_pk_mul_f32 v[10:11], v[12:13], v[10:11] op_sel_hi:[1,0]
	v_pk_fma_f32 v[94:95], v[12:13], v[98:99], v[10:11] op_sel:[0,0,1] op_sel_hi:[1,1,0] neg_lo:[0,0,1] neg_hi:[0,0,1]
	v_pk_fma_f32 v[10:11], v[12:13], v[98:99], v[10:11] op_sel:[0,0,1] op_sel_hi:[1,0,0]
	s_waitcnt vmcnt(8)
	v_mov_b32_e32 v10, v101
	v_mov_b32_e32 v95, v11
	s_waitcnt lgkmcnt(2)
	v_pk_mul_f32 v[10:11], v[14:15], v[10:11] op_sel_hi:[1,0]
	v_pk_fma_f32 v[12:13], v[14:15], v[100:101], v[10:11] op_sel:[0,0,1] op_sel_hi:[1,1,0] neg_lo:[0,0,1] neg_hi:[0,0,1]
	v_pk_fma_f32 v[10:11], v[14:15], v[100:101], v[10:11] op_sel:[0,0,1] op_sel_hi:[1,0,0]
	v_pk_add_f32 v[8:9], v[8:9], v[106:107]
	s_waitcnt vmcnt(6)
	v_mov_b32_e32 v10, v103
	v_pk_add_f32 v[8:9], v[8:9], v[94:95]
	v_mov_b32_e32 v13, v11
	v_pk_mul_f32 v[10:11], v[16:17], v[10:11] op_sel_hi:[1,0]
	v_pk_add_f32 v[8:9], v[8:9], v[12:13]
	v_pk_fma_f32 v[12:13], v[16:17], v[102:103], v[10:11] op_sel:[0,0,1] op_sel_hi:[1,1,0] neg_lo:[0,0,1] neg_hi:[0,0,1]
	v_pk_fma_f32 v[10:11], v[16:17], v[102:103], v[10:11] op_sel:[0,0,1] op_sel_hi:[1,0,0]
	s_waitcnt vmcnt(4)
	v_mov_b32_e32 v10, v105
	v_mov_b32_e32 v13, v11
	s_waitcnt lgkmcnt(1)
	v_pk_mul_f32 v[10:11], v[18:19], v[10:11] op_sel_hi:[1,0]
	v_pk_add_f32 v[8:9], v[8:9], v[12:13]
	v_pk_fma_f32 v[12:13], v[18:19], v[104:105], v[10:11] op_sel:[0,0,1] op_sel_hi:[1,1,0] neg_lo:[0,0,1] neg_hi:[0,0,1]
	v_pk_fma_f32 v[10:11], v[18:19], v[104:105], v[10:11] op_sel:[0,0,1] op_sel_hi:[1,0,0]
	s_waitcnt vmcnt(3)
	v_mov_b32_e32 v10, v109
	v_mov_b32_e32 v13, v11
	v_pk_mul_f32 v[10:11], v[20:21], v[10:11] op_sel_hi:[1,0]
	v_pk_add_f32 v[8:9], v[8:9], v[12:13]
	s_waitcnt vmcnt(2)
	v_pk_fma_f32 v[12:13], v[20:21], v[108:109], v[10:11] op_sel:[0,0,1] op_sel_hi:[1,1,0] neg_lo:[0,0,1] neg_hi:[0,0,1]
	v_pk_fma_f32 v[10:11], v[20:21], v[108:109], v[10:11] op_sel:[0,0,1] op_sel_hi:[1,0,0]
	s_waitcnt vmcnt(1)
	v_mov_b32_e32 v10, v111
	v_mov_b32_e32 v13, v11
	s_waitcnt lgkmcnt(0)
	v_pk_mul_f32 v[10:11], v[6:7], v[10:11] op_sel_hi:[1,0]
	v_pk_add_f32 v[8:9], v[8:9], v[12:13]
	s_waitcnt vmcnt(0)
	v_pk_fma_f32 v[12:13], v[6:7], v[110:111], v[10:11] op_sel:[0,0,1] op_sel_hi:[1,1,0] neg_lo:[0,0,1] neg_hi:[0,0,1]
	v_pk_fma_f32 v[6:7], v[6:7], v[110:111], v[10:11] op_sel:[0,0,1] op_sel_hi:[1,0,0]
	v_mov_b32_e32 v13, v7
	v_pk_add_f32 v[6:7], v[8:9], v[12:13]
	v_pk_add_f32 v[2:3], v[2:3], v[6:7] neg_lo:[0,1] neg_hi:[0,1]
	buffer_store_dword v2, off, s[0:3], 0 offset:208
	buffer_store_dword v3, off, s[0:3], 0 offset:212
	s_and_saveexec_b64 s[4:5], vcc
	s_cbranch_execz .LBB99_179
; %bb.178:
	buffer_load_dword v2, off, s[0:3], 0 offset:200
	buffer_load_dword v3, off, s[0:3], 0 offset:204
	s_waitcnt vmcnt(0)
	ds_write_b64 v1, v[2:3]
	buffer_store_dword v4, off, s[0:3], 0 offset:200
	buffer_store_dword v4, off, s[0:3], 0 offset:204
.LBB99_179:
	s_or_b64 exec, exec, s[4:5]
	s_waitcnt lgkmcnt(0)
	; wave barrier
	s_waitcnt lgkmcnt(0)
	ds_read_b128 v[6:9], v4 offset:496
	ds_read_b128 v[10:13], v4 offset:512
	;; [unrolled: 1-line block ×4, first 2 shown]
	buffer_load_dword v2, off, s[0:3], 0 offset:200
	buffer_load_dword v3, off, s[0:3], 0 offset:204
	;; [unrolled: 1-line block ×22, first 2 shown]
	v_cmp_lt_u32_e32 vcc, 24, v0
	s_waitcnt vmcnt(18) lgkmcnt(3)
	v_mul_f32_e32 v105, v6, v104
	v_fmac_f32_e32 v105, v7, v5
	v_mul_f32_e32 v7, v7, v104
	s_waitcnt vmcnt(16)
	v_mul_f32_e32 v107, v8, v114
	v_fma_f32 v104, v6, v5, -v7
	v_mul_f32_e32 v5, v9, v114
	v_fmac_f32_e32 v107, v9, v106
	v_fma_f32 v106, v8, v106, -v5
	v_pk_add_f32 v[8:9], v[104:105], 0 op_sel_hi:[1,0]
	s_waitcnt vmcnt(14)
	v_mov_b32_e32 v104, v95
	s_waitcnt lgkmcnt(2)
	v_pk_mul_f32 v[104:105], v[10:11], v[104:105] op_sel_hi:[1,0]
	v_pk_add_f32 v[8:9], v[8:9], v[106:107]
	v_pk_fma_f32 v[106:107], v[10:11], v[94:95], v[104:105] op_sel:[0,0,1] op_sel_hi:[1,1,0] neg_lo:[0,0,1] neg_hi:[0,0,1]
	v_pk_fma_f32 v[10:11], v[10:11], v[94:95], v[104:105] op_sel:[0,0,1] op_sel_hi:[1,0,0]
	s_waitcnt vmcnt(12)
	v_mov_b32_e32 v10, v97
	v_mov_b32_e32 v107, v11
	v_pk_mul_f32 v[10:11], v[12:13], v[10:11] op_sel_hi:[1,0]
	v_pk_fma_f32 v[94:95], v[12:13], v[96:97], v[10:11] op_sel:[0,0,1] op_sel_hi:[1,1,0] neg_lo:[0,0,1] neg_hi:[0,0,1]
	v_pk_fma_f32 v[10:11], v[12:13], v[96:97], v[10:11] op_sel:[0,0,1] op_sel_hi:[1,0,0]
	s_waitcnt vmcnt(10)
	v_mov_b32_e32 v10, v99
	v_mov_b32_e32 v95, v11
	s_waitcnt lgkmcnt(1)
	v_pk_mul_f32 v[10:11], v[14:15], v[10:11] op_sel_hi:[1,0]
	v_pk_fma_f32 v[12:13], v[14:15], v[98:99], v[10:11] op_sel:[0,0,1] op_sel_hi:[1,1,0] neg_lo:[0,0,1] neg_hi:[0,0,1]
	v_pk_fma_f32 v[10:11], v[14:15], v[98:99], v[10:11] op_sel:[0,0,1] op_sel_hi:[1,0,0]
	v_pk_add_f32 v[8:9], v[8:9], v[106:107]
	s_waitcnt vmcnt(8)
	v_mov_b32_e32 v10, v101
	v_pk_add_f32 v[8:9], v[8:9], v[94:95]
	v_mov_b32_e32 v13, v11
	v_pk_mul_f32 v[10:11], v[16:17], v[10:11] op_sel_hi:[1,0]
	v_pk_add_f32 v[8:9], v[8:9], v[12:13]
	v_pk_fma_f32 v[12:13], v[16:17], v[100:101], v[10:11] op_sel:[0,0,1] op_sel_hi:[1,1,0] neg_lo:[0,0,1] neg_hi:[0,0,1]
	v_pk_fma_f32 v[10:11], v[16:17], v[100:101], v[10:11] op_sel:[0,0,1] op_sel_hi:[1,0,0]
	s_waitcnt vmcnt(6)
	v_mov_b32_e32 v10, v103
	v_mov_b32_e32 v13, v11
	s_waitcnt lgkmcnt(0)
	v_pk_mul_f32 v[10:11], v[18:19], v[10:11] op_sel_hi:[1,0]
	ds_read_b128 v[4:7], v4 offset:560
	v_pk_add_f32 v[8:9], v[8:9], v[12:13]
	v_pk_fma_f32 v[12:13], v[18:19], v[102:103], v[10:11] op_sel:[0,0,1] op_sel_hi:[1,1,0] neg_lo:[0,0,1] neg_hi:[0,0,1]
	v_pk_fma_f32 v[10:11], v[18:19], v[102:103], v[10:11] op_sel:[0,0,1] op_sel_hi:[1,0,0]
	s_waitcnt vmcnt(5)
	v_mov_b32_e32 v10, v109
	v_mov_b32_e32 v13, v11
	v_pk_mul_f32 v[10:11], v[20:21], v[10:11] op_sel_hi:[1,0]
	v_pk_add_f32 v[8:9], v[8:9], v[12:13]
	s_waitcnt vmcnt(4)
	v_pk_fma_f32 v[12:13], v[20:21], v[108:109], v[10:11] op_sel:[0,0,1] op_sel_hi:[1,1,0] neg_lo:[0,0,1] neg_hi:[0,0,1]
	v_pk_fma_f32 v[10:11], v[20:21], v[108:109], v[10:11] op_sel:[0,0,1] op_sel_hi:[1,0,0]
	s_waitcnt vmcnt(3)
	v_mov_b32_e32 v10, v111
	v_mov_b32_e32 v13, v11
	s_waitcnt lgkmcnt(0)
	v_pk_mul_f32 v[10:11], v[4:5], v[10:11] op_sel_hi:[1,0]
	v_pk_add_f32 v[8:9], v[8:9], v[12:13]
	s_waitcnt vmcnt(2)
	v_pk_fma_f32 v[12:13], v[4:5], v[110:111], v[10:11] op_sel:[0,0,1] op_sel_hi:[1,1,0] neg_lo:[0,0,1] neg_hi:[0,0,1]
	v_pk_fma_f32 v[4:5], v[4:5], v[110:111], v[10:11] op_sel:[0,0,1] op_sel_hi:[1,0,0]
	v_mov_b32_e32 v13, v5
	v_pk_add_f32 v[4:5], v[8:9], v[12:13]
	s_waitcnt vmcnt(1)
	v_mov_b32_e32 v8, v113
	v_pk_mul_f32 v[8:9], v[6:7], v[8:9] op_sel_hi:[1,0]
	s_waitcnt vmcnt(0)
	v_pk_fma_f32 v[10:11], v[6:7], v[112:113], v[8:9] op_sel:[0,0,1] op_sel_hi:[1,1,0] neg_lo:[0,0,1] neg_hi:[0,0,1]
	v_pk_fma_f32 v[6:7], v[6:7], v[112:113], v[8:9] op_sel:[0,0,1] op_sel_hi:[1,0,0]
	v_mov_b32_e32 v11, v7
	v_pk_add_f32 v[4:5], v[4:5], v[10:11]
	v_pk_add_f32 v[2:3], v[2:3], v[4:5] neg_lo:[0,1] neg_hi:[0,1]
	buffer_store_dword v2, off, s[0:3], 0 offset:200
	buffer_store_dword v3, off, s[0:3], 0 offset:204
	s_and_saveexec_b64 s[4:5], vcc
	s_cbranch_execz .LBB99_181
; %bb.180:
	buffer_load_dword v2, off, s[0:3], 0 offset:192
	buffer_load_dword v3, off, s[0:3], 0 offset:196
	v_mov_b32_e32 v4, 0
	buffer_store_dword v4, off, s[0:3], 0 offset:192
	buffer_store_dword v4, off, s[0:3], 0 offset:196
	s_waitcnt vmcnt(2)
	ds_write_b64 v1, v[2:3]
.LBB99_181:
	s_or_b64 exec, exec, s[4:5]
	v_mov_b32_e32 v4, 0
	s_waitcnt lgkmcnt(0)
	; wave barrier
	s_waitcnt lgkmcnt(0)
	ds_read2_b64 v[6:9], v4 offset0:61 offset1:62
	buffer_load_dword v2, off, s[0:3], 0 offset:192
	buffer_load_dword v3, off, s[0:3], 0 offset:196
	buffer_load_dword v5, off, s[0:3], 0 offset:200
	buffer_load_dword v14, off, s[0:3], 0 offset:204
	buffer_load_dword v15, off, s[0:3], 0 offset:208
	buffer_load_dword v16, off, s[0:3], 0 offset:212
	buffer_load_dword v17, off, s[0:3], 0 offset:216
	buffer_load_dword v18, off, s[0:3], 0 offset:220
	buffer_load_dword v94, off, s[0:3], 0 offset:224
	buffer_load_dword v95, off, s[0:3], 0 offset:228
	buffer_load_dword v96, off, s[0:3], 0 offset:232
	buffer_load_dword v97, off, s[0:3], 0 offset:236
	buffer_load_dword v98, off, s[0:3], 0 offset:240
	buffer_load_dword v99, off, s[0:3], 0 offset:244
	buffer_load_dword v100, off, s[0:3], 0 offset:248
	buffer_load_dword v101, off, s[0:3], 0 offset:252
	v_cmp_lt_u32_e32 vcc, 23, v0
	s_waitcnt vmcnt(12) lgkmcnt(0)
	v_mul_f32_e32 v10, v6, v14
	v_fmac_f32_e32 v10, v7, v5
	v_add_f32_e32 v103, 0, v10
	ds_read2_b64 v[10:13], v4 offset0:63 offset1:64
	buffer_load_dword v109, off, s[0:3], 0 offset:260
	buffer_load_dword v108, off, s[0:3], 0 offset:256
	;; [unrolled: 1-line block ×8, first 2 shown]
	v_mul_f32_e32 v7, v7, v14
	v_fma_f32 v5, v6, v5, -v7
	s_waitcnt vmcnt(18)
	v_mul_f32_e32 v105, v8, v16
	v_add_f32_e32 v102, 0, v5
	v_mul_f32_e32 v5, v9, v16
	v_fmac_f32_e32 v105, v9, v15
	v_fma_f32 v104, v8, v15, -v5
	s_waitcnt vmcnt(16) lgkmcnt(0)
	v_mul_f32_e32 v107, v10, v18
	v_mul_f32_e32 v5, v11, v18
	v_pk_add_f32 v[102:103], v[102:103], v[104:105]
	s_waitcnt vmcnt(14)
	v_mov_b32_e32 v104, v95
	v_fmac_f32_e32 v107, v11, v17
	v_fma_f32 v106, v10, v17, -v5
	ds_read2_b64 v[6:9], v4 offset0:65 offset1:66
	ds_read2_b64 v[14:17], v4 offset0:67 offset1:68
	ds_read2_b64 v[18:21], v4 offset0:69 offset1:70
	ds_read_b64 v[10:11], v4 offset:568
	v_pk_mul_f32 v[104:105], v[12:13], v[104:105] op_sel_hi:[1,0]
	v_pk_add_f32 v[102:103], v[102:103], v[106:107]
	v_pk_fma_f32 v[106:107], v[12:13], v[94:95], v[104:105] op_sel:[0,0,1] op_sel_hi:[1,1,0] neg_lo:[0,0,1] neg_hi:[0,0,1]
	v_pk_fma_f32 v[12:13], v[12:13], v[94:95], v[104:105] op_sel:[0,0,1] op_sel_hi:[1,0,0]
	s_waitcnt vmcnt(12)
	v_mov_b32_e32 v94, v97
	v_mov_b32_e32 v107, v13
	s_waitcnt lgkmcnt(3)
	v_pk_mul_f32 v[94:95], v[6:7], v[94:95] op_sel_hi:[1,0]
	v_pk_add_f32 v[12:13], v[102:103], v[106:107]
	v_pk_fma_f32 v[102:103], v[6:7], v[96:97], v[94:95] op_sel:[0,0,1] op_sel_hi:[1,1,0] neg_lo:[0,0,1] neg_hi:[0,0,1]
	v_pk_fma_f32 v[6:7], v[6:7], v[96:97], v[94:95] op_sel:[0,0,1] op_sel_hi:[1,0,0]
	v_mov_b32_e32 v103, v7
	v_pk_add_f32 v[6:7], v[12:13], v[102:103]
	s_waitcnt vmcnt(10)
	v_mov_b32_e32 v12, v99
	v_pk_mul_f32 v[12:13], v[8:9], v[12:13] op_sel_hi:[1,0]
	v_pk_fma_f32 v[94:95], v[8:9], v[98:99], v[12:13] op_sel:[0,0,1] op_sel_hi:[1,1,0] neg_lo:[0,0,1] neg_hi:[0,0,1]
	v_pk_fma_f32 v[8:9], v[8:9], v[98:99], v[12:13] op_sel:[0,0,1] op_sel_hi:[1,0,0]
	s_waitcnt vmcnt(8)
	v_mov_b32_e32 v8, v101
	v_mov_b32_e32 v95, v9
	s_waitcnt lgkmcnt(2)
	v_pk_mul_f32 v[8:9], v[14:15], v[8:9] op_sel_hi:[1,0]
	v_pk_fma_f32 v[12:13], v[14:15], v[100:101], v[8:9] op_sel:[0,0,1] op_sel_hi:[1,1,0] neg_lo:[0,0,1] neg_hi:[0,0,1]
	v_pk_fma_f32 v[8:9], v[14:15], v[100:101], v[8:9] op_sel:[0,0,1] op_sel_hi:[1,0,0]
	v_pk_add_f32 v[6:7], v[6:7], v[94:95]
	v_mov_b32_e32 v13, v9
	v_pk_add_f32 v[6:7], v[6:7], v[12:13]
	s_waitcnt vmcnt(7)
	v_mov_b32_e32 v8, v109
	v_pk_mul_f32 v[8:9], v[16:17], v[8:9] op_sel_hi:[1,0]
	s_waitcnt vmcnt(6)
	v_pk_fma_f32 v[12:13], v[16:17], v[108:109], v[8:9] op_sel:[0,0,1] op_sel_hi:[1,1,0] neg_lo:[0,0,1] neg_hi:[0,0,1]
	v_pk_fma_f32 v[8:9], v[16:17], v[108:109], v[8:9] op_sel:[0,0,1] op_sel_hi:[1,0,0]
	s_waitcnt vmcnt(5)
	v_mov_b32_e32 v8, v111
	v_mov_b32_e32 v13, v9
	s_waitcnt lgkmcnt(1)
	v_pk_mul_f32 v[8:9], v[18:19], v[8:9] op_sel_hi:[1,0]
	v_pk_add_f32 v[6:7], v[6:7], v[12:13]
	s_waitcnt vmcnt(4)
	v_pk_fma_f32 v[12:13], v[18:19], v[110:111], v[8:9] op_sel:[0,0,1] op_sel_hi:[1,1,0] neg_lo:[0,0,1] neg_hi:[0,0,1]
	v_pk_fma_f32 v[8:9], v[18:19], v[110:111], v[8:9] op_sel:[0,0,1] op_sel_hi:[1,0,0]
	s_waitcnt vmcnt(3)
	v_mov_b32_e32 v8, v113
	v_mov_b32_e32 v13, v9
	v_pk_mul_f32 v[8:9], v[20:21], v[8:9] op_sel_hi:[1,0]
	v_pk_add_f32 v[6:7], v[6:7], v[12:13]
	s_waitcnt vmcnt(2)
	v_pk_fma_f32 v[12:13], v[20:21], v[112:113], v[8:9] op_sel:[0,0,1] op_sel_hi:[1,1,0] neg_lo:[0,0,1] neg_hi:[0,0,1]
	v_pk_fma_f32 v[8:9], v[20:21], v[112:113], v[8:9] op_sel:[0,0,1] op_sel_hi:[1,0,0]
	s_waitcnt vmcnt(1)
	v_mov_b32_e32 v8, v115
	v_mov_b32_e32 v13, v9
	s_waitcnt lgkmcnt(0)
	v_pk_mul_f32 v[8:9], v[10:11], v[8:9] op_sel_hi:[1,0]
	v_pk_add_f32 v[6:7], v[6:7], v[12:13]
	s_waitcnt vmcnt(0)
	v_pk_fma_f32 v[12:13], v[10:11], v[114:115], v[8:9] op_sel:[0,0,1] op_sel_hi:[1,1,0] neg_lo:[0,0,1] neg_hi:[0,0,1]
	v_pk_fma_f32 v[8:9], v[10:11], v[114:115], v[8:9] op_sel:[0,0,1] op_sel_hi:[1,0,0]
	v_mov_b32_e32 v13, v9
	v_pk_add_f32 v[6:7], v[6:7], v[12:13]
	v_pk_add_f32 v[2:3], v[2:3], v[6:7] neg_lo:[0,1] neg_hi:[0,1]
	buffer_store_dword v3, off, s[0:3], 0 offset:196
	buffer_store_dword v2, off, s[0:3], 0 offset:192
	s_and_saveexec_b64 s[4:5], vcc
	s_cbranch_execz .LBB99_183
; %bb.182:
	buffer_load_dword v2, off, s[0:3], 0 offset:184
	buffer_load_dword v3, off, s[0:3], 0 offset:188
	s_waitcnt vmcnt(0)
	ds_write_b64 v1, v[2:3]
	buffer_store_dword v4, off, s[0:3], 0 offset:184
	buffer_store_dword v4, off, s[0:3], 0 offset:188
.LBB99_183:
	s_or_b64 exec, exec, s[4:5]
	s_waitcnt lgkmcnt(0)
	; wave barrier
	s_waitcnt lgkmcnt(0)
	ds_read_b128 v[6:9], v4 offset:480
	ds_read_b128 v[10:13], v4 offset:496
	;; [unrolled: 1-line block ×4, first 2 shown]
	buffer_load_dword v2, off, s[0:3], 0 offset:184
	buffer_load_dword v3, off, s[0:3], 0 offset:188
	;; [unrolled: 1-line block ×26, first 2 shown]
	v_cmp_lt_u32_e32 vcc, 22, v0
	s_waitcnt vmcnt(22) lgkmcnt(3)
	v_mul_f32_e32 v101, v6, v100
	v_fmac_f32_e32 v101, v7, v5
	v_mul_f32_e32 v7, v7, v100
	s_waitcnt vmcnt(20)
	v_mul_f32_e32 v103, v8, v104
	v_fma_f32 v5, v6, v5, -v7
	v_mul_f32_e32 v6, v9, v104
	v_add_f32_e32 v101, 0, v101
	v_fmac_f32_e32 v103, v9, v102
	v_add_f32_e32 v5, 0, v5
	v_fma_f32 v6, v8, v102, -v6
	v_add_f32_e32 v101, v101, v103
	s_waitcnt vmcnt(18) lgkmcnt(2)
	v_mul_f32_e32 v103, v10, v117
	v_add_f32_e32 v100, v5, v6
	v_mul_f32_e32 v5, v11, v117
	v_fmac_f32_e32 v103, v11, v116
	s_waitcnt vmcnt(16)
	v_mul_f32_e32 v105, v12, v119
	v_fma_f32 v102, v10, v116, -v5
	v_mul_f32_e32 v5, v13, v119
	v_fmac_f32_e32 v105, v13, v118
	v_fma_f32 v104, v12, v118, -v5
	ds_read_b128 v[6:9], v4 offset:544
	ds_read_b128 v[10:13], v4 offset:560
	v_pk_add_f32 v[4:5], v[100:101], v[102:103]
	s_waitcnt vmcnt(14)
	v_mov_b32_e32 v100, v95
	s_waitcnt lgkmcnt(3)
	v_pk_mul_f32 v[100:101], v[14:15], v[100:101] op_sel_hi:[1,0]
	v_pk_fma_f32 v[102:103], v[14:15], v[94:95], v[100:101] op_sel:[0,0,1] op_sel_hi:[1,1,0] neg_lo:[0,0,1] neg_hi:[0,0,1]
	v_pk_fma_f32 v[14:15], v[14:15], v[94:95], v[100:101] op_sel:[0,0,1] op_sel_hi:[1,0,0]
	s_waitcnt vmcnt(12)
	v_mov_b32_e32 v14, v97
	v_mov_b32_e32 v103, v15
	v_pk_mul_f32 v[14:15], v[16:17], v[14:15] op_sel_hi:[1,0]
	v_pk_fma_f32 v[94:95], v[16:17], v[96:97], v[14:15] op_sel:[0,0,1] op_sel_hi:[1,1,0] neg_lo:[0,0,1] neg_hi:[0,0,1]
	v_pk_fma_f32 v[14:15], v[16:17], v[96:97], v[14:15] op_sel:[0,0,1] op_sel_hi:[1,0,0]
	s_waitcnt vmcnt(10)
	v_mov_b32_e32 v14, v99
	v_mov_b32_e32 v95, v15
	s_waitcnt lgkmcnt(2)
	v_pk_mul_f32 v[14:15], v[18:19], v[14:15] op_sel_hi:[1,0]
	v_pk_add_f32 v[4:5], v[4:5], v[104:105]
	v_pk_fma_f32 v[16:17], v[18:19], v[98:99], v[14:15] op_sel:[0,0,1] op_sel_hi:[1,1,0] neg_lo:[0,0,1] neg_hi:[0,0,1]
	v_pk_fma_f32 v[14:15], v[18:19], v[98:99], v[14:15] op_sel:[0,0,1] op_sel_hi:[1,0,0]
	v_pk_add_f32 v[4:5], v[4:5], v[102:103]
	s_waitcnt vmcnt(9)
	v_mov_b32_e32 v14, v107
	v_pk_add_f32 v[4:5], v[4:5], v[94:95]
	v_mov_b32_e32 v17, v15
	v_pk_mul_f32 v[14:15], v[20:21], v[14:15] op_sel_hi:[1,0]
	v_pk_add_f32 v[4:5], v[4:5], v[16:17]
	s_waitcnt vmcnt(8)
	v_pk_fma_f32 v[16:17], v[20:21], v[106:107], v[14:15] op_sel:[0,0,1] op_sel_hi:[1,1,0] neg_lo:[0,0,1] neg_hi:[0,0,1]
	v_pk_fma_f32 v[14:15], v[20:21], v[106:107], v[14:15] op_sel:[0,0,1] op_sel_hi:[1,0,0]
	s_waitcnt vmcnt(7)
	v_mov_b32_e32 v14, v109
	v_mov_b32_e32 v17, v15
	s_waitcnt lgkmcnt(1)
	v_pk_mul_f32 v[14:15], v[6:7], v[14:15] op_sel_hi:[1,0]
	v_pk_add_f32 v[4:5], v[4:5], v[16:17]
	s_waitcnt vmcnt(6)
	v_pk_fma_f32 v[16:17], v[6:7], v[108:109], v[14:15] op_sel:[0,0,1] op_sel_hi:[1,1,0] neg_lo:[0,0,1] neg_hi:[0,0,1]
	v_pk_fma_f32 v[6:7], v[6:7], v[108:109], v[14:15] op_sel:[0,0,1] op_sel_hi:[1,0,0]
	s_waitcnt vmcnt(5)
	v_mov_b32_e32 v6, v111
	v_mov_b32_e32 v17, v7
	v_pk_mul_f32 v[6:7], v[8:9], v[6:7] op_sel_hi:[1,0]
	s_waitcnt vmcnt(4)
	v_pk_fma_f32 v[14:15], v[8:9], v[110:111], v[6:7] op_sel:[0,0,1] op_sel_hi:[1,1,0] neg_lo:[0,0,1] neg_hi:[0,0,1]
	v_pk_fma_f32 v[6:7], v[8:9], v[110:111], v[6:7] op_sel:[0,0,1] op_sel_hi:[1,0,0]
	s_waitcnt vmcnt(3)
	v_mov_b32_e32 v6, v113
	v_mov_b32_e32 v15, v7
	s_waitcnt lgkmcnt(0)
	v_pk_mul_f32 v[6:7], v[10:11], v[6:7] op_sel_hi:[1,0]
	s_waitcnt vmcnt(2)
	v_pk_fma_f32 v[8:9], v[10:11], v[112:113], v[6:7] op_sel:[0,0,1] op_sel_hi:[1,1,0] neg_lo:[0,0,1] neg_hi:[0,0,1]
	v_pk_fma_f32 v[6:7], v[10:11], v[112:113], v[6:7] op_sel:[0,0,1] op_sel_hi:[1,0,0]
	v_pk_add_f32 v[4:5], v[4:5], v[16:17]
	s_waitcnt vmcnt(1)
	v_mov_b32_e32 v6, v115
	v_pk_add_f32 v[4:5], v[4:5], v[14:15]
	v_mov_b32_e32 v9, v7
	v_pk_mul_f32 v[6:7], v[12:13], v[6:7] op_sel_hi:[1,0]
	v_pk_add_f32 v[4:5], v[4:5], v[8:9]
	s_waitcnt vmcnt(0)
	v_pk_fma_f32 v[8:9], v[12:13], v[114:115], v[6:7] op_sel:[0,0,1] op_sel_hi:[1,1,0] neg_lo:[0,0,1] neg_hi:[0,0,1]
	v_pk_fma_f32 v[6:7], v[12:13], v[114:115], v[6:7] op_sel:[0,0,1] op_sel_hi:[1,0,0]
	v_mov_b32_e32 v9, v7
	v_pk_add_f32 v[4:5], v[4:5], v[8:9]
	v_pk_add_f32 v[2:3], v[2:3], v[4:5] neg_lo:[0,1] neg_hi:[0,1]
	buffer_store_dword v3, off, s[0:3], 0 offset:188
	buffer_store_dword v2, off, s[0:3], 0 offset:184
	s_and_saveexec_b64 s[4:5], vcc
	s_cbranch_execz .LBB99_185
; %bb.184:
	buffer_load_dword v2, off, s[0:3], 0 offset:176
	buffer_load_dword v3, off, s[0:3], 0 offset:180
	v_mov_b32_e32 v4, 0
	buffer_store_dword v4, off, s[0:3], 0 offset:176
	buffer_store_dword v4, off, s[0:3], 0 offset:180
	s_waitcnt vmcnt(2)
	ds_write_b64 v1, v[2:3]
.LBB99_185:
	s_or_b64 exec, exec, s[4:5]
	v_mov_b32_e32 v4, 0
	s_waitcnt lgkmcnt(0)
	; wave barrier
	s_waitcnt lgkmcnt(0)
	ds_read2_b64 v[6:9], v4 offset0:59 offset1:60
	buffer_load_dword v2, off, s[0:3], 0 offset:176
	buffer_load_dword v3, off, s[0:3], 0 offset:180
	;; [unrolled: 1-line block ×16, first 2 shown]
	v_cmp_lt_u32_e32 vcc, 21, v0
	s_waitcnt vmcnt(12) lgkmcnt(0)
	v_mul_f32_e32 v10, v6, v18
	v_fmac_f32_e32 v10, v7, v5
	s_waitcnt vmcnt(10)
	v_mul_f32_e32 v11, v8, v20
	v_add_f32_e32 v10, 0, v10
	v_fmac_f32_e32 v11, v9, v19
	v_add_f32_e32 v14, v10, v11
	ds_read2_b64 v[10:13], v4 offset0:61 offset1:62
	v_mul_f32_e32 v7, v7, v18
	v_fma_f32 v5, v6, v5, -v7
	v_mul_f32_e32 v6, v9, v20
	v_add_f32_e32 v5, 0, v5
	s_waitcnt vmcnt(8) lgkmcnt(0)
	v_mul_f32_e32 v15, v10, v98
	v_fmac_f32_e32 v15, v11, v21
	v_add_f32_e32 v99, v14, v15
	ds_read2_b64 v[14:17], v4 offset0:63 offset1:64
	buffer_load_dword v105, off, s[0:3], 0 offset:244
	buffer_load_dword v104, off, s[0:3], 0 offset:240
	;; [unrolled: 1-line block ×12, first 2 shown]
	v_fma_f32 v6, v8, v19, -v6
	v_add_f32_e32 v5, v5, v6
	v_mul_f32_e32 v6, v11, v98
	v_fma_f32 v6, v10, v21, -v6
	s_waitcnt vmcnt(18)
	v_mul_f32_e32 v101, v12, v102
	v_add_f32_e32 v98, v5, v6
	v_mul_f32_e32 v5, v13, v102
	v_fmac_f32_e32 v101, v13, v100
	v_fma_f32 v100, v12, v100, -v5
	s_waitcnt vmcnt(16) lgkmcnt(0)
	v_mul_f32_e32 v103, v14, v117
	v_mul_f32_e32 v5, v15, v117
	v_pk_add_f32 v[98:99], v[98:99], v[100:101]
	s_waitcnt vmcnt(14)
	v_mov_b32_e32 v100, v95
	v_fmac_f32_e32 v103, v15, v116
	v_fma_f32 v102, v14, v116, -v5
	ds_read2_b64 v[6:9], v4 offset0:65 offset1:66
	ds_read2_b64 v[10:13], v4 offset0:67 offset1:68
	;; [unrolled: 1-line block ×3, first 2 shown]
	ds_read_b64 v[14:15], v4 offset:568
	v_pk_mul_f32 v[100:101], v[16:17], v[100:101] op_sel_hi:[1,0]
	v_pk_add_f32 v[98:99], v[98:99], v[102:103]
	v_pk_fma_f32 v[102:103], v[16:17], v[94:95], v[100:101] op_sel:[0,0,1] op_sel_hi:[1,1,0] neg_lo:[0,0,1] neg_hi:[0,0,1]
	v_pk_fma_f32 v[16:17], v[16:17], v[94:95], v[100:101] op_sel:[0,0,1] op_sel_hi:[1,0,0]
	s_waitcnt vmcnt(12)
	v_mov_b32_e32 v94, v97
	v_mov_b32_e32 v103, v17
	s_waitcnt lgkmcnt(3)
	v_pk_mul_f32 v[94:95], v[6:7], v[94:95] op_sel_hi:[1,0]
	v_pk_add_f32 v[16:17], v[98:99], v[102:103]
	v_pk_fma_f32 v[98:99], v[6:7], v[96:97], v[94:95] op_sel:[0,0,1] op_sel_hi:[1,1,0] neg_lo:[0,0,1] neg_hi:[0,0,1]
	v_pk_fma_f32 v[6:7], v[6:7], v[96:97], v[94:95] op_sel:[0,0,1] op_sel_hi:[1,0,0]
	v_mov_b32_e32 v99, v7
	v_pk_add_f32 v[6:7], v[16:17], v[98:99]
	s_waitcnt vmcnt(11)
	v_mov_b32_e32 v16, v105
	v_pk_mul_f32 v[16:17], v[8:9], v[16:17] op_sel_hi:[1,0]
	s_waitcnt vmcnt(10)
	v_pk_fma_f32 v[94:95], v[8:9], v[104:105], v[16:17] op_sel:[0,0,1] op_sel_hi:[1,1,0] neg_lo:[0,0,1] neg_hi:[0,0,1]
	v_pk_fma_f32 v[8:9], v[8:9], v[104:105], v[16:17] op_sel:[0,0,1] op_sel_hi:[1,0,0]
	s_waitcnt vmcnt(9)
	v_mov_b32_e32 v8, v107
	v_mov_b32_e32 v95, v9
	s_waitcnt lgkmcnt(2)
	v_pk_mul_f32 v[8:9], v[10:11], v[8:9] op_sel_hi:[1,0]
	s_waitcnt vmcnt(8)
	v_pk_fma_f32 v[16:17], v[10:11], v[106:107], v[8:9] op_sel:[0,0,1] op_sel_hi:[1,1,0] neg_lo:[0,0,1] neg_hi:[0,0,1]
	v_pk_fma_f32 v[8:9], v[10:11], v[106:107], v[8:9] op_sel:[0,0,1] op_sel_hi:[1,0,0]
	s_waitcnt vmcnt(7)
	v_mov_b32_e32 v8, v109
	v_mov_b32_e32 v17, v9
	v_pk_mul_f32 v[8:9], v[12:13], v[8:9] op_sel_hi:[1,0]
	s_waitcnt vmcnt(6)
	v_pk_fma_f32 v[10:11], v[12:13], v[108:109], v[8:9] op_sel:[0,0,1] op_sel_hi:[1,1,0] neg_lo:[0,0,1] neg_hi:[0,0,1]
	v_pk_fma_f32 v[8:9], v[12:13], v[108:109], v[8:9] op_sel:[0,0,1] op_sel_hi:[1,0,0]
	v_pk_add_f32 v[6:7], v[6:7], v[94:95]
	s_waitcnt vmcnt(5)
	v_mov_b32_e32 v8, v111
	v_pk_add_f32 v[6:7], v[6:7], v[16:17]
	v_mov_b32_e32 v11, v9
	s_waitcnt lgkmcnt(1)
	v_pk_mul_f32 v[8:9], v[18:19], v[8:9] op_sel_hi:[1,0]
	v_pk_add_f32 v[6:7], v[6:7], v[10:11]
	s_waitcnt vmcnt(4)
	v_pk_fma_f32 v[10:11], v[18:19], v[110:111], v[8:9] op_sel:[0,0,1] op_sel_hi:[1,1,0] neg_lo:[0,0,1] neg_hi:[0,0,1]
	v_pk_fma_f32 v[8:9], v[18:19], v[110:111], v[8:9] op_sel:[0,0,1] op_sel_hi:[1,0,0]
	s_waitcnt vmcnt(3)
	v_mov_b32_e32 v8, v113
	v_mov_b32_e32 v11, v9
	v_pk_mul_f32 v[8:9], v[20:21], v[8:9] op_sel_hi:[1,0]
	v_pk_add_f32 v[6:7], v[6:7], v[10:11]
	s_waitcnt vmcnt(2)
	v_pk_fma_f32 v[10:11], v[20:21], v[112:113], v[8:9] op_sel:[0,0,1] op_sel_hi:[1,1,0] neg_lo:[0,0,1] neg_hi:[0,0,1]
	v_pk_fma_f32 v[8:9], v[20:21], v[112:113], v[8:9] op_sel:[0,0,1] op_sel_hi:[1,0,0]
	s_waitcnt vmcnt(1)
	v_mov_b32_e32 v8, v115
	v_mov_b32_e32 v11, v9
	s_waitcnt lgkmcnt(0)
	v_pk_mul_f32 v[8:9], v[14:15], v[8:9] op_sel_hi:[1,0]
	v_pk_add_f32 v[6:7], v[6:7], v[10:11]
	s_waitcnt vmcnt(0)
	v_pk_fma_f32 v[10:11], v[14:15], v[114:115], v[8:9] op_sel:[0,0,1] op_sel_hi:[1,1,0] neg_lo:[0,0,1] neg_hi:[0,0,1]
	v_pk_fma_f32 v[8:9], v[14:15], v[114:115], v[8:9] op_sel:[0,0,1] op_sel_hi:[1,0,0]
	v_mov_b32_e32 v11, v9
	v_pk_add_f32 v[6:7], v[6:7], v[10:11]
	v_pk_add_f32 v[2:3], v[2:3], v[6:7] neg_lo:[0,1] neg_hi:[0,1]
	buffer_store_dword v3, off, s[0:3], 0 offset:180
	buffer_store_dword v2, off, s[0:3], 0 offset:176
	s_and_saveexec_b64 s[4:5], vcc
	s_cbranch_execz .LBB99_187
; %bb.186:
	buffer_load_dword v2, off, s[0:3], 0 offset:168
	buffer_load_dword v3, off, s[0:3], 0 offset:172
	s_waitcnt vmcnt(0)
	ds_write_b64 v1, v[2:3]
	buffer_store_dword v4, off, s[0:3], 0 offset:168
	buffer_store_dword v4, off, s[0:3], 0 offset:172
.LBB99_187:
	s_or_b64 exec, exec, s[4:5]
	s_waitcnt lgkmcnt(0)
	; wave barrier
	s_waitcnt lgkmcnt(0)
	ds_read_b128 v[6:9], v4 offset:464
	ds_read_b128 v[10:13], v4 offset:480
	;; [unrolled: 1-line block ×4, first 2 shown]
	buffer_load_dword v2, off, s[0:3], 0 offset:168
	buffer_load_dword v3, off, s[0:3], 0 offset:172
	;; [unrolled: 1-line block ×30, first 2 shown]
	v_cmp_lt_u32_e32 vcc, 20, v0
	s_waitcnt vmcnt(26) lgkmcnt(3)
	v_mul_f32_e32 v97, v6, v96
	v_fmac_f32_e32 v97, v7, v5
	v_mul_f32_e32 v7, v7, v96
	s_waitcnt vmcnt(24)
	v_mul_f32_e32 v99, v8, v100
	v_fma_f32 v5, v6, v5, -v7
	v_mul_f32_e32 v6, v9, v100
	v_add_f32_e32 v97, 0, v97
	v_fmac_f32_e32 v99, v9, v98
	v_add_f32_e32 v5, 0, v5
	v_fma_f32 v6, v8, v98, -v6
	v_add_f32_e32 v97, v97, v99
	s_waitcnt vmcnt(22) lgkmcnt(2)
	v_mul_f32_e32 v99, v10, v117
	v_add_f32_e32 v5, v5, v6
	v_mul_f32_e32 v6, v11, v117
	v_fmac_f32_e32 v99, v11, v116
	v_fma_f32 v6, v10, v116, -v6
	v_add_f32_e32 v97, v97, v99
	s_waitcnt vmcnt(20)
	v_mul_f32_e32 v99, v12, v119
	v_add_f32_e32 v5, v5, v6
	v_mul_f32_e32 v6, v13, v119
	v_fmac_f32_e32 v99, v13, v118
	v_fma_f32 v6, v12, v118, -v6
	v_add_f32_e32 v97, v97, v99
	s_waitcnt vmcnt(18) lgkmcnt(1)
	v_mul_f32_e32 v99, v14, v121
	v_add_f32_e32 v96, v5, v6
	v_mul_f32_e32 v5, v15, v121
	v_fmac_f32_e32 v99, v15, v120
	s_waitcnt vmcnt(16)
	v_mul_f32_e32 v101, v16, v123
	v_fma_f32 v98, v14, v120, -v5
	v_mul_f32_e32 v5, v17, v123
	v_fmac_f32_e32 v101, v17, v122
	v_fma_f32 v100, v16, v122, -v5
	ds_read_b128 v[6:9], v4 offset:528
	ds_read_b128 v[10:13], v4 offset:544
	;; [unrolled: 1-line block ×3, first 2 shown]
	v_pk_add_f32 v[4:5], v[96:97], v[98:99]
	s_waitcnt vmcnt(14)
	v_mov_b32_e32 v96, v95
	s_waitcnt lgkmcnt(3)
	v_pk_mul_f32 v[96:97], v[18:19], v[96:97] op_sel_hi:[1,0]
	v_pk_fma_f32 v[98:99], v[18:19], v[94:95], v[96:97] op_sel:[0,0,1] op_sel_hi:[1,1,0] neg_lo:[0,0,1] neg_hi:[0,0,1]
	v_pk_fma_f32 v[18:19], v[18:19], v[94:95], v[96:97] op_sel:[0,0,1] op_sel_hi:[1,0,0]
	s_waitcnt vmcnt(13)
	v_mov_b32_e32 v18, v103
	v_mov_b32_e32 v99, v19
	v_pk_mul_f32 v[18:19], v[20:21], v[18:19] op_sel_hi:[1,0]
	s_waitcnt vmcnt(12)
	v_pk_fma_f32 v[94:95], v[20:21], v[102:103], v[18:19] op_sel:[0,0,1] op_sel_hi:[1,1,0] neg_lo:[0,0,1] neg_hi:[0,0,1]
	v_pk_fma_f32 v[18:19], v[20:21], v[102:103], v[18:19] op_sel:[0,0,1] op_sel_hi:[1,0,0]
	s_waitcnt vmcnt(11)
	v_mov_b32_e32 v18, v105
	v_mov_b32_e32 v95, v19
	s_waitcnt lgkmcnt(2)
	v_pk_mul_f32 v[18:19], v[6:7], v[18:19] op_sel_hi:[1,0]
	s_waitcnt vmcnt(10)
	v_pk_fma_f32 v[20:21], v[6:7], v[104:105], v[18:19] op_sel:[0,0,1] op_sel_hi:[1,1,0] neg_lo:[0,0,1] neg_hi:[0,0,1]
	v_pk_fma_f32 v[6:7], v[6:7], v[104:105], v[18:19] op_sel:[0,0,1] op_sel_hi:[1,0,0]
	s_waitcnt vmcnt(9)
	v_mov_b32_e32 v6, v107
	v_mov_b32_e32 v21, v7
	v_pk_mul_f32 v[6:7], v[8:9], v[6:7] op_sel_hi:[1,0]
	s_waitcnt vmcnt(8)
	v_pk_fma_f32 v[18:19], v[8:9], v[106:107], v[6:7] op_sel:[0,0,1] op_sel_hi:[1,1,0] neg_lo:[0,0,1] neg_hi:[0,0,1]
	v_pk_fma_f32 v[6:7], v[8:9], v[106:107], v[6:7] op_sel:[0,0,1] op_sel_hi:[1,0,0]
	v_pk_add_f32 v[4:5], v[4:5], v[100:101]
	s_waitcnt vmcnt(7)
	v_mov_b32_e32 v6, v109
	v_pk_add_f32 v[4:5], v[4:5], v[98:99]
	v_mov_b32_e32 v19, v7
	s_waitcnt lgkmcnt(1)
	v_pk_mul_f32 v[6:7], v[10:11], v[6:7] op_sel_hi:[1,0]
	v_pk_add_f32 v[4:5], v[4:5], v[94:95]
	s_waitcnt vmcnt(6)
	v_pk_fma_f32 v[8:9], v[10:11], v[108:109], v[6:7] op_sel:[0,0,1] op_sel_hi:[1,1,0] neg_lo:[0,0,1] neg_hi:[0,0,1]
	v_pk_fma_f32 v[6:7], v[10:11], v[108:109], v[6:7] op_sel:[0,0,1] op_sel_hi:[1,0,0]
	v_pk_add_f32 v[4:5], v[4:5], v[20:21]
	s_waitcnt vmcnt(5)
	v_mov_b32_e32 v6, v111
	v_pk_add_f32 v[4:5], v[4:5], v[18:19]
	v_mov_b32_e32 v9, v7
	v_pk_mul_f32 v[6:7], v[12:13], v[6:7] op_sel_hi:[1,0]
	v_pk_add_f32 v[4:5], v[4:5], v[8:9]
	s_waitcnt vmcnt(4)
	v_pk_fma_f32 v[8:9], v[12:13], v[110:111], v[6:7] op_sel:[0,0,1] op_sel_hi:[1,1,0] neg_lo:[0,0,1] neg_hi:[0,0,1]
	v_pk_fma_f32 v[6:7], v[12:13], v[110:111], v[6:7] op_sel:[0,0,1] op_sel_hi:[1,0,0]
	s_waitcnt vmcnt(3)
	v_mov_b32_e32 v6, v113
	v_mov_b32_e32 v9, v7
	s_waitcnt lgkmcnt(0)
	v_pk_mul_f32 v[6:7], v[14:15], v[6:7] op_sel_hi:[1,0]
	v_pk_add_f32 v[4:5], v[4:5], v[8:9]
	s_waitcnt vmcnt(2)
	v_pk_fma_f32 v[8:9], v[14:15], v[112:113], v[6:7] op_sel:[0,0,1] op_sel_hi:[1,1,0] neg_lo:[0,0,1] neg_hi:[0,0,1]
	v_pk_fma_f32 v[6:7], v[14:15], v[112:113], v[6:7] op_sel:[0,0,1] op_sel_hi:[1,0,0]
	s_waitcnt vmcnt(1)
	v_mov_b32_e32 v6, v115
	v_mov_b32_e32 v9, v7
	v_pk_mul_f32 v[6:7], v[16:17], v[6:7] op_sel_hi:[1,0]
	v_pk_add_f32 v[4:5], v[4:5], v[8:9]
	s_waitcnt vmcnt(0)
	v_pk_fma_f32 v[8:9], v[16:17], v[114:115], v[6:7] op_sel:[0,0,1] op_sel_hi:[1,1,0] neg_lo:[0,0,1] neg_hi:[0,0,1]
	v_pk_fma_f32 v[6:7], v[16:17], v[114:115], v[6:7] op_sel:[0,0,1] op_sel_hi:[1,0,0]
	v_mov_b32_e32 v9, v7
	v_pk_add_f32 v[4:5], v[4:5], v[8:9]
	v_pk_add_f32 v[2:3], v[2:3], v[4:5] neg_lo:[0,1] neg_hi:[0,1]
	buffer_store_dword v3, off, s[0:3], 0 offset:172
	buffer_store_dword v2, off, s[0:3], 0 offset:168
	s_and_saveexec_b64 s[4:5], vcc
	s_cbranch_execz .LBB99_189
; %bb.188:
	buffer_load_dword v2, off, s[0:3], 0 offset:160
	buffer_load_dword v3, off, s[0:3], 0 offset:164
	v_mov_b32_e32 v4, 0
	buffer_store_dword v4, off, s[0:3], 0 offset:160
	buffer_store_dword v4, off, s[0:3], 0 offset:164
	s_waitcnt vmcnt(2)
	ds_write_b64 v1, v[2:3]
.LBB99_189:
	s_or_b64 exec, exec, s[4:5]
	v_mov_b32_e32 v4, 0
	s_waitcnt lgkmcnt(0)
	; wave barrier
	s_waitcnt lgkmcnt(0)
	ds_read2_b64 v[6:9], v4 offset0:57 offset1:58
	buffer_load_dword v2, off, s[0:3], 0 offset:160
	buffer_load_dword v3, off, s[0:3], 0 offset:164
	;; [unrolled: 1-line block ×16, first 2 shown]
	v_cmp_lt_u32_e32 vcc, 19, v0
	s_waitcnt vmcnt(12) lgkmcnt(0)
	v_mul_f32_e32 v10, v6, v94
	v_fmac_f32_e32 v10, v7, v5
	s_waitcnt vmcnt(10)
	v_mul_f32_e32 v11, v8, v98
	v_add_f32_e32 v10, 0, v10
	v_fmac_f32_e32 v11, v9, v96
	v_add_f32_e32 v14, v10, v11
	ds_read2_b64 v[10:13], v4 offset0:59 offset1:60
	v_mul_f32_e32 v7, v7, v94
	v_fma_f32 v5, v6, v5, -v7
	v_mul_f32_e32 v6, v9, v98
	v_add_f32_e32 v5, 0, v5
	s_waitcnt vmcnt(8) lgkmcnt(0)
	v_mul_f32_e32 v15, v10, v117
	v_fmac_f32_e32 v15, v11, v116
	v_add_f32_e32 v14, v14, v15
	s_waitcnt vmcnt(6)
	v_mul_f32_e32 v15, v12, v119
	v_fmac_f32_e32 v15, v13, v118
	v_add_f32_e32 v18, v14, v15
	ds_read2_b64 v[14:17], v4 offset0:61 offset1:62
	v_fma_f32 v6, v8, v96, -v6
	v_add_f32_e32 v5, v5, v6
	v_mul_f32_e32 v6, v11, v117
	v_fma_f32 v6, v10, v116, -v6
	s_waitcnt vmcnt(4) lgkmcnt(0)
	v_mul_f32_e32 v19, v14, v121
	v_fmac_f32_e32 v19, v15, v120
	v_add_f32_e32 v95, v18, v19
	ds_read2_b64 v[18:21], v4 offset0:63 offset1:64
	buffer_load_dword v101, off, s[0:3], 0 offset:228
	buffer_load_dword v100, off, s[0:3], 0 offset:224
	;; [unrolled: 1-line block ×16, first 2 shown]
	v_add_f32_e32 v5, v5, v6
	v_mul_f32_e32 v6, v13, v119
	v_fma_f32 v6, v12, v118, -v6
	v_add_f32_e32 v5, v5, v6
	v_mul_f32_e32 v6, v15, v121
	v_fma_f32 v6, v14, v120, -v6
	s_waitcnt vmcnt(18)
	v_mul_f32_e32 v97, v16, v123
	v_add_f32_e32 v94, v5, v6
	v_mul_f32_e32 v5, v17, v123
	v_fmac_f32_e32 v97, v17, v122
	v_fma_f32 v96, v16, v122, -v5
	s_waitcnt vmcnt(16) lgkmcnt(0)
	v_mul_f32_e32 v99, v18, v125
	v_mul_f32_e32 v5, v19, v125
	v_pk_add_f32 v[94:95], v[94:95], v[96:97]
	v_fmac_f32_e32 v99, v19, v124
	v_fma_f32 v98, v18, v124, -v5
	v_pk_add_f32 v[94:95], v[94:95], v[98:99]
	ds_read2_b64 v[6:9], v4 offset0:65 offset1:66
	ds_read2_b64 v[10:13], v4 offset0:67 offset1:68
	ds_read2_b64 v[14:17], v4 offset0:69 offset1:70
	ds_read_b64 v[18:19], v4 offset:568
	s_waitcnt vmcnt(15)
	v_mov_b32_e32 v96, v101
	v_pk_mul_f32 v[96:97], v[20:21], v[96:97] op_sel_hi:[1,0]
	s_waitcnt vmcnt(14)
	v_pk_fma_f32 v[98:99], v[20:21], v[100:101], v[96:97] op_sel:[0,0,1] op_sel_hi:[1,1,0] neg_lo:[0,0,1] neg_hi:[0,0,1]
	v_pk_fma_f32 v[20:21], v[20:21], v[100:101], v[96:97] op_sel:[0,0,1] op_sel_hi:[1,0,0]
	v_mov_b32_e32 v99, v21
	v_pk_add_f32 v[20:21], v[94:95], v[98:99]
	s_waitcnt vmcnt(13)
	v_mov_b32_e32 v94, v103
	s_waitcnt lgkmcnt(3)
	v_pk_mul_f32 v[94:95], v[6:7], v[94:95] op_sel_hi:[1,0]
	s_waitcnt vmcnt(12)
	v_pk_fma_f32 v[96:97], v[6:7], v[102:103], v[94:95] op_sel:[0,0,1] op_sel_hi:[1,1,0] neg_lo:[0,0,1] neg_hi:[0,0,1]
	v_pk_fma_f32 v[6:7], v[6:7], v[102:103], v[94:95] op_sel:[0,0,1] op_sel_hi:[1,0,0]
	v_mov_b32_e32 v97, v7
	v_pk_add_f32 v[6:7], v[20:21], v[96:97]
	s_waitcnt vmcnt(11)
	v_mov_b32_e32 v20, v105
	v_pk_mul_f32 v[20:21], v[8:9], v[20:21] op_sel_hi:[1,0]
	s_waitcnt vmcnt(10)
	v_pk_fma_f32 v[94:95], v[8:9], v[104:105], v[20:21] op_sel:[0,0,1] op_sel_hi:[1,1,0] neg_lo:[0,0,1] neg_hi:[0,0,1]
	v_pk_fma_f32 v[8:9], v[8:9], v[104:105], v[20:21] op_sel:[0,0,1] op_sel_hi:[1,0,0]
	s_waitcnt vmcnt(9)
	v_mov_b32_e32 v8, v107
	v_mov_b32_e32 v95, v9
	s_waitcnt lgkmcnt(2)
	v_pk_mul_f32 v[8:9], v[10:11], v[8:9] op_sel_hi:[1,0]
	s_waitcnt vmcnt(8)
	v_pk_fma_f32 v[20:21], v[10:11], v[106:107], v[8:9] op_sel:[0,0,1] op_sel_hi:[1,1,0] neg_lo:[0,0,1] neg_hi:[0,0,1]
	v_pk_fma_f32 v[8:9], v[10:11], v[106:107], v[8:9] op_sel:[0,0,1] op_sel_hi:[1,0,0]
	s_waitcnt vmcnt(7)
	v_mov_b32_e32 v8, v109
	v_mov_b32_e32 v21, v9
	v_pk_mul_f32 v[8:9], v[12:13], v[8:9] op_sel_hi:[1,0]
	s_waitcnt vmcnt(6)
	v_pk_fma_f32 v[10:11], v[12:13], v[108:109], v[8:9] op_sel:[0,0,1] op_sel_hi:[1,1,0] neg_lo:[0,0,1] neg_hi:[0,0,1]
	v_pk_fma_f32 v[8:9], v[12:13], v[108:109], v[8:9] op_sel:[0,0,1] op_sel_hi:[1,0,0]
	v_pk_add_f32 v[6:7], v[6:7], v[94:95]
	s_waitcnt vmcnt(5)
	v_mov_b32_e32 v8, v111
	v_pk_add_f32 v[6:7], v[6:7], v[20:21]
	v_mov_b32_e32 v11, v9
	s_waitcnt lgkmcnt(1)
	v_pk_mul_f32 v[8:9], v[14:15], v[8:9] op_sel_hi:[1,0]
	v_pk_add_f32 v[6:7], v[6:7], v[10:11]
	s_waitcnt vmcnt(4)
	v_pk_fma_f32 v[10:11], v[14:15], v[110:111], v[8:9] op_sel:[0,0,1] op_sel_hi:[1,1,0] neg_lo:[0,0,1] neg_hi:[0,0,1]
	v_pk_fma_f32 v[8:9], v[14:15], v[110:111], v[8:9] op_sel:[0,0,1] op_sel_hi:[1,0,0]
	s_waitcnt vmcnt(3)
	v_mov_b32_e32 v8, v113
	v_mov_b32_e32 v11, v9
	v_pk_mul_f32 v[8:9], v[16:17], v[8:9] op_sel_hi:[1,0]
	v_pk_add_f32 v[6:7], v[6:7], v[10:11]
	s_waitcnt vmcnt(2)
	v_pk_fma_f32 v[10:11], v[16:17], v[112:113], v[8:9] op_sel:[0,0,1] op_sel_hi:[1,1,0] neg_lo:[0,0,1] neg_hi:[0,0,1]
	v_pk_fma_f32 v[8:9], v[16:17], v[112:113], v[8:9] op_sel:[0,0,1] op_sel_hi:[1,0,0]
	s_waitcnt vmcnt(1)
	v_mov_b32_e32 v8, v115
	v_mov_b32_e32 v11, v9
	s_waitcnt lgkmcnt(0)
	v_pk_mul_f32 v[8:9], v[18:19], v[8:9] op_sel_hi:[1,0]
	v_pk_add_f32 v[6:7], v[6:7], v[10:11]
	s_waitcnt vmcnt(0)
	v_pk_fma_f32 v[10:11], v[18:19], v[114:115], v[8:9] op_sel:[0,0,1] op_sel_hi:[1,1,0] neg_lo:[0,0,1] neg_hi:[0,0,1]
	v_pk_fma_f32 v[8:9], v[18:19], v[114:115], v[8:9] op_sel:[0,0,1] op_sel_hi:[1,0,0]
	v_mov_b32_e32 v11, v9
	v_pk_add_f32 v[6:7], v[6:7], v[10:11]
	v_pk_add_f32 v[2:3], v[2:3], v[6:7] neg_lo:[0,1] neg_hi:[0,1]
	buffer_store_dword v3, off, s[0:3], 0 offset:164
	buffer_store_dword v2, off, s[0:3], 0 offset:160
	s_and_saveexec_b64 s[4:5], vcc
	s_cbranch_execz .LBB99_191
; %bb.190:
	buffer_load_dword v2, off, s[0:3], 0 offset:152
	buffer_load_dword v3, off, s[0:3], 0 offset:156
	s_waitcnt vmcnt(0)
	ds_write_b64 v1, v[2:3]
	buffer_store_dword v4, off, s[0:3], 0 offset:152
	buffer_store_dword v4, off, s[0:3], 0 offset:156
.LBB99_191:
	s_or_b64 exec, exec, s[4:5]
	s_waitcnt lgkmcnt(0)
	; wave barrier
	s_waitcnt lgkmcnt(0)
	buffer_load_dword v124, off, s[0:3], 0 offset:164
	buffer_load_dword v126, off, s[0:3], 0 offset:172
	;; [unrolled: 1-line block ×32, first 2 shown]
	ds_read_b128 v[6:9], v4 offset:448
	ds_read_b128 v[10:13], v4 offset:464
	;; [unrolled: 1-line block ×4, first 2 shown]
	buffer_load_dword v123, off, s[0:3], 0 offset:284
	buffer_load_dword v122, off, s[0:3], 0 offset:280
	ds_read_b128 v[94:97], v4 offset:512
	ds_read_b128 v[98:101], v4 offset:528
	;; [unrolled: 1-line block ×4, first 2 shown]
	v_cmp_lt_u32_e32 vcc, 18, v0
	s_waitcnt vmcnt(33) lgkmcnt(7)
	v_mul_f32_e32 v142, v6, v124
	v_mul_f32_e32 v124, v7, v124
	s_waitcnt vmcnt(32)
	v_mul_f32_e32 v143, v8, v126
	s_waitcnt vmcnt(30) lgkmcnt(6)
	v_mul_f32_e32 v145, v12, v129
	v_mul_f32_e32 v126, v9, v126
	;; [unrolled: 1-line block ×5, first 2 shown]
	s_waitcnt vmcnt(25)
	v_fmac_f32_e32 v142, v7, v134
	v_fma_f32 v6, v6, v134, -v124
	s_waitcnt vmcnt(24)
	v_fmac_f32_e32 v143, v9, v135
	v_fma_f32 v7, v8, v135, -v126
	s_waitcnt vmcnt(22)
	v_fma_f32 v9, v12, v137, -v129
	v_add_f32_e32 v12, 0, v142
	v_add_f32_e32 v6, 0, v6
	v_fmac_f32_e32 v144, v11, v136
	v_fma_f32 v8, v10, v136, -v128
	v_add_f32_e32 v12, v12, v143
	v_add_f32_e32 v6, v6, v7
	s_waitcnt lgkmcnt(5)
	v_mul_f32_e32 v146, v14, v130
	v_mul_f32_e32 v130, v15, v130
	v_fmac_f32_e32 v145, v13, v137
	v_add_f32_e32 v7, v12, v144
	v_add_f32_e32 v6, v6, v8
	v_mul_f32_e32 v147, v16, v131
	v_mul_f32_e32 v131, v17, v131
	s_waitcnt vmcnt(21)
	v_fmac_f32_e32 v146, v15, v138
	v_fma_f32 v10, v14, v138, -v130
	v_add_f32_e32 v7, v7, v145
	v_add_f32_e32 v6, v6, v9
	s_waitcnt vmcnt(17)
	v_mov_b32_e32 v8, v107
	s_waitcnt lgkmcnt(4)
	v_mul_f32_e32 v125, v18, v132
	v_mul_f32_e32 v132, v19, v132
	v_fmac_f32_e32 v147, v17, v139
	v_fma_f32 v11, v16, v139, -v131
	v_add_f32_e32 v7, v7, v146
	v_add_f32_e32 v6, v6, v10
	s_waitcnt lgkmcnt(3)
	v_pk_mul_f32 v[8:9], v[94:95], v[8:9] op_sel_hi:[1,0]
	v_mul_f32_e32 v127, v20, v133
	v_mul_f32_e32 v133, v21, v133
	v_fmac_f32_e32 v125, v19, v140
	v_fma_f32 v124, v18, v140, -v132
	v_add_f32_e32 v7, v7, v147
	v_add_f32_e32 v6, v6, v11
	s_waitcnt vmcnt(14)
	v_pk_fma_f32 v[10:11], v[94:95], v[106:107], v[8:9] op_sel:[0,0,1] op_sel_hi:[1,1,0] neg_lo:[0,0,1] neg_hi:[0,0,1]
	v_pk_fma_f32 v[8:9], v[94:95], v[106:107], v[8:9] op_sel:[0,0,1] op_sel_hi:[1,0,0]
	v_fmac_f32_e32 v127, v21, v141
	v_fma_f32 v126, v20, v141, -v133
	v_pk_add_f32 v[6:7], v[6:7], v[124:125]
	s_waitcnt vmcnt(13)
	v_mov_b32_e32 v8, v111
	v_pk_add_f32 v[6:7], v[6:7], v[126:127]
	v_mov_b32_e32 v11, v9
	v_pk_mul_f32 v[8:9], v[96:97], v[8:9] op_sel_hi:[1,0]
	v_pk_add_f32 v[6:7], v[6:7], v[10:11]
	v_pk_fma_f32 v[10:11], v[96:97], v[110:111], v[8:9] op_sel:[0,0,1] op_sel_hi:[1,1,0] neg_lo:[0,0,1] neg_hi:[0,0,1]
	v_pk_fma_f32 v[8:9], v[96:97], v[110:111], v[8:9] op_sel:[0,0,1] op_sel_hi:[1,0,0]
	s_waitcnt vmcnt(12)
	v_mov_b32_e32 v8, v109
	v_mov_b32_e32 v11, v9
	s_waitcnt lgkmcnt(2)
	v_pk_mul_f32 v[8:9], v[98:99], v[8:9] op_sel_hi:[1,0]
	v_pk_add_f32 v[6:7], v[6:7], v[10:11]
	v_pk_fma_f32 v[10:11], v[98:99], v[108:109], v[8:9] op_sel:[0,0,1] op_sel_hi:[1,1,0] neg_lo:[0,0,1] neg_hi:[0,0,1]
	v_pk_fma_f32 v[8:9], v[98:99], v[108:109], v[8:9] op_sel:[0,0,1] op_sel_hi:[1,0,0]
	s_waitcnt vmcnt(11)
	v_mov_b32_e32 v8, v113
	v_mov_b32_e32 v11, v9
	v_pk_mul_f32 v[8:9], v[100:101], v[8:9] op_sel_hi:[1,0]
	v_pk_add_f32 v[6:7], v[6:7], v[10:11]
	s_waitcnt vmcnt(5)
	v_pk_fma_f32 v[10:11], v[100:101], v[112:113], v[8:9] op_sel:[0,0,1] op_sel_hi:[1,1,0] neg_lo:[0,0,1] neg_hi:[0,0,1]
	v_pk_fma_f32 v[8:9], v[100:101], v[112:113], v[8:9] op_sel:[0,0,1] op_sel_hi:[1,0,0]
	v_mov_b32_e32 v8, v119
	v_mov_b32_e32 v11, v9
	s_waitcnt lgkmcnt(1)
	v_pk_mul_f32 v[8:9], v[102:103], v[8:9] op_sel_hi:[1,0]
	v_pk_add_f32 v[6:7], v[6:7], v[10:11]
	v_pk_fma_f32 v[10:11], v[102:103], v[118:119], v[8:9] op_sel:[0,0,1] op_sel_hi:[1,1,0] neg_lo:[0,0,1] neg_hi:[0,0,1]
	v_pk_fma_f32 v[8:9], v[102:103], v[118:119], v[8:9] op_sel:[0,0,1] op_sel_hi:[1,0,0]
	v_mov_b32_e32 v8, v117
	v_mov_b32_e32 v11, v9
	v_pk_mul_f32 v[8:9], v[104:105], v[8:9] op_sel_hi:[1,0]
	v_pk_add_f32 v[6:7], v[6:7], v[10:11]
	v_pk_fma_f32 v[10:11], v[104:105], v[116:117], v[8:9] op_sel:[0,0,1] op_sel_hi:[1,1,0] neg_lo:[0,0,1] neg_hi:[0,0,1]
	v_pk_fma_f32 v[8:9], v[104:105], v[116:117], v[8:9] op_sel:[0,0,1] op_sel_hi:[1,0,0]
	s_waitcnt vmcnt(2)
	v_mov_b32_e32 v8, v115
	v_mov_b32_e32 v11, v9
	s_waitcnt lgkmcnt(0)
	v_pk_mul_f32 v[8:9], v[2:3], v[8:9] op_sel_hi:[1,0]
	v_pk_add_f32 v[6:7], v[6:7], v[10:11]
	v_pk_fma_f32 v[10:11], v[2:3], v[114:115], v[8:9] op_sel:[0,0,1] op_sel_hi:[1,1,0] neg_lo:[0,0,1] neg_hi:[0,0,1]
	v_pk_fma_f32 v[2:3], v[2:3], v[114:115], v[8:9] op_sel:[0,0,1] op_sel_hi:[1,0,0]
	v_mov_b32_e32 v11, v3
	v_pk_add_f32 v[2:3], v[6:7], v[10:11]
	s_waitcnt vmcnt(1)
	v_mov_b32_e32 v6, v123
	v_pk_mul_f32 v[6:7], v[4:5], v[6:7] op_sel_hi:[1,0]
	s_waitcnt vmcnt(0)
	v_pk_fma_f32 v[8:9], v[4:5], v[122:123], v[6:7] op_sel:[0,0,1] op_sel_hi:[1,1,0] neg_lo:[0,0,1] neg_hi:[0,0,1]
	v_pk_fma_f32 v[4:5], v[4:5], v[122:123], v[6:7] op_sel:[0,0,1] op_sel_hi:[1,0,0]
	v_mov_b32_e32 v9, v5
	v_pk_add_f32 v[2:3], v[2:3], v[8:9]
	v_pk_add_f32 v[2:3], v[120:121], v[2:3] neg_lo:[0,1] neg_hi:[0,1]
	buffer_store_dword v3, off, s[0:3], 0 offset:156
	buffer_store_dword v2, off, s[0:3], 0 offset:152
	s_and_saveexec_b64 s[4:5], vcc
	s_cbranch_execz .LBB99_193
; %bb.192:
	buffer_load_dword v2, off, s[0:3], 0 offset:144
	buffer_load_dword v3, off, s[0:3], 0 offset:148
	v_mov_b32_e32 v4, 0
	buffer_store_dword v4, off, s[0:3], 0 offset:144
	buffer_store_dword v4, off, s[0:3], 0 offset:148
	s_waitcnt vmcnt(2)
	ds_write_b64 v1, v[2:3]
.LBB99_193:
	s_or_b64 exec, exec, s[4:5]
	s_waitcnt lgkmcnt(0)
	; wave barrier
	s_waitcnt lgkmcnt(0)
	buffer_load_dword v3, off, s[0:3], 0 offset:156
	buffer_load_dword v118, off, s[0:3], 0 offset:164
	;; [unrolled: 1-line block ×36, first 2 shown]
	v_mov_b32_e32 v2, 0
	ds_read2_b64 v[4:7], v2 offset0:55 offset1:56
	ds_read2_b64 v[8:11], v2 offset0:57 offset1:58
	;; [unrolled: 1-line block ×6, first 2 shown]
	v_cmp_lt_u32_e32 vcc, 17, v0
	s_waitcnt vmcnt(35) lgkmcnt(5)
	v_mul_f32_e32 v137, v4, v3
	s_waitcnt vmcnt(34)
	v_mul_f32_e32 v138, v6, v118
	s_waitcnt vmcnt(33) lgkmcnt(4)
	v_mul_f32_e32 v139, v8, v120
	v_mul_f32_e32 v3, v5, v3
	v_mul_f32_e32 v118, v7, v118
	v_mul_f32_e32 v120, v9, v120
	s_waitcnt vmcnt(32)
	v_mul_f32_e32 v140, v10, v122
	s_waitcnt vmcnt(31) lgkmcnt(3)
	v_mul_f32_e32 v141, v12, v123
	v_mul_f32_e32 v122, v11, v122
	s_waitcnt vmcnt(26)
	v_fmac_f32_e32 v137, v5, v128
	s_waitcnt vmcnt(25)
	v_fmac_f32_e32 v138, v7, v129
	s_waitcnt vmcnt(24)
	v_fmac_f32_e32 v139, v9, v130
	v_fma_f32 v3, v4, v128, -v3
	v_add_f32_e32 v9, 0, v137
	v_fma_f32 v4, v6, v129, -v118
	v_add_f32_e32 v3, 0, v3
	v_add_f32_e32 v9, v9, v138
	s_waitcnt vmcnt(23)
	v_fmac_f32_e32 v140, v11, v131
	v_fma_f32 v5, v8, v130, -v120
	v_add_f32_e32 v3, v3, v4
	v_add_f32_e32 v4, v9, v139
	v_mul_f32_e32 v142, v14, v124
	v_mul_f32_e32 v123, v13, v123
	s_waitcnt vmcnt(22)
	v_fmac_f32_e32 v141, v13, v132
	v_fma_f32 v6, v10, v131, -v122
	v_add_f32_e32 v3, v3, v5
	v_add_f32_e32 v4, v4, v140
	s_waitcnt lgkmcnt(2)
	v_mul_f32_e32 v143, v16, v125
	v_mul_f32_e32 v124, v15, v124
	s_waitcnt vmcnt(21)
	v_fmac_f32_e32 v142, v15, v133
	v_fma_f32 v7, v12, v132, -v123
	v_add_f32_e32 v3, v3, v6
	v_add_f32_e32 v4, v4, v141
	v_mul_f32_e32 v125, v17, v125
	s_waitcnt vmcnt(20)
	v_fmac_f32_e32 v143, v17, v134
	v_fma_f32 v8, v14, v133, -v124
	v_add_f32_e32 v3, v3, v7
	v_add_f32_e32 v4, v4, v142
	;; [unrolled: 1-line block ×4, first 2 shown]
	v_fma_f32 v4, v16, v134, -v125
	s_waitcnt vmcnt(17)
	v_mov_b32_e32 v16, v21
	v_mul_f32_e32 v119, v18, v126
	v_add_f32_e32 v12, v3, v4
	v_mul_f32_e32 v3, v19, v126
	s_waitcnt lgkmcnt(1)
	v_pk_mul_f32 v[16:17], v[96:97], v[16:17] op_sel_hi:[1,0]
	v_mul_f32_e32 v121, v94, v127
	v_fmac_f32_e32 v119, v19, v135
	v_fma_f32 v118, v18, v135, -v3
	v_mul_f32_e32 v3, v95, v127
	s_waitcnt vmcnt(15)
	v_pk_fma_f32 v[18:19], v[96:97], v[20:21], v[16:17] op_sel:[0,0,1] op_sel_hi:[1,1,0] neg_lo:[0,0,1] neg_hi:[0,0,1]
	v_pk_fma_f32 v[16:17], v[96:97], v[20:21], v[16:17] op_sel:[0,0,1] op_sel_hi:[1,0,0]
	v_fmac_f32_e32 v121, v95, v136
	v_fma_f32 v120, v94, v136, -v3
	v_pk_add_f32 v[12:13], v[12:13], v[118:119]
	s_waitcnt vmcnt(12)
	v_mov_b32_e32 v16, v103
	v_pk_add_f32 v[12:13], v[12:13], v[120:121]
	v_mov_b32_e32 v19, v17
	s_waitcnt lgkmcnt(0)
	v_pk_mul_f32 v[16:17], v[98:99], v[16:17] op_sel_hi:[1,0]
	v_pk_add_f32 v[12:13], v[12:13], v[18:19]
	v_pk_fma_f32 v[18:19], v[98:99], v[102:103], v[16:17] op_sel:[0,0,1] op_sel_hi:[1,1,0] neg_lo:[0,0,1] neg_hi:[0,0,1]
	v_pk_fma_f32 v[16:17], v[98:99], v[102:103], v[16:17] op_sel:[0,0,1] op_sel_hi:[1,0,0]
	s_waitcnt vmcnt(11)
	v_mov_b32_e32 v16, v107
	ds_read2_b64 v[4:7], v2 offset0:67 offset1:68
	ds_read2_b64 v[8:11], v2 offset0:69 offset1:70
	ds_read_b64 v[14:15], v2 offset:568
	v_mov_b32_e32 v19, v17
	v_pk_mul_f32 v[16:17], v[100:101], v[16:17] op_sel_hi:[1,0]
	v_pk_add_f32 v[12:13], v[12:13], v[18:19]
	s_waitcnt vmcnt(4)
	v_pk_fma_f32 v[18:19], v[100:101], v[106:107], v[16:17] op_sel:[0,0,1] op_sel_hi:[1,1,0] neg_lo:[0,0,1] neg_hi:[0,0,1]
	v_pk_fma_f32 v[16:17], v[100:101], v[106:107], v[16:17] op_sel:[0,0,1] op_sel_hi:[1,0,0]
	v_mov_b32_e32 v16, v113
	v_mov_b32_e32 v19, v17
	s_waitcnt lgkmcnt(2)
	v_pk_mul_f32 v[16:17], v[4:5], v[16:17] op_sel_hi:[1,0]
	v_pk_add_f32 v[12:13], v[12:13], v[18:19]
	v_pk_fma_f32 v[18:19], v[4:5], v[112:113], v[16:17] op_sel:[0,0,1] op_sel_hi:[1,1,0] neg_lo:[0,0,1] neg_hi:[0,0,1]
	v_pk_fma_f32 v[4:5], v[4:5], v[112:113], v[16:17] op_sel:[0,0,1] op_sel_hi:[1,0,0]
	v_mov_b32_e32 v19, v5
	v_pk_add_f32 v[4:5], v[12:13], v[18:19]
	v_mov_b32_e32 v12, v111
	v_pk_mul_f32 v[12:13], v[6:7], v[12:13] op_sel_hi:[1,0]
	v_pk_fma_f32 v[16:17], v[6:7], v[110:111], v[12:13] op_sel:[0,0,1] op_sel_hi:[1,1,0] neg_lo:[0,0,1] neg_hi:[0,0,1]
	v_pk_fma_f32 v[6:7], v[6:7], v[110:111], v[12:13] op_sel:[0,0,1] op_sel_hi:[1,0,0]
	v_mov_b32_e32 v6, v109
	v_mov_b32_e32 v17, v7
	s_waitcnt lgkmcnt(1)
	v_pk_mul_f32 v[6:7], v[8:9], v[6:7] op_sel_hi:[1,0]
	v_pk_fma_f32 v[12:13], v[8:9], v[108:109], v[6:7] op_sel:[0,0,1] op_sel_hi:[1,1,0] neg_lo:[0,0,1] neg_hi:[0,0,1]
	v_pk_fma_f32 v[6:7], v[8:9], v[108:109], v[6:7] op_sel:[0,0,1] op_sel_hi:[1,0,0]
	s_waitcnt vmcnt(1)
	v_mov_b32_e32 v6, v117
	v_mov_b32_e32 v13, v7
	v_pk_mul_f32 v[6:7], v[10:11], v[6:7] op_sel_hi:[1,0]
	s_waitcnt vmcnt(0)
	v_pk_fma_f32 v[8:9], v[10:11], v[116:117], v[6:7] op_sel:[0,0,1] op_sel_hi:[1,1,0] neg_lo:[0,0,1] neg_hi:[0,0,1]
	v_pk_fma_f32 v[6:7], v[10:11], v[116:117], v[6:7] op_sel:[0,0,1] op_sel_hi:[1,0,0]
	v_pk_add_f32 v[4:5], v[4:5], v[16:17]
	v_mov_b32_e32 v6, v115
	v_pk_add_f32 v[4:5], v[4:5], v[12:13]
	v_mov_b32_e32 v9, v7
	s_waitcnt lgkmcnt(0)
	v_pk_mul_f32 v[6:7], v[14:15], v[6:7] op_sel_hi:[1,0]
	v_pk_add_f32 v[4:5], v[4:5], v[8:9]
	v_pk_fma_f32 v[8:9], v[14:15], v[114:115], v[6:7] op_sel:[0,0,1] op_sel_hi:[1,1,0] neg_lo:[0,0,1] neg_hi:[0,0,1]
	v_pk_fma_f32 v[6:7], v[14:15], v[114:115], v[6:7] op_sel:[0,0,1] op_sel_hi:[1,0,0]
	v_mov_b32_e32 v9, v7
	v_pk_add_f32 v[4:5], v[4:5], v[8:9]
	v_pk_add_f32 v[4:5], v[104:105], v[4:5] neg_lo:[0,1] neg_hi:[0,1]
	buffer_store_dword v5, off, s[0:3], 0 offset:148
	buffer_store_dword v4, off, s[0:3], 0 offset:144
	s_and_saveexec_b64 s[4:5], vcc
	s_cbranch_execz .LBB99_195
; %bb.194:
	buffer_load_dword v4, off, s[0:3], 0 offset:136
	buffer_load_dword v5, off, s[0:3], 0 offset:140
	s_waitcnt vmcnt(0)
	ds_write_b64 v1, v[4:5]
	buffer_store_dword v2, off, s[0:3], 0 offset:136
	buffer_store_dword v2, off, s[0:3], 0 offset:140
.LBB99_195:
	s_or_b64 exec, exec, s[4:5]
	s_waitcnt lgkmcnt(0)
	; wave barrier
	s_waitcnt lgkmcnt(0)
	buffer_load_dword v3, off, s[0:3], 0 offset:148
	buffer_load_dword v118, off, s[0:3], 0 offset:156
	;; [unrolled: 1-line block ×22, first 2 shown]
	ds_read_b128 v[4:7], v2 offset:432
	ds_read_b128 v[8:11], v2 offset:448
	buffer_load_dword v103, off, s[0:3], 0 offset:228
	buffer_load_dword v102, off, s[0:3], 0 offset:224
	;; [unrolled: 1-line block ×10, first 2 shown]
	ds_read_b128 v[12:15], v2 offset:464
	ds_read_b128 v[16:19], v2 offset:480
	;; [unrolled: 1-line block ×4, first 2 shown]
	buffer_load_dword v113, off, s[0:3], 0 offset:284
	buffer_load_dword v112, off, s[0:3], 0 offset:280
	;; [unrolled: 1-line block ×6, first 2 shown]
	v_cmp_lt_u32_e32 vcc, 16, v0
	s_waitcnt vmcnt(37) lgkmcnt(5)
	v_mul_f32_e32 v139, v4, v3
	s_waitcnt vmcnt(36)
	v_mul_f32_e32 v140, v6, v118
	s_waitcnt vmcnt(35) lgkmcnt(4)
	v_mul_f32_e32 v141, v8, v120
	v_mul_f32_e32 v3, v5, v3
	;; [unrolled: 1-line block ×4, first 2 shown]
	s_waitcnt vmcnt(34)
	v_mul_f32_e32 v142, v10, v122
	s_waitcnt vmcnt(33) lgkmcnt(3)
	v_mul_f32_e32 v143, v12, v123
	s_waitcnt vmcnt(32)
	v_mul_f32_e32 v144, v14, v124
	s_waitcnt vmcnt(31) lgkmcnt(2)
	v_mul_f32_e32 v145, v16, v125
	s_waitcnt vmcnt(27)
	v_fmac_f32_e32 v139, v5, v129
	s_waitcnt vmcnt(26)
	v_fmac_f32_e32 v140, v7, v130
	v_fma_f32 v3, v4, v129, -v3
	s_waitcnt vmcnt(25)
	v_fma_f32 v5, v8, v131, -v120
	v_add_f32_e32 v8, 0, v139
	v_fmac_f32_e32 v141, v9, v131
	v_fma_f32 v4, v6, v130, -v118
	v_add_f32_e32 v3, 0, v3
	v_add_f32_e32 v8, v8, v140
	s_waitcnt vmcnt(24)
	v_fmac_f32_e32 v142, v11, v132
	v_add_f32_e32 v3, v3, v4
	v_add_f32_e32 v4, v8, v141
	s_waitcnt vmcnt(23)
	v_fmac_f32_e32 v143, v13, v133
	v_add_f32_e32 v4, v4, v142
	v_mul_f32_e32 v122, v11, v122
	s_waitcnt vmcnt(22)
	v_fmac_f32_e32 v144, v15, v134
	v_add_f32_e32 v4, v4, v143
	v_mul_f32_e32 v146, v18, v126
	v_mul_f32_e32 v123, v13, v123
	s_waitcnt vmcnt(21)
	v_fmac_f32_e32 v145, v17, v135
	v_fma_f32 v6, v10, v132, -v122
	v_add_f32_e32 v3, v3, v5
	v_add_f32_e32 v4, v4, v144
	v_mul_f32_e32 v124, v15, v124
	s_waitcnt vmcnt(20)
	v_fmac_f32_e32 v146, v19, v136
	v_fma_f32 v7, v12, v133, -v123
	v_add_f32_e32 v3, v3, v6
	v_add_f32_e32 v4, v4, v145
	;; [unrolled: 1-line block ×4, first 2 shown]
	v_fma_f32 v4, v14, v134, -v124
	v_add_f32_e32 v3, v3, v4
	v_mul_f32_e32 v4, v17, v125
	v_fma_f32 v4, v16, v135, -v4
	v_add_f32_e32 v3, v3, v4
	v_mul_f32_e32 v4, v19, v126
	v_fma_f32 v4, v18, v136, -v4
	s_waitcnt vmcnt(15)
	v_mov_b32_e32 v16, v103
	s_waitcnt lgkmcnt(1)
	v_mul_f32_e32 v119, v94, v127
	v_add_f32_e32 v122, v3, v4
	v_mul_f32_e32 v3, v95, v127
	s_waitcnt lgkmcnt(0)
	v_pk_mul_f32 v[16:17], v[98:99], v[16:17] op_sel_hi:[1,0]
	v_mul_f32_e32 v121, v96, v128
	v_fmac_f32_e32 v119, v95, v137
	v_fma_f32 v118, v94, v137, -v3
	v_mul_f32_e32 v3, v97, v128
	s_waitcnt vmcnt(14)
	v_pk_fma_f32 v[18:19], v[98:99], v[102:103], v[16:17] op_sel:[0,0,1] op_sel_hi:[1,1,0] neg_lo:[0,0,1] neg_hi:[0,0,1]
	v_pk_fma_f32 v[16:17], v[98:99], v[102:103], v[16:17] op_sel:[0,0,1] op_sel_hi:[1,0,0]
	v_fmac_f32_e32 v121, v97, v138
	v_fma_f32 v120, v96, v138, -v3
	ds_read_b128 v[4:7], v2 offset:528
	ds_read_b128 v[8:11], v2 offset:544
	;; [unrolled: 1-line block ×3, first 2 shown]
	v_pk_add_f32 v[2:3], v[122:123], v[118:119]
	s_waitcnt vmcnt(13)
	v_mov_b32_e32 v16, v105
	v_pk_add_f32 v[2:3], v[2:3], v[120:121]
	v_mov_b32_e32 v19, v17
	v_pk_mul_f32 v[16:17], v[100:101], v[16:17] op_sel_hi:[1,0]
	v_pk_add_f32 v[2:3], v[2:3], v[18:19]
	s_waitcnt vmcnt(6)
	v_pk_fma_f32 v[18:19], v[100:101], v[104:105], v[16:17] op_sel:[0,0,1] op_sel_hi:[1,1,0] neg_lo:[0,0,1] neg_hi:[0,0,1]
	v_pk_fma_f32 v[16:17], v[100:101], v[104:105], v[16:17] op_sel:[0,0,1] op_sel_hi:[1,0,0]
	v_mov_b32_e32 v16, v111
	v_mov_b32_e32 v19, v17
	s_waitcnt lgkmcnt(2)
	v_pk_mul_f32 v[16:17], v[4:5], v[16:17] op_sel_hi:[1,0]
	v_pk_add_f32 v[2:3], v[2:3], v[18:19]
	v_pk_fma_f32 v[18:19], v[4:5], v[110:111], v[16:17] op_sel:[0,0,1] op_sel_hi:[1,1,0] neg_lo:[0,0,1] neg_hi:[0,0,1]
	v_pk_fma_f32 v[4:5], v[4:5], v[110:111], v[16:17] op_sel:[0,0,1] op_sel_hi:[1,0,0]
	v_mov_b32_e32 v4, v109
	v_mov_b32_e32 v19, v5
	v_pk_mul_f32 v[4:5], v[6:7], v[4:5] op_sel_hi:[1,0]
	v_pk_fma_f32 v[16:17], v[6:7], v[108:109], v[4:5] op_sel:[0,0,1] op_sel_hi:[1,1,0] neg_lo:[0,0,1] neg_hi:[0,0,1]
	v_pk_fma_f32 v[4:5], v[6:7], v[108:109], v[4:5] op_sel:[0,0,1] op_sel_hi:[1,0,0]
	v_mov_b32_e32 v4, v107
	v_mov_b32_e32 v17, v5
	s_waitcnt lgkmcnt(1)
	v_pk_mul_f32 v[4:5], v[8:9], v[4:5] op_sel_hi:[1,0]
	v_pk_fma_f32 v[6:7], v[8:9], v[106:107], v[4:5] op_sel:[0,0,1] op_sel_hi:[1,1,0] neg_lo:[0,0,1] neg_hi:[0,0,1]
	v_pk_fma_f32 v[4:5], v[8:9], v[106:107], v[4:5] op_sel:[0,0,1] op_sel_hi:[1,0,0]
	v_pk_add_f32 v[2:3], v[2:3], v[18:19]
	s_waitcnt vmcnt(1)
	v_mov_b32_e32 v4, v117
	v_pk_add_f32 v[2:3], v[2:3], v[16:17]
	v_mov_b32_e32 v7, v5
	v_pk_mul_f32 v[4:5], v[10:11], v[4:5] op_sel_hi:[1,0]
	v_pk_add_f32 v[2:3], v[2:3], v[6:7]
	s_waitcnt vmcnt(0)
	v_pk_fma_f32 v[6:7], v[10:11], v[116:117], v[4:5] op_sel:[0,0,1] op_sel_hi:[1,1,0] neg_lo:[0,0,1] neg_hi:[0,0,1]
	v_pk_fma_f32 v[4:5], v[10:11], v[116:117], v[4:5] op_sel:[0,0,1] op_sel_hi:[1,0,0]
	v_mov_b32_e32 v4, v115
	v_mov_b32_e32 v7, v5
	s_waitcnt lgkmcnt(0)
	v_pk_mul_f32 v[4:5], v[12:13], v[4:5] op_sel_hi:[1,0]
	v_pk_add_f32 v[2:3], v[2:3], v[6:7]
	v_pk_fma_f32 v[6:7], v[12:13], v[114:115], v[4:5] op_sel:[0,0,1] op_sel_hi:[1,1,0] neg_lo:[0,0,1] neg_hi:[0,0,1]
	v_pk_fma_f32 v[4:5], v[12:13], v[114:115], v[4:5] op_sel:[0,0,1] op_sel_hi:[1,0,0]
	v_mov_b32_e32 v4, v113
	v_mov_b32_e32 v7, v5
	v_pk_mul_f32 v[4:5], v[14:15], v[4:5] op_sel_hi:[1,0]
	v_pk_add_f32 v[2:3], v[2:3], v[6:7]
	v_pk_fma_f32 v[6:7], v[14:15], v[112:113], v[4:5] op_sel:[0,0,1] op_sel_hi:[1,1,0] neg_lo:[0,0,1] neg_hi:[0,0,1]
	v_pk_fma_f32 v[4:5], v[14:15], v[112:113], v[4:5] op_sel:[0,0,1] op_sel_hi:[1,0,0]
	v_mov_b32_e32 v7, v5
	v_pk_add_f32 v[2:3], v[2:3], v[6:7]
	v_pk_add_f32 v[2:3], v[20:21], v[2:3] neg_lo:[0,1] neg_hi:[0,1]
	buffer_store_dword v3, off, s[0:3], 0 offset:140
	buffer_store_dword v2, off, s[0:3], 0 offset:136
	s_and_saveexec_b64 s[4:5], vcc
	s_cbranch_execz .LBB99_197
; %bb.196:
	buffer_load_dword v2, off, s[0:3], 0 offset:128
	buffer_load_dword v3, off, s[0:3], 0 offset:132
	v_mov_b32_e32 v4, 0
	buffer_store_dword v4, off, s[0:3], 0 offset:128
	buffer_store_dword v4, off, s[0:3], 0 offset:132
	s_waitcnt vmcnt(2)
	ds_write_b64 v1, v[2:3]
.LBB99_197:
	s_or_b64 exec, exec, s[4:5]
	s_waitcnt lgkmcnt(0)
	; wave barrier
	s_waitcnt lgkmcnt(0)
	buffer_load_dword v3, off, s[0:3], 0 offset:140
	buffer_load_dword v118, off, s[0:3], 0 offset:148
	;; [unrolled: 1-line block ×40, first 2 shown]
	v_mov_b32_e32 v2, 0
	ds_read2_b64 v[4:7], v2 offset0:53 offset1:54
	ds_read2_b64 v[8:11], v2 offset0:55 offset1:56
	;; [unrolled: 1-line block ×6, first 2 shown]
	v_cmp_lt_u32_e32 vcc, 15, v0
	s_waitcnt vmcnt(39) lgkmcnt(5)
	v_mul_f32_e32 v141, v4, v3
	s_waitcnt vmcnt(38)
	v_mul_f32_e32 v142, v6, v118
	v_mul_f32_e32 v3, v5, v3
	s_waitcnt vmcnt(37) lgkmcnt(4)
	v_mul_f32_e32 v143, v8, v120
	v_mul_f32_e32 v118, v7, v118
	s_waitcnt vmcnt(36)
	v_mul_f32_e32 v144, v10, v122
	s_waitcnt vmcnt(35) lgkmcnt(3)
	v_mul_f32_e32 v145, v12, v124
	s_waitcnt vmcnt(34)
	v_mul_f32_e32 v146, v14, v125
	s_waitcnt vmcnt(33) lgkmcnt(2)
	;; [unrolled: 4-line block ×3, first 2 shown]
	v_mul_f32_e32 v149, v94, v128
	s_waitcnt vmcnt(28)
	v_fmac_f32_e32 v141, v5, v123
	s_waitcnt vmcnt(27)
	v_fmac_f32_e32 v142, v7, v131
	v_fma_f32 v3, v4, v123, -v3
	v_add_f32_e32 v7, 0, v141
	s_waitcnt vmcnt(26)
	v_fmac_f32_e32 v143, v9, v132
	v_fma_f32 v4, v6, v131, -v118
	v_add_f32_e32 v3, 0, v3
	v_add_f32_e32 v7, v7, v142
	s_waitcnt vmcnt(25)
	v_fmac_f32_e32 v144, v11, v133
	v_add_f32_e32 v3, v3, v4
	v_add_f32_e32 v4, v7, v143
	s_waitcnt vmcnt(24)
	v_fmac_f32_e32 v145, v13, v134
	v_add_f32_e32 v4, v4, v144
	s_waitcnt vmcnt(23)
	v_fmac_f32_e32 v146, v15, v135
	;; [unrolled: 3-line block ×3, first 2 shown]
	v_add_f32_e32 v4, v4, v146
	v_mul_f32_e32 v120, v9, v120
	s_waitcnt vmcnt(21)
	v_fmac_f32_e32 v148, v19, v137
	v_add_f32_e32 v4, v4, v147
	v_mul_f32_e32 v122, v11, v122
	s_waitcnt vmcnt(20)
	v_fmac_f32_e32 v149, v95, v138
	v_fma_f32 v5, v8, v132, -v120
	v_add_f32_e32 v4, v4, v148
	v_fma_f32 v6, v10, v133, -v122
	v_add_f32_e32 v3, v3, v5
	v_add_f32_e32 v123, v4, v149
	v_mul_f32_e32 v4, v13, v124
	v_add_f32_e32 v3, v3, v6
	v_fma_f32 v4, v12, v134, -v4
	v_add_f32_e32 v3, v3, v4
	v_mul_f32_e32 v4, v15, v125
	v_fma_f32 v4, v14, v135, -v4
	v_add_f32_e32 v3, v3, v4
	v_mul_f32_e32 v4, v17, v126
	;; [unrolled: 3-line block ×4, first 2 shown]
	v_fma_f32 v4, v94, v138, -v4
	s_waitcnt vmcnt(9)
	v_mov_b32_e32 v94, v109
	v_mul_f32_e32 v119, v96, v129
	v_add_f32_e32 v122, v3, v4
	v_mul_f32_e32 v3, v97, v129
	s_waitcnt lgkmcnt(0)
	v_pk_mul_f32 v[94:95], v[100:101], v[94:95] op_sel_hi:[1,0]
	v_mul_f32_e32 v121, v98, v130
	v_fmac_f32_e32 v119, v97, v139
	v_fma_f32 v118, v96, v139, -v3
	v_mul_f32_e32 v3, v99, v130
	ds_read2_b64 v[4:7], v2 offset0:65 offset1:66
	ds_read2_b64 v[8:11], v2 offset0:67 offset1:68
	;; [unrolled: 1-line block ×3, first 2 shown]
	ds_read_b64 v[16:17], v2 offset:568
	s_waitcnt vmcnt(8)
	v_pk_fma_f32 v[96:97], v[100:101], v[108:109], v[94:95] op_sel:[0,0,1] op_sel_hi:[1,1,0] neg_lo:[0,0,1] neg_hi:[0,0,1]
	v_pk_fma_f32 v[94:95], v[100:101], v[108:109], v[94:95] op_sel:[0,0,1] op_sel_hi:[1,0,0]
	v_fmac_f32_e32 v121, v99, v140
	v_fma_f32 v120, v98, v140, -v3
	v_pk_add_f32 v[18:19], v[122:123], v[118:119]
	v_mov_b32_e32 v94, v107
	v_pk_add_f32 v[18:19], v[18:19], v[120:121]
	v_mov_b32_e32 v97, v95
	s_waitcnt lgkmcnt(3)
	v_pk_mul_f32 v[94:95], v[4:5], v[94:95] op_sel_hi:[1,0]
	v_pk_add_f32 v[18:19], v[18:19], v[96:97]
	v_pk_fma_f32 v[96:97], v[4:5], v[106:107], v[94:95] op_sel:[0,0,1] op_sel_hi:[1,1,0] neg_lo:[0,0,1] neg_hi:[0,0,1]
	v_pk_fma_f32 v[4:5], v[4:5], v[106:107], v[94:95] op_sel:[0,0,1] op_sel_hi:[1,0,0]
	v_mov_b32_e32 v97, v5
	v_pk_add_f32 v[4:5], v[18:19], v[96:97]
	v_mov_b32_e32 v18, v105
	v_pk_mul_f32 v[18:19], v[6:7], v[18:19] op_sel_hi:[1,0]
	v_pk_fma_f32 v[94:95], v[6:7], v[104:105], v[18:19] op_sel:[0,0,1] op_sel_hi:[1,1,0] neg_lo:[0,0,1] neg_hi:[0,0,1]
	v_pk_fma_f32 v[6:7], v[6:7], v[104:105], v[18:19] op_sel:[0,0,1] op_sel_hi:[1,0,0]
	v_mov_b32_e32 v6, v103
	v_mov_b32_e32 v95, v7
	s_waitcnt lgkmcnt(2)
	v_pk_mul_f32 v[6:7], v[8:9], v[6:7] op_sel_hi:[1,0]
	v_pk_fma_f32 v[18:19], v[8:9], v[102:103], v[6:7] op_sel:[0,0,1] op_sel_hi:[1,1,0] neg_lo:[0,0,1] neg_hi:[0,0,1]
	v_pk_fma_f32 v[6:7], v[8:9], v[102:103], v[6:7] op_sel:[0,0,1] op_sel_hi:[1,0,0]
	s_waitcnt vmcnt(1)
	v_mov_b32_e32 v6, v117
	v_mov_b32_e32 v19, v7
	v_pk_mul_f32 v[6:7], v[10:11], v[6:7] op_sel_hi:[1,0]
	s_waitcnt vmcnt(0)
	v_pk_fma_f32 v[8:9], v[10:11], v[116:117], v[6:7] op_sel:[0,0,1] op_sel_hi:[1,1,0] neg_lo:[0,0,1] neg_hi:[0,0,1]
	v_pk_fma_f32 v[6:7], v[10:11], v[116:117], v[6:7] op_sel:[0,0,1] op_sel_hi:[1,0,0]
	v_pk_add_f32 v[4:5], v[4:5], v[94:95]
	v_mov_b32_e32 v6, v115
	v_pk_add_f32 v[4:5], v[4:5], v[18:19]
	v_mov_b32_e32 v9, v7
	s_waitcnt lgkmcnt(1)
	v_pk_mul_f32 v[6:7], v[12:13], v[6:7] op_sel_hi:[1,0]
	v_pk_add_f32 v[4:5], v[4:5], v[8:9]
	v_pk_fma_f32 v[8:9], v[12:13], v[114:115], v[6:7] op_sel:[0,0,1] op_sel_hi:[1,1,0] neg_lo:[0,0,1] neg_hi:[0,0,1]
	v_pk_fma_f32 v[6:7], v[12:13], v[114:115], v[6:7] op_sel:[0,0,1] op_sel_hi:[1,0,0]
	v_mov_b32_e32 v6, v113
	v_mov_b32_e32 v9, v7
	v_pk_mul_f32 v[6:7], v[14:15], v[6:7] op_sel_hi:[1,0]
	v_pk_add_f32 v[4:5], v[4:5], v[8:9]
	v_pk_fma_f32 v[8:9], v[14:15], v[112:113], v[6:7] op_sel:[0,0,1] op_sel_hi:[1,1,0] neg_lo:[0,0,1] neg_hi:[0,0,1]
	v_pk_fma_f32 v[6:7], v[14:15], v[112:113], v[6:7] op_sel:[0,0,1] op_sel_hi:[1,0,0]
	v_mov_b32_e32 v6, v111
	v_mov_b32_e32 v9, v7
	s_waitcnt lgkmcnt(0)
	v_pk_mul_f32 v[6:7], v[16:17], v[6:7] op_sel_hi:[1,0]
	v_pk_add_f32 v[4:5], v[4:5], v[8:9]
	v_pk_fma_f32 v[8:9], v[16:17], v[110:111], v[6:7] op_sel:[0,0,1] op_sel_hi:[1,1,0] neg_lo:[0,0,1] neg_hi:[0,0,1]
	v_pk_fma_f32 v[6:7], v[16:17], v[110:111], v[6:7] op_sel:[0,0,1] op_sel_hi:[1,0,0]
	v_mov_b32_e32 v9, v7
	v_pk_add_f32 v[4:5], v[4:5], v[8:9]
	v_pk_add_f32 v[4:5], v[20:21], v[4:5] neg_lo:[0,1] neg_hi:[0,1]
	buffer_store_dword v5, off, s[0:3], 0 offset:132
	buffer_store_dword v4, off, s[0:3], 0 offset:128
	s_and_saveexec_b64 s[4:5], vcc
	s_cbranch_execz .LBB99_199
; %bb.198:
	buffer_load_dword v4, off, s[0:3], 0 offset:120
	buffer_load_dword v5, off, s[0:3], 0 offset:124
	s_waitcnt vmcnt(0)
	ds_write_b64 v1, v[4:5]
	buffer_store_dword v2, off, s[0:3], 0 offset:120
	buffer_store_dword v2, off, s[0:3], 0 offset:124
.LBB99_199:
	s_or_b64 exec, exec, s[4:5]
	s_waitcnt lgkmcnt(0)
	; wave barrier
	s_waitcnt lgkmcnt(0)
	buffer_load_dword v3, off, s[0:3], 0 offset:132
	buffer_load_dword v118, off, s[0:3], 0 offset:140
	buffer_load_dword v120, off, s[0:3], 0 offset:148
	buffer_load_dword v122, off, s[0:3], 0 offset:156
	buffer_load_dword v124, off, s[0:3], 0 offset:164
	buffer_load_dword v125, off, s[0:3], 0 offset:172
	buffer_load_dword v126, off, s[0:3], 0 offset:180
	buffer_load_dword v127, off, s[0:3], 0 offset:188
	buffer_load_dword v128, off, s[0:3], 0 offset:196
	buffer_load_dword v129, off, s[0:3], 0 offset:204
	buffer_load_dword v130, off, s[0:3], 0 offset:212
	buffer_load_dword v131, off, s[0:3], 0 offset:220
	buffer_load_dword v123, off, s[0:3], 0 offset:128
	buffer_load_dword v132, off, s[0:3], 0 offset:136
	buffer_load_dword v133, off, s[0:3], 0 offset:144
	buffer_load_dword v134, off, s[0:3], 0 offset:152
	buffer_load_dword v135, off, s[0:3], 0 offset:160
	buffer_load_dword v136, off, s[0:3], 0 offset:168
	buffer_load_dword v137, off, s[0:3], 0 offset:176
	buffer_load_dword v138, off, s[0:3], 0 offset:184
	buffer_load_dword v139, off, s[0:3], 0 offset:192
	buffer_load_dword v140, off, s[0:3], 0 offset:200
	buffer_load_dword v141, off, s[0:3], 0 offset:208
	buffer_load_dword v142, off, s[0:3], 0 offset:216
	buffer_load_dword v20, off, s[0:3], 0 offset:120
	buffer_load_dword v21, off, s[0:3], 0 offset:124
	ds_read_b128 v[4:7], v2 offset:416
	ds_read_b128 v[8:11], v2 offset:432
	;; [unrolled: 1-line block ×6, first 2 shown]
	buffer_load_dword v103, off, s[0:3], 0 offset:244
	buffer_load_dword v102, off, s[0:3], 0 offset:240
	;; [unrolled: 1-line block ×16, first 2 shown]
	v_cmp_lt_u32_e32 vcc, 14, v0
	s_waitcnt vmcnt(41) lgkmcnt(5)
	v_mul_f32_e32 v143, v4, v3
	s_waitcnt vmcnt(40)
	v_mul_f32_e32 v144, v6, v118
	v_mul_f32_e32 v3, v5, v3
	;; [unrolled: 1-line block ×3, first 2 shown]
	s_waitcnt vmcnt(39) lgkmcnt(4)
	v_mul_f32_e32 v145, v8, v120
	s_waitcnt vmcnt(38)
	v_mul_f32_e32 v146, v10, v122
	s_waitcnt vmcnt(37) lgkmcnt(3)
	v_mul_f32_e32 v147, v12, v124
	s_waitcnt vmcnt(36)
	v_mul_f32_e32 v148, v14, v125
	;; [unrolled: 4-line block ×4, first 2 shown]
	s_waitcnt vmcnt(29)
	v_fmac_f32_e32 v143, v5, v123
	s_waitcnt vmcnt(28)
	v_fmac_f32_e32 v144, v7, v132
	v_fma_f32 v3, v4, v123, -v3
	v_fma_f32 v4, v6, v132, -v118
	v_add_f32_e32 v6, 0, v143
	s_waitcnt vmcnt(27)
	v_fmac_f32_e32 v145, v9, v133
	v_add_f32_e32 v3, 0, v3
	v_add_f32_e32 v6, v6, v144
	s_waitcnt vmcnt(26)
	v_fmac_f32_e32 v146, v11, v134
	v_add_f32_e32 v3, v3, v4
	;; [unrolled: 4-line block ×3, first 2 shown]
	s_waitcnt vmcnt(24)
	v_fmac_f32_e32 v148, v15, v136
	v_add_f32_e32 v4, v4, v147
	s_waitcnt vmcnt(23)
	v_fmac_f32_e32 v149, v17, v137
	v_add_f32_e32 v4, v4, v148
	;; [unrolled: 3-line block ×4, first 2 shown]
	v_mul_f32_e32 v120, v9, v120
	s_waitcnt vmcnt(20)
	v_fmac_f32_e32 v152, v97, v140
	v_add_f32_e32 v4, v4, v151
	v_fma_f32 v5, v8, v133, -v120
	v_add_f32_e32 v123, v4, v152
	v_mul_f32_e32 v4, v11, v122
	v_add_f32_e32 v3, v3, v5
	v_fma_f32 v4, v10, v134, -v4
	v_add_f32_e32 v3, v3, v4
	v_mul_f32_e32 v4, v13, v124
	v_fma_f32 v4, v12, v135, -v4
	v_add_f32_e32 v3, v3, v4
	v_mul_f32_e32 v4, v15, v125
	;; [unrolled: 3-line block ×6, first 2 shown]
	v_fma_f32 v4, v96, v140, -v4
	v_add_f32_e32 v122, v3, v4
	ds_read_b128 v[4:7], v2 offset:512
	ds_read_b128 v[8:11], v2 offset:528
	;; [unrolled: 1-line block ×4, first 2 shown]
	s_waitcnt vmcnt(11)
	v_mov_b32_e32 v94, v107
	s_waitcnt lgkmcnt(3)
	v_pk_mul_f32 v[94:95], v[4:5], v[94:95] op_sel_hi:[1,0]
	s_waitcnt vmcnt(10)
	v_pk_fma_f32 v[96:97], v[4:5], v[106:107], v[94:95] op_sel:[0,0,1] op_sel_hi:[1,1,0] neg_lo:[0,0,1] neg_hi:[0,0,1]
	v_pk_fma_f32 v[4:5], v[4:5], v[106:107], v[94:95] op_sel:[0,0,1] op_sel_hi:[1,0,0]
	v_mov_b32_e32 v4, v105
	v_mov_b32_e32 v97, v5
	v_pk_mul_f32 v[4:5], v[6:7], v[4:5] op_sel_hi:[1,0]
	v_mul_f32_e32 v119, v98, v130
	v_mul_f32_e32 v3, v99, v130
	v_pk_fma_f32 v[94:95], v[6:7], v[104:105], v[4:5] op_sel:[0,0,1] op_sel_hi:[1,1,0] neg_lo:[0,0,1] neg_hi:[0,0,1]
	v_pk_fma_f32 v[4:5], v[6:7], v[104:105], v[4:5] op_sel:[0,0,1] op_sel_hi:[1,0,0]
	v_mul_f32_e32 v121, v100, v131
	v_fmac_f32_e32 v119, v99, v141
	v_fma_f32 v118, v98, v141, -v3
	v_mul_f32_e32 v3, v101, v131
	v_mov_b32_e32 v4, v103
	v_fmac_f32_e32 v121, v101, v142
	v_fma_f32 v120, v100, v142, -v3
	v_pk_add_f32 v[2:3], v[122:123], v[118:119]
	v_mov_b32_e32 v95, v5
	s_waitcnt lgkmcnt(2)
	v_pk_mul_f32 v[4:5], v[8:9], v[4:5] op_sel_hi:[1,0]
	v_pk_add_f32 v[2:3], v[2:3], v[120:121]
	v_pk_fma_f32 v[6:7], v[8:9], v[102:103], v[4:5] op_sel:[0,0,1] op_sel_hi:[1,1,0] neg_lo:[0,0,1] neg_hi:[0,0,1]
	v_pk_fma_f32 v[4:5], v[8:9], v[102:103], v[4:5] op_sel:[0,0,1] op_sel_hi:[1,0,0]
	v_pk_add_f32 v[2:3], v[2:3], v[96:97]
	s_waitcnt vmcnt(3)
	v_mov_b32_e32 v4, v115
	v_pk_add_f32 v[2:3], v[2:3], v[94:95]
	v_mov_b32_e32 v7, v5
	v_pk_mul_f32 v[4:5], v[10:11], v[4:5] op_sel_hi:[1,0]
	v_pk_add_f32 v[2:3], v[2:3], v[6:7]
	s_waitcnt vmcnt(2)
	v_pk_fma_f32 v[6:7], v[10:11], v[114:115], v[4:5] op_sel:[0,0,1] op_sel_hi:[1,1,0] neg_lo:[0,0,1] neg_hi:[0,0,1]
	v_pk_fma_f32 v[4:5], v[10:11], v[114:115], v[4:5] op_sel:[0,0,1] op_sel_hi:[1,0,0]
	v_mov_b32_e32 v4, v113
	v_mov_b32_e32 v7, v5
	s_waitcnt lgkmcnt(1)
	v_pk_mul_f32 v[4:5], v[12:13], v[4:5] op_sel_hi:[1,0]
	v_pk_add_f32 v[2:3], v[2:3], v[6:7]
	v_pk_fma_f32 v[6:7], v[12:13], v[112:113], v[4:5] op_sel:[0,0,1] op_sel_hi:[1,1,0] neg_lo:[0,0,1] neg_hi:[0,0,1]
	v_pk_fma_f32 v[4:5], v[12:13], v[112:113], v[4:5] op_sel:[0,0,1] op_sel_hi:[1,0,0]
	v_mov_b32_e32 v4, v111
	v_mov_b32_e32 v7, v5
	v_pk_mul_f32 v[4:5], v[14:15], v[4:5] op_sel_hi:[1,0]
	v_pk_add_f32 v[2:3], v[2:3], v[6:7]
	v_pk_fma_f32 v[6:7], v[14:15], v[110:111], v[4:5] op_sel:[0,0,1] op_sel_hi:[1,1,0] neg_lo:[0,0,1] neg_hi:[0,0,1]
	v_pk_fma_f32 v[4:5], v[14:15], v[110:111], v[4:5] op_sel:[0,0,1] op_sel_hi:[1,0,0]
	v_mov_b32_e32 v4, v109
	v_mov_b32_e32 v7, v5
	s_waitcnt lgkmcnt(0)
	v_pk_mul_f32 v[4:5], v[16:17], v[4:5] op_sel_hi:[1,0]
	v_pk_add_f32 v[2:3], v[2:3], v[6:7]
	v_pk_fma_f32 v[6:7], v[16:17], v[108:109], v[4:5] op_sel:[0,0,1] op_sel_hi:[1,1,0] neg_lo:[0,0,1] neg_hi:[0,0,1]
	v_pk_fma_f32 v[4:5], v[16:17], v[108:109], v[4:5] op_sel:[0,0,1] op_sel_hi:[1,0,0]
	s_waitcnt vmcnt(1)
	v_mov_b32_e32 v4, v117
	v_mov_b32_e32 v7, v5
	v_pk_mul_f32 v[4:5], v[18:19], v[4:5] op_sel_hi:[1,0]
	v_pk_add_f32 v[2:3], v[2:3], v[6:7]
	s_waitcnt vmcnt(0)
	v_pk_fma_f32 v[6:7], v[18:19], v[116:117], v[4:5] op_sel:[0,0,1] op_sel_hi:[1,1,0] neg_lo:[0,0,1] neg_hi:[0,0,1]
	v_pk_fma_f32 v[4:5], v[18:19], v[116:117], v[4:5] op_sel:[0,0,1] op_sel_hi:[1,0,0]
	v_mov_b32_e32 v7, v5
	v_pk_add_f32 v[2:3], v[2:3], v[6:7]
	v_pk_add_f32 v[2:3], v[20:21], v[2:3] neg_lo:[0,1] neg_hi:[0,1]
	buffer_store_dword v3, off, s[0:3], 0 offset:124
	buffer_store_dword v2, off, s[0:3], 0 offset:120
	s_and_saveexec_b64 s[4:5], vcc
	s_cbranch_execz .LBB99_201
; %bb.200:
	buffer_load_dword v2, off, s[0:3], 0 offset:112
	buffer_load_dword v3, off, s[0:3], 0 offset:116
	v_mov_b32_e32 v4, 0
	buffer_store_dword v4, off, s[0:3], 0 offset:112
	buffer_store_dword v4, off, s[0:3], 0 offset:116
	s_waitcnt vmcnt(2)
	ds_write_b64 v1, v[2:3]
.LBB99_201:
	s_or_b64 exec, exec, s[4:5]
	s_waitcnt lgkmcnt(0)
	; wave barrier
	s_waitcnt lgkmcnt(0)
	buffer_load_dword v3, off, s[0:3], 0 offset:124
	buffer_load_dword v126, off, s[0:3], 0 offset:132
	;; [unrolled: 1-line block ×44, first 2 shown]
	v_mov_b32_e32 v2, 0
	ds_read2_b64 v[4:7], v2 offset0:51 offset1:52
	ds_read2_b64 v[8:11], v2 offset0:53 offset1:54
	;; [unrolled: 1-line block ×8, first 2 shown]
	v_cmp_lt_u32_e32 vcc, 13, v0
	s_waitcnt vmcnt(43) lgkmcnt(7)
	v_mul_f32_e32 v131, v4, v3
	v_mul_f32_e32 v3, v5, v3
	s_waitcnt vmcnt(42)
	v_mul_f32_e32 v154, v6, v126
	s_waitcnt vmcnt(41) lgkmcnt(6)
	v_mul_f32_e32 v155, v8, v128
	s_waitcnt vmcnt(40)
	v_mul_f32_e32 v156, v10, v130
	s_waitcnt vmcnt(39) lgkmcnt(5)
	;; [unrolled: 4-line block ×5, first 2 shown]
	v_mul_f32_e32 v163, v98, v138
	s_waitcnt vmcnt(32)
	v_mul_f32_e32 v127, v100, v139
	s_waitcnt vmcnt(30)
	v_fma_f32 v3, v4, v141, -v3
	v_mul_f32_e32 v4, v7, v126
	v_add_f32_e32 v3, 0, v3
	s_waitcnt vmcnt(29)
	v_fma_f32 v4, v6, v142, -v4
	v_add_f32_e32 v3, v3, v4
	v_mul_f32_e32 v4, v9, v128
	s_waitcnt vmcnt(28)
	v_fma_f32 v4, v8, v143, -v4
	v_add_f32_e32 v3, v3, v4
	v_mul_f32_e32 v4, v11, v130
	;; [unrolled: 4-line block ×4, first 2 shown]
	s_waitcnt vmcnt(25)
	v_fma_f32 v4, v14, v146, -v4
	v_fmac_f32_e32 v131, v5, v141
	v_add_f32_e32 v3, v3, v4
	v_mul_f32_e32 v4, v17, v134
	v_fmac_f32_e32 v154, v7, v142
	v_add_f32_e32 v5, 0, v131
	s_waitcnt vmcnt(24)
	v_fma_f32 v4, v16, v147, -v4
	v_fmac_f32_e32 v155, v9, v143
	v_add_f32_e32 v5, v5, v154
	v_add_f32_e32 v3, v3, v4
	v_mul_f32_e32 v4, v19, v135
	v_fmac_f32_e32 v156, v11, v144
	v_add_f32_e32 v5, v5, v155
	s_waitcnt vmcnt(23)
	v_fma_f32 v4, v18, v148, -v4
	v_fmac_f32_e32 v157, v13, v145
	v_add_f32_e32 v5, v5, v156
	;; [unrolled: 8-line block ×4, first 2 shown]
	v_add_f32_e32 v3, v3, v4
	v_mul_f32_e32 v4, v99, v138
	v_fmac_f32_e32 v162, v97, v150
	v_add_f32_e32 v5, v5, v161
	s_waitcnt vmcnt(20)
	v_fma_f32 v4, v98, v151, -v4
	s_waitcnt vmcnt(13)
	v_mov_b32_e32 v16, v113
	v_fmac_f32_e32 v163, v99, v151
	v_add_f32_e32 v5, v5, v162
	v_add_f32_e32 v130, v3, v4
	v_mul_f32_e32 v3, v101, v139
	s_waitcnt lgkmcnt(1)
	v_pk_mul_f32 v[16:17], v[104:105], v[16:17] op_sel_hi:[1,0]
	v_mul_f32_e32 v129, v102, v140
	v_fmac_f32_e32 v127, v101, v152
	v_add_f32_e32 v131, v5, v163
	v_fma_f32 v126, v100, v152, -v3
	v_mul_f32_e32 v3, v103, v140
	s_waitcnt vmcnt(12)
	v_pk_fma_f32 v[18:19], v[104:105], v[112:113], v[16:17] op_sel:[0,0,1] op_sel_hi:[1,1,0] neg_lo:[0,0,1] neg_hi:[0,0,1]
	v_pk_fma_f32 v[16:17], v[104:105], v[112:113], v[16:17] op_sel:[0,0,1] op_sel_hi:[1,0,0]
	v_fmac_f32_e32 v129, v103, v153
	v_fma_f32 v128, v102, v153, -v3
	v_pk_add_f32 v[14:15], v[130:131], v[126:127]
	v_mov_b32_e32 v16, v111
	v_pk_add_f32 v[14:15], v[14:15], v[128:129]
	v_mov_b32_e32 v19, v17
	s_waitcnt lgkmcnt(0)
	v_pk_mul_f32 v[16:17], v[106:107], v[16:17] op_sel_hi:[1,0]
	v_pk_add_f32 v[14:15], v[14:15], v[18:19]
	v_pk_fma_f32 v[18:19], v[106:107], v[110:111], v[16:17] op_sel:[0,0,1] op_sel_hi:[1,1,0] neg_lo:[0,0,1] neg_hi:[0,0,1]
	v_pk_fma_f32 v[16:17], v[106:107], v[110:111], v[16:17] op_sel:[0,0,1] op_sel_hi:[1,0,0]
	s_waitcnt vmcnt(5)
	v_mov_b32_e32 v16, v121
	ds_read2_b64 v[4:7], v2 offset0:67 offset1:68
	ds_read2_b64 v[8:11], v2 offset0:69 offset1:70
	ds_read_b64 v[12:13], v2 offset:568
	v_mov_b32_e32 v19, v17
	v_pk_mul_f32 v[16:17], v[108:109], v[16:17] op_sel_hi:[1,0]
	v_pk_add_f32 v[14:15], v[14:15], v[18:19]
	s_waitcnt vmcnt(4)
	v_pk_fma_f32 v[18:19], v[108:109], v[120:121], v[16:17] op_sel:[0,0,1] op_sel_hi:[1,1,0] neg_lo:[0,0,1] neg_hi:[0,0,1]
	v_pk_fma_f32 v[16:17], v[108:109], v[120:121], v[16:17] op_sel:[0,0,1] op_sel_hi:[1,0,0]
	v_mov_b32_e32 v16, v119
	v_mov_b32_e32 v19, v17
	s_waitcnt lgkmcnt(2)
	v_pk_mul_f32 v[16:17], v[4:5], v[16:17] op_sel_hi:[1,0]
	v_pk_add_f32 v[14:15], v[14:15], v[18:19]
	v_pk_fma_f32 v[18:19], v[4:5], v[118:119], v[16:17] op_sel:[0,0,1] op_sel_hi:[1,1,0] neg_lo:[0,0,1] neg_hi:[0,0,1]
	v_pk_fma_f32 v[4:5], v[4:5], v[118:119], v[16:17] op_sel:[0,0,1] op_sel_hi:[1,0,0]
	v_mov_b32_e32 v19, v5
	v_pk_add_f32 v[4:5], v[14:15], v[18:19]
	v_mov_b32_e32 v14, v117
	v_pk_mul_f32 v[14:15], v[6:7], v[14:15] op_sel_hi:[1,0]
	v_pk_fma_f32 v[16:17], v[6:7], v[116:117], v[14:15] op_sel:[0,0,1] op_sel_hi:[1,1,0] neg_lo:[0,0,1] neg_hi:[0,0,1]
	v_pk_fma_f32 v[6:7], v[6:7], v[116:117], v[14:15] op_sel:[0,0,1] op_sel_hi:[1,0,0]
	v_mov_b32_e32 v6, v115
	v_mov_b32_e32 v17, v7
	s_waitcnt lgkmcnt(1)
	v_pk_mul_f32 v[6:7], v[8:9], v[6:7] op_sel_hi:[1,0]
	v_pk_fma_f32 v[14:15], v[8:9], v[114:115], v[6:7] op_sel:[0,0,1] op_sel_hi:[1,1,0] neg_lo:[0,0,1] neg_hi:[0,0,1]
	v_pk_fma_f32 v[6:7], v[8:9], v[114:115], v[6:7] op_sel:[0,0,1] op_sel_hi:[1,0,0]
	s_waitcnt vmcnt(1)
	v_mov_b32_e32 v6, v125
	v_mov_b32_e32 v15, v7
	v_pk_mul_f32 v[6:7], v[10:11], v[6:7] op_sel_hi:[1,0]
	s_waitcnt vmcnt(0)
	v_pk_fma_f32 v[8:9], v[10:11], v[124:125], v[6:7] op_sel:[0,0,1] op_sel_hi:[1,1,0] neg_lo:[0,0,1] neg_hi:[0,0,1]
	v_pk_fma_f32 v[6:7], v[10:11], v[124:125], v[6:7] op_sel:[0,0,1] op_sel_hi:[1,0,0]
	v_pk_add_f32 v[4:5], v[4:5], v[16:17]
	v_mov_b32_e32 v6, v123
	v_pk_add_f32 v[4:5], v[4:5], v[14:15]
	v_mov_b32_e32 v9, v7
	s_waitcnt lgkmcnt(0)
	v_pk_mul_f32 v[6:7], v[12:13], v[6:7] op_sel_hi:[1,0]
	v_pk_add_f32 v[4:5], v[4:5], v[8:9]
	v_pk_fma_f32 v[8:9], v[12:13], v[122:123], v[6:7] op_sel:[0,0,1] op_sel_hi:[1,1,0] neg_lo:[0,0,1] neg_hi:[0,0,1]
	v_pk_fma_f32 v[6:7], v[12:13], v[122:123], v[6:7] op_sel:[0,0,1] op_sel_hi:[1,0,0]
	v_mov_b32_e32 v9, v7
	v_pk_add_f32 v[4:5], v[4:5], v[8:9]
	v_pk_add_f32 v[4:5], v[20:21], v[4:5] neg_lo:[0,1] neg_hi:[0,1]
	buffer_store_dword v5, off, s[0:3], 0 offset:116
	buffer_store_dword v4, off, s[0:3], 0 offset:112
	s_and_saveexec_b64 s[4:5], vcc
	s_cbranch_execz .LBB99_203
; %bb.202:
	buffer_load_dword v4, off, s[0:3], 0 offset:104
	buffer_load_dword v5, off, s[0:3], 0 offset:108
	s_waitcnt vmcnt(0)
	ds_write_b64 v1, v[4:5]
	buffer_store_dword v2, off, s[0:3], 0 offset:104
	buffer_store_dword v2, off, s[0:3], 0 offset:108
.LBB99_203:
	s_or_b64 exec, exec, s[4:5]
	s_waitcnt lgkmcnt(0)
	; wave barrier
	s_waitcnt lgkmcnt(0)
	buffer_load_dword v3, off, s[0:3], 0 offset:116
	buffer_load_dword v126, off, s[0:3], 0 offset:124
	;; [unrolled: 1-line block ×30, first 2 shown]
	ds_read_b128 v[4:7], v2 offset:400
	ds_read_b128 v[8:11], v2 offset:416
	;; [unrolled: 1-line block ×6, first 2 shown]
	buffer_load_dword v111, off, s[0:3], 0 offset:228
	buffer_load_dword v110, off, s[0:3], 0 offset:224
	ds_read_b128 v[102:105], v2 offset:496
	ds_read_b128 v[106:109], v2 offset:512
	buffer_load_dword v113, off, s[0:3], 0 offset:260
	buffer_load_dword v112, off, s[0:3], 0 offset:256
	;; [unrolled: 1-line block ×14, first 2 shown]
	v_cmp_lt_u32_e32 vcc, 12, v0
	s_waitcnt vmcnt(45) lgkmcnt(7)
	v_mul_f32_e32 v129, v4, v3
	v_mul_f32_e32 v3, v5, v3
	s_waitcnt vmcnt(44)
	v_mul_f32_e32 v131, v6, v126
	s_waitcnt vmcnt(43) lgkmcnt(6)
	v_mul_f32_e32 v156, v8, v128
	s_waitcnt vmcnt(42)
	v_mul_f32_e32 v157, v10, v130
	s_waitcnt vmcnt(41) lgkmcnt(5)
	;; [unrolled: 4-line block ×5, first 2 shown]
	v_mul_f32_e32 v164, v98, v138
	s_waitcnt vmcnt(34)
	v_mul_f32_e32 v165, v100, v139
	s_waitcnt vmcnt(32)
	v_fma_f32 v3, v4, v141, -v3
	v_mul_f32_e32 v4, v7, v126
	v_add_f32_e32 v3, 0, v3
	s_waitcnt vmcnt(31)
	v_fma_f32 v4, v6, v142, -v4
	v_add_f32_e32 v3, v3, v4
	v_mul_f32_e32 v4, v9, v128
	s_waitcnt vmcnt(30)
	v_fma_f32 v4, v8, v143, -v4
	v_add_f32_e32 v3, v3, v4
	v_mul_f32_e32 v4, v11, v130
	;; [unrolled: 4-line block ×5, first 2 shown]
	v_fmac_f32_e32 v129, v5, v141
	s_waitcnt vmcnt(26)
	v_fma_f32 v4, v16, v147, -v4
	v_fmac_f32_e32 v131, v7, v142
	v_add_f32_e32 v129, 0, v129
	v_add_f32_e32 v3, v3, v4
	v_mul_f32_e32 v4, v19, v135
	v_fmac_f32_e32 v156, v9, v143
	v_add_f32_e32 v129, v129, v131
	s_waitcnt vmcnt(25)
	v_fma_f32 v4, v18, v148, -v4
	v_fmac_f32_e32 v157, v11, v144
	v_add_f32_e32 v129, v129, v156
	v_add_f32_e32 v3, v3, v4
	v_mul_f32_e32 v4, v95, v136
	v_fmac_f32_e32 v158, v13, v145
	v_add_f32_e32 v129, v129, v157
	;; [unrolled: 8-line block ×5, first 2 shown]
	s_waitcnt vmcnt(21)
	v_fma_f32 v4, v100, v152, -v4
	s_waitcnt vmcnt(15)
	v_mov_b32_e32 v16, v111
	s_waitcnt lgkmcnt(1)
	v_mul_f32_e32 v127, v102, v140
	v_fmac_f32_e32 v165, v101, v152
	v_add_f32_e32 v129, v129, v164
	v_add_f32_e32 v128, v3, v4
	v_mul_f32_e32 v3, v103, v140
	s_waitcnt lgkmcnt(0)
	v_pk_mul_f32 v[16:17], v[106:107], v[16:17] op_sel_hi:[1,0]
	v_fmac_f32_e32 v127, v103, v153
	v_add_f32_e32 v129, v129, v165
	v_mul_f32_e32 v131, v104, v154
	v_fma_f32 v126, v102, v153, -v3
	v_mul_f32_e32 v3, v105, v154
	s_waitcnt vmcnt(14)
	v_pk_fma_f32 v[18:19], v[106:107], v[110:111], v[16:17] op_sel:[0,0,1] op_sel_hi:[1,1,0] neg_lo:[0,0,1] neg_hi:[0,0,1]
	v_pk_fma_f32 v[16:17], v[106:107], v[110:111], v[16:17] op_sel:[0,0,1] op_sel_hi:[1,0,0]
	v_fmac_f32_e32 v131, v105, v155
	v_fma_f32 v130, v104, v155, -v3
	ds_read_b128 v[4:7], v2 offset:528
	ds_read_b128 v[8:11], v2 offset:544
	;; [unrolled: 1-line block ×3, first 2 shown]
	v_pk_add_f32 v[2:3], v[128:129], v[126:127]
	s_waitcnt vmcnt(7)
	v_mov_b32_e32 v16, v119
	v_pk_add_f32 v[2:3], v[2:3], v[130:131]
	v_mov_b32_e32 v19, v17
	v_pk_mul_f32 v[16:17], v[108:109], v[16:17] op_sel_hi:[1,0]
	v_pk_add_f32 v[2:3], v[2:3], v[18:19]
	s_waitcnt vmcnt(6)
	v_pk_fma_f32 v[18:19], v[108:109], v[118:119], v[16:17] op_sel:[0,0,1] op_sel_hi:[1,1,0] neg_lo:[0,0,1] neg_hi:[0,0,1]
	v_pk_fma_f32 v[16:17], v[108:109], v[118:119], v[16:17] op_sel:[0,0,1] op_sel_hi:[1,0,0]
	v_mov_b32_e32 v16, v117
	v_mov_b32_e32 v19, v17
	s_waitcnt lgkmcnt(2)
	v_pk_mul_f32 v[16:17], v[4:5], v[16:17] op_sel_hi:[1,0]
	v_pk_add_f32 v[2:3], v[2:3], v[18:19]
	v_pk_fma_f32 v[18:19], v[4:5], v[116:117], v[16:17] op_sel:[0,0,1] op_sel_hi:[1,1,0] neg_lo:[0,0,1] neg_hi:[0,0,1]
	v_pk_fma_f32 v[4:5], v[4:5], v[116:117], v[16:17] op_sel:[0,0,1] op_sel_hi:[1,0,0]
	v_mov_b32_e32 v4, v115
	v_mov_b32_e32 v19, v5
	v_pk_mul_f32 v[4:5], v[6:7], v[4:5] op_sel_hi:[1,0]
	v_pk_fma_f32 v[16:17], v[6:7], v[114:115], v[4:5] op_sel:[0,0,1] op_sel_hi:[1,1,0] neg_lo:[0,0,1] neg_hi:[0,0,1]
	v_pk_fma_f32 v[4:5], v[6:7], v[114:115], v[4:5] op_sel:[0,0,1] op_sel_hi:[1,0,0]
	v_mov_b32_e32 v4, v113
	v_mov_b32_e32 v17, v5
	s_waitcnt lgkmcnt(1)
	v_pk_mul_f32 v[4:5], v[8:9], v[4:5] op_sel_hi:[1,0]
	v_pk_fma_f32 v[6:7], v[8:9], v[112:113], v[4:5] op_sel:[0,0,1] op_sel_hi:[1,1,0] neg_lo:[0,0,1] neg_hi:[0,0,1]
	v_pk_fma_f32 v[4:5], v[8:9], v[112:113], v[4:5] op_sel:[0,0,1] op_sel_hi:[1,0,0]
	v_pk_add_f32 v[2:3], v[2:3], v[18:19]
	s_waitcnt vmcnt(1)
	v_mov_b32_e32 v4, v125
	v_pk_add_f32 v[2:3], v[2:3], v[16:17]
	v_mov_b32_e32 v7, v5
	v_pk_mul_f32 v[4:5], v[10:11], v[4:5] op_sel_hi:[1,0]
	v_pk_add_f32 v[2:3], v[2:3], v[6:7]
	s_waitcnt vmcnt(0)
	v_pk_fma_f32 v[6:7], v[10:11], v[124:125], v[4:5] op_sel:[0,0,1] op_sel_hi:[1,1,0] neg_lo:[0,0,1] neg_hi:[0,0,1]
	v_pk_fma_f32 v[4:5], v[10:11], v[124:125], v[4:5] op_sel:[0,0,1] op_sel_hi:[1,0,0]
	v_mov_b32_e32 v4, v123
	v_mov_b32_e32 v7, v5
	s_waitcnt lgkmcnt(0)
	v_pk_mul_f32 v[4:5], v[12:13], v[4:5] op_sel_hi:[1,0]
	v_pk_add_f32 v[2:3], v[2:3], v[6:7]
	v_pk_fma_f32 v[6:7], v[12:13], v[122:123], v[4:5] op_sel:[0,0,1] op_sel_hi:[1,1,0] neg_lo:[0,0,1] neg_hi:[0,0,1]
	v_pk_fma_f32 v[4:5], v[12:13], v[122:123], v[4:5] op_sel:[0,0,1] op_sel_hi:[1,0,0]
	v_mov_b32_e32 v4, v121
	v_mov_b32_e32 v7, v5
	v_pk_mul_f32 v[4:5], v[14:15], v[4:5] op_sel_hi:[1,0]
	v_pk_add_f32 v[2:3], v[2:3], v[6:7]
	v_pk_fma_f32 v[6:7], v[14:15], v[120:121], v[4:5] op_sel:[0,0,1] op_sel_hi:[1,1,0] neg_lo:[0,0,1] neg_hi:[0,0,1]
	v_pk_fma_f32 v[4:5], v[14:15], v[120:121], v[4:5] op_sel:[0,0,1] op_sel_hi:[1,0,0]
	v_mov_b32_e32 v7, v5
	v_pk_add_f32 v[2:3], v[2:3], v[6:7]
	v_pk_add_f32 v[2:3], v[20:21], v[2:3] neg_lo:[0,1] neg_hi:[0,1]
	buffer_store_dword v3, off, s[0:3], 0 offset:108
	buffer_store_dword v2, off, s[0:3], 0 offset:104
	s_and_saveexec_b64 s[4:5], vcc
	s_cbranch_execz .LBB99_205
; %bb.204:
	buffer_load_dword v2, off, s[0:3], 0 offset:96
	buffer_load_dword v3, off, s[0:3], 0 offset:100
	v_mov_b32_e32 v4, 0
	buffer_store_dword v4, off, s[0:3], 0 offset:96
	buffer_store_dword v4, off, s[0:3], 0 offset:100
	s_waitcnt vmcnt(2)
	ds_write_b64 v1, v[2:3]
.LBB99_205:
	s_or_b64 exec, exec, s[4:5]
	s_waitcnt lgkmcnt(0)
	; wave barrier
	s_waitcnt lgkmcnt(0)
	buffer_load_dword v3, off, s[0:3], 0 offset:108
	buffer_load_dword v124, off, s[0:3], 0 offset:116
	;; [unrolled: 1-line block ×32, first 2 shown]
	v_mov_b32_e32 v2, 0
	buffer_load_dword v111, off, s[0:3], 0 offset:252
	buffer_load_dword v110, off, s[0:3], 0 offset:248
	;; [unrolled: 1-line block ×13, first 2 shown]
	ds_read2_b64 v[4:7], v2 offset0:49 offset1:50
	ds_read2_b64 v[8:11], v2 offset0:51 offset1:52
	ds_read2_b64 v[12:15], v2 offset0:53 offset1:54
	ds_read2_b64 v[16:19], v2 offset0:55 offset1:56
	ds_read2_b64 v[94:97], v2 offset0:57 offset1:58
	ds_read2_b64 v[98:101], v2 offset0:59 offset1:60
	ds_read2_b64 v[102:105], v2 offset0:61 offset1:62
	ds_read2_b64 v[106:109], v2 offset0:63 offset1:64
	v_cmp_lt_u32_e32 vcc, 11, v0
	s_waitcnt vmcnt(44) lgkmcnt(7)
	v_mul_f32_e32 v118, v4, v3
	s_waitcnt vmcnt(43)
	v_mul_f32_e32 v125, v6, v124
	s_waitcnt vmcnt(42) lgkmcnt(6)
	v_mul_f32_e32 v126, v8, v128
	s_waitcnt vmcnt(41)
	v_mul_f32_e32 v127, v10, v130
	;; [unrolled: 4-line block ×6, first 2 shown]
	s_waitcnt vmcnt(32) lgkmcnt(1)
	v_mul_f32_e32 v164, v102, v140
	s_waitcnt vmcnt(31)
	v_fmac_f32_e32 v118, v5, v141
	s_waitcnt vmcnt(30)
	v_fmac_f32_e32 v125, v7, v142
	v_add_f32_e32 v118, 0, v118
	s_waitcnt vmcnt(29)
	v_fmac_f32_e32 v126, v9, v143
	v_add_f32_e32 v118, v118, v125
	;; [unrolled: 3-line block ×12, first 2 shown]
	v_add_f32_e32 v125, v118, v164
	buffer_load_dword v127, off, s[0:3], 0 offset:268
	buffer_load_dword v126, off, s[0:3], 0 offset:264
	;; [unrolled: 1-line block ×3, first 2 shown]
	v_mul_f32_e32 v3, v5, v3
	v_fma_f32 v3, v4, v141, -v3
	v_mul_f32_e32 v4, v7, v124
	v_add_f32_e32 v3, 0, v3
	v_fma_f32 v4, v6, v142, -v4
	v_add_f32_e32 v3, v3, v4
	v_mul_f32_e32 v4, v9, v128
	v_fma_f32 v4, v8, v143, -v4
	v_add_f32_e32 v3, v3, v4
	v_mul_f32_e32 v4, v11, v130
	;; [unrolled: 3-line block ×11, first 2 shown]
	v_fma_f32 v4, v102, v153, -v4
	s_waitcnt vmcnt(9)
	v_mov_b32_e32 v94, v117
	v_mul_f32_e32 v129, v104, v154
	v_add_f32_e32 v124, v3, v4
	v_mul_f32_e32 v3, v105, v154
	s_waitcnt lgkmcnt(0)
	v_pk_mul_f32 v[94:95], v[108:109], v[94:95] op_sel_hi:[1,0]
	v_fmac_f32_e32 v129, v105, v155
	v_mul_f32_e32 v131, v106, v156
	v_fma_f32 v128, v104, v155, -v3
	v_mul_f32_e32 v3, v107, v156
	ds_read2_b64 v[4:7], v2 offset0:65 offset1:66
	ds_read2_b64 v[8:11], v2 offset0:67 offset1:68
	;; [unrolled: 1-line block ×3, first 2 shown]
	ds_read_b64 v[16:17], v2 offset:568
	s_waitcnt vmcnt(8)
	v_pk_fma_f32 v[96:97], v[108:109], v[116:117], v[94:95] op_sel:[0,0,1] op_sel_hi:[1,1,0] neg_lo:[0,0,1] neg_hi:[0,0,1]
	v_pk_fma_f32 v[94:95], v[108:109], v[116:117], v[94:95] op_sel:[0,0,1] op_sel_hi:[1,0,0]
	v_fmac_f32_e32 v131, v107, v157
	v_fma_f32 v130, v106, v157, -v3
	v_pk_add_f32 v[18:19], v[124:125], v[128:129]
	v_mov_b32_e32 v94, v115
	v_pk_add_f32 v[18:19], v[18:19], v[130:131]
	v_mov_b32_e32 v97, v95
	s_waitcnt lgkmcnt(3)
	v_pk_mul_f32 v[94:95], v[4:5], v[94:95] op_sel_hi:[1,0]
	v_pk_add_f32 v[18:19], v[18:19], v[96:97]
	v_pk_fma_f32 v[96:97], v[4:5], v[114:115], v[94:95] op_sel:[0,0,1] op_sel_hi:[1,1,0] neg_lo:[0,0,1] neg_hi:[0,0,1]
	v_pk_fma_f32 v[4:5], v[4:5], v[114:115], v[94:95] op_sel:[0,0,1] op_sel_hi:[1,0,0]
	v_mov_b32_e32 v97, v5
	v_pk_add_f32 v[4:5], v[18:19], v[96:97]
	v_mov_b32_e32 v18, v113
	v_pk_mul_f32 v[18:19], v[6:7], v[18:19] op_sel_hi:[1,0]
	v_pk_fma_f32 v[94:95], v[6:7], v[112:113], v[18:19] op_sel:[0,0,1] op_sel_hi:[1,1,0] neg_lo:[0,0,1] neg_hi:[0,0,1]
	v_pk_fma_f32 v[6:7], v[6:7], v[112:113], v[18:19] op_sel:[0,0,1] op_sel_hi:[1,0,0]
	v_mov_b32_e32 v6, v111
	v_mov_b32_e32 v95, v7
	s_waitcnt lgkmcnt(2)
	v_pk_mul_f32 v[6:7], v[8:9], v[6:7] op_sel_hi:[1,0]
	v_pk_fma_f32 v[18:19], v[8:9], v[110:111], v[6:7] op_sel:[0,0,1] op_sel_hi:[1,1,0] neg_lo:[0,0,1] neg_hi:[0,0,1]
	v_pk_fma_f32 v[6:7], v[8:9], v[110:111], v[6:7] op_sel:[0,0,1] op_sel_hi:[1,0,0]
	s_waitcnt vmcnt(7)
	v_mov_b32_e32 v6, v119
	v_mov_b32_e32 v19, v7
	v_pk_mul_f32 v[6:7], v[10:11], v[6:7] op_sel_hi:[1,0]
	v_pk_add_f32 v[4:5], v[4:5], v[94:95]
	v_pk_add_f32 v[4:5], v[4:5], v[18:19]
	s_waitcnt vmcnt(0)
	v_pk_fma_f32 v[8:9], v[10:11], v[118:119], v[6:7] op_sel:[0,0,1] op_sel_hi:[1,1,0] neg_lo:[0,0,1] neg_hi:[0,0,1]
	v_pk_fma_f32 v[6:7], v[10:11], v[118:119], v[6:7] op_sel:[0,0,1] op_sel_hi:[1,0,0]
	v_mov_b32_e32 v6, v127
	v_mov_b32_e32 v9, v7
	s_waitcnt lgkmcnt(1)
	v_pk_mul_f32 v[6:7], v[12:13], v[6:7] op_sel_hi:[1,0]
	v_pk_add_f32 v[4:5], v[4:5], v[8:9]
	v_pk_fma_f32 v[8:9], v[12:13], v[126:127], v[6:7] op_sel:[0,0,1] op_sel_hi:[1,1,0] neg_lo:[0,0,1] neg_hi:[0,0,1]
	v_pk_fma_f32 v[6:7], v[12:13], v[126:127], v[6:7] op_sel:[0,0,1] op_sel_hi:[1,0,0]
	v_mov_b32_e32 v6, v123
	v_mov_b32_e32 v9, v7
	v_pk_mul_f32 v[6:7], v[14:15], v[6:7] op_sel_hi:[1,0]
	v_pk_add_f32 v[4:5], v[4:5], v[8:9]
	v_pk_fma_f32 v[8:9], v[14:15], v[122:123], v[6:7] op_sel:[0,0,1] op_sel_hi:[1,1,0] neg_lo:[0,0,1] neg_hi:[0,0,1]
	v_pk_fma_f32 v[6:7], v[14:15], v[122:123], v[6:7] op_sel:[0,0,1] op_sel_hi:[1,0,0]
	v_mov_b32_e32 v6, v121
	v_mov_b32_e32 v9, v7
	s_waitcnt lgkmcnt(0)
	v_pk_mul_f32 v[6:7], v[16:17], v[6:7] op_sel_hi:[1,0]
	v_pk_add_f32 v[4:5], v[4:5], v[8:9]
	v_pk_fma_f32 v[8:9], v[16:17], v[120:121], v[6:7] op_sel:[0,0,1] op_sel_hi:[1,1,0] neg_lo:[0,0,1] neg_hi:[0,0,1]
	v_pk_fma_f32 v[6:7], v[16:17], v[120:121], v[6:7] op_sel:[0,0,1] op_sel_hi:[1,0,0]
	v_mov_b32_e32 v9, v7
	v_pk_add_f32 v[4:5], v[4:5], v[8:9]
	v_pk_add_f32 v[4:5], v[20:21], v[4:5] neg_lo:[0,1] neg_hi:[0,1]
	buffer_store_dword v5, off, s[0:3], 0 offset:100
	buffer_store_dword v4, off, s[0:3], 0 offset:96
	s_and_saveexec_b64 s[4:5], vcc
	s_cbranch_execz .LBB99_207
; %bb.206:
	buffer_load_dword v4, off, s[0:3], 0 offset:88
	buffer_load_dword v5, off, s[0:3], 0 offset:92
	s_waitcnt vmcnt(0)
	ds_write_b64 v1, v[4:5]
	buffer_store_dword v2, off, s[0:3], 0 offset:88
	buffer_store_dword v2, off, s[0:3], 0 offset:92
.LBB99_207:
	s_or_b64 exec, exec, s[4:5]
	s_waitcnt lgkmcnt(0)
	; wave barrier
	s_waitcnt lgkmcnt(0)
	buffer_load_dword v3, off, s[0:3], 0 offset:100
	buffer_load_dword v124, off, s[0:3], 0 offset:108
	buffer_load_dword v126, off, s[0:3], 0 offset:116
	buffer_load_dword v128, off, s[0:3], 0 offset:124
	buffer_load_dword v132, off, s[0:3], 0 offset:132
	buffer_load_dword v133, off, s[0:3], 0 offset:140
	buffer_load_dword v134, off, s[0:3], 0 offset:148
	buffer_load_dword v135, off, s[0:3], 0 offset:156
	buffer_load_dword v136, off, s[0:3], 0 offset:164
	buffer_load_dword v137, off, s[0:3], 0 offset:172
	buffer_load_dword v138, off, s[0:3], 0 offset:180
	buffer_load_dword v139, off, s[0:3], 0 offset:188
	buffer_load_dword v140, off, s[0:3], 0 offset:196
	buffer_load_dword v141, off, s[0:3], 0 offset:204
	buffer_load_dword v142, off, s[0:3], 0 offset:96
	buffer_load_dword v143, off, s[0:3], 0 offset:104
	buffer_load_dword v144, off, s[0:3], 0 offset:112
	buffer_load_dword v145, off, s[0:3], 0 offset:120
	buffer_load_dword v146, off, s[0:3], 0 offset:128
	buffer_load_dword v147, off, s[0:3], 0 offset:136
	buffer_load_dword v148, off, s[0:3], 0 offset:144
	buffer_load_dword v149, off, s[0:3], 0 offset:152
	buffer_load_dword v150, off, s[0:3], 0 offset:160
	buffer_load_dword v151, off, s[0:3], 0 offset:168
	buffer_load_dword v152, off, s[0:3], 0 offset:176
	buffer_load_dword v153, off, s[0:3], 0 offset:184
	buffer_load_dword v154, off, s[0:3], 0 offset:192
	buffer_load_dword v155, off, s[0:3], 0 offset:200
	buffer_load_dword v156, off, s[0:3], 0 offset:212
	buffer_load_dword v157, off, s[0:3], 0 offset:208
	buffer_load_dword v158, off, s[0:3], 0 offset:220
	buffer_load_dword v159, off, s[0:3], 0 offset:216
	buffer_load_dword v20, off, s[0:3], 0 offset:88
	buffer_load_dword v21, off, s[0:3], 0 offset:92
	ds_read_b128 v[4:7], v2 offset:384
	ds_read_b128 v[8:11], v2 offset:400
	;; [unrolled: 1-line block ×8, first 2 shown]
	buffer_load_dword v111, off, s[0:3], 0 offset:244
	buffer_load_dword v110, off, s[0:3], 0 offset:240
	buffer_load_dword v113, off, s[0:3], 0 offset:236
	buffer_load_dword v112, off, s[0:3], 0 offset:232
	buffer_load_dword v115, off, s[0:3], 0 offset:228
	buffer_load_dword v114, off, s[0:3], 0 offset:224
	buffer_load_dword v117, off, s[0:3], 0 offset:252
	buffer_load_dword v119, off, s[0:3], 0 offset:276
	buffer_load_dword v118, off, s[0:3], 0 offset:272
	v_cmp_lt_u32_e32 vcc, 10, v0
	s_waitcnt vmcnt(42) lgkmcnt(7)
	v_mul_f32_e32 v116, v4, v3
	s_waitcnt vmcnt(41)
	v_mul_f32_e32 v120, v6, v124
	s_waitcnt vmcnt(40) lgkmcnt(6)
	v_mul_f32_e32 v121, v8, v126
	s_waitcnt vmcnt(39)
	v_mul_f32_e32 v122, v10, v128
	;; [unrolled: 4-line block ×6, first 2 shown]
	s_waitcnt vmcnt(30) lgkmcnt(1)
	v_mul_f32_e32 v162, v102, v140
	v_mul_f32_e32 v3, v5, v3
	s_waitcnt vmcnt(28)
	v_fmac_f32_e32 v116, v5, v142
	s_waitcnt vmcnt(27)
	v_fmac_f32_e32 v120, v7, v143
	v_add_f32_e32 v116, 0, v116
	s_waitcnt vmcnt(26)
	v_fmac_f32_e32 v121, v9, v144
	v_add_f32_e32 v116, v116, v120
	;; [unrolled: 3-line block ×12, first 2 shown]
	v_add_f32_e32 v125, v116, v162
	buffer_load_dword v121, off, s[0:3], 0 offset:268
	buffer_load_dword v120, off, s[0:3], 0 offset:264
	;; [unrolled: 1-line block ×7, first 2 shown]
	v_fma_f32 v3, v4, v142, -v3
	v_mul_f32_e32 v4, v7, v124
	v_add_f32_e32 v3, 0, v3
	v_fma_f32 v4, v6, v143, -v4
	v_add_f32_e32 v3, v3, v4
	v_mul_f32_e32 v4, v9, v126
	v_fma_f32 v4, v8, v144, -v4
	v_add_f32_e32 v3, v3, v4
	v_mul_f32_e32 v4, v11, v128
	;; [unrolled: 3-line block ×12, first 2 shown]
	s_waitcnt vmcnt(22)
	v_fma_f32 v4, v104, v155, -v4
	v_add_f32_e32 v124, v3, v4
	ds_read_b128 v[4:7], v2 offset:512
	ds_read_b128 v[8:11], v2 offset:528
	;; [unrolled: 1-line block ×4, first 2 shown]
	s_waitcnt vmcnt(11)
	v_mov_b32_e32 v94, v115
	s_waitcnt lgkmcnt(3)
	v_pk_mul_f32 v[94:95], v[4:5], v[94:95] op_sel_hi:[1,0]
	s_waitcnt vmcnt(10)
	v_pk_fma_f32 v[96:97], v[4:5], v[114:115], v[94:95] op_sel:[0,0,1] op_sel_hi:[1,1,0] neg_lo:[0,0,1] neg_hi:[0,0,1]
	v_pk_fma_f32 v[4:5], v[4:5], v[114:115], v[94:95] op_sel:[0,0,1] op_sel_hi:[1,0,0]
	v_mov_b32_e32 v4, v113
	v_mul_f32_e32 v163, v104, v141
	v_mov_b32_e32 v97, v5
	v_pk_mul_f32 v[4:5], v[6:7], v[4:5] op_sel_hi:[1,0]
	v_fmac_f32_e32 v163, v105, v155
	v_mul_f32_e32 v127, v106, v156
	v_mul_f32_e32 v3, v107, v156
	v_pk_fma_f32 v[94:95], v[6:7], v[112:113], v[4:5] op_sel:[0,0,1] op_sel_hi:[1,1,0] neg_lo:[0,0,1] neg_hi:[0,0,1]
	v_pk_fma_f32 v[4:5], v[6:7], v[112:113], v[4:5] op_sel:[0,0,1] op_sel_hi:[1,0,0]
	v_add_f32_e32 v125, v125, v163
	v_fmac_f32_e32 v127, v107, v157
	v_mul_f32_e32 v129, v108, v158
	v_fma_f32 v126, v106, v157, -v3
	v_mul_f32_e32 v3, v109, v158
	v_mov_b32_e32 v4, v111
	v_fmac_f32_e32 v129, v109, v159
	v_fma_f32 v128, v108, v159, -v3
	v_pk_add_f32 v[2:3], v[124:125], v[126:127]
	v_mov_b32_e32 v95, v5
	s_waitcnt lgkmcnt(2)
	v_pk_mul_f32 v[4:5], v[8:9], v[4:5] op_sel_hi:[1,0]
	v_pk_add_f32 v[2:3], v[2:3], v[128:129]
	v_pk_fma_f32 v[6:7], v[8:9], v[110:111], v[4:5] op_sel:[0,0,1] op_sel_hi:[1,1,0] neg_lo:[0,0,1] neg_hi:[0,0,1]
	v_pk_fma_f32 v[4:5], v[8:9], v[110:111], v[4:5] op_sel:[0,0,1] op_sel_hi:[1,0,0]
	v_pk_add_f32 v[2:3], v[2:3], v[96:97]
	s_waitcnt vmcnt(9)
	v_mov_b32_e32 v4, v117
	v_pk_add_f32 v[2:3], v[2:3], v[94:95]
	v_mov_b32_e32 v7, v5
	v_pk_mul_f32 v[4:5], v[10:11], v[4:5] op_sel_hi:[1,0]
	v_pk_add_f32 v[2:3], v[2:3], v[6:7]
	s_waitcnt vmcnt(2)
	v_pk_fma_f32 v[6:7], v[10:11], v[116:117], v[4:5] op_sel:[0,0,1] op_sel_hi:[1,1,0] neg_lo:[0,0,1] neg_hi:[0,0,1]
	v_pk_fma_f32 v[4:5], v[10:11], v[116:117], v[4:5] op_sel:[0,0,1] op_sel_hi:[1,0,0]
	v_mov_b32_e32 v4, v123
	v_mov_b32_e32 v7, v5
	s_waitcnt lgkmcnt(1)
	v_pk_mul_f32 v[4:5], v[12:13], v[4:5] op_sel_hi:[1,0]
	v_pk_add_f32 v[2:3], v[2:3], v[6:7]
	v_pk_fma_f32 v[6:7], v[12:13], v[122:123], v[4:5] op_sel:[0,0,1] op_sel_hi:[1,1,0] neg_lo:[0,0,1] neg_hi:[0,0,1]
	v_pk_fma_f32 v[4:5], v[12:13], v[122:123], v[4:5] op_sel:[0,0,1] op_sel_hi:[1,0,0]
	v_mov_b32_e32 v4, v121
	v_mov_b32_e32 v7, v5
	v_pk_mul_f32 v[4:5], v[14:15], v[4:5] op_sel_hi:[1,0]
	v_pk_add_f32 v[2:3], v[2:3], v[6:7]
	v_pk_fma_f32 v[6:7], v[14:15], v[120:121], v[4:5] op_sel:[0,0,1] op_sel_hi:[1,1,0] neg_lo:[0,0,1] neg_hi:[0,0,1]
	v_pk_fma_f32 v[4:5], v[14:15], v[120:121], v[4:5] op_sel:[0,0,1] op_sel_hi:[1,0,0]
	v_mov_b32_e32 v4, v119
	v_mov_b32_e32 v7, v5
	s_waitcnt lgkmcnt(0)
	v_pk_mul_f32 v[4:5], v[16:17], v[4:5] op_sel_hi:[1,0]
	v_pk_add_f32 v[2:3], v[2:3], v[6:7]
	v_pk_fma_f32 v[6:7], v[16:17], v[118:119], v[4:5] op_sel:[0,0,1] op_sel_hi:[1,1,0] neg_lo:[0,0,1] neg_hi:[0,0,1]
	v_pk_fma_f32 v[4:5], v[16:17], v[118:119], v[4:5] op_sel:[0,0,1] op_sel_hi:[1,0,0]
	s_waitcnt vmcnt(1)
	v_mov_b32_e32 v4, v131
	v_mov_b32_e32 v7, v5
	v_pk_mul_f32 v[4:5], v[18:19], v[4:5] op_sel_hi:[1,0]
	v_pk_add_f32 v[2:3], v[2:3], v[6:7]
	s_waitcnt vmcnt(0)
	v_pk_fma_f32 v[6:7], v[18:19], v[130:131], v[4:5] op_sel:[0,0,1] op_sel_hi:[1,1,0] neg_lo:[0,0,1] neg_hi:[0,0,1]
	v_pk_fma_f32 v[4:5], v[18:19], v[130:131], v[4:5] op_sel:[0,0,1] op_sel_hi:[1,0,0]
	v_mov_b32_e32 v7, v5
	v_pk_add_f32 v[2:3], v[2:3], v[6:7]
	v_pk_add_f32 v[2:3], v[20:21], v[2:3] neg_lo:[0,1] neg_hi:[0,1]
	buffer_store_dword v3, off, s[0:3], 0 offset:92
	buffer_store_dword v2, off, s[0:3], 0 offset:88
	s_and_saveexec_b64 s[4:5], vcc
	s_cbranch_execz .LBB99_209
; %bb.208:
	buffer_load_dword v2, off, s[0:3], 0 offset:80
	buffer_load_dword v3, off, s[0:3], 0 offset:84
	v_mov_b32_e32 v4, 0
	buffer_store_dword v4, off, s[0:3], 0 offset:80
	buffer_store_dword v4, off, s[0:3], 0 offset:84
	s_waitcnt vmcnt(2)
	ds_write_b64 v1, v[2:3]
.LBB99_209:
	s_or_b64 exec, exec, s[4:5]
	v_mov_b32_e32 v114, 0
	s_waitcnt lgkmcnt(0)
	; wave barrier
	s_waitcnt lgkmcnt(0)
	ds_read2_b64 v[6:9], v114 offset0:47 offset1:48
	buffer_load_dword v94, off, s[0:3], 0 offset:80
	buffer_load_dword v95, off, s[0:3], 0 offset:84
	;; [unrolled: 1-line block ×16, first 2 shown]
	ds_read2_b64 v[10:13], v114 offset0:49 offset1:50
	ds_read2_b64 v[14:17], v114 offset0:51 offset1:52
	;; [unrolled: 1-line block ×3, first 2 shown]
	buffer_load_dword v146, off, s[0:3], 0 offset:144
	buffer_load_dword v147, off, s[0:3], 0 offset:148
	ds_read2_b64 v[116:119], v114 offset0:55 offset1:56
	buffer_load_dword v148, off, s[0:3], 0 offset:152
	buffer_load_dword v149, off, s[0:3], 0 offset:156
	buffer_load_dword v150, off, s[0:3], 0 offset:160
	buffer_load_dword v151, off, s[0:3], 0 offset:164
	ds_read2_b64 v[120:123], v114 offset0:57 offset1:58
	buffer_load_dword v152, off, s[0:3], 0 offset:168
	buffer_load_dword v153, off, s[0:3], 0 offset:172
	;; [unrolled: 5-line block ×4, first 2 shown]
	buffer_load_dword v162, off, s[0:3], 0 offset:208
	buffer_load_dword v163, off, s[0:3], 0 offset:212
	v_cmp_lt_u32_e32 vcc, 9, v0
	s_waitcnt vmcnt(30) lgkmcnt(7)
	v_mul_f32_e32 v2, v6, v100
	v_fmac_f32_e32 v2, v7, v96
	s_waitcnt vmcnt(28)
	v_mul_f32_e32 v3, v8, v115
	v_add_f32_e32 v2, 0, v2
	v_fmac_f32_e32 v3, v9, v108
	v_add_f32_e32 v2, v2, v3
	s_waitcnt vmcnt(26) lgkmcnt(6)
	v_mul_f32_e32 v3, v10, v137
	v_fmac_f32_e32 v3, v11, v136
	v_add_f32_e32 v2, v2, v3
	s_waitcnt vmcnt(24)
	v_mul_f32_e32 v3, v12, v139
	v_fmac_f32_e32 v3, v13, v138
	v_add_f32_e32 v2, v2, v3
	s_waitcnt vmcnt(22) lgkmcnt(5)
	v_mul_f32_e32 v3, v14, v141
	v_fmac_f32_e32 v3, v15, v140
	v_add_f32_e32 v2, v2, v3
	s_waitcnt vmcnt(20)
	v_mul_f32_e32 v3, v16, v143
	;; [unrolled: 8-line block ×6, first 2 shown]
	v_fmac_f32_e32 v3, v127, v158
	v_add_f32_e32 v2, v2, v3
	s_waitcnt vmcnt(2) lgkmcnt(0)
	v_mul_f32_e32 v3, v128, v161
	v_fmac_f32_e32 v3, v129, v160
	v_add_f32_e32 v97, v2, v3
	ds_read2_b64 v[2:5], v114 offset0:63 offset1:64
	buffer_load_dword v164, off, s[0:3], 0 offset:216
	buffer_load_dword v165, off, s[0:3], 0 offset:220
	;; [unrolled: 1-line block ×18, first 2 shown]
	v_mul_f32_e32 v7, v7, v100
	v_fma_f32 v6, v6, v96, -v7
	v_mul_f32_e32 v7, v9, v115
	v_add_f32_e32 v6, 0, v6
	v_fma_f32 v7, v8, v108, -v7
	v_add_f32_e32 v6, v6, v7
	v_mul_f32_e32 v7, v11, v137
	v_fma_f32 v7, v10, v136, -v7
	v_add_f32_e32 v6, v6, v7
	v_mul_f32_e32 v7, v13, v139
	;; [unrolled: 3-line block ×13, first 2 shown]
	v_fma_f32 v7, v128, v160, -v7
	s_waitcnt vmcnt(18)
	v_mul_f32_e32 v101, v130, v163
	v_add_f32_e32 v96, v6, v7
	v_mul_f32_e32 v6, v131, v163
	v_fmac_f32_e32 v101, v131, v162
	v_fma_f32 v100, v130, v162, -v6
	v_pk_add_f32 v[18:19], v[96:97], v[100:101]
	s_waitcnt vmcnt(15)
	v_mov_b32_e32 v20, v105
	s_waitcnt lgkmcnt(0)
	v_pk_mul_f32 v[20:21], v[4:5], v[20:21] op_sel_hi:[1,0]
	s_waitcnt vmcnt(14)
	v_pk_fma_f32 v[96:97], v[4:5], v[104:105], v[20:21] op_sel:[0,0,1] op_sel_hi:[1,1,0] neg_lo:[0,0,1] neg_hi:[0,0,1]
	v_pk_fma_f32 v[4:5], v[4:5], v[104:105], v[20:21] op_sel:[0,0,1] op_sel_hi:[1,0,0]
	v_mov_b32_e32 v97, v5
	v_mul_f32_e32 v109, v2, v165
	v_fmac_f32_e32 v109, v3, v164
	v_mul_f32_e32 v3, v3, v165
	v_fma_f32 v108, v2, v164, -v3
	ds_read2_b64 v[6:9], v114 offset0:65 offset1:66
	ds_read2_b64 v[10:13], v114 offset0:67 offset1:68
	;; [unrolled: 1-line block ×3, first 2 shown]
	ds_read_b64 v[2:3], v114 offset:568
	v_pk_add_f32 v[18:19], v[18:19], v[108:109]
	v_pk_add_f32 v[4:5], v[18:19], v[96:97]
	s_waitcnt vmcnt(13)
	v_mov_b32_e32 v18, v111
	s_waitcnt lgkmcnt(3)
	v_pk_mul_f32 v[18:19], v[6:7], v[18:19] op_sel_hi:[1,0]
	s_waitcnt vmcnt(12)
	v_pk_fma_f32 v[20:21], v[6:7], v[110:111], v[18:19] op_sel:[0,0,1] op_sel_hi:[1,1,0] neg_lo:[0,0,1] neg_hi:[0,0,1]
	v_pk_fma_f32 v[6:7], v[6:7], v[110:111], v[18:19] op_sel:[0,0,1] op_sel_hi:[1,0,0]
	s_waitcnt vmcnt(11)
	v_mov_b32_e32 v6, v107
	v_mov_b32_e32 v21, v7
	v_pk_mul_f32 v[6:7], v[8:9], v[6:7] op_sel_hi:[1,0]
	s_waitcnt vmcnt(10)
	v_pk_fma_f32 v[18:19], v[8:9], v[106:107], v[6:7] op_sel:[0,0,1] op_sel_hi:[1,1,0] neg_lo:[0,0,1] neg_hi:[0,0,1]
	v_pk_fma_f32 v[6:7], v[8:9], v[106:107], v[6:7] op_sel:[0,0,1] op_sel_hi:[1,0,0]
	s_waitcnt vmcnt(9)
	v_mov_b32_e32 v6, v103
	v_mov_b32_e32 v19, v7
	s_waitcnt lgkmcnt(2)
	v_pk_mul_f32 v[6:7], v[10:11], v[6:7] op_sel_hi:[1,0]
	s_waitcnt vmcnt(8)
	v_pk_fma_f32 v[8:9], v[10:11], v[102:103], v[6:7] op_sel:[0,0,1] op_sel_hi:[1,1,0] neg_lo:[0,0,1] neg_hi:[0,0,1]
	v_pk_fma_f32 v[6:7], v[10:11], v[102:103], v[6:7] op_sel:[0,0,1] op_sel_hi:[1,0,0]
	v_pk_add_f32 v[4:5], v[4:5], v[20:21]
	s_waitcnt vmcnt(7)
	v_mov_b32_e32 v6, v99
	v_pk_add_f32 v[4:5], v[4:5], v[18:19]
	v_mov_b32_e32 v9, v7
	v_pk_mul_f32 v[6:7], v[12:13], v[6:7] op_sel_hi:[1,0]
	v_pk_add_f32 v[4:5], v[4:5], v[8:9]
	s_waitcnt vmcnt(6)
	v_pk_fma_f32 v[8:9], v[12:13], v[98:99], v[6:7] op_sel:[0,0,1] op_sel_hi:[1,1,0] neg_lo:[0,0,1] neg_hi:[0,0,1]
	v_pk_fma_f32 v[6:7], v[12:13], v[98:99], v[6:7] op_sel:[0,0,1] op_sel_hi:[1,0,0]
	s_waitcnt vmcnt(5)
	v_mov_b32_e32 v6, v133
	v_mov_b32_e32 v9, v7
	s_waitcnt lgkmcnt(1)
	v_pk_mul_f32 v[6:7], v[14:15], v[6:7] op_sel_hi:[1,0]
	v_pk_add_f32 v[4:5], v[4:5], v[8:9]
	s_waitcnt vmcnt(4)
	v_pk_fma_f32 v[8:9], v[14:15], v[132:133], v[6:7] op_sel:[0,0,1] op_sel_hi:[1,1,0] neg_lo:[0,0,1] neg_hi:[0,0,1]
	v_pk_fma_f32 v[6:7], v[14:15], v[132:133], v[6:7] op_sel:[0,0,1] op_sel_hi:[1,0,0]
	s_waitcnt vmcnt(3)
	v_mov_b32_e32 v6, v135
	v_mov_b32_e32 v9, v7
	v_pk_mul_f32 v[6:7], v[16:17], v[6:7] op_sel_hi:[1,0]
	v_pk_add_f32 v[4:5], v[4:5], v[8:9]
	s_waitcnt vmcnt(2)
	v_pk_fma_f32 v[8:9], v[16:17], v[134:135], v[6:7] op_sel:[0,0,1] op_sel_hi:[1,1,0] neg_lo:[0,0,1] neg_hi:[0,0,1]
	v_pk_fma_f32 v[6:7], v[16:17], v[134:135], v[6:7] op_sel:[0,0,1] op_sel_hi:[1,0,0]
	s_waitcnt vmcnt(1)
	v_mov_b32_e32 v6, v113
	v_mov_b32_e32 v9, v7
	s_waitcnt lgkmcnt(0)
	v_pk_mul_f32 v[6:7], v[2:3], v[6:7] op_sel_hi:[1,0]
	v_pk_add_f32 v[4:5], v[4:5], v[8:9]
	s_waitcnt vmcnt(0)
	v_pk_fma_f32 v[8:9], v[2:3], v[112:113], v[6:7] op_sel:[0,0,1] op_sel_hi:[1,1,0] neg_lo:[0,0,1] neg_hi:[0,0,1]
	v_pk_fma_f32 v[2:3], v[2:3], v[112:113], v[6:7] op_sel:[0,0,1] op_sel_hi:[1,0,0]
	v_mov_b32_e32 v9, v3
	v_pk_add_f32 v[2:3], v[4:5], v[8:9]
	v_pk_add_f32 v[2:3], v[94:95], v[2:3] neg_lo:[0,1] neg_hi:[0,1]
	buffer_store_dword v3, off, s[0:3], 0 offset:84
	buffer_store_dword v2, off, s[0:3], 0 offset:80
	s_and_saveexec_b64 s[4:5], vcc
	s_cbranch_execz .LBB99_211
; %bb.210:
	buffer_load_dword v2, off, s[0:3], 0 offset:72
	buffer_load_dword v3, off, s[0:3], 0 offset:76
	s_waitcnt vmcnt(0)
	ds_write_b64 v1, v[2:3]
	buffer_store_dword v114, off, s[0:3], 0 offset:72
	buffer_store_dword v114, off, s[0:3], 0 offset:76
.LBB99_211:
	s_or_b64 exec, exec, s[4:5]
	s_waitcnt lgkmcnt(0)
	; wave barrier
	s_waitcnt lgkmcnt(0)
	buffer_load_dword v115, off, s[0:3], 0 offset:84
	buffer_load_dword v128, off, s[0:3], 0 offset:92
	;; [unrolled: 1-line block ×38, first 2 shown]
	ds_read_b128 v[2:5], v114 offset:368
	ds_read_b128 v[6:9], v114 offset:384
	;; [unrolled: 1-line block ×8, first 2 shown]
	buffer_load_dword v119, off, s[0:3], 0 offset:228
	buffer_load_dword v118, off, s[0:3], 0 offset:224
	;; [unrolled: 1-line block ×4, first 2 shown]
	v_cmp_lt_u32_e32 vcc, 8, v0
	s_waitcnt vmcnt(41) lgkmcnt(7)
	v_mul_f32_e32 v106, v2, v115
	s_waitcnt vmcnt(40)
	v_mul_f32_e32 v107, v4, v128
	s_waitcnt vmcnt(39) lgkmcnt(6)
	v_mul_f32_e32 v108, v6, v130
	s_waitcnt vmcnt(38)
	v_mul_f32_e32 v109, v8, v132
	s_waitcnt vmcnt(37) lgkmcnt(5)
	v_mul_f32_e32 v110, v10, v140
	s_waitcnt vmcnt(36)
	v_mul_f32_e32 v111, v12, v141
	s_waitcnt vmcnt(35) lgkmcnt(4)
	v_mul_f32_e32 v112, v14, v142
	s_waitcnt vmcnt(34)
	v_mul_f32_e32 v113, v16, v143
	s_waitcnt vmcnt(33) lgkmcnt(3)
	v_mul_f32_e32 v122, v18, v144
	s_waitcnt vmcnt(32)
	v_mul_f32_e32 v123, v20, v145
	s_waitcnt vmcnt(31) lgkmcnt(2)
	v_mul_f32_e32 v124, v94, v146
	s_waitcnt vmcnt(30)
	v_mul_f32_e32 v125, v96, v147
	s_waitcnt vmcnt(29) lgkmcnt(1)
	v_mul_f32_e32 v126, v98, v148
	s_waitcnt vmcnt(28)
	v_mul_f32_e32 v127, v100, v149
	s_waitcnt vmcnt(27) lgkmcnt(0)
	v_mul_f32_e32 v129, v102, v150
	s_waitcnt vmcnt(26)
	v_fmac_f32_e32 v106, v3, v151
	s_waitcnt vmcnt(25)
	v_fmac_f32_e32 v107, v5, v152
	v_add_f32_e32 v106, 0, v106
	s_waitcnt vmcnt(24)
	v_fmac_f32_e32 v108, v7, v153
	v_add_f32_e32 v106, v106, v107
	;; [unrolled: 3-line block ×13, first 2 shown]
	v_add_f32_e32 v106, v106, v127
	buffer_load_dword v123, off, s[0:3], 0 offset:252
	buffer_load_dword v122, off, s[0:3], 0 offset:248
	;; [unrolled: 1-line block ×6, first 2 shown]
	s_waitcnt vmcnt(18)
	v_fmac_f32_e32 v129, v103, v165
	s_waitcnt vmcnt(17)
	v_mul_f32_e32 v111, v104, v166
	v_add_f32_e32 v110, v106, v129
	s_waitcnt vmcnt(16)
	v_fmac_f32_e32 v111, v105, v167
	ds_read_b128 v[106:109], v114 offset:496
	v_add_f32_e32 v129, v110, v111
	ds_read_b128 v[110:113], v114 offset:512
	buffer_load_dword v135, off, s[0:3], 0 offset:284
	buffer_load_dword v134, off, s[0:3], 0 offset:280
	;; [unrolled: 1-line block ×6, first 2 shown]
	v_mul_f32_e32 v3, v3, v115
	v_fma_f32 v2, v2, v151, -v3
	v_mul_f32_e32 v3, v5, v128
	v_add_f32_e32 v2, 0, v2
	v_fma_f32 v3, v4, v152, -v3
	v_add_f32_e32 v2, v2, v3
	v_mul_f32_e32 v3, v7, v130
	v_fma_f32 v3, v6, v153, -v3
	v_add_f32_e32 v2, v2, v3
	v_mul_f32_e32 v3, v9, v132
	;; [unrolled: 3-line block ×14, first 2 shown]
	v_fma_f32 v3, v104, v167, -v3
	s_waitcnt vmcnt(15)
	v_mov_b32_e32 v16, v119
	s_waitcnt lgkmcnt(1)
	v_mul_f32_e32 v131, v106, v168
	v_add_f32_e32 v128, v2, v3
	v_mul_f32_e32 v2, v107, v168
	s_waitcnt lgkmcnt(0)
	v_pk_mul_f32 v[16:17], v[110:111], v[16:17] op_sel_hi:[1,0]
	v_fmac_f32_e32 v131, v107, v169
	v_mul_f32_e32 v133, v108, v170
	v_fma_f32 v130, v106, v169, -v2
	v_mul_f32_e32 v2, v109, v170
	s_waitcnt vmcnt(14)
	v_pk_fma_f32 v[18:19], v[110:111], v[118:119], v[16:17] op_sel:[0,0,1] op_sel_hi:[1,1,0] neg_lo:[0,0,1] neg_hi:[0,0,1]
	v_pk_fma_f32 v[16:17], v[110:111], v[118:119], v[16:17] op_sel:[0,0,1] op_sel_hi:[1,0,0]
	v_fmac_f32_e32 v133, v109, v171
	v_fma_f32 v132, v108, v171, -v2
	v_pk_add_f32 v[14:15], v[128:129], v[130:131]
	ds_read_b128 v[2:5], v114 offset:528
	ds_read_b128 v[6:9], v114 offset:544
	;; [unrolled: 1-line block ×3, first 2 shown]
	v_pk_add_f32 v[14:15], v[14:15], v[132:133]
	v_mov_b32_e32 v19, v17
	v_pk_add_f32 v[14:15], v[14:15], v[18:19]
	s_waitcnt vmcnt(7)
	v_mov_b32_e32 v16, v127
	v_pk_mul_f32 v[16:17], v[112:113], v[16:17] op_sel_hi:[1,0]
	s_waitcnt vmcnt(6)
	v_pk_fma_f32 v[18:19], v[112:113], v[126:127], v[16:17] op_sel:[0,0,1] op_sel_hi:[1,1,0] neg_lo:[0,0,1] neg_hi:[0,0,1]
	v_pk_fma_f32 v[16:17], v[112:113], v[126:127], v[16:17] op_sel:[0,0,1] op_sel_hi:[1,0,0]
	v_mov_b32_e32 v16, v125
	v_mov_b32_e32 v19, v17
	s_waitcnt lgkmcnt(2)
	v_pk_mul_f32 v[16:17], v[2:3], v[16:17] op_sel_hi:[1,0]
	v_pk_add_f32 v[14:15], v[14:15], v[18:19]
	v_pk_fma_f32 v[18:19], v[2:3], v[124:125], v[16:17] op_sel:[0,0,1] op_sel_hi:[1,1,0] neg_lo:[0,0,1] neg_hi:[0,0,1]
	v_pk_fma_f32 v[2:3], v[2:3], v[124:125], v[16:17] op_sel:[0,0,1] op_sel_hi:[1,0,0]
	v_mov_b32_e32 v19, v3
	v_pk_add_f32 v[2:3], v[14:15], v[18:19]
	v_mov_b32_e32 v14, v123
	v_pk_mul_f32 v[14:15], v[4:5], v[14:15] op_sel_hi:[1,0]
	v_pk_fma_f32 v[16:17], v[4:5], v[122:123], v[14:15] op_sel:[0,0,1] op_sel_hi:[1,1,0] neg_lo:[0,0,1] neg_hi:[0,0,1]
	v_pk_fma_f32 v[4:5], v[4:5], v[122:123], v[14:15] op_sel:[0,0,1] op_sel_hi:[1,0,0]
	v_mov_b32_e32 v4, v121
	v_mov_b32_e32 v17, v5
	s_waitcnt lgkmcnt(1)
	v_pk_mul_f32 v[4:5], v[6:7], v[4:5] op_sel_hi:[1,0]
	v_pk_fma_f32 v[14:15], v[6:7], v[120:121], v[4:5] op_sel:[0,0,1] op_sel_hi:[1,1,0] neg_lo:[0,0,1] neg_hi:[0,0,1]
	v_pk_fma_f32 v[4:5], v[6:7], v[120:121], v[4:5] op_sel:[0,0,1] op_sel_hi:[1,0,0]
	s_waitcnt vmcnt(1)
	v_mov_b32_e32 v4, v139
	v_mov_b32_e32 v15, v5
	v_pk_mul_f32 v[4:5], v[8:9], v[4:5] op_sel_hi:[1,0]
	s_waitcnt vmcnt(0)
	v_pk_fma_f32 v[6:7], v[8:9], v[138:139], v[4:5] op_sel:[0,0,1] op_sel_hi:[1,1,0] neg_lo:[0,0,1] neg_hi:[0,0,1]
	v_pk_fma_f32 v[4:5], v[8:9], v[138:139], v[4:5] op_sel:[0,0,1] op_sel_hi:[1,0,0]
	v_pk_add_f32 v[2:3], v[2:3], v[16:17]
	v_mov_b32_e32 v4, v137
	v_pk_add_f32 v[2:3], v[2:3], v[14:15]
	v_mov_b32_e32 v7, v5
	s_waitcnt lgkmcnt(0)
	v_pk_mul_f32 v[4:5], v[10:11], v[4:5] op_sel_hi:[1,0]
	v_pk_add_f32 v[2:3], v[2:3], v[6:7]
	v_pk_fma_f32 v[6:7], v[10:11], v[136:137], v[4:5] op_sel:[0,0,1] op_sel_hi:[1,1,0] neg_lo:[0,0,1] neg_hi:[0,0,1]
	v_pk_fma_f32 v[4:5], v[10:11], v[136:137], v[4:5] op_sel:[0,0,1] op_sel_hi:[1,0,0]
	v_mov_b32_e32 v4, v135
	v_mov_b32_e32 v7, v5
	v_pk_mul_f32 v[4:5], v[12:13], v[4:5] op_sel_hi:[1,0]
	v_pk_add_f32 v[2:3], v[2:3], v[6:7]
	v_pk_fma_f32 v[6:7], v[12:13], v[134:135], v[4:5] op_sel:[0,0,1] op_sel_hi:[1,1,0] neg_lo:[0,0,1] neg_hi:[0,0,1]
	v_pk_fma_f32 v[4:5], v[12:13], v[134:135], v[4:5] op_sel:[0,0,1] op_sel_hi:[1,0,0]
	v_mov_b32_e32 v7, v5
	v_pk_add_f32 v[2:3], v[2:3], v[6:7]
	v_pk_add_f32 v[2:3], v[116:117], v[2:3] neg_lo:[0,1] neg_hi:[0,1]
	buffer_store_dword v3, off, s[0:3], 0 offset:76
	buffer_store_dword v2, off, s[0:3], 0 offset:72
	s_and_saveexec_b64 s[4:5], vcc
	s_cbranch_execz .LBB99_213
; %bb.212:
	buffer_load_dword v2, off, s[0:3], 0 offset:64
	buffer_load_dword v3, off, s[0:3], 0 offset:68
	v_mov_b32_e32 v4, 0
	buffer_store_dword v4, off, s[0:3], 0 offset:64
	buffer_store_dword v4, off, s[0:3], 0 offset:68
	s_waitcnt vmcnt(2)
	ds_write_b64 v1, v[2:3]
.LBB99_213:
	s_or_b64 exec, exec, s[4:5]
	s_waitcnt lgkmcnt(0)
	; wave barrier
	s_waitcnt lgkmcnt(0)
	buffer_load_dword v5, off, s[0:3], 0 offset:76
	buffer_load_dword v126, off, s[0:3], 0 offset:84
	;; [unrolled: 1-line block ×40, first 2 shown]
	v_mov_b32_e32 v4, 0
	ds_read2_b64 v[6:9], v4 offset0:45 offset1:46
	ds_read2_b64 v[10:13], v4 offset0:47 offset1:48
	;; [unrolled: 1-line block ×8, first 2 shown]
	v_cmp_lt_u32_e32 vcc, 7, v0
	s_waitcnt vmcnt(39) lgkmcnt(7)
	v_mul_f32_e32 v110, v6, v5
	s_waitcnt vmcnt(38)
	v_mul_f32_e32 v111, v8, v126
	s_waitcnt vmcnt(37) lgkmcnt(6)
	v_mul_f32_e32 v112, v10, v128
	s_waitcnt vmcnt(36)
	v_mul_f32_e32 v113, v12, v130
	;; [unrolled: 4-line block ×8, first 2 shown]
	s_waitcnt vmcnt(23)
	v_fmac_f32_e32 v110, v7, v152
	s_waitcnt vmcnt(22)
	v_fmac_f32_e32 v111, v9, v153
	v_add_f32_e32 v110, 0, v110
	s_waitcnt vmcnt(21)
	v_fmac_f32_e32 v112, v11, v154
	v_add_f32_e32 v110, v110, v111
	s_waitcnt vmcnt(20)
	v_fmac_f32_e32 v113, v13, v155
	v_add_f32_e32 v110, v110, v112
	s_waitcnt vmcnt(19)
	v_fmac_f32_e32 v114, v15, v156
	v_add_f32_e32 v110, v110, v113
	s_waitcnt vmcnt(18)
	v_fmac_f32_e32 v115, v17, v157
	v_add_f32_e32 v110, v110, v114
	s_waitcnt vmcnt(17)
	v_fmac_f32_e32 v116, v19, v158
	v_add_f32_e32 v110, v110, v115
	s_waitcnt vmcnt(16)
	v_fmac_f32_e32 v117, v21, v159
	v_add_f32_e32 v110, v110, v116
	s_waitcnt vmcnt(15)
	v_fmac_f32_e32 v118, v95, v160
	v_add_f32_e32 v110, v110, v117
	s_waitcnt vmcnt(14)
	v_fmac_f32_e32 v119, v97, v161
	v_add_f32_e32 v110, v110, v118
	s_waitcnt vmcnt(13)
	v_fmac_f32_e32 v120, v99, v162
	v_add_f32_e32 v110, v110, v119
	s_waitcnt vmcnt(12)
	v_fmac_f32_e32 v121, v101, v163
	v_add_f32_e32 v110, v110, v120
	s_waitcnt vmcnt(11)
	v_fmac_f32_e32 v122, v103, v164
	v_add_f32_e32 v110, v110, v121
	s_waitcnt vmcnt(10)
	v_fmac_f32_e32 v123, v105, v165
	v_add_f32_e32 v110, v110, v122
	s_waitcnt vmcnt(9)
	v_fmac_f32_e32 v124, v107, v166
	v_add_f32_e32 v110, v110, v123
	v_add_f32_e32 v110, v110, v124
	s_waitcnt vmcnt(8)
	v_fmac_f32_e32 v125, v109, v167
	v_add_f32_e32 v127, v110, v125
	ds_read2_b64 v[110:113], v4 offset0:61 offset1:62
	buffer_load_dword v119, off, s[0:3], 0 offset:228
	buffer_load_dword v121, off, s[0:3], 0 offset:252
	;; [unrolled: 1-line block ×8, first 2 shown]
	ds_read2_b64 v[114:117], v4 offset0:63 offset1:64
	buffer_load_dword v133, off, s[0:3], 0 offset:284
	buffer_load_dword v132, off, s[0:3], 0 offset:280
	;; [unrolled: 1-line block ×8, first 2 shown]
	v_mul_f32_e32 v5, v7, v5
	v_fma_f32 v5, v6, v152, -v5
	v_mul_f32_e32 v6, v9, v126
	v_add_f32_e32 v5, 0, v5
	v_fma_f32 v6, v8, v153, -v6
	v_add_f32_e32 v5, v5, v6
	v_mul_f32_e32 v6, v11, v128
	v_fma_f32 v6, v10, v154, -v6
	v_add_f32_e32 v5, v5, v6
	v_mul_f32_e32 v6, v13, v130
	;; [unrolled: 3-line block ×14, first 2 shown]
	v_fma_f32 v6, v108, v167, -v6
	s_waitcnt vmcnt(23) lgkmcnt(1)
	v_mul_f32_e32 v129, v110, v168
	v_add_f32_e32 v5, v5, v6
	v_mul_f32_e32 v6, v111, v168
	s_waitcnt vmcnt(22)
	v_fmac_f32_e32 v129, v111, v169
	v_fma_f32 v6, v110, v169, -v6
	v_add_f32_e32 v127, v127, v129
	s_waitcnt vmcnt(21)
	v_mul_f32_e32 v129, v112, v170
	v_add_f32_e32 v126, v5, v6
	v_mul_f32_e32 v5, v113, v170
	s_waitcnt vmcnt(20)
	v_fmac_f32_e32 v129, v113, v171
	s_waitcnt vmcnt(19) lgkmcnt(0)
	v_mul_f32_e32 v131, v114, v172
	v_fma_f32 v128, v112, v171, -v5
	v_mul_f32_e32 v5, v115, v172
	ds_read2_b64 v[6:9], v4 offset0:65 offset1:66
	ds_read2_b64 v[10:13], v4 offset0:67 offset1:68
	;; [unrolled: 1-line block ×3, first 2 shown]
	ds_read_b64 v[18:19], v4 offset:568
	s_waitcnt vmcnt(18)
	v_fmac_f32_e32 v131, v115, v173
	v_fma_f32 v130, v114, v173, -v5
	v_pk_add_f32 v[20:21], v[126:127], v[128:129]
	v_pk_add_f32 v[20:21], v[20:21], v[130:131]
	s_waitcnt vmcnt(15)
	v_mov_b32_e32 v94, v119
	v_pk_mul_f32 v[94:95], v[116:117], v[94:95] op_sel_hi:[1,0]
	s_waitcnt vmcnt(8)
	v_pk_fma_f32 v[96:97], v[116:117], v[118:119], v[94:95] op_sel:[0,0,1] op_sel_hi:[1,1,0] neg_lo:[0,0,1] neg_hi:[0,0,1]
	v_pk_fma_f32 v[94:95], v[116:117], v[118:119], v[94:95] op_sel:[0,0,1] op_sel_hi:[1,0,0]
	v_mov_b32_e32 v94, v125
	v_mov_b32_e32 v97, v95
	s_waitcnt lgkmcnt(3)
	v_pk_mul_f32 v[94:95], v[6:7], v[94:95] op_sel_hi:[1,0]
	v_pk_add_f32 v[20:21], v[20:21], v[96:97]
	v_pk_fma_f32 v[96:97], v[6:7], v[124:125], v[94:95] op_sel:[0,0,1] op_sel_hi:[1,1,0] neg_lo:[0,0,1] neg_hi:[0,0,1]
	v_pk_fma_f32 v[6:7], v[6:7], v[124:125], v[94:95] op_sel:[0,0,1] op_sel_hi:[1,0,0]
	v_mov_b32_e32 v97, v7
	v_pk_add_f32 v[6:7], v[20:21], v[96:97]
	v_mov_b32_e32 v20, v123
	v_pk_mul_f32 v[20:21], v[8:9], v[20:21] op_sel_hi:[1,0]
	v_pk_fma_f32 v[94:95], v[8:9], v[122:123], v[20:21] op_sel:[0,0,1] op_sel_hi:[1,1,0] neg_lo:[0,0,1] neg_hi:[0,0,1]
	v_pk_fma_f32 v[8:9], v[8:9], v[122:123], v[20:21] op_sel:[0,0,1] op_sel_hi:[1,0,0]
	v_mov_b32_e32 v8, v121
	v_mov_b32_e32 v95, v9
	s_waitcnt lgkmcnt(2)
	v_pk_mul_f32 v[8:9], v[10:11], v[8:9] op_sel_hi:[1,0]
	v_pk_fma_f32 v[20:21], v[10:11], v[120:121], v[8:9] op_sel:[0,0,1] op_sel_hi:[1,1,0] neg_lo:[0,0,1] neg_hi:[0,0,1]
	v_pk_fma_f32 v[8:9], v[10:11], v[120:121], v[8:9] op_sel:[0,0,1] op_sel_hi:[1,0,0]
	s_waitcnt vmcnt(1)
	v_mov_b32_e32 v8, v139
	v_mov_b32_e32 v21, v9
	v_pk_mul_f32 v[8:9], v[12:13], v[8:9] op_sel_hi:[1,0]
	s_waitcnt vmcnt(0)
	v_pk_fma_f32 v[10:11], v[12:13], v[138:139], v[8:9] op_sel:[0,0,1] op_sel_hi:[1,1,0] neg_lo:[0,0,1] neg_hi:[0,0,1]
	v_pk_fma_f32 v[8:9], v[12:13], v[138:139], v[8:9] op_sel:[0,0,1] op_sel_hi:[1,0,0]
	v_pk_add_f32 v[6:7], v[6:7], v[94:95]
	v_mov_b32_e32 v8, v137
	v_pk_add_f32 v[6:7], v[6:7], v[20:21]
	v_mov_b32_e32 v11, v9
	s_waitcnt lgkmcnt(1)
	v_pk_mul_f32 v[8:9], v[14:15], v[8:9] op_sel_hi:[1,0]
	v_pk_add_f32 v[6:7], v[6:7], v[10:11]
	v_pk_fma_f32 v[10:11], v[14:15], v[136:137], v[8:9] op_sel:[0,0,1] op_sel_hi:[1,1,0] neg_lo:[0,0,1] neg_hi:[0,0,1]
	v_pk_fma_f32 v[8:9], v[14:15], v[136:137], v[8:9] op_sel:[0,0,1] op_sel_hi:[1,0,0]
	v_mov_b32_e32 v8, v135
	v_mov_b32_e32 v11, v9
	v_pk_mul_f32 v[8:9], v[16:17], v[8:9] op_sel_hi:[1,0]
	v_pk_add_f32 v[6:7], v[6:7], v[10:11]
	v_pk_fma_f32 v[10:11], v[16:17], v[134:135], v[8:9] op_sel:[0,0,1] op_sel_hi:[1,1,0] neg_lo:[0,0,1] neg_hi:[0,0,1]
	v_pk_fma_f32 v[8:9], v[16:17], v[134:135], v[8:9] op_sel:[0,0,1] op_sel_hi:[1,0,0]
	v_mov_b32_e32 v8, v133
	v_mov_b32_e32 v11, v9
	s_waitcnt lgkmcnt(0)
	v_pk_mul_f32 v[8:9], v[18:19], v[8:9] op_sel_hi:[1,0]
	v_pk_add_f32 v[6:7], v[6:7], v[10:11]
	v_pk_fma_f32 v[10:11], v[18:19], v[132:133], v[8:9] op_sel:[0,0,1] op_sel_hi:[1,1,0] neg_lo:[0,0,1] neg_hi:[0,0,1]
	v_pk_fma_f32 v[8:9], v[18:19], v[132:133], v[8:9] op_sel:[0,0,1] op_sel_hi:[1,0,0]
	v_mov_b32_e32 v11, v9
	v_pk_add_f32 v[6:7], v[6:7], v[10:11]
	v_pk_add_f32 v[2:3], v[2:3], v[6:7] neg_lo:[0,1] neg_hi:[0,1]
	buffer_store_dword v3, off, s[0:3], 0 offset:68
	buffer_store_dword v2, off, s[0:3], 0 offset:64
	s_and_saveexec_b64 s[4:5], vcc
	s_cbranch_execz .LBB99_215
; %bb.214:
	buffer_load_dword v2, off, s[0:3], 0 offset:56
	buffer_load_dword v3, off, s[0:3], 0 offset:60
	s_waitcnt vmcnt(0)
	ds_write_b64 v1, v[2:3]
	buffer_store_dword v4, off, s[0:3], 0 offset:56
	buffer_store_dword v4, off, s[0:3], 0 offset:60
.LBB99_215:
	s_or_b64 exec, exec, s[4:5]
	s_waitcnt lgkmcnt(0)
	; wave barrier
	s_waitcnt lgkmcnt(0)
	buffer_load_dword v5, off, s[0:3], 0 offset:68
	buffer_load_dword v118, off, s[0:3], 0 offset:76
	;; [unrolled: 1-line block ×42, first 2 shown]
	ds_read_b128 v[6:9], v4 offset:352
	ds_read_b128 v[10:13], v4 offset:368
	;; [unrolled: 1-line block ×8, first 2 shown]
	v_cmp_lt_u32_e32 vcc, 6, v0
	s_waitcnt vmcnt(41) lgkmcnt(7)
	v_mul_f32_e32 v110, v6, v5
	s_waitcnt vmcnt(40)
	v_mul_f32_e32 v111, v8, v118
	s_waitcnt vmcnt(39) lgkmcnt(6)
	v_mul_f32_e32 v112, v10, v120
	s_waitcnt vmcnt(38)
	v_mul_f32_e32 v113, v12, v128
	;; [unrolled: 4-line block ×7, first 2 shown]
	s_waitcnt vmcnt(27) lgkmcnt(0)
	v_mul_f32_e32 v126, v106, v150
	s_waitcnt vmcnt(26)
	v_fmac_f32_e32 v110, v7, v151
	s_waitcnt vmcnt(25)
	v_fmac_f32_e32 v111, v9, v152
	v_add_f32_e32 v110, 0, v110
	s_waitcnt vmcnt(24)
	v_fmac_f32_e32 v112, v11, v153
	v_add_f32_e32 v110, v110, v111
	;; [unrolled: 3-line block ×14, first 2 shown]
	s_waitcnt vmcnt(11)
	v_mul_f32_e32 v115, v108, v166
	v_add_f32_e32 v114, v110, v126
	s_waitcnt vmcnt(10)
	v_fmac_f32_e32 v115, v109, v167
	ds_read_b128 v[110:113], v4 offset:480
	v_add_f32_e32 v119, v114, v115
	ds_read_b128 v[114:117], v4 offset:496
	buffer_load_dword v123, off, s[0:3], 0 offset:228
	buffer_load_dword v125, off, s[0:3], 0 offset:244
	;; [unrolled: 1-line block ×16, first 2 shown]
	v_mul_f32_e32 v5, v7, v5
	v_fma_f32 v5, v6, v151, -v5
	v_mul_f32_e32 v6, v9, v118
	v_add_f32_e32 v5, 0, v5
	v_fma_f32 v6, v8, v152, -v6
	v_add_f32_e32 v5, v5, v6
	v_mul_f32_e32 v6, v11, v120
	v_fma_f32 v6, v10, v153, -v6
	v_add_f32_e32 v5, v5, v6
	v_mul_f32_e32 v6, v13, v128
	v_fma_f32 v6, v12, v154, -v6
	v_add_f32_e32 v5, v5, v6
	v_mul_f32_e32 v6, v15, v140
	v_fma_f32 v6, v14, v155, -v6
	v_add_f32_e32 v5, v5, v6
	v_mul_f32_e32 v6, v17, v141
	v_fma_f32 v6, v16, v156, -v6
	v_add_f32_e32 v5, v5, v6
	v_mul_f32_e32 v6, v19, v142
	v_fma_f32 v6, v18, v157, -v6
	v_add_f32_e32 v5, v5, v6
	v_mul_f32_e32 v6, v21, v143
	v_fma_f32 v6, v20, v158, -v6
	v_add_f32_e32 v5, v5, v6
	v_mul_f32_e32 v6, v95, v144
	v_fma_f32 v6, v94, v159, -v6
	v_add_f32_e32 v5, v5, v6
	v_mul_f32_e32 v6, v97, v145
	v_fma_f32 v6, v96, v160, -v6
	v_add_f32_e32 v5, v5, v6
	v_mul_f32_e32 v6, v99, v146
	v_fma_f32 v6, v98, v161, -v6
	v_add_f32_e32 v5, v5, v6
	v_mul_f32_e32 v6, v101, v147
	v_fma_f32 v6, v100, v162, -v6
	v_add_f32_e32 v5, v5, v6
	v_mul_f32_e32 v6, v103, v148
	v_fma_f32 v6, v102, v163, -v6
	v_add_f32_e32 v5, v5, v6
	v_mul_f32_e32 v6, v105, v149
	v_fma_f32 v6, v104, v164, -v6
	v_add_f32_e32 v5, v5, v6
	v_mul_f32_e32 v6, v107, v150
	v_fma_f32 v6, v106, v165, -v6
	v_add_f32_e32 v5, v5, v6
	v_mul_f32_e32 v6, v109, v166
	v_fma_f32 v6, v108, v167, -v6
	v_add_f32_e32 v5, v5, v6
	s_waitcnt vmcnt(25) lgkmcnt(1)
	v_mul_f32_e32 v6, v111, v168
	s_waitcnt vmcnt(24)
	v_fma_f32 v6, v110, v169, -v6
	v_add_f32_e32 v5, v5, v6
	s_waitcnt vmcnt(23)
	v_mul_f32_e32 v6, v113, v170
	s_waitcnt vmcnt(22)
	v_fma_f32 v6, v112, v171, -v6
	v_add_f32_e32 v118, v5, v6
	ds_read_b128 v[6:9], v4 offset:512
	ds_read_b128 v[10:13], v4 offset:528
	;; [unrolled: 1-line block ×4, first 2 shown]
	v_mul_f32_e32 v121, v110, v168
	v_fmac_f32_e32 v121, v111, v169
	v_add_f32_e32 v119, v119, v121
	v_mul_f32_e32 v121, v112, v170
	v_fmac_f32_e32 v121, v113, v171
	v_add_f32_e32 v119, v119, v121
	s_waitcnt vmcnt(21) lgkmcnt(4)
	v_mul_f32_e32 v121, v114, v172
	v_mul_f32_e32 v5, v115, v172
	s_waitcnt vmcnt(20)
	v_fmac_f32_e32 v121, v115, v173
	s_waitcnt vmcnt(19)
	v_mul_f32_e32 v129, v116, v174
	v_fma_f32 v120, v114, v173, -v5
	v_mul_f32_e32 v5, v117, v174
	s_waitcnt vmcnt(18)
	v_fmac_f32_e32 v129, v117, v175
	v_fma_f32 v128, v116, v175, -v5
	v_pk_add_f32 v[4:5], v[118:119], v[120:121]
	v_pk_add_f32 v[4:5], v[4:5], v[128:129]
	s_waitcnt vmcnt(15)
	v_mov_b32_e32 v94, v123
	s_waitcnt lgkmcnt(3)
	v_pk_mul_f32 v[94:95], v[6:7], v[94:95] op_sel_hi:[1,0]
	s_waitcnt vmcnt(10)
	v_pk_fma_f32 v[96:97], v[6:7], v[122:123], v[94:95] op_sel:[0,0,1] op_sel_hi:[1,1,0] neg_lo:[0,0,1] neg_hi:[0,0,1]
	v_pk_fma_f32 v[6:7], v[6:7], v[122:123], v[94:95] op_sel:[0,0,1] op_sel_hi:[1,0,0]
	v_mov_b32_e32 v6, v127
	v_mov_b32_e32 v97, v7
	v_pk_mul_f32 v[6:7], v[8:9], v[6:7] op_sel_hi:[1,0]
	v_pk_fma_f32 v[94:95], v[8:9], v[126:127], v[6:7] op_sel:[0,0,1] op_sel_hi:[1,1,0] neg_lo:[0,0,1] neg_hi:[0,0,1]
	v_pk_fma_f32 v[6:7], v[8:9], v[126:127], v[6:7] op_sel:[0,0,1] op_sel_hi:[1,0,0]
	v_mov_b32_e32 v6, v125
	v_mov_b32_e32 v95, v7
	s_waitcnt lgkmcnt(2)
	v_pk_mul_f32 v[6:7], v[10:11], v[6:7] op_sel_hi:[1,0]
	v_pk_fma_f32 v[8:9], v[10:11], v[124:125], v[6:7] op_sel:[0,0,1] op_sel_hi:[1,1,0] neg_lo:[0,0,1] neg_hi:[0,0,1]
	v_pk_fma_f32 v[6:7], v[10:11], v[124:125], v[6:7] op_sel:[0,0,1] op_sel_hi:[1,0,0]
	v_pk_add_f32 v[4:5], v[4:5], v[96:97]
	s_waitcnt vmcnt(3)
	v_mov_b32_e32 v6, v137
	v_pk_add_f32 v[4:5], v[4:5], v[94:95]
	v_mov_b32_e32 v9, v7
	v_pk_mul_f32 v[6:7], v[12:13], v[6:7] op_sel_hi:[1,0]
	v_pk_add_f32 v[4:5], v[4:5], v[8:9]
	s_waitcnt vmcnt(2)
	v_pk_fma_f32 v[8:9], v[12:13], v[136:137], v[6:7] op_sel:[0,0,1] op_sel_hi:[1,1,0] neg_lo:[0,0,1] neg_hi:[0,0,1]
	v_pk_fma_f32 v[6:7], v[12:13], v[136:137], v[6:7] op_sel:[0,0,1] op_sel_hi:[1,0,0]
	v_mov_b32_e32 v6, v135
	v_mov_b32_e32 v9, v7
	s_waitcnt lgkmcnt(1)
	v_pk_mul_f32 v[6:7], v[14:15], v[6:7] op_sel_hi:[1,0]
	v_pk_add_f32 v[4:5], v[4:5], v[8:9]
	v_pk_fma_f32 v[8:9], v[14:15], v[134:135], v[6:7] op_sel:[0,0,1] op_sel_hi:[1,1,0] neg_lo:[0,0,1] neg_hi:[0,0,1]
	v_pk_fma_f32 v[6:7], v[14:15], v[134:135], v[6:7] op_sel:[0,0,1] op_sel_hi:[1,0,0]
	v_mov_b32_e32 v6, v133
	v_mov_b32_e32 v9, v7
	v_pk_mul_f32 v[6:7], v[16:17], v[6:7] op_sel_hi:[1,0]
	v_pk_add_f32 v[4:5], v[4:5], v[8:9]
	v_pk_fma_f32 v[8:9], v[16:17], v[132:133], v[6:7] op_sel:[0,0,1] op_sel_hi:[1,1,0] neg_lo:[0,0,1] neg_hi:[0,0,1]
	v_pk_fma_f32 v[6:7], v[16:17], v[132:133], v[6:7] op_sel:[0,0,1] op_sel_hi:[1,0,0]
	v_mov_b32_e32 v6, v131
	v_mov_b32_e32 v9, v7
	s_waitcnt lgkmcnt(0)
	v_pk_mul_f32 v[6:7], v[18:19], v[6:7] op_sel_hi:[1,0]
	v_pk_add_f32 v[4:5], v[4:5], v[8:9]
	v_pk_fma_f32 v[8:9], v[18:19], v[130:131], v[6:7] op_sel:[0,0,1] op_sel_hi:[1,1,0] neg_lo:[0,0,1] neg_hi:[0,0,1]
	v_pk_fma_f32 v[6:7], v[18:19], v[130:131], v[6:7] op_sel:[0,0,1] op_sel_hi:[1,0,0]
	s_waitcnt vmcnt(1)
	v_mov_b32_e32 v6, v139
	v_mov_b32_e32 v9, v7
	v_pk_mul_f32 v[6:7], v[20:21], v[6:7] op_sel_hi:[1,0]
	v_pk_add_f32 v[4:5], v[4:5], v[8:9]
	s_waitcnt vmcnt(0)
	v_pk_fma_f32 v[8:9], v[20:21], v[138:139], v[6:7] op_sel:[0,0,1] op_sel_hi:[1,1,0] neg_lo:[0,0,1] neg_hi:[0,0,1]
	v_pk_fma_f32 v[6:7], v[20:21], v[138:139], v[6:7] op_sel:[0,0,1] op_sel_hi:[1,0,0]
	v_mov_b32_e32 v9, v7
	v_pk_add_f32 v[4:5], v[4:5], v[8:9]
	v_pk_add_f32 v[2:3], v[2:3], v[4:5] neg_lo:[0,1] neg_hi:[0,1]
	buffer_store_dword v3, off, s[0:3], 0 offset:60
	buffer_store_dword v2, off, s[0:3], 0 offset:56
	s_and_saveexec_b64 s[4:5], vcc
	s_cbranch_execz .LBB99_217
; %bb.216:
	buffer_load_dword v2, off, s[0:3], 0 offset:48
	buffer_load_dword v3, off, s[0:3], 0 offset:52
	v_mov_b32_e32 v4, 0
	buffer_store_dword v4, off, s[0:3], 0 offset:48
	buffer_store_dword v4, off, s[0:3], 0 offset:52
	s_waitcnt vmcnt(2)
	ds_write_b64 v1, v[2:3]
.LBB99_217:
	s_or_b64 exec, exec, s[4:5]
	s_waitcnt lgkmcnt(0)
	; wave barrier
	s_waitcnt lgkmcnt(0)
	buffer_load_dword v5, off, s[0:3], 0 offset:60
	buffer_load_dword v126, off, s[0:3], 0 offset:68
	;; [unrolled: 1-line block ×44, first 2 shown]
	v_mov_b32_e32 v4, 0
	ds_read2_b64 v[6:9], v4 offset0:43 offset1:44
	ds_read2_b64 v[10:13], v4 offset0:45 offset1:46
	;; [unrolled: 1-line block ×8, first 2 shown]
	v_cmp_lt_u32_e32 vcc, 5, v0
	s_waitcnt vmcnt(43) lgkmcnt(7)
	v_mul_f32_e32 v110, v6, v5
	s_waitcnt vmcnt(42)
	v_mul_f32_e32 v111, v8, v126
	s_waitcnt vmcnt(41) lgkmcnt(6)
	v_mul_f32_e32 v112, v10, v132
	s_waitcnt vmcnt(40)
	v_mul_f32_e32 v113, v12, v134
	;; [unrolled: 4-line block ×7, first 2 shown]
	s_waitcnt vmcnt(29)
	v_fmac_f32_e32 v110, v7, v158
	s_waitcnt vmcnt(28)
	v_fmac_f32_e32 v111, v9, v159
	v_add_f32_e32 v110, 0, v110
	s_waitcnt vmcnt(27)
	v_fmac_f32_e32 v112, v11, v160
	v_add_f32_e32 v110, v110, v111
	s_waitcnt vmcnt(26)
	v_fmac_f32_e32 v113, v13, v161
	v_add_f32_e32 v110, v110, v112
	s_waitcnt vmcnt(25)
	v_fmac_f32_e32 v114, v15, v162
	v_add_f32_e32 v110, v110, v113
	s_waitcnt vmcnt(24)
	v_fmac_f32_e32 v115, v17, v163
	v_add_f32_e32 v110, v110, v114
	s_waitcnt vmcnt(23)
	v_fmac_f32_e32 v116, v19, v164
	v_add_f32_e32 v110, v110, v115
	s_waitcnt vmcnt(22)
	v_fmac_f32_e32 v117, v21, v165
	v_add_f32_e32 v110, v110, v116
	s_waitcnt vmcnt(21)
	v_fmac_f32_e32 v118, v95, v166
	v_add_f32_e32 v110, v110, v117
	s_waitcnt vmcnt(20)
	v_fmac_f32_e32 v119, v97, v167
	v_add_f32_e32 v110, v110, v118
	s_waitcnt vmcnt(19)
	v_fmac_f32_e32 v120, v99, v168
	v_add_f32_e32 v110, v110, v119
	s_waitcnt vmcnt(18)
	v_fmac_f32_e32 v121, v101, v169
	v_add_f32_e32 v110, v110, v120
	s_waitcnt vmcnt(17)
	v_fmac_f32_e32 v122, v103, v170
	v_add_f32_e32 v110, v110, v121
	v_add_f32_e32 v110, v110, v122
	s_waitcnt vmcnt(16)
	v_fmac_f32_e32 v123, v105, v171
	s_waitcnt vmcnt(15) lgkmcnt(0)
	v_mul_f32_e32 v111, v106, v172
	v_add_f32_e32 v110, v110, v123
	s_waitcnt vmcnt(14)
	v_fmac_f32_e32 v111, v107, v173
	v_add_f32_e32 v114, v110, v111
	ds_read2_b64 v[110:113], v4 offset0:59 offset1:60
	s_waitcnt vmcnt(13)
	v_mul_f32_e32 v115, v108, v174
	s_waitcnt vmcnt(12)
	v_fmac_f32_e32 v115, v109, v175
	v_add_f32_e32 v118, v114, v115
	ds_read2_b64 v[114:117], v4 offset0:61 offset1:62
	s_waitcnt vmcnt(11) lgkmcnt(1)
	v_mul_f32_e32 v119, v110, v176
	s_waitcnt vmcnt(10)
	v_fmac_f32_e32 v119, v111, v177
	v_add_f32_e32 v118, v118, v119
	s_waitcnt vmcnt(9)
	v_mul_f32_e32 v119, v112, v178
	s_waitcnt vmcnt(8)
	v_fmac_f32_e32 v119, v113, v179
	v_add_f32_e32 v118, v118, v119
	s_waitcnt vmcnt(7) lgkmcnt(0)
	v_mul_f32_e32 v119, v114, v180
	s_waitcnt vmcnt(6)
	v_fmac_f32_e32 v119, v115, v181
	v_add_f32_e32 v127, v118, v119
	ds_read2_b64 v[118:121], v4 offset0:63 offset1:64
	buffer_load_dword v129, off, s[0:3], 0 offset:236
	buffer_load_dword v128, off, s[0:3], 0 offset:232
	;; [unrolled: 1-line block ×4, first 2 shown]
	ds_read2_b64 v[122:125], v4 offset0:65 offset1:66
	buffer_load_dword v137, off, s[0:3], 0 offset:268
	buffer_load_dword v136, off, s[0:3], 0 offset:264
	;; [unrolled: 1-line block ×12, first 2 shown]
	v_mul_f32_e32 v5, v7, v5
	v_fma_f32 v5, v6, v158, -v5
	v_mul_f32_e32 v6, v9, v126
	v_add_f32_e32 v5, 0, v5
	v_fma_f32 v6, v8, v159, -v6
	v_add_f32_e32 v5, v5, v6
	v_mul_f32_e32 v6, v11, v132
	v_fma_f32 v6, v10, v160, -v6
	v_add_f32_e32 v5, v5, v6
	v_mul_f32_e32 v6, v13, v134
	;; [unrolled: 3-line block ×17, first 2 shown]
	v_fma_f32 v6, v114, v181, -v6
	s_waitcnt vmcnt(21)
	v_mul_f32_e32 v133, v116, v182
	v_add_f32_e32 v126, v5, v6
	v_mul_f32_e32 v5, v117, v182
	s_waitcnt vmcnt(20)
	v_fmac_f32_e32 v133, v117, v183
	s_waitcnt vmcnt(19) lgkmcnt(1)
	v_mul_f32_e32 v135, v118, v184
	v_fma_f32 v132, v116, v183, -v5
	v_mul_f32_e32 v5, v119, v184
	s_waitcnt vmcnt(18)
	v_fmac_f32_e32 v135, v119, v185
	v_fma_f32 v134, v118, v185, -v5
	v_pk_add_f32 v[16:17], v[126:127], v[132:133]
	v_pk_add_f32 v[16:17], v[16:17], v[134:135]
	ds_read2_b64 v[6:9], v4 offset0:67 offset1:68
	ds_read2_b64 v[10:13], v4 offset0:69 offset1:70
	ds_read_b64 v[14:15], v4 offset:568
	s_waitcnt vmcnt(13)
	v_mov_b32_e32 v18, v131
	v_pk_mul_f32 v[18:19], v[120:121], v[18:19] op_sel_hi:[1,0]
	s_waitcnt vmcnt(12)
	v_pk_fma_f32 v[20:21], v[120:121], v[130:131], v[18:19] op_sel:[0,0,1] op_sel_hi:[1,1,0] neg_lo:[0,0,1] neg_hi:[0,0,1]
	v_pk_fma_f32 v[18:19], v[120:121], v[130:131], v[18:19] op_sel:[0,0,1] op_sel_hi:[1,0,0]
	v_mov_b32_e32 v18, v129
	v_mov_b32_e32 v21, v19
	s_waitcnt lgkmcnt(3)
	v_pk_mul_f32 v[18:19], v[122:123], v[18:19] op_sel_hi:[1,0]
	v_pk_add_f32 v[16:17], v[16:17], v[20:21]
	v_pk_fma_f32 v[20:21], v[122:123], v[128:129], v[18:19] op_sel:[0,0,1] op_sel_hi:[1,1,0] neg_lo:[0,0,1] neg_hi:[0,0,1]
	v_pk_fma_f32 v[18:19], v[122:123], v[128:129], v[18:19] op_sel:[0,0,1] op_sel_hi:[1,0,0]
	s_waitcnt vmcnt(5)
	v_mov_b32_e32 v18, v143
	v_mov_b32_e32 v21, v19
	v_pk_mul_f32 v[18:19], v[124:125], v[18:19] op_sel_hi:[1,0]
	v_pk_add_f32 v[16:17], v[16:17], v[20:21]
	s_waitcnt vmcnt(4)
	v_pk_fma_f32 v[20:21], v[124:125], v[142:143], v[18:19] op_sel:[0,0,1] op_sel_hi:[1,1,0] neg_lo:[0,0,1] neg_hi:[0,0,1]
	v_pk_fma_f32 v[18:19], v[124:125], v[142:143], v[18:19] op_sel:[0,0,1] op_sel_hi:[1,0,0]
	v_mov_b32_e32 v18, v141
	v_mov_b32_e32 v21, v19
	s_waitcnt lgkmcnt(2)
	v_pk_mul_f32 v[18:19], v[6:7], v[18:19] op_sel_hi:[1,0]
	v_pk_add_f32 v[16:17], v[16:17], v[20:21]
	v_pk_fma_f32 v[20:21], v[6:7], v[140:141], v[18:19] op_sel:[0,0,1] op_sel_hi:[1,1,0] neg_lo:[0,0,1] neg_hi:[0,0,1]
	v_pk_fma_f32 v[6:7], v[6:7], v[140:141], v[18:19] op_sel:[0,0,1] op_sel_hi:[1,0,0]
	v_mov_b32_e32 v21, v7
	v_pk_add_f32 v[6:7], v[16:17], v[20:21]
	v_mov_b32_e32 v16, v139
	v_pk_mul_f32 v[16:17], v[8:9], v[16:17] op_sel_hi:[1,0]
	v_pk_fma_f32 v[18:19], v[8:9], v[138:139], v[16:17] op_sel:[0,0,1] op_sel_hi:[1,1,0] neg_lo:[0,0,1] neg_hi:[0,0,1]
	v_pk_fma_f32 v[8:9], v[8:9], v[138:139], v[16:17] op_sel:[0,0,1] op_sel_hi:[1,0,0]
	v_mov_b32_e32 v8, v137
	v_mov_b32_e32 v19, v9
	s_waitcnt lgkmcnt(1)
	v_pk_mul_f32 v[8:9], v[10:11], v[8:9] op_sel_hi:[1,0]
	v_pk_fma_f32 v[16:17], v[10:11], v[136:137], v[8:9] op_sel:[0,0,1] op_sel_hi:[1,1,0] neg_lo:[0,0,1] neg_hi:[0,0,1]
	v_pk_fma_f32 v[8:9], v[10:11], v[136:137], v[8:9] op_sel:[0,0,1] op_sel_hi:[1,0,0]
	s_waitcnt vmcnt(1)
	v_mov_b32_e32 v8, v147
	v_mov_b32_e32 v17, v9
	v_pk_mul_f32 v[8:9], v[12:13], v[8:9] op_sel_hi:[1,0]
	s_waitcnt vmcnt(0)
	v_pk_fma_f32 v[10:11], v[12:13], v[146:147], v[8:9] op_sel:[0,0,1] op_sel_hi:[1,1,0] neg_lo:[0,0,1] neg_hi:[0,0,1]
	v_pk_fma_f32 v[8:9], v[12:13], v[146:147], v[8:9] op_sel:[0,0,1] op_sel_hi:[1,0,0]
	v_pk_add_f32 v[6:7], v[6:7], v[18:19]
	v_mov_b32_e32 v8, v145
	v_pk_add_f32 v[6:7], v[6:7], v[16:17]
	v_mov_b32_e32 v11, v9
	s_waitcnt lgkmcnt(0)
	v_pk_mul_f32 v[8:9], v[14:15], v[8:9] op_sel_hi:[1,0]
	v_pk_add_f32 v[6:7], v[6:7], v[10:11]
	v_pk_fma_f32 v[10:11], v[14:15], v[144:145], v[8:9] op_sel:[0,0,1] op_sel_hi:[1,1,0] neg_lo:[0,0,1] neg_hi:[0,0,1]
	v_pk_fma_f32 v[8:9], v[14:15], v[144:145], v[8:9] op_sel:[0,0,1] op_sel_hi:[1,0,0]
	v_mov_b32_e32 v11, v9
	v_pk_add_f32 v[6:7], v[6:7], v[10:11]
	v_pk_add_f32 v[2:3], v[2:3], v[6:7] neg_lo:[0,1] neg_hi:[0,1]
	buffer_store_dword v3, off, s[0:3], 0 offset:52
	buffer_store_dword v2, off, s[0:3], 0 offset:48
	s_and_saveexec_b64 s[4:5], vcc
	s_cbranch_execz .LBB99_219
; %bb.218:
	buffer_load_dword v2, off, s[0:3], 0 offset:40
	buffer_load_dword v3, off, s[0:3], 0 offset:44
	s_waitcnt vmcnt(0)
	ds_write_b64 v1, v[2:3]
	buffer_store_dword v4, off, s[0:3], 0 offset:40
	buffer_store_dword v4, off, s[0:3], 0 offset:44
.LBB99_219:
	s_or_b64 exec, exec, s[4:5]
	s_waitcnt lgkmcnt(0)
	; wave barrier
	s_waitcnt lgkmcnt(0)
	buffer_load_dword v5, off, s[0:3], 0 offset:52
	buffer_load_dword v128, off, s[0:3], 0 offset:60
	;; [unrolled: 1-line block ×46, first 2 shown]
	ds_read_b128 v[6:9], v4 offset:336
	ds_read_b128 v[10:13], v4 offset:352
	;; [unrolled: 1-line block ×8, first 2 shown]
	v_cmp_lt_u32_e32 vcc, 4, v0
	s_waitcnt vmcnt(45) lgkmcnt(7)
	v_mul_f32_e32 v110, v6, v5
	s_waitcnt vmcnt(44)
	v_mul_f32_e32 v111, v8, v128
	s_waitcnt vmcnt(43) lgkmcnt(6)
	v_mul_f32_e32 v112, v10, v130
	s_waitcnt vmcnt(42)
	v_mul_f32_e32 v113, v12, v132
	s_waitcnt vmcnt(41) lgkmcnt(5)
	v_mul_f32_e32 v114, v14, v148
	s_waitcnt vmcnt(40)
	v_mul_f32_e32 v115, v16, v149
	s_waitcnt vmcnt(39) lgkmcnt(4)
	v_mul_f32_e32 v116, v18, v150
	s_waitcnt vmcnt(38)
	v_mul_f32_e32 v117, v20, v151
	s_waitcnt vmcnt(37) lgkmcnt(3)
	v_mul_f32_e32 v118, v94, v152
	s_waitcnt vmcnt(36)
	v_mul_f32_e32 v119, v96, v153
	s_waitcnt vmcnt(35) lgkmcnt(2)
	v_mul_f32_e32 v120, v98, v154
	s_waitcnt vmcnt(34)
	v_mul_f32_e32 v121, v100, v155
	s_waitcnt vmcnt(33) lgkmcnt(1)
	v_mul_f32_e32 v122, v102, v156
	s_waitcnt vmcnt(32)
	v_fmac_f32_e32 v110, v7, v157
	s_waitcnt vmcnt(31)
	v_fmac_f32_e32 v111, v9, v158
	v_add_f32_e32 v110, 0, v110
	s_waitcnt vmcnt(30)
	v_fmac_f32_e32 v112, v11, v159
	v_add_f32_e32 v110, v110, v111
	;; [unrolled: 3-line block ×12, first 2 shown]
	s_waitcnt vmcnt(19)
	v_mul_f32_e32 v111, v104, v170
	v_add_f32_e32 v110, v110, v122
	s_waitcnt vmcnt(18)
	v_fmac_f32_e32 v111, v105, v171
	v_add_f32_e32 v110, v110, v111
	s_waitcnt vmcnt(17) lgkmcnt(0)
	v_mul_f32_e32 v111, v106, v172
	s_waitcnt vmcnt(16)
	v_fmac_f32_e32 v111, v107, v173
	v_add_f32_e32 v114, v110, v111
	ds_read_b128 v[110:113], v4 offset:464
	s_waitcnt vmcnt(15)
	v_mul_f32_e32 v115, v108, v174
	s_waitcnt vmcnt(14)
	v_fmac_f32_e32 v115, v109, v175
	v_add_f32_e32 v118, v114, v115
	ds_read_b128 v[114:117], v4 offset:480
	buffer_load_dword v127, off, s[0:3], 0 offset:228
	buffer_load_dword v126, off, s[0:3], 0 offset:224
	s_waitcnt vmcnt(15) lgkmcnt(1)
	v_mul_f32_e32 v119, v110, v176
	s_waitcnt vmcnt(14)
	v_fmac_f32_e32 v119, v111, v177
	v_add_f32_e32 v118, v118, v119
	s_waitcnt vmcnt(13)
	v_mul_f32_e32 v119, v112, v178
	s_waitcnt vmcnt(12)
	v_fmac_f32_e32 v119, v113, v179
	v_add_f32_e32 v118, v118, v119
	s_waitcnt vmcnt(11) lgkmcnt(0)
	v_mul_f32_e32 v119, v114, v180
	s_waitcnt vmcnt(10)
	v_fmac_f32_e32 v119, v115, v181
	s_waitcnt vmcnt(9)
	v_mul_f32_e32 v123, v116, v182
	v_add_f32_e32 v122, v118, v119
	s_waitcnt vmcnt(8)
	v_fmac_f32_e32 v123, v117, v183
	ds_read_b128 v[118:121], v4 offset:496
	v_add_f32_e32 v129, v122, v123
	ds_read_b128 v[122:125], v4 offset:512
	buffer_load_dword v135, off, s[0:3], 0 offset:260
	buffer_load_dword v134, off, s[0:3], 0 offset:256
	;; [unrolled: 1-line block ×14, first 2 shown]
	v_mul_f32_e32 v5, v7, v5
	v_fma_f32 v5, v6, v157, -v5
	v_mul_f32_e32 v6, v9, v128
	v_add_f32_e32 v5, 0, v5
	v_fma_f32 v6, v8, v158, -v6
	v_add_f32_e32 v5, v5, v6
	v_mul_f32_e32 v6, v11, v130
	v_fma_f32 v6, v10, v159, -v6
	v_add_f32_e32 v5, v5, v6
	v_mul_f32_e32 v6, v13, v132
	;; [unrolled: 3-line block ×18, first 2 shown]
	v_fma_f32 v6, v116, v183, -v6
	s_waitcnt vmcnt(21) lgkmcnt(1)
	v_mul_f32_e32 v131, v118, v184
	v_add_f32_e32 v128, v5, v6
	v_mul_f32_e32 v5, v119, v184
	s_waitcnt vmcnt(20)
	v_fmac_f32_e32 v131, v119, v185
	s_waitcnt vmcnt(15)
	v_mov_b32_e32 v18, v127
	s_waitcnt lgkmcnt(0)
	v_pk_mul_f32 v[18:19], v[122:123], v[18:19] op_sel_hi:[1,0]
	v_mul_f32_e32 v133, v120, v186
	v_fma_f32 v130, v118, v185, -v5
	v_mul_f32_e32 v5, v121, v186
	s_waitcnt vmcnt(14)
	v_pk_fma_f32 v[20:21], v[122:123], v[126:127], v[18:19] op_sel:[0,0,1] op_sel_hi:[1,1,0] neg_lo:[0,0,1] neg_hi:[0,0,1]
	v_pk_fma_f32 v[18:19], v[122:123], v[126:127], v[18:19] op_sel:[0,0,1] op_sel_hi:[1,0,0]
	v_fmac_f32_e32 v133, v121, v187
	v_fma_f32 v132, v120, v187, -v5
	ds_read_b128 v[6:9], v4 offset:528
	ds_read_b128 v[10:13], v4 offset:544
	;; [unrolled: 1-line block ×3, first 2 shown]
	v_pk_add_f32 v[4:5], v[128:129], v[130:131]
	s_waitcnt vmcnt(7)
	v_mov_b32_e32 v18, v141
	v_pk_add_f32 v[4:5], v[4:5], v[132:133]
	v_mov_b32_e32 v21, v19
	v_pk_mul_f32 v[18:19], v[124:125], v[18:19] op_sel_hi:[1,0]
	v_pk_add_f32 v[4:5], v[4:5], v[20:21]
	s_waitcnt vmcnt(6)
	v_pk_fma_f32 v[20:21], v[124:125], v[140:141], v[18:19] op_sel:[0,0,1] op_sel_hi:[1,1,0] neg_lo:[0,0,1] neg_hi:[0,0,1]
	v_pk_fma_f32 v[18:19], v[124:125], v[140:141], v[18:19] op_sel:[0,0,1] op_sel_hi:[1,0,0]
	v_mov_b32_e32 v18, v139
	v_mov_b32_e32 v21, v19
	s_waitcnt lgkmcnt(2)
	v_pk_mul_f32 v[18:19], v[6:7], v[18:19] op_sel_hi:[1,0]
	v_pk_add_f32 v[4:5], v[4:5], v[20:21]
	v_pk_fma_f32 v[20:21], v[6:7], v[138:139], v[18:19] op_sel:[0,0,1] op_sel_hi:[1,1,0] neg_lo:[0,0,1] neg_hi:[0,0,1]
	v_pk_fma_f32 v[6:7], v[6:7], v[138:139], v[18:19] op_sel:[0,0,1] op_sel_hi:[1,0,0]
	v_mov_b32_e32 v6, v137
	v_mov_b32_e32 v21, v7
	v_pk_mul_f32 v[6:7], v[8:9], v[6:7] op_sel_hi:[1,0]
	v_pk_fma_f32 v[18:19], v[8:9], v[136:137], v[6:7] op_sel:[0,0,1] op_sel_hi:[1,1,0] neg_lo:[0,0,1] neg_hi:[0,0,1]
	v_pk_fma_f32 v[6:7], v[8:9], v[136:137], v[6:7] op_sel:[0,0,1] op_sel_hi:[1,0,0]
	v_mov_b32_e32 v6, v135
	v_mov_b32_e32 v19, v7
	s_waitcnt lgkmcnt(1)
	v_pk_mul_f32 v[6:7], v[10:11], v[6:7] op_sel_hi:[1,0]
	v_pk_fma_f32 v[8:9], v[10:11], v[134:135], v[6:7] op_sel:[0,0,1] op_sel_hi:[1,1,0] neg_lo:[0,0,1] neg_hi:[0,0,1]
	v_pk_fma_f32 v[6:7], v[10:11], v[134:135], v[6:7] op_sel:[0,0,1] op_sel_hi:[1,0,0]
	v_pk_add_f32 v[4:5], v[4:5], v[20:21]
	s_waitcnt vmcnt(1)
	v_mov_b32_e32 v6, v147
	v_pk_add_f32 v[4:5], v[4:5], v[18:19]
	v_mov_b32_e32 v9, v7
	v_pk_mul_f32 v[6:7], v[12:13], v[6:7] op_sel_hi:[1,0]
	v_pk_add_f32 v[4:5], v[4:5], v[8:9]
	s_waitcnt vmcnt(0)
	v_pk_fma_f32 v[8:9], v[12:13], v[146:147], v[6:7] op_sel:[0,0,1] op_sel_hi:[1,1,0] neg_lo:[0,0,1] neg_hi:[0,0,1]
	v_pk_fma_f32 v[6:7], v[12:13], v[146:147], v[6:7] op_sel:[0,0,1] op_sel_hi:[1,0,0]
	v_mov_b32_e32 v6, v145
	v_mov_b32_e32 v9, v7
	s_waitcnt lgkmcnt(0)
	v_pk_mul_f32 v[6:7], v[14:15], v[6:7] op_sel_hi:[1,0]
	v_pk_add_f32 v[4:5], v[4:5], v[8:9]
	v_pk_fma_f32 v[8:9], v[14:15], v[144:145], v[6:7] op_sel:[0,0,1] op_sel_hi:[1,1,0] neg_lo:[0,0,1] neg_hi:[0,0,1]
	v_pk_fma_f32 v[6:7], v[14:15], v[144:145], v[6:7] op_sel:[0,0,1] op_sel_hi:[1,0,0]
	v_mov_b32_e32 v6, v143
	v_mov_b32_e32 v9, v7
	v_pk_mul_f32 v[6:7], v[16:17], v[6:7] op_sel_hi:[1,0]
	v_pk_add_f32 v[4:5], v[4:5], v[8:9]
	v_pk_fma_f32 v[8:9], v[16:17], v[142:143], v[6:7] op_sel:[0,0,1] op_sel_hi:[1,1,0] neg_lo:[0,0,1] neg_hi:[0,0,1]
	v_pk_fma_f32 v[6:7], v[16:17], v[142:143], v[6:7] op_sel:[0,0,1] op_sel_hi:[1,0,0]
	v_mov_b32_e32 v9, v7
	v_pk_add_f32 v[4:5], v[4:5], v[8:9]
	v_pk_add_f32 v[2:3], v[2:3], v[4:5] neg_lo:[0,1] neg_hi:[0,1]
	buffer_store_dword v3, off, s[0:3], 0 offset:44
	buffer_store_dword v2, off, s[0:3], 0 offset:40
	s_and_saveexec_b64 s[4:5], vcc
	s_cbranch_execz .LBB99_221
; %bb.220:
	buffer_load_dword v2, off, s[0:3], 0 offset:32
	buffer_load_dword v3, off, s[0:3], 0 offset:36
	v_mov_b32_e32 v4, 0
	buffer_store_dword v4, off, s[0:3], 0 offset:32
	buffer_store_dword v4, off, s[0:3], 0 offset:36
	s_waitcnt vmcnt(2)
	ds_write_b64 v1, v[2:3]
.LBB99_221:
	s_or_b64 exec, exec, s[4:5]
	s_waitcnt lgkmcnt(0)
	; wave barrier
	s_waitcnt lgkmcnt(0)
	buffer_load_dword v5, off, s[0:3], 0 offset:44
	buffer_load_dword v126, off, s[0:3], 0 offset:52
	;; [unrolled: 1-line block ×48, first 2 shown]
	v_mov_b32_e32 v4, 0
	ds_read2_b64 v[6:9], v4 offset0:41 offset1:42
	ds_read2_b64 v[10:13], v4 offset0:43 offset1:44
	;; [unrolled: 1-line block ×6, first 2 shown]
	v_cmp_lt_u32_e32 vcc, 3, v0
	s_waitcnt vmcnt(47) lgkmcnt(5)
	v_mul_f32_e32 v102, v6, v5
	s_waitcnt vmcnt(46)
	v_mul_f32_e32 v103, v8, v126
	s_waitcnt vmcnt(45) lgkmcnt(4)
	v_mul_f32_e32 v104, v10, v128
	s_waitcnt vmcnt(44)
	v_mul_f32_e32 v105, v12, v130
	;; [unrolled: 4-line block ×6, first 2 shown]
	s_waitcnt vmcnt(35)
	v_fmac_f32_e32 v102, v7, v156
	s_waitcnt vmcnt(34)
	v_fmac_f32_e32 v103, v9, v157
	v_add_f32_e32 v102, 0, v102
	s_waitcnt vmcnt(33)
	v_fmac_f32_e32 v104, v11, v158
	v_add_f32_e32 v102, v102, v103
	;; [unrolled: 3-line block ×8, first 2 shown]
	v_add_f32_e32 v106, v102, v110
	ds_read2_b64 v[102:105], v4 offset0:53 offset1:54
	s_waitcnt vmcnt(26)
	v_fmac_f32_e32 v111, v97, v165
	s_waitcnt vmcnt(25)
	v_fmac_f32_e32 v112, v99, v166
	v_add_f32_e32 v106, v106, v111
	s_waitcnt vmcnt(24)
	v_fmac_f32_e32 v113, v101, v167
	v_add_f32_e32 v106, v106, v112
	v_add_f32_e32 v110, v106, v113
	ds_read2_b64 v[106:109], v4 offset0:55 offset1:56
	s_waitcnt vmcnt(23) lgkmcnt(1)
	v_mul_f32_e32 v111, v102, v168
	s_waitcnt vmcnt(22)
	v_fmac_f32_e32 v111, v103, v169
	v_add_f32_e32 v110, v110, v111
	s_waitcnt vmcnt(21)
	v_mul_f32_e32 v111, v104, v170
	s_waitcnt vmcnt(20)
	v_fmac_f32_e32 v111, v105, v171
	v_add_f32_e32 v110, v110, v111
	s_waitcnt vmcnt(19) lgkmcnt(0)
	v_mul_f32_e32 v111, v106, v172
	s_waitcnt vmcnt(18)
	v_fmac_f32_e32 v111, v107, v173
	v_add_f32_e32 v114, v110, v111
	ds_read2_b64 v[110:113], v4 offset0:57 offset1:58
	s_waitcnt vmcnt(17)
	v_mul_f32_e32 v115, v108, v174
	s_waitcnt vmcnt(16)
	v_fmac_f32_e32 v115, v109, v175
	v_add_f32_e32 v118, v114, v115
	ds_read2_b64 v[114:117], v4 offset0:59 offset1:60
	s_waitcnt vmcnt(15) lgkmcnt(1)
	v_mul_f32_e32 v119, v110, v176
	s_waitcnt vmcnt(14)
	v_fmac_f32_e32 v119, v111, v177
	v_add_f32_e32 v118, v118, v119
	s_waitcnt vmcnt(13)
	v_mul_f32_e32 v119, v112, v178
	s_waitcnt vmcnt(12)
	v_fmac_f32_e32 v119, v113, v179
	v_add_f32_e32 v118, v118, v119
	s_waitcnt vmcnt(11) lgkmcnt(0)
	v_mul_f32_e32 v119, v114, v180
	s_waitcnt vmcnt(10)
	v_fmac_f32_e32 v119, v115, v181
	s_waitcnt vmcnt(9)
	v_mul_f32_e32 v123, v116, v182
	v_add_f32_e32 v122, v118, v119
	s_waitcnt vmcnt(8)
	v_fmac_f32_e32 v123, v117, v183
	ds_read2_b64 v[118:121], v4 offset0:61 offset1:62
	v_add_f32_e32 v127, v122, v123
	ds_read2_b64 v[122:125], v4 offset0:63 offset1:64
	buffer_load_dword v133, off, s[0:3], 0 offset:252
	buffer_load_dword v132, off, s[0:3], 0 offset:248
	;; [unrolled: 1-line block ×16, first 2 shown]
	v_mul_f32_e32 v5, v7, v5
	v_fma_f32 v5, v6, v156, -v5
	v_mul_f32_e32 v6, v9, v126
	v_add_f32_e32 v5, 0, v5
	v_fma_f32 v6, v8, v157, -v6
	v_add_f32_e32 v5, v5, v6
	v_mul_f32_e32 v6, v11, v128
	v_fma_f32 v6, v10, v158, -v6
	v_add_f32_e32 v5, v5, v6
	v_mul_f32_e32 v6, v13, v130
	;; [unrolled: 3-line block ×18, first 2 shown]
	v_fma_f32 v6, v116, v183, -v6
	s_waitcnt vmcnt(22) lgkmcnt(1)
	v_mul_f32_e32 v129, v118, v185
	v_add_f32_e32 v5, v5, v6
	v_mul_f32_e32 v6, v119, v185
	v_fmac_f32_e32 v129, v119, v184
	v_fma_f32 v6, v118, v184, -v6
	v_add_f32_e32 v127, v127, v129
	s_waitcnt vmcnt(19)
	v_mul_f32_e32 v129, v120, v186
	v_add_f32_e32 v126, v5, v6
	v_mul_f32_e32 v5, v121, v186
	s_waitcnt vmcnt(18)
	v_fmac_f32_e32 v129, v121, v187
	s_waitcnt vmcnt(17) lgkmcnt(0)
	v_mul_f32_e32 v131, v122, v188
	s_waitcnt vmcnt(9)
	v_mov_b32_e32 v94, v139
	v_pk_mul_f32 v[94:95], v[124:125], v[94:95] op_sel_hi:[1,0]
	v_fma_f32 v128, v120, v187, -v5
	v_mul_f32_e32 v5, v123, v188
	ds_read2_b64 v[6:9], v4 offset0:65 offset1:66
	ds_read2_b64 v[10:13], v4 offset0:67 offset1:68
	;; [unrolled: 1-line block ×3, first 2 shown]
	ds_read_b64 v[18:19], v4 offset:568
	s_waitcnt vmcnt(8)
	v_pk_fma_f32 v[96:97], v[124:125], v[138:139], v[94:95] op_sel:[0,0,1] op_sel_hi:[1,1,0] neg_lo:[0,0,1] neg_hi:[0,0,1]
	v_pk_fma_f32 v[94:95], v[124:125], v[138:139], v[94:95] op_sel:[0,0,1] op_sel_hi:[1,0,0]
	v_fmac_f32_e32 v131, v123, v189
	v_fma_f32 v130, v122, v189, -v5
	v_pk_add_f32 v[20:21], v[126:127], v[128:129]
	v_mov_b32_e32 v94, v137
	v_pk_add_f32 v[20:21], v[20:21], v[130:131]
	v_mov_b32_e32 v97, v95
	s_waitcnt lgkmcnt(3)
	v_pk_mul_f32 v[94:95], v[6:7], v[94:95] op_sel_hi:[1,0]
	v_pk_add_f32 v[20:21], v[20:21], v[96:97]
	v_pk_fma_f32 v[96:97], v[6:7], v[136:137], v[94:95] op_sel:[0,0,1] op_sel_hi:[1,1,0] neg_lo:[0,0,1] neg_hi:[0,0,1]
	v_pk_fma_f32 v[6:7], v[6:7], v[136:137], v[94:95] op_sel:[0,0,1] op_sel_hi:[1,0,0]
	v_mov_b32_e32 v97, v7
	v_pk_add_f32 v[6:7], v[20:21], v[96:97]
	v_mov_b32_e32 v20, v135
	v_pk_mul_f32 v[20:21], v[8:9], v[20:21] op_sel_hi:[1,0]
	v_pk_fma_f32 v[94:95], v[8:9], v[134:135], v[20:21] op_sel:[0,0,1] op_sel_hi:[1,1,0] neg_lo:[0,0,1] neg_hi:[0,0,1]
	v_pk_fma_f32 v[8:9], v[8:9], v[134:135], v[20:21] op_sel:[0,0,1] op_sel_hi:[1,0,0]
	v_mov_b32_e32 v8, v133
	v_mov_b32_e32 v95, v9
	s_waitcnt lgkmcnt(2)
	v_pk_mul_f32 v[8:9], v[10:11], v[8:9] op_sel_hi:[1,0]
	v_pk_fma_f32 v[20:21], v[10:11], v[132:133], v[8:9] op_sel:[0,0,1] op_sel_hi:[1,1,0] neg_lo:[0,0,1] neg_hi:[0,0,1]
	v_pk_fma_f32 v[8:9], v[10:11], v[132:133], v[8:9] op_sel:[0,0,1] op_sel_hi:[1,0,0]
	s_waitcnt vmcnt(1)
	v_mov_b32_e32 v8, v147
	v_mov_b32_e32 v21, v9
	v_pk_mul_f32 v[8:9], v[12:13], v[8:9] op_sel_hi:[1,0]
	s_waitcnt vmcnt(0)
	v_pk_fma_f32 v[10:11], v[12:13], v[146:147], v[8:9] op_sel:[0,0,1] op_sel_hi:[1,1,0] neg_lo:[0,0,1] neg_hi:[0,0,1]
	v_pk_fma_f32 v[8:9], v[12:13], v[146:147], v[8:9] op_sel:[0,0,1] op_sel_hi:[1,0,0]
	v_pk_add_f32 v[6:7], v[6:7], v[94:95]
	v_mov_b32_e32 v8, v145
	v_pk_add_f32 v[6:7], v[6:7], v[20:21]
	v_mov_b32_e32 v11, v9
	s_waitcnt lgkmcnt(1)
	v_pk_mul_f32 v[8:9], v[14:15], v[8:9] op_sel_hi:[1,0]
	v_pk_add_f32 v[6:7], v[6:7], v[10:11]
	v_pk_fma_f32 v[10:11], v[14:15], v[144:145], v[8:9] op_sel:[0,0,1] op_sel_hi:[1,1,0] neg_lo:[0,0,1] neg_hi:[0,0,1]
	v_pk_fma_f32 v[8:9], v[14:15], v[144:145], v[8:9] op_sel:[0,0,1] op_sel_hi:[1,0,0]
	v_mov_b32_e32 v8, v143
	v_mov_b32_e32 v11, v9
	v_pk_mul_f32 v[8:9], v[16:17], v[8:9] op_sel_hi:[1,0]
	v_pk_add_f32 v[6:7], v[6:7], v[10:11]
	v_pk_fma_f32 v[10:11], v[16:17], v[142:143], v[8:9] op_sel:[0,0,1] op_sel_hi:[1,1,0] neg_lo:[0,0,1] neg_hi:[0,0,1]
	v_pk_fma_f32 v[8:9], v[16:17], v[142:143], v[8:9] op_sel:[0,0,1] op_sel_hi:[1,0,0]
	v_mov_b32_e32 v8, v141
	v_mov_b32_e32 v11, v9
	s_waitcnt lgkmcnt(0)
	v_pk_mul_f32 v[8:9], v[18:19], v[8:9] op_sel_hi:[1,0]
	v_pk_add_f32 v[6:7], v[6:7], v[10:11]
	v_pk_fma_f32 v[10:11], v[18:19], v[140:141], v[8:9] op_sel:[0,0,1] op_sel_hi:[1,1,0] neg_lo:[0,0,1] neg_hi:[0,0,1]
	v_pk_fma_f32 v[8:9], v[18:19], v[140:141], v[8:9] op_sel:[0,0,1] op_sel_hi:[1,0,0]
	v_mov_b32_e32 v11, v9
	v_pk_add_f32 v[6:7], v[6:7], v[10:11]
	v_pk_add_f32 v[2:3], v[2:3], v[6:7] neg_lo:[0,1] neg_hi:[0,1]
	buffer_store_dword v3, off, s[0:3], 0 offset:36
	buffer_store_dword v2, off, s[0:3], 0 offset:32
	s_and_saveexec_b64 s[4:5], vcc
	s_cbranch_execz .LBB99_223
; %bb.222:
	buffer_load_dword v2, off, s[0:3], 0 offset:24
	buffer_load_dword v3, off, s[0:3], 0 offset:28
	s_waitcnt vmcnt(0)
	ds_write_b64 v1, v[2:3]
	buffer_store_dword v4, off, s[0:3], 0 offset:24
	buffer_store_dword v4, off, s[0:3], 0 offset:28
.LBB99_223:
	s_or_b64 exec, exec, s[4:5]
	s_waitcnt lgkmcnt(0)
	; wave barrier
	s_waitcnt lgkmcnt(0)
	buffer_load_dword v5, off, s[0:3], 0 offset:36
	buffer_load_dword v126, off, s[0:3], 0 offset:44
	;; [unrolled: 1-line block ×48, first 2 shown]
	ds_read_b128 v[6:9], v4 offset:320
	ds_read_b128 v[10:13], v4 offset:336
	;; [unrolled: 1-line block ×6, first 2 shown]
	buffer_load_dword v190, off, s[0:3], 0 offset:216
	buffer_load_dword v191, off, s[0:3], 0 offset:220
	v_cmp_lt_u32_e32 vcc, 2, v0
	s_waitcnt vmcnt(49) lgkmcnt(5)
	v_mul_f32_e32 v102, v6, v5
	s_waitcnt vmcnt(48)
	v_mul_f32_e32 v103, v8, v126
	s_waitcnt vmcnt(47) lgkmcnt(4)
	v_mul_f32_e32 v104, v10, v128
	s_waitcnt vmcnt(46)
	v_mul_f32_e32 v105, v12, v136
	;; [unrolled: 4-line block ×6, first 2 shown]
	s_waitcnt vmcnt(37)
	v_fmac_f32_e32 v102, v7, v156
	s_waitcnt vmcnt(36)
	v_fmac_f32_e32 v103, v9, v157
	v_add_f32_e32 v102, 0, v102
	s_waitcnt vmcnt(35)
	v_fmac_f32_e32 v104, v11, v158
	v_add_f32_e32 v102, v102, v103
	;; [unrolled: 3-line block ×9, first 2 shown]
	v_add_f32_e32 v106, v102, v111
	ds_read_b128 v[102:105], v4 offset:416
	s_waitcnt vmcnt(27)
	v_fmac_f32_e32 v112, v99, v166
	v_add_f32_e32 v106, v106, v112
	s_waitcnt vmcnt(26)
	v_fmac_f32_e32 v113, v101, v167
	v_add_f32_e32 v110, v106, v113
	ds_read_b128 v[106:109], v4 offset:432
	s_waitcnt vmcnt(25) lgkmcnt(1)
	v_mul_f32_e32 v111, v102, v168
	s_waitcnt vmcnt(24)
	v_fmac_f32_e32 v111, v103, v169
	v_add_f32_e32 v110, v110, v111
	s_waitcnt vmcnt(23)
	v_mul_f32_e32 v111, v104, v170
	s_waitcnt vmcnt(22)
	v_fmac_f32_e32 v111, v105, v171
	v_add_f32_e32 v110, v110, v111
	s_waitcnt vmcnt(21) lgkmcnt(0)
	v_mul_f32_e32 v111, v106, v172
	s_waitcnt vmcnt(20)
	v_fmac_f32_e32 v111, v107, v173
	v_add_f32_e32 v114, v110, v111
	ds_read_b128 v[110:113], v4 offset:448
	s_waitcnt vmcnt(19)
	v_mul_f32_e32 v115, v108, v174
	s_waitcnt vmcnt(18)
	v_fmac_f32_e32 v115, v109, v175
	v_add_f32_e32 v118, v114, v115
	ds_read_b128 v[114:117], v4 offset:464
	s_waitcnt vmcnt(17) lgkmcnt(1)
	v_mul_f32_e32 v119, v110, v176
	s_waitcnt vmcnt(16)
	v_fmac_f32_e32 v119, v111, v177
	v_add_f32_e32 v118, v118, v119
	s_waitcnt vmcnt(15)
	v_mul_f32_e32 v119, v112, v178
	s_waitcnt vmcnt(14)
	v_fmac_f32_e32 v119, v113, v179
	v_add_f32_e32 v118, v118, v119
	s_waitcnt vmcnt(13) lgkmcnt(0)
	v_mul_f32_e32 v119, v114, v180
	s_waitcnt vmcnt(12)
	v_fmac_f32_e32 v119, v115, v181
	s_waitcnt vmcnt(11)
	v_mul_f32_e32 v123, v116, v182
	v_add_f32_e32 v122, v118, v119
	s_waitcnt vmcnt(10)
	v_fmac_f32_e32 v123, v117, v183
	ds_read_b128 v[118:121], v4 offset:480
	v_add_f32_e32 v127, v122, v123
	ds_read_b128 v[122:125], v4 offset:496
	buffer_load_dword v131, off, s[0:3], 0 offset:244
	buffer_load_dword v130, off, s[0:3], 0 offset:240
	;; [unrolled: 1-line block ×16, first 2 shown]
	v_mul_f32_e32 v5, v7, v5
	v_fma_f32 v5, v6, v156, -v5
	v_mul_f32_e32 v6, v9, v126
	v_add_f32_e32 v5, 0, v5
	v_fma_f32 v6, v8, v157, -v6
	v_add_f32_e32 v5, v5, v6
	v_mul_f32_e32 v6, v11, v128
	v_fma_f32 v6, v10, v158, -v6
	v_add_f32_e32 v5, v5, v6
	v_mul_f32_e32 v6, v13, v136
	;; [unrolled: 3-line block ×18, first 2 shown]
	v_fma_f32 v6, v116, v183, -v6
	v_add_f32_e32 v5, v5, v6
	s_waitcnt vmcnt(23) lgkmcnt(1)
	v_mul_f32_e32 v6, v119, v184
	s_waitcnt vmcnt(22)
	v_fma_f32 v6, v118, v185, -v6
	v_add_f32_e32 v5, v5, v6
	s_waitcnt vmcnt(20)
	v_mul_f32_e32 v6, v121, v187
	v_fma_f32 v6, v120, v186, -v6
	v_add_f32_e32 v126, v5, v6
	ds_read_b128 v[6:9], v4 offset:512
	ds_read_b128 v[10:13], v4 offset:528
	;; [unrolled: 1-line block ×4, first 2 shown]
	v_mul_f32_e32 v129, v118, v184
	v_fmac_f32_e32 v129, v119, v185
	v_add_f32_e32 v127, v127, v129
	v_mul_f32_e32 v129, v120, v187
	v_fmac_f32_e32 v129, v121, v186
	v_add_f32_e32 v127, v127, v129
	s_waitcnt vmcnt(18) lgkmcnt(4)
	v_mul_f32_e32 v129, v122, v189
	v_mul_f32_e32 v5, v123, v189
	v_fmac_f32_e32 v129, v123, v188
	s_waitcnt vmcnt(16)
	v_mul_f32_e32 v137, v124, v191
	s_waitcnt vmcnt(11)
	v_mov_b32_e32 v94, v135
	s_waitcnt lgkmcnt(3)
	v_pk_mul_f32 v[94:95], v[6:7], v[94:95] op_sel_hi:[1,0]
	s_waitcnt vmcnt(10)
	v_pk_fma_f32 v[96:97], v[6:7], v[134:135], v[94:95] op_sel:[0,0,1] op_sel_hi:[1,1,0] neg_lo:[0,0,1] neg_hi:[0,0,1]
	v_pk_fma_f32 v[6:7], v[6:7], v[134:135], v[94:95] op_sel:[0,0,1] op_sel_hi:[1,0,0]
	v_mov_b32_e32 v6, v133
	v_mov_b32_e32 v97, v7
	v_pk_mul_f32 v[6:7], v[8:9], v[6:7] op_sel_hi:[1,0]
	v_pk_fma_f32 v[94:95], v[8:9], v[132:133], v[6:7] op_sel:[0,0,1] op_sel_hi:[1,1,0] neg_lo:[0,0,1] neg_hi:[0,0,1]
	v_pk_fma_f32 v[6:7], v[8:9], v[132:133], v[6:7] op_sel:[0,0,1] op_sel_hi:[1,0,0]
	v_fma_f32 v128, v122, v188, -v5
	v_mul_f32_e32 v5, v125, v191
	v_mov_b32_e32 v6, v131
	v_fmac_f32_e32 v137, v125, v190
	v_fma_f32 v136, v124, v190, -v5
	v_pk_add_f32 v[4:5], v[126:127], v[128:129]
	v_mov_b32_e32 v95, v7
	s_waitcnt lgkmcnt(2)
	v_pk_mul_f32 v[6:7], v[10:11], v[6:7] op_sel_hi:[1,0]
	v_pk_add_f32 v[4:5], v[4:5], v[136:137]
	v_pk_fma_f32 v[8:9], v[10:11], v[130:131], v[6:7] op_sel:[0,0,1] op_sel_hi:[1,1,0] neg_lo:[0,0,1] neg_hi:[0,0,1]
	v_pk_fma_f32 v[6:7], v[10:11], v[130:131], v[6:7] op_sel:[0,0,1] op_sel_hi:[1,0,0]
	v_pk_add_f32 v[4:5], v[4:5], v[96:97]
	s_waitcnt vmcnt(3)
	v_mov_b32_e32 v6, v145
	v_pk_add_f32 v[4:5], v[4:5], v[94:95]
	v_mov_b32_e32 v9, v7
	v_pk_mul_f32 v[6:7], v[12:13], v[6:7] op_sel_hi:[1,0]
	v_pk_add_f32 v[4:5], v[4:5], v[8:9]
	s_waitcnt vmcnt(2)
	v_pk_fma_f32 v[8:9], v[12:13], v[144:145], v[6:7] op_sel:[0,0,1] op_sel_hi:[1,1,0] neg_lo:[0,0,1] neg_hi:[0,0,1]
	v_pk_fma_f32 v[6:7], v[12:13], v[144:145], v[6:7] op_sel:[0,0,1] op_sel_hi:[1,0,0]
	v_mov_b32_e32 v6, v143
	v_mov_b32_e32 v9, v7
	s_waitcnt lgkmcnt(1)
	v_pk_mul_f32 v[6:7], v[14:15], v[6:7] op_sel_hi:[1,0]
	v_pk_add_f32 v[4:5], v[4:5], v[8:9]
	v_pk_fma_f32 v[8:9], v[14:15], v[142:143], v[6:7] op_sel:[0,0,1] op_sel_hi:[1,1,0] neg_lo:[0,0,1] neg_hi:[0,0,1]
	v_pk_fma_f32 v[6:7], v[14:15], v[142:143], v[6:7] op_sel:[0,0,1] op_sel_hi:[1,0,0]
	v_mov_b32_e32 v6, v141
	v_mov_b32_e32 v9, v7
	v_pk_mul_f32 v[6:7], v[16:17], v[6:7] op_sel_hi:[1,0]
	v_pk_add_f32 v[4:5], v[4:5], v[8:9]
	v_pk_fma_f32 v[8:9], v[16:17], v[140:141], v[6:7] op_sel:[0,0,1] op_sel_hi:[1,1,0] neg_lo:[0,0,1] neg_hi:[0,0,1]
	v_pk_fma_f32 v[6:7], v[16:17], v[140:141], v[6:7] op_sel:[0,0,1] op_sel_hi:[1,0,0]
	v_mov_b32_e32 v6, v139
	v_mov_b32_e32 v9, v7
	s_waitcnt lgkmcnt(0)
	v_pk_mul_f32 v[6:7], v[18:19], v[6:7] op_sel_hi:[1,0]
	v_pk_add_f32 v[4:5], v[4:5], v[8:9]
	v_pk_fma_f32 v[8:9], v[18:19], v[138:139], v[6:7] op_sel:[0,0,1] op_sel_hi:[1,1,0] neg_lo:[0,0,1] neg_hi:[0,0,1]
	v_pk_fma_f32 v[6:7], v[18:19], v[138:139], v[6:7] op_sel:[0,0,1] op_sel_hi:[1,0,0]
	s_waitcnt vmcnt(1)
	v_mov_b32_e32 v6, v147
	v_mov_b32_e32 v9, v7
	v_pk_mul_f32 v[6:7], v[20:21], v[6:7] op_sel_hi:[1,0]
	v_pk_add_f32 v[4:5], v[4:5], v[8:9]
	s_waitcnt vmcnt(0)
	v_pk_fma_f32 v[8:9], v[20:21], v[146:147], v[6:7] op_sel:[0,0,1] op_sel_hi:[1,1,0] neg_lo:[0,0,1] neg_hi:[0,0,1]
	v_pk_fma_f32 v[6:7], v[20:21], v[146:147], v[6:7] op_sel:[0,0,1] op_sel_hi:[1,0,0]
	v_mov_b32_e32 v9, v7
	v_pk_add_f32 v[4:5], v[4:5], v[8:9]
	v_pk_add_f32 v[2:3], v[2:3], v[4:5] neg_lo:[0,1] neg_hi:[0,1]
	buffer_store_dword v3, off, s[0:3], 0 offset:28
	buffer_store_dword v2, off, s[0:3], 0 offset:24
	s_and_saveexec_b64 s[4:5], vcc
	s_cbranch_execz .LBB99_225
; %bb.224:
	buffer_load_dword v2, off, s[0:3], 0 offset:16
	buffer_load_dword v3, off, s[0:3], 0 offset:20
	v_mov_b32_e32 v4, 0
	buffer_store_dword v4, off, s[0:3], 0 offset:16
	buffer_store_dword v4, off, s[0:3], 0 offset:20
	s_waitcnt vmcnt(2)
	ds_write_b64 v1, v[2:3]
.LBB99_225:
	s_or_b64 exec, exec, s[4:5]
	s_waitcnt lgkmcnt(0)
	; wave barrier
	s_waitcnt lgkmcnt(0)
	buffer_load_dword v5, off, s[0:3], 0 offset:28
	buffer_load_dword v134, off, s[0:3], 0 offset:36
	;; [unrolled: 1-line block ×52, first 2 shown]
	v_mov_b32_e32 v4, 0
	ds_read2_b64 v[6:9], v4 offset0:39 offset1:40
	ds_read2_b64 v[10:13], v4 offset0:41 offset1:42
	;; [unrolled: 1-line block ×6, first 2 shown]
	v_cmp_lt_u32_e32 vcc, 1, v0
	s_waitcnt vmcnt(51) lgkmcnt(5)
	v_mul_f32_e32 v102, v6, v5
	s_waitcnt vmcnt(50)
	v_mul_f32_e32 v103, v8, v134
	s_waitcnt vmcnt(49) lgkmcnt(4)
	v_mul_f32_e32 v104, v10, v140
	s_waitcnt vmcnt(48)
	v_mul_f32_e32 v105, v12, v142
	;; [unrolled: 4-line block ×5, first 2 shown]
	s_waitcnt vmcnt(41) lgkmcnt(0)
	v_mul_f32_e32 v112, v98, v162
	s_waitcnt vmcnt(40)
	v_fmac_f32_e32 v102, v7, v163
	s_waitcnt vmcnt(39)
	v_fmac_f32_e32 v103, v9, v164
	v_add_f32_e32 v102, 0, v102
	s_waitcnt vmcnt(38)
	v_fmac_f32_e32 v104, v11, v165
	v_add_f32_e32 v102, v102, v103
	;; [unrolled: 3-line block ×9, first 2 shown]
	v_add_f32_e32 v102, v102, v111
	s_waitcnt vmcnt(30)
	v_fmac_f32_e32 v112, v99, v173
	v_add_f32_e32 v106, v102, v112
	ds_read2_b64 v[102:105], v4 offset0:51 offset1:52
	s_waitcnt vmcnt(29)
	v_mul_f32_e32 v107, v100, v174
	s_waitcnt vmcnt(28)
	v_fmac_f32_e32 v107, v101, v175
	v_add_f32_e32 v110, v106, v107
	ds_read2_b64 v[106:109], v4 offset0:53 offset1:54
	s_waitcnt vmcnt(27) lgkmcnt(1)
	v_mul_f32_e32 v111, v102, v176
	s_waitcnt vmcnt(26)
	v_fmac_f32_e32 v111, v103, v177
	v_add_f32_e32 v110, v110, v111
	s_waitcnt vmcnt(25)
	v_mul_f32_e32 v111, v104, v178
	s_waitcnt vmcnt(24)
	v_fmac_f32_e32 v111, v105, v179
	v_add_f32_e32 v110, v110, v111
	s_waitcnt vmcnt(23) lgkmcnt(0)
	v_mul_f32_e32 v111, v106, v180
	s_waitcnt vmcnt(22)
	v_fmac_f32_e32 v111, v107, v181
	v_add_f32_e32 v114, v110, v111
	ds_read2_b64 v[110:113], v4 offset0:55 offset1:56
	s_waitcnt vmcnt(21)
	v_mul_f32_e32 v115, v108, v182
	s_waitcnt vmcnt(20)
	v_fmac_f32_e32 v115, v109, v183
	v_add_f32_e32 v118, v114, v115
	ds_read2_b64 v[114:117], v4 offset0:57 offset1:58
	s_waitcnt vmcnt(19) lgkmcnt(1)
	v_mul_f32_e32 v119, v110, v184
	s_waitcnt vmcnt(18)
	v_fmac_f32_e32 v119, v111, v185
	v_add_f32_e32 v118, v118, v119
	s_waitcnt vmcnt(17)
	v_mul_f32_e32 v119, v112, v186
	s_waitcnt vmcnt(16)
	v_fmac_f32_e32 v119, v113, v187
	v_add_f32_e32 v118, v118, v119
	s_waitcnt vmcnt(14) lgkmcnt(0)
	v_mul_f32_e32 v119, v114, v189
	v_fmac_f32_e32 v119, v115, v188
	v_add_f32_e32 v122, v118, v119
	ds_read2_b64 v[118:121], v4 offset0:59 offset1:60
	s_waitcnt vmcnt(10)
	v_mul_f32_e32 v123, v116, v191
	v_fmac_f32_e32 v123, v117, v190
	v_add_f32_e32 v126, v122, v123
	ds_read2_b64 v[122:125], v4 offset0:61 offset1:62
	s_waitcnt vmcnt(8) lgkmcnt(1)
	v_mul_f32_e32 v127, v118, v193
	v_fmac_f32_e32 v127, v119, v192
	v_add_f32_e32 v126, v126, v127
	s_waitcnt vmcnt(6)
	v_mul_f32_e32 v127, v120, v195
	v_fmac_f32_e32 v127, v121, v194
	v_add_f32_e32 v126, v126, v127
	s_waitcnt vmcnt(4) lgkmcnt(0)
	v_mul_f32_e32 v127, v122, v197
	v_fmac_f32_e32 v127, v123, v196
	v_add_f32_e32 v135, v126, v127
	ds_read2_b64 v[126:129], v4 offset0:63 offset1:64
	buffer_load_dword v137, off, s[0:3], 0 offset:236
	buffer_load_dword v136, off, s[0:3], 0 offset:232
	;; [unrolled: 1-line block ×4, first 2 shown]
	ds_read2_b64 v[130:133], v4 offset0:65 offset1:66
	buffer_load_dword v145, off, s[0:3], 0 offset:268
	buffer_load_dword v144, off, s[0:3], 0 offset:264
	;; [unrolled: 1-line block ×12, first 2 shown]
	v_mul_f32_e32 v5, v7, v5
	v_fma_f32 v5, v6, v163, -v5
	v_mul_f32_e32 v6, v9, v134
	v_add_f32_e32 v5, 0, v5
	v_fma_f32 v6, v8, v164, -v6
	v_add_f32_e32 v5, v5, v6
	v_mul_f32_e32 v6, v11, v140
	v_fma_f32 v6, v10, v165, -v6
	v_add_f32_e32 v5, v5, v6
	v_mul_f32_e32 v6, v13, v142
	v_fma_f32 v6, v12, v166, -v6
	v_add_f32_e32 v5, v5, v6
	v_mul_f32_e32 v6, v15, v156
	v_fma_f32 v6, v14, v167, -v6
	v_add_f32_e32 v5, v5, v6
	v_mul_f32_e32 v6, v17, v157
	v_fma_f32 v6, v16, v168, -v6
	v_add_f32_e32 v5, v5, v6
	v_mul_f32_e32 v6, v19, v158
	v_fma_f32 v6, v18, v169, -v6
	v_add_f32_e32 v5, v5, v6
	v_mul_f32_e32 v6, v21, v159
	v_fma_f32 v6, v20, v170, -v6
	v_add_f32_e32 v5, v5, v6
	v_mul_f32_e32 v6, v95, v160
	v_fma_f32 v6, v94, v171, -v6
	v_add_f32_e32 v5, v5, v6
	v_mul_f32_e32 v6, v97, v161
	v_fma_f32 v6, v96, v172, -v6
	v_add_f32_e32 v5, v5, v6
	v_mul_f32_e32 v6, v99, v162
	v_fma_f32 v6, v98, v173, -v6
	v_add_f32_e32 v5, v5, v6
	v_mul_f32_e32 v6, v101, v174
	v_fma_f32 v6, v100, v175, -v6
	v_add_f32_e32 v5, v5, v6
	v_mul_f32_e32 v6, v103, v176
	v_fma_f32 v6, v102, v177, -v6
	v_add_f32_e32 v5, v5, v6
	v_mul_f32_e32 v6, v105, v178
	v_fma_f32 v6, v104, v179, -v6
	v_add_f32_e32 v5, v5, v6
	v_mul_f32_e32 v6, v107, v180
	v_fma_f32 v6, v106, v181, -v6
	v_add_f32_e32 v5, v5, v6
	v_mul_f32_e32 v6, v109, v182
	v_fma_f32 v6, v108, v183, -v6
	v_add_f32_e32 v5, v5, v6
	v_mul_f32_e32 v6, v111, v184
	v_fma_f32 v6, v110, v185, -v6
	v_add_f32_e32 v5, v5, v6
	v_mul_f32_e32 v6, v113, v186
	v_fma_f32 v6, v112, v187, -v6
	v_add_f32_e32 v5, v5, v6
	v_mul_f32_e32 v6, v115, v189
	v_fma_f32 v6, v114, v188, -v6
	v_add_f32_e32 v5, v5, v6
	v_mul_f32_e32 v6, v117, v191
	v_fma_f32 v6, v116, v190, -v6
	v_add_f32_e32 v5, v5, v6
	v_mul_f32_e32 v6, v119, v193
	v_fma_f32 v6, v118, v192, -v6
	v_add_f32_e32 v5, v5, v6
	v_mul_f32_e32 v6, v121, v195
	v_fma_f32 v6, v120, v194, -v6
	v_add_f32_e32 v5, v5, v6
	v_mul_f32_e32 v6, v123, v197
	v_fma_f32 v6, v122, v196, -v6
	s_waitcnt vmcnt(18)
	v_mul_f32_e32 v141, v124, v199
	v_add_f32_e32 v134, v5, v6
	v_mul_f32_e32 v5, v125, v199
	v_fmac_f32_e32 v141, v125, v198
	s_waitcnt vmcnt(16) lgkmcnt(1)
	v_mul_f32_e32 v143, v126, v201
	v_fma_f32 v140, v124, v198, -v5
	v_mul_f32_e32 v5, v127, v201
	v_fmac_f32_e32 v143, v127, v200
	s_waitcnt vmcnt(13)
	v_mov_b32_e32 v18, v139
	v_pk_mul_f32 v[18:19], v[128:129], v[18:19] op_sel_hi:[1,0]
	s_waitcnt vmcnt(12)
	v_pk_fma_f32 v[20:21], v[128:129], v[138:139], v[18:19] op_sel:[0,0,1] op_sel_hi:[1,1,0] neg_lo:[0,0,1] neg_hi:[0,0,1]
	v_pk_fma_f32 v[18:19], v[128:129], v[138:139], v[18:19] op_sel:[0,0,1] op_sel_hi:[1,0,0]
	v_fma_f32 v142, v126, v200, -v5
	v_pk_add_f32 v[16:17], v[134:135], v[140:141]
	v_mov_b32_e32 v18, v137
	v_pk_add_f32 v[16:17], v[16:17], v[142:143]
	v_mov_b32_e32 v21, v19
	s_waitcnt lgkmcnt(0)
	v_pk_mul_f32 v[18:19], v[130:131], v[18:19] op_sel_hi:[1,0]
	v_pk_add_f32 v[16:17], v[16:17], v[20:21]
	v_pk_fma_f32 v[20:21], v[130:131], v[136:137], v[18:19] op_sel:[0,0,1] op_sel_hi:[1,1,0] neg_lo:[0,0,1] neg_hi:[0,0,1]
	v_pk_fma_f32 v[18:19], v[130:131], v[136:137], v[18:19] op_sel:[0,0,1] op_sel_hi:[1,0,0]
	s_waitcnt vmcnt(5)
	v_mov_b32_e32 v18, v151
	ds_read2_b64 v[6:9], v4 offset0:67 offset1:68
	ds_read2_b64 v[10:13], v4 offset0:69 offset1:70
	ds_read_b64 v[14:15], v4 offset:568
	v_mov_b32_e32 v21, v19
	v_pk_mul_f32 v[18:19], v[132:133], v[18:19] op_sel_hi:[1,0]
	v_pk_add_f32 v[16:17], v[16:17], v[20:21]
	s_waitcnt vmcnt(4)
	v_pk_fma_f32 v[20:21], v[132:133], v[150:151], v[18:19] op_sel:[0,0,1] op_sel_hi:[1,1,0] neg_lo:[0,0,1] neg_hi:[0,0,1]
	v_pk_fma_f32 v[18:19], v[132:133], v[150:151], v[18:19] op_sel:[0,0,1] op_sel_hi:[1,0,0]
	v_mov_b32_e32 v18, v149
	v_mov_b32_e32 v21, v19
	s_waitcnt lgkmcnt(2)
	v_pk_mul_f32 v[18:19], v[6:7], v[18:19] op_sel_hi:[1,0]
	v_pk_add_f32 v[16:17], v[16:17], v[20:21]
	v_pk_fma_f32 v[20:21], v[6:7], v[148:149], v[18:19] op_sel:[0,0,1] op_sel_hi:[1,1,0] neg_lo:[0,0,1] neg_hi:[0,0,1]
	v_pk_fma_f32 v[6:7], v[6:7], v[148:149], v[18:19] op_sel:[0,0,1] op_sel_hi:[1,0,0]
	v_mov_b32_e32 v21, v7
	v_pk_add_f32 v[6:7], v[16:17], v[20:21]
	v_mov_b32_e32 v16, v147
	v_pk_mul_f32 v[16:17], v[8:9], v[16:17] op_sel_hi:[1,0]
	v_pk_fma_f32 v[18:19], v[8:9], v[146:147], v[16:17] op_sel:[0,0,1] op_sel_hi:[1,1,0] neg_lo:[0,0,1] neg_hi:[0,0,1]
	v_pk_fma_f32 v[8:9], v[8:9], v[146:147], v[16:17] op_sel:[0,0,1] op_sel_hi:[1,0,0]
	v_mov_b32_e32 v8, v145
	v_mov_b32_e32 v19, v9
	s_waitcnt lgkmcnt(1)
	v_pk_mul_f32 v[8:9], v[10:11], v[8:9] op_sel_hi:[1,0]
	v_pk_fma_f32 v[16:17], v[10:11], v[144:145], v[8:9] op_sel:[0,0,1] op_sel_hi:[1,1,0] neg_lo:[0,0,1] neg_hi:[0,0,1]
	v_pk_fma_f32 v[8:9], v[10:11], v[144:145], v[8:9] op_sel:[0,0,1] op_sel_hi:[1,0,0]
	s_waitcnt vmcnt(1)
	v_mov_b32_e32 v8, v155
	v_mov_b32_e32 v17, v9
	v_pk_mul_f32 v[8:9], v[12:13], v[8:9] op_sel_hi:[1,0]
	s_waitcnt vmcnt(0)
	v_pk_fma_f32 v[10:11], v[12:13], v[154:155], v[8:9] op_sel:[0,0,1] op_sel_hi:[1,1,0] neg_lo:[0,0,1] neg_hi:[0,0,1]
	v_pk_fma_f32 v[8:9], v[12:13], v[154:155], v[8:9] op_sel:[0,0,1] op_sel_hi:[1,0,0]
	v_pk_add_f32 v[6:7], v[6:7], v[18:19]
	v_mov_b32_e32 v8, v153
	v_pk_add_f32 v[6:7], v[6:7], v[16:17]
	v_mov_b32_e32 v11, v9
	s_waitcnt lgkmcnt(0)
	v_pk_mul_f32 v[8:9], v[14:15], v[8:9] op_sel_hi:[1,0]
	v_pk_add_f32 v[6:7], v[6:7], v[10:11]
	v_pk_fma_f32 v[10:11], v[14:15], v[152:153], v[8:9] op_sel:[0,0,1] op_sel_hi:[1,1,0] neg_lo:[0,0,1] neg_hi:[0,0,1]
	v_pk_fma_f32 v[8:9], v[14:15], v[152:153], v[8:9] op_sel:[0,0,1] op_sel_hi:[1,0,0]
	v_mov_b32_e32 v11, v9
	v_pk_add_f32 v[6:7], v[6:7], v[10:11]
	v_pk_add_f32 v[2:3], v[2:3], v[6:7] neg_lo:[0,1] neg_hi:[0,1]
	buffer_store_dword v3, off, s[0:3], 0 offset:20
	buffer_store_dword v2, off, s[0:3], 0 offset:16
	s_and_saveexec_b64 s[4:5], vcc
	s_cbranch_execz .LBB99_227
; %bb.226:
	buffer_load_dword v2, off, s[0:3], 0 offset:8
	buffer_load_dword v3, off, s[0:3], 0 offset:12
	s_waitcnt vmcnt(0)
	ds_write_b64 v1, v[2:3]
	buffer_store_dword v4, off, s[0:3], 0 offset:8
	buffer_store_dword v4, off, s[0:3], 0 offset:12
.LBB99_227:
	s_or_b64 exec, exec, s[4:5]
	s_waitcnt lgkmcnt(0)
	; wave barrier
	s_waitcnt lgkmcnt(0)
	buffer_load_dword v5, off, s[0:3], 0 offset:20
	buffer_load_dword v136, off, s[0:3], 0 offset:28
	;; [unrolled: 1-line block ×42, first 2 shown]
	ds_read_b128 v[6:9], v4 offset:304
	ds_read_b128 v[10:13], v4 offset:320
	buffer_load_dword v192, off, s[0:3], 0 offset:176
	buffer_load_dword v193, off, s[0:3], 0 offset:180
	ds_read_b128 v[14:17], v4 offset:336
	ds_read_b128 v[18:21], v4 offset:352
	buffer_load_dword v194, off, s[0:3], 0 offset:184
	buffer_load_dword v195, off, s[0:3], 0 offset:188
	;; [unrolled: 1-line block ×4, first 2 shown]
	ds_read_b128 v[94:97], v4 offset:368
	ds_read_b128 v[98:101], v4 offset:384
	buffer_load_dword v198, off, s[0:3], 0 offset:200
	buffer_load_dword v199, off, s[0:3], 0 offset:204
	;; [unrolled: 1-line block ×6, first 2 shown]
	v_cmp_ne_u32_e32 vcc, 0, v0
	s_waitcnt vmcnt(53) lgkmcnt(5)
	v_mul_f32_e32 v102, v6, v5
	s_waitcnt vmcnt(52)
	v_mul_f32_e32 v103, v8, v136
	s_waitcnt vmcnt(51) lgkmcnt(4)
	v_mul_f32_e32 v104, v10, v138
	s_waitcnt vmcnt(50)
	v_mul_f32_e32 v105, v12, v140
	;; [unrolled: 4-line block ×5, first 2 shown]
	s_waitcnt vmcnt(43)
	v_fmac_f32_e32 v102, v7, v162
	s_waitcnt vmcnt(42)
	v_fmac_f32_e32 v103, v9, v163
	v_add_f32_e32 v102, 0, v102
	s_waitcnt vmcnt(41)
	v_fmac_f32_e32 v104, v11, v164
	v_add_f32_e32 v102, v102, v103
	;; [unrolled: 3-line block ×9, first 2 shown]
	s_waitcnt vmcnt(33) lgkmcnt(0)
	v_mul_f32_e32 v103, v98, v172
	v_add_f32_e32 v102, v102, v111
	s_waitcnt vmcnt(32)
	v_fmac_f32_e32 v103, v99, v173
	v_add_f32_e32 v106, v102, v103
	ds_read_b128 v[102:105], v4 offset:400
	s_waitcnt vmcnt(31)
	v_mul_f32_e32 v107, v100, v174
	s_waitcnt vmcnt(30)
	v_fmac_f32_e32 v107, v101, v175
	v_add_f32_e32 v110, v106, v107
	ds_read_b128 v[106:109], v4 offset:416
	s_waitcnt vmcnt(29) lgkmcnt(1)
	v_mul_f32_e32 v111, v102, v176
	s_waitcnt vmcnt(28)
	v_fmac_f32_e32 v111, v103, v177
	v_add_f32_e32 v110, v110, v111
	s_waitcnt vmcnt(27)
	v_mul_f32_e32 v111, v104, v178
	s_waitcnt vmcnt(26)
	v_fmac_f32_e32 v111, v105, v179
	v_add_f32_e32 v110, v110, v111
	s_waitcnt vmcnt(25) lgkmcnt(0)
	v_mul_f32_e32 v111, v106, v180
	s_waitcnt vmcnt(24)
	v_fmac_f32_e32 v111, v107, v181
	v_add_f32_e32 v114, v110, v111
	ds_read_b128 v[110:113], v4 offset:432
	s_waitcnt vmcnt(23)
	v_mul_f32_e32 v115, v108, v182
	s_waitcnt vmcnt(22)
	v_fmac_f32_e32 v115, v109, v183
	v_add_f32_e32 v118, v114, v115
	ds_read_b128 v[114:117], v4 offset:448
	s_waitcnt vmcnt(21) lgkmcnt(1)
	v_mul_f32_e32 v119, v110, v184
	s_waitcnt vmcnt(20)
	v_fmac_f32_e32 v119, v111, v185
	v_add_f32_e32 v118, v118, v119
	s_waitcnt vmcnt(18)
	v_mul_f32_e32 v119, v112, v187
	v_fmac_f32_e32 v119, v113, v186
	v_add_f32_e32 v118, v118, v119
	s_waitcnt vmcnt(15) lgkmcnt(0)
	v_mul_f32_e32 v119, v114, v188
	s_waitcnt vmcnt(14)
	v_fmac_f32_e32 v119, v115, v189
	v_add_f32_e32 v122, v118, v119
	ds_read_b128 v[118:121], v4 offset:464
	s_waitcnt vmcnt(12)
	v_mul_f32_e32 v123, v116, v191
	v_fmac_f32_e32 v123, v117, v190
	v_add_f32_e32 v126, v122, v123
	ds_read_b128 v[122:125], v4 offset:480
	buffer_load_dword v135, off, s[0:3], 0 offset:228
	buffer_load_dword v134, off, s[0:3], 0 offset:224
	s_waitcnt vmcnt(12) lgkmcnt(1)
	v_mul_f32_e32 v127, v118, v193
	v_fmac_f32_e32 v127, v119, v192
	v_add_f32_e32 v126, v126, v127
	s_waitcnt vmcnt(10)
	v_mul_f32_e32 v127, v120, v195
	v_fmac_f32_e32 v127, v121, v194
	v_add_f32_e32 v126, v126, v127
	s_waitcnt vmcnt(8) lgkmcnt(0)
	v_mul_f32_e32 v127, v122, v197
	v_fmac_f32_e32 v127, v123, v196
	s_waitcnt vmcnt(6)
	v_mul_f32_e32 v131, v124, v199
	v_add_f32_e32 v130, v126, v127
	v_fmac_f32_e32 v131, v125, v198
	ds_read_b128 v[126:129], v4 offset:496
	v_add_f32_e32 v137, v130, v131
	ds_read_b128 v[130:133], v4 offset:512
	buffer_load_dword v143, off, s[0:3], 0 offset:260
	buffer_load_dword v142, off, s[0:3], 0 offset:256
	;; [unrolled: 1-line block ×14, first 2 shown]
	v_mul_f32_e32 v5, v7, v5
	v_fma_f32 v5, v6, v162, -v5
	v_mul_f32_e32 v6, v9, v136
	v_add_f32_e32 v5, 0, v5
	v_fma_f32 v6, v8, v163, -v6
	v_add_f32_e32 v5, v5, v6
	v_mul_f32_e32 v6, v11, v138
	v_fma_f32 v6, v10, v164, -v6
	v_add_f32_e32 v5, v5, v6
	v_mul_f32_e32 v6, v13, v140
	;; [unrolled: 3-line block ×22, first 2 shown]
	v_fma_f32 v6, v124, v198, -v6
	s_waitcnt vmcnt(15)
	v_mov_b32_e32 v18, v135
	s_waitcnt lgkmcnt(1)
	v_mul_f32_e32 v139, v126, v201
	v_add_f32_e32 v136, v5, v6
	v_mul_f32_e32 v5, v127, v201
	s_waitcnt lgkmcnt(0)
	v_pk_mul_f32 v[18:19], v[130:131], v[18:19] op_sel_hi:[1,0]
	v_fmac_f32_e32 v139, v127, v200
	v_mul_f32_e32 v141, v128, v203
	v_fma_f32 v138, v126, v200, -v5
	v_mul_f32_e32 v5, v129, v203
	s_waitcnt vmcnt(14)
	v_pk_fma_f32 v[20:21], v[130:131], v[134:135], v[18:19] op_sel:[0,0,1] op_sel_hi:[1,1,0] neg_lo:[0,0,1] neg_hi:[0,0,1]
	v_pk_fma_f32 v[18:19], v[130:131], v[134:135], v[18:19] op_sel:[0,0,1] op_sel_hi:[1,0,0]
	v_fmac_f32_e32 v141, v129, v202
	v_fma_f32 v140, v128, v202, -v5
	ds_read_b128 v[6:9], v4 offset:528
	ds_read_b128 v[10:13], v4 offset:544
	;; [unrolled: 1-line block ×3, first 2 shown]
	v_pk_add_f32 v[4:5], v[136:137], v[138:139]
	s_waitcnt vmcnt(7)
	v_mov_b32_e32 v18, v149
	v_pk_add_f32 v[4:5], v[4:5], v[140:141]
	v_mov_b32_e32 v21, v19
	v_pk_mul_f32 v[18:19], v[132:133], v[18:19] op_sel_hi:[1,0]
	v_pk_add_f32 v[4:5], v[4:5], v[20:21]
	s_waitcnt vmcnt(6)
	v_pk_fma_f32 v[20:21], v[132:133], v[148:149], v[18:19] op_sel:[0,0,1] op_sel_hi:[1,1,0] neg_lo:[0,0,1] neg_hi:[0,0,1]
	v_pk_fma_f32 v[18:19], v[132:133], v[148:149], v[18:19] op_sel:[0,0,1] op_sel_hi:[1,0,0]
	v_mov_b32_e32 v18, v147
	v_mov_b32_e32 v21, v19
	s_waitcnt lgkmcnt(2)
	v_pk_mul_f32 v[18:19], v[6:7], v[18:19] op_sel_hi:[1,0]
	v_pk_add_f32 v[4:5], v[4:5], v[20:21]
	v_pk_fma_f32 v[20:21], v[6:7], v[146:147], v[18:19] op_sel:[0,0,1] op_sel_hi:[1,1,0] neg_lo:[0,0,1] neg_hi:[0,0,1]
	v_pk_fma_f32 v[6:7], v[6:7], v[146:147], v[18:19] op_sel:[0,0,1] op_sel_hi:[1,0,0]
	v_mov_b32_e32 v6, v145
	v_mov_b32_e32 v21, v7
	v_pk_mul_f32 v[6:7], v[8:9], v[6:7] op_sel_hi:[1,0]
	v_pk_fma_f32 v[18:19], v[8:9], v[144:145], v[6:7] op_sel:[0,0,1] op_sel_hi:[1,1,0] neg_lo:[0,0,1] neg_hi:[0,0,1]
	v_pk_fma_f32 v[6:7], v[8:9], v[144:145], v[6:7] op_sel:[0,0,1] op_sel_hi:[1,0,0]
	v_mov_b32_e32 v6, v143
	v_mov_b32_e32 v19, v7
	s_waitcnt lgkmcnt(1)
	v_pk_mul_f32 v[6:7], v[10:11], v[6:7] op_sel_hi:[1,0]
	v_pk_fma_f32 v[8:9], v[10:11], v[142:143], v[6:7] op_sel:[0,0,1] op_sel_hi:[1,1,0] neg_lo:[0,0,1] neg_hi:[0,0,1]
	v_pk_fma_f32 v[6:7], v[10:11], v[142:143], v[6:7] op_sel:[0,0,1] op_sel_hi:[1,0,0]
	v_pk_add_f32 v[4:5], v[4:5], v[20:21]
	s_waitcnt vmcnt(1)
	v_mov_b32_e32 v6, v155
	v_pk_add_f32 v[4:5], v[4:5], v[18:19]
	v_mov_b32_e32 v9, v7
	v_pk_mul_f32 v[6:7], v[12:13], v[6:7] op_sel_hi:[1,0]
	v_pk_add_f32 v[4:5], v[4:5], v[8:9]
	s_waitcnt vmcnt(0)
	v_pk_fma_f32 v[8:9], v[12:13], v[154:155], v[6:7] op_sel:[0,0,1] op_sel_hi:[1,1,0] neg_lo:[0,0,1] neg_hi:[0,0,1]
	v_pk_fma_f32 v[6:7], v[12:13], v[154:155], v[6:7] op_sel:[0,0,1] op_sel_hi:[1,0,0]
	v_mov_b32_e32 v6, v153
	v_mov_b32_e32 v9, v7
	s_waitcnt lgkmcnt(0)
	v_pk_mul_f32 v[6:7], v[14:15], v[6:7] op_sel_hi:[1,0]
	v_pk_add_f32 v[4:5], v[4:5], v[8:9]
	v_pk_fma_f32 v[8:9], v[14:15], v[152:153], v[6:7] op_sel:[0,0,1] op_sel_hi:[1,1,0] neg_lo:[0,0,1] neg_hi:[0,0,1]
	v_pk_fma_f32 v[6:7], v[14:15], v[152:153], v[6:7] op_sel:[0,0,1] op_sel_hi:[1,0,0]
	v_mov_b32_e32 v6, v151
	v_mov_b32_e32 v9, v7
	v_pk_mul_f32 v[6:7], v[16:17], v[6:7] op_sel_hi:[1,0]
	v_pk_add_f32 v[4:5], v[4:5], v[8:9]
	v_pk_fma_f32 v[8:9], v[16:17], v[150:151], v[6:7] op_sel:[0,0,1] op_sel_hi:[1,1,0] neg_lo:[0,0,1] neg_hi:[0,0,1]
	v_pk_fma_f32 v[6:7], v[16:17], v[150:151], v[6:7] op_sel:[0,0,1] op_sel_hi:[1,0,0]
	v_mov_b32_e32 v9, v7
	v_pk_add_f32 v[4:5], v[4:5], v[8:9]
	v_pk_add_f32 v[2:3], v[2:3], v[4:5] neg_lo:[0,1] neg_hi:[0,1]
	buffer_store_dword v3, off, s[0:3], 0 offset:12
	buffer_store_dword v2, off, s[0:3], 0 offset:8
	s_and_saveexec_b64 s[4:5], vcc
	s_cbranch_execz .LBB99_229
; %bb.228:
	buffer_load_dword v2, off, s[0:3], 0
	buffer_load_dword v3, off, s[0:3], 0 offset:4
	v_mov_b32_e32 v0, 0
	buffer_store_dword v0, off, s[0:3], 0
	buffer_store_dword v0, off, s[0:3], 0 offset:4
	s_waitcnt vmcnt(2)
	ds_write_b64 v1, v[2:3]
.LBB99_229:
	s_or_b64 exec, exec, s[4:5]
	s_waitcnt lgkmcnt(0)
	; wave barrier
	s_waitcnt lgkmcnt(0)
	buffer_load_dword v130, off, s[0:3], 0 offset:12
	buffer_load_dword v132, off, s[0:3], 0 offset:20
	;; [unrolled: 1-line block ×32, first 2 shown]
	buffer_load_dword v0, off, s[0:3], 0
	buffer_load_dword v1, off, s[0:3], 0 offset:4
	buffer_load_dword v181, off, s[0:3], 0 offset:136
	;; [unrolled: 1-line block ×23, first 2 shown]
	v_mov_b32_e32 v183, 0
	ds_read2_b64 v[2:5], v183 offset0:37 offset1:38
	ds_read2_b64 v[6:9], v183 offset0:39 offset1:40
	ds_read2_b64 v[10:13], v183 offset0:41 offset1:42
	ds_read2_b64 v[14:17], v183 offset0:43 offset1:44
	ds_read2_b64 v[18:21], v183 offset0:45 offset1:46
	ds_read2_b64 v[94:97], v183 offset0:47 offset1:48
	s_and_b64 vcc, exec, s[16:17]
	s_waitcnt vmcnt(55) lgkmcnt(5)
	v_mul_f32_e32 v98, v2, v130
	s_waitcnt vmcnt(54)
	v_mul_f32_e32 v99, v4, v132
	s_waitcnt vmcnt(53) lgkmcnt(4)
	v_mul_f32_e32 v100, v6, v134
	s_waitcnt vmcnt(52)
	v_mul_f32_e32 v101, v8, v152
	;; [unrolled: 4-line block ×4, first 2 shown]
	s_waitcnt vmcnt(47) lgkmcnt(1)
	v_mul_f32_e32 v106, v18, v157
	s_waitcnt vmcnt(46)
	v_fmac_f32_e32 v98, v3, v158
	s_waitcnt vmcnt(45)
	v_fmac_f32_e32 v99, v5, v159
	v_add_f32_e32 v98, 0, v98
	s_waitcnt vmcnt(44)
	v_fmac_f32_e32 v100, v7, v160
	v_add_f32_e32 v98, v98, v99
	;; [unrolled: 3-line block ×7, first 2 shown]
	v_add_f32_e32 v98, v98, v105
	s_waitcnt vmcnt(38)
	v_fmac_f32_e32 v106, v19, v166
	s_waitcnt vmcnt(37)
	v_mul_f32_e32 v99, v20, v167
	v_add_f32_e32 v98, v98, v106
	s_waitcnt vmcnt(36)
	v_fmac_f32_e32 v99, v21, v168
	v_add_f32_e32 v98, v98, v99
	s_waitcnt vmcnt(35) lgkmcnt(0)
	v_mul_f32_e32 v99, v94, v169
	s_waitcnt vmcnt(34)
	v_fmac_f32_e32 v99, v95, v170
	v_add_f32_e32 v102, v98, v99
	ds_read2_b64 v[98:101], v183 offset0:49 offset1:50
	s_waitcnt vmcnt(33)
	v_mul_f32_e32 v103, v96, v171
	s_waitcnt vmcnt(32)
	v_fmac_f32_e32 v103, v97, v172
	v_add_f32_e32 v106, v102, v103
	ds_read2_b64 v[102:105], v183 offset0:51 offset1:52
	s_waitcnt vmcnt(31) lgkmcnt(1)
	v_mul_f32_e32 v107, v98, v173
	s_waitcnt vmcnt(30)
	v_fmac_f32_e32 v107, v99, v174
	v_add_f32_e32 v106, v106, v107
	s_waitcnt vmcnt(29)
	v_mul_f32_e32 v107, v100, v175
	s_waitcnt vmcnt(28)
	v_fmac_f32_e32 v107, v101, v176
	v_add_f32_e32 v106, v106, v107
	s_waitcnt vmcnt(27) lgkmcnt(0)
	v_mul_f32_e32 v107, v102, v177
	s_waitcnt vmcnt(26)
	v_fmac_f32_e32 v107, v103, v178
	v_add_f32_e32 v110, v106, v107
	ds_read2_b64 v[106:109], v183 offset0:53 offset1:54
	s_waitcnt vmcnt(24)
	v_mul_f32_e32 v111, v104, v180
	v_fmac_f32_e32 v111, v105, v179
	v_add_f32_e32 v114, v110, v111
	ds_read2_b64 v[110:113], v183 offset0:55 offset1:56
	s_waitcnt vmcnt(20) lgkmcnt(1)
	v_mul_f32_e32 v115, v106, v182
	v_fmac_f32_e32 v115, v107, v181
	v_add_f32_e32 v114, v114, v115
	s_waitcnt vmcnt(18)
	v_mul_f32_e32 v115, v108, v185
	v_fmac_f32_e32 v115, v109, v184
	v_add_f32_e32 v114, v114, v115
	s_waitcnt vmcnt(16) lgkmcnt(0)
	v_mul_f32_e32 v115, v110, v187
	v_fmac_f32_e32 v115, v111, v186
	v_add_f32_e32 v118, v114, v115
	ds_read2_b64 v[114:117], v183 offset0:57 offset1:58
	s_waitcnt vmcnt(14)
	v_mul_f32_e32 v119, v112, v189
	v_fmac_f32_e32 v119, v113, v188
	v_add_f32_e32 v122, v118, v119
	ds_read2_b64 v[118:121], v183 offset0:59 offset1:60
	s_waitcnt vmcnt(12) lgkmcnt(1)
	v_mul_f32_e32 v123, v114, v191
	v_fmac_f32_e32 v123, v115, v190
	v_add_f32_e32 v122, v122, v123
	s_waitcnt vmcnt(10)
	v_mul_f32_e32 v123, v116, v193
	v_fmac_f32_e32 v123, v117, v192
	v_add_f32_e32 v122, v122, v123
	s_waitcnt vmcnt(8) lgkmcnt(0)
	v_mul_f32_e32 v123, v118, v195
	v_fmac_f32_e32 v123, v119, v194
	s_waitcnt vmcnt(6)
	v_mul_f32_e32 v127, v120, v197
	v_add_f32_e32 v126, v122, v123
	v_fmac_f32_e32 v127, v121, v196
	ds_read2_b64 v[122:125], v183 offset0:61 offset1:62
	v_add_f32_e32 v131, v126, v127
	ds_read2_b64 v[126:129], v183 offset0:63 offset1:64
	buffer_load_dword v137, off, s[0:3], 0 offset:252
	buffer_load_dword v136, off, s[0:3], 0 offset:248
	;; [unrolled: 1-line block ×16, first 2 shown]
	v_mul_f32_e32 v3, v3, v130
	v_fma_f32 v2, v2, v158, -v3
	v_mul_f32_e32 v3, v5, v132
	v_add_f32_e32 v2, 0, v2
	v_fma_f32 v3, v4, v159, -v3
	v_add_f32_e32 v2, v2, v3
	v_mul_f32_e32 v3, v7, v134
	v_fma_f32 v3, v6, v160, -v3
	v_add_f32_e32 v2, v2, v3
	v_mul_f32_e32 v3, v9, v152
	;; [unrolled: 3-line block ×22, first 2 shown]
	v_fma_f32 v3, v120, v196, -v3
	v_add_f32_e32 v2, v2, v3
	s_waitcnt vmcnt(20) lgkmcnt(1)
	v_mul_f32_e32 v3, v123, v199
	v_mul_f32_e32 v133, v122, v199
	v_fma_f32 v3, v122, v198, -v3
	v_fmac_f32_e32 v133, v123, v198
	v_add_f32_e32 v130, v2, v3
	s_waitcnt vmcnt(18)
	v_mul_f32_e32 v2, v125, v201
	s_waitcnt vmcnt(9)
	v_mov_b32_e32 v18, v143
	v_add_f32_e32 v131, v131, v133
	v_mul_f32_e32 v133, v124, v201
	v_fma_f32 v132, v124, v200, -v2
	s_waitcnt lgkmcnt(0)
	v_mul_f32_e32 v2, v127, v203
	v_pk_mul_f32 v[18:19], v[128:129], v[18:19] op_sel_hi:[1,0]
	v_fmac_f32_e32 v133, v125, v200
	v_mul_f32_e32 v135, v126, v203
	v_fma_f32 v134, v126, v202, -v2
	ds_read2_b64 v[2:5], v183 offset0:65 offset1:66
	ds_read2_b64 v[6:9], v183 offset0:67 offset1:68
	;; [unrolled: 1-line block ×3, first 2 shown]
	ds_read_b64 v[14:15], v183 offset:568
	s_waitcnt vmcnt(8)
	v_pk_fma_f32 v[20:21], v[128:129], v[142:143], v[18:19] op_sel:[0,0,1] op_sel_hi:[1,1,0] neg_lo:[0,0,1] neg_hi:[0,0,1]
	v_pk_fma_f32 v[18:19], v[128:129], v[142:143], v[18:19] op_sel:[0,0,1] op_sel_hi:[1,0,0]
	v_fmac_f32_e32 v135, v127, v202
	v_pk_add_f32 v[16:17], v[130:131], v[132:133]
	v_mov_b32_e32 v18, v141
	v_pk_add_f32 v[16:17], v[16:17], v[134:135]
	v_mov_b32_e32 v21, v19
	s_waitcnt lgkmcnt(3)
	v_pk_mul_f32 v[18:19], v[2:3], v[18:19] op_sel_hi:[1,0]
	v_pk_add_f32 v[16:17], v[16:17], v[20:21]
	v_pk_fma_f32 v[20:21], v[2:3], v[140:141], v[18:19] op_sel:[0,0,1] op_sel_hi:[1,1,0] neg_lo:[0,0,1] neg_hi:[0,0,1]
	v_pk_fma_f32 v[2:3], v[2:3], v[140:141], v[18:19] op_sel:[0,0,1] op_sel_hi:[1,0,0]
	v_mov_b32_e32 v21, v3
	v_pk_add_f32 v[2:3], v[16:17], v[20:21]
	v_mov_b32_e32 v16, v139
	v_pk_mul_f32 v[16:17], v[4:5], v[16:17] op_sel_hi:[1,0]
	v_pk_fma_f32 v[18:19], v[4:5], v[138:139], v[16:17] op_sel:[0,0,1] op_sel_hi:[1,1,0] neg_lo:[0,0,1] neg_hi:[0,0,1]
	v_pk_fma_f32 v[4:5], v[4:5], v[138:139], v[16:17] op_sel:[0,0,1] op_sel_hi:[1,0,0]
	v_mov_b32_e32 v4, v137
	v_mov_b32_e32 v19, v5
	s_waitcnt lgkmcnt(2)
	v_pk_mul_f32 v[4:5], v[6:7], v[4:5] op_sel_hi:[1,0]
	v_pk_fma_f32 v[16:17], v[6:7], v[136:137], v[4:5] op_sel:[0,0,1] op_sel_hi:[1,1,0] neg_lo:[0,0,1] neg_hi:[0,0,1]
	v_pk_fma_f32 v[4:5], v[6:7], v[136:137], v[4:5] op_sel:[0,0,1] op_sel_hi:[1,0,0]
	s_waitcnt vmcnt(1)
	v_mov_b32_e32 v4, v151
	v_mov_b32_e32 v17, v5
	v_pk_mul_f32 v[4:5], v[8:9], v[4:5] op_sel_hi:[1,0]
	s_waitcnt vmcnt(0)
	v_pk_fma_f32 v[6:7], v[8:9], v[150:151], v[4:5] op_sel:[0,0,1] op_sel_hi:[1,1,0] neg_lo:[0,0,1] neg_hi:[0,0,1]
	v_pk_fma_f32 v[4:5], v[8:9], v[150:151], v[4:5] op_sel:[0,0,1] op_sel_hi:[1,0,0]
	v_pk_add_f32 v[2:3], v[2:3], v[18:19]
	v_mov_b32_e32 v4, v149
	v_pk_add_f32 v[2:3], v[2:3], v[16:17]
	v_mov_b32_e32 v7, v5
	s_waitcnt lgkmcnt(1)
	v_pk_mul_f32 v[4:5], v[10:11], v[4:5] op_sel_hi:[1,0]
	v_pk_add_f32 v[2:3], v[2:3], v[6:7]
	v_pk_fma_f32 v[6:7], v[10:11], v[148:149], v[4:5] op_sel:[0,0,1] op_sel_hi:[1,1,0] neg_lo:[0,0,1] neg_hi:[0,0,1]
	v_pk_fma_f32 v[4:5], v[10:11], v[148:149], v[4:5] op_sel:[0,0,1] op_sel_hi:[1,0,0]
	v_mov_b32_e32 v4, v147
	v_mov_b32_e32 v7, v5
	v_pk_mul_f32 v[4:5], v[12:13], v[4:5] op_sel_hi:[1,0]
	v_pk_add_f32 v[2:3], v[2:3], v[6:7]
	v_pk_fma_f32 v[6:7], v[12:13], v[146:147], v[4:5] op_sel:[0,0,1] op_sel_hi:[1,1,0] neg_lo:[0,0,1] neg_hi:[0,0,1]
	v_pk_fma_f32 v[4:5], v[12:13], v[146:147], v[4:5] op_sel:[0,0,1] op_sel_hi:[1,0,0]
	v_mov_b32_e32 v4, v145
	v_mov_b32_e32 v7, v5
	s_waitcnt lgkmcnt(0)
	v_pk_mul_f32 v[4:5], v[14:15], v[4:5] op_sel_hi:[1,0]
	v_pk_add_f32 v[2:3], v[2:3], v[6:7]
	v_pk_fma_f32 v[6:7], v[14:15], v[144:145], v[4:5] op_sel:[0,0,1] op_sel_hi:[1,1,0] neg_lo:[0,0,1] neg_hi:[0,0,1]
	v_pk_fma_f32 v[4:5], v[14:15], v[144:145], v[4:5] op_sel:[0,0,1] op_sel_hi:[1,0,0]
	v_mov_b32_e32 v7, v5
	v_pk_add_f32 v[2:3], v[2:3], v[6:7]
	v_pk_add_f32 v[0:1], v[0:1], v[2:3] neg_lo:[0,1] neg_hi:[0,1]
	buffer_store_dword v1, off, s[0:3], 0 offset:4
	buffer_store_dword v0, off, s[0:3], 0
	s_cbranch_vccz .LBB99_301
; %bb.230:
	v_pk_mov_b32 v[0:1], s[10:11], s[10:11] op_sel:[0,1]
	flat_load_dword v0, v[0:1] offset:136
	s_waitcnt vmcnt(0) lgkmcnt(0)
	v_add_u32_e32 v0, -1, v0
	v_cmp_ne_u32_e32 vcc, 34, v0
	s_and_saveexec_b64 s[4:5], vcc
	s_cbranch_execz .LBB99_232
; %bb.231:
	v_mov_b32_e32 v1, 0
	v_lshl_add_u32 v0, v0, 3, v1
	buffer_load_dword v1, v0, s[0:3], 0 offen
	buffer_load_dword v2, v0, s[0:3], 0 offen offset:4
	buffer_load_dword v3, off, s[0:3], 0 offset:276
	buffer_load_dword v4, off, s[0:3], 0 offset:272
	s_waitcnt vmcnt(3)
	buffer_store_dword v1, off, s[0:3], 0 offset:272
	s_waitcnt vmcnt(3)
	buffer_store_dword v2, off, s[0:3], 0 offset:276
	s_waitcnt vmcnt(3)
	buffer_store_dword v3, v0, s[0:3], 0 offen offset:4
	s_waitcnt vmcnt(3)
	buffer_store_dword v4, v0, s[0:3], 0 offen
.LBB99_232:
	s_or_b64 exec, exec, s[4:5]
	v_pk_mov_b32 v[0:1], s[10:11], s[10:11] op_sel:[0,1]
	flat_load_dword v0, v[0:1] offset:132
	s_waitcnt vmcnt(0) lgkmcnt(0)
	v_add_u32_e32 v0, -1, v0
	v_cmp_ne_u32_e32 vcc, 33, v0
	s_and_saveexec_b64 s[4:5], vcc
	s_cbranch_execz .LBB99_234
; %bb.233:
	v_mov_b32_e32 v1, 0
	v_lshl_add_u32 v0, v0, 3, v1
	buffer_load_dword v1, v0, s[0:3], 0 offen
	buffer_load_dword v2, v0, s[0:3], 0 offen offset:4
	buffer_load_dword v3, off, s[0:3], 0 offset:264
	buffer_load_dword v4, off, s[0:3], 0 offset:268
	s_waitcnt vmcnt(3)
	buffer_store_dword v1, off, s[0:3], 0 offset:264
	s_waitcnt vmcnt(3)
	buffer_store_dword v2, off, s[0:3], 0 offset:268
	s_waitcnt vmcnt(3)
	buffer_store_dword v3, v0, s[0:3], 0 offen
	s_waitcnt vmcnt(3)
	buffer_store_dword v4, v0, s[0:3], 0 offen offset:4
.LBB99_234:
	s_or_b64 exec, exec, s[4:5]
	v_pk_mov_b32 v[0:1], s[10:11], s[10:11] op_sel:[0,1]
	flat_load_dword v0, v[0:1] offset:128
	s_waitcnt vmcnt(0) lgkmcnt(0)
	v_add_u32_e32 v0, -1, v0
	v_cmp_ne_u32_e32 vcc, 32, v0
	s_and_saveexec_b64 s[4:5], vcc
	s_cbranch_execz .LBB99_236
; %bb.235:
	v_mov_b32_e32 v1, 0
	v_lshl_add_u32 v0, v0, 3, v1
	buffer_load_dword v1, v0, s[0:3], 0 offen
	buffer_load_dword v2, v0, s[0:3], 0 offen offset:4
	buffer_load_dword v3, off, s[0:3], 0 offset:260
	buffer_load_dword v4, off, s[0:3], 0 offset:256
	s_waitcnt vmcnt(3)
	buffer_store_dword v1, off, s[0:3], 0 offset:256
	s_waitcnt vmcnt(3)
	buffer_store_dword v2, off, s[0:3], 0 offset:260
	s_waitcnt vmcnt(3)
	buffer_store_dword v3, v0, s[0:3], 0 offen offset:4
	s_waitcnt vmcnt(3)
	buffer_store_dword v4, v0, s[0:3], 0 offen
.LBB99_236:
	s_or_b64 exec, exec, s[4:5]
	v_pk_mov_b32 v[0:1], s[10:11], s[10:11] op_sel:[0,1]
	flat_load_dword v0, v[0:1] offset:124
	s_waitcnt vmcnt(0) lgkmcnt(0)
	v_add_u32_e32 v0, -1, v0
	v_cmp_ne_u32_e32 vcc, 31, v0
	s_and_saveexec_b64 s[4:5], vcc
	s_cbranch_execz .LBB99_238
; %bb.237:
	v_mov_b32_e32 v1, 0
	v_lshl_add_u32 v0, v0, 3, v1
	buffer_load_dword v1, v0, s[0:3], 0 offen
	buffer_load_dword v2, v0, s[0:3], 0 offen offset:4
	buffer_load_dword v3, off, s[0:3], 0 offset:248
	buffer_load_dword v4, off, s[0:3], 0 offset:252
	s_waitcnt vmcnt(3)
	buffer_store_dword v1, off, s[0:3], 0 offset:248
	s_waitcnt vmcnt(3)
	buffer_store_dword v2, off, s[0:3], 0 offset:252
	s_waitcnt vmcnt(3)
	buffer_store_dword v3, v0, s[0:3], 0 offen
	s_waitcnt vmcnt(3)
	buffer_store_dword v4, v0, s[0:3], 0 offen offset:4
.LBB99_238:
	s_or_b64 exec, exec, s[4:5]
	;; [unrolled: 48-line block ×17, first 2 shown]
	v_pk_mov_b32 v[0:1], s[10:11], s[10:11] op_sel:[0,1]
	flat_load_dword v2, v[0:1]
	s_nop 0
	buffer_load_dword v0, off, s[0:3], 0
	buffer_load_dword v1, off, s[0:3], 0 offset:4
	s_waitcnt vmcnt(0) lgkmcnt(0)
	v_add_u32_e32 v2, -1, v2
	v_cmp_ne_u32_e32 vcc, 0, v2
	s_and_saveexec_b64 s[4:5], vcc
	s_cbranch_execz .LBB99_300
; %bb.299:
	v_mov_b32_e32 v3, 0
	v_lshl_add_u32 v2, v2, 3, v3
	buffer_load_dword v3, v2, s[0:3], 0 offen offset:4
	buffer_load_dword v4, v2, s[0:3], 0 offen
	s_waitcnt vmcnt(1)
	buffer_store_dword v3, off, s[0:3], 0 offset:4
	s_waitcnt vmcnt(1)
	buffer_store_dword v4, off, s[0:3], 0
	buffer_store_dword v1, v2, s[0:3], 0 offen offset:4
	buffer_store_dword v0, v2, s[0:3], 0 offen
	buffer_load_dword v0, off, s[0:3], 0
	s_nop 0
	buffer_load_dword v1, off, s[0:3], 0 offset:4
.LBB99_300:
	s_or_b64 exec, exec, s[4:5]
.LBB99_301:
	buffer_load_dword v2, off, s[0:3], 0 offset:8
	buffer_load_dword v3, off, s[0:3], 0 offset:12
	;; [unrolled: 1-line block ×70, first 2 shown]
	s_waitcnt vmcnt(62)
	global_store_dwordx2 v[82:83], v[0:1], off
	global_store_dwordx2 v[84:85], v[2:3], off
	;; [unrolled: 1-line block ×5, first 2 shown]
	s_waitcnt vmcnt(62)
	global_store_dwordx2 v[28:29], v[10:11], off
	global_store_dwordx2 v[30:31], v[12:13], off
	s_waitcnt vmcnt(62)
	global_store_dwordx2 v[32:33], v[14:15], off
	s_waitcnt vmcnt(62)
	global_store_dwordx2 v[34:35], v[16:17], off
	s_waitcnt vmcnt(61)
	global_store_dwordx2 v[36:37], v[18:19], off
	s_waitcnt vmcnt(60)
	global_store_dwordx2 v[38:39], v[20:21], off
	s_waitcnt vmcnt(59)
	global_store_dwordx2 v[40:41], v[94:95], off
	s_waitcnt vmcnt(58)
	global_store_dwordx2 v[42:43], v[96:97], off
	s_waitcnt vmcnt(57)
	global_store_dwordx2 v[44:45], v[98:99], off
	s_waitcnt vmcnt(56)
	global_store_dwordx2 v[46:47], v[100:101], off
	s_waitcnt vmcnt(55)
	global_store_dwordx2 v[48:49], v[102:103], off
	s_waitcnt vmcnt(54)
	global_store_dwordx2 v[50:51], v[104:105], off
	s_waitcnt vmcnt(53)
	global_store_dwordx2 v[52:53], v[106:107], off
	s_waitcnt vmcnt(52)
	global_store_dwordx2 v[54:55], v[108:109], off
	s_waitcnt vmcnt(51)
	global_store_dwordx2 v[56:57], v[110:111], off
	s_waitcnt vmcnt(50)
	global_store_dwordx2 v[58:59], v[112:113], off
	s_waitcnt vmcnt(49)
	global_store_dwordx2 v[60:61], v[114:115], off
	s_waitcnt vmcnt(48)
	global_store_dwordx2 v[62:63], v[116:117], off
	s_waitcnt vmcnt(47)
	global_store_dwordx2 v[64:65], v[118:119], off
	s_waitcnt vmcnt(46)
	global_store_dwordx2 v[66:67], v[120:121], off
	s_waitcnt vmcnt(45)
	global_store_dwordx2 v[68:69], v[122:123], off
	s_waitcnt vmcnt(44)
	global_store_dwordx2 v[70:71], v[124:125], off
	s_waitcnt vmcnt(43)
	global_store_dwordx2 v[72:73], v[126:127], off
	s_waitcnt vmcnt(42)
	global_store_dwordx2 v[74:75], v[128:129], off
	s_waitcnt vmcnt(41)
	global_store_dwordx2 v[76:77], v[130:131], off
	s_waitcnt vmcnt(40)
	global_store_dwordx2 v[78:79], v[132:133], off
	s_waitcnt vmcnt(39)
	global_store_dwordx2 v[80:81], v[134:135], off
	s_waitcnt vmcnt(38)
	global_store_dwordx2 v[86:87], v[136:137], off
	s_waitcnt vmcnt(37)
	global_store_dwordx2 v[88:89], v[138:139], off
	s_waitcnt vmcnt(36)
	global_store_dwordx2 v[90:91], v[140:141], off
	s_waitcnt vmcnt(35)
	global_store_dwordx2 v[92:93], v[142:143], off
	s_endpgm
	.section	.rodata,"a",@progbits
	.p2align	6, 0x0
	.amdhsa_kernel _ZN9rocsolver6v33100L18getri_kernel_smallILi36E19rocblas_complex_numIfEPKPS3_EEvT1_iilPiilS8_bb
		.amdhsa_group_segment_fixed_size 580
		.amdhsa_private_segment_fixed_size 304
		.amdhsa_kernarg_size 60
		.amdhsa_user_sgpr_count 8
		.amdhsa_user_sgpr_private_segment_buffer 1
		.amdhsa_user_sgpr_dispatch_ptr 0
		.amdhsa_user_sgpr_queue_ptr 0
		.amdhsa_user_sgpr_kernarg_segment_ptr 1
		.amdhsa_user_sgpr_dispatch_id 0
		.amdhsa_user_sgpr_flat_scratch_init 1
		.amdhsa_user_sgpr_kernarg_preload_length 0
		.amdhsa_user_sgpr_kernarg_preload_offset 0
		.amdhsa_user_sgpr_private_segment_size 0
		.amdhsa_uses_dynamic_stack 0
		.amdhsa_system_sgpr_private_segment_wavefront_offset 1
		.amdhsa_system_sgpr_workgroup_id_x 1
		.amdhsa_system_sgpr_workgroup_id_y 0
		.amdhsa_system_sgpr_workgroup_id_z 0
		.amdhsa_system_sgpr_workgroup_info 0
		.amdhsa_system_vgpr_workitem_id 0
		.amdhsa_next_free_vgpr 204
		.amdhsa_next_free_sgpr 22
		.amdhsa_accum_offset 204
		.amdhsa_reserve_vcc 1
		.amdhsa_reserve_flat_scratch 1
		.amdhsa_float_round_mode_32 0
		.amdhsa_float_round_mode_16_64 0
		.amdhsa_float_denorm_mode_32 3
		.amdhsa_float_denorm_mode_16_64 3
		.amdhsa_dx10_clamp 1
		.amdhsa_ieee_mode 1
		.amdhsa_fp16_overflow 0
		.amdhsa_tg_split 0
		.amdhsa_exception_fp_ieee_invalid_op 0
		.amdhsa_exception_fp_denorm_src 0
		.amdhsa_exception_fp_ieee_div_zero 0
		.amdhsa_exception_fp_ieee_overflow 0
		.amdhsa_exception_fp_ieee_underflow 0
		.amdhsa_exception_fp_ieee_inexact 0
		.amdhsa_exception_int_div_zero 0
	.end_amdhsa_kernel
	.section	.text._ZN9rocsolver6v33100L18getri_kernel_smallILi36E19rocblas_complex_numIfEPKPS3_EEvT1_iilPiilS8_bb,"axG",@progbits,_ZN9rocsolver6v33100L18getri_kernel_smallILi36E19rocblas_complex_numIfEPKPS3_EEvT1_iilPiilS8_bb,comdat
.Lfunc_end99:
	.size	_ZN9rocsolver6v33100L18getri_kernel_smallILi36E19rocblas_complex_numIfEPKPS3_EEvT1_iilPiilS8_bb, .Lfunc_end99-_ZN9rocsolver6v33100L18getri_kernel_smallILi36E19rocblas_complex_numIfEPKPS3_EEvT1_iilPiilS8_bb
                                        ; -- End function
	.section	.AMDGPU.csdata,"",@progbits
; Kernel info:
; codeLenInByte = 57860
; NumSgprs: 28
; NumVgprs: 204
; NumAgprs: 0
; TotalNumVgprs: 204
; ScratchSize: 304
; MemoryBound: 0
; FloatMode: 240
; IeeeMode: 1
; LDSByteSize: 580 bytes/workgroup (compile time only)
; SGPRBlocks: 3
; VGPRBlocks: 25
; NumSGPRsForWavesPerEU: 28
; NumVGPRsForWavesPerEU: 204
; AccumOffset: 204
; Occupancy: 2
; WaveLimiterHint : 1
; COMPUTE_PGM_RSRC2:SCRATCH_EN: 1
; COMPUTE_PGM_RSRC2:USER_SGPR: 8
; COMPUTE_PGM_RSRC2:TRAP_HANDLER: 0
; COMPUTE_PGM_RSRC2:TGID_X_EN: 1
; COMPUTE_PGM_RSRC2:TGID_Y_EN: 0
; COMPUTE_PGM_RSRC2:TGID_Z_EN: 0
; COMPUTE_PGM_RSRC2:TIDIG_COMP_CNT: 0
; COMPUTE_PGM_RSRC3_GFX90A:ACCUM_OFFSET: 50
; COMPUTE_PGM_RSRC3_GFX90A:TG_SPLIT: 0
	.section	.text._ZN9rocsolver6v33100L18getri_kernel_smallILi37E19rocblas_complex_numIfEPKPS3_EEvT1_iilPiilS8_bb,"axG",@progbits,_ZN9rocsolver6v33100L18getri_kernel_smallILi37E19rocblas_complex_numIfEPKPS3_EEvT1_iilPiilS8_bb,comdat
	.globl	_ZN9rocsolver6v33100L18getri_kernel_smallILi37E19rocblas_complex_numIfEPKPS3_EEvT1_iilPiilS8_bb ; -- Begin function _ZN9rocsolver6v33100L18getri_kernel_smallILi37E19rocblas_complex_numIfEPKPS3_EEvT1_iilPiilS8_bb
	.p2align	8
	.type	_ZN9rocsolver6v33100L18getri_kernel_smallILi37E19rocblas_complex_numIfEPKPS3_EEvT1_iilPiilS8_bb,@function
_ZN9rocsolver6v33100L18getri_kernel_smallILi37E19rocblas_complex_numIfEPKPS3_EEvT1_iilPiilS8_bb: ; @_ZN9rocsolver6v33100L18getri_kernel_smallILi37E19rocblas_complex_numIfEPKPS3_EEvT1_iilPiilS8_bb
; %bb.0:
	s_add_u32 flat_scratch_lo, s6, s9
	s_addc_u32 flat_scratch_hi, s7, 0
	s_add_u32 s0, s0, s9
	s_addc_u32 s1, s1, 0
	v_cmp_gt_u32_e32 vcc, 37, v0
	s_and_saveexec_b64 s[6:7], vcc
	s_cbranch_execz .LBB100_162
; %bb.1:
	s_load_dword s20, s[4:5], 0x38
	s_load_dwordx2 s[6:7], s[4:5], 0x0
	s_load_dwordx4 s[12:15], s[4:5], 0x28
	s_waitcnt lgkmcnt(0)
	s_bitcmp1_b32 s20, 8
	s_cselect_b64 s[16:17], -1, 0
	s_ashr_i32 s9, s8, 31
	s_lshl_b64 s[10:11], s[8:9], 3
	s_add_u32 s6, s6, s10
	s_addc_u32 s7, s7, s11
	s_load_dwordx2 s[18:19], s[6:7], 0x0
	s_bfe_u32 s6, s20, 0x10008
	s_cmp_eq_u32 s6, 0
                                        ; implicit-def: $sgpr10_sgpr11
	s_cbranch_scc1 .LBB100_3
; %bb.2:
	s_load_dword s6, s[4:5], 0x20
	s_load_dwordx2 s[10:11], s[4:5], 0x18
	s_mul_i32 s7, s8, s13
	s_mul_hi_u32 s13, s8, s12
	s_add_i32 s13, s13, s7
	s_mul_i32 s21, s9, s12
	s_add_i32 s13, s13, s21
	s_mul_i32 s12, s8, s12
	s_waitcnt lgkmcnt(0)
	s_ashr_i32 s7, s6, 31
	s_lshl_b64 s[12:13], s[12:13], 2
	s_add_u32 s10, s10, s12
	s_addc_u32 s11, s11, s13
	s_lshl_b64 s[6:7], s[6:7], 2
	s_add_u32 s10, s10, s6
	s_addc_u32 s11, s11, s7
.LBB100_3:
	s_load_dwordx2 s[6:7], s[4:5], 0x8
	v_lshlrev_b32_e32 v80, 3, v0
	s_waitcnt lgkmcnt(0)
	s_ashr_i32 s5, s6, 31
	s_mov_b32 s4, s6
	s_lshl_b64 s[4:5], s[4:5], 3
	s_add_u32 s4, s18, s4
	s_addc_u32 s5, s19, s5
	s_add_i32 s6, s7, s7
	v_add_u32_e32 v2, s6, v0
	v_ashrrev_i32_e32 v3, 31, v2
	v_lshlrev_b64 v[4:5], 3, v[2:3]
	v_add_u32_e32 v2, s7, v2
	v_mov_b32_e32 v1, s5
	v_add_co_u32_e32 v6, vcc, s4, v4
	v_ashrrev_i32_e32 v3, 31, v2
	v_addc_co_u32_e32 v7, vcc, v1, v5, vcc
	v_lshlrev_b64 v[4:5], 3, v[2:3]
	v_add_u32_e32 v2, s7, v2
	v_add_co_u32_e32 v8, vcc, s4, v4
	v_ashrrev_i32_e32 v3, 31, v2
	v_addc_co_u32_e32 v9, vcc, v1, v5, vcc
	v_lshlrev_b64 v[4:5], 3, v[2:3]
	v_add_u32_e32 v2, s7, v2
	;; [unrolled: 5-line block ×28, first 2 shown]
	v_add_co_u32_e32 v62, vcc, s4, v4
	v_ashrrev_i32_e32 v3, 31, v2
	v_addc_co_u32_e32 v63, vcc, v1, v5, vcc
	v_lshlrev_b64 v[4:5], 3, v[2:3]
	v_add_co_u32_e32 v64, vcc, s4, v4
	v_add_u32_e32 v2, s7, v2
	v_addc_co_u32_e32 v65, vcc, v1, v5, vcc
	v_ashrrev_i32_e32 v3, 31, v2
	v_lshlrev_b64 v[4:5], 3, v[2:3]
	v_mov_b32_e32 v3, s5
	v_add_co_u32_e32 v68, vcc, s4, v80
	s_ashr_i32 s13, s7, 31
	s_mov_b32 s12, s7
	v_addc_co_u32_e32 v69, vcc, 0, v3, vcc
	s_lshl_b64 s[12:13], s[12:13], 3
	v_mov_b32_e32 v3, s13
	v_add_co_u32_e32 v70, vcc, s12, v68
	v_addc_co_u32_e32 v71, vcc, v69, v3, vcc
	v_add_u32_e32 v2, s7, v2
	v_add_co_u32_e32 v66, vcc, s4, v4
	v_ashrrev_i32_e32 v3, 31, v2
	v_addc_co_u32_e32 v67, vcc, v1, v5, vcc
	v_lshlrev_b64 v[72:73], 3, v[2:3]
	v_add_u32_e32 v2, s7, v2
	v_add_co_u32_e32 v72, vcc, s4, v72
	v_ashrrev_i32_e32 v3, 31, v2
	v_addc_co_u32_e32 v73, vcc, v1, v73, vcc
	v_lshlrev_b64 v[74:75], 3, v[2:3]
	;; [unrolled: 5-line block ×3, first 2 shown]
	v_add_co_u32_e32 v76, vcc, s4, v76
	global_load_dwordx2 v[82:83], v80, s[4:5]
	global_load_dwordx2 v[84:85], v[70:71], off
	global_load_dwordx2 v[86:87], v[6:7], off
	;; [unrolled: 1-line block ×27, first 2 shown]
	v_addc_co_u32_e32 v77, vcc, v1, v77, vcc
	global_load_dwordx2 v[136:137], v[58:59], off
	global_load_dwordx2 v[138:139], v[60:61], off
	;; [unrolled: 1-line block ×8, first 2 shown]
	v_add_u32_e32 v2, s7, v2
	v_ashrrev_i32_e32 v3, 31, v2
	v_lshlrev_b64 v[2:3], 3, v[2:3]
	v_add_co_u32_e32 v78, vcc, s4, v2
	v_addc_co_u32_e32 v79, vcc, v1, v3, vcc
	global_load_dwordx2 v[2:3], v[78:79], off
	s_bitcmp0_b32 s20, 0
	s_mov_b64 s[6:7], -1
	s_waitcnt vmcnt(36)
	buffer_store_dword v83, off, s[0:3], 0 offset:4
	buffer_store_dword v82, off, s[0:3], 0
	s_waitcnt vmcnt(37)
	buffer_store_dword v85, off, s[0:3], 0 offset:12
	buffer_store_dword v84, off, s[0:3], 0 offset:8
	s_waitcnt vmcnt(38)
	buffer_store_dword v87, off, s[0:3], 0 offset:20
	buffer_store_dword v86, off, s[0:3], 0 offset:16
	s_waitcnt vmcnt(39)
	buffer_store_dword v89, off, s[0:3], 0 offset:28
	buffer_store_dword v88, off, s[0:3], 0 offset:24
	s_waitcnt vmcnt(40)
	buffer_store_dword v5, off, s[0:3], 0 offset:36
	buffer_store_dword v4, off, s[0:3], 0 offset:32
	s_waitcnt vmcnt(41)
	buffer_store_dword v91, off, s[0:3], 0 offset:44
	buffer_store_dword v90, off, s[0:3], 0 offset:40
	s_waitcnt vmcnt(42)
	buffer_store_dword v93, off, s[0:3], 0 offset:52
	buffer_store_dword v92, off, s[0:3], 0 offset:48
	s_waitcnt vmcnt(43)
	buffer_store_dword v95, off, s[0:3], 0 offset:60
	buffer_store_dword v94, off, s[0:3], 0 offset:56
	s_waitcnt vmcnt(44)
	buffer_store_dword v97, off, s[0:3], 0 offset:68
	buffer_store_dword v96, off, s[0:3], 0 offset:64
	s_waitcnt vmcnt(45)
	buffer_store_dword v98, off, s[0:3], 0 offset:72
	buffer_store_dword v99, off, s[0:3], 0 offset:76
	s_waitcnt vmcnt(46)
	buffer_store_dword v100, off, s[0:3], 0 offset:80
	buffer_store_dword v101, off, s[0:3], 0 offset:84
	s_waitcnt vmcnt(47)
	buffer_store_dword v102, off, s[0:3], 0 offset:88
	buffer_store_dword v103, off, s[0:3], 0 offset:92
	s_waitcnt vmcnt(48)
	buffer_store_dword v104, off, s[0:3], 0 offset:96
	buffer_store_dword v105, off, s[0:3], 0 offset:100
	s_waitcnt vmcnt(49)
	buffer_store_dword v106, off, s[0:3], 0 offset:104
	buffer_store_dword v107, off, s[0:3], 0 offset:108
	s_waitcnt vmcnt(50)
	buffer_store_dword v109, off, s[0:3], 0 offset:116
	buffer_store_dword v108, off, s[0:3], 0 offset:112
	s_waitcnt vmcnt(51)
	buffer_store_dword v110, off, s[0:3], 0 offset:120
	buffer_store_dword v111, off, s[0:3], 0 offset:124
	s_waitcnt vmcnt(52)
	buffer_store_dword v112, off, s[0:3], 0 offset:128
	buffer_store_dword v113, off, s[0:3], 0 offset:132
	s_waitcnt vmcnt(53)
	buffer_store_dword v114, off, s[0:3], 0 offset:136
	buffer_store_dword v115, off, s[0:3], 0 offset:140
	s_waitcnt vmcnt(54)
	buffer_store_dword v116, off, s[0:3], 0 offset:144
	buffer_store_dword v117, off, s[0:3], 0 offset:148
	s_waitcnt vmcnt(55)
	buffer_store_dword v119, off, s[0:3], 0 offset:156
	buffer_store_dword v118, off, s[0:3], 0 offset:152
	s_waitcnt vmcnt(56)
	buffer_store_dword v121, off, s[0:3], 0 offset:164
	buffer_store_dword v120, off, s[0:3], 0 offset:160
	s_waitcnt vmcnt(57)
	buffer_store_dword v122, off, s[0:3], 0 offset:168
	buffer_store_dword v123, off, s[0:3], 0 offset:172
	s_waitcnt vmcnt(58)
	buffer_store_dword v124, off, s[0:3], 0 offset:176
	buffer_store_dword v125, off, s[0:3], 0 offset:180
	s_waitcnt vmcnt(59)
	buffer_store_dword v126, off, s[0:3], 0 offset:184
	buffer_store_dword v127, off, s[0:3], 0 offset:188
	s_waitcnt vmcnt(60)
	buffer_store_dword v128, off, s[0:3], 0 offset:192
	buffer_store_dword v129, off, s[0:3], 0 offset:196
	s_waitcnt vmcnt(61)
	buffer_store_dword v131, off, s[0:3], 0 offset:204
	buffer_store_dword v130, off, s[0:3], 0 offset:200
	s_waitcnt vmcnt(62)
	buffer_store_dword v133, off, s[0:3], 0 offset:212
	buffer_store_dword v132, off, s[0:3], 0 offset:208
	s_waitcnt vmcnt(62)
	buffer_store_dword v134, off, s[0:3], 0 offset:216
	buffer_store_dword v135, off, s[0:3], 0 offset:220
	buffer_store_dword v136, off, s[0:3], 0 offset:224
	buffer_store_dword v137, off, s[0:3], 0 offset:228
	s_waitcnt vmcnt(62)
	buffer_store_dword v138, off, s[0:3], 0 offset:232
	buffer_store_dword v139, off, s[0:3], 0 offset:236
	;; [unrolled: 1-line block ×8, first 2 shown]
	s_waitcnt vmcnt(62)
	buffer_store_dword v146, off, s[0:3], 0 offset:264
	buffer_store_dword v147, off, s[0:3], 0 offset:268
	;; [unrolled: 1-line block ×8, first 2 shown]
	s_cbranch_scc1 .LBB100_160
; %bb.4:
	v_cmp_eq_u32_e64 s[4:5], 0, v0
	s_and_saveexec_b64 s[6:7], s[4:5]
	s_cbranch_execz .LBB100_6
; %bb.5:
	v_mov_b32_e32 v1, 0
	ds_write_b32 v1, v1 offset:296
.LBB100_6:
	s_or_b64 exec, exec, s[6:7]
	v_mov_b32_e32 v1, 0
	v_lshl_add_u32 v81, v0, 3, v1
	s_waitcnt lgkmcnt(0)
	; wave barrier
	s_waitcnt lgkmcnt(0)
	buffer_load_dword v1, v81, s[0:3], 0 offen
	buffer_load_dword v2, v81, s[0:3], 0 offen offset:4
	s_waitcnt vmcnt(1)
	v_cmp_eq_f32_e32 vcc, 0, v1
	s_waitcnt vmcnt(0)
	v_cmp_eq_f32_e64 s[6:7], 0, v2
	s_and_b64 s[6:7], vcc, s[6:7]
	s_and_saveexec_b64 s[12:13], s[6:7]
	s_cbranch_execz .LBB100_10
; %bb.7:
	v_mov_b32_e32 v1, 0
	ds_read_b32 v3, v1 offset:296
	v_add_u32_e32 v2, 1, v0
	s_waitcnt lgkmcnt(0)
	v_readfirstlane_b32 s6, v3
	s_cmp_eq_u32 s6, 0
	s_cselect_b64 s[18:19], -1, 0
	v_cmp_gt_i32_e32 vcc, s6, v2
	s_or_b64 s[18:19], s[18:19], vcc
	s_and_b64 exec, exec, s[18:19]
	s_cbranch_execz .LBB100_10
; %bb.8:
	s_mov_b64 s[18:19], 0
	v_mov_b32_e32 v3, s6
.LBB100_9:                              ; =>This Inner Loop Header: Depth=1
	ds_cmpst_rtn_b32 v3, v1, v3, v2 offset:296
	s_waitcnt lgkmcnt(0)
	v_cmp_ne_u32_e32 vcc, 0, v3
	v_cmp_le_i32_e64 s[6:7], v3, v2
	s_and_b64 s[6:7], vcc, s[6:7]
	s_and_b64 s[6:7], exec, s[6:7]
	s_or_b64 s[18:19], s[6:7], s[18:19]
	s_andn2_b64 exec, exec, s[18:19]
	s_cbranch_execnz .LBB100_9
.LBB100_10:
	s_or_b64 exec, exec, s[12:13]
	v_mov_b32_e32 v2, 0
	s_waitcnt lgkmcnt(0)
	; wave barrier
	ds_read_b32 v1, v2 offset:296
	s_and_saveexec_b64 s[6:7], s[4:5]
	s_cbranch_execz .LBB100_12
; %bb.11:
	s_lshl_b64 s[12:13], s[8:9], 2
	s_add_u32 s12, s14, s12
	s_addc_u32 s13, s15, s13
	s_waitcnt lgkmcnt(0)
	global_store_dword v2, v1, s[12:13]
.LBB100_12:
	s_or_b64 exec, exec, s[6:7]
	s_waitcnt lgkmcnt(0)
	v_cmp_ne_u32_e32 vcc, 0, v1
	s_mov_b64 s[6:7], 0
	s_cbranch_vccnz .LBB100_160
; %bb.13:
	buffer_load_dword v82, v81, s[0:3], 0 offen offset:4
	buffer_load_dword v3, v81, s[0:3], 0 offen
	s_waitcnt vmcnt(1)
	v_cmp_gt_f32_e32 vcc, 0, v82
	v_cndmask_b32_e64 v1, v82, -v82, vcc
	s_waitcnt vmcnt(0)
	v_cmp_gt_f32_e32 vcc, 0, v3
	v_cndmask_b32_e64 v2, v3, -v3, vcc
	v_cmp_ngt_f32_e32 vcc, v2, v1
                                        ; implicit-def: $vgpr1
                                        ; implicit-def: $vgpr2
	s_and_saveexec_b64 s[6:7], vcc
	s_xor_b64 s[6:7], exec, s[6:7]
                                        ; implicit-def: $vgpr4_vgpr5
	s_cbranch_execz .LBB100_15
; %bb.14:
	v_div_scale_f32 v1, s[12:13], v82, v82, v3
	v_rcp_f32_e32 v2, v1
	v_div_scale_f32 v4, vcc, v3, v82, v3
	v_fma_f32 v5, -v1, v2, 1.0
	v_fmac_f32_e32 v2, v5, v2
	v_mul_f32_e32 v5, v4, v2
	v_fma_f32 v83, -v1, v5, v4
	v_fmac_f32_e32 v5, v83, v2
	v_fma_f32 v1, -v1, v5, v4
	v_div_fmas_f32 v1, v1, v2, v5
	v_div_fixup_f32 v2, v1, v82, v3
	v_fmac_f32_e32 v82, v3, v2
	v_div_scale_f32 v1, s[12:13], v82, v82, -1.0
	v_rcp_f32_e32 v3, v1
	v_fma_f32 v4, -v1, v3, 1.0
	v_fmac_f32_e32 v3, v4, v3
	v_div_scale_f32 v4, vcc, -1.0, v82, -1.0
	v_mul_f32_e32 v5, v4, v3
	v_fma_f32 v83, -v1, v5, v4
	v_fmac_f32_e32 v5, v83, v3
	v_fma_f32 v1, -v1, v5, v4
	v_div_fmas_f32 v1, v1, v3, v5
	v_div_fixup_f32 v1, v1, v82, -1.0
	v_mul_f32_e32 v2, v2, v1
	v_xor_b32_e32 v4, 0x80000000, v2
                                        ; implicit-def: $vgpr3
                                        ; implicit-def: $vgpr82
.LBB100_15:
	s_andn2_saveexec_b64 s[6:7], s[6:7]
	s_cbranch_execz .LBB100_17
; %bb.16:
	v_div_scale_f32 v1, s[12:13], v3, v3, v82
	v_rcp_f32_e32 v2, v1
	v_div_scale_f32 v4, vcc, v82, v3, v82
	v_fma_f32 v5, -v1, v2, 1.0
	v_fmac_f32_e32 v2, v5, v2
	v_mul_f32_e32 v5, v4, v2
	v_fma_f32 v83, -v1, v5, v4
	v_fmac_f32_e32 v5, v83, v2
	v_fma_f32 v1, -v1, v5, v4
	v_div_fmas_f32 v1, v1, v2, v5
	v_div_fixup_f32 v1, v1, v3, v82
	v_fmac_f32_e32 v3, v82, v1
	v_div_scale_f32 v2, s[12:13], v3, v3, 1.0
	v_rcp_f32_e32 v4, v2
	v_fma_f32 v5, -v2, v4, 1.0
	v_fmac_f32_e32 v4, v5, v4
	v_div_scale_f32 v5, vcc, 1.0, v3, 1.0
	v_mul_f32_e32 v82, v5, v4
	v_fma_f32 v83, -v2, v82, v5
	v_fmac_f32_e32 v82, v83, v4
	v_fma_f32 v2, -v2, v82, v5
	v_div_fmas_f32 v2, v2, v4, v82
	v_div_fixup_f32 v4, v2, v3, 1.0
	v_xor_b32_e32 v2, 0x80000000, v4
	v_mul_f32_e64 v1, v1, -v4
.LBB100_17:
	s_or_b64 exec, exec, s[6:7]
	buffer_store_dword v1, v81, s[0:3], 0 offen offset:4
	buffer_store_dword v4, v81, s[0:3], 0 offen
	buffer_load_dword v5, off, s[0:3], 0 offset:12
	s_nop 0
	buffer_load_dword v4, off, s[0:3], 0 offset:8
	v_xor_b32_e32 v3, 0x80000000, v1
	v_add_u32_e32 v1, 0x130, v80
	s_waitcnt vmcnt(0)
	ds_write2_b64 v80, v[2:3], v[4:5] offset1:38
	s_waitcnt lgkmcnt(0)
	; wave barrier
	s_waitcnt lgkmcnt(0)
	s_and_saveexec_b64 s[6:7], s[4:5]
	s_cbranch_execz .LBB100_19
; %bb.18:
	buffer_load_dword v82, v81, s[0:3], 0 offen offset:4
	buffer_load_dword v83, v81, s[0:3], 0 offen
	ds_read_b64 v[2:3], v1
	v_mov_b32_e32 v4, 0
	ds_read_b64 v[4:5], v4 offset:8
	s_waitcnt vmcnt(1) lgkmcnt(1)
	v_mul_f32_e32 v84, v3, v82
	v_mul_f32_e32 v82, v2, v82
	s_waitcnt vmcnt(0)
	v_fmac_f32_e32 v82, v3, v83
	v_fma_f32 v2, v2, v83, -v84
	v_add_f32_e32 v3, 0, v82
	v_add_f32_e32 v2, 0, v2
	s_waitcnt lgkmcnt(0)
	v_mul_f32_e32 v82, v3, v5
	v_mul_f32_e32 v5, v2, v5
	v_fma_f32 v2, v2, v4, -v82
	v_fmac_f32_e32 v5, v3, v4
	buffer_store_dword v2, off, s[0:3], 0 offset:8
	buffer_store_dword v5, off, s[0:3], 0 offset:12
.LBB100_19:
	s_or_b64 exec, exec, s[6:7]
	s_waitcnt lgkmcnt(0)
	; wave barrier
	buffer_load_dword v2, off, s[0:3], 0 offset:16
	buffer_load_dword v3, off, s[0:3], 0 offset:20
	v_cmp_gt_u32_e32 vcc, 2, v0
	s_waitcnt vmcnt(0)
	ds_write_b64 v1, v[2:3]
	s_waitcnt lgkmcnt(0)
	; wave barrier
	s_waitcnt lgkmcnt(0)
	s_and_saveexec_b64 s[6:7], vcc
	s_cbranch_execz .LBB100_23
; %bb.20:
	buffer_load_dword v4, v81, s[0:3], 0 offen offset:4
	buffer_load_dword v5, v81, s[0:3], 0 offen
	ds_read_b64 v[2:3], v1
	s_waitcnt vmcnt(1) lgkmcnt(0)
	v_mul_f32_e32 v81, v3, v4
	v_mul_f32_e32 v4, v2, v4
	s_waitcnt vmcnt(0)
	v_fma_f32 v2, v2, v5, -v81
	v_fmac_f32_e32 v4, v3, v5
	v_add_f32_e32 v3, 0, v2
	v_add_f32_e32 v2, 0, v4
	s_and_saveexec_b64 s[12:13], s[4:5]
	s_cbranch_execz .LBB100_22
; %bb.21:
	buffer_load_dword v81, off, s[0:3], 0 offset:12
	buffer_load_dword v82, off, s[0:3], 0 offset:8
	v_mov_b32_e32 v4, 0
	ds_read_b64 v[4:5], v4 offset:312
	s_waitcnt vmcnt(1) lgkmcnt(0)
	v_mul_f32_e32 v83, v4, v81
	v_mul_f32_e32 v81, v5, v81
	s_waitcnt vmcnt(0)
	v_fmac_f32_e32 v83, v5, v82
	v_fma_f32 v4, v4, v82, -v81
	v_add_f32_e32 v2, v2, v83
	v_add_f32_e32 v3, v3, v4
.LBB100_22:
	s_or_b64 exec, exec, s[12:13]
	v_mov_b32_e32 v4, 0
	ds_read_b64 v[4:5], v4 offset:16
	s_waitcnt lgkmcnt(0)
	v_mul_f32_e32 v81, v2, v5
	v_mul_f32_e32 v5, v3, v5
	v_fma_f32 v3, v3, v4, -v81
	v_fmac_f32_e32 v5, v2, v4
	buffer_store_dword v3, off, s[0:3], 0 offset:16
	buffer_store_dword v5, off, s[0:3], 0 offset:20
.LBB100_23:
	s_or_b64 exec, exec, s[6:7]
	s_waitcnt lgkmcnt(0)
	; wave barrier
	buffer_load_dword v2, off, s[0:3], 0 offset:24
	buffer_load_dword v3, off, s[0:3], 0 offset:28
	v_cmp_gt_u32_e32 vcc, 3, v0
	s_waitcnt vmcnt(0)
	ds_write_b64 v1, v[2:3]
	v_add_u32_e32 v2, -1, v0
	s_waitcnt lgkmcnt(0)
	; wave barrier
	s_waitcnt lgkmcnt(0)
	s_and_saveexec_b64 s[4:5], vcc
	s_cbranch_execz .LBB100_27
; %bb.24:
	v_add_u32_e32 v4, -1, v0
	v_add_u32_e32 v5, 0x130, v80
	v_add_u32_e32 v81, 0, v80
	s_mov_b64 s[6:7], 0
	v_mov_b32_e32 v3, 0
	v_mov_b32_e32 v82, 0
.LBB100_25:                             ; =>This Inner Loop Header: Depth=1
	buffer_load_dword v83, v81, s[0:3], 0 offen offset:4
	buffer_load_dword v86, v81, s[0:3], 0 offen
	ds_read_b64 v[84:85], v5
	v_add_u32_e32 v4, 1, v4
	v_cmp_lt_u32_e32 vcc, 1, v4
	v_add_u32_e32 v5, 8, v5
	v_add_u32_e32 v81, 8, v81
	s_or_b64 s[6:7], vcc, s[6:7]
	s_waitcnt vmcnt(1) lgkmcnt(0)
	v_mul_f32_e32 v87, v85, v83
	v_mul_f32_e32 v83, v84, v83
	s_waitcnt vmcnt(0)
	v_fma_f32 v84, v84, v86, -v87
	v_fmac_f32_e32 v83, v85, v86
	v_add_f32_e32 v82, v82, v84
	v_add_f32_e32 v3, v3, v83
	s_andn2_b64 exec, exec, s[6:7]
	s_cbranch_execnz .LBB100_25
; %bb.26:
	s_or_b64 exec, exec, s[6:7]
	v_mov_b32_e32 v4, 0
	ds_read_b64 v[4:5], v4 offset:24
	s_waitcnt lgkmcnt(0)
	v_mul_f32_e32 v81, v3, v5
	v_mul_f32_e32 v5, v82, v5
	v_fma_f32 v81, v82, v4, -v81
	v_fmac_f32_e32 v5, v3, v4
	buffer_store_dword v81, off, s[0:3], 0 offset:24
	buffer_store_dword v5, off, s[0:3], 0 offset:28
.LBB100_27:
	s_or_b64 exec, exec, s[4:5]
	s_waitcnt lgkmcnt(0)
	; wave barrier
	buffer_load_dword v4, off, s[0:3], 0 offset:32
	buffer_load_dword v5, off, s[0:3], 0 offset:36
	v_cmp_gt_u32_e32 vcc, 4, v0
	s_waitcnt vmcnt(0)
	ds_write_b64 v1, v[4:5]
	s_waitcnt lgkmcnt(0)
	; wave barrier
	s_waitcnt lgkmcnt(0)
	s_and_saveexec_b64 s[4:5], vcc
	s_cbranch_execz .LBB100_31
; %bb.28:
	v_add_u32_e32 v4, -1, v0
	v_add_u32_e32 v5, 0x130, v80
	v_add_u32_e32 v81, 0, v80
	s_mov_b64 s[6:7], 0
	v_mov_b32_e32 v3, 0
	v_mov_b32_e32 v82, 0
.LBB100_29:                             ; =>This Inner Loop Header: Depth=1
	buffer_load_dword v83, v81, s[0:3], 0 offen offset:4
	buffer_load_dword v86, v81, s[0:3], 0 offen
	ds_read_b64 v[84:85], v5
	v_add_u32_e32 v4, 1, v4
	v_cmp_lt_u32_e32 vcc, 2, v4
	v_add_u32_e32 v5, 8, v5
	v_add_u32_e32 v81, 8, v81
	s_or_b64 s[6:7], vcc, s[6:7]
	s_waitcnt vmcnt(1) lgkmcnt(0)
	v_mul_f32_e32 v87, v85, v83
	v_mul_f32_e32 v83, v84, v83
	s_waitcnt vmcnt(0)
	v_fma_f32 v84, v84, v86, -v87
	v_fmac_f32_e32 v83, v85, v86
	v_add_f32_e32 v82, v82, v84
	v_add_f32_e32 v3, v3, v83
	s_andn2_b64 exec, exec, s[6:7]
	s_cbranch_execnz .LBB100_29
; %bb.30:
	s_or_b64 exec, exec, s[6:7]
	v_mov_b32_e32 v4, 0
	ds_read_b64 v[4:5], v4 offset:32
	s_waitcnt lgkmcnt(0)
	v_mul_f32_e32 v81, v3, v5
	v_mul_f32_e32 v5, v82, v5
	v_fma_f32 v81, v82, v4, -v81
	v_fmac_f32_e32 v5, v3, v4
	buffer_store_dword v81, off, s[0:3], 0 offset:32
	buffer_store_dword v5, off, s[0:3], 0 offset:36
.LBB100_31:
	s_or_b64 exec, exec, s[4:5]
	s_waitcnt lgkmcnt(0)
	; wave barrier
	buffer_load_dword v4, off, s[0:3], 0 offset:40
	buffer_load_dword v5, off, s[0:3], 0 offset:44
	v_cmp_gt_u32_e32 vcc, 5, v0
	s_waitcnt vmcnt(0)
	ds_write_b64 v1, v[4:5]
	;; [unrolled: 51-line block ×19, first 2 shown]
	s_waitcnt lgkmcnt(0)
	; wave barrier
	s_waitcnt lgkmcnt(0)
	s_and_saveexec_b64 s[4:5], vcc
	s_cbranch_execz .LBB100_103
; %bb.100:
	v_add_u32_e32 v4, -1, v0
	v_add_u32_e32 v5, 0x130, v80
	v_add_u32_e32 v81, 0, v80
	s_mov_b64 s[6:7], 0
	v_mov_b32_e32 v3, 0
	v_mov_b32_e32 v82, 0
.LBB100_101:                            ; =>This Inner Loop Header: Depth=1
	buffer_load_dword v83, v81, s[0:3], 0 offen offset:4
	buffer_load_dword v86, v81, s[0:3], 0 offen
	ds_read_b64 v[84:85], v5
	v_add_u32_e32 v4, 1, v4
	v_cmp_lt_u32_e32 vcc, 20, v4
	v_add_u32_e32 v5, 8, v5
	v_add_u32_e32 v81, 8, v81
	s_or_b64 s[6:7], vcc, s[6:7]
	s_waitcnt vmcnt(1) lgkmcnt(0)
	v_mul_f32_e32 v87, v85, v83
	v_mul_f32_e32 v83, v84, v83
	s_waitcnt vmcnt(0)
	v_fma_f32 v84, v84, v86, -v87
	v_fmac_f32_e32 v83, v85, v86
	v_add_f32_e32 v82, v82, v84
	v_add_f32_e32 v3, v3, v83
	s_andn2_b64 exec, exec, s[6:7]
	s_cbranch_execnz .LBB100_101
; %bb.102:
	s_or_b64 exec, exec, s[6:7]
	v_mov_b32_e32 v4, 0
	ds_read_b64 v[4:5], v4 offset:176
	s_waitcnt lgkmcnt(0)
	v_mul_f32_e32 v81, v3, v5
	v_mul_f32_e32 v5, v82, v5
	v_fma_f32 v81, v82, v4, -v81
	v_fmac_f32_e32 v5, v3, v4
	buffer_store_dword v81, off, s[0:3], 0 offset:176
	buffer_store_dword v5, off, s[0:3], 0 offset:180
.LBB100_103:
	s_or_b64 exec, exec, s[4:5]
	s_waitcnt lgkmcnt(0)
	; wave barrier
	buffer_load_dword v4, off, s[0:3], 0 offset:184
	buffer_load_dword v5, off, s[0:3], 0 offset:188
	v_cmp_gt_u32_e32 vcc, 23, v0
	s_waitcnt vmcnt(0)
	ds_write_b64 v1, v[4:5]
	s_waitcnt lgkmcnt(0)
	; wave barrier
	s_waitcnt lgkmcnt(0)
	s_and_saveexec_b64 s[4:5], vcc
	s_cbranch_execz .LBB100_107
; %bb.104:
	v_add_u32_e32 v4, -1, v0
	v_add_u32_e32 v5, 0x130, v80
	v_add_u32_e32 v81, 0, v80
	s_mov_b64 s[6:7], 0
	v_mov_b32_e32 v3, 0
	v_mov_b32_e32 v82, 0
.LBB100_105:                            ; =>This Inner Loop Header: Depth=1
	buffer_load_dword v83, v81, s[0:3], 0 offen offset:4
	buffer_load_dword v86, v81, s[0:3], 0 offen
	ds_read_b64 v[84:85], v5
	v_add_u32_e32 v4, 1, v4
	v_cmp_lt_u32_e32 vcc, 21, v4
	v_add_u32_e32 v5, 8, v5
	v_add_u32_e32 v81, 8, v81
	s_or_b64 s[6:7], vcc, s[6:7]
	s_waitcnt vmcnt(1) lgkmcnt(0)
	v_mul_f32_e32 v87, v85, v83
	v_mul_f32_e32 v83, v84, v83
	s_waitcnt vmcnt(0)
	v_fma_f32 v84, v84, v86, -v87
	v_fmac_f32_e32 v83, v85, v86
	v_add_f32_e32 v82, v82, v84
	v_add_f32_e32 v3, v3, v83
	s_andn2_b64 exec, exec, s[6:7]
	s_cbranch_execnz .LBB100_105
; %bb.106:
	s_or_b64 exec, exec, s[6:7]
	v_mov_b32_e32 v4, 0
	ds_read_b64 v[4:5], v4 offset:184
	s_waitcnt lgkmcnt(0)
	v_mul_f32_e32 v81, v3, v5
	v_mul_f32_e32 v5, v82, v5
	v_fma_f32 v81, v82, v4, -v81
	v_fmac_f32_e32 v5, v3, v4
	buffer_store_dword v81, off, s[0:3], 0 offset:184
	buffer_store_dword v5, off, s[0:3], 0 offset:188
.LBB100_107:
	s_or_b64 exec, exec, s[4:5]
	s_waitcnt lgkmcnt(0)
	; wave barrier
	buffer_load_dword v4, off, s[0:3], 0 offset:192
	buffer_load_dword v5, off, s[0:3], 0 offset:196
	v_cmp_gt_u32_e32 vcc, 24, v0
	s_waitcnt vmcnt(0)
	ds_write_b64 v1, v[4:5]
	;; [unrolled: 51-line block ×13, first 2 shown]
	s_waitcnt lgkmcnt(0)
	; wave barrier
	s_waitcnt lgkmcnt(0)
	s_and_saveexec_b64 s[4:5], vcc
	s_cbranch_execz .LBB100_155
; %bb.152:
	v_add_u32_e32 v4, -1, v0
	v_add_u32_e32 v5, 0x130, v80
	v_add_u32_e32 v81, 0, v80
	s_mov_b64 s[6:7], 0
	v_mov_b32_e32 v3, 0
	v_mov_b32_e32 v82, 0
.LBB100_153:                            ; =>This Inner Loop Header: Depth=1
	buffer_load_dword v83, v81, s[0:3], 0 offen offset:4
	buffer_load_dword v86, v81, s[0:3], 0 offen
	ds_read_b64 v[84:85], v5
	v_add_u32_e32 v4, 1, v4
	v_cmp_lt_u32_e32 vcc, 33, v4
	v_add_u32_e32 v5, 8, v5
	v_add_u32_e32 v81, 8, v81
	s_or_b64 s[6:7], vcc, s[6:7]
	s_waitcnt vmcnt(1) lgkmcnt(0)
	v_mul_f32_e32 v87, v85, v83
	v_mul_f32_e32 v83, v84, v83
	s_waitcnt vmcnt(0)
	v_fma_f32 v84, v84, v86, -v87
	v_fmac_f32_e32 v83, v85, v86
	v_add_f32_e32 v82, v82, v84
	v_add_f32_e32 v3, v3, v83
	s_andn2_b64 exec, exec, s[6:7]
	s_cbranch_execnz .LBB100_153
; %bb.154:
	s_or_b64 exec, exec, s[6:7]
	v_mov_b32_e32 v4, 0
	ds_read_b64 v[4:5], v4 offset:280
	s_waitcnt lgkmcnt(0)
	v_mul_f32_e32 v81, v3, v5
	v_mul_f32_e32 v5, v82, v5
	v_fma_f32 v81, v82, v4, -v81
	v_fmac_f32_e32 v5, v3, v4
	buffer_store_dword v81, off, s[0:3], 0 offset:280
	buffer_store_dword v5, off, s[0:3], 0 offset:284
.LBB100_155:
	s_or_b64 exec, exec, s[4:5]
	s_waitcnt lgkmcnt(0)
	; wave barrier
	buffer_load_dword v4, off, s[0:3], 0 offset:288
	buffer_load_dword v5, off, s[0:3], 0 offset:292
	v_cmp_ne_u32_e32 vcc, 36, v0
	s_waitcnt vmcnt(0)
	ds_write_b64 v1, v[4:5]
	s_waitcnt lgkmcnt(0)
	; wave barrier
	s_waitcnt lgkmcnt(0)
	s_and_saveexec_b64 s[4:5], vcc
	s_cbranch_execz .LBB100_159
; %bb.156:
	v_add_u32_e32 v3, 0x130, v80
	v_add_u32_e32 v4, 0, v80
	s_mov_b64 s[6:7], 0
	v_mov_b32_e32 v1, 0
	v_mov_b32_e32 v5, 0
.LBB100_157:                            ; =>This Inner Loop Header: Depth=1
	buffer_load_dword v82, v4, s[0:3], 0 offen offset:4
	buffer_load_dword v83, v4, s[0:3], 0 offen
	ds_read_b64 v[80:81], v3
	v_add_u32_e32 v2, 1, v2
	v_cmp_lt_u32_e32 vcc, 34, v2
	v_add_u32_e32 v3, 8, v3
	v_add_u32_e32 v4, 8, v4
	s_or_b64 s[6:7], vcc, s[6:7]
	s_waitcnt vmcnt(1) lgkmcnt(0)
	v_mul_f32_e32 v84, v81, v82
	v_mul_f32_e32 v82, v80, v82
	s_waitcnt vmcnt(0)
	v_fma_f32 v80, v80, v83, -v84
	v_fmac_f32_e32 v82, v81, v83
	v_add_f32_e32 v5, v5, v80
	v_add_f32_e32 v1, v1, v82
	s_andn2_b64 exec, exec, s[6:7]
	s_cbranch_execnz .LBB100_157
; %bb.158:
	s_or_b64 exec, exec, s[6:7]
	v_mov_b32_e32 v2, 0
	ds_read_b64 v[2:3], v2 offset:288
	s_waitcnt lgkmcnt(0)
	v_mul_f32_e32 v4, v1, v3
	v_mul_f32_e32 v3, v5, v3
	v_fma_f32 v4, v5, v2, -v4
	v_fmac_f32_e32 v3, v1, v2
	buffer_store_dword v4, off, s[0:3], 0 offset:288
	buffer_store_dword v3, off, s[0:3], 0 offset:292
.LBB100_159:
	s_or_b64 exec, exec, s[4:5]
	s_mov_b64 s[6:7], -1
	s_waitcnt lgkmcnt(0)
	; wave barrier
.LBB100_160:
	s_and_b64 vcc, exec, s[6:7]
	s_cbranch_vccz .LBB100_162
; %bb.161:
	s_lshl_b64 s[4:5], s[8:9], 2
	s_add_u32 s4, s14, s4
	s_addc_u32 s5, s15, s5
	v_mov_b32_e32 v1, 0
	global_load_dword v1, v1, s[4:5]
	s_waitcnt vmcnt(0)
	v_cmp_ne_u32_e32 vcc, 0, v1
	s_cbranch_vccz .LBB100_163
.LBB100_162:
	s_endpgm
.LBB100_163:
	v_mov_b32_e32 v1, 0x130
	v_lshl_add_u32 v1, v0, 3, v1
	v_cmp_eq_u32_e32 vcc, 36, v0
	s_and_saveexec_b64 s[4:5], vcc
	s_cbranch_execz .LBB100_165
; %bb.164:
	buffer_load_dword v2, off, s[0:3], 0 offset:280
	buffer_load_dword v3, off, s[0:3], 0 offset:284
	v_mov_b32_e32 v4, 0
	buffer_store_dword v4, off, s[0:3], 0 offset:280
	buffer_store_dword v4, off, s[0:3], 0 offset:284
	s_waitcnt vmcnt(2)
	ds_write_b64 v1, v[2:3]
.LBB100_165:
	s_or_b64 exec, exec, s[4:5]
	s_waitcnt lgkmcnt(0)
	; wave barrier
	s_waitcnt lgkmcnt(0)
	buffer_load_dword v5, off, s[0:3], 0 offset:292
	buffer_load_dword v4, off, s[0:3], 0 offset:288
	;; [unrolled: 1-line block ×4, first 2 shown]
	v_mov_b32_e32 v2, 0
	ds_read_b64 v[82:83], v2 offset:592
	v_cmp_lt_u32_e32 vcc, 34, v0
	s_waitcnt vmcnt(3)
	v_mov_b32_e32 v84, v5
	s_waitcnt lgkmcnt(0)
	v_pk_mul_f32 v[84:85], v[82:83], v[84:85] op_sel_hi:[1,0]
	s_waitcnt vmcnt(2)
	v_pk_fma_f32 v[86:87], v[82:83], v[4:5], v[84:85] op_sel:[0,0,1] op_sel_hi:[1,1,0] neg_lo:[0,0,1] neg_hi:[0,0,1]
	v_pk_fma_f32 v[4:5], v[82:83], v[4:5], v[84:85] op_sel:[0,0,1] op_sel_hi:[1,0,0]
	v_mov_b32_e32 v87, v5
	v_pk_add_f32 v[4:5], v[86:87], 0 op_sel_hi:[1,0]
	s_waitcnt vmcnt(0)
	v_pk_add_f32 v[4:5], v[80:81], v[4:5] neg_lo:[0,1] neg_hi:[0,1]
	buffer_store_dword v4, off, s[0:3], 0 offset:280
	buffer_store_dword v5, off, s[0:3], 0 offset:284
	s_and_saveexec_b64 s[4:5], vcc
	s_cbranch_execz .LBB100_167
; %bb.166:
	buffer_load_dword v4, off, s[0:3], 0 offset:272
	buffer_load_dword v5, off, s[0:3], 0 offset:276
	s_waitcnt vmcnt(0)
	ds_write_b64 v1, v[4:5]
	buffer_store_dword v2, off, s[0:3], 0 offset:272
	buffer_store_dword v2, off, s[0:3], 0 offset:276
.LBB100_167:
	s_or_b64 exec, exec, s[4:5]
	s_waitcnt lgkmcnt(0)
	; wave barrier
	s_waitcnt lgkmcnt(0)
	buffer_load_dword v81, off, s[0:3], 0 offset:284
	buffer_load_dword v83, off, s[0:3], 0 offset:292
	;; [unrolled: 1-line block ×6, first 2 shown]
	ds_read2_b64 v[2:5], v2 offset0:73 offset1:74
	v_cmp_lt_u32_e32 vcc, 33, v0
	s_waitcnt vmcnt(5)
	v_mov_b32_e32 v86, v81
	s_waitcnt vmcnt(4)
	v_mov_b32_e32 v88, v83
	s_waitcnt lgkmcnt(0)
	v_pk_mul_f32 v[86:87], v[2:3], v[86:87] op_sel_hi:[1,0]
	v_pk_mul_f32 v[88:89], v[4:5], v[88:89] op_sel_hi:[1,0]
	s_waitcnt vmcnt(3)
	v_pk_fma_f32 v[90:91], v[2:3], v[80:81], v[86:87] op_sel:[0,0,1] op_sel_hi:[1,1,0] neg_lo:[0,0,1] neg_hi:[0,0,1]
	v_pk_fma_f32 v[2:3], v[2:3], v[80:81], v[86:87] op_sel:[0,0,1] op_sel_hi:[1,0,0]
	s_waitcnt vmcnt(2)
	v_pk_fma_f32 v[80:81], v[4:5], v[82:83], v[88:89] op_sel:[0,0,1] op_sel_hi:[1,1,0] neg_lo:[0,0,1] neg_hi:[0,0,1]
	v_pk_fma_f32 v[4:5], v[4:5], v[82:83], v[88:89] op_sel:[0,0,1] op_sel_hi:[1,0,0]
	v_mov_b32_e32 v91, v3
	v_mov_b32_e32 v81, v5
	v_pk_add_f32 v[2:3], v[90:91], 0 op_sel_hi:[1,0]
	v_pk_add_f32 v[2:3], v[2:3], v[80:81]
	s_waitcnt vmcnt(0)
	v_pk_add_f32 v[2:3], v[84:85], v[2:3] neg_lo:[0,1] neg_hi:[0,1]
	buffer_store_dword v2, off, s[0:3], 0 offset:272
	buffer_store_dword v3, off, s[0:3], 0 offset:276
	s_and_saveexec_b64 s[4:5], vcc
	s_cbranch_execz .LBB100_169
; %bb.168:
	buffer_load_dword v2, off, s[0:3], 0 offset:264
	buffer_load_dword v3, off, s[0:3], 0 offset:268
	v_mov_b32_e32 v4, 0
	buffer_store_dword v4, off, s[0:3], 0 offset:264
	buffer_store_dword v4, off, s[0:3], 0 offset:268
	s_waitcnt vmcnt(2)
	ds_write_b64 v1, v[2:3]
.LBB100_169:
	s_or_b64 exec, exec, s[4:5]
	s_waitcnt lgkmcnt(0)
	; wave barrier
	s_waitcnt lgkmcnt(0)
	buffer_load_dword v5, off, s[0:3], 0 offset:276
	buffer_load_dword v85, off, s[0:3], 0 offset:284
	;; [unrolled: 1-line block ×8, first 2 shown]
	v_mov_b32_e32 v2, 0
	ds_read_b128 v[80:83], v2 offset:576
	ds_read_b64 v[90:91], v2 offset:592
	v_cmp_lt_u32_e32 vcc, 32, v0
	s_waitcnt vmcnt(7)
	v_mov_b32_e32 v92, v5
	s_waitcnt vmcnt(6)
	v_mov_b32_e32 v94, v85
	s_waitcnt lgkmcnt(1)
	v_pk_mul_f32 v[92:93], v[80:81], v[92:93] op_sel_hi:[1,0]
	s_waitcnt vmcnt(5)
	v_mov_b32_e32 v96, v87
	v_pk_mul_f32 v[94:95], v[82:83], v[94:95] op_sel_hi:[1,0]
	s_waitcnt vmcnt(4)
	v_pk_fma_f32 v[98:99], v[80:81], v[4:5], v[92:93] op_sel:[0,0,1] op_sel_hi:[1,1,0] neg_lo:[0,0,1] neg_hi:[0,0,1]
	v_pk_fma_f32 v[4:5], v[80:81], v[4:5], v[92:93] op_sel:[0,0,1] op_sel_hi:[1,0,0]
	s_waitcnt lgkmcnt(0)
	v_pk_mul_f32 v[96:97], v[90:91], v[96:97] op_sel_hi:[1,0]
	s_waitcnt vmcnt(3)
	v_pk_fma_f32 v[80:81], v[82:83], v[84:85], v[94:95] op_sel:[0,0,1] op_sel_hi:[1,1,0] neg_lo:[0,0,1] neg_hi:[0,0,1]
	v_pk_fma_f32 v[82:83], v[82:83], v[84:85], v[94:95] op_sel:[0,0,1] op_sel_hi:[1,0,0]
	v_mov_b32_e32 v99, v5
	s_waitcnt vmcnt(2)
	v_pk_fma_f32 v[84:85], v[90:91], v[86:87], v[96:97] op_sel:[0,0,1] op_sel_hi:[1,1,0] neg_lo:[0,0,1] neg_hi:[0,0,1]
	v_pk_fma_f32 v[86:87], v[90:91], v[86:87], v[96:97] op_sel:[0,0,1] op_sel_hi:[1,0,0]
	v_mov_b32_e32 v81, v83
	v_pk_add_f32 v[4:5], v[98:99], 0 op_sel_hi:[1,0]
	v_mov_b32_e32 v85, v87
	v_pk_add_f32 v[4:5], v[4:5], v[80:81]
	v_pk_add_f32 v[4:5], v[4:5], v[84:85]
	s_waitcnt vmcnt(0)
	v_pk_add_f32 v[4:5], v[88:89], v[4:5] neg_lo:[0,1] neg_hi:[0,1]
	buffer_store_dword v4, off, s[0:3], 0 offset:264
	buffer_store_dword v5, off, s[0:3], 0 offset:268
	s_and_saveexec_b64 s[4:5], vcc
	s_cbranch_execz .LBB100_171
; %bb.170:
	buffer_load_dword v4, off, s[0:3], 0 offset:256
	buffer_load_dword v5, off, s[0:3], 0 offset:260
	s_waitcnt vmcnt(0)
	ds_write_b64 v1, v[4:5]
	buffer_store_dword v2, off, s[0:3], 0 offset:256
	buffer_store_dword v2, off, s[0:3], 0 offset:260
.LBB100_171:
	s_or_b64 exec, exec, s[4:5]
	s_waitcnt lgkmcnt(0)
	; wave barrier
	s_waitcnt lgkmcnt(0)
	buffer_load_dword v85, off, s[0:3], 0 offset:268
	buffer_load_dword v87, off, s[0:3], 0 offset:276
	;; [unrolled: 1-line block ×10, first 2 shown]
	ds_read2_b64 v[80:83], v2 offset0:71 offset1:72
	ds_read2_b64 v[2:5], v2 offset0:73 offset1:74
	v_cmp_lt_u32_e32 vcc, 31, v0
	s_waitcnt vmcnt(9)
	v_mov_b32_e32 v94, v85
	s_waitcnt vmcnt(8)
	v_mov_b32_e32 v96, v87
	;; [unrolled: 2-line block ×3, first 2 shown]
	s_waitcnt lgkmcnt(1)
	v_pk_mul_f32 v[94:95], v[80:81], v[94:95] op_sel_hi:[1,0]
	v_pk_mul_f32 v[96:97], v[82:83], v[96:97] op_sel_hi:[1,0]
	s_waitcnt lgkmcnt(0)
	v_pk_mul_f32 v[98:99], v[2:3], v[98:99] op_sel_hi:[1,0]
	s_waitcnt vmcnt(5)
	v_pk_fma_f32 v[102:103], v[80:81], v[84:85], v[94:95] op_sel:[0,0,1] op_sel_hi:[1,1,0] neg_lo:[0,0,1] neg_hi:[0,0,1]
	v_pk_fma_f32 v[80:81], v[80:81], v[84:85], v[94:95] op_sel:[0,0,1] op_sel_hi:[1,0,0]
	v_mov_b32_e32 v100, v91
	s_waitcnt vmcnt(4)
	v_pk_fma_f32 v[84:85], v[82:83], v[86:87], v[96:97] op_sel:[0,0,1] op_sel_hi:[1,1,0] neg_lo:[0,0,1] neg_hi:[0,0,1]
	v_pk_fma_f32 v[82:83], v[82:83], v[86:87], v[96:97] op_sel:[0,0,1] op_sel_hi:[1,0,0]
	s_waitcnt vmcnt(3)
	v_pk_fma_f32 v[86:87], v[2:3], v[88:89], v[98:99] op_sel:[0,0,1] op_sel_hi:[1,1,0] neg_lo:[0,0,1] neg_hi:[0,0,1]
	v_pk_fma_f32 v[2:3], v[2:3], v[88:89], v[98:99] op_sel:[0,0,1] op_sel_hi:[1,0,0]
	v_mov_b32_e32 v103, v81
	v_pk_mul_f32 v[100:101], v[4:5], v[100:101] op_sel_hi:[1,0]
	v_mov_b32_e32 v85, v83
	v_mov_b32_e32 v87, v3
	v_pk_add_f32 v[2:3], v[102:103], 0 op_sel_hi:[1,0]
	s_waitcnt vmcnt(2)
	v_pk_fma_f32 v[88:89], v[4:5], v[90:91], v[100:101] op_sel:[0,0,1] op_sel_hi:[1,1,0] neg_lo:[0,0,1] neg_hi:[0,0,1]
	v_pk_fma_f32 v[4:5], v[4:5], v[90:91], v[100:101] op_sel:[0,0,1] op_sel_hi:[1,0,0]
	v_pk_add_f32 v[2:3], v[2:3], v[84:85]
	v_mov_b32_e32 v89, v5
	v_pk_add_f32 v[2:3], v[2:3], v[86:87]
	v_pk_add_f32 v[2:3], v[2:3], v[88:89]
	s_waitcnt vmcnt(0)
	v_pk_add_f32 v[2:3], v[92:93], v[2:3] neg_lo:[0,1] neg_hi:[0,1]
	buffer_store_dword v2, off, s[0:3], 0 offset:256
	buffer_store_dword v3, off, s[0:3], 0 offset:260
	s_and_saveexec_b64 s[4:5], vcc
	s_cbranch_execz .LBB100_173
; %bb.172:
	buffer_load_dword v2, off, s[0:3], 0 offset:248
	buffer_load_dword v3, off, s[0:3], 0 offset:252
	v_mov_b32_e32 v4, 0
	buffer_store_dword v4, off, s[0:3], 0 offset:248
	buffer_store_dword v4, off, s[0:3], 0 offset:252
	s_waitcnt vmcnt(2)
	ds_write_b64 v1, v[2:3]
.LBB100_173:
	s_or_b64 exec, exec, s[4:5]
	s_waitcnt lgkmcnt(0)
	; wave barrier
	s_waitcnt lgkmcnt(0)
	buffer_load_dword v5, off, s[0:3], 0 offset:260
	buffer_load_dword v89, off, s[0:3], 0 offset:268
	buffer_load_dword v91, off, s[0:3], 0 offset:276
	buffer_load_dword v93, off, s[0:3], 0 offset:284
	buffer_load_dword v95, off, s[0:3], 0 offset:292
	buffer_load_dword v4, off, s[0:3], 0 offset:256
	buffer_load_dword v88, off, s[0:3], 0 offset:264
	buffer_load_dword v90, off, s[0:3], 0 offset:272
	buffer_load_dword v92, off, s[0:3], 0 offset:280
	buffer_load_dword v94, off, s[0:3], 0 offset:288
	buffer_load_dword v96, off, s[0:3], 0 offset:248
	buffer_load_dword v97, off, s[0:3], 0 offset:252
	v_mov_b32_e32 v2, 0
	ds_read_b128 v[80:83], v2 offset:560
	ds_read_b128 v[84:87], v2 offset:576
	ds_read_b64 v[98:99], v2 offset:592
	v_cmp_lt_u32_e32 vcc, 30, v0
	s_waitcnt vmcnt(11)
	v_mov_b32_e32 v100, v5
	s_waitcnt vmcnt(10)
	v_mov_b32_e32 v102, v89
	s_waitcnt lgkmcnt(2)
	v_pk_mul_f32 v[100:101], v[80:81], v[100:101] op_sel_hi:[1,0]
	s_waitcnt vmcnt(9)
	v_mov_b32_e32 v104, v91
	v_pk_mul_f32 v[102:103], v[82:83], v[102:103] op_sel_hi:[1,0]
	s_waitcnt vmcnt(6)
	v_pk_fma_f32 v[110:111], v[80:81], v[4:5], v[100:101] op_sel:[0,0,1] op_sel_hi:[1,1,0] neg_lo:[0,0,1] neg_hi:[0,0,1]
	v_pk_fma_f32 v[4:5], v[80:81], v[4:5], v[100:101] op_sel:[0,0,1] op_sel_hi:[1,0,0]
	v_mov_b32_e32 v106, v93
	s_waitcnt lgkmcnt(1)
	v_pk_mul_f32 v[104:105], v[84:85], v[104:105] op_sel_hi:[1,0]
	s_waitcnt vmcnt(5)
	v_pk_fma_f32 v[80:81], v[82:83], v[88:89], v[102:103] op_sel:[0,0,1] op_sel_hi:[1,1,0] neg_lo:[0,0,1] neg_hi:[0,0,1]
	v_pk_fma_f32 v[82:83], v[82:83], v[88:89], v[102:103] op_sel:[0,0,1] op_sel_hi:[1,0,0]
	v_mov_b32_e32 v111, v5
	v_mov_b32_e32 v108, v95
	v_pk_mul_f32 v[106:107], v[86:87], v[106:107] op_sel_hi:[1,0]
	s_waitcnt vmcnt(4)
	v_pk_fma_f32 v[88:89], v[84:85], v[90:91], v[104:105] op_sel:[0,0,1] op_sel_hi:[1,1,0] neg_lo:[0,0,1] neg_hi:[0,0,1]
	v_pk_fma_f32 v[84:85], v[84:85], v[90:91], v[104:105] op_sel:[0,0,1] op_sel_hi:[1,0,0]
	v_mov_b32_e32 v81, v83
	v_pk_add_f32 v[4:5], v[110:111], 0 op_sel_hi:[1,0]
	s_waitcnt lgkmcnt(0)
	v_pk_mul_f32 v[108:109], v[98:99], v[108:109] op_sel_hi:[1,0]
	s_waitcnt vmcnt(3)
	v_pk_fma_f32 v[90:91], v[86:87], v[92:93], v[106:107] op_sel:[0,0,1] op_sel_hi:[1,1,0] neg_lo:[0,0,1] neg_hi:[0,0,1]
	v_pk_fma_f32 v[86:87], v[86:87], v[92:93], v[106:107] op_sel:[0,0,1] op_sel_hi:[1,0,0]
	v_mov_b32_e32 v89, v85
	v_pk_add_f32 v[4:5], v[4:5], v[80:81]
	s_waitcnt vmcnt(2)
	v_pk_fma_f32 v[92:93], v[98:99], v[94:95], v[108:109] op_sel:[0,0,1] op_sel_hi:[1,1,0] neg_lo:[0,0,1] neg_hi:[0,0,1]
	v_pk_fma_f32 v[94:95], v[98:99], v[94:95], v[108:109] op_sel:[0,0,1] op_sel_hi:[1,0,0]
	v_mov_b32_e32 v91, v87
	v_pk_add_f32 v[4:5], v[4:5], v[88:89]
	v_mov_b32_e32 v93, v95
	v_pk_add_f32 v[4:5], v[4:5], v[90:91]
	v_pk_add_f32 v[4:5], v[4:5], v[92:93]
	s_waitcnt vmcnt(0)
	v_pk_add_f32 v[4:5], v[96:97], v[4:5] neg_lo:[0,1] neg_hi:[0,1]
	buffer_store_dword v4, off, s[0:3], 0 offset:248
	buffer_store_dword v5, off, s[0:3], 0 offset:252
	s_and_saveexec_b64 s[4:5], vcc
	s_cbranch_execz .LBB100_175
; %bb.174:
	buffer_load_dword v4, off, s[0:3], 0 offset:240
	buffer_load_dword v5, off, s[0:3], 0 offset:244
	s_waitcnt vmcnt(0)
	ds_write_b64 v1, v[4:5]
	buffer_store_dword v2, off, s[0:3], 0 offset:240
	buffer_store_dword v2, off, s[0:3], 0 offset:244
.LBB100_175:
	s_or_b64 exec, exec, s[4:5]
	s_waitcnt lgkmcnt(0)
	; wave barrier
	s_waitcnt lgkmcnt(0)
	buffer_load_dword v89, off, s[0:3], 0 offset:252
	buffer_load_dword v91, off, s[0:3], 0 offset:260
	;; [unrolled: 1-line block ×14, first 2 shown]
	ds_read2_b64 v[80:83], v2 offset0:69 offset1:70
	ds_read2_b64 v[84:87], v2 offset0:71 offset1:72
	;; [unrolled: 1-line block ×3, first 2 shown]
	v_cmp_lt_u32_e32 vcc, 29, v0
	s_waitcnt vmcnt(13)
	v_mov_b32_e32 v102, v89
	s_waitcnt vmcnt(12)
	v_mov_b32_e32 v104, v91
	;; [unrolled: 2-line block ×5, first 2 shown]
	s_waitcnt lgkmcnt(2)
	v_pk_mul_f32 v[102:103], v[80:81], v[102:103] op_sel_hi:[1,0]
	v_pk_mul_f32 v[104:105], v[82:83], v[104:105] op_sel_hi:[1,0]
	s_waitcnt lgkmcnt(1)
	v_pk_mul_f32 v[106:107], v[84:85], v[106:107] op_sel_hi:[1,0]
	v_pk_mul_f32 v[108:109], v[86:87], v[108:109] op_sel_hi:[1,0]
	s_waitcnt lgkmcnt(0)
	v_pk_mul_f32 v[110:111], v[2:3], v[110:111] op_sel_hi:[1,0]
	s_waitcnt vmcnt(7)
	v_pk_fma_f32 v[114:115], v[80:81], v[88:89], v[102:103] op_sel:[0,0,1] op_sel_hi:[1,1,0] neg_lo:[0,0,1] neg_hi:[0,0,1]
	v_pk_fma_f32 v[80:81], v[80:81], v[88:89], v[102:103] op_sel:[0,0,1] op_sel_hi:[1,0,0]
	s_waitcnt vmcnt(6)
	v_pk_fma_f32 v[88:89], v[82:83], v[90:91], v[104:105] op_sel:[0,0,1] op_sel_hi:[1,1,0] neg_lo:[0,0,1] neg_hi:[0,0,1]
	v_pk_fma_f32 v[82:83], v[82:83], v[90:91], v[104:105] op_sel:[0,0,1] op_sel_hi:[1,0,0]
	;; [unrolled: 3-line block ×5, first 2 shown]
	v_mov_b32_e32 v115, v81
	v_mov_b32_e32 v89, v83
	;; [unrolled: 1-line block ×3, first 2 shown]
	v_pk_add_f32 v[2:3], v[114:115], 0 op_sel_hi:[1,0]
	v_mov_b32_e32 v112, v99
	v_mov_b32_e32 v91, v85
	v_pk_add_f32 v[2:3], v[2:3], v[88:89]
	v_pk_mul_f32 v[112:113], v[4:5], v[112:113] op_sel_hi:[1,0]
	v_mov_b32_e32 v93, v87
	v_pk_add_f32 v[2:3], v[2:3], v[90:91]
	s_waitcnt vmcnt(2)
	v_pk_fma_f32 v[96:97], v[4:5], v[98:99], v[112:113] op_sel:[0,0,1] op_sel_hi:[1,1,0] neg_lo:[0,0,1] neg_hi:[0,0,1]
	v_pk_fma_f32 v[4:5], v[4:5], v[98:99], v[112:113] op_sel:[0,0,1] op_sel_hi:[1,0,0]
	v_pk_add_f32 v[2:3], v[2:3], v[92:93]
	v_mov_b32_e32 v97, v5
	v_pk_add_f32 v[2:3], v[2:3], v[94:95]
	v_pk_add_f32 v[2:3], v[2:3], v[96:97]
	s_waitcnt vmcnt(0)
	v_pk_add_f32 v[2:3], v[100:101], v[2:3] neg_lo:[0,1] neg_hi:[0,1]
	buffer_store_dword v2, off, s[0:3], 0 offset:240
	buffer_store_dword v3, off, s[0:3], 0 offset:244
	s_and_saveexec_b64 s[4:5], vcc
	s_cbranch_execz .LBB100_177
; %bb.176:
	buffer_load_dword v2, off, s[0:3], 0 offset:232
	buffer_load_dword v3, off, s[0:3], 0 offset:236
	v_mov_b32_e32 v4, 0
	buffer_store_dword v4, off, s[0:3], 0 offset:232
	buffer_store_dword v4, off, s[0:3], 0 offset:236
	s_waitcnt vmcnt(2)
	ds_write_b64 v1, v[2:3]
.LBB100_177:
	s_or_b64 exec, exec, s[4:5]
	s_waitcnt lgkmcnt(0)
	; wave barrier
	s_waitcnt lgkmcnt(0)
	buffer_load_dword v5, off, s[0:3], 0 offset:244
	buffer_load_dword v93, off, s[0:3], 0 offset:252
	buffer_load_dword v95, off, s[0:3], 0 offset:260
	buffer_load_dword v97, off, s[0:3], 0 offset:268
	buffer_load_dword v99, off, s[0:3], 0 offset:276
	buffer_load_dword v101, off, s[0:3], 0 offset:284
	buffer_load_dword v103, off, s[0:3], 0 offset:292
	buffer_load_dword v4, off, s[0:3], 0 offset:240
	buffer_load_dword v92, off, s[0:3], 0 offset:248
	buffer_load_dword v94, off, s[0:3], 0 offset:256
	buffer_load_dword v96, off, s[0:3], 0 offset:264
	buffer_load_dword v98, off, s[0:3], 0 offset:272
	buffer_load_dword v100, off, s[0:3], 0 offset:280
	buffer_load_dword v102, off, s[0:3], 0 offset:288
	buffer_load_dword v104, off, s[0:3], 0 offset:232
	buffer_load_dword v105, off, s[0:3], 0 offset:236
	v_mov_b32_e32 v2, 0
	ds_read_b128 v[80:83], v2 offset:544
	ds_read_b128 v[84:87], v2 offset:560
	;; [unrolled: 1-line block ×3, first 2 shown]
	ds_read_b64 v[106:107], v2 offset:592
	v_cmp_lt_u32_e32 vcc, 28, v0
	s_waitcnt vmcnt(15)
	v_mov_b32_e32 v108, v5
	s_waitcnt vmcnt(14)
	v_mov_b32_e32 v110, v93
	s_waitcnt lgkmcnt(3)
	v_pk_mul_f32 v[108:109], v[80:81], v[108:109] op_sel_hi:[1,0]
	s_waitcnt vmcnt(13)
	v_mov_b32_e32 v112, v95
	v_pk_mul_f32 v[110:111], v[82:83], v[110:111] op_sel_hi:[1,0]
	s_waitcnt vmcnt(12)
	v_mov_b32_e32 v114, v97
	s_waitcnt lgkmcnt(2)
	v_pk_mul_f32 v[112:113], v[84:85], v[112:113] op_sel_hi:[1,0]
	s_waitcnt vmcnt(8)
	v_pk_fma_f32 v[122:123], v[80:81], v[4:5], v[108:109] op_sel:[0,0,1] op_sel_hi:[1,1,0] neg_lo:[0,0,1] neg_hi:[0,0,1]
	v_pk_fma_f32 v[4:5], v[80:81], v[4:5], v[108:109] op_sel:[0,0,1] op_sel_hi:[1,0,0]
	s_waitcnt vmcnt(7)
	v_pk_fma_f32 v[80:81], v[82:83], v[92:93], v[110:111] op_sel:[0,0,1] op_sel_hi:[1,1,0] neg_lo:[0,0,1] neg_hi:[0,0,1]
	v_pk_fma_f32 v[82:83], v[82:83], v[92:93], v[110:111] op_sel:[0,0,1] op_sel_hi:[1,0,0]
	v_mov_b32_e32 v123, v5
	v_mov_b32_e32 v116, v99
	v_pk_mul_f32 v[114:115], v[86:87], v[114:115] op_sel_hi:[1,0]
	s_waitcnt vmcnt(6)
	v_pk_fma_f32 v[92:93], v[84:85], v[94:95], v[112:113] op_sel:[0,0,1] op_sel_hi:[1,1,0] neg_lo:[0,0,1] neg_hi:[0,0,1]
	v_pk_fma_f32 v[84:85], v[84:85], v[94:95], v[112:113] op_sel:[0,0,1] op_sel_hi:[1,0,0]
	v_mov_b32_e32 v81, v83
	v_pk_add_f32 v[4:5], v[122:123], 0 op_sel_hi:[1,0]
	v_mov_b32_e32 v118, v101
	s_waitcnt lgkmcnt(1)
	v_pk_mul_f32 v[116:117], v[88:89], v[116:117] op_sel_hi:[1,0]
	s_waitcnt vmcnt(5)
	v_pk_fma_f32 v[94:95], v[86:87], v[96:97], v[114:115] op_sel:[0,0,1] op_sel_hi:[1,1,0] neg_lo:[0,0,1] neg_hi:[0,0,1]
	v_pk_fma_f32 v[86:87], v[86:87], v[96:97], v[114:115] op_sel:[0,0,1] op_sel_hi:[1,0,0]
	v_mov_b32_e32 v93, v85
	v_pk_add_f32 v[4:5], v[4:5], v[80:81]
	v_mov_b32_e32 v120, v103
	v_pk_mul_f32 v[118:119], v[90:91], v[118:119] op_sel_hi:[1,0]
	s_waitcnt vmcnt(4)
	v_pk_fma_f32 v[96:97], v[88:89], v[98:99], v[116:117] op_sel:[0,0,1] op_sel_hi:[1,1,0] neg_lo:[0,0,1] neg_hi:[0,0,1]
	v_pk_fma_f32 v[88:89], v[88:89], v[98:99], v[116:117] op_sel:[0,0,1] op_sel_hi:[1,0,0]
	v_mov_b32_e32 v95, v87
	v_pk_add_f32 v[4:5], v[4:5], v[92:93]
	s_waitcnt lgkmcnt(0)
	v_pk_mul_f32 v[120:121], v[106:107], v[120:121] op_sel_hi:[1,0]
	s_waitcnt vmcnt(3)
	v_pk_fma_f32 v[98:99], v[90:91], v[100:101], v[118:119] op_sel:[0,0,1] op_sel_hi:[1,1,0] neg_lo:[0,0,1] neg_hi:[0,0,1]
	v_pk_fma_f32 v[90:91], v[90:91], v[100:101], v[118:119] op_sel:[0,0,1] op_sel_hi:[1,0,0]
	v_mov_b32_e32 v97, v89
	v_pk_add_f32 v[4:5], v[4:5], v[94:95]
	s_waitcnt vmcnt(2)
	v_pk_fma_f32 v[100:101], v[106:107], v[102:103], v[120:121] op_sel:[0,0,1] op_sel_hi:[1,1,0] neg_lo:[0,0,1] neg_hi:[0,0,1]
	v_pk_fma_f32 v[102:103], v[106:107], v[102:103], v[120:121] op_sel:[0,0,1] op_sel_hi:[1,0,0]
	v_mov_b32_e32 v99, v91
	v_pk_add_f32 v[4:5], v[4:5], v[96:97]
	v_mov_b32_e32 v101, v103
	v_pk_add_f32 v[4:5], v[4:5], v[98:99]
	v_pk_add_f32 v[4:5], v[4:5], v[100:101]
	s_waitcnt vmcnt(0)
	v_pk_add_f32 v[4:5], v[104:105], v[4:5] neg_lo:[0,1] neg_hi:[0,1]
	buffer_store_dword v4, off, s[0:3], 0 offset:232
	buffer_store_dword v5, off, s[0:3], 0 offset:236
	s_and_saveexec_b64 s[4:5], vcc
	s_cbranch_execz .LBB100_179
; %bb.178:
	buffer_load_dword v4, off, s[0:3], 0 offset:224
	buffer_load_dword v5, off, s[0:3], 0 offset:228
	s_waitcnt vmcnt(0)
	ds_write_b64 v1, v[4:5]
	buffer_store_dword v2, off, s[0:3], 0 offset:224
	buffer_store_dword v2, off, s[0:3], 0 offset:228
.LBB100_179:
	s_or_b64 exec, exec, s[4:5]
	s_waitcnt lgkmcnt(0)
	; wave barrier
	s_waitcnt lgkmcnt(0)
	buffer_load_dword v93, off, s[0:3], 0 offset:236
	buffer_load_dword v95, off, s[0:3], 0 offset:244
	;; [unrolled: 1-line block ×18, first 2 shown]
	ds_read2_b64 v[80:83], v2 offset0:67 offset1:68
	ds_read2_b64 v[84:87], v2 offset0:69 offset1:70
	;; [unrolled: 1-line block ×4, first 2 shown]
	v_cmp_lt_u32_e32 vcc, 27, v0
	s_waitcnt vmcnt(17)
	v_mov_b32_e32 v110, v93
	s_waitcnt vmcnt(16)
	v_mov_b32_e32 v112, v95
	;; [unrolled: 2-line block ×7, first 2 shown]
	s_waitcnt lgkmcnt(3)
	v_pk_mul_f32 v[110:111], v[80:81], v[110:111] op_sel_hi:[1,0]
	v_pk_mul_f32 v[112:113], v[82:83], v[112:113] op_sel_hi:[1,0]
	s_waitcnt lgkmcnt(2)
	v_pk_mul_f32 v[114:115], v[84:85], v[114:115] op_sel_hi:[1,0]
	v_pk_mul_f32 v[116:117], v[86:87], v[116:117] op_sel_hi:[1,0]
	;; [unrolled: 3-line block ×3, first 2 shown]
	s_waitcnt lgkmcnt(0)
	v_pk_mul_f32 v[122:123], v[2:3], v[122:123] op_sel_hi:[1,0]
	s_waitcnt vmcnt(9)
	v_pk_fma_f32 v[126:127], v[80:81], v[92:93], v[110:111] op_sel:[0,0,1] op_sel_hi:[1,1,0] neg_lo:[0,0,1] neg_hi:[0,0,1]
	v_pk_fma_f32 v[80:81], v[80:81], v[92:93], v[110:111] op_sel:[0,0,1] op_sel_hi:[1,0,0]
	s_waitcnt vmcnt(8)
	v_pk_fma_f32 v[92:93], v[82:83], v[94:95], v[112:113] op_sel:[0,0,1] op_sel_hi:[1,1,0] neg_lo:[0,0,1] neg_hi:[0,0,1]
	v_pk_fma_f32 v[82:83], v[82:83], v[94:95], v[112:113] op_sel:[0,0,1] op_sel_hi:[1,0,0]
	s_waitcnt vmcnt(7)
	v_pk_fma_f32 v[94:95], v[84:85], v[96:97], v[114:115] op_sel:[0,0,1] op_sel_hi:[1,1,0] neg_lo:[0,0,1] neg_hi:[0,0,1]
	v_pk_fma_f32 v[84:85], v[84:85], v[96:97], v[114:115] op_sel:[0,0,1] op_sel_hi:[1,0,0]
	s_waitcnt vmcnt(6)
	v_pk_fma_f32 v[96:97], v[86:87], v[98:99], v[116:117] op_sel:[0,0,1] op_sel_hi:[1,1,0] neg_lo:[0,0,1] neg_hi:[0,0,1]
	v_pk_fma_f32 v[86:87], v[86:87], v[98:99], v[116:117] op_sel:[0,0,1] op_sel_hi:[1,0,0]
	s_waitcnt vmcnt(5)
	v_pk_fma_f32 v[98:99], v[88:89], v[100:101], v[118:119] op_sel:[0,0,1] op_sel_hi:[1,1,0] neg_lo:[0,0,1] neg_hi:[0,0,1]
	v_pk_fma_f32 v[88:89], v[88:89], v[100:101], v[118:119] op_sel:[0,0,1] op_sel_hi:[1,0,0]
	s_waitcnt vmcnt(4)
	v_pk_fma_f32 v[100:101], v[90:91], v[102:103], v[120:121] op_sel:[0,0,1] op_sel_hi:[1,1,0] neg_lo:[0,0,1] neg_hi:[0,0,1]
	v_pk_fma_f32 v[90:91], v[90:91], v[102:103], v[120:121] op_sel:[0,0,1] op_sel_hi:[1,0,0]
	s_waitcnt vmcnt(3)
	v_pk_fma_f32 v[102:103], v[2:3], v[104:105], v[122:123] op_sel:[0,0,1] op_sel_hi:[1,1,0] neg_lo:[0,0,1] neg_hi:[0,0,1]
	v_pk_fma_f32 v[2:3], v[2:3], v[104:105], v[122:123] op_sel:[0,0,1] op_sel_hi:[1,0,0]
	v_mov_b32_e32 v127, v81
	v_mov_b32_e32 v93, v83
	;; [unrolled: 1-line block ×3, first 2 shown]
	v_pk_add_f32 v[2:3], v[126:127], 0 op_sel_hi:[1,0]
	v_mov_b32_e32 v95, v85
	v_pk_add_f32 v[2:3], v[2:3], v[92:93]
	v_mov_b32_e32 v97, v87
	v_pk_add_f32 v[2:3], v[2:3], v[94:95]
	v_mov_b32_e32 v124, v107
	v_mov_b32_e32 v99, v89
	v_pk_add_f32 v[2:3], v[2:3], v[96:97]
	v_pk_mul_f32 v[124:125], v[4:5], v[124:125] op_sel_hi:[1,0]
	v_mov_b32_e32 v101, v91
	v_pk_add_f32 v[2:3], v[2:3], v[98:99]
	s_waitcnt vmcnt(2)
	v_pk_fma_f32 v[104:105], v[4:5], v[106:107], v[124:125] op_sel:[0,0,1] op_sel_hi:[1,1,0] neg_lo:[0,0,1] neg_hi:[0,0,1]
	v_pk_fma_f32 v[4:5], v[4:5], v[106:107], v[124:125] op_sel:[0,0,1] op_sel_hi:[1,0,0]
	v_pk_add_f32 v[2:3], v[2:3], v[100:101]
	v_mov_b32_e32 v105, v5
	v_pk_add_f32 v[2:3], v[2:3], v[102:103]
	v_pk_add_f32 v[2:3], v[2:3], v[104:105]
	s_waitcnt vmcnt(0)
	v_pk_add_f32 v[2:3], v[108:109], v[2:3] neg_lo:[0,1] neg_hi:[0,1]
	buffer_store_dword v2, off, s[0:3], 0 offset:224
	buffer_store_dword v3, off, s[0:3], 0 offset:228
	s_and_saveexec_b64 s[4:5], vcc
	s_cbranch_execz .LBB100_181
; %bb.180:
	buffer_load_dword v2, off, s[0:3], 0 offset:216
	buffer_load_dword v3, off, s[0:3], 0 offset:220
	v_mov_b32_e32 v4, 0
	buffer_store_dword v4, off, s[0:3], 0 offset:216
	buffer_store_dword v4, off, s[0:3], 0 offset:220
	s_waitcnt vmcnt(2)
	ds_write_b64 v1, v[2:3]
.LBB100_181:
	s_or_b64 exec, exec, s[4:5]
	v_mov_b32_e32 v2, 0
	s_waitcnt lgkmcnt(0)
	; wave barrier
	s_waitcnt lgkmcnt(0)
	ds_read_b128 v[80:83], v2 offset:528
	ds_read_b128 v[84:87], v2 offset:544
	;; [unrolled: 1-line block ×4, first 2 shown]
	buffer_load_dword v4, off, s[0:3], 0 offset:216
	buffer_load_dword v5, off, s[0:3], 0 offset:220
	;; [unrolled: 1-line block ×20, first 2 shown]
	v_cmp_lt_u32_e32 vcc, 26, v0
	s_waitcnt vmcnt(16) lgkmcnt(3)
	v_mul_f32_e32 v109, v80, v108
	v_fmac_f32_e32 v109, v81, v3
	s_waitcnt vmcnt(14)
	v_mov_b32_e32 v114, v97
	v_mul_f32_e32 v81, v81, v108
	v_pk_mul_f32 v[114:115], v[82:83], v[114:115] op_sel_hi:[1,0]
	v_fma_f32 v108, v80, v3, -v81
	v_pk_fma_f32 v[116:117], v[82:83], v[96:97], v[114:115] op_sel:[0,0,1] op_sel_hi:[1,1,0] neg_lo:[0,0,1] neg_hi:[0,0,1]
	v_pk_fma_f32 v[82:83], v[82:83], v[96:97], v[114:115] op_sel:[0,0,1] op_sel_hi:[1,0,0]
	s_waitcnt vmcnt(12)
	v_mov_b32_e32 v96, v99
	v_pk_add_f32 v[108:109], v[108:109], 0 op_sel_hi:[1,0]
	v_mov_b32_e32 v117, v83
	s_waitcnt lgkmcnt(2)
	v_pk_mul_f32 v[96:97], v[84:85], v[96:97] op_sel_hi:[1,0]
	v_pk_add_f32 v[82:83], v[108:109], v[116:117]
	v_pk_fma_f32 v[108:109], v[84:85], v[98:99], v[96:97] op_sel:[0,0,1] op_sel_hi:[1,1,0] neg_lo:[0,0,1] neg_hi:[0,0,1]
	v_pk_fma_f32 v[84:85], v[84:85], v[98:99], v[96:97] op_sel:[0,0,1] op_sel_hi:[1,0,0]
	s_waitcnt vmcnt(10)
	v_mov_b32_e32 v84, v101
	v_mov_b32_e32 v109, v85
	v_pk_mul_f32 v[84:85], v[86:87], v[84:85] op_sel_hi:[1,0]
	v_pk_fma_f32 v[96:97], v[86:87], v[100:101], v[84:85] op_sel:[0,0,1] op_sel_hi:[1,1,0] neg_lo:[0,0,1] neg_hi:[0,0,1]
	v_pk_fma_f32 v[84:85], v[86:87], v[100:101], v[84:85] op_sel:[0,0,1] op_sel_hi:[1,0,0]
	s_waitcnt vmcnt(8)
	v_mov_b32_e32 v84, v103
	v_mov_b32_e32 v97, v85
	s_waitcnt lgkmcnt(1)
	v_pk_mul_f32 v[84:85], v[88:89], v[84:85] op_sel_hi:[1,0]
	v_pk_fma_f32 v[86:87], v[88:89], v[102:103], v[84:85] op_sel:[0,0,1] op_sel_hi:[1,1,0] neg_lo:[0,0,1] neg_hi:[0,0,1]
	v_pk_fma_f32 v[84:85], v[88:89], v[102:103], v[84:85] op_sel:[0,0,1] op_sel_hi:[1,0,0]
	v_pk_add_f32 v[82:83], v[82:83], v[108:109]
	s_waitcnt vmcnt(6)
	v_mov_b32_e32 v84, v105
	v_pk_add_f32 v[82:83], v[82:83], v[96:97]
	v_mov_b32_e32 v87, v85
	v_pk_mul_f32 v[84:85], v[90:91], v[84:85] op_sel_hi:[1,0]
	v_pk_add_f32 v[82:83], v[82:83], v[86:87]
	v_pk_fma_f32 v[86:87], v[90:91], v[104:105], v[84:85] op_sel:[0,0,1] op_sel_hi:[1,1,0] neg_lo:[0,0,1] neg_hi:[0,0,1]
	v_pk_fma_f32 v[84:85], v[90:91], v[104:105], v[84:85] op_sel:[0,0,1] op_sel_hi:[1,0,0]
	s_waitcnt vmcnt(4)
	v_mov_b32_e32 v84, v107
	v_mov_b32_e32 v87, v85
	s_waitcnt lgkmcnt(0)
	v_pk_mul_f32 v[84:85], v[92:93], v[84:85] op_sel_hi:[1,0]
	ds_read_b64 v[80:81], v2 offset:592
	v_pk_add_f32 v[82:83], v[82:83], v[86:87]
	v_pk_fma_f32 v[86:87], v[92:93], v[106:107], v[84:85] op_sel:[0,0,1] op_sel_hi:[1,1,0] neg_lo:[0,0,1] neg_hi:[0,0,1]
	v_pk_fma_f32 v[84:85], v[92:93], v[106:107], v[84:85] op_sel:[0,0,1] op_sel_hi:[1,0,0]
	s_waitcnt vmcnt(3)
	v_mov_b32_e32 v84, v111
	v_mov_b32_e32 v87, v85
	v_pk_mul_f32 v[84:85], v[94:95], v[84:85] op_sel_hi:[1,0]
	v_pk_add_f32 v[82:83], v[82:83], v[86:87]
	s_waitcnt vmcnt(2)
	v_pk_fma_f32 v[86:87], v[94:95], v[110:111], v[84:85] op_sel:[0,0,1] op_sel_hi:[1,1,0] neg_lo:[0,0,1] neg_hi:[0,0,1]
	v_pk_fma_f32 v[84:85], v[94:95], v[110:111], v[84:85] op_sel:[0,0,1] op_sel_hi:[1,0,0]
	s_waitcnt vmcnt(1)
	v_mov_b32_e32 v84, v113
	v_mov_b32_e32 v87, v85
	s_waitcnt lgkmcnt(0)
	v_pk_mul_f32 v[84:85], v[80:81], v[84:85] op_sel_hi:[1,0]
	v_pk_add_f32 v[82:83], v[82:83], v[86:87]
	s_waitcnt vmcnt(0)
	v_pk_fma_f32 v[86:87], v[80:81], v[112:113], v[84:85] op_sel:[0,0,1] op_sel_hi:[1,1,0] neg_lo:[0,0,1] neg_hi:[0,0,1]
	v_pk_fma_f32 v[80:81], v[80:81], v[112:113], v[84:85] op_sel:[0,0,1] op_sel_hi:[1,0,0]
	v_mov_b32_e32 v87, v81
	v_pk_add_f32 v[80:81], v[82:83], v[86:87]
	v_pk_add_f32 v[4:5], v[4:5], v[80:81] neg_lo:[0,1] neg_hi:[0,1]
	buffer_store_dword v4, off, s[0:3], 0 offset:216
	buffer_store_dword v5, off, s[0:3], 0 offset:220
	s_and_saveexec_b64 s[4:5], vcc
	s_cbranch_execz .LBB100_183
; %bb.182:
	buffer_load_dword v4, off, s[0:3], 0 offset:208
	buffer_load_dword v5, off, s[0:3], 0 offset:212
	s_waitcnt vmcnt(0)
	ds_write_b64 v1, v[4:5]
	buffer_store_dword v2, off, s[0:3], 0 offset:208
	buffer_store_dword v2, off, s[0:3], 0 offset:212
.LBB100_183:
	s_or_b64 exec, exec, s[4:5]
	s_waitcnt lgkmcnt(0)
	; wave barrier
	s_waitcnt lgkmcnt(0)
	ds_read2_b64 v[80:83], v2 offset0:65 offset1:66
	buffer_load_dword v92, off, s[0:3], 0 offset:208
	buffer_load_dword v93, off, s[0:3], 0 offset:212
	;; [unrolled: 1-line block ×16, first 2 shown]
	ds_read2_b64 v[84:87], v2 offset0:67 offset1:68
	buffer_load_dword v109, off, s[0:3], 0 offset:276
	buffer_load_dword v108, off, s[0:3], 0 offset:272
	;; [unrolled: 1-line block ×6, first 2 shown]
	v_cmp_lt_u32_e32 vcc, 25, v0
	s_waitcnt vmcnt(18) lgkmcnt(1)
	v_mul_f32_e32 v105, v80, v4
	v_mul_f32_e32 v4, v81, v4
	v_fmac_f32_e32 v105, v81, v3
	s_waitcnt vmcnt(16)
	v_mul_f32_e32 v107, v82, v88
	v_fma_f32 v104, v80, v3, -v4
	v_mul_f32_e32 v3, v83, v88
	v_fmac_f32_e32 v107, v83, v5
	v_fma_f32 v106, v82, v5, -v3
	v_pk_add_f32 v[104:105], v[104:105], 0 op_sel_hi:[1,0]
	v_pk_add_f32 v[104:105], v[104:105], v[106:107]
	s_waitcnt vmcnt(14)
	v_mov_b32_e32 v106, v95
	s_waitcnt lgkmcnt(0)
	v_pk_mul_f32 v[106:107], v[84:85], v[106:107] op_sel_hi:[1,0]
	v_pk_fma_f32 v[114:115], v[84:85], v[94:95], v[106:107] op_sel:[0,0,1] op_sel_hi:[1,1,0] neg_lo:[0,0,1] neg_hi:[0,0,1]
	v_pk_fma_f32 v[84:85], v[84:85], v[94:95], v[106:107] op_sel:[0,0,1] op_sel_hi:[1,0,0]
	s_waitcnt vmcnt(12)
	v_mov_b32_e32 v94, v97
	ds_read2_b64 v[80:83], v2 offset0:69 offset1:70
	ds_read2_b64 v[88:91], v2 offset0:71 offset1:72
	;; [unrolled: 1-line block ×3, first 2 shown]
	v_mov_b32_e32 v115, v85
	v_pk_mul_f32 v[94:95], v[86:87], v[94:95] op_sel_hi:[1,0]
	v_pk_add_f32 v[84:85], v[104:105], v[114:115]
	v_pk_fma_f32 v[104:105], v[86:87], v[96:97], v[94:95] op_sel:[0,0,1] op_sel_hi:[1,1,0] neg_lo:[0,0,1] neg_hi:[0,0,1]
	v_pk_fma_f32 v[86:87], v[86:87], v[96:97], v[94:95] op_sel:[0,0,1] op_sel_hi:[1,0,0]
	s_waitcnt vmcnt(10)
	v_mov_b32_e32 v86, v99
	v_mov_b32_e32 v105, v87
	s_waitcnt lgkmcnt(2)
	v_pk_mul_f32 v[86:87], v[80:81], v[86:87] op_sel_hi:[1,0]
	v_pk_fma_f32 v[94:95], v[80:81], v[98:99], v[86:87] op_sel:[0,0,1] op_sel_hi:[1,1,0] neg_lo:[0,0,1] neg_hi:[0,0,1]
	v_pk_fma_f32 v[80:81], v[80:81], v[98:99], v[86:87] op_sel:[0,0,1] op_sel_hi:[1,0,0]
	v_pk_add_f32 v[84:85], v[84:85], v[104:105]
	v_mov_b32_e32 v95, v81
	v_pk_add_f32 v[80:81], v[84:85], v[94:95]
	s_waitcnt vmcnt(8)
	v_mov_b32_e32 v84, v101
	v_pk_mul_f32 v[84:85], v[82:83], v[84:85] op_sel_hi:[1,0]
	v_pk_fma_f32 v[86:87], v[82:83], v[100:101], v[84:85] op_sel:[0,0,1] op_sel_hi:[1,1,0] neg_lo:[0,0,1] neg_hi:[0,0,1]
	v_pk_fma_f32 v[82:83], v[82:83], v[100:101], v[84:85] op_sel:[0,0,1] op_sel_hi:[1,0,0]
	s_waitcnt vmcnt(6)
	v_mov_b32_e32 v82, v103
	v_mov_b32_e32 v87, v83
	s_waitcnt lgkmcnt(1)
	v_pk_mul_f32 v[82:83], v[88:89], v[82:83] op_sel_hi:[1,0]
	v_pk_fma_f32 v[84:85], v[88:89], v[102:103], v[82:83] op_sel:[0,0,1] op_sel_hi:[1,1,0] neg_lo:[0,0,1] neg_hi:[0,0,1]
	v_pk_fma_f32 v[82:83], v[88:89], v[102:103], v[82:83] op_sel:[0,0,1] op_sel_hi:[1,0,0]
	s_waitcnt vmcnt(5)
	v_mov_b32_e32 v82, v109
	v_pk_add_f32 v[80:81], v[80:81], v[86:87]
	v_mov_b32_e32 v85, v83
	v_pk_mul_f32 v[82:83], v[90:91], v[82:83] op_sel_hi:[1,0]
	v_pk_add_f32 v[80:81], v[80:81], v[84:85]
	s_waitcnt vmcnt(4)
	v_pk_fma_f32 v[84:85], v[90:91], v[108:109], v[82:83] op_sel:[0,0,1] op_sel_hi:[1,1,0] neg_lo:[0,0,1] neg_hi:[0,0,1]
	v_pk_fma_f32 v[82:83], v[90:91], v[108:109], v[82:83] op_sel:[0,0,1] op_sel_hi:[1,0,0]
	s_waitcnt vmcnt(3)
	v_mov_b32_e32 v82, v111
	v_mov_b32_e32 v85, v83
	s_waitcnt lgkmcnt(0)
	v_pk_mul_f32 v[82:83], v[2:3], v[82:83] op_sel_hi:[1,0]
	v_pk_add_f32 v[80:81], v[80:81], v[84:85]
	s_waitcnt vmcnt(2)
	v_pk_fma_f32 v[84:85], v[2:3], v[110:111], v[82:83] op_sel:[0,0,1] op_sel_hi:[1,1,0] neg_lo:[0,0,1] neg_hi:[0,0,1]
	v_pk_fma_f32 v[2:3], v[2:3], v[110:111], v[82:83] op_sel:[0,0,1] op_sel_hi:[1,0,0]
	v_mov_b32_e32 v85, v3
	v_pk_add_f32 v[2:3], v[80:81], v[84:85]
	s_waitcnt vmcnt(1)
	v_mov_b32_e32 v80, v113
	v_pk_mul_f32 v[80:81], v[4:5], v[80:81] op_sel_hi:[1,0]
	s_waitcnt vmcnt(0)
	v_pk_fma_f32 v[82:83], v[4:5], v[112:113], v[80:81] op_sel:[0,0,1] op_sel_hi:[1,1,0] neg_lo:[0,0,1] neg_hi:[0,0,1]
	v_pk_fma_f32 v[4:5], v[4:5], v[112:113], v[80:81] op_sel:[0,0,1] op_sel_hi:[1,0,0]
	v_mov_b32_e32 v83, v5
	v_pk_add_f32 v[2:3], v[2:3], v[82:83]
	v_pk_add_f32 v[2:3], v[92:93], v[2:3] neg_lo:[0,1] neg_hi:[0,1]
	buffer_store_dword v2, off, s[0:3], 0 offset:208
	buffer_store_dword v3, off, s[0:3], 0 offset:212
	s_and_saveexec_b64 s[4:5], vcc
	s_cbranch_execz .LBB100_185
; %bb.184:
	buffer_load_dword v2, off, s[0:3], 0 offset:200
	buffer_load_dword v3, off, s[0:3], 0 offset:204
	v_mov_b32_e32 v4, 0
	buffer_store_dword v4, off, s[0:3], 0 offset:200
	buffer_store_dword v4, off, s[0:3], 0 offset:204
	s_waitcnt vmcnt(2)
	ds_write_b64 v1, v[2:3]
.LBB100_185:
	s_or_b64 exec, exec, s[4:5]
	v_mov_b32_e32 v4, 0
	s_waitcnt lgkmcnt(0)
	; wave barrier
	s_waitcnt lgkmcnt(0)
	ds_read_b128 v[80:83], v4 offset:512
	ds_read_b128 v[84:87], v4 offset:528
	ds_read_b128 v[88:91], v4 offset:544
	ds_read_b128 v[92:95], v4 offset:560
	buffer_load_dword v2, off, s[0:3], 0 offset:200
	buffer_load_dword v3, off, s[0:3], 0 offset:204
	;; [unrolled: 1-line block ×24, first 2 shown]
	v_cmp_lt_u32_e32 vcc, 24, v0
	s_waitcnt vmcnt(20) lgkmcnt(3)
	v_mul_f32_e32 v105, v80, v104
	v_fmac_f32_e32 v105, v81, v5
	v_mul_f32_e32 v81, v81, v104
	v_fma_f32 v5, v80, v5, -v81
	s_waitcnt vmcnt(18)
	v_mul_f32_e32 v107, v82, v108
	v_add_f32_e32 v104, 0, v5
	v_mul_f32_e32 v5, v83, v108
	v_add_f32_e32 v105, 0, v105
	v_fmac_f32_e32 v107, v83, v106
	v_fma_f32 v106, v82, v106, -v5
	s_waitcnt vmcnt(16) lgkmcnt(2)
	v_mul_f32_e32 v109, v84, v119
	v_mul_f32_e32 v5, v85, v119
	v_pk_add_f32 v[104:105], v[104:105], v[106:107]
	s_waitcnt vmcnt(14)
	v_mov_b32_e32 v106, v97
	v_fmac_f32_e32 v109, v85, v118
	v_fma_f32 v108, v84, v118, -v5
	v_pk_mul_f32 v[106:107], v[86:87], v[106:107] op_sel_hi:[1,0]
	v_pk_add_f32 v[104:105], v[104:105], v[108:109]
	v_pk_fma_f32 v[108:109], v[86:87], v[96:97], v[106:107] op_sel:[0,0,1] op_sel_hi:[1,1,0] neg_lo:[0,0,1] neg_hi:[0,0,1]
	v_pk_fma_f32 v[86:87], v[86:87], v[96:97], v[106:107] op_sel:[0,0,1] op_sel_hi:[1,0,0]
	s_waitcnt vmcnt(12)
	v_mov_b32_e32 v96, v99
	v_mov_b32_e32 v109, v87
	s_waitcnt lgkmcnt(1)
	v_pk_mul_f32 v[96:97], v[88:89], v[96:97] op_sel_hi:[1,0]
	v_pk_add_f32 v[86:87], v[104:105], v[108:109]
	v_pk_fma_f32 v[104:105], v[88:89], v[98:99], v[96:97] op_sel:[0,0,1] op_sel_hi:[1,1,0] neg_lo:[0,0,1] neg_hi:[0,0,1]
	v_pk_fma_f32 v[88:89], v[88:89], v[98:99], v[96:97] op_sel:[0,0,1] op_sel_hi:[1,0,0]
	s_waitcnt vmcnt(10)
	v_mov_b32_e32 v88, v101
	v_mov_b32_e32 v105, v89
	v_pk_mul_f32 v[88:89], v[90:91], v[88:89] op_sel_hi:[1,0]
	v_pk_fma_f32 v[96:97], v[90:91], v[100:101], v[88:89] op_sel:[0,0,1] op_sel_hi:[1,1,0] neg_lo:[0,0,1] neg_hi:[0,0,1]
	v_pk_fma_f32 v[88:89], v[90:91], v[100:101], v[88:89] op_sel:[0,0,1] op_sel_hi:[1,0,0]
	s_waitcnt vmcnt(8)
	v_mov_b32_e32 v88, v103
	v_mov_b32_e32 v97, v89
	s_waitcnt lgkmcnt(0)
	v_pk_mul_f32 v[88:89], v[92:93], v[88:89] op_sel_hi:[1,0]
	v_pk_fma_f32 v[90:91], v[92:93], v[102:103], v[88:89] op_sel:[0,0,1] op_sel_hi:[1,1,0] neg_lo:[0,0,1] neg_hi:[0,0,1]
	v_pk_fma_f32 v[88:89], v[92:93], v[102:103], v[88:89] op_sel:[0,0,1] op_sel_hi:[1,0,0]
	ds_read_b128 v[80:83], v4 offset:576
	ds_read_b64 v[84:85], v4 offset:592
	v_pk_add_f32 v[86:87], v[86:87], v[104:105]
	s_waitcnt vmcnt(7)
	v_mov_b32_e32 v88, v111
	v_pk_add_f32 v[86:87], v[86:87], v[96:97]
	v_mov_b32_e32 v91, v89
	v_pk_mul_f32 v[88:89], v[94:95], v[88:89] op_sel_hi:[1,0]
	v_pk_add_f32 v[86:87], v[86:87], v[90:91]
	s_waitcnt vmcnt(6)
	v_pk_fma_f32 v[90:91], v[94:95], v[110:111], v[88:89] op_sel:[0,0,1] op_sel_hi:[1,1,0] neg_lo:[0,0,1] neg_hi:[0,0,1]
	v_pk_fma_f32 v[88:89], v[94:95], v[110:111], v[88:89] op_sel:[0,0,1] op_sel_hi:[1,0,0]
	s_waitcnt vmcnt(5)
	v_mov_b32_e32 v88, v113
	v_mov_b32_e32 v91, v89
	s_waitcnt lgkmcnt(1)
	v_pk_mul_f32 v[88:89], v[80:81], v[88:89] op_sel_hi:[1,0]
	v_pk_add_f32 v[86:87], v[86:87], v[90:91]
	s_waitcnt vmcnt(4)
	v_pk_fma_f32 v[90:91], v[80:81], v[112:113], v[88:89] op_sel:[0,0,1] op_sel_hi:[1,1,0] neg_lo:[0,0,1] neg_hi:[0,0,1]
	v_pk_fma_f32 v[80:81], v[80:81], v[112:113], v[88:89] op_sel:[0,0,1] op_sel_hi:[1,0,0]
	v_mov_b32_e32 v91, v81
	v_pk_add_f32 v[80:81], v[86:87], v[90:91]
	s_waitcnt vmcnt(3)
	v_mov_b32_e32 v86, v115
	v_pk_mul_f32 v[86:87], v[82:83], v[86:87] op_sel_hi:[1,0]
	s_waitcnt vmcnt(2)
	v_pk_fma_f32 v[88:89], v[82:83], v[114:115], v[86:87] op_sel:[0,0,1] op_sel_hi:[1,1,0] neg_lo:[0,0,1] neg_hi:[0,0,1]
	v_pk_fma_f32 v[82:83], v[82:83], v[114:115], v[86:87] op_sel:[0,0,1] op_sel_hi:[1,0,0]
	s_waitcnt vmcnt(1)
	v_mov_b32_e32 v82, v117
	v_mov_b32_e32 v89, v83
	s_waitcnt lgkmcnt(0)
	v_pk_mul_f32 v[82:83], v[84:85], v[82:83] op_sel_hi:[1,0]
	s_waitcnt vmcnt(0)
	v_pk_fma_f32 v[86:87], v[84:85], v[116:117], v[82:83] op_sel:[0,0,1] op_sel_hi:[1,1,0] neg_lo:[0,0,1] neg_hi:[0,0,1]
	v_pk_fma_f32 v[82:83], v[84:85], v[116:117], v[82:83] op_sel:[0,0,1] op_sel_hi:[1,0,0]
	v_pk_add_f32 v[80:81], v[80:81], v[88:89]
	v_mov_b32_e32 v87, v83
	v_pk_add_f32 v[80:81], v[80:81], v[86:87]
	v_pk_add_f32 v[2:3], v[2:3], v[80:81] neg_lo:[0,1] neg_hi:[0,1]
	buffer_store_dword v3, off, s[0:3], 0 offset:204
	buffer_store_dword v2, off, s[0:3], 0 offset:200
	s_and_saveexec_b64 s[4:5], vcc
	s_cbranch_execz .LBB100_187
; %bb.186:
	buffer_load_dword v2, off, s[0:3], 0 offset:192
	buffer_load_dword v3, off, s[0:3], 0 offset:196
	s_waitcnt vmcnt(0)
	ds_write_b64 v1, v[2:3]
	buffer_store_dword v4, off, s[0:3], 0 offset:192
	buffer_store_dword v4, off, s[0:3], 0 offset:196
.LBB100_187:
	s_or_b64 exec, exec, s[4:5]
	s_waitcnt lgkmcnt(0)
	; wave barrier
	s_waitcnt lgkmcnt(0)
	ds_read2_b64 v[80:83], v4 offset0:63 offset1:64
	buffer_load_dword v2, off, s[0:3], 0 offset:192
	buffer_load_dword v3, off, s[0:3], 0 offset:196
	;; [unrolled: 1-line block ×16, first 2 shown]
	v_cmp_lt_u32_e32 vcc, 23, v0
	ds_read2_b64 v[88:91], v4 offset0:67 offset1:68
	s_waitcnt vmcnt(12) lgkmcnt(1)
	v_mul_f32_e32 v84, v80, v92
	v_fmac_f32_e32 v84, v81, v5
	s_waitcnt vmcnt(10)
	v_mul_f32_e32 v85, v82, v94
	v_add_f32_e32 v84, 0, v84
	v_fmac_f32_e32 v85, v83, v93
	v_add_f32_e32 v103, v84, v85
	ds_read2_b64 v[84:87], v4 offset0:65 offset1:66
	buffer_load_dword v109, off, s[0:3], 0 offset:260
	buffer_load_dword v108, off, s[0:3], 0 offset:256
	;; [unrolled: 1-line block ×10, first 2 shown]
	v_mul_f32_e32 v81, v81, v92
	v_fma_f32 v5, v80, v5, -v81
	v_mul_f32_e32 v80, v83, v94
	v_add_f32_e32 v5, 0, v5
	v_fma_f32 v80, v82, v93, -v80
	s_waitcnt vmcnt(18) lgkmcnt(0)
	v_mul_f32_e32 v105, v84, v104
	v_add_f32_e32 v102, v5, v80
	v_mul_f32_e32 v5, v85, v104
	v_fmac_f32_e32 v105, v85, v95
	s_waitcnt vmcnt(16)
	v_mul_f32_e32 v107, v86, v118
	v_fma_f32 v104, v84, v95, -v5
	v_mul_f32_e32 v5, v87, v118
	v_fmac_f32_e32 v107, v87, v106
	v_fma_f32 v106, v86, v106, -v5
	ds_read2_b64 v[80:83], v4 offset0:69 offset1:70
	ds_read2_b64 v[84:87], v4 offset0:71 offset1:72
	;; [unrolled: 1-line block ×3, first 2 shown]
	v_pk_add_f32 v[4:5], v[102:103], v[104:105]
	s_waitcnt vmcnt(14)
	v_mov_b32_e32 v102, v97
	v_pk_mul_f32 v[102:103], v[88:89], v[102:103] op_sel_hi:[1,0]
	v_pk_fma_f32 v[104:105], v[88:89], v[96:97], v[102:103] op_sel:[0,0,1] op_sel_hi:[1,1,0] neg_lo:[0,0,1] neg_hi:[0,0,1]
	v_pk_fma_f32 v[88:89], v[88:89], v[96:97], v[102:103] op_sel:[0,0,1] op_sel_hi:[1,0,0]
	s_waitcnt vmcnt(12)
	v_mov_b32_e32 v88, v99
	v_mov_b32_e32 v105, v89
	v_pk_mul_f32 v[88:89], v[90:91], v[88:89] op_sel_hi:[1,0]
	v_pk_fma_f32 v[96:97], v[90:91], v[98:99], v[88:89] op_sel:[0,0,1] op_sel_hi:[1,1,0] neg_lo:[0,0,1] neg_hi:[0,0,1]
	v_pk_fma_f32 v[88:89], v[90:91], v[98:99], v[88:89] op_sel:[0,0,1] op_sel_hi:[1,0,0]
	s_waitcnt vmcnt(10)
	v_mov_b32_e32 v88, v101
	v_mov_b32_e32 v97, v89
	s_waitcnt lgkmcnt(2)
	v_pk_mul_f32 v[88:89], v[80:81], v[88:89] op_sel_hi:[1,0]
	v_pk_fma_f32 v[90:91], v[80:81], v[100:101], v[88:89] op_sel:[0,0,1] op_sel_hi:[1,1,0] neg_lo:[0,0,1] neg_hi:[0,0,1]
	v_pk_fma_f32 v[80:81], v[80:81], v[100:101], v[88:89] op_sel:[0,0,1] op_sel_hi:[1,0,0]
	v_mov_b32_e32 v91, v81
	v_pk_add_f32 v[4:5], v[4:5], v[106:107]
	v_pk_add_f32 v[4:5], v[4:5], v[104:105]
	v_pk_add_f32 v[4:5], v[4:5], v[96:97]
	v_pk_add_f32 v[4:5], v[4:5], v[90:91]
	s_waitcnt vmcnt(9)
	v_mov_b32_e32 v80, v109
	v_pk_mul_f32 v[80:81], v[82:83], v[80:81] op_sel_hi:[1,0]
	s_waitcnt vmcnt(8)
	v_pk_fma_f32 v[88:89], v[82:83], v[108:109], v[80:81] op_sel:[0,0,1] op_sel_hi:[1,1,0] neg_lo:[0,0,1] neg_hi:[0,0,1]
	v_pk_fma_f32 v[80:81], v[82:83], v[108:109], v[80:81] op_sel:[0,0,1] op_sel_hi:[1,0,0]
	s_waitcnt vmcnt(7)
	v_mov_b32_e32 v80, v111
	v_mov_b32_e32 v89, v81
	s_waitcnt lgkmcnt(1)
	v_pk_mul_f32 v[80:81], v[84:85], v[80:81] op_sel_hi:[1,0]
	s_waitcnt vmcnt(6)
	v_pk_fma_f32 v[82:83], v[84:85], v[110:111], v[80:81] op_sel:[0,0,1] op_sel_hi:[1,1,0] neg_lo:[0,0,1] neg_hi:[0,0,1]
	v_pk_fma_f32 v[80:81], v[84:85], v[110:111], v[80:81] op_sel:[0,0,1] op_sel_hi:[1,0,0]
	s_waitcnt vmcnt(5)
	v_mov_b32_e32 v80, v113
	v_pk_add_f32 v[4:5], v[4:5], v[88:89]
	v_mov_b32_e32 v83, v81
	v_pk_mul_f32 v[80:81], v[86:87], v[80:81] op_sel_hi:[1,0]
	v_pk_add_f32 v[4:5], v[4:5], v[82:83]
	s_waitcnt vmcnt(4)
	v_pk_fma_f32 v[82:83], v[86:87], v[112:113], v[80:81] op_sel:[0,0,1] op_sel_hi:[1,1,0] neg_lo:[0,0,1] neg_hi:[0,0,1]
	v_pk_fma_f32 v[80:81], v[86:87], v[112:113], v[80:81] op_sel:[0,0,1] op_sel_hi:[1,0,0]
	s_waitcnt vmcnt(3)
	v_mov_b32_e32 v80, v115
	v_mov_b32_e32 v83, v81
	s_waitcnt lgkmcnt(0)
	v_pk_mul_f32 v[80:81], v[92:93], v[80:81] op_sel_hi:[1,0]
	v_pk_add_f32 v[4:5], v[4:5], v[82:83]
	s_waitcnt vmcnt(2)
	v_pk_fma_f32 v[82:83], v[92:93], v[114:115], v[80:81] op_sel:[0,0,1] op_sel_hi:[1,1,0] neg_lo:[0,0,1] neg_hi:[0,0,1]
	v_pk_fma_f32 v[80:81], v[92:93], v[114:115], v[80:81] op_sel:[0,0,1] op_sel_hi:[1,0,0]
	s_waitcnt vmcnt(1)
	v_mov_b32_e32 v80, v117
	v_mov_b32_e32 v83, v81
	v_pk_mul_f32 v[80:81], v[94:95], v[80:81] op_sel_hi:[1,0]
	v_pk_add_f32 v[4:5], v[4:5], v[82:83]
	s_waitcnt vmcnt(0)
	v_pk_fma_f32 v[82:83], v[94:95], v[116:117], v[80:81] op_sel:[0,0,1] op_sel_hi:[1,1,0] neg_lo:[0,0,1] neg_hi:[0,0,1]
	v_pk_fma_f32 v[80:81], v[94:95], v[116:117], v[80:81] op_sel:[0,0,1] op_sel_hi:[1,0,0]
	v_mov_b32_e32 v83, v81
	v_pk_add_f32 v[4:5], v[4:5], v[82:83]
	v_pk_add_f32 v[2:3], v[2:3], v[4:5] neg_lo:[0,1] neg_hi:[0,1]
	buffer_store_dword v3, off, s[0:3], 0 offset:196
	buffer_store_dword v2, off, s[0:3], 0 offset:192
	s_and_saveexec_b64 s[4:5], vcc
	s_cbranch_execz .LBB100_189
; %bb.188:
	buffer_load_dword v2, off, s[0:3], 0 offset:184
	buffer_load_dword v3, off, s[0:3], 0 offset:188
	v_mov_b32_e32 v4, 0
	buffer_store_dword v4, off, s[0:3], 0 offset:184
	buffer_store_dword v4, off, s[0:3], 0 offset:188
	s_waitcnt vmcnt(2)
	ds_write_b64 v1, v[2:3]
.LBB100_189:
	s_or_b64 exec, exec, s[4:5]
	v_mov_b32_e32 v4, 0
	s_waitcnt lgkmcnt(0)
	; wave barrier
	s_waitcnt lgkmcnt(0)
	ds_read_b128 v[80:83], v4 offset:496
	ds_read_b128 v[84:87], v4 offset:512
	;; [unrolled: 1-line block ×4, first 2 shown]
	buffer_load_dword v2, off, s[0:3], 0 offset:184
	buffer_load_dword v3, off, s[0:3], 0 offset:188
	;; [unrolled: 1-line block ×28, first 2 shown]
	v_cmp_lt_u32_e32 vcc, 22, v0
	s_waitcnt vmcnt(24) lgkmcnt(3)
	v_mul_f32_e32 v101, v80, v100
	v_fmac_f32_e32 v101, v81, v5
	v_mul_f32_e32 v81, v81, v100
	s_waitcnt vmcnt(22)
	v_mul_f32_e32 v103, v82, v104
	v_fma_f32 v5, v80, v5, -v81
	v_mul_f32_e32 v80, v83, v104
	v_add_f32_e32 v101, 0, v101
	v_fmac_f32_e32 v103, v83, v102
	v_add_f32_e32 v5, 0, v5
	v_fma_f32 v80, v82, v102, -v80
	v_add_f32_e32 v101, v101, v103
	s_waitcnt vmcnt(20) lgkmcnt(2)
	v_mul_f32_e32 v103, v84, v119
	v_add_f32_e32 v5, v5, v80
	v_mul_f32_e32 v80, v85, v119
	v_fmac_f32_e32 v103, v85, v118
	v_fma_f32 v80, v84, v118, -v80
	v_add_f32_e32 v101, v101, v103
	s_waitcnt vmcnt(18)
	v_mul_f32_e32 v103, v86, v121
	v_add_f32_e32 v100, v5, v80
	v_mul_f32_e32 v5, v87, v121
	v_fmac_f32_e32 v103, v87, v120
	v_fma_f32 v102, v86, v120, -v5
	s_waitcnt vmcnt(16) lgkmcnt(1)
	v_mul_f32_e32 v105, v88, v123
	v_mul_f32_e32 v5, v89, v123
	v_pk_add_f32 v[100:101], v[100:101], v[102:103]
	s_waitcnt vmcnt(14)
	v_mov_b32_e32 v102, v97
	v_fmac_f32_e32 v105, v89, v122
	v_fma_f32 v104, v88, v122, -v5
	v_pk_mul_f32 v[102:103], v[90:91], v[102:103] op_sel_hi:[1,0]
	v_pk_add_f32 v[100:101], v[100:101], v[104:105]
	v_pk_fma_f32 v[104:105], v[90:91], v[96:97], v[102:103] op_sel:[0,0,1] op_sel_hi:[1,1,0] neg_lo:[0,0,1] neg_hi:[0,0,1]
	v_pk_fma_f32 v[90:91], v[90:91], v[96:97], v[102:103] op_sel:[0,0,1] op_sel_hi:[1,0,0]
	s_waitcnt vmcnt(12)
	v_mov_b32_e32 v96, v99
	v_mov_b32_e32 v105, v91
	s_waitcnt lgkmcnt(0)
	v_pk_mul_f32 v[96:97], v[92:93], v[96:97] op_sel_hi:[1,0]
	v_pk_add_f32 v[90:91], v[100:101], v[104:105]
	v_pk_fma_f32 v[100:101], v[92:93], v[98:99], v[96:97] op_sel:[0,0,1] op_sel_hi:[1,1,0] neg_lo:[0,0,1] neg_hi:[0,0,1]
	v_pk_fma_f32 v[92:93], v[92:93], v[98:99], v[96:97] op_sel:[0,0,1] op_sel_hi:[1,0,0]
	s_waitcnt vmcnt(11)
	v_mov_b32_e32 v92, v107
	ds_read_b128 v[80:83], v4 offset:560
	ds_read_b128 v[84:87], v4 offset:576
	ds_read_b64 v[88:89], v4 offset:592
	v_mov_b32_e32 v101, v93
	v_pk_mul_f32 v[92:93], v[94:95], v[92:93] op_sel_hi:[1,0]
	s_waitcnt vmcnt(10)
	v_pk_fma_f32 v[96:97], v[94:95], v[106:107], v[92:93] op_sel:[0,0,1] op_sel_hi:[1,1,0] neg_lo:[0,0,1] neg_hi:[0,0,1]
	v_pk_fma_f32 v[92:93], v[94:95], v[106:107], v[92:93] op_sel:[0,0,1] op_sel_hi:[1,0,0]
	s_waitcnt vmcnt(9)
	v_mov_b32_e32 v92, v109
	v_mov_b32_e32 v97, v93
	s_waitcnt lgkmcnt(2)
	v_pk_mul_f32 v[92:93], v[80:81], v[92:93] op_sel_hi:[1,0]
	v_pk_add_f32 v[90:91], v[90:91], v[100:101]
	s_waitcnt vmcnt(8)
	v_pk_fma_f32 v[94:95], v[80:81], v[108:109], v[92:93] op_sel:[0,0,1] op_sel_hi:[1,1,0] neg_lo:[0,0,1] neg_hi:[0,0,1]
	v_pk_fma_f32 v[80:81], v[80:81], v[108:109], v[92:93] op_sel:[0,0,1] op_sel_hi:[1,0,0]
	v_pk_add_f32 v[90:91], v[90:91], v[96:97]
	v_mov_b32_e32 v95, v81
	v_pk_add_f32 v[80:81], v[90:91], v[94:95]
	s_waitcnt vmcnt(7)
	v_mov_b32_e32 v90, v111
	v_pk_mul_f32 v[90:91], v[82:83], v[90:91] op_sel_hi:[1,0]
	s_waitcnt vmcnt(6)
	v_pk_fma_f32 v[92:93], v[82:83], v[110:111], v[90:91] op_sel:[0,0,1] op_sel_hi:[1,1,0] neg_lo:[0,0,1] neg_hi:[0,0,1]
	v_pk_fma_f32 v[82:83], v[82:83], v[110:111], v[90:91] op_sel:[0,0,1] op_sel_hi:[1,0,0]
	s_waitcnt vmcnt(5)
	v_mov_b32_e32 v82, v113
	v_mov_b32_e32 v93, v83
	s_waitcnt lgkmcnt(1)
	v_pk_mul_f32 v[82:83], v[84:85], v[82:83] op_sel_hi:[1,0]
	s_waitcnt vmcnt(4)
	v_pk_fma_f32 v[90:91], v[84:85], v[112:113], v[82:83] op_sel:[0,0,1] op_sel_hi:[1,1,0] neg_lo:[0,0,1] neg_hi:[0,0,1]
	v_pk_fma_f32 v[82:83], v[84:85], v[112:113], v[82:83] op_sel:[0,0,1] op_sel_hi:[1,0,0]
	s_waitcnt vmcnt(3)
	v_mov_b32_e32 v82, v115
	v_mov_b32_e32 v91, v83
	v_pk_mul_f32 v[82:83], v[86:87], v[82:83] op_sel_hi:[1,0]
	s_waitcnt vmcnt(2)
	v_pk_fma_f32 v[84:85], v[86:87], v[114:115], v[82:83] op_sel:[0,0,1] op_sel_hi:[1,1,0] neg_lo:[0,0,1] neg_hi:[0,0,1]
	v_pk_fma_f32 v[82:83], v[86:87], v[114:115], v[82:83] op_sel:[0,0,1] op_sel_hi:[1,0,0]
	v_pk_add_f32 v[80:81], v[80:81], v[92:93]
	s_waitcnt vmcnt(1)
	v_mov_b32_e32 v82, v117
	v_pk_add_f32 v[80:81], v[80:81], v[90:91]
	v_mov_b32_e32 v85, v83
	s_waitcnt lgkmcnt(0)
	v_pk_mul_f32 v[82:83], v[88:89], v[82:83] op_sel_hi:[1,0]
	v_pk_add_f32 v[80:81], v[80:81], v[84:85]
	s_waitcnt vmcnt(0)
	v_pk_fma_f32 v[84:85], v[88:89], v[116:117], v[82:83] op_sel:[0,0,1] op_sel_hi:[1,1,0] neg_lo:[0,0,1] neg_hi:[0,0,1]
	v_pk_fma_f32 v[82:83], v[88:89], v[116:117], v[82:83] op_sel:[0,0,1] op_sel_hi:[1,0,0]
	v_mov_b32_e32 v85, v83
	v_pk_add_f32 v[80:81], v[80:81], v[84:85]
	v_pk_add_f32 v[2:3], v[2:3], v[80:81] neg_lo:[0,1] neg_hi:[0,1]
	buffer_store_dword v3, off, s[0:3], 0 offset:188
	buffer_store_dword v2, off, s[0:3], 0 offset:184
	s_and_saveexec_b64 s[4:5], vcc
	s_cbranch_execz .LBB100_191
; %bb.190:
	buffer_load_dword v2, off, s[0:3], 0 offset:176
	buffer_load_dword v3, off, s[0:3], 0 offset:180
	s_waitcnt vmcnt(0)
	ds_write_b64 v1, v[2:3]
	buffer_store_dword v4, off, s[0:3], 0 offset:176
	buffer_store_dword v4, off, s[0:3], 0 offset:180
.LBB100_191:
	s_or_b64 exec, exec, s[4:5]
	s_waitcnt lgkmcnt(0)
	; wave barrier
	s_waitcnt lgkmcnt(0)
	ds_read2_b64 v[80:83], v4 offset0:61 offset1:62
	buffer_load_dword v2, off, s[0:3], 0 offset:176
	buffer_load_dword v3, off, s[0:3], 0 offset:180
	buffer_load_dword v5, off, s[0:3], 0 offset:184
	buffer_load_dword v98, off, s[0:3], 0 offset:188
	buffer_load_dword v100, off, s[0:3], 0 offset:192
	buffer_load_dword v102, off, s[0:3], 0 offset:196
	buffer_load_dword v118, off, s[0:3], 0 offset:200
	buffer_load_dword v119, off, s[0:3], 0 offset:204
	buffer_load_dword v120, off, s[0:3], 0 offset:208
	buffer_load_dword v121, off, s[0:3], 0 offset:212
	buffer_load_dword v122, off, s[0:3], 0 offset:216
	buffer_load_dword v123, off, s[0:3], 0 offset:220
	buffer_load_dword v124, off, s[0:3], 0 offset:224
	buffer_load_dword v125, off, s[0:3], 0 offset:228
	buffer_load_dword v96, off, s[0:3], 0 offset:232
	buffer_load_dword v97, off, s[0:3], 0 offset:236
	v_cmp_lt_u32_e32 vcc, 21, v0
	ds_read2_b64 v[92:95], v4 offset0:67 offset1:68
	s_waitcnt vmcnt(12) lgkmcnt(1)
	v_mul_f32_e32 v84, v80, v98
	v_fmac_f32_e32 v84, v81, v5
	s_waitcnt vmcnt(10)
	v_mul_f32_e32 v85, v82, v102
	v_add_f32_e32 v84, 0, v84
	v_fmac_f32_e32 v85, v83, v100
	v_add_f32_e32 v88, v84, v85
	ds_read2_b64 v[84:87], v4 offset0:63 offset1:64
	v_mul_f32_e32 v81, v81, v98
	v_fma_f32 v5, v80, v5, -v81
	v_mul_f32_e32 v80, v83, v102
	v_add_f32_e32 v5, 0, v5
	s_waitcnt vmcnt(8) lgkmcnt(0)
	v_mul_f32_e32 v89, v84, v119
	v_fmac_f32_e32 v89, v85, v118
	v_add_f32_e32 v88, v88, v89
	s_waitcnt vmcnt(6)
	v_mul_f32_e32 v89, v86, v121
	v_fmac_f32_e32 v89, v87, v120
	v_add_f32_e32 v99, v88, v89
	ds_read2_b64 v[88:91], v4 offset0:65 offset1:66
	buffer_load_dword v105, off, s[0:3], 0 offset:244
	buffer_load_dword v104, off, s[0:3], 0 offset:240
	;; [unrolled: 1-line block ×14, first 2 shown]
	v_fma_f32 v80, v82, v100, -v80
	v_add_f32_e32 v5, v5, v80
	v_mul_f32_e32 v80, v85, v119
	v_fma_f32 v80, v84, v118, -v80
	v_add_f32_e32 v5, v5, v80
	v_mul_f32_e32 v80, v87, v121
	v_fma_f32 v80, v86, v120, -v80
	s_waitcnt vmcnt(18) lgkmcnt(0)
	v_mul_f32_e32 v101, v88, v123
	v_add_f32_e32 v98, v5, v80
	v_mul_f32_e32 v5, v89, v123
	v_fmac_f32_e32 v101, v89, v122
	s_waitcnt vmcnt(16)
	v_mul_f32_e32 v103, v90, v125
	v_fma_f32 v100, v88, v122, -v5
	v_mul_f32_e32 v5, v91, v125
	v_fmac_f32_e32 v103, v91, v124
	v_fma_f32 v102, v90, v124, -v5
	ds_read2_b64 v[80:83], v4 offset0:69 offset1:70
	ds_read2_b64 v[84:87], v4 offset0:71 offset1:72
	;; [unrolled: 1-line block ×3, first 2 shown]
	v_pk_add_f32 v[4:5], v[98:99], v[100:101]
	s_waitcnt vmcnt(14)
	v_mov_b32_e32 v98, v97
	v_pk_mul_f32 v[98:99], v[92:93], v[98:99] op_sel_hi:[1,0]
	v_pk_fma_f32 v[100:101], v[92:93], v[96:97], v[98:99] op_sel:[0,0,1] op_sel_hi:[1,1,0] neg_lo:[0,0,1] neg_hi:[0,0,1]
	v_pk_fma_f32 v[92:93], v[92:93], v[96:97], v[98:99] op_sel:[0,0,1] op_sel_hi:[1,0,0]
	v_mov_b32_e32 v101, v93
	v_pk_add_f32 v[4:5], v[4:5], v[102:103]
	v_pk_add_f32 v[4:5], v[4:5], v[100:101]
	s_waitcnt vmcnt(13)
	v_mov_b32_e32 v92, v105
	v_pk_mul_f32 v[92:93], v[94:95], v[92:93] op_sel_hi:[1,0]
	s_waitcnt vmcnt(12)
	v_pk_fma_f32 v[96:97], v[94:95], v[104:105], v[92:93] op_sel:[0,0,1] op_sel_hi:[1,1,0] neg_lo:[0,0,1] neg_hi:[0,0,1]
	v_pk_fma_f32 v[92:93], v[94:95], v[104:105], v[92:93] op_sel:[0,0,1] op_sel_hi:[1,0,0]
	s_waitcnt vmcnt(11)
	v_mov_b32_e32 v92, v107
	v_mov_b32_e32 v97, v93
	s_waitcnt lgkmcnt(2)
	v_pk_mul_f32 v[92:93], v[80:81], v[92:93] op_sel_hi:[1,0]
	s_waitcnt vmcnt(10)
	v_pk_fma_f32 v[94:95], v[80:81], v[106:107], v[92:93] op_sel:[0,0,1] op_sel_hi:[1,1,0] neg_lo:[0,0,1] neg_hi:[0,0,1]
	v_pk_fma_f32 v[80:81], v[80:81], v[106:107], v[92:93] op_sel:[0,0,1] op_sel_hi:[1,0,0]
	s_waitcnt vmcnt(9)
	v_mov_b32_e32 v80, v109
	v_mov_b32_e32 v95, v81
	v_pk_mul_f32 v[80:81], v[82:83], v[80:81] op_sel_hi:[1,0]
	s_waitcnt vmcnt(8)
	v_pk_fma_f32 v[92:93], v[82:83], v[108:109], v[80:81] op_sel:[0,0,1] op_sel_hi:[1,1,0] neg_lo:[0,0,1] neg_hi:[0,0,1]
	v_pk_fma_f32 v[80:81], v[82:83], v[108:109], v[80:81] op_sel:[0,0,1] op_sel_hi:[1,0,0]
	s_waitcnt vmcnt(7)
	v_mov_b32_e32 v80, v111
	v_mov_b32_e32 v93, v81
	s_waitcnt lgkmcnt(1)
	v_pk_mul_f32 v[80:81], v[84:85], v[80:81] op_sel_hi:[1,0]
	v_pk_add_f32 v[4:5], v[4:5], v[96:97]
	s_waitcnt vmcnt(6)
	v_pk_fma_f32 v[82:83], v[84:85], v[110:111], v[80:81] op_sel:[0,0,1] op_sel_hi:[1,1,0] neg_lo:[0,0,1] neg_hi:[0,0,1]
	v_pk_fma_f32 v[80:81], v[84:85], v[110:111], v[80:81] op_sel:[0,0,1] op_sel_hi:[1,0,0]
	v_pk_add_f32 v[4:5], v[4:5], v[94:95]
	s_waitcnt vmcnt(5)
	v_mov_b32_e32 v80, v113
	v_pk_add_f32 v[4:5], v[4:5], v[92:93]
	v_mov_b32_e32 v83, v81
	v_pk_mul_f32 v[80:81], v[86:87], v[80:81] op_sel_hi:[1,0]
	v_pk_add_f32 v[4:5], v[4:5], v[82:83]
	s_waitcnt vmcnt(4)
	v_pk_fma_f32 v[82:83], v[86:87], v[112:113], v[80:81] op_sel:[0,0,1] op_sel_hi:[1,1,0] neg_lo:[0,0,1] neg_hi:[0,0,1]
	v_pk_fma_f32 v[80:81], v[86:87], v[112:113], v[80:81] op_sel:[0,0,1] op_sel_hi:[1,0,0]
	s_waitcnt vmcnt(3)
	v_mov_b32_e32 v80, v115
	v_mov_b32_e32 v83, v81
	s_waitcnt lgkmcnt(0)
	v_pk_mul_f32 v[80:81], v[88:89], v[80:81] op_sel_hi:[1,0]
	v_pk_add_f32 v[4:5], v[4:5], v[82:83]
	s_waitcnt vmcnt(2)
	v_pk_fma_f32 v[82:83], v[88:89], v[114:115], v[80:81] op_sel:[0,0,1] op_sel_hi:[1,1,0] neg_lo:[0,0,1] neg_hi:[0,0,1]
	v_pk_fma_f32 v[80:81], v[88:89], v[114:115], v[80:81] op_sel:[0,0,1] op_sel_hi:[1,0,0]
	s_waitcnt vmcnt(1)
	v_mov_b32_e32 v80, v117
	v_mov_b32_e32 v83, v81
	v_pk_mul_f32 v[80:81], v[90:91], v[80:81] op_sel_hi:[1,0]
	v_pk_add_f32 v[4:5], v[4:5], v[82:83]
	s_waitcnt vmcnt(0)
	v_pk_fma_f32 v[82:83], v[90:91], v[116:117], v[80:81] op_sel:[0,0,1] op_sel_hi:[1,1,0] neg_lo:[0,0,1] neg_hi:[0,0,1]
	v_pk_fma_f32 v[80:81], v[90:91], v[116:117], v[80:81] op_sel:[0,0,1] op_sel_hi:[1,0,0]
	v_mov_b32_e32 v83, v81
	v_pk_add_f32 v[4:5], v[4:5], v[82:83]
	v_pk_add_f32 v[2:3], v[2:3], v[4:5] neg_lo:[0,1] neg_hi:[0,1]
	buffer_store_dword v3, off, s[0:3], 0 offset:180
	buffer_store_dword v2, off, s[0:3], 0 offset:176
	s_and_saveexec_b64 s[4:5], vcc
	s_cbranch_execz .LBB100_193
; %bb.192:
	buffer_load_dword v2, off, s[0:3], 0 offset:168
	buffer_load_dword v3, off, s[0:3], 0 offset:172
	v_mov_b32_e32 v4, 0
	buffer_store_dword v4, off, s[0:3], 0 offset:168
	buffer_store_dword v4, off, s[0:3], 0 offset:172
	s_waitcnt vmcnt(2)
	ds_write_b64 v1, v[2:3]
.LBB100_193:
	s_or_b64 exec, exec, s[4:5]
	s_waitcnt lgkmcnt(0)
	; wave barrier
	s_waitcnt lgkmcnt(0)
	buffer_load_dword v3, off, s[0:3], 0 offset:180
	buffer_load_dword v126, off, s[0:3], 0 offset:188
	;; [unrolled: 1-line block ×32, first 2 shown]
	v_mov_b32_e32 v2, 0
	ds_read_b128 v[80:83], v2 offset:480
	ds_read_b128 v[84:87], v2 offset:496
	ds_read_b128 v[88:91], v2 offset:512
	ds_read_b128 v[92:95], v2 offset:528
	ds_read_b128 v[96:99], v2 offset:544
	ds_read_b128 v[100:103], v2 offset:560
	ds_read_b128 v[104:107], v2 offset:576
	ds_read_b64 v[124:125], v2 offset:592
	v_cmp_lt_u32_e32 vcc, 20, v0
	s_waitcnt vmcnt(31) lgkmcnt(7)
	v_mul_f32_e32 v141, v80, v3
	v_mul_f32_e32 v3, v81, v3
	s_waitcnt vmcnt(30)
	v_mul_f32_e32 v142, v82, v126
	s_waitcnt vmcnt(28) lgkmcnt(6)
	v_mul_f32_e32 v144, v86, v130
	s_waitcnt vmcnt(27) lgkmcnt(5)
	v_mul_f32_e32 v145, v88, v131
	v_mul_f32_e32 v146, v87, v130
	;; [unrolled: 1-line block ×3, first 2 shown]
	s_waitcnt vmcnt(24)
	v_mov_b32_e32 v130, v5
	v_mul_f32_e32 v143, v84, v128
	v_mul_f32_e32 v126, v83, v126
	s_waitcnt vmcnt(22)
	v_fmac_f32_e32 v141, v81, v134
	v_fma_f32 v3, v80, v134, -v3
	s_waitcnt lgkmcnt(4)
	v_pk_mul_f32 v[80:81], v[94:95], v[130:131] op_sel_hi:[1,0]
	v_mul_f32_e32 v128, v85, v128
	s_waitcnt vmcnt(21)
	v_fmac_f32_e32 v142, v83, v135
	s_waitcnt vmcnt(20)
	v_fmac_f32_e32 v143, v85, v136
	;; [unrolled: 2-line block ×3, first 2 shown]
	v_fma_f32 v85, v82, v135, -v126
	s_waitcnt vmcnt(18)
	v_fma_f32 v87, v88, v138, -v131
	v_add_f32_e32 v88, 0, v141
	v_add_f32_e32 v3, 0, v3
	s_waitcnt vmcnt(12)
	v_pk_fma_f32 v[82:83], v[94:95], v[4:5], v[80:81] op_sel:[0,0,1] op_sel_hi:[1,1,0] neg_lo:[0,0,1] neg_hi:[0,0,1]
	v_pk_fma_f32 v[4:5], v[94:95], v[4:5], v[80:81] op_sel:[0,0,1] op_sel_hi:[1,0,0]
	v_fma_f32 v84, v84, v136, -v128
	v_add_f32_e32 v4, v88, v142
	v_add_f32_e32 v3, v3, v85
	v_fma_f32 v86, v86, v137, -v146
	v_add_f32_e32 v4, v4, v143
	v_add_f32_e32 v3, v3, v84
	v_mul_f32_e32 v127, v90, v132
	v_mul_f32_e32 v147, v91, v132
	v_fmac_f32_e32 v145, v89, v138
	v_add_f32_e32 v4, v4, v144
	v_add_f32_e32 v3, v3, v86
	v_mul_f32_e32 v129, v92, v133
	v_mul_f32_e32 v133, v93, v133
	v_fmac_f32_e32 v127, v91, v139
	v_fma_f32 v126, v90, v139, -v147
	v_mov_b32_e32 v83, v5
	v_add_f32_e32 v5, v4, v145
	v_add_f32_e32 v4, v3, v87
	v_mov_b32_e32 v132, v109
	v_fmac_f32_e32 v129, v93, v140
	v_fma_f32 v128, v92, v140, -v133
	v_pk_add_f32 v[4:5], v[4:5], v[126:127]
	v_pk_add_f32 v[4:5], v[4:5], v[128:129]
	s_waitcnt lgkmcnt(3)
	v_pk_mul_f32 v[80:81], v[96:97], v[132:133] op_sel_hi:[1,0]
	v_pk_add_f32 v[4:5], v[4:5], v[82:83]
	v_pk_fma_f32 v[82:83], v[96:97], v[108:109], v[80:81] op_sel:[0,0,1] op_sel_hi:[1,1,0] neg_lo:[0,0,1] neg_hi:[0,0,1]
	v_pk_fma_f32 v[80:81], v[96:97], v[108:109], v[80:81] op_sel:[0,0,1] op_sel_hi:[1,0,0]
	s_waitcnt vmcnt(11)
	v_mov_b32_e32 v80, v113
	v_mov_b32_e32 v83, v81
	v_pk_mul_f32 v[80:81], v[98:99], v[80:81] op_sel_hi:[1,0]
	v_pk_add_f32 v[4:5], v[4:5], v[82:83]
	v_pk_fma_f32 v[82:83], v[98:99], v[112:113], v[80:81] op_sel:[0,0,1] op_sel_hi:[1,1,0] neg_lo:[0,0,1] neg_hi:[0,0,1]
	v_pk_fma_f32 v[80:81], v[98:99], v[112:113], v[80:81] op_sel:[0,0,1] op_sel_hi:[1,0,0]
	s_waitcnt vmcnt(10)
	v_mov_b32_e32 v80, v111
	v_mov_b32_e32 v83, v81
	s_waitcnt lgkmcnt(2)
	v_pk_mul_f32 v[80:81], v[100:101], v[80:81] op_sel_hi:[1,0]
	v_pk_add_f32 v[4:5], v[4:5], v[82:83]
	v_pk_fma_f32 v[82:83], v[100:101], v[110:111], v[80:81] op_sel:[0,0,1] op_sel_hi:[1,1,0] neg_lo:[0,0,1] neg_hi:[0,0,1]
	v_pk_fma_f32 v[80:81], v[100:101], v[110:111], v[80:81] op_sel:[0,0,1] op_sel_hi:[1,0,0]
	s_waitcnt vmcnt(9)
	v_mov_b32_e32 v80, v115
	v_mov_b32_e32 v83, v81
	v_pk_mul_f32 v[80:81], v[102:103], v[80:81] op_sel_hi:[1,0]
	v_pk_add_f32 v[4:5], v[4:5], v[82:83]
	s_waitcnt vmcnt(4)
	v_pk_fma_f32 v[82:83], v[102:103], v[114:115], v[80:81] op_sel:[0,0,1] op_sel_hi:[1,1,0] neg_lo:[0,0,1] neg_hi:[0,0,1]
	v_pk_fma_f32 v[80:81], v[102:103], v[114:115], v[80:81] op_sel:[0,0,1] op_sel_hi:[1,0,0]
	v_mov_b32_e32 v80, v121
	v_mov_b32_e32 v83, v81
	s_waitcnt lgkmcnt(1)
	v_pk_mul_f32 v[80:81], v[104:105], v[80:81] op_sel_hi:[1,0]
	v_pk_add_f32 v[4:5], v[4:5], v[82:83]
	v_pk_fma_f32 v[82:83], v[104:105], v[120:121], v[80:81] op_sel:[0,0,1] op_sel_hi:[1,1,0] neg_lo:[0,0,1] neg_hi:[0,0,1]
	v_pk_fma_f32 v[80:81], v[104:105], v[120:121], v[80:81] op_sel:[0,0,1] op_sel_hi:[1,0,0]
	s_waitcnt vmcnt(3)
	v_mov_b32_e32 v80, v119
	v_mov_b32_e32 v83, v81
	v_pk_mul_f32 v[80:81], v[106:107], v[80:81] op_sel_hi:[1,0]
	v_pk_add_f32 v[4:5], v[4:5], v[82:83]
	v_pk_fma_f32 v[82:83], v[106:107], v[118:119], v[80:81] op_sel:[0,0,1] op_sel_hi:[1,1,0] neg_lo:[0,0,1] neg_hi:[0,0,1]
	v_pk_fma_f32 v[80:81], v[106:107], v[118:119], v[80:81] op_sel:[0,0,1] op_sel_hi:[1,0,0]
	s_waitcnt vmcnt(0)
	v_mov_b32_e32 v80, v117
	v_mov_b32_e32 v83, v81
	s_waitcnt lgkmcnt(0)
	v_pk_mul_f32 v[80:81], v[124:125], v[80:81] op_sel_hi:[1,0]
	v_pk_add_f32 v[4:5], v[4:5], v[82:83]
	v_pk_fma_f32 v[82:83], v[124:125], v[116:117], v[80:81] op_sel:[0,0,1] op_sel_hi:[1,1,0] neg_lo:[0,0,1] neg_hi:[0,0,1]
	v_pk_fma_f32 v[80:81], v[124:125], v[116:117], v[80:81] op_sel:[0,0,1] op_sel_hi:[1,0,0]
	v_mov_b32_e32 v83, v81
	v_pk_add_f32 v[4:5], v[4:5], v[82:83]
	v_pk_add_f32 v[4:5], v[122:123], v[4:5] neg_lo:[0,1] neg_hi:[0,1]
	buffer_store_dword v5, off, s[0:3], 0 offset:172
	buffer_store_dword v4, off, s[0:3], 0 offset:168
	s_and_saveexec_b64 s[4:5], vcc
	s_cbranch_execz .LBB100_195
; %bb.194:
	buffer_load_dword v4, off, s[0:3], 0 offset:160
	buffer_load_dword v5, off, s[0:3], 0 offset:164
	s_waitcnt vmcnt(0)
	ds_write_b64 v1, v[4:5]
	buffer_store_dword v2, off, s[0:3], 0 offset:160
	buffer_store_dword v2, off, s[0:3], 0 offset:164
.LBB100_195:
	s_or_b64 exec, exec, s[4:5]
	s_waitcnt lgkmcnt(0)
	; wave barrier
	s_waitcnt lgkmcnt(0)
	buffer_load_dword v126, off, s[0:3], 0 offset:172
	buffer_load_dword v128, off, s[0:3], 0 offset:180
	;; [unrolled: 1-line block ×32, first 2 shown]
	ds_read2_b64 v[80:83], v2 offset0:59 offset1:60
	ds_read2_b64 v[84:87], v2 offset0:61 offset1:62
	;; [unrolled: 1-line block ×4, first 2 shown]
	buffer_load_dword v125, off, s[0:3], 0 offset:292
	buffer_load_dword v124, off, s[0:3], 0 offset:288
	ds_read2_b64 v[96:99], v2 offset0:67 offset1:68
	ds_read2_b64 v[100:103], v2 offset0:69 offset1:70
	ds_read2_b64 v[104:107], v2 offset0:71 offset1:72
	ds_read2_b64 v[2:5], v2 offset0:73 offset1:74
	v_cmp_lt_u32_e32 vcc, 19, v0
	s_waitcnt vmcnt(33) lgkmcnt(7)
	v_mul_f32_e32 v144, v80, v126
	v_mul_f32_e32 v126, v81, v126
	s_waitcnt vmcnt(32)
	v_mul_f32_e32 v145, v82, v128
	s_waitcnt vmcnt(30) lgkmcnt(6)
	v_mul_f32_e32 v147, v86, v131
	v_mul_f32_e32 v128, v83, v128
	;; [unrolled: 1-line block ×5, first 2 shown]
	s_waitcnt vmcnt(25)
	v_fmac_f32_e32 v144, v81, v136
	v_fma_f32 v80, v80, v136, -v126
	s_waitcnt vmcnt(24)
	v_fmac_f32_e32 v145, v83, v137
	v_fma_f32 v81, v82, v137, -v128
	s_waitcnt vmcnt(22)
	v_fma_f32 v83, v86, v139, -v131
	v_add_f32_e32 v86, 0, v144
	v_add_f32_e32 v80, 0, v80
	v_fmac_f32_e32 v146, v85, v138
	v_fma_f32 v82, v84, v138, -v130
	v_add_f32_e32 v86, v86, v145
	v_add_f32_e32 v80, v80, v81
	s_waitcnt lgkmcnt(5)
	v_mul_f32_e32 v148, v88, v132
	v_mul_f32_e32 v132, v89, v132
	v_fmac_f32_e32 v147, v87, v139
	v_add_f32_e32 v81, v86, v146
	v_add_f32_e32 v80, v80, v82
	v_mul_f32_e32 v149, v90, v133
	v_mul_f32_e32 v133, v91, v133
	s_waitcnt vmcnt(21)
	v_fmac_f32_e32 v148, v89, v140
	v_fma_f32 v84, v88, v140, -v132
	v_add_f32_e32 v81, v81, v147
	v_add_f32_e32 v80, v80, v83
	s_waitcnt vmcnt(17)
	v_mov_b32_e32 v82, v109
	s_waitcnt lgkmcnt(4)
	v_mul_f32_e32 v127, v92, v134
	v_mul_f32_e32 v134, v93, v134
	v_fmac_f32_e32 v149, v91, v141
	v_fma_f32 v85, v90, v141, -v133
	v_add_f32_e32 v81, v81, v148
	v_add_f32_e32 v80, v80, v84
	s_waitcnt lgkmcnt(3)
	v_pk_mul_f32 v[82:83], v[96:97], v[82:83] op_sel_hi:[1,0]
	v_mul_f32_e32 v129, v94, v135
	v_mul_f32_e32 v135, v95, v135
	v_fmac_f32_e32 v127, v93, v142
	v_fma_f32 v126, v92, v142, -v134
	v_add_f32_e32 v81, v81, v149
	v_add_f32_e32 v80, v80, v85
	s_waitcnt vmcnt(14)
	v_pk_fma_f32 v[84:85], v[96:97], v[108:109], v[82:83] op_sel:[0,0,1] op_sel_hi:[1,1,0] neg_lo:[0,0,1] neg_hi:[0,0,1]
	v_pk_fma_f32 v[82:83], v[96:97], v[108:109], v[82:83] op_sel:[0,0,1] op_sel_hi:[1,0,0]
	v_fmac_f32_e32 v129, v95, v143
	v_fma_f32 v128, v94, v143, -v135
	v_pk_add_f32 v[80:81], v[80:81], v[126:127]
	s_waitcnt vmcnt(13)
	v_mov_b32_e32 v82, v113
	v_pk_add_f32 v[80:81], v[80:81], v[128:129]
	v_mov_b32_e32 v85, v83
	v_pk_mul_f32 v[82:83], v[98:99], v[82:83] op_sel_hi:[1,0]
	v_pk_add_f32 v[80:81], v[80:81], v[84:85]
	v_pk_fma_f32 v[84:85], v[98:99], v[112:113], v[82:83] op_sel:[0,0,1] op_sel_hi:[1,1,0] neg_lo:[0,0,1] neg_hi:[0,0,1]
	v_pk_fma_f32 v[82:83], v[98:99], v[112:113], v[82:83] op_sel:[0,0,1] op_sel_hi:[1,0,0]
	s_waitcnt vmcnt(12)
	v_mov_b32_e32 v82, v111
	v_mov_b32_e32 v85, v83
	s_waitcnt lgkmcnt(2)
	v_pk_mul_f32 v[82:83], v[100:101], v[82:83] op_sel_hi:[1,0]
	v_pk_add_f32 v[80:81], v[80:81], v[84:85]
	v_pk_fma_f32 v[84:85], v[100:101], v[110:111], v[82:83] op_sel:[0,0,1] op_sel_hi:[1,1,0] neg_lo:[0,0,1] neg_hi:[0,0,1]
	v_pk_fma_f32 v[82:83], v[100:101], v[110:111], v[82:83] op_sel:[0,0,1] op_sel_hi:[1,0,0]
	s_waitcnt vmcnt(11)
	v_mov_b32_e32 v82, v115
	v_mov_b32_e32 v85, v83
	v_pk_mul_f32 v[82:83], v[102:103], v[82:83] op_sel_hi:[1,0]
	v_pk_add_f32 v[80:81], v[80:81], v[84:85]
	s_waitcnt vmcnt(5)
	v_pk_fma_f32 v[84:85], v[102:103], v[114:115], v[82:83] op_sel:[0,0,1] op_sel_hi:[1,1,0] neg_lo:[0,0,1] neg_hi:[0,0,1]
	v_pk_fma_f32 v[82:83], v[102:103], v[114:115], v[82:83] op_sel:[0,0,1] op_sel_hi:[1,0,0]
	v_mov_b32_e32 v82, v121
	v_mov_b32_e32 v85, v83
	s_waitcnt lgkmcnt(1)
	v_pk_mul_f32 v[82:83], v[104:105], v[82:83] op_sel_hi:[1,0]
	v_pk_add_f32 v[80:81], v[80:81], v[84:85]
	v_pk_fma_f32 v[84:85], v[104:105], v[120:121], v[82:83] op_sel:[0,0,1] op_sel_hi:[1,1,0] neg_lo:[0,0,1] neg_hi:[0,0,1]
	v_pk_fma_f32 v[82:83], v[104:105], v[120:121], v[82:83] op_sel:[0,0,1] op_sel_hi:[1,0,0]
	v_mov_b32_e32 v82, v119
	v_mov_b32_e32 v85, v83
	v_pk_mul_f32 v[82:83], v[106:107], v[82:83] op_sel_hi:[1,0]
	v_pk_add_f32 v[80:81], v[80:81], v[84:85]
	v_pk_fma_f32 v[84:85], v[106:107], v[118:119], v[82:83] op_sel:[0,0,1] op_sel_hi:[1,1,0] neg_lo:[0,0,1] neg_hi:[0,0,1]
	v_pk_fma_f32 v[82:83], v[106:107], v[118:119], v[82:83] op_sel:[0,0,1] op_sel_hi:[1,0,0]
	s_waitcnt vmcnt(2)
	v_mov_b32_e32 v82, v117
	v_mov_b32_e32 v85, v83
	s_waitcnt lgkmcnt(0)
	v_pk_mul_f32 v[82:83], v[2:3], v[82:83] op_sel_hi:[1,0]
	v_pk_add_f32 v[80:81], v[80:81], v[84:85]
	v_pk_fma_f32 v[84:85], v[2:3], v[116:117], v[82:83] op_sel:[0,0,1] op_sel_hi:[1,1,0] neg_lo:[0,0,1] neg_hi:[0,0,1]
	v_pk_fma_f32 v[2:3], v[2:3], v[116:117], v[82:83] op_sel:[0,0,1] op_sel_hi:[1,0,0]
	v_mov_b32_e32 v85, v3
	v_pk_add_f32 v[2:3], v[80:81], v[84:85]
	s_waitcnt vmcnt(1)
	v_mov_b32_e32 v80, v125
	v_pk_mul_f32 v[80:81], v[4:5], v[80:81] op_sel_hi:[1,0]
	s_waitcnt vmcnt(0)
	v_pk_fma_f32 v[82:83], v[4:5], v[124:125], v[80:81] op_sel:[0,0,1] op_sel_hi:[1,1,0] neg_lo:[0,0,1] neg_hi:[0,0,1]
	v_pk_fma_f32 v[4:5], v[4:5], v[124:125], v[80:81] op_sel:[0,0,1] op_sel_hi:[1,0,0]
	v_mov_b32_e32 v83, v5
	v_pk_add_f32 v[2:3], v[2:3], v[82:83]
	v_pk_add_f32 v[2:3], v[122:123], v[2:3] neg_lo:[0,1] neg_hi:[0,1]
	buffer_store_dword v3, off, s[0:3], 0 offset:164
	buffer_store_dword v2, off, s[0:3], 0 offset:160
	s_and_saveexec_b64 s[4:5], vcc
	s_cbranch_execz .LBB100_197
; %bb.196:
	buffer_load_dword v2, off, s[0:3], 0 offset:152
	buffer_load_dword v3, off, s[0:3], 0 offset:156
	v_mov_b32_e32 v4, 0
	buffer_store_dword v4, off, s[0:3], 0 offset:152
	buffer_store_dword v4, off, s[0:3], 0 offset:156
	s_waitcnt vmcnt(2)
	ds_write_b64 v1, v[2:3]
.LBB100_197:
	s_or_b64 exec, exec, s[4:5]
	s_waitcnt lgkmcnt(0)
	; wave barrier
	s_waitcnt lgkmcnt(0)
	buffer_load_dword v3, off, s[0:3], 0 offset:164
	buffer_load_dword v120, off, s[0:3], 0 offset:172
	;; [unrolled: 1-line block ×36, first 2 shown]
	v_mov_b32_e32 v2, 0
	ds_read_b128 v[80:83], v2 offset:464
	ds_read_b128 v[84:87], v2 offset:480
	;; [unrolled: 1-line block ×6, first 2 shown]
	v_cmp_lt_u32_e32 vcc, 18, v0
	s_waitcnt vmcnt(35) lgkmcnt(5)
	v_mul_f32_e32 v139, v80, v3
	s_waitcnt vmcnt(34)
	v_mul_f32_e32 v140, v82, v120
	s_waitcnt vmcnt(33) lgkmcnt(4)
	v_mul_f32_e32 v141, v84, v122
	v_mul_f32_e32 v3, v81, v3
	;; [unrolled: 1-line block ×4, first 2 shown]
	s_waitcnt vmcnt(32)
	v_mul_f32_e32 v142, v86, v124
	s_waitcnt vmcnt(31) lgkmcnt(3)
	v_mul_f32_e32 v143, v88, v125
	v_mul_f32_e32 v124, v87, v124
	s_waitcnt vmcnt(26)
	v_fmac_f32_e32 v139, v81, v130
	s_waitcnt vmcnt(25)
	v_fmac_f32_e32 v140, v83, v131
	;; [unrolled: 2-line block ×3, first 2 shown]
	v_fma_f32 v3, v80, v130, -v3
	v_add_f32_e32 v85, 0, v139
	v_fma_f32 v80, v82, v131, -v120
	v_add_f32_e32 v3, 0, v3
	v_add_f32_e32 v85, v85, v140
	s_waitcnt vmcnt(23)
	v_fmac_f32_e32 v142, v87, v133
	v_fma_f32 v81, v84, v132, -v122
	v_add_f32_e32 v3, v3, v80
	v_add_f32_e32 v80, v85, v141
	v_mul_f32_e32 v144, v90, v126
	v_mul_f32_e32 v125, v89, v125
	s_waitcnt vmcnt(22)
	v_fmac_f32_e32 v143, v89, v134
	v_fma_f32 v82, v86, v133, -v124
	v_add_f32_e32 v3, v3, v81
	v_add_f32_e32 v80, v80, v142
	s_waitcnt lgkmcnt(2)
	v_mul_f32_e32 v145, v92, v127
	v_mul_f32_e32 v126, v91, v126
	s_waitcnt vmcnt(21)
	v_fmac_f32_e32 v144, v91, v135
	v_fma_f32 v83, v88, v134, -v125
	v_add_f32_e32 v3, v3, v82
	v_add_f32_e32 v80, v80, v143
	v_mul_f32_e32 v127, v93, v127
	s_waitcnt vmcnt(20)
	v_fmac_f32_e32 v145, v93, v136
	v_fma_f32 v84, v90, v135, -v126
	v_add_f32_e32 v3, v3, v83
	v_add_f32_e32 v80, v80, v144
	;; [unrolled: 1-line block ×4, first 2 shown]
	v_fma_f32 v80, v92, v136, -v127
	v_mul_f32_e32 v121, v94, v128
	v_add_f32_e32 v88, v3, v80
	v_mul_f32_e32 v3, v95, v128
	s_waitcnt vmcnt(17)
	v_mov_b32_e32 v92, v5
	s_waitcnt lgkmcnt(1)
	v_mul_f32_e32 v123, v96, v129
	v_fmac_f32_e32 v121, v95, v137
	v_fma_f32 v120, v94, v137, -v3
	v_mul_f32_e32 v3, v97, v129
	v_pk_mul_f32 v[92:93], v[98:99], v[92:93] op_sel_hi:[1,0]
	v_fmac_f32_e32 v123, v97, v138
	v_fma_f32 v122, v96, v138, -v3
	v_pk_add_f32 v[88:89], v[88:89], v[120:121]
	s_waitcnt vmcnt(15)
	v_pk_fma_f32 v[94:95], v[98:99], v[4:5], v[92:93] op_sel:[0,0,1] op_sel_hi:[1,1,0] neg_lo:[0,0,1] neg_hi:[0,0,1]
	v_pk_fma_f32 v[4:5], v[98:99], v[4:5], v[92:93] op_sel:[0,0,1] op_sel_hi:[1,0,0]
	v_pk_add_f32 v[88:89], v[88:89], v[122:123]
	v_mov_b32_e32 v95, v5
	v_pk_add_f32 v[4:5], v[88:89], v[94:95]
	s_waitcnt vmcnt(12)
	v_mov_b32_e32 v88, v105
	s_waitcnt lgkmcnt(0)
	v_pk_mul_f32 v[88:89], v[100:101], v[88:89] op_sel_hi:[1,0]
	v_pk_fma_f32 v[92:93], v[100:101], v[104:105], v[88:89] op_sel:[0,0,1] op_sel_hi:[1,1,0] neg_lo:[0,0,1] neg_hi:[0,0,1]
	v_pk_fma_f32 v[88:89], v[100:101], v[104:105], v[88:89] op_sel:[0,0,1] op_sel_hi:[1,0,0]
	s_waitcnt vmcnt(11)
	v_mov_b32_e32 v88, v109
	ds_read_b128 v[80:83], v2 offset:560
	ds_read_b128 v[84:87], v2 offset:576
	ds_read_b64 v[90:91], v2 offset:592
	v_mov_b32_e32 v93, v89
	v_pk_mul_f32 v[88:89], v[102:103], v[88:89] op_sel_hi:[1,0]
	v_pk_add_f32 v[4:5], v[4:5], v[92:93]
	s_waitcnt vmcnt(4)
	v_pk_fma_f32 v[92:93], v[102:103], v[108:109], v[88:89] op_sel:[0,0,1] op_sel_hi:[1,1,0] neg_lo:[0,0,1] neg_hi:[0,0,1]
	v_pk_fma_f32 v[88:89], v[102:103], v[108:109], v[88:89] op_sel:[0,0,1] op_sel_hi:[1,0,0]
	v_mov_b32_e32 v88, v115
	v_mov_b32_e32 v93, v89
	s_waitcnt lgkmcnt(2)
	v_pk_mul_f32 v[88:89], v[80:81], v[88:89] op_sel_hi:[1,0]
	v_pk_add_f32 v[4:5], v[4:5], v[92:93]
	v_pk_fma_f32 v[92:93], v[80:81], v[114:115], v[88:89] op_sel:[0,0,1] op_sel_hi:[1,1,0] neg_lo:[0,0,1] neg_hi:[0,0,1]
	v_pk_fma_f32 v[80:81], v[80:81], v[114:115], v[88:89] op_sel:[0,0,1] op_sel_hi:[1,0,0]
	v_mov_b32_e32 v80, v113
	v_mov_b32_e32 v93, v81
	v_pk_mul_f32 v[80:81], v[82:83], v[80:81] op_sel_hi:[1,0]
	v_pk_fma_f32 v[88:89], v[82:83], v[112:113], v[80:81] op_sel:[0,0,1] op_sel_hi:[1,1,0] neg_lo:[0,0,1] neg_hi:[0,0,1]
	v_pk_fma_f32 v[80:81], v[82:83], v[112:113], v[80:81] op_sel:[0,0,1] op_sel_hi:[1,0,0]
	v_mov_b32_e32 v80, v111
	v_mov_b32_e32 v89, v81
	s_waitcnt lgkmcnt(1)
	v_pk_mul_f32 v[80:81], v[84:85], v[80:81] op_sel_hi:[1,0]
	v_pk_fma_f32 v[82:83], v[84:85], v[110:111], v[80:81] op_sel:[0,0,1] op_sel_hi:[1,1,0] neg_lo:[0,0,1] neg_hi:[0,0,1]
	v_pk_fma_f32 v[80:81], v[84:85], v[110:111], v[80:81] op_sel:[0,0,1] op_sel_hi:[1,0,0]
	v_pk_add_f32 v[4:5], v[4:5], v[92:93]
	s_waitcnt vmcnt(1)
	v_mov_b32_e32 v80, v119
	v_pk_add_f32 v[4:5], v[4:5], v[88:89]
	v_mov_b32_e32 v83, v81
	v_pk_mul_f32 v[80:81], v[86:87], v[80:81] op_sel_hi:[1,0]
	v_pk_add_f32 v[4:5], v[4:5], v[82:83]
	s_waitcnt vmcnt(0)
	v_pk_fma_f32 v[82:83], v[86:87], v[118:119], v[80:81] op_sel:[0,0,1] op_sel_hi:[1,1,0] neg_lo:[0,0,1] neg_hi:[0,0,1]
	v_pk_fma_f32 v[80:81], v[86:87], v[118:119], v[80:81] op_sel:[0,0,1] op_sel_hi:[1,0,0]
	v_mov_b32_e32 v80, v117
	v_mov_b32_e32 v83, v81
	s_waitcnt lgkmcnt(0)
	v_pk_mul_f32 v[80:81], v[90:91], v[80:81] op_sel_hi:[1,0]
	v_pk_add_f32 v[4:5], v[4:5], v[82:83]
	v_pk_fma_f32 v[82:83], v[90:91], v[116:117], v[80:81] op_sel:[0,0,1] op_sel_hi:[1,1,0] neg_lo:[0,0,1] neg_hi:[0,0,1]
	v_pk_fma_f32 v[80:81], v[90:91], v[116:117], v[80:81] op_sel:[0,0,1] op_sel_hi:[1,0,0]
	v_mov_b32_e32 v83, v81
	v_pk_add_f32 v[4:5], v[4:5], v[82:83]
	v_pk_add_f32 v[4:5], v[106:107], v[4:5] neg_lo:[0,1] neg_hi:[0,1]
	buffer_store_dword v5, off, s[0:3], 0 offset:156
	buffer_store_dword v4, off, s[0:3], 0 offset:152
	s_and_saveexec_b64 s[4:5], vcc
	s_cbranch_execz .LBB100_199
; %bb.198:
	buffer_load_dword v4, off, s[0:3], 0 offset:144
	buffer_load_dword v5, off, s[0:3], 0 offset:148
	s_waitcnt vmcnt(0)
	ds_write_b64 v1, v[4:5]
	buffer_store_dword v2, off, s[0:3], 0 offset:144
	buffer_store_dword v2, off, s[0:3], 0 offset:148
.LBB100_199:
	s_or_b64 exec, exec, s[4:5]
	s_waitcnt lgkmcnt(0)
	; wave barrier
	s_waitcnt lgkmcnt(0)
	buffer_load_dword v3, off, s[0:3], 0 offset:156
	buffer_load_dword v4, off, s[0:3], 0 offset:164
	;; [unrolled: 1-line block ×22, first 2 shown]
	ds_read2_b64 v[80:83], v2 offset0:57 offset1:58
	ds_read2_b64 v[84:87], v2 offset0:59 offset1:60
	buffer_load_dword v107, off, s[0:3], 0 offset:236
	buffer_load_dword v106, off, s[0:3], 0 offset:232
	;; [unrolled: 1-line block ×10, first 2 shown]
	ds_read2_b64 v[88:91], v2 offset0:61 offset1:62
	ds_read2_b64 v[92:95], v2 offset0:63 offset1:64
	;; [unrolled: 1-line block ×4, first 2 shown]
	buffer_load_dword v117, off, s[0:3], 0 offset:292
	buffer_load_dword v116, off, s[0:3], 0 offset:288
	;; [unrolled: 1-line block ×6, first 2 shown]
	v_cmp_lt_u32_e32 vcc, 17, v0
	s_waitcnt vmcnt(37) lgkmcnt(5)
	v_mul_f32_e32 v141, v80, v3
	s_waitcnt vmcnt(36)
	v_mul_f32_e32 v142, v82, v4
	v_mul_f32_e32 v3, v81, v3
	;; [unrolled: 1-line block ×3, first 2 shown]
	s_waitcnt vmcnt(35) lgkmcnt(4)
	v_mul_f32_e32 v143, v84, v5
	s_waitcnt vmcnt(34)
	v_mul_f32_e32 v144, v86, v122
	s_waitcnt vmcnt(33) lgkmcnt(3)
	v_mul_f32_e32 v145, v88, v124
	s_waitcnt vmcnt(32)
	v_mul_f32_e32 v146, v90, v126
	v_mul_f32_e32 v5, v85, v5
	s_waitcnt vmcnt(31) lgkmcnt(2)
	v_mul_f32_e32 v147, v92, v127
	s_waitcnt vmcnt(27)
	v_fmac_f32_e32 v141, v81, v131
	s_waitcnt vmcnt(26)
	v_fmac_f32_e32 v142, v83, v132
	v_fma_f32 v3, v80, v131, -v3
	v_fma_f32 v4, v82, v132, -v4
	v_add_f32_e32 v82, 0, v141
	s_waitcnt vmcnt(25)
	v_fmac_f32_e32 v143, v85, v133
	v_add_f32_e32 v3, 0, v3
	v_add_f32_e32 v82, v82, v142
	s_waitcnt vmcnt(24)
	v_fmac_f32_e32 v144, v87, v134
	v_add_f32_e32 v3, v3, v4
	;; [unrolled: 4-line block ×3, first 2 shown]
	v_mul_f32_e32 v122, v87, v122
	s_waitcnt vmcnt(22)
	v_fmac_f32_e32 v146, v91, v136
	v_fma_f32 v5, v84, v133, -v5
	v_add_f32_e32 v4, v4, v145
	v_mul_f32_e32 v148, v94, v128
	v_mul_f32_e32 v124, v89, v124
	s_waitcnt vmcnt(21)
	v_fmac_f32_e32 v147, v93, v137
	v_fma_f32 v80, v86, v134, -v122
	v_add_f32_e32 v3, v3, v5
	v_add_f32_e32 v4, v4, v146
	v_mul_f32_e32 v126, v91, v126
	s_waitcnt vmcnt(20)
	v_fmac_f32_e32 v148, v95, v138
	v_fma_f32 v81, v88, v135, -v124
	v_add_f32_e32 v3, v3, v80
	v_add_f32_e32 v4, v4, v147
	;; [unrolled: 1-line block ×4, first 2 shown]
	v_fma_f32 v4, v90, v136, -v126
	v_add_f32_e32 v3, v3, v4
	v_mul_f32_e32 v4, v93, v127
	v_fma_f32 v4, v92, v137, -v4
	v_add_f32_e32 v3, v3, v4
	v_mul_f32_e32 v4, v95, v128
	v_fma_f32 v4, v94, v138, -v4
	s_waitcnt vmcnt(15)
	v_mov_b32_e32 v90, v107
	s_waitcnt lgkmcnt(1)
	v_mul_f32_e32 v123, v96, v129
	v_add_f32_e32 v88, v3, v4
	v_mul_f32_e32 v3, v97, v129
	s_waitcnt lgkmcnt(0)
	v_pk_mul_f32 v[90:91], v[100:101], v[90:91] op_sel_hi:[1,0]
	v_mul_f32_e32 v125, v98, v130
	v_fmac_f32_e32 v123, v97, v139
	v_fma_f32 v122, v96, v139, -v3
	v_mul_f32_e32 v3, v99, v130
	s_waitcnt vmcnt(14)
	v_pk_fma_f32 v[92:93], v[100:101], v[106:107], v[90:91] op_sel:[0,0,1] op_sel_hi:[1,1,0] neg_lo:[0,0,1] neg_hi:[0,0,1]
	v_pk_fma_f32 v[90:91], v[100:101], v[106:107], v[90:91] op_sel:[0,0,1] op_sel_hi:[1,0,0]
	v_fmac_f32_e32 v125, v99, v140
	v_fma_f32 v124, v98, v140, -v3
	v_pk_add_f32 v[88:89], v[88:89], v[122:123]
	s_waitcnt vmcnt(13)
	v_mov_b32_e32 v90, v109
	ds_read2_b64 v[80:83], v2 offset0:69 offset1:70
	ds_read2_b64 v[84:87], v2 offset0:71 offset1:72
	;; [unrolled: 1-line block ×3, first 2 shown]
	v_pk_add_f32 v[88:89], v[88:89], v[124:125]
	v_mov_b32_e32 v93, v91
	v_pk_mul_f32 v[90:91], v[102:103], v[90:91] op_sel_hi:[1,0]
	v_pk_add_f32 v[88:89], v[88:89], v[92:93]
	s_waitcnt vmcnt(6)
	v_pk_fma_f32 v[92:93], v[102:103], v[108:109], v[90:91] op_sel:[0,0,1] op_sel_hi:[1,1,0] neg_lo:[0,0,1] neg_hi:[0,0,1]
	v_pk_fma_f32 v[90:91], v[102:103], v[108:109], v[90:91] op_sel:[0,0,1] op_sel_hi:[1,0,0]
	v_mov_b32_e32 v90, v115
	v_mov_b32_e32 v93, v91
	s_waitcnt lgkmcnt(2)
	v_pk_mul_f32 v[90:91], v[80:81], v[90:91] op_sel_hi:[1,0]
	v_pk_add_f32 v[88:89], v[88:89], v[92:93]
	v_pk_fma_f32 v[92:93], v[80:81], v[114:115], v[90:91] op_sel:[0,0,1] op_sel_hi:[1,1,0] neg_lo:[0,0,1] neg_hi:[0,0,1]
	v_pk_fma_f32 v[80:81], v[80:81], v[114:115], v[90:91] op_sel:[0,0,1] op_sel_hi:[1,0,0]
	v_mov_b32_e32 v93, v81
	v_pk_add_f32 v[80:81], v[88:89], v[92:93]
	v_mov_b32_e32 v88, v113
	v_pk_mul_f32 v[88:89], v[82:83], v[88:89] op_sel_hi:[1,0]
	v_pk_fma_f32 v[90:91], v[82:83], v[112:113], v[88:89] op_sel:[0,0,1] op_sel_hi:[1,1,0] neg_lo:[0,0,1] neg_hi:[0,0,1]
	v_pk_fma_f32 v[82:83], v[82:83], v[112:113], v[88:89] op_sel:[0,0,1] op_sel_hi:[1,0,0]
	v_mov_b32_e32 v82, v111
	v_mov_b32_e32 v91, v83
	s_waitcnt lgkmcnt(1)
	v_pk_mul_f32 v[82:83], v[84:85], v[82:83] op_sel_hi:[1,0]
	v_pk_fma_f32 v[88:89], v[84:85], v[110:111], v[82:83] op_sel:[0,0,1] op_sel_hi:[1,1,0] neg_lo:[0,0,1] neg_hi:[0,0,1]
	v_pk_fma_f32 v[82:83], v[84:85], v[110:111], v[82:83] op_sel:[0,0,1] op_sel_hi:[1,0,0]
	s_waitcnt vmcnt(1)
	v_mov_b32_e32 v82, v121
	v_mov_b32_e32 v89, v83
	v_pk_mul_f32 v[82:83], v[86:87], v[82:83] op_sel_hi:[1,0]
	s_waitcnt vmcnt(0)
	v_pk_fma_f32 v[84:85], v[86:87], v[120:121], v[82:83] op_sel:[0,0,1] op_sel_hi:[1,1,0] neg_lo:[0,0,1] neg_hi:[0,0,1]
	v_pk_fma_f32 v[82:83], v[86:87], v[120:121], v[82:83] op_sel:[0,0,1] op_sel_hi:[1,0,0]
	v_pk_add_f32 v[80:81], v[80:81], v[90:91]
	v_mov_b32_e32 v82, v119
	v_pk_add_f32 v[80:81], v[80:81], v[88:89]
	v_mov_b32_e32 v85, v83
	s_waitcnt lgkmcnt(0)
	v_pk_mul_f32 v[82:83], v[2:3], v[82:83] op_sel_hi:[1,0]
	v_pk_add_f32 v[80:81], v[80:81], v[84:85]
	v_pk_fma_f32 v[84:85], v[2:3], v[118:119], v[82:83] op_sel:[0,0,1] op_sel_hi:[1,1,0] neg_lo:[0,0,1] neg_hi:[0,0,1]
	v_pk_fma_f32 v[2:3], v[2:3], v[118:119], v[82:83] op_sel:[0,0,1] op_sel_hi:[1,0,0]
	v_mov_b32_e32 v85, v3
	v_pk_add_f32 v[2:3], v[80:81], v[84:85]
	v_mov_b32_e32 v80, v117
	v_pk_mul_f32 v[80:81], v[4:5], v[80:81] op_sel_hi:[1,0]
	v_pk_fma_f32 v[82:83], v[4:5], v[116:117], v[80:81] op_sel:[0,0,1] op_sel_hi:[1,1,0] neg_lo:[0,0,1] neg_hi:[0,0,1]
	v_pk_fma_f32 v[4:5], v[4:5], v[116:117], v[80:81] op_sel:[0,0,1] op_sel_hi:[1,0,0]
	v_mov_b32_e32 v83, v5
	v_pk_add_f32 v[2:3], v[2:3], v[82:83]
	v_pk_add_f32 v[2:3], v[104:105], v[2:3] neg_lo:[0,1] neg_hi:[0,1]
	buffer_store_dword v3, off, s[0:3], 0 offset:148
	buffer_store_dword v2, off, s[0:3], 0 offset:144
	s_and_saveexec_b64 s[4:5], vcc
	s_cbranch_execz .LBB100_201
; %bb.200:
	buffer_load_dword v2, off, s[0:3], 0 offset:136
	buffer_load_dword v3, off, s[0:3], 0 offset:140
	v_mov_b32_e32 v4, 0
	buffer_store_dword v4, off, s[0:3], 0 offset:136
	buffer_store_dword v4, off, s[0:3], 0 offset:140
	s_waitcnt vmcnt(2)
	ds_write_b64 v1, v[2:3]
.LBB100_201:
	s_or_b64 exec, exec, s[4:5]
	s_waitcnt lgkmcnt(0)
	; wave barrier
	s_waitcnt lgkmcnt(0)
	buffer_load_dword v3, off, s[0:3], 0 offset:148
	buffer_load_dword v120, off, s[0:3], 0 offset:156
	;; [unrolled: 1-line block ×40, first 2 shown]
	v_mov_b32_e32 v2, 0
	ds_read_b128 v[80:83], v2 offset:448
	ds_read_b128 v[84:87], v2 offset:464
	ds_read_b128 v[88:91], v2 offset:480
	ds_read_b128 v[92:95], v2 offset:496
	ds_read_b128 v[96:99], v2 offset:512
	ds_read_b128 v[100:103], v2 offset:528
	v_cmp_lt_u32_e32 vcc, 16, v0
	s_waitcnt vmcnt(39) lgkmcnt(5)
	v_mul_f32_e32 v143, v80, v3
	s_waitcnt vmcnt(38)
	v_mul_f32_e32 v144, v82, v120
	v_mul_f32_e32 v3, v81, v3
	s_waitcnt vmcnt(37) lgkmcnt(4)
	v_mul_f32_e32 v145, v84, v122
	v_mul_f32_e32 v120, v83, v120
	s_waitcnt vmcnt(36)
	v_mul_f32_e32 v146, v86, v124
	s_waitcnt vmcnt(35) lgkmcnt(3)
	v_mul_f32_e32 v147, v88, v126
	s_waitcnt vmcnt(34)
	v_mul_f32_e32 v148, v90, v127
	s_waitcnt vmcnt(33) lgkmcnt(2)
	v_mul_f32_e32 v149, v92, v128
	s_waitcnt vmcnt(32)
	v_mul_f32_e32 v150, v94, v129
	s_waitcnt vmcnt(31) lgkmcnt(1)
	v_mul_f32_e32 v151, v96, v130
	s_waitcnt vmcnt(28)
	v_fmac_f32_e32 v143, v81, v125
	s_waitcnt vmcnt(27)
	v_fmac_f32_e32 v144, v83, v133
	v_fma_f32 v3, v80, v125, -v3
	v_add_f32_e32 v83, 0, v143
	s_waitcnt vmcnt(26)
	v_fmac_f32_e32 v145, v85, v134
	v_fma_f32 v80, v82, v133, -v120
	v_add_f32_e32 v3, 0, v3
	v_add_f32_e32 v83, v83, v144
	s_waitcnt vmcnt(25)
	v_fmac_f32_e32 v146, v87, v135
	v_add_f32_e32 v3, v3, v80
	v_add_f32_e32 v80, v83, v145
	s_waitcnt vmcnt(24)
	v_fmac_f32_e32 v147, v89, v136
	v_add_f32_e32 v80, v80, v146
	s_waitcnt vmcnt(23)
	v_fmac_f32_e32 v148, v91, v137
	;; [unrolled: 3-line block ×3, first 2 shown]
	v_add_f32_e32 v80, v80, v148
	v_mul_f32_e32 v122, v85, v122
	s_waitcnt vmcnt(21)
	v_fmac_f32_e32 v150, v95, v139
	v_add_f32_e32 v80, v80, v149
	v_mul_f32_e32 v124, v87, v124
	s_waitcnt vmcnt(20)
	v_fmac_f32_e32 v151, v97, v140
	v_fma_f32 v81, v84, v134, -v122
	v_add_f32_e32 v80, v80, v150
	v_fma_f32 v82, v86, v135, -v124
	v_add_f32_e32 v3, v3, v81
	v_add_f32_e32 v125, v80, v151
	v_mul_f32_e32 v80, v89, v126
	v_add_f32_e32 v3, v3, v82
	v_fma_f32 v80, v88, v136, -v80
	v_add_f32_e32 v3, v3, v80
	v_mul_f32_e32 v80, v91, v127
	v_fma_f32 v80, v90, v137, -v80
	v_add_f32_e32 v3, v3, v80
	v_mul_f32_e32 v80, v93, v128
	;; [unrolled: 3-line block ×4, first 2 shown]
	v_fma_f32 v80, v96, v140, -v80
	s_waitcnt vmcnt(9)
	v_mov_b32_e32 v96, v111
	v_mul_f32_e32 v121, v98, v131
	v_add_f32_e32 v124, v3, v80
	v_mul_f32_e32 v3, v99, v131
	s_waitcnt lgkmcnt(0)
	v_pk_mul_f32 v[96:97], v[102:103], v[96:97] op_sel_hi:[1,0]
	v_mul_f32_e32 v123, v100, v132
	v_fmac_f32_e32 v121, v99, v141
	v_fma_f32 v120, v98, v141, -v3
	v_mul_f32_e32 v3, v101, v132
	ds_read_b128 v[80:83], v2 offset:544
	ds_read_b128 v[84:87], v2 offset:560
	;; [unrolled: 1-line block ×3, first 2 shown]
	ds_read_b64 v[92:93], v2 offset:592
	s_waitcnt vmcnt(8)
	v_pk_fma_f32 v[98:99], v[102:103], v[110:111], v[96:97] op_sel:[0,0,1] op_sel_hi:[1,1,0] neg_lo:[0,0,1] neg_hi:[0,0,1]
	v_pk_fma_f32 v[96:97], v[102:103], v[110:111], v[96:97] op_sel:[0,0,1] op_sel_hi:[1,0,0]
	v_fmac_f32_e32 v123, v101, v142
	v_fma_f32 v122, v100, v142, -v3
	v_pk_add_f32 v[94:95], v[124:125], v[120:121]
	v_mov_b32_e32 v96, v109
	v_pk_add_f32 v[94:95], v[94:95], v[122:123]
	v_mov_b32_e32 v99, v97
	s_waitcnt lgkmcnt(3)
	v_pk_mul_f32 v[96:97], v[80:81], v[96:97] op_sel_hi:[1,0]
	v_pk_add_f32 v[94:95], v[94:95], v[98:99]
	v_pk_fma_f32 v[98:99], v[80:81], v[108:109], v[96:97] op_sel:[0,0,1] op_sel_hi:[1,1,0] neg_lo:[0,0,1] neg_hi:[0,0,1]
	v_pk_fma_f32 v[80:81], v[80:81], v[108:109], v[96:97] op_sel:[0,0,1] op_sel_hi:[1,0,0]
	v_mov_b32_e32 v99, v81
	v_pk_add_f32 v[80:81], v[94:95], v[98:99]
	v_mov_b32_e32 v94, v107
	v_pk_mul_f32 v[94:95], v[82:83], v[94:95] op_sel_hi:[1,0]
	v_pk_fma_f32 v[96:97], v[82:83], v[106:107], v[94:95] op_sel:[0,0,1] op_sel_hi:[1,1,0] neg_lo:[0,0,1] neg_hi:[0,0,1]
	v_pk_fma_f32 v[82:83], v[82:83], v[106:107], v[94:95] op_sel:[0,0,1] op_sel_hi:[1,0,0]
	v_mov_b32_e32 v82, v105
	v_mov_b32_e32 v97, v83
	s_waitcnt lgkmcnt(2)
	v_pk_mul_f32 v[82:83], v[84:85], v[82:83] op_sel_hi:[1,0]
	v_pk_fma_f32 v[94:95], v[84:85], v[104:105], v[82:83] op_sel:[0,0,1] op_sel_hi:[1,1,0] neg_lo:[0,0,1] neg_hi:[0,0,1]
	v_pk_fma_f32 v[82:83], v[84:85], v[104:105], v[82:83] op_sel:[0,0,1] op_sel_hi:[1,0,0]
	s_waitcnt vmcnt(1)
	v_mov_b32_e32 v82, v119
	v_mov_b32_e32 v95, v83
	v_pk_mul_f32 v[82:83], v[86:87], v[82:83] op_sel_hi:[1,0]
	s_waitcnt vmcnt(0)
	v_pk_fma_f32 v[84:85], v[86:87], v[118:119], v[82:83] op_sel:[0,0,1] op_sel_hi:[1,1,0] neg_lo:[0,0,1] neg_hi:[0,0,1]
	v_pk_fma_f32 v[82:83], v[86:87], v[118:119], v[82:83] op_sel:[0,0,1] op_sel_hi:[1,0,0]
	v_pk_add_f32 v[80:81], v[80:81], v[96:97]
	v_mov_b32_e32 v82, v117
	v_pk_add_f32 v[80:81], v[80:81], v[94:95]
	v_mov_b32_e32 v85, v83
	s_waitcnt lgkmcnt(1)
	v_pk_mul_f32 v[82:83], v[88:89], v[82:83] op_sel_hi:[1,0]
	v_pk_add_f32 v[80:81], v[80:81], v[84:85]
	v_pk_fma_f32 v[84:85], v[88:89], v[116:117], v[82:83] op_sel:[0,0,1] op_sel_hi:[1,1,0] neg_lo:[0,0,1] neg_hi:[0,0,1]
	v_pk_fma_f32 v[82:83], v[88:89], v[116:117], v[82:83] op_sel:[0,0,1] op_sel_hi:[1,0,0]
	v_mov_b32_e32 v82, v115
	v_mov_b32_e32 v85, v83
	v_pk_mul_f32 v[82:83], v[90:91], v[82:83] op_sel_hi:[1,0]
	v_pk_add_f32 v[80:81], v[80:81], v[84:85]
	v_pk_fma_f32 v[84:85], v[90:91], v[114:115], v[82:83] op_sel:[0,0,1] op_sel_hi:[1,1,0] neg_lo:[0,0,1] neg_hi:[0,0,1]
	v_pk_fma_f32 v[82:83], v[90:91], v[114:115], v[82:83] op_sel:[0,0,1] op_sel_hi:[1,0,0]
	v_mov_b32_e32 v82, v113
	v_mov_b32_e32 v85, v83
	s_waitcnt lgkmcnt(0)
	v_pk_mul_f32 v[82:83], v[92:93], v[82:83] op_sel_hi:[1,0]
	v_pk_add_f32 v[80:81], v[80:81], v[84:85]
	v_pk_fma_f32 v[84:85], v[92:93], v[112:113], v[82:83] op_sel:[0,0,1] op_sel_hi:[1,1,0] neg_lo:[0,0,1] neg_hi:[0,0,1]
	v_pk_fma_f32 v[82:83], v[92:93], v[112:113], v[82:83] op_sel:[0,0,1] op_sel_hi:[1,0,0]
	v_mov_b32_e32 v85, v83
	v_pk_add_f32 v[80:81], v[80:81], v[84:85]
	v_pk_add_f32 v[4:5], v[4:5], v[80:81] neg_lo:[0,1] neg_hi:[0,1]
	buffer_store_dword v5, off, s[0:3], 0 offset:140
	buffer_store_dword v4, off, s[0:3], 0 offset:136
	s_and_saveexec_b64 s[4:5], vcc
	s_cbranch_execz .LBB100_203
; %bb.202:
	buffer_load_dword v4, off, s[0:3], 0 offset:128
	buffer_load_dword v5, off, s[0:3], 0 offset:132
	s_waitcnt vmcnt(0)
	ds_write_b64 v1, v[4:5]
	buffer_store_dword v2, off, s[0:3], 0 offset:128
	buffer_store_dword v2, off, s[0:3], 0 offset:132
.LBB100_203:
	s_or_b64 exec, exec, s[4:5]
	s_waitcnt lgkmcnt(0)
	; wave barrier
	s_waitcnt lgkmcnt(0)
	buffer_load_dword v3, off, s[0:3], 0 offset:140
	buffer_load_dword v4, off, s[0:3], 0 offset:148
	;; [unrolled: 1-line block ×26, first 2 shown]
	ds_read2_b64 v[80:83], v2 offset0:55 offset1:56
	ds_read2_b64 v[84:87], v2 offset0:57 offset1:58
	;; [unrolled: 1-line block ×6, first 2 shown]
	buffer_load_dword v107, off, s[0:3], 0 offset:252
	buffer_load_dword v106, off, s[0:3], 0 offset:248
	;; [unrolled: 1-line block ×16, first 2 shown]
	v_cmp_lt_u32_e32 vcc, 15, v0
	s_waitcnt vmcnt(41) lgkmcnt(5)
	v_mul_f32_e32 v145, v80, v3
	s_waitcnt vmcnt(40)
	v_mul_f32_e32 v146, v82, v4
	v_mul_f32_e32 v3, v81, v3
	s_waitcnt vmcnt(39) lgkmcnt(4)
	v_mul_f32_e32 v147, v84, v5
	v_mul_f32_e32 v4, v83, v4
	s_waitcnt vmcnt(38)
	v_mul_f32_e32 v148, v86, v122
	s_waitcnt vmcnt(37) lgkmcnt(3)
	v_mul_f32_e32 v149, v88, v124
	s_waitcnt vmcnt(36)
	v_mul_f32_e32 v150, v90, v126
	s_waitcnt vmcnt(35) lgkmcnt(2)
	;; [unrolled: 4-line block ×3, first 2 shown]
	v_mul_f32_e32 v153, v96, v130
	s_waitcnt vmcnt(32)
	v_mul_f32_e32 v154, v98, v131
	s_waitcnt vmcnt(29)
	v_fmac_f32_e32 v145, v81, v127
	s_waitcnt vmcnt(28)
	v_fmac_f32_e32 v146, v83, v134
	v_fma_f32 v3, v80, v127, -v3
	v_add_f32_e32 v80, 0, v145
	s_waitcnt vmcnt(27)
	v_fmac_f32_e32 v147, v85, v135
	v_fma_f32 v4, v82, v134, -v4
	v_add_f32_e32 v3, 0, v3
	v_add_f32_e32 v80, v80, v146
	s_waitcnt vmcnt(26)
	v_fmac_f32_e32 v148, v87, v136
	v_add_f32_e32 v3, v3, v4
	v_add_f32_e32 v4, v80, v147
	s_waitcnt vmcnt(25)
	v_fmac_f32_e32 v149, v89, v137
	v_add_f32_e32 v4, v4, v148
	s_waitcnt vmcnt(24)
	v_fmac_f32_e32 v150, v91, v138
	v_add_f32_e32 v4, v4, v149
	s_waitcnt vmcnt(23)
	v_fmac_f32_e32 v151, v93, v139
	v_add_f32_e32 v4, v4, v150
	s_waitcnt vmcnt(22)
	v_fmac_f32_e32 v152, v95, v140
	v_add_f32_e32 v4, v4, v151
	s_waitcnt vmcnt(21)
	v_fmac_f32_e32 v153, v97, v141
	v_add_f32_e32 v4, v4, v152
	v_mul_f32_e32 v5, v85, v5
	s_waitcnt vmcnt(20)
	v_fmac_f32_e32 v154, v99, v142
	v_add_f32_e32 v4, v4, v153
	v_fma_f32 v5, v84, v135, -v5
	v_add_f32_e32 v127, v4, v154
	v_mul_f32_e32 v4, v87, v122
	v_add_f32_e32 v3, v3, v5
	v_fma_f32 v4, v86, v136, -v4
	v_add_f32_e32 v3, v3, v4
	v_mul_f32_e32 v4, v89, v124
	v_fma_f32 v4, v88, v137, -v4
	v_add_f32_e32 v3, v3, v4
	v_mul_f32_e32 v4, v91, v126
	;; [unrolled: 3-line block ×6, first 2 shown]
	v_fma_f32 v4, v98, v142, -v4
	v_add_f32_e32 v126, v3, v4
	s_waitcnt lgkmcnt(0)
	v_mul_f32_e32 v3, v101, v132
	s_waitcnt vmcnt(19)
	v_fma_f32 v122, v100, v143, -v3
	v_mul_f32_e32 v3, v103, v133
	s_waitcnt vmcnt(18)
	v_fma_f32 v124, v102, v144, -v3
	ds_read2_b64 v[80:83], v2 offset0:67 offset1:68
	ds_read2_b64 v[84:87], v2 offset0:69 offset1:70
	;; [unrolled: 1-line block ×4, first 2 shown]
	v_mul_f32_e32 v123, v100, v132
	s_waitcnt vmcnt(11)
	v_mov_b32_e32 v94, v111
	v_mul_f32_e32 v125, v102, v133
	v_fmac_f32_e32 v123, v101, v143
	s_waitcnt lgkmcnt(3)
	v_pk_mul_f32 v[94:95], v[80:81], v[94:95] op_sel_hi:[1,0]
	v_fmac_f32_e32 v125, v103, v144
	v_pk_add_f32 v[92:93], v[126:127], v[122:123]
	s_waitcnt vmcnt(10)
	v_pk_fma_f32 v[96:97], v[80:81], v[110:111], v[94:95] op_sel:[0,0,1] op_sel_hi:[1,1,0] neg_lo:[0,0,1] neg_hi:[0,0,1]
	v_pk_fma_f32 v[80:81], v[80:81], v[110:111], v[94:95] op_sel:[0,0,1] op_sel_hi:[1,0,0]
	v_pk_add_f32 v[92:93], v[92:93], v[124:125]
	v_mov_b32_e32 v97, v81
	v_pk_add_f32 v[80:81], v[92:93], v[96:97]
	v_mov_b32_e32 v92, v109
	v_pk_mul_f32 v[92:93], v[82:83], v[92:93] op_sel_hi:[1,0]
	v_pk_fma_f32 v[94:95], v[82:83], v[108:109], v[92:93] op_sel:[0,0,1] op_sel_hi:[1,1,0] neg_lo:[0,0,1] neg_hi:[0,0,1]
	v_pk_fma_f32 v[82:83], v[82:83], v[108:109], v[92:93] op_sel:[0,0,1] op_sel_hi:[1,0,0]
	v_mov_b32_e32 v82, v107
	v_mov_b32_e32 v95, v83
	s_waitcnt lgkmcnt(2)
	v_pk_mul_f32 v[82:83], v[84:85], v[82:83] op_sel_hi:[1,0]
	v_pk_fma_f32 v[92:93], v[84:85], v[106:107], v[82:83] op_sel:[0,0,1] op_sel_hi:[1,1,0] neg_lo:[0,0,1] neg_hi:[0,0,1]
	v_pk_fma_f32 v[82:83], v[84:85], v[106:107], v[82:83] op_sel:[0,0,1] op_sel_hi:[1,0,0]
	s_waitcnt vmcnt(3)
	v_mov_b32_e32 v82, v119
	v_mov_b32_e32 v93, v83
	v_pk_mul_f32 v[82:83], v[86:87], v[82:83] op_sel_hi:[1,0]
	s_waitcnt vmcnt(2)
	v_pk_fma_f32 v[84:85], v[86:87], v[118:119], v[82:83] op_sel:[0,0,1] op_sel_hi:[1,1,0] neg_lo:[0,0,1] neg_hi:[0,0,1]
	v_pk_fma_f32 v[82:83], v[86:87], v[118:119], v[82:83] op_sel:[0,0,1] op_sel_hi:[1,0,0]
	v_pk_add_f32 v[80:81], v[80:81], v[94:95]
	v_mov_b32_e32 v82, v117
	v_pk_add_f32 v[80:81], v[80:81], v[92:93]
	v_mov_b32_e32 v85, v83
	s_waitcnt lgkmcnt(1)
	v_pk_mul_f32 v[82:83], v[88:89], v[82:83] op_sel_hi:[1,0]
	v_pk_add_f32 v[80:81], v[80:81], v[84:85]
	v_pk_fma_f32 v[84:85], v[88:89], v[116:117], v[82:83] op_sel:[0,0,1] op_sel_hi:[1,1,0] neg_lo:[0,0,1] neg_hi:[0,0,1]
	v_pk_fma_f32 v[82:83], v[88:89], v[116:117], v[82:83] op_sel:[0,0,1] op_sel_hi:[1,0,0]
	v_mov_b32_e32 v82, v115
	v_mov_b32_e32 v85, v83
	v_pk_mul_f32 v[82:83], v[90:91], v[82:83] op_sel_hi:[1,0]
	v_pk_add_f32 v[80:81], v[80:81], v[84:85]
	v_pk_fma_f32 v[84:85], v[90:91], v[114:115], v[82:83] op_sel:[0,0,1] op_sel_hi:[1,1,0] neg_lo:[0,0,1] neg_hi:[0,0,1]
	v_pk_fma_f32 v[82:83], v[90:91], v[114:115], v[82:83] op_sel:[0,0,1] op_sel_hi:[1,0,0]
	v_mov_b32_e32 v82, v113
	v_mov_b32_e32 v85, v83
	s_waitcnt lgkmcnt(0)
	v_pk_mul_f32 v[82:83], v[2:3], v[82:83] op_sel_hi:[1,0]
	v_pk_add_f32 v[80:81], v[80:81], v[84:85]
	v_pk_fma_f32 v[84:85], v[2:3], v[112:113], v[82:83] op_sel:[0,0,1] op_sel_hi:[1,1,0] neg_lo:[0,0,1] neg_hi:[0,0,1]
	v_pk_fma_f32 v[2:3], v[2:3], v[112:113], v[82:83] op_sel:[0,0,1] op_sel_hi:[1,0,0]
	v_mov_b32_e32 v85, v3
	v_pk_add_f32 v[2:3], v[80:81], v[84:85]
	s_waitcnt vmcnt(1)
	v_mov_b32_e32 v80, v121
	v_pk_mul_f32 v[80:81], v[4:5], v[80:81] op_sel_hi:[1,0]
	s_waitcnt vmcnt(0)
	v_pk_fma_f32 v[82:83], v[4:5], v[120:121], v[80:81] op_sel:[0,0,1] op_sel_hi:[1,1,0] neg_lo:[0,0,1] neg_hi:[0,0,1]
	v_pk_fma_f32 v[4:5], v[4:5], v[120:121], v[80:81] op_sel:[0,0,1] op_sel_hi:[1,0,0]
	v_mov_b32_e32 v83, v5
	v_pk_add_f32 v[2:3], v[2:3], v[82:83]
	v_pk_add_f32 v[2:3], v[104:105], v[2:3] neg_lo:[0,1] neg_hi:[0,1]
	buffer_store_dword v3, off, s[0:3], 0 offset:132
	buffer_store_dword v2, off, s[0:3], 0 offset:128
	s_and_saveexec_b64 s[4:5], vcc
	s_cbranch_execz .LBB100_205
; %bb.204:
	buffer_load_dword v2, off, s[0:3], 0 offset:120
	buffer_load_dword v3, off, s[0:3], 0 offset:124
	v_mov_b32_e32 v4, 0
	buffer_store_dword v4, off, s[0:3], 0 offset:120
	buffer_store_dword v4, off, s[0:3], 0 offset:124
	s_waitcnt vmcnt(2)
	ds_write_b64 v1, v[2:3]
.LBB100_205:
	s_or_b64 exec, exec, s[4:5]
	s_waitcnt lgkmcnt(0)
	; wave barrier
	s_waitcnt lgkmcnt(0)
	buffer_load_dword v83, off, s[0:3], 0 offset:132
	buffer_load_dword v128, off, s[0:3], 0 offset:140
	buffer_load_dword v130, off, s[0:3], 0 offset:148
	buffer_load_dword v132, off, s[0:3], 0 offset:156
	buffer_load_dword v134, off, s[0:3], 0 offset:164
	buffer_load_dword v135, off, s[0:3], 0 offset:172
	buffer_load_dword v136, off, s[0:3], 0 offset:180
	buffer_load_dword v137, off, s[0:3], 0 offset:188
	buffer_load_dword v138, off, s[0:3], 0 offset:196
	buffer_load_dword v139, off, s[0:3], 0 offset:204
	buffer_load_dword v140, off, s[0:3], 0 offset:212
	buffer_load_dword v141, off, s[0:3], 0 offset:220
	buffer_load_dword v142, off, s[0:3], 0 offset:228
	buffer_load_dword v143, off, s[0:3], 0 offset:128
	buffer_load_dword v144, off, s[0:3], 0 offset:136
	buffer_load_dword v145, off, s[0:3], 0 offset:144
	buffer_load_dword v146, off, s[0:3], 0 offset:152
	buffer_load_dword v147, off, s[0:3], 0 offset:160
	buffer_load_dword v148, off, s[0:3], 0 offset:168
	buffer_load_dword v149, off, s[0:3], 0 offset:176
	buffer_load_dword v150, off, s[0:3], 0 offset:184
	buffer_load_dword v151, off, s[0:3], 0 offset:192
	buffer_load_dword v152, off, s[0:3], 0 offset:200
	buffer_load_dword v153, off, s[0:3], 0 offset:208
	buffer_load_dword v154, off, s[0:3], 0 offset:216
	buffer_load_dword v155, off, s[0:3], 0 offset:224
	buffer_load_dword v80, off, s[0:3], 0 offset:120
	buffer_load_dword v81, off, s[0:3], 0 offset:124
	buffer_load_dword v113, off, s[0:3], 0 offset:244
	buffer_load_dword v112, off, s[0:3], 0 offset:240
	buffer_load_dword v115, off, s[0:3], 0 offset:236
	buffer_load_dword v114, off, s[0:3], 0 offset:232
	buffer_load_dword v117, off, s[0:3], 0 offset:276
	buffer_load_dword v116, off, s[0:3], 0 offset:272
	buffer_load_dword v119, off, s[0:3], 0 offset:268
	buffer_load_dword v118, off, s[0:3], 0 offset:264
	buffer_load_dword v121, off, s[0:3], 0 offset:260
	buffer_load_dword v120, off, s[0:3], 0 offset:256
	buffer_load_dword v123, off, s[0:3], 0 offset:252
	buffer_load_dword v122, off, s[0:3], 0 offset:248
	buffer_load_dword v125, off, s[0:3], 0 offset:292
	buffer_load_dword v124, off, s[0:3], 0 offset:288
	buffer_load_dword v127, off, s[0:3], 0 offset:284
	buffer_load_dword v126, off, s[0:3], 0 offset:280
	v_mov_b32_e32 v82, 0
	ds_read_b128 v[2:5], v82 offset:432
	ds_read_b128 v[84:87], v82 offset:448
	;; [unrolled: 1-line block ×8, first 2 shown]
	v_cmp_lt_u32_e32 vcc, 14, v0
	s_waitcnt vmcnt(43) lgkmcnt(7)
	v_mul_f32_e32 v133, v2, v83
	s_waitcnt vmcnt(42)
	v_mul_f32_e32 v156, v4, v128
	s_waitcnt vmcnt(41) lgkmcnt(6)
	v_mul_f32_e32 v157, v84, v130
	v_mul_f32_e32 v83, v3, v83
	s_waitcnt vmcnt(40)
	v_mul_f32_e32 v158, v86, v132
	s_waitcnt vmcnt(39) lgkmcnt(5)
	v_mul_f32_e32 v159, v88, v134
	s_waitcnt vmcnt(38)
	v_mul_f32_e32 v160, v90, v135
	s_waitcnt vmcnt(37) lgkmcnt(4)
	;; [unrolled: 4-line block ×4, first 2 shown]
	v_mul_f32_e32 v165, v100, v140
	s_waitcnt vmcnt(32)
	v_mul_f32_e32 v129, v102, v141
	s_waitcnt vmcnt(30)
	v_fmac_f32_e32 v133, v3, v143
	s_waitcnt vmcnt(29)
	v_fmac_f32_e32 v156, v5, v144
	v_add_f32_e32 v3, 0, v133
	s_waitcnt vmcnt(28)
	v_fmac_f32_e32 v157, v85, v145
	v_add_f32_e32 v3, v3, v156
	;; [unrolled: 3-line block ×10, first 2 shown]
	v_add_f32_e32 v133, v3, v165
	v_fma_f32 v2, v2, v143, -v83
	v_mul_f32_e32 v3, v5, v128
	v_add_f32_e32 v2, 0, v2
	v_fma_f32 v3, v4, v144, -v3
	v_add_f32_e32 v2, v2, v3
	v_mul_f32_e32 v3, v85, v130
	v_fma_f32 v3, v84, v145, -v3
	v_add_f32_e32 v2, v2, v3
	v_mul_f32_e32 v3, v87, v132
	;; [unrolled: 3-line block ×9, first 2 shown]
	v_fma_f32 v3, v100, v153, -v3
	s_waitcnt vmcnt(13)
	v_mov_b32_e32 v92, v115
	v_add_f32_e32 v132, v2, v3
	v_mul_f32_e32 v2, v103, v141
	s_waitcnt lgkmcnt(1)
	v_pk_mul_f32 v[92:93], v[106:107], v[92:93] op_sel_hi:[1,0]
	v_mul_f32_e32 v131, v104, v142
	v_fmac_f32_e32 v129, v103, v154
	v_fma_f32 v128, v102, v154, -v2
	v_mul_f32_e32 v2, v105, v142
	s_waitcnt vmcnt(12)
	v_pk_fma_f32 v[94:95], v[106:107], v[114:115], v[92:93] op_sel:[0,0,1] op_sel_hi:[1,1,0] neg_lo:[0,0,1] neg_hi:[0,0,1]
	v_pk_fma_f32 v[92:93], v[106:107], v[114:115], v[92:93] op_sel:[0,0,1] op_sel_hi:[1,0,0]
	v_fmac_f32_e32 v131, v105, v155
	v_fma_f32 v130, v104, v155, -v2
	v_pk_add_f32 v[90:91], v[132:133], v[128:129]
	v_mov_b32_e32 v92, v113
	v_pk_add_f32 v[90:91], v[90:91], v[130:131]
	v_mov_b32_e32 v95, v93
	s_waitcnt lgkmcnt(0)
	v_pk_mul_f32 v[92:93], v[108:109], v[92:93] op_sel_hi:[1,0]
	v_pk_add_f32 v[90:91], v[90:91], v[94:95]
	v_pk_fma_f32 v[94:95], v[108:109], v[112:113], v[92:93] op_sel:[0,0,1] op_sel_hi:[1,1,0] neg_lo:[0,0,1] neg_hi:[0,0,1]
	v_pk_fma_f32 v[92:93], v[108:109], v[112:113], v[92:93] op_sel:[0,0,1] op_sel_hi:[1,0,0]
	s_waitcnt vmcnt(5)
	v_mov_b32_e32 v92, v123
	ds_read_b128 v[2:5], v82 offset:560
	ds_read_b128 v[84:87], v82 offset:576
	ds_read_b64 v[88:89], v82 offset:592
	v_mov_b32_e32 v95, v93
	v_pk_mul_f32 v[92:93], v[110:111], v[92:93] op_sel_hi:[1,0]
	v_pk_add_f32 v[90:91], v[90:91], v[94:95]
	s_waitcnt vmcnt(4)
	v_pk_fma_f32 v[94:95], v[110:111], v[122:123], v[92:93] op_sel:[0,0,1] op_sel_hi:[1,1,0] neg_lo:[0,0,1] neg_hi:[0,0,1]
	v_pk_fma_f32 v[92:93], v[110:111], v[122:123], v[92:93] op_sel:[0,0,1] op_sel_hi:[1,0,0]
	v_mov_b32_e32 v92, v121
	v_mov_b32_e32 v95, v93
	s_waitcnt lgkmcnt(2)
	v_pk_mul_f32 v[92:93], v[2:3], v[92:93] op_sel_hi:[1,0]
	v_pk_add_f32 v[90:91], v[90:91], v[94:95]
	v_pk_fma_f32 v[94:95], v[2:3], v[120:121], v[92:93] op_sel:[0,0,1] op_sel_hi:[1,1,0] neg_lo:[0,0,1] neg_hi:[0,0,1]
	v_pk_fma_f32 v[2:3], v[2:3], v[120:121], v[92:93] op_sel:[0,0,1] op_sel_hi:[1,0,0]
	v_mov_b32_e32 v95, v3
	v_pk_add_f32 v[2:3], v[90:91], v[94:95]
	v_mov_b32_e32 v90, v119
	v_pk_mul_f32 v[90:91], v[4:5], v[90:91] op_sel_hi:[1,0]
	v_pk_fma_f32 v[92:93], v[4:5], v[118:119], v[90:91] op_sel:[0,0,1] op_sel_hi:[1,1,0] neg_lo:[0,0,1] neg_hi:[0,0,1]
	v_pk_fma_f32 v[4:5], v[4:5], v[118:119], v[90:91] op_sel:[0,0,1] op_sel_hi:[1,0,0]
	v_mov_b32_e32 v4, v117
	v_mov_b32_e32 v93, v5
	s_waitcnt lgkmcnt(1)
	v_pk_mul_f32 v[4:5], v[84:85], v[4:5] op_sel_hi:[1,0]
	v_pk_fma_f32 v[90:91], v[84:85], v[116:117], v[4:5] op_sel:[0,0,1] op_sel_hi:[1,1,0] neg_lo:[0,0,1] neg_hi:[0,0,1]
	v_pk_fma_f32 v[4:5], v[84:85], v[116:117], v[4:5] op_sel:[0,0,1] op_sel_hi:[1,0,0]
	s_waitcnt vmcnt(1)
	v_mov_b32_e32 v4, v127
	v_mov_b32_e32 v91, v5
	v_pk_mul_f32 v[4:5], v[86:87], v[4:5] op_sel_hi:[1,0]
	s_waitcnt vmcnt(0)
	v_pk_fma_f32 v[84:85], v[86:87], v[126:127], v[4:5] op_sel:[0,0,1] op_sel_hi:[1,1,0] neg_lo:[0,0,1] neg_hi:[0,0,1]
	v_pk_fma_f32 v[4:5], v[86:87], v[126:127], v[4:5] op_sel:[0,0,1] op_sel_hi:[1,0,0]
	v_pk_add_f32 v[2:3], v[2:3], v[92:93]
	v_mov_b32_e32 v4, v125
	v_pk_add_f32 v[2:3], v[2:3], v[90:91]
	v_mov_b32_e32 v85, v5
	s_waitcnt lgkmcnt(0)
	v_pk_mul_f32 v[4:5], v[88:89], v[4:5] op_sel_hi:[1,0]
	v_pk_add_f32 v[2:3], v[2:3], v[84:85]
	v_pk_fma_f32 v[84:85], v[88:89], v[124:125], v[4:5] op_sel:[0,0,1] op_sel_hi:[1,1,0] neg_lo:[0,0,1] neg_hi:[0,0,1]
	v_pk_fma_f32 v[4:5], v[88:89], v[124:125], v[4:5] op_sel:[0,0,1] op_sel_hi:[1,0,0]
	v_mov_b32_e32 v85, v5
	v_pk_add_f32 v[2:3], v[2:3], v[84:85]
	v_pk_add_f32 v[2:3], v[80:81], v[2:3] neg_lo:[0,1] neg_hi:[0,1]
	buffer_store_dword v3, off, s[0:3], 0 offset:124
	buffer_store_dword v2, off, s[0:3], 0 offset:120
	s_and_saveexec_b64 s[4:5], vcc
	s_cbranch_execz .LBB100_207
; %bb.206:
	buffer_load_dword v2, off, s[0:3], 0 offset:112
	buffer_load_dword v3, off, s[0:3], 0 offset:116
	s_waitcnt vmcnt(0)
	ds_write_b64 v1, v[2:3]
	buffer_store_dword v82, off, s[0:3], 0 offset:112
	buffer_store_dword v82, off, s[0:3], 0 offset:116
.LBB100_207:
	s_or_b64 exec, exec, s[4:5]
	s_waitcnt lgkmcnt(0)
	; wave barrier
	s_waitcnt lgkmcnt(0)
	ds_read2_b64 v[2:5], v82 offset0:53 offset1:54
	buffer_load_dword v80, off, s[0:3], 0 offset:112
	buffer_load_dword v81, off, s[0:3], 0 offset:116
	;; [unrolled: 1-line block ×16, first 2 shown]
	v_cmp_lt_u32_e32 vcc, 13, v0
	s_waitcnt vmcnt(12) lgkmcnt(0)
	v_mul_f32_e32 v84, v2, v112
	v_fmac_f32_e32 v84, v3, v83
	s_waitcnt vmcnt(10)
	v_mul_f32_e32 v85, v4, v116
	v_add_f32_e32 v84, 0, v84
	v_fmac_f32_e32 v85, v5, v114
	v_add_f32_e32 v88, v84, v85
	ds_read2_b64 v[84:87], v82 offset0:55 offset1:56
	v_mul_f32_e32 v3, v3, v112
	v_fma_f32 v2, v2, v83, -v3
	v_mul_f32_e32 v3, v5, v116
	v_add_f32_e32 v2, 0, v2
	s_waitcnt vmcnt(8) lgkmcnt(0)
	v_mul_f32_e32 v89, v84, v135
	v_fmac_f32_e32 v89, v85, v134
	v_add_f32_e32 v88, v88, v89
	s_waitcnt vmcnt(6)
	v_mul_f32_e32 v89, v86, v137
	v_fmac_f32_e32 v89, v87, v136
	v_add_f32_e32 v92, v88, v89
	ds_read2_b64 v[88:91], v82 offset0:57 offset1:58
	v_fma_f32 v3, v4, v114, -v3
	v_add_f32_e32 v2, v2, v3
	v_mul_f32_e32 v3, v85, v135
	v_fma_f32 v3, v84, v134, -v3
	s_waitcnt vmcnt(4) lgkmcnt(0)
	v_mul_f32_e32 v93, v88, v139
	v_fmac_f32_e32 v93, v89, v138
	v_add_f32_e32 v92, v92, v93
	s_waitcnt vmcnt(2)
	v_mul_f32_e32 v93, v90, v141
	v_fmac_f32_e32 v93, v91, v140
	v_add_f32_e32 v96, v92, v93
	ds_read2_b64 v[92:95], v82 offset0:59 offset1:60
	buffer_load_dword v144, off, s[0:3], 0 offset:176
	buffer_load_dword v145, off, s[0:3], 0 offset:180
	v_add_f32_e32 v2, v2, v3
	v_mul_f32_e32 v3, v87, v137
	v_fma_f32 v3, v86, v136, -v3
	s_waitcnt vmcnt(2) lgkmcnt(0)
	v_mul_f32_e32 v97, v92, v143
	v_fmac_f32_e32 v97, v93, v142
	v_add_f32_e32 v96, v96, v97
	v_add_f32_e32 v2, v2, v3
	v_mul_f32_e32 v3, v89, v139
	v_fma_f32 v3, v88, v138, -v3
	v_add_f32_e32 v2, v2, v3
	v_mul_f32_e32 v3, v91, v141
	v_fma_f32 v3, v90, v140, -v3
	;; [unrolled: 3-line block ×3, first 2 shown]
	v_add_f32_e32 v2, v2, v3
	s_waitcnt vmcnt(0)
	v_mul_f32_e32 v97, v94, v145
	v_fmac_f32_e32 v97, v95, v144
	v_add_f32_e32 v100, v96, v97
	ds_read2_b64 v[96:99], v82 offset0:61 offset1:62
	buffer_load_dword v146, off, s[0:3], 0 offset:184
	buffer_load_dword v147, off, s[0:3], 0 offset:188
	;; [unrolled: 1-line block ×4, first 2 shown]
	v_mul_f32_e32 v3, v95, v145
	v_fma_f32 v3, v94, v144, -v3
	v_add_f32_e32 v2, v2, v3
	s_waitcnt vmcnt(2) lgkmcnt(0)
	v_mul_f32_e32 v101, v96, v147
	v_fmac_f32_e32 v101, v97, v146
	v_add_f32_e32 v100, v100, v101
	s_waitcnt vmcnt(0)
	v_mul_f32_e32 v101, v98, v149
	v_fmac_f32_e32 v101, v99, v148
	v_add_f32_e32 v104, v100, v101
	ds_read2_b64 v[100:103], v82 offset0:63 offset1:64
	buffer_load_dword v150, off, s[0:3], 0 offset:200
	buffer_load_dword v151, off, s[0:3], 0 offset:204
	;; [unrolled: 1-line block ×4, first 2 shown]
	v_mul_f32_e32 v3, v97, v147
	v_fma_f32 v3, v96, v146, -v3
	v_add_f32_e32 v2, v2, v3
	v_mul_f32_e32 v3, v99, v149
	v_fma_f32 v3, v98, v148, -v3
	v_add_f32_e32 v2, v2, v3
	s_waitcnt vmcnt(2) lgkmcnt(0)
	v_mul_f32_e32 v105, v100, v151
	v_fmac_f32_e32 v105, v101, v150
	v_add_f32_e32 v104, v104, v105
	s_waitcnt vmcnt(0)
	v_mul_f32_e32 v105, v102, v153
	v_fmac_f32_e32 v105, v103, v152
	v_add_f32_e32 v113, v104, v105
	ds_read2_b64 v[104:107], v82 offset0:65 offset1:66
	buffer_load_dword v154, off, s[0:3], 0 offset:216
	buffer_load_dword v155, off, s[0:3], 0 offset:220
	;; [unrolled: 1-line block ×6, first 2 shown]
	ds_read2_b64 v[108:111], v82 offset0:67 offset1:68
	buffer_load_dword v121, off, s[0:3], 0 offset:244
	buffer_load_dword v120, off, s[0:3], 0 offset:240
	;; [unrolled: 1-line block ×14, first 2 shown]
	v_mul_f32_e32 v3, v101, v151
	v_fma_f32 v3, v100, v150, -v3
	v_add_f32_e32 v2, v2, v3
	v_mul_f32_e32 v3, v103, v153
	v_fma_f32 v3, v102, v152, -v3
	v_add_f32_e32 v112, v2, v3
	s_waitcnt vmcnt(18) lgkmcnt(1)
	v_mul_f32_e32 v115, v104, v155
	s_waitcnt vmcnt(15)
	v_mov_b32_e32 v92, v119
	v_mul_f32_e32 v2, v105, v155
	s_waitcnt lgkmcnt(0)
	v_pk_mul_f32 v[92:93], v[108:109], v[92:93] op_sel_hi:[1,0]
	v_fmac_f32_e32 v115, v105, v154
	v_mul_f32_e32 v117, v106, v157
	v_fma_f32 v114, v104, v154, -v2
	v_mul_f32_e32 v2, v107, v157
	s_waitcnt vmcnt(14)
	v_pk_fma_f32 v[94:95], v[108:109], v[118:119], v[92:93] op_sel:[0,0,1] op_sel_hi:[1,1,0] neg_lo:[0,0,1] neg_hi:[0,0,1]
	v_pk_fma_f32 v[92:93], v[108:109], v[118:119], v[92:93] op_sel:[0,0,1] op_sel_hi:[1,0,0]
	v_fmac_f32_e32 v117, v107, v156
	v_fma_f32 v116, v106, v156, -v2
	ds_read2_b64 v[2:5], v82 offset0:69 offset1:70
	ds_read2_b64 v[84:87], v82 offset0:71 offset1:72
	;; [unrolled: 1-line block ×3, first 2 shown]
	v_pk_add_f32 v[82:83], v[112:113], v[114:115]
	s_waitcnt vmcnt(13)
	v_mov_b32_e32 v92, v121
	v_pk_add_f32 v[82:83], v[82:83], v[116:117]
	v_mov_b32_e32 v95, v93
	v_pk_mul_f32 v[92:93], v[110:111], v[92:93] op_sel_hi:[1,0]
	v_pk_add_f32 v[82:83], v[82:83], v[94:95]
	s_waitcnt vmcnt(12)
	v_pk_fma_f32 v[94:95], v[110:111], v[120:121], v[92:93] op_sel:[0,0,1] op_sel_hi:[1,1,0] neg_lo:[0,0,1] neg_hi:[0,0,1]
	v_pk_fma_f32 v[92:93], v[110:111], v[120:121], v[92:93] op_sel:[0,0,1] op_sel_hi:[1,0,0]
	s_waitcnt vmcnt(11)
	v_mov_b32_e32 v92, v123
	v_mov_b32_e32 v95, v93
	s_waitcnt lgkmcnt(2)
	v_pk_mul_f32 v[92:93], v[2:3], v[92:93] op_sel_hi:[1,0]
	v_pk_add_f32 v[82:83], v[82:83], v[94:95]
	s_waitcnt vmcnt(10)
	v_pk_fma_f32 v[94:95], v[2:3], v[122:123], v[92:93] op_sel:[0,0,1] op_sel_hi:[1,1,0] neg_lo:[0,0,1] neg_hi:[0,0,1]
	v_pk_fma_f32 v[2:3], v[2:3], v[122:123], v[92:93] op_sel:[0,0,1] op_sel_hi:[1,0,0]
	v_mov_b32_e32 v95, v3
	v_pk_add_f32 v[2:3], v[82:83], v[94:95]
	s_waitcnt vmcnt(9)
	v_mov_b32_e32 v82, v125
	v_pk_mul_f32 v[82:83], v[4:5], v[82:83] op_sel_hi:[1,0]
	s_waitcnt vmcnt(8)
	v_pk_fma_f32 v[92:93], v[4:5], v[124:125], v[82:83] op_sel:[0,0,1] op_sel_hi:[1,1,0] neg_lo:[0,0,1] neg_hi:[0,0,1]
	v_pk_fma_f32 v[4:5], v[4:5], v[124:125], v[82:83] op_sel:[0,0,1] op_sel_hi:[1,0,0]
	s_waitcnt vmcnt(7)
	v_mov_b32_e32 v4, v127
	v_mov_b32_e32 v93, v5
	s_waitcnt lgkmcnt(1)
	v_pk_mul_f32 v[4:5], v[84:85], v[4:5] op_sel_hi:[1,0]
	s_waitcnt vmcnt(6)
	v_pk_fma_f32 v[82:83], v[84:85], v[126:127], v[4:5] op_sel:[0,0,1] op_sel_hi:[1,1,0] neg_lo:[0,0,1] neg_hi:[0,0,1]
	v_pk_fma_f32 v[4:5], v[84:85], v[126:127], v[4:5] op_sel:[0,0,1] op_sel_hi:[1,0,0]
	s_waitcnt vmcnt(5)
	v_mov_b32_e32 v4, v129
	v_pk_add_f32 v[2:3], v[2:3], v[92:93]
	v_mov_b32_e32 v83, v5
	v_pk_mul_f32 v[4:5], v[86:87], v[4:5] op_sel_hi:[1,0]
	v_pk_add_f32 v[2:3], v[2:3], v[82:83]
	s_waitcnt vmcnt(4)
	v_pk_fma_f32 v[82:83], v[86:87], v[128:129], v[4:5] op_sel:[0,0,1] op_sel_hi:[1,1,0] neg_lo:[0,0,1] neg_hi:[0,0,1]
	v_pk_fma_f32 v[4:5], v[86:87], v[128:129], v[4:5] op_sel:[0,0,1] op_sel_hi:[1,0,0]
	s_waitcnt vmcnt(3)
	v_mov_b32_e32 v4, v131
	v_mov_b32_e32 v83, v5
	s_waitcnt lgkmcnt(0)
	v_pk_mul_f32 v[4:5], v[88:89], v[4:5] op_sel_hi:[1,0]
	v_pk_add_f32 v[2:3], v[2:3], v[82:83]
	s_waitcnt vmcnt(2)
	v_pk_fma_f32 v[82:83], v[88:89], v[130:131], v[4:5] op_sel:[0,0,1] op_sel_hi:[1,1,0] neg_lo:[0,0,1] neg_hi:[0,0,1]
	v_pk_fma_f32 v[4:5], v[88:89], v[130:131], v[4:5] op_sel:[0,0,1] op_sel_hi:[1,0,0]
	s_waitcnt vmcnt(1)
	v_mov_b32_e32 v4, v133
	v_mov_b32_e32 v83, v5
	v_pk_mul_f32 v[4:5], v[90:91], v[4:5] op_sel_hi:[1,0]
	v_pk_add_f32 v[2:3], v[2:3], v[82:83]
	s_waitcnt vmcnt(0)
	v_pk_fma_f32 v[82:83], v[90:91], v[132:133], v[4:5] op_sel:[0,0,1] op_sel_hi:[1,1,0] neg_lo:[0,0,1] neg_hi:[0,0,1]
	v_pk_fma_f32 v[4:5], v[90:91], v[132:133], v[4:5] op_sel:[0,0,1] op_sel_hi:[1,0,0]
	v_mov_b32_e32 v83, v5
	v_pk_add_f32 v[2:3], v[2:3], v[82:83]
	v_pk_add_f32 v[2:3], v[80:81], v[2:3] neg_lo:[0,1] neg_hi:[0,1]
	buffer_store_dword v3, off, s[0:3], 0 offset:116
	buffer_store_dword v2, off, s[0:3], 0 offset:112
	s_and_saveexec_b64 s[4:5], vcc
	s_cbranch_execz .LBB100_209
; %bb.208:
	buffer_load_dword v2, off, s[0:3], 0 offset:104
	buffer_load_dword v3, off, s[0:3], 0 offset:108
	v_mov_b32_e32 v4, 0
	buffer_store_dword v4, off, s[0:3], 0 offset:104
	buffer_store_dword v4, off, s[0:3], 0 offset:108
	s_waitcnt vmcnt(2)
	ds_write_b64 v1, v[2:3]
.LBB100_209:
	s_or_b64 exec, exec, s[4:5]
	s_waitcnt lgkmcnt(0)
	; wave barrier
	s_waitcnt lgkmcnt(0)
	buffer_load_dword v3, off, s[0:3], 0 offset:116
	buffer_load_dword v126, off, s[0:3], 0 offset:124
	;; [unrolled: 1-line block ×32, first 2 shown]
	v_mov_b32_e32 v2, 0
	buffer_load_dword v113, off, s[0:3], 0 offset:260
	buffer_load_dword v112, off, s[0:3], 0 offset:256
	buffer_load_dword v115, off, s[0:3], 0 offset:252
	buffer_load_dword v114, off, s[0:3], 0 offset:248
	buffer_load_dword v117, off, s[0:3], 0 offset:244
	buffer_load_dword v116, off, s[0:3], 0 offset:240
	buffer_load_dword v119, off, s[0:3], 0 offset:236
	buffer_load_dword v118, off, s[0:3], 0 offset:232
	buffer_load_dword v121, off, s[0:3], 0 offset:268
	buffer_load_dword v123, off, s[0:3], 0 offset:292
	buffer_load_dword v122, off, s[0:3], 0 offset:288
	buffer_load_dword v125, off, s[0:3], 0 offset:284
	buffer_load_dword v124, off, s[0:3], 0 offset:280
	ds_read_b128 v[80:83], v2 offset:416
	ds_read_b128 v[84:87], v2 offset:432
	;; [unrolled: 1-line block ×8, first 2 shown]
	v_cmp_lt_u32_e32 vcc, 12, v0
	s_waitcnt vmcnt(44) lgkmcnt(7)
	v_mul_f32_e32 v120, v80, v3
	s_waitcnt vmcnt(43)
	v_mul_f32_e32 v127, v82, v126
	s_waitcnt vmcnt(42) lgkmcnt(6)
	v_mul_f32_e32 v128, v84, v130
	s_waitcnt vmcnt(41)
	v_mul_f32_e32 v129, v86, v132
	;; [unrolled: 4-line block ×6, first 2 shown]
	s_waitcnt vmcnt(32) lgkmcnt(1)
	v_mul_f32_e32 v166, v104, v142
	s_waitcnt vmcnt(31)
	v_fmac_f32_e32 v120, v81, v143
	s_waitcnt vmcnt(30)
	v_fmac_f32_e32 v127, v83, v144
	v_add_f32_e32 v120, 0, v120
	s_waitcnt vmcnt(29)
	v_fmac_f32_e32 v128, v85, v145
	v_add_f32_e32 v120, v120, v127
	;; [unrolled: 3-line block ×12, first 2 shown]
	v_add_f32_e32 v127, v120, v166
	buffer_load_dword v129, off, s[0:3], 0 offset:276
	buffer_load_dword v128, off, s[0:3], 0 offset:272
	;; [unrolled: 1-line block ×3, first 2 shown]
	v_mul_f32_e32 v3, v81, v3
	v_fma_f32 v3, v80, v143, -v3
	v_mul_f32_e32 v80, v83, v126
	v_add_f32_e32 v3, 0, v3
	v_fma_f32 v80, v82, v144, -v80
	v_add_f32_e32 v3, v3, v80
	v_mul_f32_e32 v80, v85, v130
	v_fma_f32 v80, v84, v145, -v80
	v_add_f32_e32 v3, v3, v80
	v_mul_f32_e32 v80, v87, v132
	;; [unrolled: 3-line block ×11, first 2 shown]
	v_fma_f32 v80, v104, v155, -v80
	s_waitcnt vmcnt(9)
	v_mov_b32_e32 v96, v119
	v_mul_f32_e32 v131, v106, v156
	v_add_f32_e32 v126, v3, v80
	v_mul_f32_e32 v3, v107, v156
	s_waitcnt lgkmcnt(0)
	v_pk_mul_f32 v[96:97], v[110:111], v[96:97] op_sel_hi:[1,0]
	v_fmac_f32_e32 v131, v107, v157
	v_mul_f32_e32 v133, v108, v158
	v_fma_f32 v130, v106, v157, -v3
	v_mul_f32_e32 v3, v109, v158
	ds_read_b128 v[80:83], v2 offset:544
	ds_read_b128 v[84:87], v2 offset:560
	;; [unrolled: 1-line block ×3, first 2 shown]
	ds_read_b64 v[92:93], v2 offset:592
	s_waitcnt vmcnt(8)
	v_pk_fma_f32 v[98:99], v[110:111], v[118:119], v[96:97] op_sel:[0,0,1] op_sel_hi:[1,1,0] neg_lo:[0,0,1] neg_hi:[0,0,1]
	v_pk_fma_f32 v[96:97], v[110:111], v[118:119], v[96:97] op_sel:[0,0,1] op_sel_hi:[1,0,0]
	v_fmac_f32_e32 v133, v109, v159
	v_fma_f32 v132, v108, v159, -v3
	v_pk_add_f32 v[94:95], v[126:127], v[130:131]
	v_mov_b32_e32 v96, v117
	v_pk_add_f32 v[94:95], v[94:95], v[132:133]
	v_mov_b32_e32 v99, v97
	s_waitcnt lgkmcnt(3)
	v_pk_mul_f32 v[96:97], v[80:81], v[96:97] op_sel_hi:[1,0]
	v_pk_add_f32 v[94:95], v[94:95], v[98:99]
	v_pk_fma_f32 v[98:99], v[80:81], v[116:117], v[96:97] op_sel:[0,0,1] op_sel_hi:[1,1,0] neg_lo:[0,0,1] neg_hi:[0,0,1]
	v_pk_fma_f32 v[80:81], v[80:81], v[116:117], v[96:97] op_sel:[0,0,1] op_sel_hi:[1,0,0]
	v_mov_b32_e32 v99, v81
	v_pk_add_f32 v[80:81], v[94:95], v[98:99]
	v_mov_b32_e32 v94, v115
	v_pk_mul_f32 v[94:95], v[82:83], v[94:95] op_sel_hi:[1,0]
	v_pk_fma_f32 v[96:97], v[82:83], v[114:115], v[94:95] op_sel:[0,0,1] op_sel_hi:[1,1,0] neg_lo:[0,0,1] neg_hi:[0,0,1]
	v_pk_fma_f32 v[82:83], v[82:83], v[114:115], v[94:95] op_sel:[0,0,1] op_sel_hi:[1,0,0]
	v_mov_b32_e32 v82, v113
	v_mov_b32_e32 v97, v83
	s_waitcnt lgkmcnt(2)
	v_pk_mul_f32 v[82:83], v[84:85], v[82:83] op_sel_hi:[1,0]
	v_pk_fma_f32 v[94:95], v[84:85], v[112:113], v[82:83] op_sel:[0,0,1] op_sel_hi:[1,1,0] neg_lo:[0,0,1] neg_hi:[0,0,1]
	v_pk_fma_f32 v[82:83], v[84:85], v[112:113], v[82:83] op_sel:[0,0,1] op_sel_hi:[1,0,0]
	s_waitcnt vmcnt(7)
	v_mov_b32_e32 v82, v121
	v_mov_b32_e32 v95, v83
	v_pk_mul_f32 v[82:83], v[86:87], v[82:83] op_sel_hi:[1,0]
	v_pk_add_f32 v[80:81], v[80:81], v[96:97]
	v_pk_add_f32 v[80:81], v[80:81], v[94:95]
	s_waitcnt vmcnt(0)
	v_pk_fma_f32 v[84:85], v[86:87], v[120:121], v[82:83] op_sel:[0,0,1] op_sel_hi:[1,1,0] neg_lo:[0,0,1] neg_hi:[0,0,1]
	v_pk_fma_f32 v[82:83], v[86:87], v[120:121], v[82:83] op_sel:[0,0,1] op_sel_hi:[1,0,0]
	v_mov_b32_e32 v82, v129
	v_mov_b32_e32 v85, v83
	s_waitcnt lgkmcnt(1)
	v_pk_mul_f32 v[82:83], v[88:89], v[82:83] op_sel_hi:[1,0]
	v_pk_add_f32 v[80:81], v[80:81], v[84:85]
	v_pk_fma_f32 v[84:85], v[88:89], v[128:129], v[82:83] op_sel:[0,0,1] op_sel_hi:[1,1,0] neg_lo:[0,0,1] neg_hi:[0,0,1]
	v_pk_fma_f32 v[82:83], v[88:89], v[128:129], v[82:83] op_sel:[0,0,1] op_sel_hi:[1,0,0]
	v_mov_b32_e32 v82, v125
	v_mov_b32_e32 v85, v83
	v_pk_mul_f32 v[82:83], v[90:91], v[82:83] op_sel_hi:[1,0]
	v_pk_add_f32 v[80:81], v[80:81], v[84:85]
	v_pk_fma_f32 v[84:85], v[90:91], v[124:125], v[82:83] op_sel:[0,0,1] op_sel_hi:[1,1,0] neg_lo:[0,0,1] neg_hi:[0,0,1]
	v_pk_fma_f32 v[82:83], v[90:91], v[124:125], v[82:83] op_sel:[0,0,1] op_sel_hi:[1,0,0]
	v_mov_b32_e32 v82, v123
	v_mov_b32_e32 v85, v83
	s_waitcnt lgkmcnt(0)
	v_pk_mul_f32 v[82:83], v[92:93], v[82:83] op_sel_hi:[1,0]
	v_pk_add_f32 v[80:81], v[80:81], v[84:85]
	v_pk_fma_f32 v[84:85], v[92:93], v[122:123], v[82:83] op_sel:[0,0,1] op_sel_hi:[1,1,0] neg_lo:[0,0,1] neg_hi:[0,0,1]
	v_pk_fma_f32 v[82:83], v[92:93], v[122:123], v[82:83] op_sel:[0,0,1] op_sel_hi:[1,0,0]
	v_mov_b32_e32 v85, v83
	v_pk_add_f32 v[80:81], v[80:81], v[84:85]
	v_pk_add_f32 v[4:5], v[4:5], v[80:81] neg_lo:[0,1] neg_hi:[0,1]
	buffer_store_dword v5, off, s[0:3], 0 offset:108
	buffer_store_dword v4, off, s[0:3], 0 offset:104
	s_and_saveexec_b64 s[4:5], vcc
	s_cbranch_execz .LBB100_211
; %bb.210:
	buffer_load_dword v4, off, s[0:3], 0 offset:96
	buffer_load_dword v5, off, s[0:3], 0 offset:100
	s_waitcnt vmcnt(0)
	ds_write_b64 v1, v[4:5]
	buffer_store_dword v2, off, s[0:3], 0 offset:96
	buffer_store_dword v2, off, s[0:3], 0 offset:100
.LBB100_211:
	s_or_b64 exec, exec, s[4:5]
	s_waitcnt lgkmcnt(0)
	; wave barrier
	s_waitcnt lgkmcnt(0)
	buffer_load_dword v3, off, s[0:3], 0 offset:108
	buffer_load_dword v4, off, s[0:3], 0 offset:116
	buffer_load_dword v5, off, s[0:3], 0 offset:124
	buffer_load_dword v128, off, s[0:3], 0 offset:132
	buffer_load_dword v130, off, s[0:3], 0 offset:140
	buffer_load_dword v132, off, s[0:3], 0 offset:148
	buffer_load_dword v136, off, s[0:3], 0 offset:156
	buffer_load_dword v137, off, s[0:3], 0 offset:164
	buffer_load_dword v138, off, s[0:3], 0 offset:172
	buffer_load_dword v139, off, s[0:3], 0 offset:180
	buffer_load_dword v140, off, s[0:3], 0 offset:188
	buffer_load_dword v141, off, s[0:3], 0 offset:196
	buffer_load_dword v142, off, s[0:3], 0 offset:204
	buffer_load_dword v143, off, s[0:3], 0 offset:212
	buffer_load_dword v144, off, s[0:3], 0 offset:104
	buffer_load_dword v145, off, s[0:3], 0 offset:112
	buffer_load_dword v146, off, s[0:3], 0 offset:120
	buffer_load_dword v147, off, s[0:3], 0 offset:128
	buffer_load_dword v148, off, s[0:3], 0 offset:136
	buffer_load_dword v149, off, s[0:3], 0 offset:144
	buffer_load_dword v150, off, s[0:3], 0 offset:152
	buffer_load_dword v151, off, s[0:3], 0 offset:160
	buffer_load_dword v152, off, s[0:3], 0 offset:168
	buffer_load_dword v153, off, s[0:3], 0 offset:176
	buffer_load_dword v154, off, s[0:3], 0 offset:184
	buffer_load_dword v155, off, s[0:3], 0 offset:192
	buffer_load_dword v156, off, s[0:3], 0 offset:200
	buffer_load_dword v157, off, s[0:3], 0 offset:208
	buffer_load_dword v158, off, s[0:3], 0 offset:220
	buffer_load_dword v159, off, s[0:3], 0 offset:216
	buffer_load_dword v160, off, s[0:3], 0 offset:228
	buffer_load_dword v161, off, s[0:3], 0 offset:224
	buffer_load_dword v112, off, s[0:3], 0 offset:96
	buffer_load_dword v113, off, s[0:3], 0 offset:100
	ds_read2_b64 v[80:83], v2 offset0:51 offset1:52
	ds_read2_b64 v[84:87], v2 offset0:53 offset1:54
	;; [unrolled: 1-line block ×8, first 2 shown]
	buffer_load_dword v115, off, s[0:3], 0 offset:252
	buffer_load_dword v114, off, s[0:3], 0 offset:248
	;; [unrolled: 1-line block ×9, first 2 shown]
	v_cmp_lt_u32_e32 vcc, 11, v0
	s_waitcnt vmcnt(42) lgkmcnt(7)
	v_mul_f32_e32 v120, v80, v3
	s_waitcnt vmcnt(41)
	v_mul_f32_e32 v124, v82, v4
	s_waitcnt vmcnt(40) lgkmcnt(6)
	v_mul_f32_e32 v125, v84, v5
	s_waitcnt vmcnt(39)
	v_mul_f32_e32 v126, v86, v128
	;; [unrolled: 4-line block ×6, first 2 shown]
	s_waitcnt vmcnt(30) lgkmcnt(1)
	v_mul_f32_e32 v164, v104, v142
	v_mul_f32_e32 v3, v81, v3
	s_waitcnt vmcnt(28)
	v_fmac_f32_e32 v120, v81, v144
	s_waitcnt vmcnt(27)
	v_fmac_f32_e32 v124, v83, v145
	v_add_f32_e32 v120, 0, v120
	s_waitcnt vmcnt(26)
	v_fmac_f32_e32 v125, v85, v146
	v_add_f32_e32 v120, v120, v124
	;; [unrolled: 3-line block ×12, first 2 shown]
	v_add_f32_e32 v129, v120, v164
	buffer_load_dword v125, off, s[0:3], 0 offset:276
	buffer_load_dword v124, off, s[0:3], 0 offset:272
	;; [unrolled: 1-line block ×7, first 2 shown]
	v_fma_f32 v3, v80, v144, -v3
	v_mul_f32_e32 v4, v83, v4
	v_add_f32_e32 v3, 0, v3
	v_fma_f32 v4, v82, v145, -v4
	v_add_f32_e32 v3, v3, v4
	v_mul_f32_e32 v4, v85, v5
	v_fma_f32 v4, v84, v146, -v4
	v_add_f32_e32 v3, v3, v4
	v_mul_f32_e32 v4, v87, v128
	;; [unrolled: 3-line block ×12, first 2 shown]
	s_waitcnt vmcnt(22)
	v_fma_f32 v4, v106, v157, -v4
	v_add_f32_e32 v128, v3, v4
	s_waitcnt vmcnt(21) lgkmcnt(0)
	v_mul_f32_e32 v3, v109, v158
	s_waitcnt vmcnt(20)
	v_fma_f32 v130, v108, v159, -v3
	s_waitcnt vmcnt(19)
	v_mul_f32_e32 v3, v111, v160
	v_mul_f32_e32 v165, v106, v143
	s_waitcnt vmcnt(18)
	v_fma_f32 v132, v110, v161, -v3
	ds_read2_b64 v[80:83], v2 offset0:67 offset1:68
	ds_read2_b64 v[84:87], v2 offset0:69 offset1:70
	;; [unrolled: 1-line block ×4, first 2 shown]
	v_fmac_f32_e32 v165, v107, v157
	v_mul_f32_e32 v131, v108, v158
	s_waitcnt vmcnt(11)
	v_mov_b32_e32 v94, v119
	v_add_f32_e32 v129, v129, v165
	v_fmac_f32_e32 v131, v109, v159
	v_mul_f32_e32 v133, v110, v160
	s_waitcnt lgkmcnt(3)
	v_pk_mul_f32 v[94:95], v[80:81], v[94:95] op_sel_hi:[1,0]
	v_fmac_f32_e32 v133, v111, v161
	v_pk_add_f32 v[92:93], v[128:129], v[130:131]
	s_waitcnt vmcnt(10)
	v_pk_fma_f32 v[96:97], v[80:81], v[118:119], v[94:95] op_sel:[0,0,1] op_sel_hi:[1,1,0] neg_lo:[0,0,1] neg_hi:[0,0,1]
	v_pk_fma_f32 v[80:81], v[80:81], v[118:119], v[94:95] op_sel:[0,0,1] op_sel_hi:[1,0,0]
	v_pk_add_f32 v[92:93], v[92:93], v[132:133]
	v_mov_b32_e32 v97, v81
	v_pk_add_f32 v[80:81], v[92:93], v[96:97]
	v_mov_b32_e32 v92, v117
	v_pk_mul_f32 v[92:93], v[82:83], v[92:93] op_sel_hi:[1,0]
	v_pk_fma_f32 v[94:95], v[82:83], v[116:117], v[92:93] op_sel:[0,0,1] op_sel_hi:[1,1,0] neg_lo:[0,0,1] neg_hi:[0,0,1]
	v_pk_fma_f32 v[82:83], v[82:83], v[116:117], v[92:93] op_sel:[0,0,1] op_sel_hi:[1,0,0]
	v_mov_b32_e32 v82, v115
	v_mov_b32_e32 v95, v83
	s_waitcnt lgkmcnt(2)
	v_pk_mul_f32 v[82:83], v[84:85], v[82:83] op_sel_hi:[1,0]
	v_pk_fma_f32 v[92:93], v[84:85], v[114:115], v[82:83] op_sel:[0,0,1] op_sel_hi:[1,1,0] neg_lo:[0,0,1] neg_hi:[0,0,1]
	v_pk_fma_f32 v[82:83], v[84:85], v[114:115], v[82:83] op_sel:[0,0,1] op_sel_hi:[1,0,0]
	s_waitcnt vmcnt(9)
	v_mov_b32_e32 v82, v121
	v_mov_b32_e32 v93, v83
	v_pk_mul_f32 v[82:83], v[86:87], v[82:83] op_sel_hi:[1,0]
	v_pk_add_f32 v[80:81], v[80:81], v[94:95]
	v_pk_add_f32 v[80:81], v[80:81], v[92:93]
	s_waitcnt vmcnt(2)
	v_pk_fma_f32 v[84:85], v[86:87], v[120:121], v[82:83] op_sel:[0,0,1] op_sel_hi:[1,1,0] neg_lo:[0,0,1] neg_hi:[0,0,1]
	v_pk_fma_f32 v[82:83], v[86:87], v[120:121], v[82:83] op_sel:[0,0,1] op_sel_hi:[1,0,0]
	v_mov_b32_e32 v82, v127
	v_mov_b32_e32 v85, v83
	s_waitcnt lgkmcnt(1)
	v_pk_mul_f32 v[82:83], v[88:89], v[82:83] op_sel_hi:[1,0]
	v_pk_add_f32 v[80:81], v[80:81], v[84:85]
	v_pk_fma_f32 v[84:85], v[88:89], v[126:127], v[82:83] op_sel:[0,0,1] op_sel_hi:[1,1,0] neg_lo:[0,0,1] neg_hi:[0,0,1]
	v_pk_fma_f32 v[82:83], v[88:89], v[126:127], v[82:83] op_sel:[0,0,1] op_sel_hi:[1,0,0]
	v_mov_b32_e32 v82, v125
	v_mov_b32_e32 v85, v83
	v_pk_mul_f32 v[82:83], v[90:91], v[82:83] op_sel_hi:[1,0]
	v_pk_add_f32 v[80:81], v[80:81], v[84:85]
	v_pk_fma_f32 v[84:85], v[90:91], v[124:125], v[82:83] op_sel:[0,0,1] op_sel_hi:[1,1,0] neg_lo:[0,0,1] neg_hi:[0,0,1]
	v_pk_fma_f32 v[82:83], v[90:91], v[124:125], v[82:83] op_sel:[0,0,1] op_sel_hi:[1,0,0]
	v_mov_b32_e32 v82, v123
	v_mov_b32_e32 v85, v83
	s_waitcnt lgkmcnt(0)
	v_pk_mul_f32 v[82:83], v[2:3], v[82:83] op_sel_hi:[1,0]
	v_pk_add_f32 v[80:81], v[80:81], v[84:85]
	v_pk_fma_f32 v[84:85], v[2:3], v[122:123], v[82:83] op_sel:[0,0,1] op_sel_hi:[1,1,0] neg_lo:[0,0,1] neg_hi:[0,0,1]
	v_pk_fma_f32 v[2:3], v[2:3], v[122:123], v[82:83] op_sel:[0,0,1] op_sel_hi:[1,0,0]
	v_mov_b32_e32 v85, v3
	v_pk_add_f32 v[2:3], v[80:81], v[84:85]
	s_waitcnt vmcnt(1)
	v_mov_b32_e32 v80, v135
	v_pk_mul_f32 v[80:81], v[4:5], v[80:81] op_sel_hi:[1,0]
	s_waitcnt vmcnt(0)
	v_pk_fma_f32 v[82:83], v[4:5], v[134:135], v[80:81] op_sel:[0,0,1] op_sel_hi:[1,1,0] neg_lo:[0,0,1] neg_hi:[0,0,1]
	v_pk_fma_f32 v[4:5], v[4:5], v[134:135], v[80:81] op_sel:[0,0,1] op_sel_hi:[1,0,0]
	v_mov_b32_e32 v83, v5
	v_pk_add_f32 v[2:3], v[2:3], v[82:83]
	v_pk_add_f32 v[2:3], v[112:113], v[2:3] neg_lo:[0,1] neg_hi:[0,1]
	buffer_store_dword v3, off, s[0:3], 0 offset:100
	buffer_store_dword v2, off, s[0:3], 0 offset:96
	s_and_saveexec_b64 s[4:5], vcc
	s_cbranch_execz .LBB100_213
; %bb.212:
	buffer_load_dword v2, off, s[0:3], 0 offset:88
	buffer_load_dword v3, off, s[0:3], 0 offset:92
	v_mov_b32_e32 v4, 0
	buffer_store_dword v4, off, s[0:3], 0 offset:88
	buffer_store_dword v4, off, s[0:3], 0 offset:92
	s_waitcnt vmcnt(2)
	ds_write_b64 v1, v[2:3]
.LBB100_213:
	s_or_b64 exec, exec, s[4:5]
	s_waitcnt lgkmcnt(0)
	; wave barrier
	s_waitcnt lgkmcnt(0)
	buffer_load_dword v5, off, s[0:3], 0 offset:100
	buffer_load_dword v132, off, s[0:3], 0 offset:108
	buffer_load_dword v134, off, s[0:3], 0 offset:116
	buffer_load_dword v136, off, s[0:3], 0 offset:124
	buffer_load_dword v142, off, s[0:3], 0 offset:132
	buffer_load_dword v143, off, s[0:3], 0 offset:140
	buffer_load_dword v144, off, s[0:3], 0 offset:148
	buffer_load_dword v145, off, s[0:3], 0 offset:156
	buffer_load_dword v146, off, s[0:3], 0 offset:164
	buffer_load_dword v147, off, s[0:3], 0 offset:172
	buffer_load_dword v148, off, s[0:3], 0 offset:180
	buffer_load_dword v149, off, s[0:3], 0 offset:188
	buffer_load_dword v150, off, s[0:3], 0 offset:196
	buffer_load_dword v151, off, s[0:3], 0 offset:204
	buffer_load_dword v152, off, s[0:3], 0 offset:212
	buffer_load_dword v153, off, s[0:3], 0 offset:96
	buffer_load_dword v154, off, s[0:3], 0 offset:104
	buffer_load_dword v155, off, s[0:3], 0 offset:112
	buffer_load_dword v156, off, s[0:3], 0 offset:120
	buffer_load_dword v157, off, s[0:3], 0 offset:128
	buffer_load_dword v158, off, s[0:3], 0 offset:136
	buffer_load_dword v159, off, s[0:3], 0 offset:144
	buffer_load_dword v160, off, s[0:3], 0 offset:152
	buffer_load_dword v161, off, s[0:3], 0 offset:160
	buffer_load_dword v162, off, s[0:3], 0 offset:168
	buffer_load_dword v163, off, s[0:3], 0 offset:176
	buffer_load_dword v164, off, s[0:3], 0 offset:184
	buffer_load_dword v165, off, s[0:3], 0 offset:192
	buffer_load_dword v166, off, s[0:3], 0 offset:200
	buffer_load_dword v167, off, s[0:3], 0 offset:208
	buffer_load_dword v168, off, s[0:3], 0 offset:220
	buffer_load_dword v169, off, s[0:3], 0 offset:216
	buffer_load_dword v170, off, s[0:3], 0 offset:228
	buffer_load_dword v171, off, s[0:3], 0 offset:224
	buffer_load_dword v2, off, s[0:3], 0 offset:88
	buffer_load_dword v3, off, s[0:3], 0 offset:92
	v_mov_b32_e32 v4, 0
	buffer_load_dword v121, off, s[0:3], 0 offset:244
	buffer_load_dword v120, off, s[0:3], 0 offset:240
	;; [unrolled: 1-line block ×5, first 2 shown]
	ds_read_b128 v[80:83], v4 offset:400
	ds_read_b128 v[84:87], v4 offset:416
	;; [unrolled: 1-line block ×8, first 2 shown]
	v_cmp_lt_u32_e32 vcc, 10, v0
	s_waitcnt vmcnt(40) lgkmcnt(7)
	v_mul_f32_e32 v112, v80, v5
	s_waitcnt vmcnt(39)
	v_mul_f32_e32 v113, v82, v132
	s_waitcnt vmcnt(38) lgkmcnt(6)
	v_mul_f32_e32 v114, v84, v134
	s_waitcnt vmcnt(37)
	v_mul_f32_e32 v115, v86, v136
	;; [unrolled: 4-line block ×7, first 2 shown]
	s_waitcnt vmcnt(26) lgkmcnt(0)
	v_mul_f32_e32 v133, v108, v152
	s_waitcnt vmcnt(25)
	v_fmac_f32_e32 v112, v81, v153
	s_waitcnt vmcnt(24)
	v_fmac_f32_e32 v113, v83, v154
	v_add_f32_e32 v112, 0, v112
	s_waitcnt vmcnt(23)
	v_fmac_f32_e32 v114, v85, v155
	v_add_f32_e32 v112, v112, v113
	;; [unrolled: 3-line block ×13, first 2 shown]
	v_add_f32_e32 v116, v112, v130
	buffer_load_dword v127, off, s[0:3], 0 offset:276
	buffer_load_dword v126, off, s[0:3], 0 offset:272
	;; [unrolled: 1-line block ×7, first 2 shown]
	s_waitcnt vmcnt(18)
	v_fmac_f32_e32 v133, v109, v167
	ds_read_b128 v[112:115], v4 offset:528
	v_add_f32_e32 v133, v116, v133
	ds_read_b128 v[116:119], v4 offset:544
	buffer_load_dword v139, off, s[0:3], 0 offset:292
	buffer_load_dword v138, off, s[0:3], 0 offset:288
	;; [unrolled: 1-line block ×4, first 2 shown]
	v_mul_f32_e32 v5, v81, v5
	v_fma_f32 v5, v80, v153, -v5
	v_mul_f32_e32 v80, v83, v132
	v_add_f32_e32 v5, 0, v5
	v_fma_f32 v80, v82, v154, -v80
	v_add_f32_e32 v5, v5, v80
	v_mul_f32_e32 v80, v85, v134
	v_fma_f32 v80, v84, v155, -v80
	v_add_f32_e32 v5, v5, v80
	v_mul_f32_e32 v80, v87, v136
	;; [unrolled: 3-line block ×13, first 2 shown]
	v_fma_f32 v80, v108, v167, -v80
	s_waitcnt vmcnt(13)
	v_mov_b32_e32 v92, v123
	v_mul_f32_e32 v135, v110, v168
	v_add_f32_e32 v132, v5, v80
	v_mul_f32_e32 v5, v111, v168
	s_waitcnt lgkmcnt(1)
	v_pk_mul_f32 v[92:93], v[114:115], v[92:93] op_sel_hi:[1,0]
	v_fmac_f32_e32 v135, v111, v169
	v_mul_f32_e32 v137, v112, v170
	v_fma_f32 v134, v110, v169, -v5
	v_mul_f32_e32 v5, v113, v170
	s_waitcnt vmcnt(12)
	v_pk_fma_f32 v[94:95], v[114:115], v[122:123], v[92:93] op_sel:[0,0,1] op_sel_hi:[1,1,0] neg_lo:[0,0,1] neg_hi:[0,0,1]
	v_pk_fma_f32 v[92:93], v[114:115], v[122:123], v[92:93] op_sel:[0,0,1] op_sel_hi:[1,0,0]
	v_fmac_f32_e32 v137, v113, v171
	v_fma_f32 v136, v112, v171, -v5
	v_pk_add_f32 v[90:91], v[132:133], v[134:135]
	v_mov_b32_e32 v92, v121
	v_pk_add_f32 v[90:91], v[90:91], v[136:137]
	v_mov_b32_e32 v95, v93
	s_waitcnt lgkmcnt(0)
	v_pk_mul_f32 v[92:93], v[116:117], v[92:93] op_sel_hi:[1,0]
	v_pk_add_f32 v[90:91], v[90:91], v[94:95]
	v_pk_fma_f32 v[94:95], v[116:117], v[120:121], v[92:93] op_sel:[0,0,1] op_sel_hi:[1,1,0] neg_lo:[0,0,1] neg_hi:[0,0,1]
	v_pk_fma_f32 v[92:93], v[116:117], v[120:121], v[92:93] op_sel:[0,0,1] op_sel_hi:[1,0,0]
	s_waitcnt vmcnt(11)
	v_mov_b32_e32 v92, v125
	ds_read_b128 v[80:83], v4 offset:560
	ds_read_b128 v[84:87], v4 offset:576
	ds_read_b64 v[88:89], v4 offset:592
	v_mov_b32_e32 v95, v93
	v_pk_mul_f32 v[92:93], v[118:119], v[92:93] op_sel_hi:[1,0]
	v_pk_add_f32 v[90:91], v[90:91], v[94:95]
	s_waitcnt vmcnt(4)
	v_pk_fma_f32 v[94:95], v[118:119], v[124:125], v[92:93] op_sel:[0,0,1] op_sel_hi:[1,1,0] neg_lo:[0,0,1] neg_hi:[0,0,1]
	v_pk_fma_f32 v[92:93], v[118:119], v[124:125], v[92:93] op_sel:[0,0,1] op_sel_hi:[1,0,0]
	v_mov_b32_e32 v92, v131
	v_mov_b32_e32 v95, v93
	s_waitcnt lgkmcnt(2)
	v_pk_mul_f32 v[92:93], v[80:81], v[92:93] op_sel_hi:[1,0]
	v_pk_add_f32 v[90:91], v[90:91], v[94:95]
	v_pk_fma_f32 v[94:95], v[80:81], v[130:131], v[92:93] op_sel:[0,0,1] op_sel_hi:[1,1,0] neg_lo:[0,0,1] neg_hi:[0,0,1]
	v_pk_fma_f32 v[80:81], v[80:81], v[130:131], v[92:93] op_sel:[0,0,1] op_sel_hi:[1,0,0]
	v_mov_b32_e32 v95, v81
	v_pk_add_f32 v[80:81], v[90:91], v[94:95]
	v_mov_b32_e32 v90, v129
	v_pk_mul_f32 v[90:91], v[82:83], v[90:91] op_sel_hi:[1,0]
	v_pk_fma_f32 v[92:93], v[82:83], v[128:129], v[90:91] op_sel:[0,0,1] op_sel_hi:[1,1,0] neg_lo:[0,0,1] neg_hi:[0,0,1]
	v_pk_fma_f32 v[82:83], v[82:83], v[128:129], v[90:91] op_sel:[0,0,1] op_sel_hi:[1,0,0]
	v_mov_b32_e32 v82, v127
	v_mov_b32_e32 v93, v83
	s_waitcnt lgkmcnt(1)
	v_pk_mul_f32 v[82:83], v[84:85], v[82:83] op_sel_hi:[1,0]
	v_pk_fma_f32 v[90:91], v[84:85], v[126:127], v[82:83] op_sel:[0,0,1] op_sel_hi:[1,1,0] neg_lo:[0,0,1] neg_hi:[0,0,1]
	v_pk_fma_f32 v[82:83], v[84:85], v[126:127], v[82:83] op_sel:[0,0,1] op_sel_hi:[1,0,0]
	s_waitcnt vmcnt(1)
	v_mov_b32_e32 v82, v141
	v_mov_b32_e32 v91, v83
	v_pk_mul_f32 v[82:83], v[86:87], v[82:83] op_sel_hi:[1,0]
	s_waitcnt vmcnt(0)
	v_pk_fma_f32 v[84:85], v[86:87], v[140:141], v[82:83] op_sel:[0,0,1] op_sel_hi:[1,1,0] neg_lo:[0,0,1] neg_hi:[0,0,1]
	v_pk_fma_f32 v[82:83], v[86:87], v[140:141], v[82:83] op_sel:[0,0,1] op_sel_hi:[1,0,0]
	v_pk_add_f32 v[80:81], v[80:81], v[92:93]
	v_mov_b32_e32 v82, v139
	v_pk_add_f32 v[80:81], v[80:81], v[90:91]
	v_mov_b32_e32 v85, v83
	s_waitcnt lgkmcnt(0)
	v_pk_mul_f32 v[82:83], v[88:89], v[82:83] op_sel_hi:[1,0]
	v_pk_add_f32 v[80:81], v[80:81], v[84:85]
	v_pk_fma_f32 v[84:85], v[88:89], v[138:139], v[82:83] op_sel:[0,0,1] op_sel_hi:[1,1,0] neg_lo:[0,0,1] neg_hi:[0,0,1]
	v_pk_fma_f32 v[82:83], v[88:89], v[138:139], v[82:83] op_sel:[0,0,1] op_sel_hi:[1,0,0]
	v_mov_b32_e32 v85, v83
	v_pk_add_f32 v[80:81], v[80:81], v[84:85]
	v_pk_add_f32 v[2:3], v[2:3], v[80:81] neg_lo:[0,1] neg_hi:[0,1]
	buffer_store_dword v3, off, s[0:3], 0 offset:92
	buffer_store_dword v2, off, s[0:3], 0 offset:88
	s_and_saveexec_b64 s[4:5], vcc
	s_cbranch_execz .LBB100_215
; %bb.214:
	buffer_load_dword v2, off, s[0:3], 0 offset:80
	buffer_load_dword v3, off, s[0:3], 0 offset:84
	s_waitcnt vmcnt(0)
	ds_write_b64 v1, v[2:3]
	buffer_store_dword v4, off, s[0:3], 0 offset:80
	buffer_store_dword v4, off, s[0:3], 0 offset:84
.LBB100_215:
	s_or_b64 exec, exec, s[4:5]
	s_waitcnt lgkmcnt(0)
	; wave barrier
	s_waitcnt lgkmcnt(0)
	buffer_load_dword v2, off, s[0:3], 0 offset:92
	buffer_load_dword v3, off, s[0:3], 0 offset:100
	;; [unrolled: 1-line block ×38, first 2 shown]
	ds_read2_b64 v[80:83], v4 offset0:49 offset1:50
	ds_read2_b64 v[84:87], v4 offset0:51 offset1:52
	;; [unrolled: 1-line block ×8, first 2 shown]
	buffer_load_dword v123, off, s[0:3], 0 offset:236
	buffer_load_dword v122, off, s[0:3], 0 offset:232
	;; [unrolled: 1-line block ×4, first 2 shown]
	v_cmp_lt_u32_e32 vcc, 9, v0
	s_waitcnt vmcnt(41) lgkmcnt(7)
	v_mul_f32_e32 v112, v80, v2
	s_waitcnt vmcnt(40)
	v_mul_f32_e32 v113, v82, v3
	s_waitcnt vmcnt(39) lgkmcnt(6)
	v_mul_f32_e32 v114, v84, v5
	s_waitcnt vmcnt(38)
	v_mul_f32_e32 v115, v86, v132
	;; [unrolled: 4-line block ×7, first 2 shown]
	s_waitcnt vmcnt(27) lgkmcnt(0)
	v_mul_f32_e32 v133, v108, v152
	s_waitcnt vmcnt(26)
	v_fmac_f32_e32 v112, v81, v153
	s_waitcnt vmcnt(25)
	v_fmac_f32_e32 v113, v83, v154
	v_add_f32_e32 v112, 0, v112
	s_waitcnt vmcnt(24)
	v_fmac_f32_e32 v114, v85, v155
	v_add_f32_e32 v112, v112, v113
	;; [unrolled: 3-line block ×13, first 2 shown]
	v_add_f32_e32 v112, v112, v131
	buffer_load_dword v127, off, s[0:3], 0 offset:260
	buffer_load_dword v126, off, s[0:3], 0 offset:256
	;; [unrolled: 1-line block ×6, first 2 shown]
	s_waitcnt vmcnt(18)
	v_fmac_f32_e32 v133, v109, v167
	s_waitcnt vmcnt(17)
	v_mul_f32_e32 v117, v110, v168
	v_add_f32_e32 v116, v112, v133
	s_waitcnt vmcnt(16)
	v_fmac_f32_e32 v117, v111, v169
	ds_read2_b64 v[112:115], v4 offset0:65 offset1:66
	v_add_f32_e32 v133, v116, v117
	ds_read2_b64 v[116:119], v4 offset0:67 offset1:68
	buffer_load_dword v139, off, s[0:3], 0 offset:292
	buffer_load_dword v138, off, s[0:3], 0 offset:288
	;; [unrolled: 1-line block ×6, first 2 shown]
	v_mul_f32_e32 v2, v81, v2
	v_fma_f32 v2, v80, v153, -v2
	v_mul_f32_e32 v3, v83, v3
	v_add_f32_e32 v2, 0, v2
	v_fma_f32 v3, v82, v154, -v3
	v_add_f32_e32 v2, v2, v3
	v_mul_f32_e32 v3, v85, v5
	v_fma_f32 v3, v84, v155, -v3
	v_add_f32_e32 v2, v2, v3
	v_mul_f32_e32 v3, v87, v132
	;; [unrolled: 3-line block ×14, first 2 shown]
	v_fma_f32 v3, v110, v169, -v3
	s_waitcnt vmcnt(15)
	v_mov_b32_e32 v90, v123
	s_waitcnt lgkmcnt(1)
	v_mul_f32_e32 v135, v112, v170
	v_add_f32_e32 v132, v2, v3
	v_mul_f32_e32 v2, v113, v170
	s_waitcnt lgkmcnt(0)
	v_pk_mul_f32 v[90:91], v[116:117], v[90:91] op_sel_hi:[1,0]
	v_fmac_f32_e32 v135, v113, v171
	v_mul_f32_e32 v137, v114, v172
	v_fma_f32 v134, v112, v171, -v2
	v_mul_f32_e32 v2, v115, v172
	s_waitcnt vmcnt(14)
	v_pk_fma_f32 v[92:93], v[116:117], v[122:123], v[90:91] op_sel:[0,0,1] op_sel_hi:[1,1,0] neg_lo:[0,0,1] neg_hi:[0,0,1]
	v_pk_fma_f32 v[90:91], v[116:117], v[122:123], v[90:91] op_sel:[0,0,1] op_sel_hi:[1,0,0]
	v_fmac_f32_e32 v137, v115, v173
	v_fma_f32 v136, v114, v173, -v2
	v_pk_add_f32 v[88:89], v[132:133], v[134:135]
	ds_read2_b64 v[80:83], v4 offset0:69 offset1:70
	ds_read2_b64 v[84:87], v4 offset0:71 offset1:72
	;; [unrolled: 1-line block ×3, first 2 shown]
	v_pk_add_f32 v[88:89], v[88:89], v[136:137]
	v_mov_b32_e32 v93, v91
	v_pk_add_f32 v[88:89], v[88:89], v[92:93]
	s_waitcnt vmcnt(7)
	v_mov_b32_e32 v90, v131
	v_pk_mul_f32 v[90:91], v[118:119], v[90:91] op_sel_hi:[1,0]
	s_waitcnt vmcnt(6)
	v_pk_fma_f32 v[92:93], v[118:119], v[130:131], v[90:91] op_sel:[0,0,1] op_sel_hi:[1,1,0] neg_lo:[0,0,1] neg_hi:[0,0,1]
	v_pk_fma_f32 v[90:91], v[118:119], v[130:131], v[90:91] op_sel:[0,0,1] op_sel_hi:[1,0,0]
	v_mov_b32_e32 v90, v129
	v_mov_b32_e32 v93, v91
	s_waitcnt lgkmcnt(2)
	v_pk_mul_f32 v[90:91], v[80:81], v[90:91] op_sel_hi:[1,0]
	v_pk_add_f32 v[88:89], v[88:89], v[92:93]
	v_pk_fma_f32 v[92:93], v[80:81], v[128:129], v[90:91] op_sel:[0,0,1] op_sel_hi:[1,1,0] neg_lo:[0,0,1] neg_hi:[0,0,1]
	v_pk_fma_f32 v[80:81], v[80:81], v[128:129], v[90:91] op_sel:[0,0,1] op_sel_hi:[1,0,0]
	v_mov_b32_e32 v93, v81
	v_pk_add_f32 v[80:81], v[88:89], v[92:93]
	v_mov_b32_e32 v88, v127
	v_pk_mul_f32 v[88:89], v[82:83], v[88:89] op_sel_hi:[1,0]
	v_pk_fma_f32 v[90:91], v[82:83], v[126:127], v[88:89] op_sel:[0,0,1] op_sel_hi:[1,1,0] neg_lo:[0,0,1] neg_hi:[0,0,1]
	v_pk_fma_f32 v[82:83], v[82:83], v[126:127], v[88:89] op_sel:[0,0,1] op_sel_hi:[1,0,0]
	v_mov_b32_e32 v82, v125
	v_mov_b32_e32 v91, v83
	s_waitcnt lgkmcnt(1)
	v_pk_mul_f32 v[82:83], v[84:85], v[82:83] op_sel_hi:[1,0]
	v_pk_fma_f32 v[88:89], v[84:85], v[124:125], v[82:83] op_sel:[0,0,1] op_sel_hi:[1,1,0] neg_lo:[0,0,1] neg_hi:[0,0,1]
	v_pk_fma_f32 v[82:83], v[84:85], v[124:125], v[82:83] op_sel:[0,0,1] op_sel_hi:[1,0,0]
	s_waitcnt vmcnt(1)
	v_mov_b32_e32 v82, v143
	v_mov_b32_e32 v89, v83
	v_pk_mul_f32 v[82:83], v[86:87], v[82:83] op_sel_hi:[1,0]
	s_waitcnt vmcnt(0)
	v_pk_fma_f32 v[84:85], v[86:87], v[142:143], v[82:83] op_sel:[0,0,1] op_sel_hi:[1,1,0] neg_lo:[0,0,1] neg_hi:[0,0,1]
	v_pk_fma_f32 v[82:83], v[86:87], v[142:143], v[82:83] op_sel:[0,0,1] op_sel_hi:[1,0,0]
	v_pk_add_f32 v[80:81], v[80:81], v[90:91]
	v_mov_b32_e32 v82, v141
	v_pk_add_f32 v[80:81], v[80:81], v[88:89]
	v_mov_b32_e32 v85, v83
	s_waitcnt lgkmcnt(0)
	v_pk_mul_f32 v[82:83], v[2:3], v[82:83] op_sel_hi:[1,0]
	v_pk_add_f32 v[80:81], v[80:81], v[84:85]
	v_pk_fma_f32 v[84:85], v[2:3], v[140:141], v[82:83] op_sel:[0,0,1] op_sel_hi:[1,1,0] neg_lo:[0,0,1] neg_hi:[0,0,1]
	v_pk_fma_f32 v[2:3], v[2:3], v[140:141], v[82:83] op_sel:[0,0,1] op_sel_hi:[1,0,0]
	v_mov_b32_e32 v85, v3
	v_pk_add_f32 v[2:3], v[80:81], v[84:85]
	v_mov_b32_e32 v80, v139
	v_pk_mul_f32 v[80:81], v[4:5], v[80:81] op_sel_hi:[1,0]
	v_pk_fma_f32 v[82:83], v[4:5], v[138:139], v[80:81] op_sel:[0,0,1] op_sel_hi:[1,1,0] neg_lo:[0,0,1] neg_hi:[0,0,1]
	v_pk_fma_f32 v[4:5], v[4:5], v[138:139], v[80:81] op_sel:[0,0,1] op_sel_hi:[1,0,0]
	v_mov_b32_e32 v83, v5
	v_pk_add_f32 v[2:3], v[2:3], v[82:83]
	v_pk_add_f32 v[2:3], v[120:121], v[2:3] neg_lo:[0,1] neg_hi:[0,1]
	buffer_store_dword v3, off, s[0:3], 0 offset:84
	buffer_store_dword v2, off, s[0:3], 0 offset:80
	s_and_saveexec_b64 s[4:5], vcc
	s_cbranch_execz .LBB100_217
; %bb.216:
	buffer_load_dword v2, off, s[0:3], 0 offset:72
	buffer_load_dword v3, off, s[0:3], 0 offset:76
	v_mov_b32_e32 v4, 0
	buffer_store_dword v4, off, s[0:3], 0 offset:72
	buffer_store_dword v4, off, s[0:3], 0 offset:76
	s_waitcnt vmcnt(2)
	ds_write_b64 v1, v[2:3]
.LBB100_217:
	s_or_b64 exec, exec, s[4:5]
	s_waitcnt lgkmcnt(0)
	; wave barrier
	s_waitcnt lgkmcnt(0)
	buffer_load_dword v5, off, s[0:3], 0 offset:84
	buffer_load_dword v128, off, s[0:3], 0 offset:92
	;; [unrolled: 1-line block ×40, first 2 shown]
	v_mov_b32_e32 v4, 0
	ds_read_b128 v[80:83], v4 offset:384
	ds_read_b128 v[84:87], v4 offset:400
	;; [unrolled: 1-line block ×8, first 2 shown]
	v_cmp_lt_u32_e32 vcc, 8, v0
	s_waitcnt vmcnt(39) lgkmcnt(7)
	v_mul_f32_e32 v112, v80, v5
	s_waitcnt vmcnt(38)
	v_mul_f32_e32 v113, v82, v128
	s_waitcnt vmcnt(37) lgkmcnt(6)
	v_mul_f32_e32 v114, v84, v130
	s_waitcnt vmcnt(36)
	v_mul_f32_e32 v115, v86, v132
	;; [unrolled: 4-line block ×8, first 2 shown]
	s_waitcnt vmcnt(23)
	v_fmac_f32_e32 v112, v81, v154
	s_waitcnt vmcnt(22)
	v_fmac_f32_e32 v113, v83, v155
	v_add_f32_e32 v112, 0, v112
	s_waitcnt vmcnt(21)
	v_fmac_f32_e32 v114, v85, v156
	v_add_f32_e32 v112, v112, v113
	;; [unrolled: 3-line block ×14, first 2 shown]
	v_add_f32_e32 v112, v112, v126
	s_waitcnt vmcnt(8)
	v_fmac_f32_e32 v127, v111, v169
	v_add_f32_e32 v129, v112, v127
	ds_read_b128 v[112:115], v4 offset:512
	buffer_load_dword v121, off, s[0:3], 0 offset:236
	buffer_load_dword v123, off, s[0:3], 0 offset:260
	;; [unrolled: 1-line block ×8, first 2 shown]
	ds_read_b128 v[116:119], v4 offset:528
	buffer_load_dword v135, off, s[0:3], 0 offset:292
	buffer_load_dword v134, off, s[0:3], 0 offset:288
	buffer_load_dword v137, off, s[0:3], 0 offset:284
	buffer_load_dword v136, off, s[0:3], 0 offset:280
	buffer_load_dword v139, off, s[0:3], 0 offset:276
	buffer_load_dword v138, off, s[0:3], 0 offset:272
	buffer_load_dword v141, off, s[0:3], 0 offset:268
	buffer_load_dword v140, off, s[0:3], 0 offset:264
	v_mul_f32_e32 v5, v81, v5
	v_fma_f32 v5, v80, v154, -v5
	v_mul_f32_e32 v80, v83, v128
	v_add_f32_e32 v5, 0, v5
	v_fma_f32 v80, v82, v155, -v80
	v_add_f32_e32 v5, v5, v80
	v_mul_f32_e32 v80, v85, v130
	v_fma_f32 v80, v84, v156, -v80
	v_add_f32_e32 v5, v5, v80
	v_mul_f32_e32 v80, v87, v132
	;; [unrolled: 3-line block ×14, first 2 shown]
	v_fma_f32 v80, v110, v169, -v80
	s_waitcnt vmcnt(23) lgkmcnt(1)
	v_mul_f32_e32 v131, v112, v170
	v_add_f32_e32 v5, v5, v80
	v_mul_f32_e32 v80, v113, v170
	s_waitcnt vmcnt(22)
	v_fmac_f32_e32 v131, v113, v171
	v_fma_f32 v80, v112, v171, -v80
	v_add_f32_e32 v129, v129, v131
	s_waitcnt vmcnt(21)
	v_mul_f32_e32 v131, v114, v172
	v_add_f32_e32 v128, v5, v80
	v_mul_f32_e32 v5, v115, v172
	s_waitcnt vmcnt(20)
	v_fmac_f32_e32 v131, v115, v173
	s_waitcnt vmcnt(19) lgkmcnt(0)
	v_mul_f32_e32 v133, v116, v174
	v_fma_f32 v130, v114, v173, -v5
	v_mul_f32_e32 v5, v117, v174
	ds_read_b128 v[80:83], v4 offset:544
	ds_read_b128 v[84:87], v4 offset:560
	;; [unrolled: 1-line block ×3, first 2 shown]
	ds_read_b64 v[92:93], v4 offset:592
	s_waitcnt vmcnt(18)
	v_fmac_f32_e32 v133, v117, v175
	v_fma_f32 v132, v116, v175, -v5
	v_pk_add_f32 v[94:95], v[128:129], v[130:131]
	v_pk_add_f32 v[94:95], v[94:95], v[132:133]
	s_waitcnt vmcnt(15)
	v_mov_b32_e32 v96, v121
	v_pk_mul_f32 v[96:97], v[118:119], v[96:97] op_sel_hi:[1,0]
	s_waitcnt vmcnt(8)
	v_pk_fma_f32 v[98:99], v[118:119], v[120:121], v[96:97] op_sel:[0,0,1] op_sel_hi:[1,1,0] neg_lo:[0,0,1] neg_hi:[0,0,1]
	v_pk_fma_f32 v[96:97], v[118:119], v[120:121], v[96:97] op_sel:[0,0,1] op_sel_hi:[1,0,0]
	v_mov_b32_e32 v96, v127
	v_mov_b32_e32 v99, v97
	s_waitcnt lgkmcnt(3)
	v_pk_mul_f32 v[96:97], v[80:81], v[96:97] op_sel_hi:[1,0]
	v_pk_add_f32 v[94:95], v[94:95], v[98:99]
	v_pk_fma_f32 v[98:99], v[80:81], v[126:127], v[96:97] op_sel:[0,0,1] op_sel_hi:[1,1,0] neg_lo:[0,0,1] neg_hi:[0,0,1]
	v_pk_fma_f32 v[80:81], v[80:81], v[126:127], v[96:97] op_sel:[0,0,1] op_sel_hi:[1,0,0]
	v_mov_b32_e32 v99, v81
	v_pk_add_f32 v[80:81], v[94:95], v[98:99]
	v_mov_b32_e32 v94, v125
	v_pk_mul_f32 v[94:95], v[82:83], v[94:95] op_sel_hi:[1,0]
	v_pk_fma_f32 v[96:97], v[82:83], v[124:125], v[94:95] op_sel:[0,0,1] op_sel_hi:[1,1,0] neg_lo:[0,0,1] neg_hi:[0,0,1]
	v_pk_fma_f32 v[82:83], v[82:83], v[124:125], v[94:95] op_sel:[0,0,1] op_sel_hi:[1,0,0]
	v_mov_b32_e32 v82, v123
	v_mov_b32_e32 v97, v83
	s_waitcnt lgkmcnt(2)
	v_pk_mul_f32 v[82:83], v[84:85], v[82:83] op_sel_hi:[1,0]
	v_pk_fma_f32 v[94:95], v[84:85], v[122:123], v[82:83] op_sel:[0,0,1] op_sel_hi:[1,1,0] neg_lo:[0,0,1] neg_hi:[0,0,1]
	v_pk_fma_f32 v[82:83], v[84:85], v[122:123], v[82:83] op_sel:[0,0,1] op_sel_hi:[1,0,0]
	s_waitcnt vmcnt(1)
	v_mov_b32_e32 v82, v141
	v_mov_b32_e32 v95, v83
	v_pk_mul_f32 v[82:83], v[86:87], v[82:83] op_sel_hi:[1,0]
	s_waitcnt vmcnt(0)
	v_pk_fma_f32 v[84:85], v[86:87], v[140:141], v[82:83] op_sel:[0,0,1] op_sel_hi:[1,1,0] neg_lo:[0,0,1] neg_hi:[0,0,1]
	v_pk_fma_f32 v[82:83], v[86:87], v[140:141], v[82:83] op_sel:[0,0,1] op_sel_hi:[1,0,0]
	v_pk_add_f32 v[80:81], v[80:81], v[96:97]
	v_mov_b32_e32 v82, v139
	v_pk_add_f32 v[80:81], v[80:81], v[94:95]
	v_mov_b32_e32 v85, v83
	s_waitcnt lgkmcnt(1)
	v_pk_mul_f32 v[82:83], v[88:89], v[82:83] op_sel_hi:[1,0]
	v_pk_add_f32 v[80:81], v[80:81], v[84:85]
	v_pk_fma_f32 v[84:85], v[88:89], v[138:139], v[82:83] op_sel:[0,0,1] op_sel_hi:[1,1,0] neg_lo:[0,0,1] neg_hi:[0,0,1]
	v_pk_fma_f32 v[82:83], v[88:89], v[138:139], v[82:83] op_sel:[0,0,1] op_sel_hi:[1,0,0]
	v_mov_b32_e32 v82, v137
	v_mov_b32_e32 v85, v83
	v_pk_mul_f32 v[82:83], v[90:91], v[82:83] op_sel_hi:[1,0]
	v_pk_add_f32 v[80:81], v[80:81], v[84:85]
	v_pk_fma_f32 v[84:85], v[90:91], v[136:137], v[82:83] op_sel:[0,0,1] op_sel_hi:[1,1,0] neg_lo:[0,0,1] neg_hi:[0,0,1]
	v_pk_fma_f32 v[82:83], v[90:91], v[136:137], v[82:83] op_sel:[0,0,1] op_sel_hi:[1,0,0]
	v_mov_b32_e32 v82, v135
	v_mov_b32_e32 v85, v83
	s_waitcnt lgkmcnt(0)
	v_pk_mul_f32 v[82:83], v[92:93], v[82:83] op_sel_hi:[1,0]
	v_pk_add_f32 v[80:81], v[80:81], v[84:85]
	v_pk_fma_f32 v[84:85], v[92:93], v[134:135], v[82:83] op_sel:[0,0,1] op_sel_hi:[1,1,0] neg_lo:[0,0,1] neg_hi:[0,0,1]
	v_pk_fma_f32 v[82:83], v[92:93], v[134:135], v[82:83] op_sel:[0,0,1] op_sel_hi:[1,0,0]
	v_mov_b32_e32 v85, v83
	v_pk_add_f32 v[80:81], v[80:81], v[84:85]
	v_pk_add_f32 v[2:3], v[2:3], v[80:81] neg_lo:[0,1] neg_hi:[0,1]
	buffer_store_dword v3, off, s[0:3], 0 offset:76
	buffer_store_dword v2, off, s[0:3], 0 offset:72
	s_and_saveexec_b64 s[4:5], vcc
	s_cbranch_execz .LBB100_219
; %bb.218:
	buffer_load_dword v2, off, s[0:3], 0 offset:64
	buffer_load_dword v3, off, s[0:3], 0 offset:68
	s_waitcnt vmcnt(0)
	ds_write_b64 v1, v[2:3]
	buffer_store_dword v4, off, s[0:3], 0 offset:64
	buffer_store_dword v4, off, s[0:3], 0 offset:68
.LBB100_219:
	s_or_b64 exec, exec, s[4:5]
	s_waitcnt lgkmcnt(0)
	; wave barrier
	s_waitcnt lgkmcnt(0)
	buffer_load_dword v5, off, s[0:3], 0 offset:76
	buffer_load_dword v120, off, s[0:3], 0 offset:84
	;; [unrolled: 1-line block ×42, first 2 shown]
	ds_read2_b64 v[80:83], v4 offset0:47 offset1:48
	ds_read2_b64 v[84:87], v4 offset0:49 offset1:50
	ds_read2_b64 v[88:91], v4 offset0:51 offset1:52
	ds_read2_b64 v[92:95], v4 offset0:53 offset1:54
	ds_read2_b64 v[96:99], v4 offset0:55 offset1:56
	ds_read2_b64 v[100:103], v4 offset0:57 offset1:58
	ds_read2_b64 v[104:107], v4 offset0:59 offset1:60
	ds_read2_b64 v[108:111], v4 offset0:61 offset1:62
	v_cmp_lt_u32_e32 vcc, 7, v0
	s_waitcnt vmcnt(41) lgkmcnt(7)
	v_mul_f32_e32 v112, v80, v5
	s_waitcnt vmcnt(40)
	v_mul_f32_e32 v113, v82, v120
	s_waitcnt vmcnt(39) lgkmcnt(6)
	v_mul_f32_e32 v114, v84, v122
	s_waitcnt vmcnt(38)
	v_mul_f32_e32 v115, v86, v130
	;; [unrolled: 4-line block ×7, first 2 shown]
	s_waitcnt vmcnt(27) lgkmcnt(0)
	v_mul_f32_e32 v128, v108, v152
	s_waitcnt vmcnt(26)
	v_fmac_f32_e32 v112, v81, v153
	s_waitcnt vmcnt(25)
	v_fmac_f32_e32 v113, v83, v154
	v_add_f32_e32 v112, 0, v112
	s_waitcnt vmcnt(24)
	v_fmac_f32_e32 v114, v85, v155
	v_add_f32_e32 v112, v112, v113
	;; [unrolled: 3-line block ×14, first 2 shown]
	s_waitcnt vmcnt(11)
	v_mul_f32_e32 v117, v110, v168
	v_add_f32_e32 v116, v112, v128
	s_waitcnt vmcnt(10)
	v_fmac_f32_e32 v117, v111, v169
	ds_read2_b64 v[112:115], v4 offset0:63 offset1:64
	v_add_f32_e32 v121, v116, v117
	ds_read2_b64 v[116:119], v4 offset0:65 offset1:66
	buffer_load_dword v125, off, s[0:3], 0 offset:236
	buffer_load_dword v127, off, s[0:3], 0 offset:252
	;; [unrolled: 1-line block ×16, first 2 shown]
	v_mul_f32_e32 v5, v81, v5
	v_fma_f32 v5, v80, v153, -v5
	v_mul_f32_e32 v80, v83, v120
	v_add_f32_e32 v5, 0, v5
	v_fma_f32 v80, v82, v154, -v80
	v_add_f32_e32 v5, v5, v80
	v_mul_f32_e32 v80, v85, v122
	v_fma_f32 v80, v84, v155, -v80
	v_add_f32_e32 v5, v5, v80
	v_mul_f32_e32 v80, v87, v130
	;; [unrolled: 3-line block ×14, first 2 shown]
	v_fma_f32 v80, v110, v169, -v80
	v_add_f32_e32 v5, v5, v80
	s_waitcnt vmcnt(25) lgkmcnt(1)
	v_mul_f32_e32 v80, v113, v170
	s_waitcnt vmcnt(24)
	v_fma_f32 v80, v112, v171, -v80
	v_add_f32_e32 v5, v5, v80
	s_waitcnt vmcnt(23)
	v_mul_f32_e32 v80, v115, v172
	s_waitcnt vmcnt(22)
	v_fma_f32 v80, v114, v173, -v80
	v_add_f32_e32 v120, v5, v80
	ds_read2_b64 v[80:83], v4 offset0:67 offset1:68
	ds_read2_b64 v[84:87], v4 offset0:69 offset1:70
	ds_read2_b64 v[88:91], v4 offset0:71 offset1:72
	ds_read2_b64 v[92:95], v4 offset0:73 offset1:74
	v_mul_f32_e32 v123, v112, v170
	v_fmac_f32_e32 v123, v113, v171
	v_add_f32_e32 v121, v121, v123
	v_mul_f32_e32 v123, v114, v172
	v_fmac_f32_e32 v123, v115, v173
	v_add_f32_e32 v121, v121, v123
	s_waitcnt vmcnt(21) lgkmcnt(4)
	v_mul_f32_e32 v123, v116, v174
	v_mul_f32_e32 v5, v117, v174
	s_waitcnt vmcnt(20)
	v_fmac_f32_e32 v123, v117, v175
	s_waitcnt vmcnt(19)
	v_mul_f32_e32 v131, v118, v176
	v_fma_f32 v122, v116, v175, -v5
	v_mul_f32_e32 v5, v119, v176
	s_waitcnt vmcnt(18)
	v_fmac_f32_e32 v131, v119, v177
	v_fma_f32 v130, v118, v177, -v5
	v_pk_add_f32 v[4:5], v[120:121], v[122:123]
	v_pk_add_f32 v[4:5], v[4:5], v[130:131]
	s_waitcnt vmcnt(15)
	v_mov_b32_e32 v96, v125
	s_waitcnt lgkmcnt(3)
	v_pk_mul_f32 v[96:97], v[80:81], v[96:97] op_sel_hi:[1,0]
	s_waitcnt vmcnt(10)
	v_pk_fma_f32 v[98:99], v[80:81], v[124:125], v[96:97] op_sel:[0,0,1] op_sel_hi:[1,1,0] neg_lo:[0,0,1] neg_hi:[0,0,1]
	v_pk_fma_f32 v[80:81], v[80:81], v[124:125], v[96:97] op_sel:[0,0,1] op_sel_hi:[1,0,0]
	v_mov_b32_e32 v80, v129
	v_mov_b32_e32 v99, v81
	v_pk_mul_f32 v[80:81], v[82:83], v[80:81] op_sel_hi:[1,0]
	v_pk_fma_f32 v[96:97], v[82:83], v[128:129], v[80:81] op_sel:[0,0,1] op_sel_hi:[1,1,0] neg_lo:[0,0,1] neg_hi:[0,0,1]
	v_pk_fma_f32 v[80:81], v[82:83], v[128:129], v[80:81] op_sel:[0,0,1] op_sel_hi:[1,0,0]
	v_mov_b32_e32 v80, v127
	v_mov_b32_e32 v97, v81
	s_waitcnt lgkmcnt(2)
	v_pk_mul_f32 v[80:81], v[84:85], v[80:81] op_sel_hi:[1,0]
	v_pk_fma_f32 v[82:83], v[84:85], v[126:127], v[80:81] op_sel:[0,0,1] op_sel_hi:[1,1,0] neg_lo:[0,0,1] neg_hi:[0,0,1]
	v_pk_fma_f32 v[80:81], v[84:85], v[126:127], v[80:81] op_sel:[0,0,1] op_sel_hi:[1,0,0]
	v_pk_add_f32 v[4:5], v[4:5], v[98:99]
	s_waitcnt vmcnt(3)
	v_mov_b32_e32 v80, v139
	v_pk_add_f32 v[4:5], v[4:5], v[96:97]
	v_mov_b32_e32 v83, v81
	v_pk_mul_f32 v[80:81], v[86:87], v[80:81] op_sel_hi:[1,0]
	v_pk_add_f32 v[4:5], v[4:5], v[82:83]
	s_waitcnt vmcnt(2)
	v_pk_fma_f32 v[82:83], v[86:87], v[138:139], v[80:81] op_sel:[0,0,1] op_sel_hi:[1,1,0] neg_lo:[0,0,1] neg_hi:[0,0,1]
	v_pk_fma_f32 v[80:81], v[86:87], v[138:139], v[80:81] op_sel:[0,0,1] op_sel_hi:[1,0,0]
	v_mov_b32_e32 v80, v137
	v_mov_b32_e32 v83, v81
	s_waitcnt lgkmcnt(1)
	v_pk_mul_f32 v[80:81], v[88:89], v[80:81] op_sel_hi:[1,0]
	v_pk_add_f32 v[4:5], v[4:5], v[82:83]
	v_pk_fma_f32 v[82:83], v[88:89], v[136:137], v[80:81] op_sel:[0,0,1] op_sel_hi:[1,1,0] neg_lo:[0,0,1] neg_hi:[0,0,1]
	v_pk_fma_f32 v[80:81], v[88:89], v[136:137], v[80:81] op_sel:[0,0,1] op_sel_hi:[1,0,0]
	v_mov_b32_e32 v80, v135
	v_mov_b32_e32 v83, v81
	v_pk_mul_f32 v[80:81], v[90:91], v[80:81] op_sel_hi:[1,0]
	v_pk_add_f32 v[4:5], v[4:5], v[82:83]
	v_pk_fma_f32 v[82:83], v[90:91], v[134:135], v[80:81] op_sel:[0,0,1] op_sel_hi:[1,1,0] neg_lo:[0,0,1] neg_hi:[0,0,1]
	v_pk_fma_f32 v[80:81], v[90:91], v[134:135], v[80:81] op_sel:[0,0,1] op_sel_hi:[1,0,0]
	v_mov_b32_e32 v80, v133
	v_mov_b32_e32 v83, v81
	s_waitcnt lgkmcnt(0)
	v_pk_mul_f32 v[80:81], v[92:93], v[80:81] op_sel_hi:[1,0]
	v_pk_add_f32 v[4:5], v[4:5], v[82:83]
	v_pk_fma_f32 v[82:83], v[92:93], v[132:133], v[80:81] op_sel:[0,0,1] op_sel_hi:[1,1,0] neg_lo:[0,0,1] neg_hi:[0,0,1]
	v_pk_fma_f32 v[80:81], v[92:93], v[132:133], v[80:81] op_sel:[0,0,1] op_sel_hi:[1,0,0]
	s_waitcnt vmcnt(1)
	v_mov_b32_e32 v80, v141
	v_mov_b32_e32 v83, v81
	v_pk_mul_f32 v[80:81], v[94:95], v[80:81] op_sel_hi:[1,0]
	v_pk_add_f32 v[4:5], v[4:5], v[82:83]
	s_waitcnt vmcnt(0)
	v_pk_fma_f32 v[82:83], v[94:95], v[140:141], v[80:81] op_sel:[0,0,1] op_sel_hi:[1,1,0] neg_lo:[0,0,1] neg_hi:[0,0,1]
	v_pk_fma_f32 v[80:81], v[94:95], v[140:141], v[80:81] op_sel:[0,0,1] op_sel_hi:[1,0,0]
	v_mov_b32_e32 v83, v81
	v_pk_add_f32 v[4:5], v[4:5], v[82:83]
	v_pk_add_f32 v[2:3], v[2:3], v[4:5] neg_lo:[0,1] neg_hi:[0,1]
	buffer_store_dword v3, off, s[0:3], 0 offset:68
	buffer_store_dword v2, off, s[0:3], 0 offset:64
	s_and_saveexec_b64 s[4:5], vcc
	s_cbranch_execz .LBB100_221
; %bb.220:
	buffer_load_dword v2, off, s[0:3], 0 offset:56
	buffer_load_dword v3, off, s[0:3], 0 offset:60
	v_mov_b32_e32 v4, 0
	buffer_store_dword v4, off, s[0:3], 0 offset:56
	buffer_store_dword v4, off, s[0:3], 0 offset:60
	s_waitcnt vmcnt(2)
	ds_write_b64 v1, v[2:3]
.LBB100_221:
	s_or_b64 exec, exec, s[4:5]
	s_waitcnt lgkmcnt(0)
	; wave barrier
	s_waitcnt lgkmcnt(0)
	buffer_load_dword v5, off, s[0:3], 0 offset:68
	buffer_load_dword v128, off, s[0:3], 0 offset:76
	;; [unrolled: 1-line block ×44, first 2 shown]
	v_mov_b32_e32 v4, 0
	ds_read_b128 v[80:83], v4 offset:368
	ds_read_b128 v[84:87], v4 offset:384
	ds_read_b128 v[88:91], v4 offset:400
	ds_read_b128 v[92:95], v4 offset:416
	ds_read_b128 v[96:99], v4 offset:432
	ds_read_b128 v[100:103], v4 offset:448
	ds_read_b128 v[104:107], v4 offset:464
	ds_read_b128 v[108:111], v4 offset:480
	v_cmp_lt_u32_e32 vcc, 6, v0
	s_waitcnt vmcnt(43) lgkmcnt(7)
	v_mul_f32_e32 v112, v80, v5
	s_waitcnt vmcnt(42)
	v_mul_f32_e32 v113, v82, v128
	s_waitcnt vmcnt(41) lgkmcnt(6)
	v_mul_f32_e32 v114, v84, v134
	s_waitcnt vmcnt(40)
	v_mul_f32_e32 v115, v86, v136
	;; [unrolled: 4-line block ×7, first 2 shown]
	s_waitcnt vmcnt(29)
	v_fmac_f32_e32 v112, v81, v160
	s_waitcnt vmcnt(28)
	v_fmac_f32_e32 v113, v83, v161
	v_add_f32_e32 v112, 0, v112
	s_waitcnt vmcnt(27)
	v_fmac_f32_e32 v114, v85, v162
	v_add_f32_e32 v112, v112, v113
	;; [unrolled: 3-line block ×12, first 2 shown]
	v_add_f32_e32 v112, v112, v124
	s_waitcnt vmcnt(16)
	v_fmac_f32_e32 v125, v107, v173
	s_waitcnt vmcnt(15) lgkmcnt(0)
	v_mul_f32_e32 v113, v108, v174
	v_add_f32_e32 v112, v112, v125
	s_waitcnt vmcnt(14)
	v_fmac_f32_e32 v113, v109, v175
	v_add_f32_e32 v116, v112, v113
	ds_read_b128 v[112:115], v4 offset:496
	s_waitcnt vmcnt(13)
	v_mul_f32_e32 v117, v110, v176
	s_waitcnt vmcnt(12)
	v_fmac_f32_e32 v117, v111, v177
	v_add_f32_e32 v120, v116, v117
	ds_read_b128 v[116:119], v4 offset:512
	s_waitcnt vmcnt(11) lgkmcnt(1)
	v_mul_f32_e32 v121, v112, v178
	s_waitcnt vmcnt(10)
	v_fmac_f32_e32 v121, v113, v179
	v_add_f32_e32 v120, v120, v121
	s_waitcnt vmcnt(9)
	v_mul_f32_e32 v121, v114, v180
	s_waitcnt vmcnt(8)
	v_fmac_f32_e32 v121, v115, v181
	v_add_f32_e32 v120, v120, v121
	s_waitcnt vmcnt(7) lgkmcnt(0)
	v_mul_f32_e32 v121, v116, v182
	s_waitcnt vmcnt(6)
	v_fmac_f32_e32 v121, v117, v183
	v_add_f32_e32 v129, v120, v121
	ds_read_b128 v[120:123], v4 offset:528
	buffer_load_dword v131, off, s[0:3], 0 offset:244
	buffer_load_dword v130, off, s[0:3], 0 offset:240
	;; [unrolled: 1-line block ×4, first 2 shown]
	ds_read_b128 v[124:127], v4 offset:544
	buffer_load_dword v139, off, s[0:3], 0 offset:276
	buffer_load_dword v138, off, s[0:3], 0 offset:272
	;; [unrolled: 1-line block ×12, first 2 shown]
	v_mul_f32_e32 v5, v81, v5
	v_fma_f32 v5, v80, v160, -v5
	v_mul_f32_e32 v80, v83, v128
	v_add_f32_e32 v5, 0, v5
	v_fma_f32 v80, v82, v161, -v80
	v_add_f32_e32 v5, v5, v80
	v_mul_f32_e32 v80, v85, v134
	v_fma_f32 v80, v84, v162, -v80
	v_add_f32_e32 v5, v5, v80
	v_mul_f32_e32 v80, v87, v136
	;; [unrolled: 3-line block ×17, first 2 shown]
	v_fma_f32 v80, v116, v183, -v80
	s_waitcnt vmcnt(21)
	v_mul_f32_e32 v135, v118, v184
	v_add_f32_e32 v128, v5, v80
	v_mul_f32_e32 v5, v119, v184
	s_waitcnt vmcnt(20)
	v_fmac_f32_e32 v135, v119, v185
	s_waitcnt vmcnt(19) lgkmcnt(1)
	v_mul_f32_e32 v137, v120, v186
	v_fma_f32 v134, v118, v185, -v5
	v_mul_f32_e32 v5, v121, v186
	s_waitcnt vmcnt(18)
	v_fmac_f32_e32 v137, v121, v187
	v_fma_f32 v136, v120, v187, -v5
	v_pk_add_f32 v[90:91], v[128:129], v[134:135]
	v_pk_add_f32 v[90:91], v[90:91], v[136:137]
	ds_read_b128 v[80:83], v4 offset:560
	ds_read_b128 v[84:87], v4 offset:576
	ds_read_b64 v[88:89], v4 offset:592
	s_waitcnt vmcnt(13)
	v_mov_b32_e32 v92, v133
	v_pk_mul_f32 v[92:93], v[122:123], v[92:93] op_sel_hi:[1,0]
	s_waitcnt vmcnt(12)
	v_pk_fma_f32 v[94:95], v[122:123], v[132:133], v[92:93] op_sel:[0,0,1] op_sel_hi:[1,1,0] neg_lo:[0,0,1] neg_hi:[0,0,1]
	v_pk_fma_f32 v[92:93], v[122:123], v[132:133], v[92:93] op_sel:[0,0,1] op_sel_hi:[1,0,0]
	v_mov_b32_e32 v92, v131
	v_mov_b32_e32 v95, v93
	s_waitcnt lgkmcnt(3)
	v_pk_mul_f32 v[92:93], v[124:125], v[92:93] op_sel_hi:[1,0]
	v_pk_add_f32 v[90:91], v[90:91], v[94:95]
	v_pk_fma_f32 v[94:95], v[124:125], v[130:131], v[92:93] op_sel:[0,0,1] op_sel_hi:[1,1,0] neg_lo:[0,0,1] neg_hi:[0,0,1]
	v_pk_fma_f32 v[92:93], v[124:125], v[130:131], v[92:93] op_sel:[0,0,1] op_sel_hi:[1,0,0]
	s_waitcnt vmcnt(5)
	v_mov_b32_e32 v92, v145
	v_mov_b32_e32 v95, v93
	v_pk_mul_f32 v[92:93], v[126:127], v[92:93] op_sel_hi:[1,0]
	v_pk_add_f32 v[90:91], v[90:91], v[94:95]
	s_waitcnt vmcnt(4)
	v_pk_fma_f32 v[94:95], v[126:127], v[144:145], v[92:93] op_sel:[0,0,1] op_sel_hi:[1,1,0] neg_lo:[0,0,1] neg_hi:[0,0,1]
	v_pk_fma_f32 v[92:93], v[126:127], v[144:145], v[92:93] op_sel:[0,0,1] op_sel_hi:[1,0,0]
	v_mov_b32_e32 v92, v143
	v_mov_b32_e32 v95, v93
	s_waitcnt lgkmcnt(2)
	v_pk_mul_f32 v[92:93], v[80:81], v[92:93] op_sel_hi:[1,0]
	v_pk_add_f32 v[90:91], v[90:91], v[94:95]
	v_pk_fma_f32 v[94:95], v[80:81], v[142:143], v[92:93] op_sel:[0,0,1] op_sel_hi:[1,1,0] neg_lo:[0,0,1] neg_hi:[0,0,1]
	v_pk_fma_f32 v[80:81], v[80:81], v[142:143], v[92:93] op_sel:[0,0,1] op_sel_hi:[1,0,0]
	v_mov_b32_e32 v95, v81
	v_pk_add_f32 v[80:81], v[90:91], v[94:95]
	v_mov_b32_e32 v90, v141
	v_pk_mul_f32 v[90:91], v[82:83], v[90:91] op_sel_hi:[1,0]
	v_pk_fma_f32 v[92:93], v[82:83], v[140:141], v[90:91] op_sel:[0,0,1] op_sel_hi:[1,1,0] neg_lo:[0,0,1] neg_hi:[0,0,1]
	v_pk_fma_f32 v[82:83], v[82:83], v[140:141], v[90:91] op_sel:[0,0,1] op_sel_hi:[1,0,0]
	v_mov_b32_e32 v82, v139
	v_mov_b32_e32 v93, v83
	s_waitcnt lgkmcnt(1)
	v_pk_mul_f32 v[82:83], v[84:85], v[82:83] op_sel_hi:[1,0]
	v_pk_fma_f32 v[90:91], v[84:85], v[138:139], v[82:83] op_sel:[0,0,1] op_sel_hi:[1,1,0] neg_lo:[0,0,1] neg_hi:[0,0,1]
	v_pk_fma_f32 v[82:83], v[84:85], v[138:139], v[82:83] op_sel:[0,0,1] op_sel_hi:[1,0,0]
	s_waitcnt vmcnt(1)
	v_mov_b32_e32 v82, v149
	v_mov_b32_e32 v91, v83
	v_pk_mul_f32 v[82:83], v[86:87], v[82:83] op_sel_hi:[1,0]
	s_waitcnt vmcnt(0)
	v_pk_fma_f32 v[84:85], v[86:87], v[148:149], v[82:83] op_sel:[0,0,1] op_sel_hi:[1,1,0] neg_lo:[0,0,1] neg_hi:[0,0,1]
	v_pk_fma_f32 v[82:83], v[86:87], v[148:149], v[82:83] op_sel:[0,0,1] op_sel_hi:[1,0,0]
	v_pk_add_f32 v[80:81], v[80:81], v[92:93]
	v_mov_b32_e32 v82, v147
	v_pk_add_f32 v[80:81], v[80:81], v[90:91]
	v_mov_b32_e32 v85, v83
	s_waitcnt lgkmcnt(0)
	v_pk_mul_f32 v[82:83], v[88:89], v[82:83] op_sel_hi:[1,0]
	v_pk_add_f32 v[80:81], v[80:81], v[84:85]
	v_pk_fma_f32 v[84:85], v[88:89], v[146:147], v[82:83] op_sel:[0,0,1] op_sel_hi:[1,1,0] neg_lo:[0,0,1] neg_hi:[0,0,1]
	v_pk_fma_f32 v[82:83], v[88:89], v[146:147], v[82:83] op_sel:[0,0,1] op_sel_hi:[1,0,0]
	v_mov_b32_e32 v85, v83
	v_pk_add_f32 v[80:81], v[80:81], v[84:85]
	v_pk_add_f32 v[2:3], v[2:3], v[80:81] neg_lo:[0,1] neg_hi:[0,1]
	buffer_store_dword v3, off, s[0:3], 0 offset:60
	buffer_store_dword v2, off, s[0:3], 0 offset:56
	s_and_saveexec_b64 s[4:5], vcc
	s_cbranch_execz .LBB100_223
; %bb.222:
	buffer_load_dword v2, off, s[0:3], 0 offset:48
	buffer_load_dword v3, off, s[0:3], 0 offset:52
	s_waitcnt vmcnt(0)
	ds_write_b64 v1, v[2:3]
	buffer_store_dword v4, off, s[0:3], 0 offset:48
	buffer_store_dword v4, off, s[0:3], 0 offset:52
.LBB100_223:
	s_or_b64 exec, exec, s[4:5]
	s_waitcnt lgkmcnt(0)
	; wave barrier
	s_waitcnt lgkmcnt(0)
	buffer_load_dword v5, off, s[0:3], 0 offset:60
	buffer_load_dword v130, off, s[0:3], 0 offset:68
	;; [unrolled: 1-line block ×46, first 2 shown]
	ds_read2_b64 v[80:83], v4 offset0:45 offset1:46
	ds_read2_b64 v[84:87], v4 offset0:47 offset1:48
	;; [unrolled: 1-line block ×8, first 2 shown]
	v_cmp_lt_u32_e32 vcc, 5, v0
	s_waitcnt vmcnt(45) lgkmcnt(7)
	v_mul_f32_e32 v112, v80, v5
	s_waitcnt vmcnt(44)
	v_mul_f32_e32 v113, v82, v130
	s_waitcnt vmcnt(43) lgkmcnt(6)
	v_mul_f32_e32 v114, v84, v132
	s_waitcnt vmcnt(42)
	v_mul_f32_e32 v115, v86, v134
	;; [unrolled: 4-line block ×6, first 2 shown]
	s_waitcnt vmcnt(33) lgkmcnt(1)
	v_mul_f32_e32 v124, v104, v158
	s_waitcnt vmcnt(32)
	v_fmac_f32_e32 v112, v81, v159
	s_waitcnt vmcnt(31)
	v_fmac_f32_e32 v113, v83, v160
	v_add_f32_e32 v112, 0, v112
	s_waitcnt vmcnt(30)
	v_fmac_f32_e32 v114, v85, v161
	v_add_f32_e32 v112, v112, v113
	;; [unrolled: 3-line block ×12, first 2 shown]
	s_waitcnt vmcnt(19)
	v_mul_f32_e32 v113, v106, v172
	v_add_f32_e32 v112, v112, v124
	s_waitcnt vmcnt(18)
	v_fmac_f32_e32 v113, v107, v173
	v_add_f32_e32 v112, v112, v113
	s_waitcnt vmcnt(17) lgkmcnt(0)
	v_mul_f32_e32 v113, v108, v174
	s_waitcnt vmcnt(16)
	v_fmac_f32_e32 v113, v109, v175
	v_add_f32_e32 v116, v112, v113
	ds_read2_b64 v[112:115], v4 offset0:61 offset1:62
	s_waitcnt vmcnt(15)
	v_mul_f32_e32 v117, v110, v176
	s_waitcnt vmcnt(14)
	v_fmac_f32_e32 v117, v111, v177
	v_add_f32_e32 v120, v116, v117
	ds_read2_b64 v[116:119], v4 offset0:63 offset1:64
	buffer_load_dword v129, off, s[0:3], 0 offset:236
	buffer_load_dword v128, off, s[0:3], 0 offset:232
	s_waitcnt vmcnt(15) lgkmcnt(1)
	v_mul_f32_e32 v121, v112, v178
	s_waitcnt vmcnt(14)
	v_fmac_f32_e32 v121, v113, v179
	v_add_f32_e32 v120, v120, v121
	s_waitcnt vmcnt(13)
	v_mul_f32_e32 v121, v114, v180
	s_waitcnt vmcnt(12)
	v_fmac_f32_e32 v121, v115, v181
	v_add_f32_e32 v120, v120, v121
	s_waitcnt vmcnt(11) lgkmcnt(0)
	v_mul_f32_e32 v121, v116, v182
	s_waitcnt vmcnt(10)
	v_fmac_f32_e32 v121, v117, v183
	s_waitcnt vmcnt(9)
	v_mul_f32_e32 v125, v118, v184
	v_add_f32_e32 v124, v120, v121
	s_waitcnt vmcnt(8)
	v_fmac_f32_e32 v125, v119, v185
	ds_read2_b64 v[120:123], v4 offset0:65 offset1:66
	v_add_f32_e32 v131, v124, v125
	ds_read2_b64 v[124:127], v4 offset0:67 offset1:68
	buffer_load_dword v137, off, s[0:3], 0 offset:268
	buffer_load_dword v136, off, s[0:3], 0 offset:264
	;; [unrolled: 1-line block ×14, first 2 shown]
	v_mul_f32_e32 v5, v81, v5
	v_fma_f32 v5, v80, v159, -v5
	v_mul_f32_e32 v80, v83, v130
	v_add_f32_e32 v5, 0, v5
	v_fma_f32 v80, v82, v160, -v80
	v_add_f32_e32 v5, v5, v80
	v_mul_f32_e32 v80, v85, v132
	v_fma_f32 v80, v84, v161, -v80
	v_add_f32_e32 v5, v5, v80
	v_mul_f32_e32 v80, v87, v134
	;; [unrolled: 3-line block ×18, first 2 shown]
	v_fma_f32 v80, v118, v185, -v80
	s_waitcnt vmcnt(21) lgkmcnt(1)
	v_mul_f32_e32 v133, v120, v186
	v_add_f32_e32 v130, v5, v80
	v_mul_f32_e32 v5, v121, v186
	s_waitcnt vmcnt(20)
	v_fmac_f32_e32 v133, v121, v187
	s_waitcnt vmcnt(15)
	v_mov_b32_e32 v92, v129
	s_waitcnt lgkmcnt(0)
	v_pk_mul_f32 v[92:93], v[124:125], v[92:93] op_sel_hi:[1,0]
	v_mul_f32_e32 v135, v122, v188
	v_fma_f32 v132, v120, v187, -v5
	v_mul_f32_e32 v5, v123, v188
	s_waitcnt vmcnt(14)
	v_pk_fma_f32 v[94:95], v[124:125], v[128:129], v[92:93] op_sel:[0,0,1] op_sel_hi:[1,1,0] neg_lo:[0,0,1] neg_hi:[0,0,1]
	v_pk_fma_f32 v[92:93], v[124:125], v[128:129], v[92:93] op_sel:[0,0,1] op_sel_hi:[1,0,0]
	v_fmac_f32_e32 v135, v123, v189
	v_fma_f32 v134, v122, v189, -v5
	ds_read2_b64 v[80:83], v4 offset0:69 offset1:70
	ds_read2_b64 v[84:87], v4 offset0:71 offset1:72
	;; [unrolled: 1-line block ×3, first 2 shown]
	v_pk_add_f32 v[4:5], v[130:131], v[132:133]
	s_waitcnt vmcnt(7)
	v_mov_b32_e32 v92, v143
	v_pk_add_f32 v[4:5], v[4:5], v[134:135]
	v_mov_b32_e32 v95, v93
	v_pk_mul_f32 v[92:93], v[126:127], v[92:93] op_sel_hi:[1,0]
	v_pk_add_f32 v[4:5], v[4:5], v[94:95]
	s_waitcnt vmcnt(6)
	v_pk_fma_f32 v[94:95], v[126:127], v[142:143], v[92:93] op_sel:[0,0,1] op_sel_hi:[1,1,0] neg_lo:[0,0,1] neg_hi:[0,0,1]
	v_pk_fma_f32 v[92:93], v[126:127], v[142:143], v[92:93] op_sel:[0,0,1] op_sel_hi:[1,0,0]
	v_mov_b32_e32 v92, v141
	v_mov_b32_e32 v95, v93
	s_waitcnt lgkmcnt(2)
	v_pk_mul_f32 v[92:93], v[80:81], v[92:93] op_sel_hi:[1,0]
	v_pk_add_f32 v[4:5], v[4:5], v[94:95]
	v_pk_fma_f32 v[94:95], v[80:81], v[140:141], v[92:93] op_sel:[0,0,1] op_sel_hi:[1,1,0] neg_lo:[0,0,1] neg_hi:[0,0,1]
	v_pk_fma_f32 v[80:81], v[80:81], v[140:141], v[92:93] op_sel:[0,0,1] op_sel_hi:[1,0,0]
	v_mov_b32_e32 v80, v139
	v_mov_b32_e32 v95, v81
	v_pk_mul_f32 v[80:81], v[82:83], v[80:81] op_sel_hi:[1,0]
	v_pk_fma_f32 v[92:93], v[82:83], v[138:139], v[80:81] op_sel:[0,0,1] op_sel_hi:[1,1,0] neg_lo:[0,0,1] neg_hi:[0,0,1]
	v_pk_fma_f32 v[80:81], v[82:83], v[138:139], v[80:81] op_sel:[0,0,1] op_sel_hi:[1,0,0]
	v_mov_b32_e32 v80, v137
	v_mov_b32_e32 v93, v81
	s_waitcnt lgkmcnt(1)
	v_pk_mul_f32 v[80:81], v[84:85], v[80:81] op_sel_hi:[1,0]
	v_pk_fma_f32 v[82:83], v[84:85], v[136:137], v[80:81] op_sel:[0,0,1] op_sel_hi:[1,1,0] neg_lo:[0,0,1] neg_hi:[0,0,1]
	v_pk_fma_f32 v[80:81], v[84:85], v[136:137], v[80:81] op_sel:[0,0,1] op_sel_hi:[1,0,0]
	v_pk_add_f32 v[4:5], v[4:5], v[94:95]
	s_waitcnt vmcnt(1)
	v_mov_b32_e32 v80, v149
	v_pk_add_f32 v[4:5], v[4:5], v[92:93]
	v_mov_b32_e32 v83, v81
	v_pk_mul_f32 v[80:81], v[86:87], v[80:81] op_sel_hi:[1,0]
	v_pk_add_f32 v[4:5], v[4:5], v[82:83]
	s_waitcnt vmcnt(0)
	v_pk_fma_f32 v[82:83], v[86:87], v[148:149], v[80:81] op_sel:[0,0,1] op_sel_hi:[1,1,0] neg_lo:[0,0,1] neg_hi:[0,0,1]
	v_pk_fma_f32 v[80:81], v[86:87], v[148:149], v[80:81] op_sel:[0,0,1] op_sel_hi:[1,0,0]
	v_mov_b32_e32 v80, v147
	v_mov_b32_e32 v83, v81
	s_waitcnt lgkmcnt(0)
	v_pk_mul_f32 v[80:81], v[88:89], v[80:81] op_sel_hi:[1,0]
	v_pk_add_f32 v[4:5], v[4:5], v[82:83]
	v_pk_fma_f32 v[82:83], v[88:89], v[146:147], v[80:81] op_sel:[0,0,1] op_sel_hi:[1,1,0] neg_lo:[0,0,1] neg_hi:[0,0,1]
	v_pk_fma_f32 v[80:81], v[88:89], v[146:147], v[80:81] op_sel:[0,0,1] op_sel_hi:[1,0,0]
	v_mov_b32_e32 v80, v145
	v_mov_b32_e32 v83, v81
	v_pk_mul_f32 v[80:81], v[90:91], v[80:81] op_sel_hi:[1,0]
	v_pk_add_f32 v[4:5], v[4:5], v[82:83]
	v_pk_fma_f32 v[82:83], v[90:91], v[144:145], v[80:81] op_sel:[0,0,1] op_sel_hi:[1,1,0] neg_lo:[0,0,1] neg_hi:[0,0,1]
	v_pk_fma_f32 v[80:81], v[90:91], v[144:145], v[80:81] op_sel:[0,0,1] op_sel_hi:[1,0,0]
	v_mov_b32_e32 v83, v81
	v_pk_add_f32 v[4:5], v[4:5], v[82:83]
	v_pk_add_f32 v[2:3], v[2:3], v[4:5] neg_lo:[0,1] neg_hi:[0,1]
	buffer_store_dword v3, off, s[0:3], 0 offset:52
	buffer_store_dword v2, off, s[0:3], 0 offset:48
	s_and_saveexec_b64 s[4:5], vcc
	s_cbranch_execz .LBB100_225
; %bb.224:
	buffer_load_dword v2, off, s[0:3], 0 offset:40
	buffer_load_dword v3, off, s[0:3], 0 offset:44
	v_mov_b32_e32 v4, 0
	buffer_store_dword v4, off, s[0:3], 0 offset:40
	buffer_store_dword v4, off, s[0:3], 0 offset:44
	s_waitcnt vmcnt(2)
	ds_write_b64 v1, v[2:3]
.LBB100_225:
	s_or_b64 exec, exec, s[4:5]
	s_waitcnt lgkmcnt(0)
	; wave barrier
	s_waitcnt lgkmcnt(0)
	buffer_load_dword v5, off, s[0:3], 0 offset:52
	buffer_load_dword v128, off, s[0:3], 0 offset:60
	;; [unrolled: 1-line block ×48, first 2 shown]
	v_mov_b32_e32 v4, 0
	ds_read_b128 v[80:83], v4 offset:352
	ds_read_b128 v[84:87], v4 offset:368
	;; [unrolled: 1-line block ×6, first 2 shown]
	v_cmp_lt_u32_e32 vcc, 4, v0
	s_waitcnt vmcnt(47) lgkmcnt(5)
	v_mul_f32_e32 v104, v80, v5
	s_waitcnt vmcnt(46)
	v_mul_f32_e32 v105, v82, v128
	s_waitcnt vmcnt(45) lgkmcnt(4)
	v_mul_f32_e32 v106, v84, v130
	s_waitcnt vmcnt(44)
	v_mul_f32_e32 v107, v86, v132
	;; [unrolled: 4-line block ×6, first 2 shown]
	s_waitcnt vmcnt(35)
	v_fmac_f32_e32 v104, v81, v158
	s_waitcnt vmcnt(34)
	v_fmac_f32_e32 v105, v83, v159
	v_add_f32_e32 v104, 0, v104
	s_waitcnt vmcnt(33)
	v_fmac_f32_e32 v106, v85, v160
	v_add_f32_e32 v104, v104, v105
	;; [unrolled: 3-line block ×8, first 2 shown]
	v_add_f32_e32 v108, v104, v112
	ds_read_b128 v[104:107], v4 offset:448
	s_waitcnt vmcnt(26)
	v_fmac_f32_e32 v113, v99, v167
	s_waitcnt vmcnt(25)
	v_fmac_f32_e32 v114, v101, v168
	v_add_f32_e32 v108, v108, v113
	s_waitcnt vmcnt(24)
	v_fmac_f32_e32 v115, v103, v169
	v_add_f32_e32 v108, v108, v114
	v_add_f32_e32 v112, v108, v115
	ds_read_b128 v[108:111], v4 offset:464
	s_waitcnt vmcnt(23) lgkmcnt(1)
	v_mul_f32_e32 v113, v104, v170
	s_waitcnt vmcnt(22)
	v_fmac_f32_e32 v113, v105, v171
	v_add_f32_e32 v112, v112, v113
	s_waitcnt vmcnt(21)
	v_mul_f32_e32 v113, v106, v172
	s_waitcnt vmcnt(20)
	v_fmac_f32_e32 v113, v107, v173
	v_add_f32_e32 v112, v112, v113
	s_waitcnt vmcnt(19) lgkmcnt(0)
	v_mul_f32_e32 v113, v108, v174
	s_waitcnt vmcnt(18)
	v_fmac_f32_e32 v113, v109, v175
	v_add_f32_e32 v116, v112, v113
	ds_read_b128 v[112:115], v4 offset:480
	s_waitcnt vmcnt(17)
	v_mul_f32_e32 v117, v110, v176
	s_waitcnt vmcnt(16)
	v_fmac_f32_e32 v117, v111, v177
	v_add_f32_e32 v120, v116, v117
	ds_read_b128 v[116:119], v4 offset:496
	s_waitcnt vmcnt(15) lgkmcnt(1)
	v_mul_f32_e32 v121, v112, v178
	s_waitcnt vmcnt(14)
	v_fmac_f32_e32 v121, v113, v179
	v_add_f32_e32 v120, v120, v121
	s_waitcnt vmcnt(13)
	v_mul_f32_e32 v121, v114, v180
	s_waitcnt vmcnt(12)
	v_fmac_f32_e32 v121, v115, v181
	v_add_f32_e32 v120, v120, v121
	s_waitcnt vmcnt(11) lgkmcnt(0)
	v_mul_f32_e32 v121, v116, v182
	s_waitcnt vmcnt(10)
	v_fmac_f32_e32 v121, v117, v183
	s_waitcnt vmcnt(9)
	v_mul_f32_e32 v125, v118, v184
	v_add_f32_e32 v124, v120, v121
	s_waitcnt vmcnt(8)
	v_fmac_f32_e32 v125, v119, v185
	ds_read_b128 v[120:123], v4 offset:512
	v_add_f32_e32 v129, v124, v125
	ds_read_b128 v[124:127], v4 offset:528
	buffer_load_dword v135, off, s[0:3], 0 offset:260
	buffer_load_dword v134, off, s[0:3], 0 offset:256
	;; [unrolled: 1-line block ×16, first 2 shown]
	v_mul_f32_e32 v5, v81, v5
	v_fma_f32 v5, v80, v158, -v5
	v_mul_f32_e32 v80, v83, v128
	v_add_f32_e32 v5, 0, v5
	v_fma_f32 v80, v82, v159, -v80
	v_add_f32_e32 v5, v5, v80
	v_mul_f32_e32 v80, v85, v130
	v_fma_f32 v80, v84, v160, -v80
	v_add_f32_e32 v5, v5, v80
	v_mul_f32_e32 v80, v87, v132
	;; [unrolled: 3-line block ×18, first 2 shown]
	v_fma_f32 v80, v118, v185, -v80
	s_waitcnt vmcnt(22) lgkmcnt(1)
	v_mul_f32_e32 v131, v120, v187
	v_add_f32_e32 v5, v5, v80
	v_mul_f32_e32 v80, v121, v187
	v_fmac_f32_e32 v131, v121, v186
	v_fma_f32 v80, v120, v186, -v80
	v_add_f32_e32 v129, v129, v131
	s_waitcnt vmcnt(19)
	v_mul_f32_e32 v131, v122, v188
	v_add_f32_e32 v128, v5, v80
	v_mul_f32_e32 v5, v123, v188
	s_waitcnt vmcnt(18)
	v_fmac_f32_e32 v131, v123, v189
	s_waitcnt vmcnt(17) lgkmcnt(0)
	v_mul_f32_e32 v133, v124, v190
	s_waitcnt vmcnt(9)
	v_mov_b32_e32 v96, v141
	v_pk_mul_f32 v[96:97], v[126:127], v[96:97] op_sel_hi:[1,0]
	v_fma_f32 v130, v122, v189, -v5
	v_mul_f32_e32 v5, v125, v190
	ds_read_b128 v[80:83], v4 offset:544
	ds_read_b128 v[84:87], v4 offset:560
	;; [unrolled: 1-line block ×3, first 2 shown]
	ds_read_b64 v[92:93], v4 offset:592
	s_waitcnt vmcnt(8)
	v_pk_fma_f32 v[98:99], v[126:127], v[140:141], v[96:97] op_sel:[0,0,1] op_sel_hi:[1,1,0] neg_lo:[0,0,1] neg_hi:[0,0,1]
	v_pk_fma_f32 v[96:97], v[126:127], v[140:141], v[96:97] op_sel:[0,0,1] op_sel_hi:[1,0,0]
	v_fmac_f32_e32 v133, v125, v191
	v_fma_f32 v132, v124, v191, -v5
	v_pk_add_f32 v[94:95], v[128:129], v[130:131]
	v_mov_b32_e32 v96, v139
	v_pk_add_f32 v[94:95], v[94:95], v[132:133]
	v_mov_b32_e32 v99, v97
	s_waitcnt lgkmcnt(3)
	v_pk_mul_f32 v[96:97], v[80:81], v[96:97] op_sel_hi:[1,0]
	v_pk_add_f32 v[94:95], v[94:95], v[98:99]
	v_pk_fma_f32 v[98:99], v[80:81], v[138:139], v[96:97] op_sel:[0,0,1] op_sel_hi:[1,1,0] neg_lo:[0,0,1] neg_hi:[0,0,1]
	v_pk_fma_f32 v[80:81], v[80:81], v[138:139], v[96:97] op_sel:[0,0,1] op_sel_hi:[1,0,0]
	v_mov_b32_e32 v99, v81
	v_pk_add_f32 v[80:81], v[94:95], v[98:99]
	v_mov_b32_e32 v94, v137
	v_pk_mul_f32 v[94:95], v[82:83], v[94:95] op_sel_hi:[1,0]
	v_pk_fma_f32 v[96:97], v[82:83], v[136:137], v[94:95] op_sel:[0,0,1] op_sel_hi:[1,1,0] neg_lo:[0,0,1] neg_hi:[0,0,1]
	v_pk_fma_f32 v[82:83], v[82:83], v[136:137], v[94:95] op_sel:[0,0,1] op_sel_hi:[1,0,0]
	v_mov_b32_e32 v82, v135
	v_mov_b32_e32 v97, v83
	s_waitcnt lgkmcnt(2)
	v_pk_mul_f32 v[82:83], v[84:85], v[82:83] op_sel_hi:[1,0]
	v_pk_fma_f32 v[94:95], v[84:85], v[134:135], v[82:83] op_sel:[0,0,1] op_sel_hi:[1,1,0] neg_lo:[0,0,1] neg_hi:[0,0,1]
	v_pk_fma_f32 v[82:83], v[84:85], v[134:135], v[82:83] op_sel:[0,0,1] op_sel_hi:[1,0,0]
	s_waitcnt vmcnt(1)
	v_mov_b32_e32 v82, v149
	v_mov_b32_e32 v95, v83
	v_pk_mul_f32 v[82:83], v[86:87], v[82:83] op_sel_hi:[1,0]
	s_waitcnt vmcnt(0)
	v_pk_fma_f32 v[84:85], v[86:87], v[148:149], v[82:83] op_sel:[0,0,1] op_sel_hi:[1,1,0] neg_lo:[0,0,1] neg_hi:[0,0,1]
	v_pk_fma_f32 v[82:83], v[86:87], v[148:149], v[82:83] op_sel:[0,0,1] op_sel_hi:[1,0,0]
	v_pk_add_f32 v[80:81], v[80:81], v[96:97]
	v_mov_b32_e32 v82, v147
	v_pk_add_f32 v[80:81], v[80:81], v[94:95]
	v_mov_b32_e32 v85, v83
	s_waitcnt lgkmcnt(1)
	v_pk_mul_f32 v[82:83], v[88:89], v[82:83] op_sel_hi:[1,0]
	v_pk_add_f32 v[80:81], v[80:81], v[84:85]
	v_pk_fma_f32 v[84:85], v[88:89], v[146:147], v[82:83] op_sel:[0,0,1] op_sel_hi:[1,1,0] neg_lo:[0,0,1] neg_hi:[0,0,1]
	v_pk_fma_f32 v[82:83], v[88:89], v[146:147], v[82:83] op_sel:[0,0,1] op_sel_hi:[1,0,0]
	v_mov_b32_e32 v82, v145
	v_mov_b32_e32 v85, v83
	v_pk_mul_f32 v[82:83], v[90:91], v[82:83] op_sel_hi:[1,0]
	v_pk_add_f32 v[80:81], v[80:81], v[84:85]
	v_pk_fma_f32 v[84:85], v[90:91], v[144:145], v[82:83] op_sel:[0,0,1] op_sel_hi:[1,1,0] neg_lo:[0,0,1] neg_hi:[0,0,1]
	v_pk_fma_f32 v[82:83], v[90:91], v[144:145], v[82:83] op_sel:[0,0,1] op_sel_hi:[1,0,0]
	v_mov_b32_e32 v82, v143
	v_mov_b32_e32 v85, v83
	s_waitcnt lgkmcnt(0)
	v_pk_mul_f32 v[82:83], v[92:93], v[82:83] op_sel_hi:[1,0]
	v_pk_add_f32 v[80:81], v[80:81], v[84:85]
	v_pk_fma_f32 v[84:85], v[92:93], v[142:143], v[82:83] op_sel:[0,0,1] op_sel_hi:[1,1,0] neg_lo:[0,0,1] neg_hi:[0,0,1]
	v_pk_fma_f32 v[82:83], v[92:93], v[142:143], v[82:83] op_sel:[0,0,1] op_sel_hi:[1,0,0]
	v_mov_b32_e32 v85, v83
	v_pk_add_f32 v[80:81], v[80:81], v[84:85]
	v_pk_add_f32 v[2:3], v[2:3], v[80:81] neg_lo:[0,1] neg_hi:[0,1]
	buffer_store_dword v3, off, s[0:3], 0 offset:44
	buffer_store_dword v2, off, s[0:3], 0 offset:40
	s_and_saveexec_b64 s[4:5], vcc
	s_cbranch_execz .LBB100_227
; %bb.226:
	buffer_load_dword v2, off, s[0:3], 0 offset:32
	buffer_load_dword v3, off, s[0:3], 0 offset:36
	s_waitcnt vmcnt(0)
	ds_write_b64 v1, v[2:3]
	buffer_store_dword v4, off, s[0:3], 0 offset:32
	buffer_store_dword v4, off, s[0:3], 0 offset:36
.LBB100_227:
	s_or_b64 exec, exec, s[4:5]
	s_waitcnt lgkmcnt(0)
	; wave barrier
	s_waitcnt lgkmcnt(0)
	buffer_load_dword v5, off, s[0:3], 0 offset:44
	buffer_load_dword v128, off, s[0:3], 0 offset:52
	;; [unrolled: 1-line block ×48, first 2 shown]
	ds_read2_b64 v[80:83], v4 offset0:43 offset1:44
	ds_read2_b64 v[84:87], v4 offset0:45 offset1:46
	;; [unrolled: 1-line block ×6, first 2 shown]
	buffer_load_dword v192, off, s[0:3], 0 offset:224
	buffer_load_dword v193, off, s[0:3], 0 offset:228
	v_cmp_lt_u32_e32 vcc, 3, v0
	s_waitcnt vmcnt(49) lgkmcnt(5)
	v_mul_f32_e32 v104, v80, v5
	s_waitcnt vmcnt(48)
	v_mul_f32_e32 v105, v82, v128
	s_waitcnt vmcnt(47) lgkmcnt(4)
	v_mul_f32_e32 v106, v84, v130
	s_waitcnt vmcnt(46)
	v_mul_f32_e32 v107, v86, v138
	s_waitcnt vmcnt(45) lgkmcnt(3)
	v_mul_f32_e32 v108, v88, v150
	s_waitcnt vmcnt(44)
	v_mul_f32_e32 v109, v90, v151
	s_waitcnt vmcnt(43) lgkmcnt(2)
	v_mul_f32_e32 v110, v92, v152
	s_waitcnt vmcnt(42)
	v_mul_f32_e32 v111, v94, v153
	s_waitcnt vmcnt(41) lgkmcnt(1)
	v_mul_f32_e32 v112, v96, v154
	s_waitcnt vmcnt(40)
	v_mul_f32_e32 v113, v98, v155
	s_waitcnt vmcnt(39) lgkmcnt(0)
	v_mul_f32_e32 v114, v100, v156
	s_waitcnt vmcnt(38)
	v_mul_f32_e32 v115, v102, v157
	s_waitcnt vmcnt(37)
	v_fmac_f32_e32 v104, v81, v158
	s_waitcnt vmcnt(36)
	v_fmac_f32_e32 v105, v83, v159
	v_add_f32_e32 v104, 0, v104
	s_waitcnt vmcnt(35)
	v_fmac_f32_e32 v106, v85, v160
	v_add_f32_e32 v104, v104, v105
	;; [unrolled: 3-line block ×9, first 2 shown]
	v_add_f32_e32 v108, v104, v113
	ds_read2_b64 v[104:107], v4 offset0:55 offset1:56
	s_waitcnt vmcnt(27)
	v_fmac_f32_e32 v114, v101, v168
	v_add_f32_e32 v108, v108, v114
	s_waitcnt vmcnt(26)
	v_fmac_f32_e32 v115, v103, v169
	v_add_f32_e32 v112, v108, v115
	ds_read2_b64 v[108:111], v4 offset0:57 offset1:58
	s_waitcnt vmcnt(25) lgkmcnt(1)
	v_mul_f32_e32 v113, v104, v170
	s_waitcnt vmcnt(24)
	v_fmac_f32_e32 v113, v105, v171
	v_add_f32_e32 v112, v112, v113
	s_waitcnt vmcnt(23)
	v_mul_f32_e32 v113, v106, v172
	s_waitcnt vmcnt(22)
	v_fmac_f32_e32 v113, v107, v173
	v_add_f32_e32 v112, v112, v113
	s_waitcnt vmcnt(21) lgkmcnt(0)
	v_mul_f32_e32 v113, v108, v174
	s_waitcnt vmcnt(20)
	v_fmac_f32_e32 v113, v109, v175
	v_add_f32_e32 v116, v112, v113
	ds_read2_b64 v[112:115], v4 offset0:59 offset1:60
	s_waitcnt vmcnt(19)
	v_mul_f32_e32 v117, v110, v176
	s_waitcnt vmcnt(18)
	v_fmac_f32_e32 v117, v111, v177
	v_add_f32_e32 v120, v116, v117
	ds_read2_b64 v[116:119], v4 offset0:61 offset1:62
	s_waitcnt vmcnt(17) lgkmcnt(1)
	v_mul_f32_e32 v121, v112, v178
	s_waitcnt vmcnt(16)
	v_fmac_f32_e32 v121, v113, v179
	v_add_f32_e32 v120, v120, v121
	s_waitcnt vmcnt(15)
	v_mul_f32_e32 v121, v114, v180
	s_waitcnt vmcnt(14)
	v_fmac_f32_e32 v121, v115, v181
	v_add_f32_e32 v120, v120, v121
	s_waitcnt vmcnt(13) lgkmcnt(0)
	v_mul_f32_e32 v121, v116, v182
	s_waitcnt vmcnt(12)
	v_fmac_f32_e32 v121, v117, v183
	s_waitcnt vmcnt(11)
	v_mul_f32_e32 v125, v118, v184
	v_add_f32_e32 v124, v120, v121
	s_waitcnt vmcnt(10)
	v_fmac_f32_e32 v125, v119, v185
	ds_read2_b64 v[120:123], v4 offset0:63 offset1:64
	v_add_f32_e32 v129, v124, v125
	ds_read2_b64 v[124:127], v4 offset0:65 offset1:66
	buffer_load_dword v133, off, s[0:3], 0 offset:252
	buffer_load_dword v132, off, s[0:3], 0 offset:248
	;; [unrolled: 1-line block ×16, first 2 shown]
	v_mul_f32_e32 v5, v81, v5
	v_fma_f32 v5, v80, v158, -v5
	v_mul_f32_e32 v80, v83, v128
	v_add_f32_e32 v5, 0, v5
	v_fma_f32 v80, v82, v159, -v80
	v_add_f32_e32 v5, v5, v80
	v_mul_f32_e32 v80, v85, v130
	v_fma_f32 v80, v84, v160, -v80
	v_add_f32_e32 v5, v5, v80
	v_mul_f32_e32 v80, v87, v138
	;; [unrolled: 3-line block ×18, first 2 shown]
	v_fma_f32 v80, v118, v185, -v80
	v_add_f32_e32 v5, v5, v80
	s_waitcnt vmcnt(23) lgkmcnt(1)
	v_mul_f32_e32 v80, v121, v186
	s_waitcnt vmcnt(22)
	v_fma_f32 v80, v120, v187, -v80
	v_add_f32_e32 v5, v5, v80
	s_waitcnt vmcnt(20)
	v_mul_f32_e32 v80, v123, v189
	v_fma_f32 v80, v122, v188, -v80
	v_add_f32_e32 v128, v5, v80
	ds_read2_b64 v[80:83], v4 offset0:67 offset1:68
	ds_read2_b64 v[84:87], v4 offset0:69 offset1:70
	;; [unrolled: 1-line block ×4, first 2 shown]
	v_mul_f32_e32 v131, v120, v186
	v_fmac_f32_e32 v131, v121, v187
	v_add_f32_e32 v129, v129, v131
	v_mul_f32_e32 v131, v122, v189
	v_fmac_f32_e32 v131, v123, v188
	v_add_f32_e32 v129, v129, v131
	s_waitcnt vmcnt(18) lgkmcnt(4)
	v_mul_f32_e32 v131, v124, v191
	v_mul_f32_e32 v5, v125, v191
	v_fmac_f32_e32 v131, v125, v190
	s_waitcnt vmcnt(16)
	v_mul_f32_e32 v139, v126, v193
	s_waitcnt vmcnt(11)
	v_mov_b32_e32 v96, v137
	s_waitcnt lgkmcnt(3)
	v_pk_mul_f32 v[96:97], v[80:81], v[96:97] op_sel_hi:[1,0]
	s_waitcnt vmcnt(10)
	v_pk_fma_f32 v[98:99], v[80:81], v[136:137], v[96:97] op_sel:[0,0,1] op_sel_hi:[1,1,0] neg_lo:[0,0,1] neg_hi:[0,0,1]
	v_pk_fma_f32 v[80:81], v[80:81], v[136:137], v[96:97] op_sel:[0,0,1] op_sel_hi:[1,0,0]
	v_mov_b32_e32 v80, v135
	v_mov_b32_e32 v99, v81
	v_pk_mul_f32 v[80:81], v[82:83], v[80:81] op_sel_hi:[1,0]
	v_pk_fma_f32 v[96:97], v[82:83], v[134:135], v[80:81] op_sel:[0,0,1] op_sel_hi:[1,1,0] neg_lo:[0,0,1] neg_hi:[0,0,1]
	v_pk_fma_f32 v[80:81], v[82:83], v[134:135], v[80:81] op_sel:[0,0,1] op_sel_hi:[1,0,0]
	v_fma_f32 v130, v124, v190, -v5
	v_mul_f32_e32 v5, v127, v193
	v_mov_b32_e32 v80, v133
	v_fmac_f32_e32 v139, v127, v192
	v_fma_f32 v138, v126, v192, -v5
	v_pk_add_f32 v[4:5], v[128:129], v[130:131]
	v_mov_b32_e32 v97, v81
	s_waitcnt lgkmcnt(2)
	v_pk_mul_f32 v[80:81], v[84:85], v[80:81] op_sel_hi:[1,0]
	v_pk_add_f32 v[4:5], v[4:5], v[138:139]
	v_pk_fma_f32 v[82:83], v[84:85], v[132:133], v[80:81] op_sel:[0,0,1] op_sel_hi:[1,1,0] neg_lo:[0,0,1] neg_hi:[0,0,1]
	v_pk_fma_f32 v[80:81], v[84:85], v[132:133], v[80:81] op_sel:[0,0,1] op_sel_hi:[1,0,0]
	v_pk_add_f32 v[4:5], v[4:5], v[98:99]
	s_waitcnt vmcnt(3)
	v_mov_b32_e32 v80, v147
	v_pk_add_f32 v[4:5], v[4:5], v[96:97]
	v_mov_b32_e32 v83, v81
	v_pk_mul_f32 v[80:81], v[86:87], v[80:81] op_sel_hi:[1,0]
	v_pk_add_f32 v[4:5], v[4:5], v[82:83]
	s_waitcnt vmcnt(2)
	v_pk_fma_f32 v[82:83], v[86:87], v[146:147], v[80:81] op_sel:[0,0,1] op_sel_hi:[1,1,0] neg_lo:[0,0,1] neg_hi:[0,0,1]
	v_pk_fma_f32 v[80:81], v[86:87], v[146:147], v[80:81] op_sel:[0,0,1] op_sel_hi:[1,0,0]
	v_mov_b32_e32 v80, v145
	v_mov_b32_e32 v83, v81
	s_waitcnt lgkmcnt(1)
	v_pk_mul_f32 v[80:81], v[88:89], v[80:81] op_sel_hi:[1,0]
	v_pk_add_f32 v[4:5], v[4:5], v[82:83]
	v_pk_fma_f32 v[82:83], v[88:89], v[144:145], v[80:81] op_sel:[0,0,1] op_sel_hi:[1,1,0] neg_lo:[0,0,1] neg_hi:[0,0,1]
	v_pk_fma_f32 v[80:81], v[88:89], v[144:145], v[80:81] op_sel:[0,0,1] op_sel_hi:[1,0,0]
	v_mov_b32_e32 v80, v143
	v_mov_b32_e32 v83, v81
	v_pk_mul_f32 v[80:81], v[90:91], v[80:81] op_sel_hi:[1,0]
	v_pk_add_f32 v[4:5], v[4:5], v[82:83]
	v_pk_fma_f32 v[82:83], v[90:91], v[142:143], v[80:81] op_sel:[0,0,1] op_sel_hi:[1,1,0] neg_lo:[0,0,1] neg_hi:[0,0,1]
	v_pk_fma_f32 v[80:81], v[90:91], v[142:143], v[80:81] op_sel:[0,0,1] op_sel_hi:[1,0,0]
	v_mov_b32_e32 v80, v141
	v_mov_b32_e32 v83, v81
	s_waitcnt lgkmcnt(0)
	v_pk_mul_f32 v[80:81], v[92:93], v[80:81] op_sel_hi:[1,0]
	v_pk_add_f32 v[4:5], v[4:5], v[82:83]
	v_pk_fma_f32 v[82:83], v[92:93], v[140:141], v[80:81] op_sel:[0,0,1] op_sel_hi:[1,1,0] neg_lo:[0,0,1] neg_hi:[0,0,1]
	v_pk_fma_f32 v[80:81], v[92:93], v[140:141], v[80:81] op_sel:[0,0,1] op_sel_hi:[1,0,0]
	s_waitcnt vmcnt(1)
	v_mov_b32_e32 v80, v149
	v_mov_b32_e32 v83, v81
	v_pk_mul_f32 v[80:81], v[94:95], v[80:81] op_sel_hi:[1,0]
	v_pk_add_f32 v[4:5], v[4:5], v[82:83]
	s_waitcnt vmcnt(0)
	v_pk_fma_f32 v[82:83], v[94:95], v[148:149], v[80:81] op_sel:[0,0,1] op_sel_hi:[1,1,0] neg_lo:[0,0,1] neg_hi:[0,0,1]
	v_pk_fma_f32 v[80:81], v[94:95], v[148:149], v[80:81] op_sel:[0,0,1] op_sel_hi:[1,0,0]
	v_mov_b32_e32 v83, v81
	v_pk_add_f32 v[4:5], v[4:5], v[82:83]
	v_pk_add_f32 v[2:3], v[2:3], v[4:5] neg_lo:[0,1] neg_hi:[0,1]
	buffer_store_dword v3, off, s[0:3], 0 offset:36
	buffer_store_dword v2, off, s[0:3], 0 offset:32
	s_and_saveexec_b64 s[4:5], vcc
	s_cbranch_execz .LBB100_229
; %bb.228:
	buffer_load_dword v2, off, s[0:3], 0 offset:24
	buffer_load_dword v3, off, s[0:3], 0 offset:28
	v_mov_b32_e32 v4, 0
	buffer_store_dword v4, off, s[0:3], 0 offset:24
	buffer_store_dword v4, off, s[0:3], 0 offset:28
	s_waitcnt vmcnt(2)
	ds_write_b64 v1, v[2:3]
.LBB100_229:
	s_or_b64 exec, exec, s[4:5]
	s_waitcnt lgkmcnt(0)
	; wave barrier
	s_waitcnt lgkmcnt(0)
	buffer_load_dword v5, off, s[0:3], 0 offset:36
	buffer_load_dword v136, off, s[0:3], 0 offset:44
	;; [unrolled: 1-line block ×52, first 2 shown]
	v_mov_b32_e32 v4, 0
	ds_read_b128 v[80:83], v4 offset:336
	ds_read_b128 v[84:87], v4 offset:352
	;; [unrolled: 1-line block ×6, first 2 shown]
	v_cmp_lt_u32_e32 vcc, 2, v0
	s_waitcnt vmcnt(51) lgkmcnt(5)
	v_mul_f32_e32 v104, v80, v5
	s_waitcnt vmcnt(50)
	v_mul_f32_e32 v105, v82, v136
	s_waitcnt vmcnt(49) lgkmcnt(4)
	v_mul_f32_e32 v106, v84, v142
	s_waitcnt vmcnt(48)
	v_mul_f32_e32 v107, v86, v144
	;; [unrolled: 4-line block ×5, first 2 shown]
	s_waitcnt vmcnt(41) lgkmcnt(0)
	v_mul_f32_e32 v114, v100, v164
	s_waitcnt vmcnt(40)
	v_fmac_f32_e32 v104, v81, v165
	s_waitcnt vmcnt(39)
	v_fmac_f32_e32 v105, v83, v166
	v_add_f32_e32 v104, 0, v104
	s_waitcnt vmcnt(38)
	v_fmac_f32_e32 v106, v85, v167
	v_add_f32_e32 v104, v104, v105
	;; [unrolled: 3-line block ×9, first 2 shown]
	v_add_f32_e32 v104, v104, v113
	s_waitcnt vmcnt(30)
	v_fmac_f32_e32 v114, v101, v175
	v_add_f32_e32 v108, v104, v114
	ds_read_b128 v[104:107], v4 offset:432
	s_waitcnt vmcnt(29)
	v_mul_f32_e32 v109, v102, v176
	s_waitcnt vmcnt(28)
	v_fmac_f32_e32 v109, v103, v177
	v_add_f32_e32 v112, v108, v109
	ds_read_b128 v[108:111], v4 offset:448
	s_waitcnt vmcnt(27) lgkmcnt(1)
	v_mul_f32_e32 v113, v104, v178
	s_waitcnt vmcnt(26)
	v_fmac_f32_e32 v113, v105, v179
	v_add_f32_e32 v112, v112, v113
	s_waitcnt vmcnt(25)
	v_mul_f32_e32 v113, v106, v180
	s_waitcnt vmcnt(24)
	v_fmac_f32_e32 v113, v107, v181
	v_add_f32_e32 v112, v112, v113
	s_waitcnt vmcnt(23) lgkmcnt(0)
	v_mul_f32_e32 v113, v108, v182
	s_waitcnt vmcnt(22)
	v_fmac_f32_e32 v113, v109, v183
	v_add_f32_e32 v116, v112, v113
	ds_read_b128 v[112:115], v4 offset:464
	s_waitcnt vmcnt(21)
	v_mul_f32_e32 v117, v110, v184
	s_waitcnt vmcnt(20)
	v_fmac_f32_e32 v117, v111, v185
	v_add_f32_e32 v120, v116, v117
	ds_read_b128 v[116:119], v4 offset:480
	s_waitcnt vmcnt(19) lgkmcnt(1)
	v_mul_f32_e32 v121, v112, v186
	s_waitcnt vmcnt(18)
	v_fmac_f32_e32 v121, v113, v187
	v_add_f32_e32 v120, v120, v121
	s_waitcnt vmcnt(17)
	v_mul_f32_e32 v121, v114, v188
	s_waitcnt vmcnt(16)
	v_fmac_f32_e32 v121, v115, v189
	v_add_f32_e32 v120, v120, v121
	s_waitcnt vmcnt(14) lgkmcnt(0)
	v_mul_f32_e32 v121, v116, v191
	v_fmac_f32_e32 v121, v117, v190
	v_add_f32_e32 v124, v120, v121
	ds_read_b128 v[120:123], v4 offset:496
	s_waitcnt vmcnt(10)
	v_mul_f32_e32 v125, v118, v193
	v_fmac_f32_e32 v125, v119, v192
	v_add_f32_e32 v128, v124, v125
	ds_read_b128 v[124:127], v4 offset:512
	s_waitcnt vmcnt(8) lgkmcnt(1)
	v_mul_f32_e32 v129, v120, v195
	v_fmac_f32_e32 v129, v121, v194
	v_add_f32_e32 v128, v128, v129
	s_waitcnt vmcnt(6)
	v_mul_f32_e32 v129, v122, v197
	v_fmac_f32_e32 v129, v123, v196
	v_add_f32_e32 v128, v128, v129
	s_waitcnt vmcnt(4) lgkmcnt(0)
	v_mul_f32_e32 v129, v124, v199
	v_fmac_f32_e32 v129, v125, v198
	v_add_f32_e32 v137, v128, v129
	ds_read_b128 v[128:131], v4 offset:528
	buffer_load_dword v139, off, s[0:3], 0 offset:244
	buffer_load_dword v138, off, s[0:3], 0 offset:240
	;; [unrolled: 1-line block ×4, first 2 shown]
	ds_read_b128 v[132:135], v4 offset:544
	buffer_load_dword v147, off, s[0:3], 0 offset:276
	buffer_load_dword v146, off, s[0:3], 0 offset:272
	;; [unrolled: 1-line block ×12, first 2 shown]
	v_mul_f32_e32 v5, v81, v5
	v_fma_f32 v5, v80, v165, -v5
	v_mul_f32_e32 v80, v83, v136
	v_add_f32_e32 v5, 0, v5
	v_fma_f32 v80, v82, v166, -v80
	v_add_f32_e32 v5, v5, v80
	v_mul_f32_e32 v80, v85, v142
	v_fma_f32 v80, v84, v167, -v80
	v_add_f32_e32 v5, v5, v80
	v_mul_f32_e32 v80, v87, v144
	;; [unrolled: 3-line block ×21, first 2 shown]
	v_fma_f32 v80, v124, v198, -v80
	s_waitcnt vmcnt(18)
	v_mul_f32_e32 v143, v126, v201
	v_add_f32_e32 v136, v5, v80
	v_mul_f32_e32 v5, v127, v201
	v_fmac_f32_e32 v143, v127, v200
	s_waitcnt vmcnt(16) lgkmcnt(1)
	v_mul_f32_e32 v145, v128, v203
	v_fma_f32 v142, v126, v200, -v5
	v_mul_f32_e32 v5, v129, v203
	v_fmac_f32_e32 v145, v129, v202
	s_waitcnt vmcnt(13)
	v_mov_b32_e32 v92, v141
	v_pk_mul_f32 v[92:93], v[130:131], v[92:93] op_sel_hi:[1,0]
	s_waitcnt vmcnt(12)
	v_pk_fma_f32 v[94:95], v[130:131], v[140:141], v[92:93] op_sel:[0,0,1] op_sel_hi:[1,1,0] neg_lo:[0,0,1] neg_hi:[0,0,1]
	v_pk_fma_f32 v[92:93], v[130:131], v[140:141], v[92:93] op_sel:[0,0,1] op_sel_hi:[1,0,0]
	v_fma_f32 v144, v128, v202, -v5
	v_pk_add_f32 v[90:91], v[136:137], v[142:143]
	v_mov_b32_e32 v92, v139
	v_pk_add_f32 v[90:91], v[90:91], v[144:145]
	v_mov_b32_e32 v95, v93
	s_waitcnt lgkmcnt(0)
	v_pk_mul_f32 v[92:93], v[132:133], v[92:93] op_sel_hi:[1,0]
	v_pk_add_f32 v[90:91], v[90:91], v[94:95]
	v_pk_fma_f32 v[94:95], v[132:133], v[138:139], v[92:93] op_sel:[0,0,1] op_sel_hi:[1,1,0] neg_lo:[0,0,1] neg_hi:[0,0,1]
	v_pk_fma_f32 v[92:93], v[132:133], v[138:139], v[92:93] op_sel:[0,0,1] op_sel_hi:[1,0,0]
	s_waitcnt vmcnt(5)
	v_mov_b32_e32 v92, v153
	ds_read_b128 v[80:83], v4 offset:560
	ds_read_b128 v[84:87], v4 offset:576
	ds_read_b64 v[88:89], v4 offset:592
	v_mov_b32_e32 v95, v93
	v_pk_mul_f32 v[92:93], v[134:135], v[92:93] op_sel_hi:[1,0]
	v_pk_add_f32 v[90:91], v[90:91], v[94:95]
	s_waitcnt vmcnt(4)
	v_pk_fma_f32 v[94:95], v[134:135], v[152:153], v[92:93] op_sel:[0,0,1] op_sel_hi:[1,1,0] neg_lo:[0,0,1] neg_hi:[0,0,1]
	v_pk_fma_f32 v[92:93], v[134:135], v[152:153], v[92:93] op_sel:[0,0,1] op_sel_hi:[1,0,0]
	v_mov_b32_e32 v92, v151
	v_mov_b32_e32 v95, v93
	s_waitcnt lgkmcnt(2)
	v_pk_mul_f32 v[92:93], v[80:81], v[92:93] op_sel_hi:[1,0]
	v_pk_add_f32 v[90:91], v[90:91], v[94:95]
	v_pk_fma_f32 v[94:95], v[80:81], v[150:151], v[92:93] op_sel:[0,0,1] op_sel_hi:[1,1,0] neg_lo:[0,0,1] neg_hi:[0,0,1]
	v_pk_fma_f32 v[80:81], v[80:81], v[150:151], v[92:93] op_sel:[0,0,1] op_sel_hi:[1,0,0]
	v_mov_b32_e32 v95, v81
	v_pk_add_f32 v[80:81], v[90:91], v[94:95]
	v_mov_b32_e32 v90, v149
	v_pk_mul_f32 v[90:91], v[82:83], v[90:91] op_sel_hi:[1,0]
	v_pk_fma_f32 v[92:93], v[82:83], v[148:149], v[90:91] op_sel:[0,0,1] op_sel_hi:[1,1,0] neg_lo:[0,0,1] neg_hi:[0,0,1]
	v_pk_fma_f32 v[82:83], v[82:83], v[148:149], v[90:91] op_sel:[0,0,1] op_sel_hi:[1,0,0]
	v_mov_b32_e32 v82, v147
	v_mov_b32_e32 v93, v83
	s_waitcnt lgkmcnt(1)
	v_pk_mul_f32 v[82:83], v[84:85], v[82:83] op_sel_hi:[1,0]
	v_pk_fma_f32 v[90:91], v[84:85], v[146:147], v[82:83] op_sel:[0,0,1] op_sel_hi:[1,1,0] neg_lo:[0,0,1] neg_hi:[0,0,1]
	v_pk_fma_f32 v[82:83], v[84:85], v[146:147], v[82:83] op_sel:[0,0,1] op_sel_hi:[1,0,0]
	s_waitcnt vmcnt(1)
	v_mov_b32_e32 v82, v157
	v_mov_b32_e32 v91, v83
	v_pk_mul_f32 v[82:83], v[86:87], v[82:83] op_sel_hi:[1,0]
	s_waitcnt vmcnt(0)
	v_pk_fma_f32 v[84:85], v[86:87], v[156:157], v[82:83] op_sel:[0,0,1] op_sel_hi:[1,1,0] neg_lo:[0,0,1] neg_hi:[0,0,1]
	v_pk_fma_f32 v[82:83], v[86:87], v[156:157], v[82:83] op_sel:[0,0,1] op_sel_hi:[1,0,0]
	v_pk_add_f32 v[80:81], v[80:81], v[92:93]
	v_mov_b32_e32 v82, v155
	v_pk_add_f32 v[80:81], v[80:81], v[90:91]
	v_mov_b32_e32 v85, v83
	s_waitcnt lgkmcnt(0)
	v_pk_mul_f32 v[82:83], v[88:89], v[82:83] op_sel_hi:[1,0]
	v_pk_add_f32 v[80:81], v[80:81], v[84:85]
	v_pk_fma_f32 v[84:85], v[88:89], v[154:155], v[82:83] op_sel:[0,0,1] op_sel_hi:[1,1,0] neg_lo:[0,0,1] neg_hi:[0,0,1]
	v_pk_fma_f32 v[82:83], v[88:89], v[154:155], v[82:83] op_sel:[0,0,1] op_sel_hi:[1,0,0]
	v_mov_b32_e32 v85, v83
	v_pk_add_f32 v[80:81], v[80:81], v[84:85]
	v_pk_add_f32 v[2:3], v[2:3], v[80:81] neg_lo:[0,1] neg_hi:[0,1]
	buffer_store_dword v3, off, s[0:3], 0 offset:28
	buffer_store_dword v2, off, s[0:3], 0 offset:24
	s_and_saveexec_b64 s[4:5], vcc
	s_cbranch_execz .LBB100_231
; %bb.230:
	buffer_load_dword v2, off, s[0:3], 0 offset:16
	buffer_load_dword v3, off, s[0:3], 0 offset:20
	s_waitcnt vmcnt(0)
	ds_write_b64 v1, v[2:3]
	buffer_store_dword v4, off, s[0:3], 0 offset:16
	buffer_store_dword v4, off, s[0:3], 0 offset:20
.LBB100_231:
	s_or_b64 exec, exec, s[4:5]
	s_waitcnt lgkmcnt(0)
	; wave barrier
	s_waitcnt lgkmcnt(0)
	buffer_load_dword v5, off, s[0:3], 0 offset:28
	buffer_load_dword v138, off, s[0:3], 0 offset:36
	;; [unrolled: 1-line block ×42, first 2 shown]
	ds_read2_b64 v[80:83], v4 offset0:41 offset1:42
	ds_read2_b64 v[84:87], v4 offset0:43 offset1:44
	buffer_load_dword v194, off, s[0:3], 0 offset:184
	buffer_load_dword v195, off, s[0:3], 0 offset:188
	ds_read2_b64 v[88:91], v4 offset0:45 offset1:46
	ds_read2_b64 v[92:95], v4 offset0:47 offset1:48
	buffer_load_dword v196, off, s[0:3], 0 offset:192
	buffer_load_dword v197, off, s[0:3], 0 offset:196
	;; [unrolled: 1-line block ×4, first 2 shown]
	ds_read2_b64 v[96:99], v4 offset0:49 offset1:50
	ds_read2_b64 v[100:103], v4 offset0:51 offset1:52
	buffer_load_dword v200, off, s[0:3], 0 offset:208
	buffer_load_dword v201, off, s[0:3], 0 offset:212
	;; [unrolled: 1-line block ×6, first 2 shown]
	v_cmp_lt_u32_e32 vcc, 1, v0
	s_waitcnt vmcnt(53) lgkmcnt(5)
	v_mul_f32_e32 v104, v80, v5
	s_waitcnt vmcnt(52)
	v_mul_f32_e32 v105, v82, v138
	s_waitcnt vmcnt(51) lgkmcnt(4)
	v_mul_f32_e32 v106, v84, v140
	s_waitcnt vmcnt(50)
	v_mul_f32_e32 v107, v86, v142
	;; [unrolled: 4-line block ×5, first 2 shown]
	s_waitcnt vmcnt(43)
	v_fmac_f32_e32 v104, v81, v164
	s_waitcnt vmcnt(42)
	v_fmac_f32_e32 v105, v83, v165
	v_add_f32_e32 v104, 0, v104
	s_waitcnt vmcnt(41)
	v_fmac_f32_e32 v106, v85, v166
	v_add_f32_e32 v104, v104, v105
	s_waitcnt vmcnt(40)
	v_fmac_f32_e32 v107, v87, v167
	v_add_f32_e32 v104, v104, v106
	s_waitcnt vmcnt(39)
	v_fmac_f32_e32 v108, v89, v168
	v_add_f32_e32 v104, v104, v107
	s_waitcnt vmcnt(38)
	v_fmac_f32_e32 v109, v91, v169
	v_add_f32_e32 v104, v104, v108
	s_waitcnt vmcnt(37)
	v_fmac_f32_e32 v110, v93, v170
	v_add_f32_e32 v104, v104, v109
	s_waitcnt vmcnt(36)
	v_fmac_f32_e32 v111, v95, v171
	v_add_f32_e32 v104, v104, v110
	s_waitcnt vmcnt(35)
	v_fmac_f32_e32 v112, v97, v172
	v_add_f32_e32 v104, v104, v111
	s_waitcnt vmcnt(34)
	v_fmac_f32_e32 v113, v99, v173
	v_add_f32_e32 v104, v104, v112
	s_waitcnt vmcnt(33) lgkmcnt(0)
	v_mul_f32_e32 v105, v100, v174
	v_add_f32_e32 v104, v104, v113
	s_waitcnt vmcnt(32)
	v_fmac_f32_e32 v105, v101, v175
	v_add_f32_e32 v108, v104, v105
	ds_read2_b64 v[104:107], v4 offset0:53 offset1:54
	s_waitcnt vmcnt(31)
	v_mul_f32_e32 v109, v102, v176
	s_waitcnt vmcnt(30)
	v_fmac_f32_e32 v109, v103, v177
	v_add_f32_e32 v112, v108, v109
	ds_read2_b64 v[108:111], v4 offset0:55 offset1:56
	s_waitcnt vmcnt(29) lgkmcnt(1)
	v_mul_f32_e32 v113, v104, v178
	s_waitcnt vmcnt(28)
	v_fmac_f32_e32 v113, v105, v179
	v_add_f32_e32 v112, v112, v113
	s_waitcnt vmcnt(27)
	v_mul_f32_e32 v113, v106, v180
	s_waitcnt vmcnt(26)
	v_fmac_f32_e32 v113, v107, v181
	v_add_f32_e32 v112, v112, v113
	s_waitcnt vmcnt(25) lgkmcnt(0)
	v_mul_f32_e32 v113, v108, v182
	s_waitcnt vmcnt(24)
	v_fmac_f32_e32 v113, v109, v183
	v_add_f32_e32 v116, v112, v113
	ds_read2_b64 v[112:115], v4 offset0:57 offset1:58
	s_waitcnt vmcnt(23)
	v_mul_f32_e32 v117, v110, v184
	s_waitcnt vmcnt(22)
	v_fmac_f32_e32 v117, v111, v185
	v_add_f32_e32 v120, v116, v117
	ds_read2_b64 v[116:119], v4 offset0:59 offset1:60
	s_waitcnt vmcnt(21) lgkmcnt(1)
	v_mul_f32_e32 v121, v112, v186
	s_waitcnt vmcnt(20)
	v_fmac_f32_e32 v121, v113, v187
	v_add_f32_e32 v120, v120, v121
	s_waitcnt vmcnt(18)
	v_mul_f32_e32 v121, v114, v189
	v_fmac_f32_e32 v121, v115, v188
	v_add_f32_e32 v120, v120, v121
	s_waitcnt vmcnt(15) lgkmcnt(0)
	v_mul_f32_e32 v121, v116, v190
	s_waitcnt vmcnt(14)
	v_fmac_f32_e32 v121, v117, v191
	v_add_f32_e32 v124, v120, v121
	ds_read2_b64 v[120:123], v4 offset0:61 offset1:62
	s_waitcnt vmcnt(12)
	v_mul_f32_e32 v125, v118, v193
	v_fmac_f32_e32 v125, v119, v192
	v_add_f32_e32 v128, v124, v125
	ds_read2_b64 v[124:127], v4 offset0:63 offset1:64
	buffer_load_dword v137, off, s[0:3], 0 offset:236
	buffer_load_dword v136, off, s[0:3], 0 offset:232
	s_waitcnt vmcnt(12) lgkmcnt(1)
	v_mul_f32_e32 v129, v120, v195
	v_fmac_f32_e32 v129, v121, v194
	v_add_f32_e32 v128, v128, v129
	s_waitcnt vmcnt(10)
	v_mul_f32_e32 v129, v122, v197
	v_fmac_f32_e32 v129, v123, v196
	v_add_f32_e32 v128, v128, v129
	s_waitcnt vmcnt(8) lgkmcnt(0)
	v_mul_f32_e32 v129, v124, v199
	v_fmac_f32_e32 v129, v125, v198
	s_waitcnt vmcnt(6)
	v_mul_f32_e32 v133, v126, v201
	v_add_f32_e32 v132, v128, v129
	v_fmac_f32_e32 v133, v127, v200
	ds_read2_b64 v[128:131], v4 offset0:65 offset1:66
	v_add_f32_e32 v139, v132, v133
	ds_read2_b64 v[132:135], v4 offset0:67 offset1:68
	buffer_load_dword v145, off, s[0:3], 0 offset:268
	buffer_load_dword v144, off, s[0:3], 0 offset:264
	;; [unrolled: 1-line block ×14, first 2 shown]
	v_mul_f32_e32 v5, v81, v5
	v_fma_f32 v5, v80, v164, -v5
	v_mul_f32_e32 v80, v83, v138
	v_add_f32_e32 v5, 0, v5
	v_fma_f32 v80, v82, v165, -v80
	v_add_f32_e32 v5, v5, v80
	v_mul_f32_e32 v80, v85, v140
	v_fma_f32 v80, v84, v166, -v80
	v_add_f32_e32 v5, v5, v80
	v_mul_f32_e32 v80, v87, v142
	;; [unrolled: 3-line block ×22, first 2 shown]
	v_fma_f32 v80, v126, v200, -v80
	s_waitcnt vmcnt(15)
	v_mov_b32_e32 v92, v137
	s_waitcnt lgkmcnt(1)
	v_mul_f32_e32 v141, v128, v203
	v_add_f32_e32 v138, v5, v80
	v_mul_f32_e32 v5, v129, v203
	s_waitcnt lgkmcnt(0)
	v_pk_mul_f32 v[92:93], v[132:133], v[92:93] op_sel_hi:[1,0]
	v_fmac_f32_e32 v141, v129, v202
	v_mul_f32_e32 v143, v130, v205
	v_fma_f32 v140, v128, v202, -v5
	v_mul_f32_e32 v5, v131, v205
	s_waitcnt vmcnt(14)
	v_pk_fma_f32 v[94:95], v[132:133], v[136:137], v[92:93] op_sel:[0,0,1] op_sel_hi:[1,1,0] neg_lo:[0,0,1] neg_hi:[0,0,1]
	v_pk_fma_f32 v[92:93], v[132:133], v[136:137], v[92:93] op_sel:[0,0,1] op_sel_hi:[1,0,0]
	v_fmac_f32_e32 v143, v131, v204
	v_fma_f32 v142, v130, v204, -v5
	ds_read2_b64 v[80:83], v4 offset0:69 offset1:70
	ds_read2_b64 v[84:87], v4 offset0:71 offset1:72
	;; [unrolled: 1-line block ×3, first 2 shown]
	v_pk_add_f32 v[4:5], v[138:139], v[140:141]
	s_waitcnt vmcnt(7)
	v_mov_b32_e32 v92, v151
	v_pk_add_f32 v[4:5], v[4:5], v[142:143]
	v_mov_b32_e32 v95, v93
	v_pk_mul_f32 v[92:93], v[134:135], v[92:93] op_sel_hi:[1,0]
	v_pk_add_f32 v[4:5], v[4:5], v[94:95]
	s_waitcnt vmcnt(6)
	v_pk_fma_f32 v[94:95], v[134:135], v[150:151], v[92:93] op_sel:[0,0,1] op_sel_hi:[1,1,0] neg_lo:[0,0,1] neg_hi:[0,0,1]
	v_pk_fma_f32 v[92:93], v[134:135], v[150:151], v[92:93] op_sel:[0,0,1] op_sel_hi:[1,0,0]
	v_mov_b32_e32 v92, v149
	v_mov_b32_e32 v95, v93
	s_waitcnt lgkmcnt(2)
	v_pk_mul_f32 v[92:93], v[80:81], v[92:93] op_sel_hi:[1,0]
	v_pk_add_f32 v[4:5], v[4:5], v[94:95]
	v_pk_fma_f32 v[94:95], v[80:81], v[148:149], v[92:93] op_sel:[0,0,1] op_sel_hi:[1,1,0] neg_lo:[0,0,1] neg_hi:[0,0,1]
	v_pk_fma_f32 v[80:81], v[80:81], v[148:149], v[92:93] op_sel:[0,0,1] op_sel_hi:[1,0,0]
	v_mov_b32_e32 v80, v147
	v_mov_b32_e32 v95, v81
	v_pk_mul_f32 v[80:81], v[82:83], v[80:81] op_sel_hi:[1,0]
	v_pk_fma_f32 v[92:93], v[82:83], v[146:147], v[80:81] op_sel:[0,0,1] op_sel_hi:[1,1,0] neg_lo:[0,0,1] neg_hi:[0,0,1]
	v_pk_fma_f32 v[80:81], v[82:83], v[146:147], v[80:81] op_sel:[0,0,1] op_sel_hi:[1,0,0]
	v_mov_b32_e32 v80, v145
	v_mov_b32_e32 v93, v81
	s_waitcnt lgkmcnt(1)
	v_pk_mul_f32 v[80:81], v[84:85], v[80:81] op_sel_hi:[1,0]
	v_pk_fma_f32 v[82:83], v[84:85], v[144:145], v[80:81] op_sel:[0,0,1] op_sel_hi:[1,1,0] neg_lo:[0,0,1] neg_hi:[0,0,1]
	v_pk_fma_f32 v[80:81], v[84:85], v[144:145], v[80:81] op_sel:[0,0,1] op_sel_hi:[1,0,0]
	v_pk_add_f32 v[4:5], v[4:5], v[94:95]
	s_waitcnt vmcnt(1)
	v_mov_b32_e32 v80, v157
	v_pk_add_f32 v[4:5], v[4:5], v[92:93]
	v_mov_b32_e32 v83, v81
	v_pk_mul_f32 v[80:81], v[86:87], v[80:81] op_sel_hi:[1,0]
	v_pk_add_f32 v[4:5], v[4:5], v[82:83]
	s_waitcnt vmcnt(0)
	v_pk_fma_f32 v[82:83], v[86:87], v[156:157], v[80:81] op_sel:[0,0,1] op_sel_hi:[1,1,0] neg_lo:[0,0,1] neg_hi:[0,0,1]
	v_pk_fma_f32 v[80:81], v[86:87], v[156:157], v[80:81] op_sel:[0,0,1] op_sel_hi:[1,0,0]
	v_mov_b32_e32 v80, v155
	v_mov_b32_e32 v83, v81
	s_waitcnt lgkmcnt(0)
	v_pk_mul_f32 v[80:81], v[88:89], v[80:81] op_sel_hi:[1,0]
	v_pk_add_f32 v[4:5], v[4:5], v[82:83]
	v_pk_fma_f32 v[82:83], v[88:89], v[154:155], v[80:81] op_sel:[0,0,1] op_sel_hi:[1,1,0] neg_lo:[0,0,1] neg_hi:[0,0,1]
	v_pk_fma_f32 v[80:81], v[88:89], v[154:155], v[80:81] op_sel:[0,0,1] op_sel_hi:[1,0,0]
	v_mov_b32_e32 v80, v153
	v_mov_b32_e32 v83, v81
	v_pk_mul_f32 v[80:81], v[90:91], v[80:81] op_sel_hi:[1,0]
	v_pk_add_f32 v[4:5], v[4:5], v[82:83]
	v_pk_fma_f32 v[82:83], v[90:91], v[152:153], v[80:81] op_sel:[0,0,1] op_sel_hi:[1,1,0] neg_lo:[0,0,1] neg_hi:[0,0,1]
	v_pk_fma_f32 v[80:81], v[90:91], v[152:153], v[80:81] op_sel:[0,0,1] op_sel_hi:[1,0,0]
	v_mov_b32_e32 v83, v81
	v_pk_add_f32 v[4:5], v[4:5], v[82:83]
	v_pk_add_f32 v[2:3], v[2:3], v[4:5] neg_lo:[0,1] neg_hi:[0,1]
	buffer_store_dword v3, off, s[0:3], 0 offset:20
	buffer_store_dword v2, off, s[0:3], 0 offset:16
	s_and_saveexec_b64 s[4:5], vcc
	s_cbranch_execz .LBB100_233
; %bb.232:
	buffer_load_dword v2, off, s[0:3], 0 offset:8
	buffer_load_dword v3, off, s[0:3], 0 offset:12
	v_mov_b32_e32 v4, 0
	buffer_store_dword v4, off, s[0:3], 0 offset:8
	buffer_store_dword v4, off, s[0:3], 0 offset:12
	s_waitcnt vmcnt(2)
	ds_write_b64 v1, v[2:3]
.LBB100_233:
	s_or_b64 exec, exec, s[4:5]
	s_waitcnt lgkmcnt(0)
	; wave barrier
	s_waitcnt lgkmcnt(0)
	buffer_load_dword v5, off, s[0:3], 0 offset:20
	buffer_load_dword v136, off, s[0:3], 0 offset:28
	;; [unrolled: 1-line block ×56, first 2 shown]
	v_mov_b32_e32 v4, 0
	ds_read_b128 v[80:83], v4 offset:320
	ds_read_b128 v[84:87], v4 offset:336
	;; [unrolled: 1-line block ×6, first 2 shown]
	v_cmp_ne_u32_e32 vcc, 0, v0
	s_waitcnt vmcnt(55) lgkmcnt(5)
	v_mul_f32_e32 v104, v80, v5
	s_waitcnt vmcnt(54)
	v_mul_f32_e32 v105, v82, v136
	s_waitcnt vmcnt(53) lgkmcnt(4)
	v_mul_f32_e32 v106, v84, v138
	s_waitcnt vmcnt(52)
	v_mul_f32_e32 v107, v86, v140
	;; [unrolled: 4-line block ×4, first 2 shown]
	s_waitcnt vmcnt(47) lgkmcnt(1)
	v_mul_f32_e32 v112, v96, v162
	s_waitcnt vmcnt(46)
	v_fmac_f32_e32 v104, v81, v163
	s_waitcnt vmcnt(45)
	v_fmac_f32_e32 v105, v83, v164
	v_add_f32_e32 v104, 0, v104
	s_waitcnt vmcnt(44)
	v_fmac_f32_e32 v106, v85, v165
	v_add_f32_e32 v104, v104, v105
	;; [unrolled: 3-line block ×7, first 2 shown]
	v_add_f32_e32 v104, v104, v111
	s_waitcnt vmcnt(38)
	v_fmac_f32_e32 v112, v97, v171
	s_waitcnt vmcnt(37)
	v_mul_f32_e32 v105, v98, v172
	v_add_f32_e32 v104, v104, v112
	s_waitcnt vmcnt(36)
	v_fmac_f32_e32 v105, v99, v173
	v_add_f32_e32 v104, v104, v105
	s_waitcnt vmcnt(35) lgkmcnt(0)
	v_mul_f32_e32 v105, v100, v174
	s_waitcnt vmcnt(34)
	v_fmac_f32_e32 v105, v101, v175
	v_add_f32_e32 v108, v104, v105
	ds_read_b128 v[104:107], v4 offset:416
	s_waitcnt vmcnt(33)
	v_mul_f32_e32 v109, v102, v176
	s_waitcnt vmcnt(32)
	v_fmac_f32_e32 v109, v103, v177
	v_add_f32_e32 v112, v108, v109
	ds_read_b128 v[108:111], v4 offset:432
	s_waitcnt vmcnt(31) lgkmcnt(1)
	v_mul_f32_e32 v113, v104, v178
	s_waitcnt vmcnt(30)
	v_fmac_f32_e32 v113, v105, v179
	v_add_f32_e32 v112, v112, v113
	s_waitcnt vmcnt(29)
	v_mul_f32_e32 v113, v106, v180
	s_waitcnt vmcnt(28)
	v_fmac_f32_e32 v113, v107, v181
	v_add_f32_e32 v112, v112, v113
	s_waitcnt vmcnt(27) lgkmcnt(0)
	v_mul_f32_e32 v113, v108, v182
	s_waitcnt vmcnt(26)
	v_fmac_f32_e32 v113, v109, v183
	v_add_f32_e32 v116, v112, v113
	ds_read_b128 v[112:115], v4 offset:448
	s_waitcnt vmcnt(24)
	v_mul_f32_e32 v117, v110, v185
	v_fmac_f32_e32 v117, v111, v184
	v_add_f32_e32 v120, v116, v117
	ds_read_b128 v[116:119], v4 offset:464
	s_waitcnt vmcnt(20) lgkmcnt(1)
	v_mul_f32_e32 v121, v112, v187
	v_fmac_f32_e32 v121, v113, v186
	v_add_f32_e32 v120, v120, v121
	s_waitcnt vmcnt(18)
	v_mul_f32_e32 v121, v114, v189
	v_fmac_f32_e32 v121, v115, v188
	v_add_f32_e32 v120, v120, v121
	s_waitcnt vmcnt(16) lgkmcnt(0)
	v_mul_f32_e32 v121, v116, v191
	v_fmac_f32_e32 v121, v117, v190
	v_add_f32_e32 v124, v120, v121
	ds_read_b128 v[120:123], v4 offset:480
	s_waitcnt vmcnt(14)
	v_mul_f32_e32 v125, v118, v193
	v_fmac_f32_e32 v125, v119, v192
	v_add_f32_e32 v128, v124, v125
	ds_read_b128 v[124:127], v4 offset:496
	s_waitcnt vmcnt(12) lgkmcnt(1)
	v_mul_f32_e32 v129, v120, v195
	v_fmac_f32_e32 v129, v121, v194
	v_add_f32_e32 v128, v128, v129
	s_waitcnt vmcnt(10)
	v_mul_f32_e32 v129, v122, v197
	v_fmac_f32_e32 v129, v123, v196
	v_add_f32_e32 v128, v128, v129
	s_waitcnt vmcnt(8) lgkmcnt(0)
	v_mul_f32_e32 v129, v124, v199
	v_fmac_f32_e32 v129, v125, v198
	s_waitcnt vmcnt(6)
	v_mul_f32_e32 v133, v126, v201
	v_add_f32_e32 v132, v128, v129
	v_fmac_f32_e32 v133, v127, v200
	ds_read_b128 v[128:131], v4 offset:512
	v_add_f32_e32 v137, v132, v133
	ds_read_b128 v[132:135], v4 offset:528
	buffer_load_dword v143, off, s[0:3], 0 offset:260
	buffer_load_dword v142, off, s[0:3], 0 offset:256
	;; [unrolled: 1-line block ×16, first 2 shown]
	v_mul_f32_e32 v5, v81, v5
	v_fma_f32 v5, v80, v163, -v5
	v_mul_f32_e32 v80, v83, v136
	v_add_f32_e32 v5, 0, v5
	v_fma_f32 v80, v82, v164, -v80
	v_add_f32_e32 v5, v5, v80
	v_mul_f32_e32 v80, v85, v138
	v_fma_f32 v80, v84, v165, -v80
	v_add_f32_e32 v5, v5, v80
	v_mul_f32_e32 v80, v87, v140
	;; [unrolled: 3-line block ×22, first 2 shown]
	v_fma_f32 v80, v126, v200, -v80
	s_waitcnt vmcnt(20) lgkmcnt(1)
	v_mul_f32_e32 v139, v128, v203
	v_add_f32_e32 v5, v5, v80
	v_mul_f32_e32 v80, v129, v203
	v_fmac_f32_e32 v139, v129, v202
	v_fma_f32 v80, v128, v202, -v80
	s_waitcnt vmcnt(9)
	v_mov_b32_e32 v96, v149
	v_add_f32_e32 v137, v137, v139
	v_mul_f32_e32 v139, v130, v205
	v_add_f32_e32 v136, v5, v80
	v_mul_f32_e32 v5, v131, v205
	s_waitcnt lgkmcnt(0)
	v_pk_mul_f32 v[96:97], v[134:135], v[96:97] op_sel_hi:[1,0]
	v_fmac_f32_e32 v139, v131, v204
	v_mul_f32_e32 v141, v132, v207
	v_fma_f32 v138, v130, v204, -v5
	v_mul_f32_e32 v5, v133, v207
	ds_read_b128 v[80:83], v4 offset:544
	ds_read_b128 v[84:87], v4 offset:560
	;; [unrolled: 1-line block ×3, first 2 shown]
	ds_read_b64 v[92:93], v4 offset:592
	s_waitcnt vmcnt(8)
	v_pk_fma_f32 v[98:99], v[134:135], v[148:149], v[96:97] op_sel:[0,0,1] op_sel_hi:[1,1,0] neg_lo:[0,0,1] neg_hi:[0,0,1]
	v_pk_fma_f32 v[96:97], v[134:135], v[148:149], v[96:97] op_sel:[0,0,1] op_sel_hi:[1,0,0]
	v_fmac_f32_e32 v141, v133, v206
	v_fma_f32 v140, v132, v206, -v5
	v_pk_add_f32 v[94:95], v[136:137], v[138:139]
	v_mov_b32_e32 v96, v147
	v_pk_add_f32 v[94:95], v[94:95], v[140:141]
	v_mov_b32_e32 v99, v97
	s_waitcnt lgkmcnt(3)
	v_pk_mul_f32 v[96:97], v[80:81], v[96:97] op_sel_hi:[1,0]
	v_pk_add_f32 v[94:95], v[94:95], v[98:99]
	v_pk_fma_f32 v[98:99], v[80:81], v[146:147], v[96:97] op_sel:[0,0,1] op_sel_hi:[1,1,0] neg_lo:[0,0,1] neg_hi:[0,0,1]
	v_pk_fma_f32 v[80:81], v[80:81], v[146:147], v[96:97] op_sel:[0,0,1] op_sel_hi:[1,0,0]
	v_mov_b32_e32 v99, v81
	v_pk_add_f32 v[80:81], v[94:95], v[98:99]
	v_mov_b32_e32 v94, v145
	v_pk_mul_f32 v[94:95], v[82:83], v[94:95] op_sel_hi:[1,0]
	v_pk_fma_f32 v[96:97], v[82:83], v[144:145], v[94:95] op_sel:[0,0,1] op_sel_hi:[1,1,0] neg_lo:[0,0,1] neg_hi:[0,0,1]
	v_pk_fma_f32 v[82:83], v[82:83], v[144:145], v[94:95] op_sel:[0,0,1] op_sel_hi:[1,0,0]
	v_mov_b32_e32 v82, v143
	v_mov_b32_e32 v97, v83
	s_waitcnt lgkmcnt(2)
	v_pk_mul_f32 v[82:83], v[84:85], v[82:83] op_sel_hi:[1,0]
	v_pk_fma_f32 v[94:95], v[84:85], v[142:143], v[82:83] op_sel:[0,0,1] op_sel_hi:[1,1,0] neg_lo:[0,0,1] neg_hi:[0,0,1]
	v_pk_fma_f32 v[82:83], v[84:85], v[142:143], v[82:83] op_sel:[0,0,1] op_sel_hi:[1,0,0]
	s_waitcnt vmcnt(1)
	v_mov_b32_e32 v82, v157
	v_mov_b32_e32 v95, v83
	v_pk_mul_f32 v[82:83], v[86:87], v[82:83] op_sel_hi:[1,0]
	s_waitcnt vmcnt(0)
	v_pk_fma_f32 v[84:85], v[86:87], v[156:157], v[82:83] op_sel:[0,0,1] op_sel_hi:[1,1,0] neg_lo:[0,0,1] neg_hi:[0,0,1]
	v_pk_fma_f32 v[82:83], v[86:87], v[156:157], v[82:83] op_sel:[0,0,1] op_sel_hi:[1,0,0]
	v_pk_add_f32 v[80:81], v[80:81], v[96:97]
	v_mov_b32_e32 v82, v155
	v_pk_add_f32 v[80:81], v[80:81], v[94:95]
	v_mov_b32_e32 v85, v83
	s_waitcnt lgkmcnt(1)
	v_pk_mul_f32 v[82:83], v[88:89], v[82:83] op_sel_hi:[1,0]
	v_pk_add_f32 v[80:81], v[80:81], v[84:85]
	v_pk_fma_f32 v[84:85], v[88:89], v[154:155], v[82:83] op_sel:[0,0,1] op_sel_hi:[1,1,0] neg_lo:[0,0,1] neg_hi:[0,0,1]
	v_pk_fma_f32 v[82:83], v[88:89], v[154:155], v[82:83] op_sel:[0,0,1] op_sel_hi:[1,0,0]
	v_mov_b32_e32 v82, v153
	v_mov_b32_e32 v85, v83
	v_pk_mul_f32 v[82:83], v[90:91], v[82:83] op_sel_hi:[1,0]
	v_pk_add_f32 v[80:81], v[80:81], v[84:85]
	v_pk_fma_f32 v[84:85], v[90:91], v[152:153], v[82:83] op_sel:[0,0,1] op_sel_hi:[1,1,0] neg_lo:[0,0,1] neg_hi:[0,0,1]
	v_pk_fma_f32 v[82:83], v[90:91], v[152:153], v[82:83] op_sel:[0,0,1] op_sel_hi:[1,0,0]
	v_mov_b32_e32 v82, v151
	v_mov_b32_e32 v85, v83
	s_waitcnt lgkmcnt(0)
	v_pk_mul_f32 v[82:83], v[92:93], v[82:83] op_sel_hi:[1,0]
	v_pk_add_f32 v[80:81], v[80:81], v[84:85]
	v_pk_fma_f32 v[84:85], v[92:93], v[150:151], v[82:83] op_sel:[0,0,1] op_sel_hi:[1,1,0] neg_lo:[0,0,1] neg_hi:[0,0,1]
	v_pk_fma_f32 v[82:83], v[92:93], v[150:151], v[82:83] op_sel:[0,0,1] op_sel_hi:[1,0,0]
	v_mov_b32_e32 v85, v83
	v_pk_add_f32 v[80:81], v[80:81], v[84:85]
	v_pk_add_f32 v[2:3], v[2:3], v[80:81] neg_lo:[0,1] neg_hi:[0,1]
	buffer_store_dword v3, off, s[0:3], 0 offset:12
	buffer_store_dword v2, off, s[0:3], 0 offset:8
	s_and_saveexec_b64 s[4:5], vcc
	s_cbranch_execz .LBB100_235
; %bb.234:
	buffer_load_dword v2, off, s[0:3], 0
	buffer_load_dword v3, off, s[0:3], 0 offset:4
	s_waitcnt vmcnt(0)
	ds_write_b64 v1, v[2:3]
	buffer_store_dword v4, off, s[0:3], 0
	buffer_store_dword v4, off, s[0:3], 0 offset:4
.LBB100_235:
	s_or_b64 exec, exec, s[4:5]
	s_waitcnt lgkmcnt(0)
	; wave barrier
	s_waitcnt lgkmcnt(0)
	buffer_load_dword v2, off, s[0:3], 0 offset:12
	buffer_load_dword v3, off, s[0:3], 0 offset:20
	;; [unrolled: 1-line block ×30, first 2 shown]
	buffer_load_dword v0, off, s[0:3], 0
	buffer_load_dword v1, off, s[0:3], 0 offset:4
	buffer_load_dword v182, off, s[0:3], 0 offset:132
	buffer_load_dword v183, off, s[0:3], 0 offset:128
	buffer_load_dword v184, off, s[0:3], 0 offset:136
	buffer_load_dword v185, off, s[0:3], 0 offset:140
	ds_read2_b64 v[80:83], v4 offset0:39 offset1:40
	ds_read2_b64 v[84:87], v4 offset0:41 offset1:42
	buffer_load_dword v186, off, s[0:3], 0 offset:144
	buffer_load_dword v187, off, s[0:3], 0 offset:148
	;; [unrolled: 1-line block ×4, first 2 shown]
	ds_read2_b64 v[88:91], v4 offset0:43 offset1:44
	ds_read2_b64 v[92:95], v4 offset0:45 offset1:46
	buffer_load_dword v190, off, s[0:3], 0 offset:160
	buffer_load_dword v191, off, s[0:3], 0 offset:164
	ds_read2_b64 v[96:99], v4 offset0:47 offset1:48
	ds_read2_b64 v[100:103], v4 offset0:49 offset1:50
	buffer_load_dword v192, off, s[0:3], 0 offset:168
	buffer_load_dword v193, off, s[0:3], 0 offset:172
	;; [unrolled: 1-line block ×16, first 2 shown]
	s_and_b64 vcc, exec, s[16:17]
	s_waitcnt vmcnt(57) lgkmcnt(5)
	v_mul_f32_e32 v104, v80, v2
	s_waitcnt vmcnt(56)
	v_mul_f32_e32 v105, v82, v3
	s_waitcnt vmcnt(55) lgkmcnt(4)
	v_mul_f32_e32 v106, v84, v5
	s_waitcnt vmcnt(54)
	v_mul_f32_e32 v107, v86, v136
	;; [unrolled: 4-line block ×4, first 2 shown]
	s_waitcnt vmcnt(49)
	v_fmac_f32_e32 v104, v81, v160
	s_waitcnt vmcnt(48)
	v_fmac_f32_e32 v105, v83, v161
	v_add_f32_e32 v104, 0, v104
	s_waitcnt vmcnt(47)
	v_fmac_f32_e32 v106, v85, v162
	v_add_f32_e32 v104, v104, v105
	;; [unrolled: 3-line block ×7, first 2 shown]
	s_waitcnt vmcnt(41) lgkmcnt(1)
	v_mul_f32_e32 v105, v96, v168
	v_add_f32_e32 v104, v104, v111
	s_waitcnt vmcnt(40)
	v_fmac_f32_e32 v105, v97, v169
	v_add_f32_e32 v104, v104, v105
	s_waitcnt vmcnt(39)
	v_mul_f32_e32 v105, v98, v170
	s_waitcnt vmcnt(38)
	v_fmac_f32_e32 v105, v99, v171
	v_add_f32_e32 v104, v104, v105
	s_waitcnt vmcnt(37) lgkmcnt(0)
	v_mul_f32_e32 v105, v100, v172
	s_waitcnt vmcnt(36)
	v_fmac_f32_e32 v105, v101, v173
	v_add_f32_e32 v108, v104, v105
	ds_read2_b64 v[104:107], v4 offset0:51 offset1:52
	s_waitcnt vmcnt(35)
	v_mul_f32_e32 v109, v102, v174
	s_waitcnt vmcnt(34)
	v_fmac_f32_e32 v109, v103, v175
	v_add_f32_e32 v112, v108, v109
	ds_read2_b64 v[108:111], v4 offset0:53 offset1:54
	s_waitcnt vmcnt(33) lgkmcnt(1)
	v_mul_f32_e32 v113, v104, v176
	s_waitcnt vmcnt(32)
	v_fmac_f32_e32 v113, v105, v177
	v_add_f32_e32 v112, v112, v113
	s_waitcnt vmcnt(31)
	v_mul_f32_e32 v113, v106, v178
	s_waitcnt vmcnt(30)
	v_fmac_f32_e32 v113, v107, v179
	v_add_f32_e32 v112, v112, v113
	s_waitcnt vmcnt(29) lgkmcnt(0)
	v_mul_f32_e32 v113, v108, v180
	s_waitcnt vmcnt(28)
	v_fmac_f32_e32 v113, v109, v181
	v_add_f32_e32 v116, v112, v113
	ds_read2_b64 v[112:115], v4 offset0:55 offset1:56
	s_waitcnt vmcnt(25)
	v_mul_f32_e32 v117, v110, v182
	s_waitcnt vmcnt(24)
	v_fmac_f32_e32 v117, v111, v183
	v_add_f32_e32 v120, v116, v117
	ds_read2_b64 v[116:119], v4 offset0:57 offset1:58
	s_waitcnt vmcnt(22) lgkmcnt(1)
	v_mul_f32_e32 v121, v112, v185
	v_fmac_f32_e32 v121, v113, v184
	v_add_f32_e32 v120, v120, v121
	s_waitcnt vmcnt(20)
	v_mul_f32_e32 v121, v114, v187
	v_fmac_f32_e32 v121, v115, v186
	v_add_f32_e32 v120, v120, v121
	s_waitcnt vmcnt(18) lgkmcnt(0)
	v_mul_f32_e32 v121, v116, v189
	v_fmac_f32_e32 v121, v117, v188
	v_add_f32_e32 v124, v120, v121
	ds_read2_b64 v[120:123], v4 offset0:59 offset1:60
	s_waitcnt vmcnt(16)
	v_mul_f32_e32 v125, v118, v191
	v_fmac_f32_e32 v125, v119, v190
	v_add_f32_e32 v128, v124, v125
	ds_read2_b64 v[124:127], v4 offset0:61 offset1:62
	s_waitcnt vmcnt(14) lgkmcnt(1)
	v_mul_f32_e32 v129, v120, v193
	v_fmac_f32_e32 v129, v121, v192
	v_add_f32_e32 v128, v128, v129
	s_waitcnt vmcnt(12)
	v_mul_f32_e32 v129, v122, v195
	v_fmac_f32_e32 v129, v123, v194
	v_add_f32_e32 v128, v128, v129
	s_waitcnt vmcnt(10) lgkmcnt(0)
	v_mul_f32_e32 v129, v124, v197
	v_fmac_f32_e32 v129, v125, v196
	s_waitcnt vmcnt(8)
	v_mul_f32_e32 v133, v126, v199
	v_add_f32_e32 v132, v128, v129
	v_fmac_f32_e32 v133, v127, v198
	ds_read2_b64 v[128:131], v4 offset0:63 offset1:64
	v_add_f32_e32 v137, v132, v133
	ds_read2_b64 v[132:135], v4 offset0:65 offset1:66
	buffer_load_dword v141, off, s[0:3], 0 offset:252
	buffer_load_dword v140, off, s[0:3], 0 offset:248
	;; [unrolled: 1-line block ×16, first 2 shown]
	v_mul_f32_e32 v2, v81, v2
	v_fma_f32 v2, v80, v160, -v2
	v_mul_f32_e32 v3, v83, v3
	v_add_f32_e32 v2, 0, v2
	v_fma_f32 v3, v82, v161, -v3
	v_add_f32_e32 v2, v2, v3
	v_mul_f32_e32 v3, v85, v5
	v_fma_f32 v3, v84, v162, -v3
	v_add_f32_e32 v2, v2, v3
	v_mul_f32_e32 v3, v87, v136
	;; [unrolled: 3-line block ×22, first 2 shown]
	v_fma_f32 v3, v126, v198, -v3
	v_add_f32_e32 v2, v2, v3
	s_waitcnt vmcnt(22) lgkmcnt(1)
	v_mul_f32_e32 v3, v129, v201
	v_fma_f32 v3, v128, v200, -v3
	v_add_f32_e32 v2, v2, v3
	s_waitcnt vmcnt(20)
	v_mul_f32_e32 v3, v131, v203
	v_mul_f32_e32 v139, v128, v201
	v_fma_f32 v3, v130, v202, -v3
	v_fmac_f32_e32 v139, v129, v200
	v_add_f32_e32 v136, v2, v3
	s_waitcnt vmcnt(18) lgkmcnt(0)
	v_mul_f32_e32 v2, v133, v205
	v_add_f32_e32 v137, v137, v139
	v_mul_f32_e32 v139, v130, v203
	v_fma_f32 v138, v132, v204, -v2
	s_waitcnt vmcnt(16)
	v_mul_f32_e32 v2, v135, v207
	v_fmac_f32_e32 v139, v131, v202
	v_fma_f32 v146, v134, v206, -v2
	ds_read2_b64 v[80:83], v4 offset0:67 offset1:68
	ds_read2_b64 v[84:87], v4 offset0:69 offset1:70
	;; [unrolled: 1-line block ×4, first 2 shown]
	v_add_f32_e32 v137, v137, v139
	v_mul_f32_e32 v139, v132, v205
	s_waitcnt vmcnt(11)
	v_mov_b32_e32 v94, v145
	v_fmac_f32_e32 v139, v133, v204
	v_mul_f32_e32 v147, v134, v207
	s_waitcnt lgkmcnt(3)
	v_pk_mul_f32 v[94:95], v[80:81], v[94:95] op_sel_hi:[1,0]
	v_fmac_f32_e32 v147, v135, v206
	v_pk_add_f32 v[92:93], v[136:137], v[138:139]
	s_waitcnt vmcnt(10)
	v_pk_fma_f32 v[96:97], v[80:81], v[144:145], v[94:95] op_sel:[0,0,1] op_sel_hi:[1,1,0] neg_lo:[0,0,1] neg_hi:[0,0,1]
	v_pk_fma_f32 v[80:81], v[80:81], v[144:145], v[94:95] op_sel:[0,0,1] op_sel_hi:[1,0,0]
	v_pk_add_f32 v[92:93], v[92:93], v[146:147]
	v_mov_b32_e32 v97, v81
	v_pk_add_f32 v[80:81], v[92:93], v[96:97]
	v_mov_b32_e32 v92, v143
	v_pk_mul_f32 v[92:93], v[82:83], v[92:93] op_sel_hi:[1,0]
	v_pk_fma_f32 v[94:95], v[82:83], v[142:143], v[92:93] op_sel:[0,0,1] op_sel_hi:[1,1,0] neg_lo:[0,0,1] neg_hi:[0,0,1]
	v_pk_fma_f32 v[82:83], v[82:83], v[142:143], v[92:93] op_sel:[0,0,1] op_sel_hi:[1,0,0]
	v_mov_b32_e32 v82, v141
	v_mov_b32_e32 v95, v83
	s_waitcnt lgkmcnt(2)
	v_pk_mul_f32 v[82:83], v[84:85], v[82:83] op_sel_hi:[1,0]
	v_pk_fma_f32 v[92:93], v[84:85], v[140:141], v[82:83] op_sel:[0,0,1] op_sel_hi:[1,1,0] neg_lo:[0,0,1] neg_hi:[0,0,1]
	v_pk_fma_f32 v[82:83], v[84:85], v[140:141], v[82:83] op_sel:[0,0,1] op_sel_hi:[1,0,0]
	s_waitcnt vmcnt(3)
	v_mov_b32_e32 v82, v155
	v_mov_b32_e32 v93, v83
	v_pk_mul_f32 v[82:83], v[86:87], v[82:83] op_sel_hi:[1,0]
	s_waitcnt vmcnt(2)
	v_pk_fma_f32 v[84:85], v[86:87], v[154:155], v[82:83] op_sel:[0,0,1] op_sel_hi:[1,1,0] neg_lo:[0,0,1] neg_hi:[0,0,1]
	v_pk_fma_f32 v[82:83], v[86:87], v[154:155], v[82:83] op_sel:[0,0,1] op_sel_hi:[1,0,0]
	v_pk_add_f32 v[80:81], v[80:81], v[94:95]
	v_mov_b32_e32 v82, v153
	v_pk_add_f32 v[80:81], v[80:81], v[92:93]
	v_mov_b32_e32 v85, v83
	s_waitcnt lgkmcnt(1)
	v_pk_mul_f32 v[82:83], v[88:89], v[82:83] op_sel_hi:[1,0]
	v_pk_add_f32 v[80:81], v[80:81], v[84:85]
	v_pk_fma_f32 v[84:85], v[88:89], v[152:153], v[82:83] op_sel:[0,0,1] op_sel_hi:[1,1,0] neg_lo:[0,0,1] neg_hi:[0,0,1]
	v_pk_fma_f32 v[82:83], v[88:89], v[152:153], v[82:83] op_sel:[0,0,1] op_sel_hi:[1,0,0]
	v_mov_b32_e32 v82, v151
	v_mov_b32_e32 v85, v83
	v_pk_mul_f32 v[82:83], v[90:91], v[82:83] op_sel_hi:[1,0]
	v_pk_add_f32 v[80:81], v[80:81], v[84:85]
	v_pk_fma_f32 v[84:85], v[90:91], v[150:151], v[82:83] op_sel:[0,0,1] op_sel_hi:[1,1,0] neg_lo:[0,0,1] neg_hi:[0,0,1]
	v_pk_fma_f32 v[82:83], v[90:91], v[150:151], v[82:83] op_sel:[0,0,1] op_sel_hi:[1,0,0]
	v_mov_b32_e32 v82, v149
	v_mov_b32_e32 v85, v83
	s_waitcnt lgkmcnt(0)
	v_pk_mul_f32 v[82:83], v[2:3], v[82:83] op_sel_hi:[1,0]
	v_pk_add_f32 v[80:81], v[80:81], v[84:85]
	v_pk_fma_f32 v[84:85], v[2:3], v[148:149], v[82:83] op_sel:[0,0,1] op_sel_hi:[1,1,0] neg_lo:[0,0,1] neg_hi:[0,0,1]
	v_pk_fma_f32 v[2:3], v[2:3], v[148:149], v[82:83] op_sel:[0,0,1] op_sel_hi:[1,0,0]
	v_mov_b32_e32 v85, v3
	v_pk_add_f32 v[2:3], v[80:81], v[84:85]
	s_waitcnt vmcnt(1)
	v_mov_b32_e32 v80, v157
	v_pk_mul_f32 v[80:81], v[4:5], v[80:81] op_sel_hi:[1,0]
	s_waitcnt vmcnt(0)
	v_pk_fma_f32 v[82:83], v[4:5], v[156:157], v[80:81] op_sel:[0,0,1] op_sel_hi:[1,1,0] neg_lo:[0,0,1] neg_hi:[0,0,1]
	v_pk_fma_f32 v[4:5], v[4:5], v[156:157], v[80:81] op_sel:[0,0,1] op_sel_hi:[1,0,0]
	v_mov_b32_e32 v83, v5
	v_pk_add_f32 v[2:3], v[2:3], v[82:83]
	v_pk_add_f32 v[0:1], v[0:1], v[2:3] neg_lo:[0,1] neg_hi:[0,1]
	buffer_store_dword v1, off, s[0:3], 0 offset:4
	buffer_store_dword v0, off, s[0:3], 0
	s_cbranch_vccz .LBB100_309
; %bb.236:
	v_pk_mov_b32 v[0:1], s[10:11], s[10:11] op_sel:[0,1]
	flat_load_dword v0, v[0:1] offset:140
	s_waitcnt vmcnt(0) lgkmcnt(0)
	v_add_u32_e32 v0, -1, v0
	v_cmp_ne_u32_e32 vcc, 35, v0
	s_and_saveexec_b64 s[4:5], vcc
	s_cbranch_execz .LBB100_238
; %bb.237:
	v_mov_b32_e32 v1, 0
	v_lshl_add_u32 v0, v0, 3, v1
	buffer_load_dword v1, v0, s[0:3], 0 offen
	buffer_load_dword v2, v0, s[0:3], 0 offen offset:4
	buffer_load_dword v3, off, s[0:3], 0 offset:280
	buffer_load_dword v4, off, s[0:3], 0 offset:284
	s_waitcnt vmcnt(3)
	buffer_store_dword v1, off, s[0:3], 0 offset:280
	s_waitcnt vmcnt(3)
	buffer_store_dword v2, off, s[0:3], 0 offset:284
	s_waitcnt vmcnt(3)
	buffer_store_dword v3, v0, s[0:3], 0 offen
	s_waitcnt vmcnt(3)
	buffer_store_dword v4, v0, s[0:3], 0 offen offset:4
.LBB100_238:
	s_or_b64 exec, exec, s[4:5]
	v_pk_mov_b32 v[0:1], s[10:11], s[10:11] op_sel:[0,1]
	flat_load_dword v0, v[0:1] offset:136
	s_waitcnt vmcnt(0) lgkmcnt(0)
	v_add_u32_e32 v0, -1, v0
	v_cmp_ne_u32_e32 vcc, 34, v0
	s_and_saveexec_b64 s[4:5], vcc
	s_cbranch_execz .LBB100_240
; %bb.239:
	v_mov_b32_e32 v1, 0
	v_lshl_add_u32 v0, v0, 3, v1
	buffer_load_dword v1, v0, s[0:3], 0 offen
	buffer_load_dword v2, v0, s[0:3], 0 offen offset:4
	buffer_load_dword v3, off, s[0:3], 0 offset:276
	buffer_load_dword v4, off, s[0:3], 0 offset:272
	s_waitcnt vmcnt(3)
	buffer_store_dword v1, off, s[0:3], 0 offset:272
	s_waitcnt vmcnt(3)
	buffer_store_dword v2, off, s[0:3], 0 offset:276
	s_waitcnt vmcnt(3)
	buffer_store_dword v3, v0, s[0:3], 0 offen offset:4
	s_waitcnt vmcnt(3)
	buffer_store_dword v4, v0, s[0:3], 0 offen
.LBB100_240:
	s_or_b64 exec, exec, s[4:5]
	v_pk_mov_b32 v[0:1], s[10:11], s[10:11] op_sel:[0,1]
	flat_load_dword v0, v[0:1] offset:132
	s_waitcnt vmcnt(0) lgkmcnt(0)
	v_add_u32_e32 v0, -1, v0
	v_cmp_ne_u32_e32 vcc, 33, v0
	s_and_saveexec_b64 s[4:5], vcc
	s_cbranch_execz .LBB100_242
; %bb.241:
	v_mov_b32_e32 v1, 0
	v_lshl_add_u32 v0, v0, 3, v1
	buffer_load_dword v1, v0, s[0:3], 0 offen
	buffer_load_dword v2, v0, s[0:3], 0 offen offset:4
	buffer_load_dword v3, off, s[0:3], 0 offset:264
	buffer_load_dword v4, off, s[0:3], 0 offset:268
	s_waitcnt vmcnt(3)
	buffer_store_dword v1, off, s[0:3], 0 offset:264
	s_waitcnt vmcnt(3)
	buffer_store_dword v2, off, s[0:3], 0 offset:268
	s_waitcnt vmcnt(3)
	buffer_store_dword v3, v0, s[0:3], 0 offen
	s_waitcnt vmcnt(3)
	buffer_store_dword v4, v0, s[0:3], 0 offen offset:4
.LBB100_242:
	s_or_b64 exec, exec, s[4:5]
	v_pk_mov_b32 v[0:1], s[10:11], s[10:11] op_sel:[0,1]
	flat_load_dword v0, v[0:1] offset:128
	s_waitcnt vmcnt(0) lgkmcnt(0)
	v_add_u32_e32 v0, -1, v0
	v_cmp_ne_u32_e32 vcc, 32, v0
	s_and_saveexec_b64 s[4:5], vcc
	s_cbranch_execz .LBB100_244
; %bb.243:
	v_mov_b32_e32 v1, 0
	v_lshl_add_u32 v0, v0, 3, v1
	buffer_load_dword v1, v0, s[0:3], 0 offen
	buffer_load_dword v2, v0, s[0:3], 0 offen offset:4
	buffer_load_dword v3, off, s[0:3], 0 offset:260
	buffer_load_dword v4, off, s[0:3], 0 offset:256
	s_waitcnt vmcnt(3)
	buffer_store_dword v1, off, s[0:3], 0 offset:256
	s_waitcnt vmcnt(3)
	buffer_store_dword v2, off, s[0:3], 0 offset:260
	s_waitcnt vmcnt(3)
	buffer_store_dword v3, v0, s[0:3], 0 offen offset:4
	s_waitcnt vmcnt(3)
	buffer_store_dword v4, v0, s[0:3], 0 offen
.LBB100_244:
	s_or_b64 exec, exec, s[4:5]
	;; [unrolled: 48-line block ×17, first 2 shown]
	v_pk_mov_b32 v[0:1], s[10:11], s[10:11] op_sel:[0,1]
	flat_load_dword v0, v[0:1] offset:4
	s_waitcnt vmcnt(0) lgkmcnt(0)
	v_add_u32_e32 v0, -1, v0
	v_cmp_ne_u32_e32 vcc, 1, v0
	s_and_saveexec_b64 s[4:5], vcc
	s_cbranch_execz .LBB100_306
; %bb.305:
	v_mov_b32_e32 v1, 0
	v_lshl_add_u32 v0, v0, 3, v1
	buffer_load_dword v1, v0, s[0:3], 0 offen
	buffer_load_dword v2, v0, s[0:3], 0 offen offset:4
	buffer_load_dword v3, off, s[0:3], 0 offset:8
	buffer_load_dword v4, off, s[0:3], 0 offset:12
	s_waitcnt vmcnt(3)
	buffer_store_dword v1, off, s[0:3], 0 offset:8
	s_waitcnt vmcnt(3)
	buffer_store_dword v2, off, s[0:3], 0 offset:12
	s_waitcnt vmcnt(3)
	buffer_store_dword v3, v0, s[0:3], 0 offen
	s_waitcnt vmcnt(3)
	buffer_store_dword v4, v0, s[0:3], 0 offen offset:4
.LBB100_306:
	s_or_b64 exec, exec, s[4:5]
	v_pk_mov_b32 v[0:1], s[10:11], s[10:11] op_sel:[0,1]
	flat_load_dword v2, v[0:1]
	s_nop 0
	buffer_load_dword v0, off, s[0:3], 0
	buffer_load_dword v1, off, s[0:3], 0 offset:4
	s_waitcnt vmcnt(0) lgkmcnt(0)
	v_add_u32_e32 v2, -1, v2
	v_cmp_ne_u32_e32 vcc, 0, v2
	s_and_saveexec_b64 s[4:5], vcc
	s_cbranch_execz .LBB100_308
; %bb.307:
	v_mov_b32_e32 v3, 0
	v_lshl_add_u32 v2, v2, 3, v3
	buffer_load_dword v3, v2, s[0:3], 0 offen offset:4
	buffer_load_dword v4, v2, s[0:3], 0 offen
	s_waitcnt vmcnt(1)
	buffer_store_dword v3, off, s[0:3], 0 offset:4
	s_waitcnt vmcnt(1)
	buffer_store_dword v4, off, s[0:3], 0
	buffer_store_dword v1, v2, s[0:3], 0 offen offset:4
	buffer_store_dword v0, v2, s[0:3], 0 offen
	buffer_load_dword v0, off, s[0:3], 0
	s_nop 0
	buffer_load_dword v1, off, s[0:3], 0 offset:4
.LBB100_308:
	s_or_b64 exec, exec, s[4:5]
.LBB100_309:
	buffer_load_dword v2, off, s[0:3], 0 offset:8
	buffer_load_dword v3, off, s[0:3], 0 offset:12
	;; [unrolled: 1-line block ×72, first 2 shown]
	s_waitcnt vmcnt(62)
	global_store_dwordx2 v[68:69], v[0:1], off
	global_store_dwordx2 v[70:71], v[2:3], off
	;; [unrolled: 1-line block ×6, first 2 shown]
	s_waitcnt vmcnt(62)
	global_store_dwordx2 v[14:15], v[86:87], off
	global_store_dwordx2 v[16:17], v[88:89], off
	;; [unrolled: 1-line block ×3, first 2 shown]
	s_waitcnt vmcnt(62)
	global_store_dwordx2 v[20:21], v[92:93], off
	s_waitcnt vmcnt(62)
	global_store_dwordx2 v[22:23], v[94:95], off
	;; [unrolled: 2-line block ×28, first 2 shown]
	s_endpgm
	.section	.rodata,"a",@progbits
	.p2align	6, 0x0
	.amdhsa_kernel _ZN9rocsolver6v33100L18getri_kernel_smallILi37E19rocblas_complex_numIfEPKPS3_EEvT1_iilPiilS8_bb
		.amdhsa_group_segment_fixed_size 600
		.amdhsa_private_segment_fixed_size 304
		.amdhsa_kernarg_size 60
		.amdhsa_user_sgpr_count 8
		.amdhsa_user_sgpr_private_segment_buffer 1
		.amdhsa_user_sgpr_dispatch_ptr 0
		.amdhsa_user_sgpr_queue_ptr 0
		.amdhsa_user_sgpr_kernarg_segment_ptr 1
		.amdhsa_user_sgpr_dispatch_id 0
		.amdhsa_user_sgpr_flat_scratch_init 1
		.amdhsa_user_sgpr_kernarg_preload_length 0
		.amdhsa_user_sgpr_kernarg_preload_offset 0
		.amdhsa_user_sgpr_private_segment_size 0
		.amdhsa_uses_dynamic_stack 0
		.amdhsa_system_sgpr_private_segment_wavefront_offset 1
		.amdhsa_system_sgpr_workgroup_id_x 1
		.amdhsa_system_sgpr_workgroup_id_y 0
		.amdhsa_system_sgpr_workgroup_id_z 0
		.amdhsa_system_sgpr_workgroup_info 0
		.amdhsa_system_vgpr_workitem_id 0
		.amdhsa_next_free_vgpr 208
		.amdhsa_next_free_sgpr 22
		.amdhsa_accum_offset 208
		.amdhsa_reserve_vcc 1
		.amdhsa_reserve_flat_scratch 1
		.amdhsa_float_round_mode_32 0
		.amdhsa_float_round_mode_16_64 0
		.amdhsa_float_denorm_mode_32 3
		.amdhsa_float_denorm_mode_16_64 3
		.amdhsa_dx10_clamp 1
		.amdhsa_ieee_mode 1
		.amdhsa_fp16_overflow 0
		.amdhsa_tg_split 0
		.amdhsa_exception_fp_ieee_invalid_op 0
		.amdhsa_exception_fp_denorm_src 0
		.amdhsa_exception_fp_ieee_div_zero 0
		.amdhsa_exception_fp_ieee_overflow 0
		.amdhsa_exception_fp_ieee_underflow 0
		.amdhsa_exception_fp_ieee_inexact 0
		.amdhsa_exception_int_div_zero 0
	.end_amdhsa_kernel
	.section	.text._ZN9rocsolver6v33100L18getri_kernel_smallILi37E19rocblas_complex_numIfEPKPS3_EEvT1_iilPiilS8_bb,"axG",@progbits,_ZN9rocsolver6v33100L18getri_kernel_smallILi37E19rocblas_complex_numIfEPKPS3_EEvT1_iilPiilS8_bb,comdat
.Lfunc_end100:
	.size	_ZN9rocsolver6v33100L18getri_kernel_smallILi37E19rocblas_complex_numIfEPKPS3_EEvT1_iilPiilS8_bb, .Lfunc_end100-_ZN9rocsolver6v33100L18getri_kernel_smallILi37E19rocblas_complex_numIfEPKPS3_EEvT1_iilPiilS8_bb
                                        ; -- End function
	.section	.AMDGPU.csdata,"",@progbits
; Kernel info:
; codeLenInByte = 60448
; NumSgprs: 28
; NumVgprs: 208
; NumAgprs: 0
; TotalNumVgprs: 208
; ScratchSize: 304
; MemoryBound: 0
; FloatMode: 240
; IeeeMode: 1
; LDSByteSize: 600 bytes/workgroup (compile time only)
; SGPRBlocks: 3
; VGPRBlocks: 25
; NumSGPRsForWavesPerEU: 28
; NumVGPRsForWavesPerEU: 208
; AccumOffset: 208
; Occupancy: 2
; WaveLimiterHint : 1
; COMPUTE_PGM_RSRC2:SCRATCH_EN: 1
; COMPUTE_PGM_RSRC2:USER_SGPR: 8
; COMPUTE_PGM_RSRC2:TRAP_HANDLER: 0
; COMPUTE_PGM_RSRC2:TGID_X_EN: 1
; COMPUTE_PGM_RSRC2:TGID_Y_EN: 0
; COMPUTE_PGM_RSRC2:TGID_Z_EN: 0
; COMPUTE_PGM_RSRC2:TIDIG_COMP_CNT: 0
; COMPUTE_PGM_RSRC3_GFX90A:ACCUM_OFFSET: 51
; COMPUTE_PGM_RSRC3_GFX90A:TG_SPLIT: 0
	.section	.text._ZN9rocsolver6v33100L18getri_kernel_smallILi38E19rocblas_complex_numIfEPKPS3_EEvT1_iilPiilS8_bb,"axG",@progbits,_ZN9rocsolver6v33100L18getri_kernel_smallILi38E19rocblas_complex_numIfEPKPS3_EEvT1_iilPiilS8_bb,comdat
	.globl	_ZN9rocsolver6v33100L18getri_kernel_smallILi38E19rocblas_complex_numIfEPKPS3_EEvT1_iilPiilS8_bb ; -- Begin function _ZN9rocsolver6v33100L18getri_kernel_smallILi38E19rocblas_complex_numIfEPKPS3_EEvT1_iilPiilS8_bb
	.p2align	8
	.type	_ZN9rocsolver6v33100L18getri_kernel_smallILi38E19rocblas_complex_numIfEPKPS3_EEvT1_iilPiilS8_bb,@function
_ZN9rocsolver6v33100L18getri_kernel_smallILi38E19rocblas_complex_numIfEPKPS3_EEvT1_iilPiilS8_bb: ; @_ZN9rocsolver6v33100L18getri_kernel_smallILi38E19rocblas_complex_numIfEPKPS3_EEvT1_iilPiilS8_bb
; %bb.0:
	s_add_u32 flat_scratch_lo, s6, s9
	s_addc_u32 flat_scratch_hi, s7, 0
	s_add_u32 s0, s0, s9
	s_addc_u32 s1, s1, 0
	v_cmp_gt_u32_e32 vcc, 38, v0
	s_and_saveexec_b64 s[6:7], vcc
	s_cbranch_execz .LBB101_166
; %bb.1:
	s_load_dword s20, s[4:5], 0x38
	s_load_dwordx2 s[6:7], s[4:5], 0x0
	s_load_dwordx4 s[12:15], s[4:5], 0x28
	s_waitcnt lgkmcnt(0)
	s_bitcmp1_b32 s20, 8
	s_cselect_b64 s[16:17], -1, 0
	s_ashr_i32 s9, s8, 31
	s_lshl_b64 s[10:11], s[8:9], 3
	s_add_u32 s6, s6, s10
	s_addc_u32 s7, s7, s11
	s_load_dwordx2 s[18:19], s[6:7], 0x0
	s_bfe_u32 s6, s20, 0x10008
	s_cmp_eq_u32 s6, 0
                                        ; implicit-def: $sgpr10_sgpr11
	s_cbranch_scc1 .LBB101_3
; %bb.2:
	s_load_dword s6, s[4:5], 0x20
	s_load_dwordx2 s[10:11], s[4:5], 0x18
	s_mul_i32 s7, s8, s13
	s_mul_hi_u32 s13, s8, s12
	s_add_i32 s13, s13, s7
	s_mul_i32 s21, s9, s12
	s_add_i32 s13, s13, s21
	s_mul_i32 s12, s8, s12
	s_waitcnt lgkmcnt(0)
	s_ashr_i32 s7, s6, 31
	s_lshl_b64 s[12:13], s[12:13], 2
	s_add_u32 s10, s10, s12
	s_addc_u32 s11, s11, s13
	s_lshl_b64 s[6:7], s[6:7], 2
	s_add_u32 s10, s10, s6
	s_addc_u32 s11, s11, s7
.LBB101_3:
	s_load_dwordx2 s[6:7], s[4:5], 0x8
	v_lshlrev_b32_e32 v6, 3, v0
	s_waitcnt lgkmcnt(0)
	s_ashr_i32 s5, s6, 31
	s_mov_b32 s4, s6
	s_lshl_b64 s[4:5], s[4:5], 3
	s_add_u32 s4, s18, s4
	s_addc_u32 s5, s19, s5
	s_add_i32 s6, s7, s7
	v_add_u32_e32 v2, s6, v0
	v_ashrrev_i32_e32 v3, 31, v2
	v_lshlrev_b64 v[4:5], 3, v[2:3]
	v_add_u32_e32 v2, s7, v2
	v_mov_b32_e32 v1, s5
	v_add_co_u32_e32 v18, vcc, s4, v4
	v_ashrrev_i32_e32 v3, 31, v2
	v_addc_co_u32_e32 v19, vcc, v1, v5, vcc
	v_lshlrev_b64 v[4:5], 3, v[2:3]
	v_add_u32_e32 v2, s7, v2
	v_add_co_u32_e32 v20, vcc, s4, v4
	v_ashrrev_i32_e32 v3, 31, v2
	v_addc_co_u32_e32 v21, vcc, v1, v5, vcc
	v_lshlrev_b64 v[4:5], 3, v[2:3]
	v_add_u32_e32 v2, s7, v2
	;; [unrolled: 5-line block ×29, first 2 shown]
	v_add_co_u32_e32 v76, vcc, s4, v4
	v_ashrrev_i32_e32 v3, 31, v2
	v_addc_co_u32_e32 v77, vcc, v1, v5, vcc
	v_lshlrev_b64 v[4:5], 3, v[2:3]
	v_add_co_u32_e32 v78, vcc, s4, v4
	v_add_u32_e32 v2, s7, v2
	v_addc_co_u32_e32 v79, vcc, v1, v5, vcc
	v_ashrrev_i32_e32 v3, 31, v2
	v_lshlrev_b64 v[4:5], 3, v[2:3]
	v_mov_b32_e32 v3, s5
	v_add_co_u32_e32 v82, vcc, s4, v6
	s_ashr_i32 s13, s7, 31
	s_mov_b32 s12, s7
	v_addc_co_u32_e32 v83, vcc, 0, v3, vcc
	s_lshl_b64 s[12:13], s[12:13], 3
	v_mov_b32_e32 v3, s13
	v_add_co_u32_e32 v84, vcc, s12, v82
	v_addc_co_u32_e32 v85, vcc, v83, v3, vcc
	v_add_u32_e32 v2, s7, v2
	v_add_co_u32_e32 v80, vcc, s4, v4
	v_ashrrev_i32_e32 v3, 31, v2
	v_addc_co_u32_e32 v81, vcc, v1, v5, vcc
	v_lshlrev_b64 v[86:87], 3, v[2:3]
	v_add_u32_e32 v2, s7, v2
	v_add_co_u32_e32 v86, vcc, s4, v86
	v_ashrrev_i32_e32 v3, 31, v2
	v_addc_co_u32_e32 v87, vcc, v1, v87, vcc
	v_lshlrev_b64 v[88:89], 3, v[2:3]
	;; [unrolled: 5-line block ×3, first 2 shown]
	v_add_co_u32_e32 v90, vcc, s4, v90
	global_load_dwordx2 v[8:9], v6, s[4:5]
	global_load_dwordx2 v[10:11], v[84:85], off
	global_load_dwordx2 v[12:13], v[18:19], off
	;; [unrolled: 1-line block ×28, first 2 shown]
	v_addc_co_u32_e32 v91, vcc, v1, v91, vcc
	global_load_dwordx2 v[140:141], v[72:73], off
	global_load_dwordx2 v[142:143], v[74:75], off
	;; [unrolled: 1-line block ×8, first 2 shown]
	v_add_u32_e32 v2, s7, v2
	v_ashrrev_i32_e32 v3, 31, v2
	v_lshlrev_b64 v[2:3], 3, v[2:3]
	v_add_co_u32_e32 v92, vcc, s4, v2
	v_addc_co_u32_e32 v93, vcc, v1, v3, vcc
	global_load_dwordx2 v[2:3], v[92:93], off
	s_bitcmp0_b32 s20, 0
	s_mov_b64 s[6:7], -1
	s_waitcnt vmcnt(37)
	buffer_store_dword v9, off, s[0:3], 0 offset:4
	buffer_store_dword v8, off, s[0:3], 0
	s_waitcnt vmcnt(38)
	buffer_store_dword v11, off, s[0:3], 0 offset:12
	buffer_store_dword v10, off, s[0:3], 0 offset:8
	s_waitcnt vmcnt(39)
	buffer_store_dword v13, off, s[0:3], 0 offset:20
	buffer_store_dword v12, off, s[0:3], 0 offset:16
	;; [unrolled: 3-line block ×26, first 2 shown]
	buffer_store_dword v136, off, s[0:3], 0 offset:216
	buffer_store_dword v137, off, s[0:3], 0 offset:220
	s_waitcnt vmcnt(62)
	buffer_store_dword v138, off, s[0:3], 0 offset:224
	buffer_store_dword v139, off, s[0:3], 0 offset:228
	buffer_store_dword v140, off, s[0:3], 0 offset:232
	buffer_store_dword v141, off, s[0:3], 0 offset:236
	buffer_store_dword v142, off, s[0:3], 0 offset:240
	buffer_store_dword v143, off, s[0:3], 0 offset:244
	buffer_store_dword v145, off, s[0:3], 0 offset:252
	buffer_store_dword v144, off, s[0:3], 0 offset:248
	s_waitcnt vmcnt(62)
	buffer_store_dword v147, off, s[0:3], 0 offset:260
	buffer_store_dword v146, off, s[0:3], 0 offset:256
	;; [unrolled: 1-line block ×12, first 2 shown]
	s_cbranch_scc1 .LBB101_164
; %bb.4:
	v_cmp_eq_u32_e64 s[4:5], 0, v0
	s_and_saveexec_b64 s[6:7], s[4:5]
	s_cbranch_execz .LBB101_6
; %bb.5:
	v_mov_b32_e32 v1, 0
	ds_write_b32 v1, v1 offset:608
.LBB101_6:
	s_or_b64 exec, exec, s[6:7]
	v_mov_b32_e32 v1, 0
	v_lshl_add_u32 v7, v0, 3, v1
	s_waitcnt lgkmcnt(0)
	; wave barrier
	s_waitcnt lgkmcnt(0)
	buffer_load_dword v1, v7, s[0:3], 0 offen
	buffer_load_dword v2, v7, s[0:3], 0 offen offset:4
	s_waitcnt vmcnt(1)
	v_cmp_eq_f32_e32 vcc, 0, v1
	s_waitcnt vmcnt(0)
	v_cmp_eq_f32_e64 s[6:7], 0, v2
	s_and_b64 s[6:7], vcc, s[6:7]
	s_and_saveexec_b64 s[12:13], s[6:7]
	s_cbranch_execz .LBB101_10
; %bb.7:
	v_mov_b32_e32 v1, 0
	ds_read_b32 v3, v1 offset:608
	v_add_u32_e32 v2, 1, v0
	s_waitcnt lgkmcnt(0)
	v_readfirstlane_b32 s6, v3
	s_cmp_eq_u32 s6, 0
	s_cselect_b64 s[18:19], -1, 0
	v_cmp_gt_i32_e32 vcc, s6, v2
	s_or_b64 s[18:19], s[18:19], vcc
	s_and_b64 exec, exec, s[18:19]
	s_cbranch_execz .LBB101_10
; %bb.8:
	s_mov_b64 s[18:19], 0
	v_mov_b32_e32 v3, s6
.LBB101_9:                              ; =>This Inner Loop Header: Depth=1
	ds_cmpst_rtn_b32 v3, v1, v3, v2 offset:608
	s_waitcnt lgkmcnt(0)
	v_cmp_ne_u32_e32 vcc, 0, v3
	v_cmp_le_i32_e64 s[6:7], v3, v2
	s_and_b64 s[6:7], vcc, s[6:7]
	s_and_b64 s[6:7], exec, s[6:7]
	s_or_b64 s[18:19], s[6:7], s[18:19]
	s_andn2_b64 exec, exec, s[18:19]
	s_cbranch_execnz .LBB101_9
.LBB101_10:
	s_or_b64 exec, exec, s[12:13]
	v_mov_b32_e32 v2, 0
	s_waitcnt lgkmcnt(0)
	; wave barrier
	ds_read_b32 v1, v2 offset:608
	s_and_saveexec_b64 s[6:7], s[4:5]
	s_cbranch_execz .LBB101_12
; %bb.11:
	s_lshl_b64 s[12:13], s[8:9], 2
	s_add_u32 s12, s14, s12
	s_addc_u32 s13, s15, s13
	s_waitcnt lgkmcnt(0)
	global_store_dword v2, v1, s[12:13]
.LBB101_12:
	s_or_b64 exec, exec, s[6:7]
	s_waitcnt lgkmcnt(0)
	v_cmp_ne_u32_e32 vcc, 0, v1
	s_mov_b64 s[6:7], 0
	s_cbranch_vccnz .LBB101_164
; %bb.13:
	buffer_load_dword v8, v7, s[0:3], 0 offen offset:4
	buffer_load_dword v3, v7, s[0:3], 0 offen
	s_waitcnt vmcnt(1)
	v_cmp_gt_f32_e32 vcc, 0, v8
	v_cndmask_b32_e64 v1, v8, -v8, vcc
	s_waitcnt vmcnt(0)
	v_cmp_gt_f32_e32 vcc, 0, v3
	v_cndmask_b32_e64 v2, v3, -v3, vcc
	v_cmp_ngt_f32_e32 vcc, v2, v1
                                        ; implicit-def: $vgpr1
                                        ; implicit-def: $vgpr2
	s_and_saveexec_b64 s[6:7], vcc
	s_xor_b64 s[6:7], exec, s[6:7]
                                        ; implicit-def: $vgpr4_vgpr5
	s_cbranch_execz .LBB101_15
; %bb.14:
	v_div_scale_f32 v1, s[12:13], v8, v8, v3
	v_rcp_f32_e32 v2, v1
	v_div_scale_f32 v4, vcc, v3, v8, v3
	v_fma_f32 v5, -v1, v2, 1.0
	v_fmac_f32_e32 v2, v5, v2
	v_mul_f32_e32 v5, v4, v2
	v_fma_f32 v9, -v1, v5, v4
	v_fmac_f32_e32 v5, v9, v2
	v_fma_f32 v1, -v1, v5, v4
	v_div_fmas_f32 v1, v1, v2, v5
	v_div_fixup_f32 v2, v1, v8, v3
	v_fmac_f32_e32 v8, v3, v2
	v_div_scale_f32 v1, s[12:13], v8, v8, -1.0
	v_rcp_f32_e32 v3, v1
	v_fma_f32 v4, -v1, v3, 1.0
	v_fmac_f32_e32 v3, v4, v3
	v_div_scale_f32 v4, vcc, -1.0, v8, -1.0
	v_mul_f32_e32 v5, v4, v3
	v_fma_f32 v9, -v1, v5, v4
	v_fmac_f32_e32 v5, v9, v3
	v_fma_f32 v1, -v1, v5, v4
	v_div_fmas_f32 v1, v1, v3, v5
	v_div_fixup_f32 v1, v1, v8, -1.0
	v_mul_f32_e32 v2, v2, v1
	v_xor_b32_e32 v4, 0x80000000, v2
                                        ; implicit-def: $vgpr3
                                        ; implicit-def: $vgpr8
.LBB101_15:
	s_andn2_saveexec_b64 s[6:7], s[6:7]
	s_cbranch_execz .LBB101_17
; %bb.16:
	v_div_scale_f32 v1, s[12:13], v3, v3, v8
	v_rcp_f32_e32 v2, v1
	v_div_scale_f32 v4, vcc, v8, v3, v8
	v_fma_f32 v5, -v1, v2, 1.0
	v_fmac_f32_e32 v2, v5, v2
	v_mul_f32_e32 v5, v4, v2
	v_fma_f32 v9, -v1, v5, v4
	v_fmac_f32_e32 v5, v9, v2
	v_fma_f32 v1, -v1, v5, v4
	v_div_fmas_f32 v1, v1, v2, v5
	v_div_fixup_f32 v1, v1, v3, v8
	v_fmac_f32_e32 v3, v8, v1
	v_div_scale_f32 v2, s[12:13], v3, v3, 1.0
	v_rcp_f32_e32 v4, v2
	v_fma_f32 v5, -v2, v4, 1.0
	v_fmac_f32_e32 v4, v5, v4
	v_div_scale_f32 v5, vcc, 1.0, v3, 1.0
	v_mul_f32_e32 v8, v5, v4
	v_fma_f32 v9, -v2, v8, v5
	v_fmac_f32_e32 v8, v9, v4
	v_fma_f32 v2, -v2, v8, v5
	v_div_fmas_f32 v2, v2, v4, v8
	v_div_fixup_f32 v4, v2, v3, 1.0
	v_xor_b32_e32 v2, 0x80000000, v4
	v_mul_f32_e64 v1, v1, -v4
.LBB101_17:
	s_or_b64 exec, exec, s[6:7]
	buffer_store_dword v1, v7, s[0:3], 0 offen offset:4
	buffer_store_dword v4, v7, s[0:3], 0 offen
	buffer_load_dword v5, off, s[0:3], 0 offset:12
	s_nop 0
	buffer_load_dword v4, off, s[0:3], 0 offset:8
	v_xor_b32_e32 v3, 0x80000000, v1
	v_add_u32_e32 v1, 0x130, v6
	s_waitcnt vmcnt(0)
	ds_write2_b64 v6, v[2:3], v[4:5] offset1:38
	s_waitcnt lgkmcnt(0)
	; wave barrier
	s_waitcnt lgkmcnt(0)
	s_and_saveexec_b64 s[6:7], s[4:5]
	s_cbranch_execz .LBB101_19
; %bb.18:
	buffer_load_dword v8, v7, s[0:3], 0 offen offset:4
	buffer_load_dword v9, v7, s[0:3], 0 offen
	ds_read_b64 v[2:3], v1
	v_mov_b32_e32 v4, 0
	ds_read_b64 v[4:5], v4 offset:8
	s_waitcnt vmcnt(1) lgkmcnt(1)
	v_mul_f32_e32 v10, v3, v8
	v_mul_f32_e32 v8, v2, v8
	s_waitcnt vmcnt(0)
	v_fmac_f32_e32 v8, v3, v9
	v_fma_f32 v2, v2, v9, -v10
	v_add_f32_e32 v3, 0, v8
	v_add_f32_e32 v2, 0, v2
	s_waitcnt lgkmcnt(0)
	v_mul_f32_e32 v8, v3, v5
	v_mul_f32_e32 v5, v2, v5
	v_fma_f32 v2, v2, v4, -v8
	v_fmac_f32_e32 v5, v3, v4
	buffer_store_dword v2, off, s[0:3], 0 offset:8
	buffer_store_dword v5, off, s[0:3], 0 offset:12
.LBB101_19:
	s_or_b64 exec, exec, s[6:7]
	s_waitcnt lgkmcnt(0)
	; wave barrier
	buffer_load_dword v2, off, s[0:3], 0 offset:16
	buffer_load_dword v3, off, s[0:3], 0 offset:20
	v_cmp_gt_u32_e32 vcc, 2, v0
	s_waitcnt vmcnt(0)
	ds_write_b64 v1, v[2:3]
	s_waitcnt lgkmcnt(0)
	; wave barrier
	s_waitcnt lgkmcnt(0)
	s_and_saveexec_b64 s[6:7], vcc
	s_cbranch_execz .LBB101_23
; %bb.20:
	buffer_load_dword v4, v7, s[0:3], 0 offen offset:4
	buffer_load_dword v5, v7, s[0:3], 0 offen
	ds_read_b64 v[2:3], v1
	s_waitcnt vmcnt(1) lgkmcnt(0)
	v_mul_f32_e32 v7, v3, v4
	v_mul_f32_e32 v4, v2, v4
	s_waitcnt vmcnt(0)
	v_fma_f32 v2, v2, v5, -v7
	v_fmac_f32_e32 v4, v3, v5
	v_add_f32_e32 v3, 0, v2
	v_add_f32_e32 v2, 0, v4
	s_and_saveexec_b64 s[12:13], s[4:5]
	s_cbranch_execz .LBB101_22
; %bb.21:
	buffer_load_dword v7, off, s[0:3], 0 offset:12
	buffer_load_dword v8, off, s[0:3], 0 offset:8
	v_mov_b32_e32 v4, 0
	ds_read_b64 v[4:5], v4 offset:312
	s_waitcnt vmcnt(1) lgkmcnt(0)
	v_mul_f32_e32 v9, v4, v7
	v_mul_f32_e32 v7, v5, v7
	s_waitcnt vmcnt(0)
	v_fmac_f32_e32 v9, v5, v8
	v_fma_f32 v4, v4, v8, -v7
	v_add_f32_e32 v2, v2, v9
	v_add_f32_e32 v3, v3, v4
.LBB101_22:
	s_or_b64 exec, exec, s[12:13]
	v_mov_b32_e32 v4, 0
	ds_read_b64 v[4:5], v4 offset:16
	s_waitcnt lgkmcnt(0)
	v_mul_f32_e32 v7, v2, v5
	v_mul_f32_e32 v5, v3, v5
	v_fma_f32 v3, v3, v4, -v7
	v_fmac_f32_e32 v5, v2, v4
	buffer_store_dword v3, off, s[0:3], 0 offset:16
	buffer_store_dword v5, off, s[0:3], 0 offset:20
.LBB101_23:
	s_or_b64 exec, exec, s[6:7]
	s_waitcnt lgkmcnt(0)
	; wave barrier
	buffer_load_dword v2, off, s[0:3], 0 offset:24
	buffer_load_dword v3, off, s[0:3], 0 offset:28
	v_cmp_gt_u32_e32 vcc, 3, v0
	s_waitcnt vmcnt(0)
	ds_write_b64 v1, v[2:3]
	v_add_u32_e32 v2, -1, v0
	s_waitcnt lgkmcnt(0)
	; wave barrier
	s_waitcnt lgkmcnt(0)
	s_and_saveexec_b64 s[4:5], vcc
	s_cbranch_execz .LBB101_27
; %bb.24:
	v_add_u32_e32 v4, -1, v0
	v_add_u32_e32 v5, 0x130, v6
	v_add_u32_e32 v7, 0, v6
	s_mov_b64 s[6:7], 0
	v_mov_b32_e32 v3, 0
	v_mov_b32_e32 v8, 0
.LBB101_25:                             ; =>This Inner Loop Header: Depth=1
	buffer_load_dword v9, v7, s[0:3], 0 offen offset:4
	buffer_load_dword v12, v7, s[0:3], 0 offen
	ds_read_b64 v[10:11], v5
	v_add_u32_e32 v4, 1, v4
	v_cmp_lt_u32_e32 vcc, 1, v4
	v_add_u32_e32 v5, 8, v5
	v_add_u32_e32 v7, 8, v7
	s_or_b64 s[6:7], vcc, s[6:7]
	s_waitcnt vmcnt(1) lgkmcnt(0)
	v_mul_f32_e32 v13, v11, v9
	v_mul_f32_e32 v9, v10, v9
	s_waitcnt vmcnt(0)
	v_fma_f32 v10, v10, v12, -v13
	v_fmac_f32_e32 v9, v11, v12
	v_add_f32_e32 v8, v8, v10
	v_add_f32_e32 v3, v3, v9
	s_andn2_b64 exec, exec, s[6:7]
	s_cbranch_execnz .LBB101_25
; %bb.26:
	s_or_b64 exec, exec, s[6:7]
	v_mov_b32_e32 v4, 0
	ds_read_b64 v[4:5], v4 offset:24
	s_waitcnt lgkmcnt(0)
	v_mul_f32_e32 v7, v3, v5
	v_mul_f32_e32 v5, v8, v5
	v_fma_f32 v7, v8, v4, -v7
	v_fmac_f32_e32 v5, v3, v4
	buffer_store_dword v7, off, s[0:3], 0 offset:24
	buffer_store_dword v5, off, s[0:3], 0 offset:28
.LBB101_27:
	s_or_b64 exec, exec, s[4:5]
	s_waitcnt lgkmcnt(0)
	; wave barrier
	buffer_load_dword v4, off, s[0:3], 0 offset:32
	buffer_load_dword v5, off, s[0:3], 0 offset:36
	v_cmp_gt_u32_e32 vcc, 4, v0
	s_waitcnt vmcnt(0)
	ds_write_b64 v1, v[4:5]
	s_waitcnt lgkmcnt(0)
	; wave barrier
	s_waitcnt lgkmcnt(0)
	s_and_saveexec_b64 s[4:5], vcc
	s_cbranch_execz .LBB101_31
; %bb.28:
	v_add_u32_e32 v4, -1, v0
	v_add_u32_e32 v5, 0x130, v6
	v_add_u32_e32 v7, 0, v6
	s_mov_b64 s[6:7], 0
	v_mov_b32_e32 v3, 0
	v_mov_b32_e32 v8, 0
.LBB101_29:                             ; =>This Inner Loop Header: Depth=1
	buffer_load_dword v9, v7, s[0:3], 0 offen offset:4
	buffer_load_dword v12, v7, s[0:3], 0 offen
	ds_read_b64 v[10:11], v5
	v_add_u32_e32 v4, 1, v4
	v_cmp_lt_u32_e32 vcc, 2, v4
	v_add_u32_e32 v5, 8, v5
	v_add_u32_e32 v7, 8, v7
	s_or_b64 s[6:7], vcc, s[6:7]
	s_waitcnt vmcnt(1) lgkmcnt(0)
	v_mul_f32_e32 v13, v11, v9
	v_mul_f32_e32 v9, v10, v9
	s_waitcnt vmcnt(0)
	v_fma_f32 v10, v10, v12, -v13
	v_fmac_f32_e32 v9, v11, v12
	v_add_f32_e32 v8, v8, v10
	v_add_f32_e32 v3, v3, v9
	s_andn2_b64 exec, exec, s[6:7]
	s_cbranch_execnz .LBB101_29
; %bb.30:
	s_or_b64 exec, exec, s[6:7]
	v_mov_b32_e32 v4, 0
	ds_read_b64 v[4:5], v4 offset:32
	s_waitcnt lgkmcnt(0)
	v_mul_f32_e32 v7, v3, v5
	v_mul_f32_e32 v5, v8, v5
	v_fma_f32 v7, v8, v4, -v7
	v_fmac_f32_e32 v5, v3, v4
	buffer_store_dword v7, off, s[0:3], 0 offset:32
	buffer_store_dword v5, off, s[0:3], 0 offset:36
.LBB101_31:
	s_or_b64 exec, exec, s[4:5]
	s_waitcnt lgkmcnt(0)
	; wave barrier
	buffer_load_dword v4, off, s[0:3], 0 offset:40
	buffer_load_dword v5, off, s[0:3], 0 offset:44
	v_cmp_gt_u32_e32 vcc, 5, v0
	s_waitcnt vmcnt(0)
	ds_write_b64 v1, v[4:5]
	;; [unrolled: 51-line block ×19, first 2 shown]
	s_waitcnt lgkmcnt(0)
	; wave barrier
	s_waitcnt lgkmcnt(0)
	s_and_saveexec_b64 s[4:5], vcc
	s_cbranch_execz .LBB101_103
; %bb.100:
	v_add_u32_e32 v4, -1, v0
	v_add_u32_e32 v5, 0x130, v6
	v_add_u32_e32 v7, 0, v6
	s_mov_b64 s[6:7], 0
	v_mov_b32_e32 v3, 0
	v_mov_b32_e32 v8, 0
.LBB101_101:                            ; =>This Inner Loop Header: Depth=1
	buffer_load_dword v9, v7, s[0:3], 0 offen offset:4
	buffer_load_dword v12, v7, s[0:3], 0 offen
	ds_read_b64 v[10:11], v5
	v_add_u32_e32 v4, 1, v4
	v_cmp_lt_u32_e32 vcc, 20, v4
	v_add_u32_e32 v5, 8, v5
	v_add_u32_e32 v7, 8, v7
	s_or_b64 s[6:7], vcc, s[6:7]
	s_waitcnt vmcnt(1) lgkmcnt(0)
	v_mul_f32_e32 v13, v11, v9
	v_mul_f32_e32 v9, v10, v9
	s_waitcnt vmcnt(0)
	v_fma_f32 v10, v10, v12, -v13
	v_fmac_f32_e32 v9, v11, v12
	v_add_f32_e32 v8, v8, v10
	v_add_f32_e32 v3, v3, v9
	s_andn2_b64 exec, exec, s[6:7]
	s_cbranch_execnz .LBB101_101
; %bb.102:
	s_or_b64 exec, exec, s[6:7]
	v_mov_b32_e32 v4, 0
	ds_read_b64 v[4:5], v4 offset:176
	s_waitcnt lgkmcnt(0)
	v_mul_f32_e32 v7, v3, v5
	v_mul_f32_e32 v5, v8, v5
	v_fma_f32 v7, v8, v4, -v7
	v_fmac_f32_e32 v5, v3, v4
	buffer_store_dword v7, off, s[0:3], 0 offset:176
	buffer_store_dword v5, off, s[0:3], 0 offset:180
.LBB101_103:
	s_or_b64 exec, exec, s[4:5]
	s_waitcnt lgkmcnt(0)
	; wave barrier
	buffer_load_dword v4, off, s[0:3], 0 offset:184
	buffer_load_dword v5, off, s[0:3], 0 offset:188
	v_cmp_gt_u32_e32 vcc, 23, v0
	s_waitcnt vmcnt(0)
	ds_write_b64 v1, v[4:5]
	s_waitcnt lgkmcnt(0)
	; wave barrier
	s_waitcnt lgkmcnt(0)
	s_and_saveexec_b64 s[4:5], vcc
	s_cbranch_execz .LBB101_107
; %bb.104:
	v_add_u32_e32 v4, -1, v0
	v_add_u32_e32 v5, 0x130, v6
	v_add_u32_e32 v7, 0, v6
	s_mov_b64 s[6:7], 0
	v_mov_b32_e32 v3, 0
	v_mov_b32_e32 v8, 0
.LBB101_105:                            ; =>This Inner Loop Header: Depth=1
	buffer_load_dword v9, v7, s[0:3], 0 offen offset:4
	buffer_load_dword v12, v7, s[0:3], 0 offen
	ds_read_b64 v[10:11], v5
	v_add_u32_e32 v4, 1, v4
	v_cmp_lt_u32_e32 vcc, 21, v4
	v_add_u32_e32 v5, 8, v5
	v_add_u32_e32 v7, 8, v7
	s_or_b64 s[6:7], vcc, s[6:7]
	s_waitcnt vmcnt(1) lgkmcnt(0)
	v_mul_f32_e32 v13, v11, v9
	v_mul_f32_e32 v9, v10, v9
	s_waitcnt vmcnt(0)
	v_fma_f32 v10, v10, v12, -v13
	v_fmac_f32_e32 v9, v11, v12
	v_add_f32_e32 v8, v8, v10
	v_add_f32_e32 v3, v3, v9
	s_andn2_b64 exec, exec, s[6:7]
	s_cbranch_execnz .LBB101_105
; %bb.106:
	s_or_b64 exec, exec, s[6:7]
	v_mov_b32_e32 v4, 0
	ds_read_b64 v[4:5], v4 offset:184
	s_waitcnt lgkmcnt(0)
	v_mul_f32_e32 v7, v3, v5
	v_mul_f32_e32 v5, v8, v5
	v_fma_f32 v7, v8, v4, -v7
	v_fmac_f32_e32 v5, v3, v4
	buffer_store_dword v7, off, s[0:3], 0 offset:184
	buffer_store_dword v5, off, s[0:3], 0 offset:188
.LBB101_107:
	s_or_b64 exec, exec, s[4:5]
	s_waitcnt lgkmcnt(0)
	; wave barrier
	buffer_load_dword v4, off, s[0:3], 0 offset:192
	buffer_load_dword v5, off, s[0:3], 0 offset:196
	v_cmp_gt_u32_e32 vcc, 24, v0
	s_waitcnt vmcnt(0)
	ds_write_b64 v1, v[4:5]
	;; [unrolled: 51-line block ×14, first 2 shown]
	s_waitcnt lgkmcnt(0)
	; wave barrier
	s_waitcnt lgkmcnt(0)
	s_and_saveexec_b64 s[4:5], vcc
	s_cbranch_execz .LBB101_159
; %bb.156:
	v_add_u32_e32 v4, -1, v0
	v_add_u32_e32 v5, 0x130, v6
	v_add_u32_e32 v7, 0, v6
	s_mov_b64 s[6:7], 0
	v_mov_b32_e32 v3, 0
	v_mov_b32_e32 v8, 0
.LBB101_157:                            ; =>This Inner Loop Header: Depth=1
	buffer_load_dword v9, v7, s[0:3], 0 offen offset:4
	buffer_load_dword v12, v7, s[0:3], 0 offen
	ds_read_b64 v[10:11], v5
	v_add_u32_e32 v4, 1, v4
	v_cmp_lt_u32_e32 vcc, 34, v4
	v_add_u32_e32 v5, 8, v5
	v_add_u32_e32 v7, 8, v7
	s_or_b64 s[6:7], vcc, s[6:7]
	s_waitcnt vmcnt(1) lgkmcnt(0)
	v_mul_f32_e32 v13, v11, v9
	v_mul_f32_e32 v9, v10, v9
	s_waitcnt vmcnt(0)
	v_fma_f32 v10, v10, v12, -v13
	v_fmac_f32_e32 v9, v11, v12
	v_add_f32_e32 v8, v8, v10
	v_add_f32_e32 v3, v3, v9
	s_andn2_b64 exec, exec, s[6:7]
	s_cbranch_execnz .LBB101_157
; %bb.158:
	s_or_b64 exec, exec, s[6:7]
	v_mov_b32_e32 v4, 0
	ds_read_b64 v[4:5], v4 offset:288
	s_waitcnt lgkmcnt(0)
	v_mul_f32_e32 v7, v3, v5
	v_mul_f32_e32 v5, v8, v5
	v_fma_f32 v7, v8, v4, -v7
	v_fmac_f32_e32 v5, v3, v4
	buffer_store_dword v7, off, s[0:3], 0 offset:288
	buffer_store_dword v5, off, s[0:3], 0 offset:292
.LBB101_159:
	s_or_b64 exec, exec, s[4:5]
	s_waitcnt lgkmcnt(0)
	; wave barrier
	buffer_load_dword v4, off, s[0:3], 0 offset:296
	buffer_load_dword v5, off, s[0:3], 0 offset:300
	v_cmp_ne_u32_e32 vcc, 37, v0
	s_waitcnt vmcnt(0)
	ds_write_b64 v1, v[4:5]
	s_waitcnt lgkmcnt(0)
	; wave barrier
	s_waitcnt lgkmcnt(0)
	s_and_saveexec_b64 s[4:5], vcc
	s_cbranch_execz .LBB101_163
; %bb.160:
	v_add_u32_e32 v3, 0x130, v6
	v_add_u32_e32 v4, 0, v6
	s_mov_b64 s[6:7], 0
	v_mov_b32_e32 v1, 0
	v_mov_b32_e32 v5, 0
.LBB101_161:                            ; =>This Inner Loop Header: Depth=1
	buffer_load_dword v8, v4, s[0:3], 0 offen offset:4
	buffer_load_dword v9, v4, s[0:3], 0 offen
	ds_read_b64 v[6:7], v3
	v_add_u32_e32 v2, 1, v2
	v_cmp_lt_u32_e32 vcc, 35, v2
	v_add_u32_e32 v3, 8, v3
	v_add_u32_e32 v4, 8, v4
	s_or_b64 s[6:7], vcc, s[6:7]
	s_waitcnt vmcnt(1) lgkmcnt(0)
	v_mul_f32_e32 v10, v7, v8
	v_mul_f32_e32 v8, v6, v8
	s_waitcnt vmcnt(0)
	v_fma_f32 v6, v6, v9, -v10
	v_fmac_f32_e32 v8, v7, v9
	v_add_f32_e32 v5, v5, v6
	v_add_f32_e32 v1, v1, v8
	s_andn2_b64 exec, exec, s[6:7]
	s_cbranch_execnz .LBB101_161
; %bb.162:
	s_or_b64 exec, exec, s[6:7]
	v_mov_b32_e32 v2, 0
	ds_read_b64 v[2:3], v2 offset:296
	s_waitcnt lgkmcnt(0)
	v_mul_f32_e32 v4, v1, v3
	v_mul_f32_e32 v3, v5, v3
	v_fma_f32 v4, v5, v2, -v4
	v_fmac_f32_e32 v3, v1, v2
	buffer_store_dword v4, off, s[0:3], 0 offset:296
	buffer_store_dword v3, off, s[0:3], 0 offset:300
.LBB101_163:
	s_or_b64 exec, exec, s[4:5]
	s_mov_b64 s[6:7], -1
	s_waitcnt lgkmcnt(0)
	; wave barrier
.LBB101_164:
	s_and_b64 vcc, exec, s[6:7]
	s_cbranch_vccz .LBB101_166
; %bb.165:
	s_lshl_b64 s[4:5], s[8:9], 2
	s_add_u32 s4, s14, s4
	s_addc_u32 s5, s15, s5
	v_mov_b32_e32 v1, 0
	global_load_dword v1, v1, s[4:5]
	s_waitcnt vmcnt(0)
	v_cmp_ne_u32_e32 vcc, 0, v1
	s_cbranch_vccz .LBB101_167
.LBB101_166:
	s_endpgm
.LBB101_167:
	v_mov_b32_e32 v1, 0x130
	v_lshl_add_u32 v1, v0, 3, v1
	v_cmp_eq_u32_e32 vcc, 37, v0
	s_and_saveexec_b64 s[4:5], vcc
	s_cbranch_execz .LBB101_169
; %bb.168:
	buffer_load_dword v2, off, s[0:3], 0 offset:288
	buffer_load_dword v3, off, s[0:3], 0 offset:292
	v_mov_b32_e32 v4, 0
	buffer_store_dword v4, off, s[0:3], 0 offset:288
	buffer_store_dword v4, off, s[0:3], 0 offset:292
	s_waitcnt vmcnt(2)
	ds_write_b64 v1, v[2:3]
.LBB101_169:
	s_or_b64 exec, exec, s[4:5]
	s_waitcnt lgkmcnt(0)
	; wave barrier
	s_waitcnt lgkmcnt(0)
	buffer_load_dword v5, off, s[0:3], 0 offset:300
	buffer_load_dword v4, off, s[0:3], 0 offset:296
	;; [unrolled: 1-line block ×4, first 2 shown]
	v_mov_b32_e32 v2, 0
	ds_read_b64 v[8:9], v2 offset:600
	v_cmp_lt_u32_e32 vcc, 35, v0
	s_waitcnt vmcnt(3)
	v_mov_b32_e32 v10, v5
	s_waitcnt lgkmcnt(0)
	v_pk_mul_f32 v[10:11], v[8:9], v[10:11] op_sel_hi:[1,0]
	s_waitcnt vmcnt(2)
	v_pk_fma_f32 v[12:13], v[8:9], v[4:5], v[10:11] op_sel:[0,0,1] op_sel_hi:[1,1,0] neg_lo:[0,0,1] neg_hi:[0,0,1]
	v_pk_fma_f32 v[4:5], v[8:9], v[4:5], v[10:11] op_sel:[0,0,1] op_sel_hi:[1,0,0]
	v_mov_b32_e32 v13, v5
	v_pk_add_f32 v[4:5], v[12:13], 0 op_sel_hi:[1,0]
	s_waitcnt vmcnt(0)
	v_pk_add_f32 v[4:5], v[6:7], v[4:5] neg_lo:[0,1] neg_hi:[0,1]
	buffer_store_dword v4, off, s[0:3], 0 offset:288
	buffer_store_dword v5, off, s[0:3], 0 offset:292
	s_and_saveexec_b64 s[4:5], vcc
	s_cbranch_execz .LBB101_171
; %bb.170:
	buffer_load_dword v4, off, s[0:3], 0 offset:280
	buffer_load_dword v5, off, s[0:3], 0 offset:284
	s_waitcnt vmcnt(0)
	ds_write_b64 v1, v[4:5]
	buffer_store_dword v2, off, s[0:3], 0 offset:280
	buffer_store_dword v2, off, s[0:3], 0 offset:284
.LBB101_171:
	s_or_b64 exec, exec, s[4:5]
	s_waitcnt lgkmcnt(0)
	; wave barrier
	s_waitcnt lgkmcnt(0)
	buffer_load_dword v7, off, s[0:3], 0 offset:292
	buffer_load_dword v9, off, s[0:3], 0 offset:300
	;; [unrolled: 1-line block ×6, first 2 shown]
	ds_read_b128 v[2:5], v2 offset:592
	v_cmp_lt_u32_e32 vcc, 34, v0
	s_waitcnt vmcnt(5)
	v_mov_b32_e32 v12, v7
	s_waitcnt vmcnt(4)
	v_mov_b32_e32 v14, v9
	s_waitcnt lgkmcnt(0)
	v_pk_mul_f32 v[12:13], v[2:3], v[12:13] op_sel_hi:[1,0]
	v_pk_mul_f32 v[14:15], v[4:5], v[14:15] op_sel_hi:[1,0]
	s_waitcnt vmcnt(3)
	v_pk_fma_f32 v[16:17], v[2:3], v[6:7], v[12:13] op_sel:[0,0,1] op_sel_hi:[1,1,0] neg_lo:[0,0,1] neg_hi:[0,0,1]
	v_pk_fma_f32 v[2:3], v[2:3], v[6:7], v[12:13] op_sel:[0,0,1] op_sel_hi:[1,0,0]
	s_waitcnt vmcnt(2)
	v_pk_fma_f32 v[6:7], v[4:5], v[8:9], v[14:15] op_sel:[0,0,1] op_sel_hi:[1,1,0] neg_lo:[0,0,1] neg_hi:[0,0,1]
	v_pk_fma_f32 v[4:5], v[4:5], v[8:9], v[14:15] op_sel:[0,0,1] op_sel_hi:[1,0,0]
	v_mov_b32_e32 v17, v3
	v_mov_b32_e32 v7, v5
	v_pk_add_f32 v[2:3], v[16:17], 0 op_sel_hi:[1,0]
	v_pk_add_f32 v[2:3], v[2:3], v[6:7]
	s_waitcnt vmcnt(0)
	v_pk_add_f32 v[2:3], v[10:11], v[2:3] neg_lo:[0,1] neg_hi:[0,1]
	buffer_store_dword v2, off, s[0:3], 0 offset:280
	buffer_store_dword v3, off, s[0:3], 0 offset:284
	s_and_saveexec_b64 s[4:5], vcc
	s_cbranch_execz .LBB101_173
; %bb.172:
	buffer_load_dword v2, off, s[0:3], 0 offset:272
	buffer_load_dword v3, off, s[0:3], 0 offset:276
	v_mov_b32_e32 v4, 0
	buffer_store_dword v4, off, s[0:3], 0 offset:272
	buffer_store_dword v4, off, s[0:3], 0 offset:276
	s_waitcnt vmcnt(2)
	ds_write_b64 v1, v[2:3]
.LBB101_173:
	s_or_b64 exec, exec, s[4:5]
	s_waitcnt lgkmcnt(0)
	; wave barrier
	s_waitcnt lgkmcnt(0)
	buffer_load_dword v9, off, s[0:3], 0 offset:284
	buffer_load_dword v11, off, s[0:3], 0 offset:292
	;; [unrolled: 1-line block ×8, first 2 shown]
	v_mov_b32_e32 v2, 0
	ds_read2_b64 v[4:7], v2 offset0:73 offset1:74
	ds_read_b64 v[16:17], v2 offset:600
	v_cmp_lt_u32_e32 vcc, 33, v0
	s_waitcnt vmcnt(7)
	v_mov_b32_e32 v94, v9
	s_waitcnt vmcnt(6)
	v_mov_b32_e32 v96, v11
	s_waitcnt lgkmcnt(1)
	v_pk_mul_f32 v[94:95], v[4:5], v[94:95] op_sel_hi:[1,0]
	s_waitcnt vmcnt(5)
	v_mov_b32_e32 v98, v13
	v_pk_mul_f32 v[96:97], v[6:7], v[96:97] op_sel_hi:[1,0]
	s_waitcnt vmcnt(4)
	v_pk_fma_f32 v[100:101], v[4:5], v[8:9], v[94:95] op_sel:[0,0,1] op_sel_hi:[1,1,0] neg_lo:[0,0,1] neg_hi:[0,0,1]
	v_pk_fma_f32 v[4:5], v[4:5], v[8:9], v[94:95] op_sel:[0,0,1] op_sel_hi:[1,0,0]
	s_waitcnt lgkmcnt(0)
	v_pk_mul_f32 v[98:99], v[16:17], v[98:99] op_sel_hi:[1,0]
	s_waitcnt vmcnt(3)
	v_pk_fma_f32 v[8:9], v[6:7], v[10:11], v[96:97] op_sel:[0,0,1] op_sel_hi:[1,1,0] neg_lo:[0,0,1] neg_hi:[0,0,1]
	v_pk_fma_f32 v[6:7], v[6:7], v[10:11], v[96:97] op_sel:[0,0,1] op_sel_hi:[1,0,0]
	v_mov_b32_e32 v101, v5
	s_waitcnt vmcnt(2)
	v_pk_fma_f32 v[10:11], v[16:17], v[12:13], v[98:99] op_sel:[0,0,1] op_sel_hi:[1,1,0] neg_lo:[0,0,1] neg_hi:[0,0,1]
	v_pk_fma_f32 v[12:13], v[16:17], v[12:13], v[98:99] op_sel:[0,0,1] op_sel_hi:[1,0,0]
	v_mov_b32_e32 v9, v7
	v_pk_add_f32 v[4:5], v[100:101], 0 op_sel_hi:[1,0]
	v_mov_b32_e32 v11, v13
	v_pk_add_f32 v[4:5], v[4:5], v[8:9]
	v_pk_add_f32 v[4:5], v[4:5], v[10:11]
	s_waitcnt vmcnt(0)
	v_pk_add_f32 v[4:5], v[14:15], v[4:5] neg_lo:[0,1] neg_hi:[0,1]
	buffer_store_dword v4, off, s[0:3], 0 offset:272
	buffer_store_dword v5, off, s[0:3], 0 offset:276
	s_and_saveexec_b64 s[4:5], vcc
	s_cbranch_execz .LBB101_175
; %bb.174:
	buffer_load_dword v4, off, s[0:3], 0 offset:264
	buffer_load_dword v5, off, s[0:3], 0 offset:268
	s_waitcnt vmcnt(0)
	ds_write_b64 v1, v[4:5]
	buffer_store_dword v2, off, s[0:3], 0 offset:264
	buffer_store_dword v2, off, s[0:3], 0 offset:268
.LBB101_175:
	s_or_b64 exec, exec, s[4:5]
	s_waitcnt lgkmcnt(0)
	; wave barrier
	s_waitcnt lgkmcnt(0)
	buffer_load_dword v13, off, s[0:3], 0 offset:276
	buffer_load_dword v15, off, s[0:3], 0 offset:284
	;; [unrolled: 1-line block ×10, first 2 shown]
	ds_read_b128 v[4:7], v2 offset:576
	ds_read_b128 v[8:11], v2 offset:592
	v_cmp_lt_u32_e32 vcc, 32, v0
	s_waitcnt vmcnt(9)
	v_mov_b32_e32 v2, v13
	s_waitcnt vmcnt(8)
	v_mov_b32_e32 v98, v15
	s_waitcnt lgkmcnt(1)
	v_pk_mul_f32 v[2:3], v[4:5], v[2:3] op_sel_hi:[1,0]
	s_waitcnt vmcnt(7)
	v_mov_b32_e32 v100, v17
	v_pk_mul_f32 v[98:99], v[6:7], v[98:99] op_sel_hi:[1,0]
	s_waitcnt vmcnt(5)
	v_pk_fma_f32 v[104:105], v[4:5], v[12:13], v[2:3] op_sel:[0,0,1] op_sel_hi:[1,1,0] neg_lo:[0,0,1] neg_hi:[0,0,1]
	v_pk_fma_f32 v[2:3], v[4:5], v[12:13], v[2:3] op_sel:[0,0,1] op_sel_hi:[1,0,0]
	v_mov_b32_e32 v102, v95
	s_waitcnt lgkmcnt(0)
	v_pk_mul_f32 v[100:101], v[8:9], v[100:101] op_sel_hi:[1,0]
	s_waitcnt vmcnt(4)
	v_pk_fma_f32 v[4:5], v[6:7], v[14:15], v[98:99] op_sel:[0,0,1] op_sel_hi:[1,1,0] neg_lo:[0,0,1] neg_hi:[0,0,1]
	v_pk_fma_f32 v[6:7], v[6:7], v[14:15], v[98:99] op_sel:[0,0,1] op_sel_hi:[1,0,0]
	v_mov_b32_e32 v105, v3
	v_pk_mul_f32 v[102:103], v[10:11], v[102:103] op_sel_hi:[1,0]
	s_waitcnt vmcnt(3)
	v_pk_fma_f32 v[12:13], v[8:9], v[16:17], v[100:101] op_sel:[0,0,1] op_sel_hi:[1,1,0] neg_lo:[0,0,1] neg_hi:[0,0,1]
	v_pk_fma_f32 v[8:9], v[8:9], v[16:17], v[100:101] op_sel:[0,0,1] op_sel_hi:[1,0,0]
	v_mov_b32_e32 v5, v7
	v_pk_add_f32 v[2:3], v[104:105], 0 op_sel_hi:[1,0]
	s_waitcnt vmcnt(2)
	v_pk_fma_f32 v[14:15], v[10:11], v[94:95], v[102:103] op_sel:[0,0,1] op_sel_hi:[1,1,0] neg_lo:[0,0,1] neg_hi:[0,0,1]
	v_pk_fma_f32 v[10:11], v[10:11], v[94:95], v[102:103] op_sel:[0,0,1] op_sel_hi:[1,0,0]
	v_mov_b32_e32 v13, v9
	v_pk_add_f32 v[2:3], v[2:3], v[4:5]
	v_mov_b32_e32 v15, v11
	v_pk_add_f32 v[2:3], v[2:3], v[12:13]
	v_pk_add_f32 v[2:3], v[2:3], v[14:15]
	s_waitcnt vmcnt(0)
	v_pk_add_f32 v[2:3], v[96:97], v[2:3] neg_lo:[0,1] neg_hi:[0,1]
	buffer_store_dword v2, off, s[0:3], 0 offset:264
	buffer_store_dword v3, off, s[0:3], 0 offset:268
	s_and_saveexec_b64 s[4:5], vcc
	s_cbranch_execz .LBB101_177
; %bb.176:
	buffer_load_dword v2, off, s[0:3], 0 offset:256
	buffer_load_dword v3, off, s[0:3], 0 offset:260
	v_mov_b32_e32 v4, 0
	buffer_store_dword v4, off, s[0:3], 0 offset:256
	buffer_store_dword v4, off, s[0:3], 0 offset:260
	s_waitcnt vmcnt(2)
	ds_write_b64 v1, v[2:3]
.LBB101_177:
	s_or_b64 exec, exec, s[4:5]
	s_waitcnt lgkmcnt(0)
	; wave barrier
	s_waitcnt lgkmcnt(0)
	buffer_load_dword v13, off, s[0:3], 0 offset:268
	buffer_load_dword v15, off, s[0:3], 0 offset:276
	;; [unrolled: 1-line block ×12, first 2 shown]
	v_mov_b32_e32 v2, 0
	ds_read2_b64 v[4:7], v2 offset0:71 offset1:72
	ds_read2_b64 v[8:11], v2 offset0:73 offset1:74
	ds_read_b64 v[100:101], v2 offset:600
	v_cmp_lt_u32_e32 vcc, 31, v0
	s_waitcnt vmcnt(11)
	v_mov_b32_e32 v102, v13
	s_waitcnt vmcnt(10)
	v_mov_b32_e32 v104, v15
	s_waitcnt lgkmcnt(2)
	v_pk_mul_f32 v[102:103], v[4:5], v[102:103] op_sel_hi:[1,0]
	s_waitcnt vmcnt(9)
	v_mov_b32_e32 v106, v17
	v_pk_mul_f32 v[104:105], v[6:7], v[104:105] op_sel_hi:[1,0]
	s_waitcnt vmcnt(6)
	v_pk_fma_f32 v[112:113], v[4:5], v[12:13], v[102:103] op_sel:[0,0,1] op_sel_hi:[1,1,0] neg_lo:[0,0,1] neg_hi:[0,0,1]
	v_pk_fma_f32 v[4:5], v[4:5], v[12:13], v[102:103] op_sel:[0,0,1] op_sel_hi:[1,0,0]
	v_mov_b32_e32 v108, v95
	s_waitcnt lgkmcnt(1)
	v_pk_mul_f32 v[106:107], v[8:9], v[106:107] op_sel_hi:[1,0]
	s_waitcnt vmcnt(5)
	v_pk_fma_f32 v[12:13], v[6:7], v[14:15], v[104:105] op_sel:[0,0,1] op_sel_hi:[1,1,0] neg_lo:[0,0,1] neg_hi:[0,0,1]
	v_pk_fma_f32 v[6:7], v[6:7], v[14:15], v[104:105] op_sel:[0,0,1] op_sel_hi:[1,0,0]
	v_mov_b32_e32 v113, v5
	v_mov_b32_e32 v110, v97
	v_pk_mul_f32 v[108:109], v[10:11], v[108:109] op_sel_hi:[1,0]
	s_waitcnt vmcnt(4)
	v_pk_fma_f32 v[14:15], v[8:9], v[16:17], v[106:107] op_sel:[0,0,1] op_sel_hi:[1,1,0] neg_lo:[0,0,1] neg_hi:[0,0,1]
	v_pk_fma_f32 v[8:9], v[8:9], v[16:17], v[106:107] op_sel:[0,0,1] op_sel_hi:[1,0,0]
	v_mov_b32_e32 v13, v7
	v_pk_add_f32 v[4:5], v[112:113], 0 op_sel_hi:[1,0]
	s_waitcnt lgkmcnt(0)
	v_pk_mul_f32 v[110:111], v[100:101], v[110:111] op_sel_hi:[1,0]
	s_waitcnt vmcnt(3)
	v_pk_fma_f32 v[16:17], v[10:11], v[94:95], v[108:109] op_sel:[0,0,1] op_sel_hi:[1,1,0] neg_lo:[0,0,1] neg_hi:[0,0,1]
	v_pk_fma_f32 v[10:11], v[10:11], v[94:95], v[108:109] op_sel:[0,0,1] op_sel_hi:[1,0,0]
	v_mov_b32_e32 v15, v9
	v_pk_add_f32 v[4:5], v[4:5], v[12:13]
	s_waitcnt vmcnt(2)
	v_pk_fma_f32 v[94:95], v[100:101], v[96:97], v[110:111] op_sel:[0,0,1] op_sel_hi:[1,1,0] neg_lo:[0,0,1] neg_hi:[0,0,1]
	v_pk_fma_f32 v[96:97], v[100:101], v[96:97], v[110:111] op_sel:[0,0,1] op_sel_hi:[1,0,0]
	v_mov_b32_e32 v17, v11
	v_pk_add_f32 v[4:5], v[4:5], v[14:15]
	v_mov_b32_e32 v95, v97
	v_pk_add_f32 v[4:5], v[4:5], v[16:17]
	v_pk_add_f32 v[4:5], v[4:5], v[94:95]
	s_waitcnt vmcnt(0)
	v_pk_add_f32 v[4:5], v[98:99], v[4:5] neg_lo:[0,1] neg_hi:[0,1]
	buffer_store_dword v4, off, s[0:3], 0 offset:256
	buffer_store_dword v5, off, s[0:3], 0 offset:260
	s_and_saveexec_b64 s[4:5], vcc
	s_cbranch_execz .LBB101_179
; %bb.178:
	buffer_load_dword v4, off, s[0:3], 0 offset:248
	buffer_load_dword v5, off, s[0:3], 0 offset:252
	s_waitcnt vmcnt(0)
	ds_write_b64 v1, v[4:5]
	buffer_store_dword v2, off, s[0:3], 0 offset:248
	buffer_store_dword v2, off, s[0:3], 0 offset:252
.LBB101_179:
	s_or_b64 exec, exec, s[4:5]
	s_waitcnt lgkmcnt(0)
	; wave barrier
	s_waitcnt lgkmcnt(0)
	buffer_load_dword v17, off, s[0:3], 0 offset:260
	buffer_load_dword v95, off, s[0:3], 0 offset:268
	;; [unrolled: 1-line block ×14, first 2 shown]
	ds_read_b128 v[4:7], v2 offset:560
	ds_read_b128 v[8:11], v2 offset:576
	;; [unrolled: 1-line block ×3, first 2 shown]
	v_cmp_lt_u32_e32 vcc, 30, v0
	s_waitcnt vmcnt(13)
	v_mov_b32_e32 v2, v17
	s_waitcnt vmcnt(12)
	v_mov_b32_e32 v106, v95
	s_waitcnt lgkmcnt(2)
	v_pk_mul_f32 v[2:3], v[4:5], v[2:3] op_sel_hi:[1,0]
	s_waitcnt vmcnt(11)
	v_mov_b32_e32 v108, v97
	v_pk_mul_f32 v[106:107], v[6:7], v[106:107] op_sel_hi:[1,0]
	s_waitcnt vmcnt(10)
	v_mov_b32_e32 v110, v99
	s_waitcnt vmcnt(7)
	v_pk_fma_f32 v[116:117], v[4:5], v[16:17], v[2:3] op_sel:[0,0,1] op_sel_hi:[1,1,0] neg_lo:[0,0,1] neg_hi:[0,0,1]
	v_pk_fma_f32 v[2:3], v[4:5], v[16:17], v[2:3] op_sel:[0,0,1] op_sel_hi:[1,0,0]
	s_waitcnt lgkmcnt(1)
	v_pk_mul_f32 v[108:109], v[8:9], v[108:109] op_sel_hi:[1,0]
	s_waitcnt vmcnt(6)
	v_pk_fma_f32 v[4:5], v[6:7], v[94:95], v[106:107] op_sel:[0,0,1] op_sel_hi:[1,1,0] neg_lo:[0,0,1] neg_hi:[0,0,1]
	v_pk_fma_f32 v[6:7], v[6:7], v[94:95], v[106:107] op_sel:[0,0,1] op_sel_hi:[1,0,0]
	v_mov_b32_e32 v117, v3
	v_mov_b32_e32 v112, v101
	v_pk_mul_f32 v[110:111], v[10:11], v[110:111] op_sel_hi:[1,0]
	s_waitcnt vmcnt(5)
	v_pk_fma_f32 v[16:17], v[8:9], v[96:97], v[108:109] op_sel:[0,0,1] op_sel_hi:[1,1,0] neg_lo:[0,0,1] neg_hi:[0,0,1]
	v_pk_fma_f32 v[8:9], v[8:9], v[96:97], v[108:109] op_sel:[0,0,1] op_sel_hi:[1,0,0]
	v_mov_b32_e32 v5, v7
	v_pk_add_f32 v[2:3], v[116:117], 0 op_sel_hi:[1,0]
	v_mov_b32_e32 v114, v103
	s_waitcnt lgkmcnt(0)
	v_pk_mul_f32 v[112:113], v[12:13], v[112:113] op_sel_hi:[1,0]
	s_waitcnt vmcnt(4)
	v_pk_fma_f32 v[94:95], v[10:11], v[98:99], v[110:111] op_sel:[0,0,1] op_sel_hi:[1,1,0] neg_lo:[0,0,1] neg_hi:[0,0,1]
	v_pk_fma_f32 v[10:11], v[10:11], v[98:99], v[110:111] op_sel:[0,0,1] op_sel_hi:[1,0,0]
	v_mov_b32_e32 v17, v9
	v_pk_add_f32 v[2:3], v[2:3], v[4:5]
	v_pk_mul_f32 v[114:115], v[14:15], v[114:115] op_sel_hi:[1,0]
	s_waitcnt vmcnt(3)
	v_pk_fma_f32 v[96:97], v[12:13], v[100:101], v[112:113] op_sel:[0,0,1] op_sel_hi:[1,1,0] neg_lo:[0,0,1] neg_hi:[0,0,1]
	v_pk_fma_f32 v[12:13], v[12:13], v[100:101], v[112:113] op_sel:[0,0,1] op_sel_hi:[1,0,0]
	v_mov_b32_e32 v95, v11
	v_pk_add_f32 v[2:3], v[2:3], v[16:17]
	s_waitcnt vmcnt(2)
	v_pk_fma_f32 v[98:99], v[14:15], v[102:103], v[114:115] op_sel:[0,0,1] op_sel_hi:[1,1,0] neg_lo:[0,0,1] neg_hi:[0,0,1]
	v_pk_fma_f32 v[14:15], v[14:15], v[102:103], v[114:115] op_sel:[0,0,1] op_sel_hi:[1,0,0]
	v_mov_b32_e32 v97, v13
	v_pk_add_f32 v[2:3], v[2:3], v[94:95]
	v_mov_b32_e32 v99, v15
	v_pk_add_f32 v[2:3], v[2:3], v[96:97]
	v_pk_add_f32 v[2:3], v[2:3], v[98:99]
	s_waitcnt vmcnt(0)
	v_pk_add_f32 v[2:3], v[104:105], v[2:3] neg_lo:[0,1] neg_hi:[0,1]
	buffer_store_dword v2, off, s[0:3], 0 offset:248
	buffer_store_dword v3, off, s[0:3], 0 offset:252
	s_and_saveexec_b64 s[4:5], vcc
	s_cbranch_execz .LBB101_181
; %bb.180:
	buffer_load_dword v2, off, s[0:3], 0 offset:240
	buffer_load_dword v3, off, s[0:3], 0 offset:244
	v_mov_b32_e32 v4, 0
	buffer_store_dword v4, off, s[0:3], 0 offset:240
	buffer_store_dword v4, off, s[0:3], 0 offset:244
	s_waitcnt vmcnt(2)
	ds_write_b64 v1, v[2:3]
.LBB101_181:
	s_or_b64 exec, exec, s[4:5]
	s_waitcnt lgkmcnt(0)
	; wave barrier
	s_waitcnt lgkmcnt(0)
	buffer_load_dword v17, off, s[0:3], 0 offset:252
	buffer_load_dword v95, off, s[0:3], 0 offset:260
	buffer_load_dword v97, off, s[0:3], 0 offset:268
	buffer_load_dword v99, off, s[0:3], 0 offset:276
	buffer_load_dword v101, off, s[0:3], 0 offset:284
	buffer_load_dword v103, off, s[0:3], 0 offset:292
	buffer_load_dword v105, off, s[0:3], 0 offset:300
	buffer_load_dword v16, off, s[0:3], 0 offset:248
	buffer_load_dword v94, off, s[0:3], 0 offset:256
	buffer_load_dword v96, off, s[0:3], 0 offset:264
	buffer_load_dword v98, off, s[0:3], 0 offset:272
	buffer_load_dword v100, off, s[0:3], 0 offset:280
	buffer_load_dword v102, off, s[0:3], 0 offset:288
	buffer_load_dword v104, off, s[0:3], 0 offset:296
	buffer_load_dword v106, off, s[0:3], 0 offset:240
	buffer_load_dword v107, off, s[0:3], 0 offset:244
	v_mov_b32_e32 v2, 0
	ds_read2_b64 v[4:7], v2 offset0:69 offset1:70
	ds_read2_b64 v[8:11], v2 offset0:71 offset1:72
	;; [unrolled: 1-line block ×3, first 2 shown]
	ds_read_b64 v[108:109], v2 offset:600
	v_cmp_lt_u32_e32 vcc, 29, v0
	s_waitcnt vmcnt(15)
	v_mov_b32_e32 v110, v17
	s_waitcnt vmcnt(14)
	v_mov_b32_e32 v112, v95
	s_waitcnt lgkmcnt(3)
	v_pk_mul_f32 v[110:111], v[4:5], v[110:111] op_sel_hi:[1,0]
	s_waitcnt vmcnt(13)
	v_mov_b32_e32 v114, v97
	v_pk_mul_f32 v[112:113], v[6:7], v[112:113] op_sel_hi:[1,0]
	s_waitcnt vmcnt(12)
	v_mov_b32_e32 v116, v99
	s_waitcnt lgkmcnt(2)
	v_pk_mul_f32 v[114:115], v[8:9], v[114:115] op_sel_hi:[1,0]
	s_waitcnt vmcnt(8)
	v_pk_fma_f32 v[124:125], v[4:5], v[16:17], v[110:111] op_sel:[0,0,1] op_sel_hi:[1,1,0] neg_lo:[0,0,1] neg_hi:[0,0,1]
	v_pk_fma_f32 v[4:5], v[4:5], v[16:17], v[110:111] op_sel:[0,0,1] op_sel_hi:[1,0,0]
	s_waitcnt vmcnt(7)
	v_pk_fma_f32 v[16:17], v[6:7], v[94:95], v[112:113] op_sel:[0,0,1] op_sel_hi:[1,1,0] neg_lo:[0,0,1] neg_hi:[0,0,1]
	v_pk_fma_f32 v[6:7], v[6:7], v[94:95], v[112:113] op_sel:[0,0,1] op_sel_hi:[1,0,0]
	v_mov_b32_e32 v125, v5
	v_mov_b32_e32 v118, v101
	v_pk_mul_f32 v[116:117], v[10:11], v[116:117] op_sel_hi:[1,0]
	s_waitcnt vmcnt(6)
	v_pk_fma_f32 v[94:95], v[8:9], v[96:97], v[114:115] op_sel:[0,0,1] op_sel_hi:[1,1,0] neg_lo:[0,0,1] neg_hi:[0,0,1]
	v_pk_fma_f32 v[8:9], v[8:9], v[96:97], v[114:115] op_sel:[0,0,1] op_sel_hi:[1,0,0]
	v_mov_b32_e32 v17, v7
	v_pk_add_f32 v[4:5], v[124:125], 0 op_sel_hi:[1,0]
	v_mov_b32_e32 v120, v103
	s_waitcnt lgkmcnt(1)
	v_pk_mul_f32 v[118:119], v[12:13], v[118:119] op_sel_hi:[1,0]
	s_waitcnt vmcnt(5)
	v_pk_fma_f32 v[96:97], v[10:11], v[98:99], v[116:117] op_sel:[0,0,1] op_sel_hi:[1,1,0] neg_lo:[0,0,1] neg_hi:[0,0,1]
	v_pk_fma_f32 v[10:11], v[10:11], v[98:99], v[116:117] op_sel:[0,0,1] op_sel_hi:[1,0,0]
	v_mov_b32_e32 v95, v9
	v_pk_add_f32 v[4:5], v[4:5], v[16:17]
	v_mov_b32_e32 v122, v105
	v_pk_mul_f32 v[120:121], v[14:15], v[120:121] op_sel_hi:[1,0]
	s_waitcnt vmcnt(4)
	v_pk_fma_f32 v[98:99], v[12:13], v[100:101], v[118:119] op_sel:[0,0,1] op_sel_hi:[1,1,0] neg_lo:[0,0,1] neg_hi:[0,0,1]
	v_pk_fma_f32 v[12:13], v[12:13], v[100:101], v[118:119] op_sel:[0,0,1] op_sel_hi:[1,0,0]
	v_mov_b32_e32 v97, v11
	v_pk_add_f32 v[4:5], v[4:5], v[94:95]
	s_waitcnt lgkmcnt(0)
	v_pk_mul_f32 v[122:123], v[108:109], v[122:123] op_sel_hi:[1,0]
	s_waitcnt vmcnt(3)
	v_pk_fma_f32 v[100:101], v[14:15], v[102:103], v[120:121] op_sel:[0,0,1] op_sel_hi:[1,1,0] neg_lo:[0,0,1] neg_hi:[0,0,1]
	v_pk_fma_f32 v[14:15], v[14:15], v[102:103], v[120:121] op_sel:[0,0,1] op_sel_hi:[1,0,0]
	v_mov_b32_e32 v99, v13
	v_pk_add_f32 v[4:5], v[4:5], v[96:97]
	s_waitcnt vmcnt(2)
	v_pk_fma_f32 v[102:103], v[108:109], v[104:105], v[122:123] op_sel:[0,0,1] op_sel_hi:[1,1,0] neg_lo:[0,0,1] neg_hi:[0,0,1]
	v_pk_fma_f32 v[104:105], v[108:109], v[104:105], v[122:123] op_sel:[0,0,1] op_sel_hi:[1,0,0]
	v_mov_b32_e32 v101, v15
	v_pk_add_f32 v[4:5], v[4:5], v[98:99]
	v_mov_b32_e32 v103, v105
	v_pk_add_f32 v[4:5], v[4:5], v[100:101]
	v_pk_add_f32 v[4:5], v[4:5], v[102:103]
	s_waitcnt vmcnt(0)
	v_pk_add_f32 v[4:5], v[106:107], v[4:5] neg_lo:[0,1] neg_hi:[0,1]
	buffer_store_dword v4, off, s[0:3], 0 offset:240
	buffer_store_dword v5, off, s[0:3], 0 offset:244
	s_and_saveexec_b64 s[4:5], vcc
	s_cbranch_execz .LBB101_183
; %bb.182:
	buffer_load_dword v4, off, s[0:3], 0 offset:232
	buffer_load_dword v5, off, s[0:3], 0 offset:236
	s_waitcnt vmcnt(0)
	ds_write_b64 v1, v[4:5]
	buffer_store_dword v2, off, s[0:3], 0 offset:232
	buffer_store_dword v2, off, s[0:3], 0 offset:236
.LBB101_183:
	s_or_b64 exec, exec, s[4:5]
	s_waitcnt lgkmcnt(0)
	; wave barrier
	s_waitcnt lgkmcnt(0)
	buffer_load_dword v16, off, s[0:3], 0 offset:232
	buffer_load_dword v17, off, s[0:3], 0 offset:236
	;; [unrolled: 1-line block ×16, first 2 shown]
	ds_read_b128 v[4:7], v2 offset:544
	ds_read_b128 v[8:11], v2 offset:560
	;; [unrolled: 1-line block ×4, first 2 shown]
	buffer_load_dword v3, off, s[0:3], 0 offset:300
	buffer_load_dword v2, off, s[0:3], 0 offset:296
	v_cmp_lt_u32_e32 vcc, 28, v0
	s_waitcnt vmcnt(14)
	v_mov_b32_e32 v112, v99
	s_waitcnt lgkmcnt(3)
	v_pk_mul_f32 v[112:113], v[4:5], v[112:113] op_sel_hi:[1,0]
	v_pk_fma_f32 v[114:115], v[4:5], v[98:99], v[112:113] op_sel:[0,0,1] op_sel_hi:[1,1,0] neg_lo:[0,0,1] neg_hi:[0,0,1]
	v_pk_fma_f32 v[4:5], v[4:5], v[98:99], v[112:113] op_sel:[0,0,1] op_sel_hi:[1,0,0]
	s_waitcnt vmcnt(12)
	v_mov_b32_e32 v98, v101
	v_pk_mul_f32 v[98:99], v[6:7], v[98:99] op_sel_hi:[1,0]
	v_pk_fma_f32 v[112:113], v[6:7], v[100:101], v[98:99] op_sel:[0,0,1] op_sel_hi:[1,1,0] neg_lo:[0,0,1] neg_hi:[0,0,1]
	v_pk_fma_f32 v[6:7], v[6:7], v[100:101], v[98:99] op_sel:[0,0,1] op_sel_hi:[1,0,0]
	s_waitcnt vmcnt(10)
	v_mov_b32_e32 v6, v103
	v_mov_b32_e32 v113, v7
	s_waitcnt lgkmcnt(2)
	v_pk_mul_f32 v[6:7], v[8:9], v[6:7] op_sel_hi:[1,0]
	v_pk_fma_f32 v[98:99], v[8:9], v[102:103], v[6:7] op_sel:[0,0,1] op_sel_hi:[1,1,0] neg_lo:[0,0,1] neg_hi:[0,0,1]
	v_pk_fma_f32 v[6:7], v[8:9], v[102:103], v[6:7] op_sel:[0,0,1] op_sel_hi:[1,0,0]
	s_waitcnt vmcnt(8)
	v_mov_b32_e32 v6, v105
	v_mov_b32_e32 v115, v5
	;; [unrolled: 1-line block ×3, first 2 shown]
	v_pk_mul_f32 v[6:7], v[10:11], v[6:7] op_sel_hi:[1,0]
	v_pk_add_f32 v[4:5], v[114:115], 0 op_sel_hi:[1,0]
	v_pk_fma_f32 v[8:9], v[10:11], v[104:105], v[6:7] op_sel:[0,0,1] op_sel_hi:[1,1,0] neg_lo:[0,0,1] neg_hi:[0,0,1]
	v_pk_fma_f32 v[6:7], v[10:11], v[104:105], v[6:7] op_sel:[0,0,1] op_sel_hi:[1,0,0]
	v_pk_add_f32 v[4:5], v[4:5], v[112:113]
	s_waitcnt vmcnt(6)
	v_mov_b32_e32 v6, v107
	v_pk_add_f32 v[4:5], v[4:5], v[98:99]
	v_mov_b32_e32 v9, v7
	s_waitcnt lgkmcnt(1)
	v_pk_mul_f32 v[6:7], v[12:13], v[6:7] op_sel_hi:[1,0]
	v_pk_add_f32 v[4:5], v[4:5], v[8:9]
	v_pk_fma_f32 v[8:9], v[12:13], v[106:107], v[6:7] op_sel:[0,0,1] op_sel_hi:[1,1,0] neg_lo:[0,0,1] neg_hi:[0,0,1]
	v_pk_fma_f32 v[6:7], v[12:13], v[106:107], v[6:7] op_sel:[0,0,1] op_sel_hi:[1,0,0]
	s_waitcnt vmcnt(4)
	v_mov_b32_e32 v6, v109
	v_mov_b32_e32 v9, v7
	v_pk_mul_f32 v[6:7], v[14:15], v[6:7] op_sel_hi:[1,0]
	v_pk_add_f32 v[4:5], v[4:5], v[8:9]
	v_pk_fma_f32 v[8:9], v[14:15], v[108:109], v[6:7] op_sel:[0,0,1] op_sel_hi:[1,1,0] neg_lo:[0,0,1] neg_hi:[0,0,1]
	v_pk_fma_f32 v[6:7], v[14:15], v[108:109], v[6:7] op_sel:[0,0,1] op_sel_hi:[1,0,0]
	s_waitcnt vmcnt(2)
	v_mov_b32_e32 v6, v111
	v_mov_b32_e32 v9, v7
	s_waitcnt lgkmcnt(0)
	v_pk_mul_f32 v[6:7], v[94:95], v[6:7] op_sel_hi:[1,0]
	v_pk_add_f32 v[4:5], v[4:5], v[8:9]
	v_pk_fma_f32 v[8:9], v[94:95], v[110:111], v[6:7] op_sel:[0,0,1] op_sel_hi:[1,1,0] neg_lo:[0,0,1] neg_hi:[0,0,1]
	v_pk_fma_f32 v[6:7], v[94:95], v[110:111], v[6:7] op_sel:[0,0,1] op_sel_hi:[1,0,0]
	s_waitcnt vmcnt(1)
	v_mov_b32_e32 v6, v3
	v_mov_b32_e32 v9, v7
	v_pk_mul_f32 v[6:7], v[96:97], v[6:7] op_sel_hi:[1,0]
	v_pk_add_f32 v[4:5], v[4:5], v[8:9]
	s_waitcnt vmcnt(0)
	v_pk_fma_f32 v[8:9], v[96:97], v[2:3], v[6:7] op_sel:[0,0,1] op_sel_hi:[1,1,0] neg_lo:[0,0,1] neg_hi:[0,0,1]
	v_pk_fma_f32 v[2:3], v[96:97], v[2:3], v[6:7] op_sel:[0,0,1] op_sel_hi:[1,0,0]
	v_mov_b32_e32 v9, v3
	v_pk_add_f32 v[2:3], v[4:5], v[8:9]
	v_pk_add_f32 v[2:3], v[16:17], v[2:3] neg_lo:[0,1] neg_hi:[0,1]
	buffer_store_dword v2, off, s[0:3], 0 offset:232
	buffer_store_dword v3, off, s[0:3], 0 offset:236
	s_and_saveexec_b64 s[4:5], vcc
	s_cbranch_execz .LBB101_185
; %bb.184:
	buffer_load_dword v2, off, s[0:3], 0 offset:224
	buffer_load_dword v3, off, s[0:3], 0 offset:228
	v_mov_b32_e32 v4, 0
	buffer_store_dword v4, off, s[0:3], 0 offset:224
	buffer_store_dword v4, off, s[0:3], 0 offset:228
	s_waitcnt vmcnt(2)
	ds_write_b64 v1, v[2:3]
.LBB101_185:
	s_or_b64 exec, exec, s[4:5]
	v_mov_b32_e32 v4, 0
	s_waitcnt lgkmcnt(0)
	; wave barrier
	s_waitcnt lgkmcnt(0)
	ds_read2_b64 v[6:9], v4 offset0:67 offset1:68
	buffer_load_dword v2, off, s[0:3], 0 offset:224
	buffer_load_dword v3, off, s[0:3], 0 offset:228
	;; [unrolled: 1-line block ×20, first 2 shown]
	v_cmp_lt_u32_e32 vcc, 27, v0
	s_waitcnt vmcnt(16) lgkmcnt(0)
	v_mul_f32_e32 v111, v6, v10
	v_fmac_f32_e32 v111, v7, v5
	v_mul_f32_e32 v7, v7, v10
	s_waitcnt vmcnt(14)
	v_mov_b32_e32 v116, v99
	v_fma_f32 v110, v6, v5, -v7
	ds_read2_b64 v[10:13], v4 offset0:69 offset1:70
	ds_read2_b64 v[14:17], v4 offset0:71 offset1:72
	ds_read2_b64 v[94:97], v4 offset0:73 offset1:74
	ds_read_b64 v[6:7], v4 offset:600
	v_pk_mul_f32 v[116:117], v[8:9], v[116:117] op_sel_hi:[1,0]
	v_pk_fma_f32 v[118:119], v[8:9], v[98:99], v[116:117] op_sel:[0,0,1] op_sel_hi:[1,1,0] neg_lo:[0,0,1] neg_hi:[0,0,1]
	v_pk_fma_f32 v[8:9], v[8:9], v[98:99], v[116:117] op_sel:[0,0,1] op_sel_hi:[1,0,0]
	s_waitcnt vmcnt(12)
	v_mov_b32_e32 v98, v101
	v_pk_add_f32 v[110:111], v[110:111], 0 op_sel_hi:[1,0]
	v_mov_b32_e32 v119, v9
	s_waitcnt lgkmcnt(3)
	v_pk_mul_f32 v[98:99], v[10:11], v[98:99] op_sel_hi:[1,0]
	v_pk_add_f32 v[8:9], v[110:111], v[118:119]
	v_pk_fma_f32 v[110:111], v[10:11], v[100:101], v[98:99] op_sel:[0,0,1] op_sel_hi:[1,1,0] neg_lo:[0,0,1] neg_hi:[0,0,1]
	v_pk_fma_f32 v[10:11], v[10:11], v[100:101], v[98:99] op_sel:[0,0,1] op_sel_hi:[1,0,0]
	s_waitcnt vmcnt(10)
	v_mov_b32_e32 v10, v103
	v_mov_b32_e32 v111, v11
	v_pk_mul_f32 v[10:11], v[12:13], v[10:11] op_sel_hi:[1,0]
	v_pk_fma_f32 v[98:99], v[12:13], v[102:103], v[10:11] op_sel:[0,0,1] op_sel_hi:[1,1,0] neg_lo:[0,0,1] neg_hi:[0,0,1]
	v_pk_fma_f32 v[10:11], v[12:13], v[102:103], v[10:11] op_sel:[0,0,1] op_sel_hi:[1,0,0]
	s_waitcnt vmcnt(8)
	v_mov_b32_e32 v10, v105
	v_mov_b32_e32 v99, v11
	s_waitcnt lgkmcnt(2)
	v_pk_mul_f32 v[10:11], v[14:15], v[10:11] op_sel_hi:[1,0]
	v_pk_fma_f32 v[12:13], v[14:15], v[104:105], v[10:11] op_sel:[0,0,1] op_sel_hi:[1,1,0] neg_lo:[0,0,1] neg_hi:[0,0,1]
	v_pk_fma_f32 v[10:11], v[14:15], v[104:105], v[10:11] op_sel:[0,0,1] op_sel_hi:[1,0,0]
	v_pk_add_f32 v[8:9], v[8:9], v[110:111]
	s_waitcnt vmcnt(6)
	v_mov_b32_e32 v10, v107
	v_pk_add_f32 v[8:9], v[8:9], v[98:99]
	v_mov_b32_e32 v13, v11
	v_pk_mul_f32 v[10:11], v[16:17], v[10:11] op_sel_hi:[1,0]
	v_pk_add_f32 v[8:9], v[8:9], v[12:13]
	v_pk_fma_f32 v[12:13], v[16:17], v[106:107], v[10:11] op_sel:[0,0,1] op_sel_hi:[1,1,0] neg_lo:[0,0,1] neg_hi:[0,0,1]
	v_pk_fma_f32 v[10:11], v[16:17], v[106:107], v[10:11] op_sel:[0,0,1] op_sel_hi:[1,0,0]
	s_waitcnt vmcnt(4)
	v_mov_b32_e32 v10, v109
	v_mov_b32_e32 v13, v11
	s_waitcnt lgkmcnt(1)
	v_pk_mul_f32 v[10:11], v[94:95], v[10:11] op_sel_hi:[1,0]
	v_pk_add_f32 v[8:9], v[8:9], v[12:13]
	v_pk_fma_f32 v[12:13], v[94:95], v[108:109], v[10:11] op_sel:[0,0,1] op_sel_hi:[1,1,0] neg_lo:[0,0,1] neg_hi:[0,0,1]
	v_pk_fma_f32 v[10:11], v[94:95], v[108:109], v[10:11] op_sel:[0,0,1] op_sel_hi:[1,0,0]
	s_waitcnt vmcnt(3)
	v_mov_b32_e32 v10, v113
	v_mov_b32_e32 v13, v11
	v_pk_mul_f32 v[10:11], v[96:97], v[10:11] op_sel_hi:[1,0]
	v_pk_add_f32 v[8:9], v[8:9], v[12:13]
	s_waitcnt vmcnt(2)
	v_pk_fma_f32 v[12:13], v[96:97], v[112:113], v[10:11] op_sel:[0,0,1] op_sel_hi:[1,1,0] neg_lo:[0,0,1] neg_hi:[0,0,1]
	v_pk_fma_f32 v[10:11], v[96:97], v[112:113], v[10:11] op_sel:[0,0,1] op_sel_hi:[1,0,0]
	s_waitcnt vmcnt(1)
	v_mov_b32_e32 v10, v115
	v_mov_b32_e32 v13, v11
	s_waitcnt lgkmcnt(0)
	v_pk_mul_f32 v[10:11], v[6:7], v[10:11] op_sel_hi:[1,0]
	v_pk_add_f32 v[8:9], v[8:9], v[12:13]
	s_waitcnt vmcnt(0)
	v_pk_fma_f32 v[12:13], v[6:7], v[114:115], v[10:11] op_sel:[0,0,1] op_sel_hi:[1,1,0] neg_lo:[0,0,1] neg_hi:[0,0,1]
	v_pk_fma_f32 v[6:7], v[6:7], v[114:115], v[10:11] op_sel:[0,0,1] op_sel_hi:[1,0,0]
	v_mov_b32_e32 v13, v7
	v_pk_add_f32 v[6:7], v[8:9], v[12:13]
	v_pk_add_f32 v[2:3], v[2:3], v[6:7] neg_lo:[0,1] neg_hi:[0,1]
	buffer_store_dword v2, off, s[0:3], 0 offset:224
	buffer_store_dword v3, off, s[0:3], 0 offset:228
	s_and_saveexec_b64 s[4:5], vcc
	s_cbranch_execz .LBB101_187
; %bb.186:
	buffer_load_dword v2, off, s[0:3], 0 offset:216
	buffer_load_dword v3, off, s[0:3], 0 offset:220
	s_waitcnt vmcnt(0)
	ds_write_b64 v1, v[2:3]
	buffer_store_dword v4, off, s[0:3], 0 offset:216
	buffer_store_dword v4, off, s[0:3], 0 offset:220
.LBB101_187:
	s_or_b64 exec, exec, s[4:5]
	s_waitcnt lgkmcnt(0)
	; wave barrier
	s_waitcnt lgkmcnt(0)
	ds_read_b128 v[6:9], v4 offset:528
	ds_read_b128 v[10:13], v4 offset:544
	;; [unrolled: 1-line block ×4, first 2 shown]
	buffer_load_dword v2, off, s[0:3], 0 offset:216
	buffer_load_dword v3, off, s[0:3], 0 offset:220
	;; [unrolled: 1-line block ×22, first 2 shown]
	v_cmp_lt_u32_e32 vcc, 26, v0
	s_waitcnt vmcnt(18) lgkmcnt(3)
	v_mul_f32_e32 v109, v6, v108
	v_fmac_f32_e32 v109, v7, v5
	v_mul_f32_e32 v7, v7, v108
	s_waitcnt vmcnt(16)
	v_mul_f32_e32 v111, v8, v118
	v_fma_f32 v108, v6, v5, -v7
	v_mul_f32_e32 v5, v9, v118
	v_fmac_f32_e32 v111, v9, v110
	v_fma_f32 v110, v8, v110, -v5
	v_pk_add_f32 v[8:9], v[108:109], 0 op_sel_hi:[1,0]
	s_waitcnt vmcnt(14)
	v_mov_b32_e32 v108, v99
	s_waitcnt lgkmcnt(2)
	v_pk_mul_f32 v[108:109], v[10:11], v[108:109] op_sel_hi:[1,0]
	v_pk_add_f32 v[8:9], v[8:9], v[110:111]
	v_pk_fma_f32 v[110:111], v[10:11], v[98:99], v[108:109] op_sel:[0,0,1] op_sel_hi:[1,1,0] neg_lo:[0,0,1] neg_hi:[0,0,1]
	v_pk_fma_f32 v[10:11], v[10:11], v[98:99], v[108:109] op_sel:[0,0,1] op_sel_hi:[1,0,0]
	s_waitcnt vmcnt(12)
	v_mov_b32_e32 v10, v101
	v_mov_b32_e32 v111, v11
	v_pk_mul_f32 v[10:11], v[12:13], v[10:11] op_sel_hi:[1,0]
	v_pk_fma_f32 v[98:99], v[12:13], v[100:101], v[10:11] op_sel:[0,0,1] op_sel_hi:[1,1,0] neg_lo:[0,0,1] neg_hi:[0,0,1]
	v_pk_fma_f32 v[10:11], v[12:13], v[100:101], v[10:11] op_sel:[0,0,1] op_sel_hi:[1,0,0]
	s_waitcnt vmcnt(10)
	v_mov_b32_e32 v10, v103
	v_mov_b32_e32 v99, v11
	s_waitcnt lgkmcnt(1)
	v_pk_mul_f32 v[10:11], v[14:15], v[10:11] op_sel_hi:[1,0]
	v_pk_fma_f32 v[12:13], v[14:15], v[102:103], v[10:11] op_sel:[0,0,1] op_sel_hi:[1,1,0] neg_lo:[0,0,1] neg_hi:[0,0,1]
	v_pk_fma_f32 v[10:11], v[14:15], v[102:103], v[10:11] op_sel:[0,0,1] op_sel_hi:[1,0,0]
	v_pk_add_f32 v[8:9], v[8:9], v[110:111]
	s_waitcnt vmcnt(8)
	v_mov_b32_e32 v10, v105
	v_pk_add_f32 v[8:9], v[8:9], v[98:99]
	v_mov_b32_e32 v13, v11
	v_pk_mul_f32 v[10:11], v[16:17], v[10:11] op_sel_hi:[1,0]
	v_pk_add_f32 v[8:9], v[8:9], v[12:13]
	v_pk_fma_f32 v[12:13], v[16:17], v[104:105], v[10:11] op_sel:[0,0,1] op_sel_hi:[1,1,0] neg_lo:[0,0,1] neg_hi:[0,0,1]
	v_pk_fma_f32 v[10:11], v[16:17], v[104:105], v[10:11] op_sel:[0,0,1] op_sel_hi:[1,0,0]
	s_waitcnt vmcnt(6)
	v_mov_b32_e32 v10, v107
	v_mov_b32_e32 v13, v11
	s_waitcnt lgkmcnt(0)
	v_pk_mul_f32 v[10:11], v[94:95], v[10:11] op_sel_hi:[1,0]
	ds_read_b128 v[4:7], v4 offset:592
	v_pk_add_f32 v[8:9], v[8:9], v[12:13]
	v_pk_fma_f32 v[12:13], v[94:95], v[106:107], v[10:11] op_sel:[0,0,1] op_sel_hi:[1,1,0] neg_lo:[0,0,1] neg_hi:[0,0,1]
	v_pk_fma_f32 v[10:11], v[94:95], v[106:107], v[10:11] op_sel:[0,0,1] op_sel_hi:[1,0,0]
	s_waitcnt vmcnt(5)
	v_mov_b32_e32 v10, v113
	v_mov_b32_e32 v13, v11
	v_pk_mul_f32 v[10:11], v[96:97], v[10:11] op_sel_hi:[1,0]
	v_pk_add_f32 v[8:9], v[8:9], v[12:13]
	s_waitcnt vmcnt(4)
	v_pk_fma_f32 v[12:13], v[96:97], v[112:113], v[10:11] op_sel:[0,0,1] op_sel_hi:[1,1,0] neg_lo:[0,0,1] neg_hi:[0,0,1]
	v_pk_fma_f32 v[10:11], v[96:97], v[112:113], v[10:11] op_sel:[0,0,1] op_sel_hi:[1,0,0]
	s_waitcnt vmcnt(3)
	v_mov_b32_e32 v10, v115
	v_mov_b32_e32 v13, v11
	s_waitcnt lgkmcnt(0)
	v_pk_mul_f32 v[10:11], v[4:5], v[10:11] op_sel_hi:[1,0]
	v_pk_add_f32 v[8:9], v[8:9], v[12:13]
	s_waitcnt vmcnt(2)
	v_pk_fma_f32 v[12:13], v[4:5], v[114:115], v[10:11] op_sel:[0,0,1] op_sel_hi:[1,1,0] neg_lo:[0,0,1] neg_hi:[0,0,1]
	v_pk_fma_f32 v[4:5], v[4:5], v[114:115], v[10:11] op_sel:[0,0,1] op_sel_hi:[1,0,0]
	v_mov_b32_e32 v13, v5
	v_pk_add_f32 v[4:5], v[8:9], v[12:13]
	s_waitcnt vmcnt(1)
	v_mov_b32_e32 v8, v117
	v_pk_mul_f32 v[8:9], v[6:7], v[8:9] op_sel_hi:[1,0]
	s_waitcnt vmcnt(0)
	v_pk_fma_f32 v[10:11], v[6:7], v[116:117], v[8:9] op_sel:[0,0,1] op_sel_hi:[1,1,0] neg_lo:[0,0,1] neg_hi:[0,0,1]
	v_pk_fma_f32 v[6:7], v[6:7], v[116:117], v[8:9] op_sel:[0,0,1] op_sel_hi:[1,0,0]
	v_mov_b32_e32 v11, v7
	v_pk_add_f32 v[4:5], v[4:5], v[10:11]
	v_pk_add_f32 v[2:3], v[2:3], v[4:5] neg_lo:[0,1] neg_hi:[0,1]
	buffer_store_dword v2, off, s[0:3], 0 offset:216
	buffer_store_dword v3, off, s[0:3], 0 offset:220
	s_and_saveexec_b64 s[4:5], vcc
	s_cbranch_execz .LBB101_189
; %bb.188:
	buffer_load_dword v2, off, s[0:3], 0 offset:208
	buffer_load_dword v3, off, s[0:3], 0 offset:212
	v_mov_b32_e32 v4, 0
	buffer_store_dword v4, off, s[0:3], 0 offset:208
	buffer_store_dword v4, off, s[0:3], 0 offset:212
	s_waitcnt vmcnt(2)
	ds_write_b64 v1, v[2:3]
.LBB101_189:
	s_or_b64 exec, exec, s[4:5]
	v_mov_b32_e32 v4, 0
	s_waitcnt lgkmcnt(0)
	; wave barrier
	s_waitcnt lgkmcnt(0)
	ds_read2_b64 v[6:9], v4 offset0:65 offset1:66
	buffer_load_dword v2, off, s[0:3], 0 offset:208
	buffer_load_dword v3, off, s[0:3], 0 offset:212
	;; [unrolled: 1-line block ×16, first 2 shown]
	v_cmp_lt_u32_e32 vcc, 25, v0
	s_waitcnt vmcnt(12) lgkmcnt(0)
	v_mul_f32_e32 v10, v6, v14
	v_fmac_f32_e32 v10, v7, v5
	v_add_f32_e32 v107, 0, v10
	ds_read2_b64 v[10:13], v4 offset0:67 offset1:68
	buffer_load_dword v113, off, s[0:3], 0 offset:276
	buffer_load_dword v112, off, s[0:3], 0 offset:272
	;; [unrolled: 1-line block ×8, first 2 shown]
	v_mul_f32_e32 v7, v7, v14
	v_fma_f32 v5, v6, v5, -v7
	s_waitcnt vmcnt(18)
	v_mul_f32_e32 v109, v8, v16
	v_add_f32_e32 v106, 0, v5
	v_mul_f32_e32 v5, v9, v16
	v_fmac_f32_e32 v109, v9, v15
	v_fma_f32 v108, v8, v15, -v5
	s_waitcnt vmcnt(16) lgkmcnt(0)
	v_mul_f32_e32 v111, v10, v94
	v_mul_f32_e32 v5, v11, v94
	v_pk_add_f32 v[106:107], v[106:107], v[108:109]
	s_waitcnt vmcnt(14)
	v_mov_b32_e32 v108, v99
	v_fmac_f32_e32 v111, v11, v17
	v_fma_f32 v110, v10, v17, -v5
	ds_read2_b64 v[6:9], v4 offset0:69 offset1:70
	ds_read2_b64 v[14:17], v4 offset0:71 offset1:72
	;; [unrolled: 1-line block ×3, first 2 shown]
	ds_read_b64 v[10:11], v4 offset:600
	v_pk_mul_f32 v[108:109], v[12:13], v[108:109] op_sel_hi:[1,0]
	v_pk_add_f32 v[106:107], v[106:107], v[110:111]
	v_pk_fma_f32 v[110:111], v[12:13], v[98:99], v[108:109] op_sel:[0,0,1] op_sel_hi:[1,1,0] neg_lo:[0,0,1] neg_hi:[0,0,1]
	v_pk_fma_f32 v[12:13], v[12:13], v[98:99], v[108:109] op_sel:[0,0,1] op_sel_hi:[1,0,0]
	s_waitcnt vmcnt(12)
	v_mov_b32_e32 v98, v101
	v_mov_b32_e32 v111, v13
	s_waitcnt lgkmcnt(3)
	v_pk_mul_f32 v[98:99], v[6:7], v[98:99] op_sel_hi:[1,0]
	v_pk_add_f32 v[12:13], v[106:107], v[110:111]
	v_pk_fma_f32 v[106:107], v[6:7], v[100:101], v[98:99] op_sel:[0,0,1] op_sel_hi:[1,1,0] neg_lo:[0,0,1] neg_hi:[0,0,1]
	v_pk_fma_f32 v[6:7], v[6:7], v[100:101], v[98:99] op_sel:[0,0,1] op_sel_hi:[1,0,0]
	v_mov_b32_e32 v107, v7
	v_pk_add_f32 v[6:7], v[12:13], v[106:107]
	s_waitcnt vmcnt(10)
	v_mov_b32_e32 v12, v103
	v_pk_mul_f32 v[12:13], v[8:9], v[12:13] op_sel_hi:[1,0]
	v_pk_fma_f32 v[98:99], v[8:9], v[102:103], v[12:13] op_sel:[0,0,1] op_sel_hi:[1,1,0] neg_lo:[0,0,1] neg_hi:[0,0,1]
	v_pk_fma_f32 v[8:9], v[8:9], v[102:103], v[12:13] op_sel:[0,0,1] op_sel_hi:[1,0,0]
	s_waitcnt vmcnt(8)
	v_mov_b32_e32 v8, v105
	v_mov_b32_e32 v99, v9
	s_waitcnt lgkmcnt(2)
	v_pk_mul_f32 v[8:9], v[14:15], v[8:9] op_sel_hi:[1,0]
	v_pk_fma_f32 v[12:13], v[14:15], v[104:105], v[8:9] op_sel:[0,0,1] op_sel_hi:[1,1,0] neg_lo:[0,0,1] neg_hi:[0,0,1]
	v_pk_fma_f32 v[8:9], v[14:15], v[104:105], v[8:9] op_sel:[0,0,1] op_sel_hi:[1,0,0]
	v_pk_add_f32 v[6:7], v[6:7], v[98:99]
	v_mov_b32_e32 v13, v9
	v_pk_add_f32 v[6:7], v[6:7], v[12:13]
	s_waitcnt vmcnt(7)
	v_mov_b32_e32 v8, v113
	v_pk_mul_f32 v[8:9], v[16:17], v[8:9] op_sel_hi:[1,0]
	s_waitcnt vmcnt(6)
	v_pk_fma_f32 v[12:13], v[16:17], v[112:113], v[8:9] op_sel:[0,0,1] op_sel_hi:[1,1,0] neg_lo:[0,0,1] neg_hi:[0,0,1]
	v_pk_fma_f32 v[8:9], v[16:17], v[112:113], v[8:9] op_sel:[0,0,1] op_sel_hi:[1,0,0]
	s_waitcnt vmcnt(5)
	v_mov_b32_e32 v8, v115
	v_mov_b32_e32 v13, v9
	s_waitcnt lgkmcnt(1)
	v_pk_mul_f32 v[8:9], v[94:95], v[8:9] op_sel_hi:[1,0]
	v_pk_add_f32 v[6:7], v[6:7], v[12:13]
	s_waitcnt vmcnt(4)
	v_pk_fma_f32 v[12:13], v[94:95], v[114:115], v[8:9] op_sel:[0,0,1] op_sel_hi:[1,1,0] neg_lo:[0,0,1] neg_hi:[0,0,1]
	v_pk_fma_f32 v[8:9], v[94:95], v[114:115], v[8:9] op_sel:[0,0,1] op_sel_hi:[1,0,0]
	s_waitcnt vmcnt(3)
	v_mov_b32_e32 v8, v117
	v_mov_b32_e32 v13, v9
	v_pk_mul_f32 v[8:9], v[96:97], v[8:9] op_sel_hi:[1,0]
	v_pk_add_f32 v[6:7], v[6:7], v[12:13]
	s_waitcnt vmcnt(2)
	v_pk_fma_f32 v[12:13], v[96:97], v[116:117], v[8:9] op_sel:[0,0,1] op_sel_hi:[1,1,0] neg_lo:[0,0,1] neg_hi:[0,0,1]
	v_pk_fma_f32 v[8:9], v[96:97], v[116:117], v[8:9] op_sel:[0,0,1] op_sel_hi:[1,0,0]
	s_waitcnt vmcnt(1)
	v_mov_b32_e32 v8, v119
	v_mov_b32_e32 v13, v9
	s_waitcnt lgkmcnt(0)
	v_pk_mul_f32 v[8:9], v[10:11], v[8:9] op_sel_hi:[1,0]
	v_pk_add_f32 v[6:7], v[6:7], v[12:13]
	s_waitcnt vmcnt(0)
	v_pk_fma_f32 v[12:13], v[10:11], v[118:119], v[8:9] op_sel:[0,0,1] op_sel_hi:[1,1,0] neg_lo:[0,0,1] neg_hi:[0,0,1]
	v_pk_fma_f32 v[8:9], v[10:11], v[118:119], v[8:9] op_sel:[0,0,1] op_sel_hi:[1,0,0]
	v_mov_b32_e32 v13, v9
	v_pk_add_f32 v[6:7], v[6:7], v[12:13]
	v_pk_add_f32 v[2:3], v[2:3], v[6:7] neg_lo:[0,1] neg_hi:[0,1]
	buffer_store_dword v3, off, s[0:3], 0 offset:212
	buffer_store_dword v2, off, s[0:3], 0 offset:208
	s_and_saveexec_b64 s[4:5], vcc
	s_cbranch_execz .LBB101_191
; %bb.190:
	buffer_load_dword v2, off, s[0:3], 0 offset:200
	buffer_load_dword v3, off, s[0:3], 0 offset:204
	s_waitcnt vmcnt(0)
	ds_write_b64 v1, v[2:3]
	buffer_store_dword v4, off, s[0:3], 0 offset:200
	buffer_store_dword v4, off, s[0:3], 0 offset:204
.LBB101_191:
	s_or_b64 exec, exec, s[4:5]
	s_waitcnt lgkmcnt(0)
	; wave barrier
	s_waitcnt lgkmcnt(0)
	ds_read_b128 v[6:9], v4 offset:512
	ds_read_b128 v[10:13], v4 offset:528
	;; [unrolled: 1-line block ×4, first 2 shown]
	buffer_load_dword v2, off, s[0:3], 0 offset:200
	buffer_load_dword v3, off, s[0:3], 0 offset:204
	;; [unrolled: 1-line block ×26, first 2 shown]
	v_cmp_lt_u32_e32 vcc, 24, v0
	s_waitcnt vmcnt(22) lgkmcnt(3)
	v_mul_f32_e32 v105, v6, v104
	v_fmac_f32_e32 v105, v7, v5
	v_mul_f32_e32 v7, v7, v104
	s_waitcnt vmcnt(20)
	v_mul_f32_e32 v107, v8, v108
	v_fma_f32 v5, v6, v5, -v7
	v_mul_f32_e32 v6, v9, v108
	v_add_f32_e32 v105, 0, v105
	v_fmac_f32_e32 v107, v9, v106
	v_add_f32_e32 v5, 0, v5
	v_fma_f32 v6, v8, v106, -v6
	v_add_f32_e32 v105, v105, v107
	s_waitcnt vmcnt(18) lgkmcnt(2)
	v_mul_f32_e32 v107, v10, v121
	v_add_f32_e32 v104, v5, v6
	v_mul_f32_e32 v5, v11, v121
	v_fmac_f32_e32 v107, v11, v120
	s_waitcnt vmcnt(16)
	v_mul_f32_e32 v109, v12, v123
	v_fma_f32 v106, v10, v120, -v5
	v_mul_f32_e32 v5, v13, v123
	v_fmac_f32_e32 v109, v13, v122
	v_fma_f32 v108, v12, v122, -v5
	ds_read_b128 v[6:9], v4 offset:576
	ds_read_b128 v[10:13], v4 offset:592
	v_pk_add_f32 v[4:5], v[104:105], v[106:107]
	s_waitcnt vmcnt(14)
	v_mov_b32_e32 v104, v99
	s_waitcnt lgkmcnt(3)
	v_pk_mul_f32 v[104:105], v[14:15], v[104:105] op_sel_hi:[1,0]
	v_pk_fma_f32 v[106:107], v[14:15], v[98:99], v[104:105] op_sel:[0,0,1] op_sel_hi:[1,1,0] neg_lo:[0,0,1] neg_hi:[0,0,1]
	v_pk_fma_f32 v[14:15], v[14:15], v[98:99], v[104:105] op_sel:[0,0,1] op_sel_hi:[1,0,0]
	s_waitcnt vmcnt(12)
	v_mov_b32_e32 v14, v101
	v_mov_b32_e32 v107, v15
	v_pk_mul_f32 v[14:15], v[16:17], v[14:15] op_sel_hi:[1,0]
	v_pk_fma_f32 v[98:99], v[16:17], v[100:101], v[14:15] op_sel:[0,0,1] op_sel_hi:[1,1,0] neg_lo:[0,0,1] neg_hi:[0,0,1]
	v_pk_fma_f32 v[14:15], v[16:17], v[100:101], v[14:15] op_sel:[0,0,1] op_sel_hi:[1,0,0]
	s_waitcnt vmcnt(10)
	v_mov_b32_e32 v14, v103
	v_mov_b32_e32 v99, v15
	s_waitcnt lgkmcnt(2)
	v_pk_mul_f32 v[14:15], v[94:95], v[14:15] op_sel_hi:[1,0]
	v_pk_add_f32 v[4:5], v[4:5], v[108:109]
	v_pk_fma_f32 v[16:17], v[94:95], v[102:103], v[14:15] op_sel:[0,0,1] op_sel_hi:[1,1,0] neg_lo:[0,0,1] neg_hi:[0,0,1]
	v_pk_fma_f32 v[14:15], v[94:95], v[102:103], v[14:15] op_sel:[0,0,1] op_sel_hi:[1,0,0]
	v_pk_add_f32 v[4:5], v[4:5], v[106:107]
	s_waitcnt vmcnt(9)
	v_mov_b32_e32 v14, v111
	v_pk_add_f32 v[4:5], v[4:5], v[98:99]
	v_mov_b32_e32 v17, v15
	v_pk_mul_f32 v[14:15], v[96:97], v[14:15] op_sel_hi:[1,0]
	v_pk_add_f32 v[4:5], v[4:5], v[16:17]
	s_waitcnt vmcnt(8)
	v_pk_fma_f32 v[16:17], v[96:97], v[110:111], v[14:15] op_sel:[0,0,1] op_sel_hi:[1,1,0] neg_lo:[0,0,1] neg_hi:[0,0,1]
	v_pk_fma_f32 v[14:15], v[96:97], v[110:111], v[14:15] op_sel:[0,0,1] op_sel_hi:[1,0,0]
	s_waitcnt vmcnt(7)
	v_mov_b32_e32 v14, v113
	v_mov_b32_e32 v17, v15
	s_waitcnt lgkmcnt(1)
	v_pk_mul_f32 v[14:15], v[6:7], v[14:15] op_sel_hi:[1,0]
	v_pk_add_f32 v[4:5], v[4:5], v[16:17]
	s_waitcnt vmcnt(6)
	v_pk_fma_f32 v[16:17], v[6:7], v[112:113], v[14:15] op_sel:[0,0,1] op_sel_hi:[1,1,0] neg_lo:[0,0,1] neg_hi:[0,0,1]
	v_pk_fma_f32 v[6:7], v[6:7], v[112:113], v[14:15] op_sel:[0,0,1] op_sel_hi:[1,0,0]
	s_waitcnt vmcnt(5)
	v_mov_b32_e32 v6, v115
	v_mov_b32_e32 v17, v7
	v_pk_mul_f32 v[6:7], v[8:9], v[6:7] op_sel_hi:[1,0]
	s_waitcnt vmcnt(4)
	v_pk_fma_f32 v[14:15], v[8:9], v[114:115], v[6:7] op_sel:[0,0,1] op_sel_hi:[1,1,0] neg_lo:[0,0,1] neg_hi:[0,0,1]
	v_pk_fma_f32 v[6:7], v[8:9], v[114:115], v[6:7] op_sel:[0,0,1] op_sel_hi:[1,0,0]
	s_waitcnt vmcnt(3)
	v_mov_b32_e32 v6, v117
	v_mov_b32_e32 v15, v7
	s_waitcnt lgkmcnt(0)
	v_pk_mul_f32 v[6:7], v[10:11], v[6:7] op_sel_hi:[1,0]
	s_waitcnt vmcnt(2)
	v_pk_fma_f32 v[8:9], v[10:11], v[116:117], v[6:7] op_sel:[0,0,1] op_sel_hi:[1,1,0] neg_lo:[0,0,1] neg_hi:[0,0,1]
	v_pk_fma_f32 v[6:7], v[10:11], v[116:117], v[6:7] op_sel:[0,0,1] op_sel_hi:[1,0,0]
	v_pk_add_f32 v[4:5], v[4:5], v[16:17]
	s_waitcnt vmcnt(1)
	v_mov_b32_e32 v6, v119
	v_pk_add_f32 v[4:5], v[4:5], v[14:15]
	v_mov_b32_e32 v9, v7
	v_pk_mul_f32 v[6:7], v[12:13], v[6:7] op_sel_hi:[1,0]
	v_pk_add_f32 v[4:5], v[4:5], v[8:9]
	s_waitcnt vmcnt(0)
	v_pk_fma_f32 v[8:9], v[12:13], v[118:119], v[6:7] op_sel:[0,0,1] op_sel_hi:[1,1,0] neg_lo:[0,0,1] neg_hi:[0,0,1]
	v_pk_fma_f32 v[6:7], v[12:13], v[118:119], v[6:7] op_sel:[0,0,1] op_sel_hi:[1,0,0]
	v_mov_b32_e32 v9, v7
	v_pk_add_f32 v[4:5], v[4:5], v[8:9]
	v_pk_add_f32 v[2:3], v[2:3], v[4:5] neg_lo:[0,1] neg_hi:[0,1]
	buffer_store_dword v3, off, s[0:3], 0 offset:204
	buffer_store_dword v2, off, s[0:3], 0 offset:200
	s_and_saveexec_b64 s[4:5], vcc
	s_cbranch_execz .LBB101_193
; %bb.192:
	buffer_load_dword v2, off, s[0:3], 0 offset:192
	buffer_load_dword v3, off, s[0:3], 0 offset:196
	v_mov_b32_e32 v4, 0
	buffer_store_dword v4, off, s[0:3], 0 offset:192
	buffer_store_dword v4, off, s[0:3], 0 offset:196
	s_waitcnt vmcnt(2)
	ds_write_b64 v1, v[2:3]
.LBB101_193:
	s_or_b64 exec, exec, s[4:5]
	v_mov_b32_e32 v4, 0
	s_waitcnt lgkmcnt(0)
	; wave barrier
	s_waitcnt lgkmcnt(0)
	ds_read2_b64 v[6:9], v4 offset0:63 offset1:64
	buffer_load_dword v2, off, s[0:3], 0 offset:192
	buffer_load_dword v3, off, s[0:3], 0 offset:196
	;; [unrolled: 1-line block ×16, first 2 shown]
	v_cmp_lt_u32_e32 vcc, 23, v0
	s_waitcnt vmcnt(12) lgkmcnt(0)
	v_mul_f32_e32 v10, v6, v94
	v_fmac_f32_e32 v10, v7, v5
	s_waitcnt vmcnt(10)
	v_mul_f32_e32 v11, v8, v96
	v_add_f32_e32 v10, 0, v10
	v_fmac_f32_e32 v11, v9, v95
	v_add_f32_e32 v14, v10, v11
	ds_read2_b64 v[10:13], v4 offset0:65 offset1:66
	v_mul_f32_e32 v7, v7, v94
	v_fma_f32 v5, v6, v5, -v7
	v_mul_f32_e32 v6, v9, v96
	v_add_f32_e32 v5, 0, v5
	s_waitcnt vmcnt(8) lgkmcnt(0)
	v_mul_f32_e32 v15, v10, v102
	v_fmac_f32_e32 v15, v11, v97
	v_add_f32_e32 v103, v14, v15
	ds_read2_b64 v[14:17], v4 offset0:67 offset1:68
	buffer_load_dword v109, off, s[0:3], 0 offset:260
	buffer_load_dword v108, off, s[0:3], 0 offset:256
	;; [unrolled: 1-line block ×12, first 2 shown]
	v_fma_f32 v6, v8, v95, -v6
	v_add_f32_e32 v5, v5, v6
	v_mul_f32_e32 v6, v11, v102
	v_fma_f32 v6, v10, v97, -v6
	s_waitcnt vmcnt(18)
	v_mul_f32_e32 v105, v12, v106
	v_add_f32_e32 v102, v5, v6
	v_mul_f32_e32 v5, v13, v106
	v_fmac_f32_e32 v105, v13, v104
	v_fma_f32 v104, v12, v104, -v5
	s_waitcnt vmcnt(16) lgkmcnt(0)
	v_mul_f32_e32 v107, v14, v121
	v_mul_f32_e32 v5, v15, v121
	v_pk_add_f32 v[102:103], v[102:103], v[104:105]
	s_waitcnt vmcnt(14)
	v_mov_b32_e32 v104, v99
	v_fmac_f32_e32 v107, v15, v120
	v_fma_f32 v106, v14, v120, -v5
	ds_read2_b64 v[6:9], v4 offset0:69 offset1:70
	ds_read2_b64 v[10:13], v4 offset0:71 offset1:72
	;; [unrolled: 1-line block ×3, first 2 shown]
	ds_read_b64 v[14:15], v4 offset:600
	v_pk_mul_f32 v[104:105], v[16:17], v[104:105] op_sel_hi:[1,0]
	v_pk_add_f32 v[102:103], v[102:103], v[106:107]
	v_pk_fma_f32 v[106:107], v[16:17], v[98:99], v[104:105] op_sel:[0,0,1] op_sel_hi:[1,1,0] neg_lo:[0,0,1] neg_hi:[0,0,1]
	v_pk_fma_f32 v[16:17], v[16:17], v[98:99], v[104:105] op_sel:[0,0,1] op_sel_hi:[1,0,0]
	s_waitcnt vmcnt(12)
	v_mov_b32_e32 v98, v101
	v_mov_b32_e32 v107, v17
	s_waitcnt lgkmcnt(3)
	v_pk_mul_f32 v[98:99], v[6:7], v[98:99] op_sel_hi:[1,0]
	v_pk_add_f32 v[16:17], v[102:103], v[106:107]
	v_pk_fma_f32 v[102:103], v[6:7], v[100:101], v[98:99] op_sel:[0,0,1] op_sel_hi:[1,1,0] neg_lo:[0,0,1] neg_hi:[0,0,1]
	v_pk_fma_f32 v[6:7], v[6:7], v[100:101], v[98:99] op_sel:[0,0,1] op_sel_hi:[1,0,0]
	v_mov_b32_e32 v103, v7
	v_pk_add_f32 v[6:7], v[16:17], v[102:103]
	s_waitcnt vmcnt(11)
	v_mov_b32_e32 v16, v109
	v_pk_mul_f32 v[16:17], v[8:9], v[16:17] op_sel_hi:[1,0]
	s_waitcnt vmcnt(10)
	v_pk_fma_f32 v[98:99], v[8:9], v[108:109], v[16:17] op_sel:[0,0,1] op_sel_hi:[1,1,0] neg_lo:[0,0,1] neg_hi:[0,0,1]
	v_pk_fma_f32 v[8:9], v[8:9], v[108:109], v[16:17] op_sel:[0,0,1] op_sel_hi:[1,0,0]
	s_waitcnt vmcnt(9)
	v_mov_b32_e32 v8, v111
	v_mov_b32_e32 v99, v9
	s_waitcnt lgkmcnt(2)
	v_pk_mul_f32 v[8:9], v[10:11], v[8:9] op_sel_hi:[1,0]
	s_waitcnt vmcnt(8)
	v_pk_fma_f32 v[16:17], v[10:11], v[110:111], v[8:9] op_sel:[0,0,1] op_sel_hi:[1,1,0] neg_lo:[0,0,1] neg_hi:[0,0,1]
	v_pk_fma_f32 v[8:9], v[10:11], v[110:111], v[8:9] op_sel:[0,0,1] op_sel_hi:[1,0,0]
	s_waitcnt vmcnt(7)
	v_mov_b32_e32 v8, v113
	v_mov_b32_e32 v17, v9
	v_pk_mul_f32 v[8:9], v[12:13], v[8:9] op_sel_hi:[1,0]
	s_waitcnt vmcnt(6)
	v_pk_fma_f32 v[10:11], v[12:13], v[112:113], v[8:9] op_sel:[0,0,1] op_sel_hi:[1,1,0] neg_lo:[0,0,1] neg_hi:[0,0,1]
	v_pk_fma_f32 v[8:9], v[12:13], v[112:113], v[8:9] op_sel:[0,0,1] op_sel_hi:[1,0,0]
	v_pk_add_f32 v[6:7], v[6:7], v[98:99]
	s_waitcnt vmcnt(5)
	v_mov_b32_e32 v8, v115
	v_pk_add_f32 v[6:7], v[6:7], v[16:17]
	v_mov_b32_e32 v11, v9
	s_waitcnt lgkmcnt(1)
	v_pk_mul_f32 v[8:9], v[94:95], v[8:9] op_sel_hi:[1,0]
	v_pk_add_f32 v[6:7], v[6:7], v[10:11]
	s_waitcnt vmcnt(4)
	v_pk_fma_f32 v[10:11], v[94:95], v[114:115], v[8:9] op_sel:[0,0,1] op_sel_hi:[1,1,0] neg_lo:[0,0,1] neg_hi:[0,0,1]
	v_pk_fma_f32 v[8:9], v[94:95], v[114:115], v[8:9] op_sel:[0,0,1] op_sel_hi:[1,0,0]
	s_waitcnt vmcnt(3)
	v_mov_b32_e32 v8, v117
	v_mov_b32_e32 v11, v9
	v_pk_mul_f32 v[8:9], v[96:97], v[8:9] op_sel_hi:[1,0]
	v_pk_add_f32 v[6:7], v[6:7], v[10:11]
	s_waitcnt vmcnt(2)
	v_pk_fma_f32 v[10:11], v[96:97], v[116:117], v[8:9] op_sel:[0,0,1] op_sel_hi:[1,1,0] neg_lo:[0,0,1] neg_hi:[0,0,1]
	v_pk_fma_f32 v[8:9], v[96:97], v[116:117], v[8:9] op_sel:[0,0,1] op_sel_hi:[1,0,0]
	s_waitcnt vmcnt(1)
	v_mov_b32_e32 v8, v119
	v_mov_b32_e32 v11, v9
	s_waitcnt lgkmcnt(0)
	v_pk_mul_f32 v[8:9], v[14:15], v[8:9] op_sel_hi:[1,0]
	v_pk_add_f32 v[6:7], v[6:7], v[10:11]
	s_waitcnt vmcnt(0)
	v_pk_fma_f32 v[10:11], v[14:15], v[118:119], v[8:9] op_sel:[0,0,1] op_sel_hi:[1,1,0] neg_lo:[0,0,1] neg_hi:[0,0,1]
	v_pk_fma_f32 v[8:9], v[14:15], v[118:119], v[8:9] op_sel:[0,0,1] op_sel_hi:[1,0,0]
	v_mov_b32_e32 v11, v9
	v_pk_add_f32 v[6:7], v[6:7], v[10:11]
	v_pk_add_f32 v[2:3], v[2:3], v[6:7] neg_lo:[0,1] neg_hi:[0,1]
	buffer_store_dword v3, off, s[0:3], 0 offset:196
	buffer_store_dword v2, off, s[0:3], 0 offset:192
	s_and_saveexec_b64 s[4:5], vcc
	s_cbranch_execz .LBB101_195
; %bb.194:
	buffer_load_dword v2, off, s[0:3], 0 offset:184
	buffer_load_dword v3, off, s[0:3], 0 offset:188
	s_waitcnt vmcnt(0)
	ds_write_b64 v1, v[2:3]
	buffer_store_dword v4, off, s[0:3], 0 offset:184
	buffer_store_dword v4, off, s[0:3], 0 offset:188
.LBB101_195:
	s_or_b64 exec, exec, s[4:5]
	s_waitcnt lgkmcnt(0)
	; wave barrier
	s_waitcnt lgkmcnt(0)
	buffer_load_dword v124, off, s[0:3], 0 offset:196
	buffer_load_dword v126, off, s[0:3], 0 offset:204
	;; [unrolled: 1-line block ×30, first 2 shown]
	ds_read_b128 v[6:9], v4 offset:496
	ds_read_b128 v[10:13], v4 offset:512
	;; [unrolled: 1-line block ×7, first 2 shown]
	v_cmp_lt_u32_e32 vcc, 22, v0
	s_waitcnt vmcnt(29) lgkmcnt(6)
	v_mul_f32_e32 v139, v6, v124
	s_waitcnt vmcnt(28)
	v_mul_f32_e32 v140, v8, v126
	s_waitcnt vmcnt(27) lgkmcnt(5)
	v_mul_f32_e32 v141, v10, v128
	s_waitcnt vmcnt(26)
	v_mul_f32_e32 v142, v12, v129
	v_mul_f32_e32 v129, v13, v129
	s_waitcnt vmcnt(25) lgkmcnt(4)
	v_mul_f32_e32 v125, v14, v130
	s_waitcnt vmcnt(24)
	v_mul_f32_e32 v127, v16, v131
	v_mul_f32_e32 v124, v7, v124
	;; [unrolled: 1-line block ×6, first 2 shown]
	s_waitcnt vmcnt(23)
	v_mov_b32_e32 v128, v107
	s_waitcnt vmcnt(22)
	v_mov_b32_e32 v130, v109
	s_waitcnt vmcnt(17)
	v_fma_f32 v129, v12, v136, -v129
	v_fmac_f32_e32 v139, v7, v133
	v_fmac_f32_e32 v140, v9, v134
	;; [unrolled: 1-line block ×3, first 2 shown]
	v_fma_f32 v13, v6, v133, -v124
	v_fma_f32 v133, v8, v134, -v126
	s_waitcnt lgkmcnt(3)
	v_pk_mul_f32 v[6:7], v[94:95], v[128:129] op_sel_hi:[1,0]
	v_pk_mul_f32 v[8:9], v[96:97], v[130:131] op_sel_hi:[1,0]
	s_waitcnt vmcnt(16)
	v_fmac_f32_e32 v125, v15, v137
	v_fma_f32 v124, v14, v137, -v144
	v_add_f32_e32 v128, 0, v139
	v_add_f32_e32 v130, 0, v13
	s_waitcnt vmcnt(14)
	v_pk_fma_f32 v[12:13], v[94:95], v[106:107], v[6:7] op_sel:[0,0,1] op_sel_hi:[1,1,0] neg_lo:[0,0,1] neg_hi:[0,0,1]
	v_pk_fma_f32 v[6:7], v[94:95], v[106:107], v[6:7] op_sel:[0,0,1] op_sel_hi:[1,0,0]
	s_waitcnt vmcnt(10)
	v_pk_fma_f32 v[14:15], v[96:97], v[108:109], v[8:9] op_sel:[0,0,1] op_sel_hi:[1,1,0] neg_lo:[0,0,1] neg_hi:[0,0,1]
	v_pk_fma_f32 v[8:9], v[96:97], v[108:109], v[8:9] op_sel:[0,0,1] op_sel_hi:[1,0,0]
	v_fmac_f32_e32 v141, v11, v135
	v_fma_f32 v134, v10, v135, -v143
	v_add_f32_e32 v6, v128, v140
	v_add_f32_e32 v8, v130, v133
	;; [unrolled: 1-line block ×4, first 2 shown]
	v_mov_b32_e32 v132, v111
	v_mov_b32_e32 v13, v7
	v_add_f32_e32 v7, v6, v142
	v_add_f32_e32 v6, v8, v129
	v_fmac_f32_e32 v127, v17, v138
	v_fma_f32 v126, v16, v138, -v131
	s_waitcnt lgkmcnt(2)
	v_pk_mul_f32 v[10:11], v[98:99], v[132:133] op_sel_hi:[1,0]
	v_pk_add_f32 v[6:7], v[6:7], v[124:125]
	s_waitcnt vmcnt(9)
	v_mov_b32_e32 v8, v115
	v_pk_fma_f32 v[16:17], v[98:99], v[110:111], v[10:11] op_sel:[0,0,1] op_sel_hi:[1,1,0] neg_lo:[0,0,1] neg_hi:[0,0,1]
	v_pk_fma_f32 v[10:11], v[98:99], v[110:111], v[10:11] op_sel:[0,0,1] op_sel_hi:[1,0,0]
	v_mov_b32_e32 v15, v9
	v_pk_add_f32 v[6:7], v[6:7], v[126:127]
	v_pk_mul_f32 v[8:9], v[100:101], v[8:9] op_sel_hi:[1,0]
	v_mov_b32_e32 v17, v11
	v_pk_add_f32 v[6:7], v[6:7], v[12:13]
	v_pk_fma_f32 v[10:11], v[100:101], v[114:115], v[8:9] op_sel:[0,0,1] op_sel_hi:[1,1,0] neg_lo:[0,0,1] neg_hi:[0,0,1]
	v_pk_fma_f32 v[8:9], v[100:101], v[114:115], v[8:9] op_sel:[0,0,1] op_sel_hi:[1,0,0]
	v_pk_add_f32 v[6:7], v[6:7], v[14:15]
	s_waitcnt vmcnt(8)
	v_mov_b32_e32 v8, v113
	v_pk_add_f32 v[6:7], v[6:7], v[16:17]
	v_mov_b32_e32 v11, v9
	s_waitcnt lgkmcnt(1)
	v_pk_mul_f32 v[8:9], v[102:103], v[8:9] op_sel_hi:[1,0]
	v_pk_add_f32 v[6:7], v[6:7], v[10:11]
	v_pk_fma_f32 v[10:11], v[102:103], v[112:113], v[8:9] op_sel:[0,0,1] op_sel_hi:[1,1,0] neg_lo:[0,0,1] neg_hi:[0,0,1]
	v_pk_fma_f32 v[8:9], v[102:103], v[112:113], v[8:9] op_sel:[0,0,1] op_sel_hi:[1,0,0]
	s_waitcnt vmcnt(7)
	v_mov_b32_e32 v8, v117
	v_mov_b32_e32 v11, v9
	v_pk_mul_f32 v[8:9], v[104:105], v[8:9] op_sel_hi:[1,0]
	v_pk_add_f32 v[6:7], v[6:7], v[10:11]
	s_waitcnt vmcnt(4)
	v_pk_fma_f32 v[10:11], v[104:105], v[116:117], v[8:9] op_sel:[0,0,1] op_sel_hi:[1,1,0] neg_lo:[0,0,1] neg_hi:[0,0,1]
	v_pk_fma_f32 v[8:9], v[104:105], v[116:117], v[8:9] op_sel:[0,0,1] op_sel_hi:[1,0,0]
	s_waitcnt vmcnt(3)
	v_mov_b32_e32 v8, v121
	v_mov_b32_e32 v11, v9
	s_waitcnt lgkmcnt(0)
	v_pk_mul_f32 v[8:9], v[2:3], v[8:9] op_sel_hi:[1,0]
	v_pk_add_f32 v[6:7], v[6:7], v[10:11]
	v_pk_fma_f32 v[10:11], v[2:3], v[120:121], v[8:9] op_sel:[0,0,1] op_sel_hi:[1,1,0] neg_lo:[0,0,1] neg_hi:[0,0,1]
	v_pk_fma_f32 v[2:3], v[2:3], v[120:121], v[8:9] op_sel:[0,0,1] op_sel_hi:[1,0,0]
	v_mov_b32_e32 v11, v3
	v_pk_add_f32 v[2:3], v[6:7], v[10:11]
	s_waitcnt vmcnt(0)
	v_mov_b32_e32 v6, v119
	v_pk_mul_f32 v[6:7], v[4:5], v[6:7] op_sel_hi:[1,0]
	v_pk_fma_f32 v[8:9], v[4:5], v[118:119], v[6:7] op_sel:[0,0,1] op_sel_hi:[1,1,0] neg_lo:[0,0,1] neg_hi:[0,0,1]
	v_pk_fma_f32 v[4:5], v[4:5], v[118:119], v[6:7] op_sel:[0,0,1] op_sel_hi:[1,0,0]
	v_mov_b32_e32 v9, v5
	v_pk_add_f32 v[2:3], v[2:3], v[8:9]
	v_pk_add_f32 v[2:3], v[122:123], v[2:3] neg_lo:[0,1] neg_hi:[0,1]
	buffer_store_dword v3, off, s[0:3], 0 offset:188
	buffer_store_dword v2, off, s[0:3], 0 offset:184
	s_and_saveexec_b64 s[4:5], vcc
	s_cbranch_execz .LBB101_197
; %bb.196:
	buffer_load_dword v2, off, s[0:3], 0 offset:176
	buffer_load_dword v3, off, s[0:3], 0 offset:180
	v_mov_b32_e32 v4, 0
	buffer_store_dword v4, off, s[0:3], 0 offset:176
	buffer_store_dword v4, off, s[0:3], 0 offset:180
	s_waitcnt vmcnt(2)
	ds_write_b64 v1, v[2:3]
.LBB101_197:
	s_or_b64 exec, exec, s[4:5]
	s_waitcnt lgkmcnt(0)
	; wave barrier
	s_waitcnt lgkmcnt(0)
	buffer_load_dword v3, off, s[0:3], 0 offset:188
	buffer_load_dword v128, off, s[0:3], 0 offset:196
	buffer_load_dword v130, off, s[0:3], 0 offset:204
	buffer_load_dword v132, off, s[0:3], 0 offset:212
	buffer_load_dword v133, off, s[0:3], 0 offset:220
	buffer_load_dword v134, off, s[0:3], 0 offset:228
	buffer_load_dword v135, off, s[0:3], 0 offset:236
	buffer_load_dword v17, off, s[0:3], 0 offset:244
	buffer_load_dword v111, off, s[0:3], 0 offset:252
	buffer_load_dword v136, off, s[0:3], 0 offset:184
	buffer_load_dword v137, off, s[0:3], 0 offset:192
	buffer_load_dword v138, off, s[0:3], 0 offset:200
	buffer_load_dword v139, off, s[0:3], 0 offset:208
	buffer_load_dword v140, off, s[0:3], 0 offset:216
	buffer_load_dword v141, off, s[0:3], 0 offset:224
	buffer_load_dword v142, off, s[0:3], 0 offset:232
	buffer_load_dword v112, off, s[0:3], 0 offset:264
	buffer_load_dword v114, off, s[0:3], 0 offset:256
	buffer_load_dword v110, off, s[0:3], 0 offset:248
	buffer_load_dword v16, off, s[0:3], 0 offset:240
	buffer_load_dword v115, off, s[0:3], 0 offset:260
	buffer_load_dword v113, off, s[0:3], 0 offset:268
	buffer_load_dword v117, off, s[0:3], 0 offset:276
	buffer_load_dword v118, off, s[0:3], 0 offset:296
	buffer_load_dword v120, off, s[0:3], 0 offset:288
	buffer_load_dword v123, off, s[0:3], 0 offset:284
	buffer_load_dword v122, off, s[0:3], 0 offset:280
	buffer_load_dword v116, off, s[0:3], 0 offset:272
	buffer_load_dword v121, off, s[0:3], 0 offset:292
	buffer_load_dword v124, off, s[0:3], 0 offset:176
	buffer_load_dword v125, off, s[0:3], 0 offset:180
	buffer_load_dword v119, off, s[0:3], 0 offset:300
	v_mov_b32_e32 v2, 0
	ds_read2_b64 v[4:7], v2 offset0:61 offset1:62
	ds_read2_b64 v[8:11], v2 offset0:63 offset1:64
	;; [unrolled: 1-line block ×7, first 2 shown]
	ds_read_b64 v[126:127], v2 offset:600
	v_cmp_lt_u32_e32 vcc, 21, v0
	s_waitcnt vmcnt(31) lgkmcnt(7)
	v_mul_f32_e32 v143, v4, v3
	v_mul_f32_e32 v3, v5, v3
	s_waitcnt vmcnt(30)
	v_mul_f32_e32 v144, v6, v128
	s_waitcnt vmcnt(28) lgkmcnt(6)
	v_mul_f32_e32 v146, v10, v132
	s_waitcnt vmcnt(27) lgkmcnt(5)
	v_mul_f32_e32 v147, v12, v133
	v_mul_f32_e32 v148, v11, v132
	;; [unrolled: 1-line block ×3, first 2 shown]
	s_waitcnt vmcnt(24)
	v_mov_b32_e32 v132, v17
	v_mul_f32_e32 v145, v8, v130
	v_mul_f32_e32 v128, v7, v128
	s_waitcnt vmcnt(22)
	v_fmac_f32_e32 v143, v5, v136
	v_fma_f32 v3, v4, v136, -v3
	s_waitcnt lgkmcnt(4)
	v_pk_mul_f32 v[4:5], v[96:97], v[132:133] op_sel_hi:[1,0]
	v_mul_f32_e32 v130, v9, v130
	s_waitcnt vmcnt(21)
	v_fmac_f32_e32 v144, v7, v137
	s_waitcnt vmcnt(20)
	v_fmac_f32_e32 v145, v9, v138
	;; [unrolled: 2-line block ×3, first 2 shown]
	v_fma_f32 v9, v6, v137, -v128
	s_waitcnt vmcnt(18)
	v_fma_f32 v11, v12, v140, -v133
	v_add_f32_e32 v12, 0, v143
	v_add_f32_e32 v3, 0, v3
	s_waitcnt vmcnt(12)
	v_pk_fma_f32 v[6:7], v[96:97], v[16:17], v[4:5] op_sel:[0,0,1] op_sel_hi:[1,1,0] neg_lo:[0,0,1] neg_hi:[0,0,1]
	v_pk_fma_f32 v[4:5], v[96:97], v[16:17], v[4:5] op_sel:[0,0,1] op_sel_hi:[1,0,0]
	v_fma_f32 v8, v8, v138, -v130
	v_add_f32_e32 v4, v12, v144
	v_add_f32_e32 v3, v3, v9
	v_fma_f32 v10, v10, v139, -v148
	v_add_f32_e32 v4, v4, v145
	v_add_f32_e32 v3, v3, v8
	v_mul_f32_e32 v129, v14, v134
	v_mul_f32_e32 v149, v15, v134
	v_fmac_f32_e32 v147, v13, v140
	v_add_f32_e32 v4, v4, v146
	v_add_f32_e32 v3, v3, v10
	v_mul_f32_e32 v131, v94, v135
	v_mul_f32_e32 v135, v95, v135
	v_fmac_f32_e32 v129, v15, v141
	v_fma_f32 v128, v14, v141, -v149
	v_mov_b32_e32 v7, v5
	v_add_f32_e32 v5, v4, v147
	v_add_f32_e32 v4, v3, v11
	v_fmac_f32_e32 v131, v95, v142
	v_fma_f32 v130, v94, v142, -v135
	v_pk_add_f32 v[4:5], v[4:5], v[128:129]
	v_mov_b32_e32 v134, v111
	v_pk_add_f32 v[4:5], v[4:5], v[130:131]
	v_pk_add_f32 v[4:5], v[4:5], v[6:7]
	s_waitcnt lgkmcnt(3)
	v_pk_mul_f32 v[6:7], v[98:99], v[134:135] op_sel_hi:[1,0]
	v_pk_fma_f32 v[8:9], v[98:99], v[110:111], v[6:7] op_sel:[0,0,1] op_sel_hi:[1,1,0] neg_lo:[0,0,1] neg_hi:[0,0,1]
	v_pk_fma_f32 v[6:7], v[98:99], v[110:111], v[6:7] op_sel:[0,0,1] op_sel_hi:[1,0,0]
	s_waitcnt vmcnt(11)
	v_mov_b32_e32 v6, v115
	v_mov_b32_e32 v9, v7
	v_pk_mul_f32 v[6:7], v[100:101], v[6:7] op_sel_hi:[1,0]
	v_pk_add_f32 v[4:5], v[4:5], v[8:9]
	v_pk_fma_f32 v[8:9], v[100:101], v[114:115], v[6:7] op_sel:[0,0,1] op_sel_hi:[1,1,0] neg_lo:[0,0,1] neg_hi:[0,0,1]
	v_pk_fma_f32 v[6:7], v[100:101], v[114:115], v[6:7] op_sel:[0,0,1] op_sel_hi:[1,0,0]
	s_waitcnt vmcnt(10)
	v_mov_b32_e32 v6, v113
	v_mov_b32_e32 v9, v7
	s_waitcnt lgkmcnt(2)
	v_pk_mul_f32 v[6:7], v[102:103], v[6:7] op_sel_hi:[1,0]
	v_pk_add_f32 v[4:5], v[4:5], v[8:9]
	v_pk_fma_f32 v[8:9], v[102:103], v[112:113], v[6:7] op_sel:[0,0,1] op_sel_hi:[1,1,0] neg_lo:[0,0,1] neg_hi:[0,0,1]
	v_pk_fma_f32 v[6:7], v[102:103], v[112:113], v[6:7] op_sel:[0,0,1] op_sel_hi:[1,0,0]
	s_waitcnt vmcnt(9)
	v_mov_b32_e32 v6, v117
	v_mov_b32_e32 v9, v7
	v_pk_mul_f32 v[6:7], v[104:105], v[6:7] op_sel_hi:[1,0]
	v_pk_add_f32 v[4:5], v[4:5], v[8:9]
	s_waitcnt vmcnt(4)
	v_pk_fma_f32 v[8:9], v[104:105], v[116:117], v[6:7] op_sel:[0,0,1] op_sel_hi:[1,1,0] neg_lo:[0,0,1] neg_hi:[0,0,1]
	v_pk_fma_f32 v[6:7], v[104:105], v[116:117], v[6:7] op_sel:[0,0,1] op_sel_hi:[1,0,0]
	v_mov_b32_e32 v6, v123
	v_mov_b32_e32 v9, v7
	s_waitcnt lgkmcnt(1)
	v_pk_mul_f32 v[6:7], v[106:107], v[6:7] op_sel_hi:[1,0]
	v_pk_add_f32 v[4:5], v[4:5], v[8:9]
	v_pk_fma_f32 v[8:9], v[106:107], v[122:123], v[6:7] op_sel:[0,0,1] op_sel_hi:[1,1,0] neg_lo:[0,0,1] neg_hi:[0,0,1]
	v_pk_fma_f32 v[6:7], v[106:107], v[122:123], v[6:7] op_sel:[0,0,1] op_sel_hi:[1,0,0]
	s_waitcnt vmcnt(3)
	v_mov_b32_e32 v6, v121
	v_mov_b32_e32 v9, v7
	v_pk_mul_f32 v[6:7], v[108:109], v[6:7] op_sel_hi:[1,0]
	v_pk_add_f32 v[4:5], v[4:5], v[8:9]
	v_pk_fma_f32 v[8:9], v[108:109], v[120:121], v[6:7] op_sel:[0,0,1] op_sel_hi:[1,1,0] neg_lo:[0,0,1] neg_hi:[0,0,1]
	v_pk_fma_f32 v[6:7], v[108:109], v[120:121], v[6:7] op_sel:[0,0,1] op_sel_hi:[1,0,0]
	s_waitcnt vmcnt(0)
	v_mov_b32_e32 v6, v119
	v_mov_b32_e32 v9, v7
	s_waitcnt lgkmcnt(0)
	v_pk_mul_f32 v[6:7], v[126:127], v[6:7] op_sel_hi:[1,0]
	v_pk_add_f32 v[4:5], v[4:5], v[8:9]
	v_pk_fma_f32 v[8:9], v[126:127], v[118:119], v[6:7] op_sel:[0,0,1] op_sel_hi:[1,1,0] neg_lo:[0,0,1] neg_hi:[0,0,1]
	v_pk_fma_f32 v[6:7], v[126:127], v[118:119], v[6:7] op_sel:[0,0,1] op_sel_hi:[1,0,0]
	v_mov_b32_e32 v9, v7
	v_pk_add_f32 v[4:5], v[4:5], v[8:9]
	v_pk_add_f32 v[4:5], v[124:125], v[4:5] neg_lo:[0,1] neg_hi:[0,1]
	buffer_store_dword v5, off, s[0:3], 0 offset:180
	buffer_store_dword v4, off, s[0:3], 0 offset:176
	s_and_saveexec_b64 s[4:5], vcc
	s_cbranch_execz .LBB101_199
; %bb.198:
	buffer_load_dword v4, off, s[0:3], 0 offset:168
	buffer_load_dword v5, off, s[0:3], 0 offset:172
	s_waitcnt vmcnt(0)
	ds_write_b64 v1, v[4:5]
	buffer_store_dword v2, off, s[0:3], 0 offset:168
	buffer_store_dword v2, off, s[0:3], 0 offset:172
.LBB101_199:
	s_or_b64 exec, exec, s[4:5]
	s_waitcnt lgkmcnt(0)
	; wave barrier
	s_waitcnt lgkmcnt(0)
	buffer_load_dword v130, off, s[0:3], 0 offset:180
	buffer_load_dword v132, off, s[0:3], 0 offset:188
	;; [unrolled: 1-line block ×32, first 2 shown]
	ds_read_b128 v[4:7], v2 offset:480
	ds_read_b128 v[8:11], v2 offset:496
	;; [unrolled: 1-line block ×4, first 2 shown]
	buffer_load_dword v129, off, s[0:3], 0 offset:300
	buffer_load_dword v128, off, s[0:3], 0 offset:296
	ds_read_b128 v[98:101], v2 offset:544
	ds_read_b128 v[102:105], v2 offset:560
	;; [unrolled: 1-line block ×4, first 2 shown]
	v_cmp_lt_u32_e32 vcc, 20, v0
	s_waitcnt vmcnt(33) lgkmcnt(7)
	v_mul_f32_e32 v147, v4, v130
	v_mul_f32_e32 v2, v5, v130
	s_waitcnt vmcnt(32)
	v_mul_f32_e32 v148, v6, v132
	s_waitcnt vmcnt(31) lgkmcnt(6)
	v_mul_f32_e32 v149, v8, v133
	v_mul_f32_e32 v130, v7, v132
	;; [unrolled: 1-line block ×3, first 2 shown]
	s_waitcnt vmcnt(30)
	v_mul_f32_e32 v133, v11, v134
	v_mul_f32_e32 v150, v10, v134
	s_waitcnt vmcnt(25)
	v_fmac_f32_e32 v147, v5, v139
	v_fma_f32 v4, v4, v139, -v2
	s_waitcnt vmcnt(24)
	v_fmac_f32_e32 v148, v7, v140
	v_fma_f32 v5, v6, v140, -v130
	s_waitcnt vmcnt(22)
	v_fma_f32 v7, v10, v142, -v133
	v_add_f32_e32 v10, 0, v147
	v_add_f32_e32 v4, 0, v4
	v_fmac_f32_e32 v149, v9, v141
	v_fma_f32 v6, v8, v141, -v132
	v_add_f32_e32 v10, v10, v148
	v_add_f32_e32 v4, v4, v5
	s_waitcnt lgkmcnt(5)
	v_mul_f32_e32 v151, v12, v135
	v_mul_f32_e32 v134, v13, v135
	v_fmac_f32_e32 v150, v11, v142
	v_add_f32_e32 v5, v10, v149
	v_add_f32_e32 v4, v4, v6
	v_mul_f32_e32 v152, v14, v136
	v_mul_f32_e32 v135, v15, v136
	s_waitcnt vmcnt(21)
	v_fmac_f32_e32 v151, v13, v143
	v_fma_f32 v8, v12, v143, -v134
	v_add_f32_e32 v5, v5, v150
	v_add_f32_e32 v4, v4, v7
	s_waitcnt lgkmcnt(4)
	v_mul_f32_e32 v3, v94, v137
	v_mul_f32_e32 v136, v95, v137
	s_waitcnt vmcnt(20)
	v_fmac_f32_e32 v152, v15, v144
	v_fma_f32 v9, v14, v144, -v135
	v_add_f32_e32 v5, v5, v151
	v_add_f32_e32 v4, v4, v8
	s_waitcnt vmcnt(19)
	v_fmac_f32_e32 v3, v95, v145
	v_fma_f32 v2, v94, v145, -v136
	v_add_f32_e32 v5, v5, v152
	v_add_f32_e32 v4, v4, v9
	v_pk_add_f32 v[2:3], v[4:5], v[2:3]
	s_waitcnt vmcnt(17)
	v_mov_b32_e32 v4, v17
	s_waitcnt lgkmcnt(3)
	v_pk_mul_f32 v[4:5], v[98:99], v[4:5] op_sel_hi:[1,0]
	v_mul_f32_e32 v131, v96, v138
	v_mul_f32_e32 v137, v97, v138
	s_waitcnt vmcnt(14)
	v_pk_fma_f32 v[6:7], v[98:99], v[16:17], v[4:5] op_sel:[0,0,1] op_sel_hi:[1,1,0] neg_lo:[0,0,1] neg_hi:[0,0,1]
	v_pk_fma_f32 v[4:5], v[98:99], v[16:17], v[4:5] op_sel:[0,0,1] op_sel_hi:[1,0,0]
	v_fmac_f32_e32 v131, v97, v146
	v_fma_f32 v130, v96, v146, -v137
	s_waitcnt vmcnt(13)
	v_mov_b32_e32 v4, v117
	v_pk_add_f32 v[2:3], v[2:3], v[130:131]
	v_mov_b32_e32 v7, v5
	v_pk_mul_f32 v[4:5], v[100:101], v[4:5] op_sel_hi:[1,0]
	v_pk_add_f32 v[2:3], v[2:3], v[6:7]
	v_pk_fma_f32 v[6:7], v[100:101], v[116:117], v[4:5] op_sel:[0,0,1] op_sel_hi:[1,1,0] neg_lo:[0,0,1] neg_hi:[0,0,1]
	v_pk_fma_f32 v[4:5], v[100:101], v[116:117], v[4:5] op_sel:[0,0,1] op_sel_hi:[1,0,0]
	s_waitcnt vmcnt(12)
	v_mov_b32_e32 v4, v115
	v_mov_b32_e32 v7, v5
	s_waitcnt lgkmcnt(2)
	v_pk_mul_f32 v[4:5], v[102:103], v[4:5] op_sel_hi:[1,0]
	v_pk_add_f32 v[2:3], v[2:3], v[6:7]
	v_pk_fma_f32 v[6:7], v[102:103], v[114:115], v[4:5] op_sel:[0,0,1] op_sel_hi:[1,1,0] neg_lo:[0,0,1] neg_hi:[0,0,1]
	v_pk_fma_f32 v[4:5], v[102:103], v[114:115], v[4:5] op_sel:[0,0,1] op_sel_hi:[1,0,0]
	s_waitcnt vmcnt(11)
	v_mov_b32_e32 v4, v119
	v_mov_b32_e32 v7, v5
	v_pk_mul_f32 v[4:5], v[104:105], v[4:5] op_sel_hi:[1,0]
	v_pk_add_f32 v[2:3], v[2:3], v[6:7]
	s_waitcnt vmcnt(5)
	v_pk_fma_f32 v[6:7], v[104:105], v[118:119], v[4:5] op_sel:[0,0,1] op_sel_hi:[1,1,0] neg_lo:[0,0,1] neg_hi:[0,0,1]
	v_pk_fma_f32 v[4:5], v[104:105], v[118:119], v[4:5] op_sel:[0,0,1] op_sel_hi:[1,0,0]
	v_mov_b32_e32 v4, v125
	v_mov_b32_e32 v7, v5
	s_waitcnt lgkmcnt(1)
	v_pk_mul_f32 v[4:5], v[106:107], v[4:5] op_sel_hi:[1,0]
	v_pk_add_f32 v[2:3], v[2:3], v[6:7]
	v_pk_fma_f32 v[6:7], v[106:107], v[124:125], v[4:5] op_sel:[0,0,1] op_sel_hi:[1,1,0] neg_lo:[0,0,1] neg_hi:[0,0,1]
	v_pk_fma_f32 v[4:5], v[106:107], v[124:125], v[4:5] op_sel:[0,0,1] op_sel_hi:[1,0,0]
	v_mov_b32_e32 v4, v123
	v_mov_b32_e32 v7, v5
	v_pk_mul_f32 v[4:5], v[108:109], v[4:5] op_sel_hi:[1,0]
	v_pk_add_f32 v[2:3], v[2:3], v[6:7]
	v_pk_fma_f32 v[6:7], v[108:109], v[122:123], v[4:5] op_sel:[0,0,1] op_sel_hi:[1,1,0] neg_lo:[0,0,1] neg_hi:[0,0,1]
	v_pk_fma_f32 v[4:5], v[108:109], v[122:123], v[4:5] op_sel:[0,0,1] op_sel_hi:[1,0,0]
	s_waitcnt vmcnt(2)
	v_mov_b32_e32 v4, v121
	v_mov_b32_e32 v7, v5
	s_waitcnt lgkmcnt(0)
	v_pk_mul_f32 v[4:5], v[110:111], v[4:5] op_sel_hi:[1,0]
	v_pk_add_f32 v[2:3], v[2:3], v[6:7]
	v_pk_fma_f32 v[6:7], v[110:111], v[120:121], v[4:5] op_sel:[0,0,1] op_sel_hi:[1,1,0] neg_lo:[0,0,1] neg_hi:[0,0,1]
	v_pk_fma_f32 v[4:5], v[110:111], v[120:121], v[4:5] op_sel:[0,0,1] op_sel_hi:[1,0,0]
	s_waitcnt vmcnt(1)
	v_mov_b32_e32 v4, v129
	v_mov_b32_e32 v7, v5
	v_pk_mul_f32 v[4:5], v[112:113], v[4:5] op_sel_hi:[1,0]
	v_pk_add_f32 v[2:3], v[2:3], v[6:7]
	s_waitcnt vmcnt(0)
	v_pk_fma_f32 v[6:7], v[112:113], v[128:129], v[4:5] op_sel:[0,0,1] op_sel_hi:[1,1,0] neg_lo:[0,0,1] neg_hi:[0,0,1]
	v_pk_fma_f32 v[4:5], v[112:113], v[128:129], v[4:5] op_sel:[0,0,1] op_sel_hi:[1,0,0]
	v_mov_b32_e32 v7, v5
	v_pk_add_f32 v[2:3], v[2:3], v[6:7]
	v_pk_add_f32 v[2:3], v[126:127], v[2:3] neg_lo:[0,1] neg_hi:[0,1]
	buffer_store_dword v3, off, s[0:3], 0 offset:172
	buffer_store_dword v2, off, s[0:3], 0 offset:168
	s_and_saveexec_b64 s[4:5], vcc
	s_cbranch_execz .LBB101_201
; %bb.200:
	buffer_load_dword v2, off, s[0:3], 0 offset:160
	buffer_load_dword v3, off, s[0:3], 0 offset:164
	v_mov_b32_e32 v4, 0
	buffer_store_dword v4, off, s[0:3], 0 offset:160
	buffer_store_dword v4, off, s[0:3], 0 offset:164
	s_waitcnt vmcnt(2)
	ds_write_b64 v1, v[2:3]
.LBB101_201:
	s_or_b64 exec, exec, s[4:5]
	s_waitcnt lgkmcnt(0)
	; wave barrier
	s_waitcnt lgkmcnt(0)
	buffer_load_dword v3, off, s[0:3], 0 offset:172
	buffer_load_dword v122, off, s[0:3], 0 offset:180
	;; [unrolled: 1-line block ×36, first 2 shown]
	v_mov_b32_e32 v2, 0
	ds_read2_b64 v[4:7], v2 offset0:59 offset1:60
	ds_read2_b64 v[8:11], v2 offset0:61 offset1:62
	;; [unrolled: 1-line block ×6, first 2 shown]
	v_cmp_lt_u32_e32 vcc, 19, v0
	s_waitcnt vmcnt(35) lgkmcnt(5)
	v_mul_f32_e32 v141, v4, v3
	s_waitcnt vmcnt(34)
	v_mul_f32_e32 v142, v6, v122
	s_waitcnt vmcnt(33) lgkmcnt(4)
	v_mul_f32_e32 v143, v8, v124
	v_mul_f32_e32 v3, v5, v3
	;; [unrolled: 1-line block ×4, first 2 shown]
	s_waitcnt vmcnt(32)
	v_mul_f32_e32 v144, v10, v126
	s_waitcnt vmcnt(31) lgkmcnt(3)
	v_mul_f32_e32 v145, v12, v127
	v_mul_f32_e32 v126, v11, v126
	s_waitcnt vmcnt(26)
	v_fmac_f32_e32 v141, v5, v132
	s_waitcnt vmcnt(25)
	v_fmac_f32_e32 v142, v7, v133
	;; [unrolled: 2-line block ×3, first 2 shown]
	v_fma_f32 v3, v4, v132, -v3
	v_add_f32_e32 v9, 0, v141
	v_fma_f32 v4, v6, v133, -v122
	v_add_f32_e32 v3, 0, v3
	v_add_f32_e32 v9, v9, v142
	s_waitcnt vmcnt(23)
	v_fmac_f32_e32 v144, v11, v135
	v_fma_f32 v5, v8, v134, -v124
	v_add_f32_e32 v3, v3, v4
	v_add_f32_e32 v4, v9, v143
	v_mul_f32_e32 v146, v14, v128
	v_mul_f32_e32 v127, v13, v127
	s_waitcnt vmcnt(22)
	v_fmac_f32_e32 v145, v13, v136
	v_fma_f32 v6, v10, v135, -v126
	v_add_f32_e32 v3, v3, v5
	v_add_f32_e32 v4, v4, v144
	s_waitcnt lgkmcnt(2)
	v_mul_f32_e32 v147, v94, v129
	v_mul_f32_e32 v128, v15, v128
	s_waitcnt vmcnt(21)
	v_fmac_f32_e32 v146, v15, v137
	v_fma_f32 v7, v12, v136, -v127
	v_add_f32_e32 v3, v3, v6
	v_add_f32_e32 v4, v4, v145
	v_mul_f32_e32 v129, v95, v129
	s_waitcnt vmcnt(20)
	v_fmac_f32_e32 v147, v95, v138
	v_fma_f32 v8, v14, v137, -v128
	v_add_f32_e32 v3, v3, v7
	v_add_f32_e32 v4, v4, v146
	;; [unrolled: 1-line block ×4, first 2 shown]
	v_fma_f32 v4, v94, v138, -v129
	s_waitcnt vmcnt(17)
	v_mov_b32_e32 v94, v17
	v_mul_f32_e32 v123, v96, v130
	v_add_f32_e32 v12, v3, v4
	v_mul_f32_e32 v3, v97, v130
	s_waitcnt lgkmcnt(1)
	v_pk_mul_f32 v[94:95], v[100:101], v[94:95] op_sel_hi:[1,0]
	v_fmac_f32_e32 v123, v97, v139
	v_fma_f32 v122, v96, v139, -v3
	s_waitcnt vmcnt(15)
	v_pk_fma_f32 v[96:97], v[100:101], v[16:17], v[94:95] op_sel:[0,0,1] op_sel_hi:[1,1,0] neg_lo:[0,0,1] neg_hi:[0,0,1]
	v_pk_fma_f32 v[16:17], v[100:101], v[16:17], v[94:95] op_sel:[0,0,1] op_sel_hi:[1,0,0]
	s_waitcnt vmcnt(12)
	v_mov_b32_e32 v16, v107
	v_mul_f32_e32 v125, v98, v131
	v_mul_f32_e32 v3, v99, v131
	v_mov_b32_e32 v97, v17
	s_waitcnt lgkmcnt(0)
	v_pk_mul_f32 v[16:17], v[102:103], v[16:17] op_sel_hi:[1,0]
	v_fmac_f32_e32 v125, v99, v140
	v_fma_f32 v124, v98, v140, -v3
	v_pk_add_f32 v[12:13], v[12:13], v[122:123]
	v_pk_fma_f32 v[94:95], v[102:103], v[106:107], v[16:17] op_sel:[0,0,1] op_sel_hi:[1,1,0] neg_lo:[0,0,1] neg_hi:[0,0,1]
	v_pk_fma_f32 v[16:17], v[102:103], v[106:107], v[16:17] op_sel:[0,0,1] op_sel_hi:[1,0,0]
	v_pk_add_f32 v[12:13], v[12:13], v[124:125]
	s_waitcnt vmcnt(11)
	v_mov_b32_e32 v16, v111
	ds_read2_b64 v[4:7], v2 offset0:71 offset1:72
	ds_read2_b64 v[8:11], v2 offset0:73 offset1:74
	ds_read_b64 v[14:15], v2 offset:600
	v_pk_add_f32 v[12:13], v[12:13], v[96:97]
	v_mov_b32_e32 v95, v17
	v_pk_mul_f32 v[16:17], v[104:105], v[16:17] op_sel_hi:[1,0]
	v_pk_add_f32 v[12:13], v[12:13], v[94:95]
	s_waitcnt vmcnt(4)
	v_pk_fma_f32 v[94:95], v[104:105], v[110:111], v[16:17] op_sel:[0,0,1] op_sel_hi:[1,1,0] neg_lo:[0,0,1] neg_hi:[0,0,1]
	v_pk_fma_f32 v[16:17], v[104:105], v[110:111], v[16:17] op_sel:[0,0,1] op_sel_hi:[1,0,0]
	v_mov_b32_e32 v16, v117
	v_mov_b32_e32 v95, v17
	s_waitcnt lgkmcnt(2)
	v_pk_mul_f32 v[16:17], v[4:5], v[16:17] op_sel_hi:[1,0]
	v_pk_add_f32 v[12:13], v[12:13], v[94:95]
	v_pk_fma_f32 v[94:95], v[4:5], v[116:117], v[16:17] op_sel:[0,0,1] op_sel_hi:[1,1,0] neg_lo:[0,0,1] neg_hi:[0,0,1]
	v_pk_fma_f32 v[4:5], v[4:5], v[116:117], v[16:17] op_sel:[0,0,1] op_sel_hi:[1,0,0]
	v_mov_b32_e32 v95, v5
	v_pk_add_f32 v[4:5], v[12:13], v[94:95]
	v_mov_b32_e32 v12, v115
	v_pk_mul_f32 v[12:13], v[6:7], v[12:13] op_sel_hi:[1,0]
	v_pk_fma_f32 v[16:17], v[6:7], v[114:115], v[12:13] op_sel:[0,0,1] op_sel_hi:[1,1,0] neg_lo:[0,0,1] neg_hi:[0,0,1]
	v_pk_fma_f32 v[6:7], v[6:7], v[114:115], v[12:13] op_sel:[0,0,1] op_sel_hi:[1,0,0]
	v_mov_b32_e32 v6, v113
	v_mov_b32_e32 v17, v7
	s_waitcnt lgkmcnt(1)
	v_pk_mul_f32 v[6:7], v[8:9], v[6:7] op_sel_hi:[1,0]
	v_pk_fma_f32 v[12:13], v[8:9], v[112:113], v[6:7] op_sel:[0,0,1] op_sel_hi:[1,1,0] neg_lo:[0,0,1] neg_hi:[0,0,1]
	v_pk_fma_f32 v[6:7], v[8:9], v[112:113], v[6:7] op_sel:[0,0,1] op_sel_hi:[1,0,0]
	s_waitcnt vmcnt(1)
	v_mov_b32_e32 v6, v121
	v_mov_b32_e32 v13, v7
	v_pk_mul_f32 v[6:7], v[10:11], v[6:7] op_sel_hi:[1,0]
	s_waitcnt vmcnt(0)
	v_pk_fma_f32 v[8:9], v[10:11], v[120:121], v[6:7] op_sel:[0,0,1] op_sel_hi:[1,1,0] neg_lo:[0,0,1] neg_hi:[0,0,1]
	v_pk_fma_f32 v[6:7], v[10:11], v[120:121], v[6:7] op_sel:[0,0,1] op_sel_hi:[1,0,0]
	v_pk_add_f32 v[4:5], v[4:5], v[16:17]
	v_mov_b32_e32 v6, v119
	v_pk_add_f32 v[4:5], v[4:5], v[12:13]
	v_mov_b32_e32 v9, v7
	s_waitcnt lgkmcnt(0)
	v_pk_mul_f32 v[6:7], v[14:15], v[6:7] op_sel_hi:[1,0]
	v_pk_add_f32 v[4:5], v[4:5], v[8:9]
	v_pk_fma_f32 v[8:9], v[14:15], v[118:119], v[6:7] op_sel:[0,0,1] op_sel_hi:[1,1,0] neg_lo:[0,0,1] neg_hi:[0,0,1]
	v_pk_fma_f32 v[6:7], v[14:15], v[118:119], v[6:7] op_sel:[0,0,1] op_sel_hi:[1,0,0]
	v_mov_b32_e32 v9, v7
	v_pk_add_f32 v[4:5], v[4:5], v[8:9]
	v_pk_add_f32 v[4:5], v[108:109], v[4:5] neg_lo:[0,1] neg_hi:[0,1]
	buffer_store_dword v5, off, s[0:3], 0 offset:164
	buffer_store_dword v4, off, s[0:3], 0 offset:160
	s_and_saveexec_b64 s[4:5], vcc
	s_cbranch_execz .LBB101_203
; %bb.202:
	buffer_load_dword v4, off, s[0:3], 0 offset:152
	buffer_load_dword v5, off, s[0:3], 0 offset:156
	s_waitcnt vmcnt(0)
	ds_write_b64 v1, v[4:5]
	buffer_store_dword v2, off, s[0:3], 0 offset:152
	buffer_store_dword v2, off, s[0:3], 0 offset:156
.LBB101_203:
	s_or_b64 exec, exec, s[4:5]
	s_waitcnt lgkmcnt(0)
	; wave barrier
	s_waitcnt lgkmcnt(0)
	buffer_load_dword v3, off, s[0:3], 0 offset:164
	buffer_load_dword v122, off, s[0:3], 0 offset:172
	;; [unrolled: 1-line block ×22, first 2 shown]
	ds_read_b128 v[4:7], v2 offset:464
	ds_read_b128 v[8:11], v2 offset:480
	buffer_load_dword v107, off, s[0:3], 0 offset:244
	buffer_load_dword v106, off, s[0:3], 0 offset:240
	;; [unrolled: 1-line block ×10, first 2 shown]
	ds_read_b128 v[12:15], v2 offset:496
	ds_read_b128 v[94:97], v2 offset:512
	;; [unrolled: 1-line block ×4, first 2 shown]
	buffer_load_dword v117, off, s[0:3], 0 offset:300
	buffer_load_dword v116, off, s[0:3], 0 offset:296
	;; [unrolled: 1-line block ×6, first 2 shown]
	v_cmp_lt_u32_e32 vcc, 18, v0
	s_waitcnt vmcnt(37) lgkmcnt(5)
	v_mul_f32_e32 v143, v4, v3
	s_waitcnt vmcnt(36)
	v_mul_f32_e32 v144, v6, v122
	s_waitcnt vmcnt(35) lgkmcnt(4)
	v_mul_f32_e32 v145, v8, v124
	v_mul_f32_e32 v3, v5, v3
	;; [unrolled: 1-line block ×4, first 2 shown]
	s_waitcnt vmcnt(34)
	v_mul_f32_e32 v146, v10, v126
	s_waitcnt vmcnt(33) lgkmcnt(3)
	v_mul_f32_e32 v147, v12, v127
	s_waitcnt vmcnt(32)
	v_mul_f32_e32 v148, v14, v128
	s_waitcnt vmcnt(31) lgkmcnt(2)
	v_mul_f32_e32 v149, v94, v129
	s_waitcnt vmcnt(27)
	v_fmac_f32_e32 v143, v5, v133
	s_waitcnt vmcnt(26)
	v_fmac_f32_e32 v144, v7, v134
	v_fma_f32 v3, v4, v133, -v3
	s_waitcnt vmcnt(25)
	v_fma_f32 v5, v8, v135, -v124
	v_add_f32_e32 v8, 0, v143
	v_fmac_f32_e32 v145, v9, v135
	v_fma_f32 v4, v6, v134, -v122
	v_add_f32_e32 v3, 0, v3
	v_add_f32_e32 v8, v8, v144
	s_waitcnt vmcnt(24)
	v_fmac_f32_e32 v146, v11, v136
	v_add_f32_e32 v3, v3, v4
	v_add_f32_e32 v4, v8, v145
	s_waitcnt vmcnt(23)
	v_fmac_f32_e32 v147, v13, v137
	v_add_f32_e32 v4, v4, v146
	v_mul_f32_e32 v126, v11, v126
	s_waitcnt vmcnt(22)
	v_fmac_f32_e32 v148, v15, v138
	v_add_f32_e32 v4, v4, v147
	v_mul_f32_e32 v150, v96, v130
	v_mul_f32_e32 v127, v13, v127
	s_waitcnt vmcnt(21)
	v_fmac_f32_e32 v149, v95, v139
	v_fma_f32 v6, v10, v136, -v126
	v_add_f32_e32 v3, v3, v5
	v_add_f32_e32 v4, v4, v148
	v_mul_f32_e32 v128, v15, v128
	s_waitcnt vmcnt(20)
	v_fmac_f32_e32 v150, v97, v140
	v_fma_f32 v7, v12, v137, -v127
	v_add_f32_e32 v3, v3, v6
	v_add_f32_e32 v4, v4, v149
	v_add_f32_e32 v3, v3, v7
	v_add_f32_e32 v127, v4, v150
	v_fma_f32 v4, v14, v138, -v128
	v_add_f32_e32 v3, v3, v4
	v_mul_f32_e32 v4, v95, v129
	v_fma_f32 v4, v94, v139, -v4
	v_add_f32_e32 v3, v3, v4
	v_mul_f32_e32 v4, v97, v130
	v_fma_f32 v4, v96, v140, -v4
	s_waitcnt vmcnt(15)
	v_mov_b32_e32 v94, v107
	s_waitcnt lgkmcnt(1)
	v_mul_f32_e32 v123, v98, v131
	v_add_f32_e32 v126, v3, v4
	v_mul_f32_e32 v3, v99, v131
	s_waitcnt lgkmcnt(0)
	v_pk_mul_f32 v[94:95], v[102:103], v[94:95] op_sel_hi:[1,0]
	v_mul_f32_e32 v125, v100, v132
	v_fmac_f32_e32 v123, v99, v141
	v_fma_f32 v122, v98, v141, -v3
	v_mul_f32_e32 v3, v101, v132
	s_waitcnt vmcnt(14)
	v_pk_fma_f32 v[96:97], v[102:103], v[106:107], v[94:95] op_sel:[0,0,1] op_sel_hi:[1,1,0] neg_lo:[0,0,1] neg_hi:[0,0,1]
	v_pk_fma_f32 v[94:95], v[102:103], v[106:107], v[94:95] op_sel:[0,0,1] op_sel_hi:[1,0,0]
	v_fmac_f32_e32 v125, v101, v142
	v_fma_f32 v124, v100, v142, -v3
	ds_read_b128 v[4:7], v2 offset:560
	ds_read_b128 v[8:11], v2 offset:576
	;; [unrolled: 1-line block ×3, first 2 shown]
	v_pk_add_f32 v[2:3], v[126:127], v[122:123]
	s_waitcnt vmcnt(13)
	v_mov_b32_e32 v94, v109
	v_pk_add_f32 v[2:3], v[2:3], v[124:125]
	v_mov_b32_e32 v97, v95
	v_pk_mul_f32 v[94:95], v[104:105], v[94:95] op_sel_hi:[1,0]
	v_pk_add_f32 v[2:3], v[2:3], v[96:97]
	s_waitcnt vmcnt(6)
	v_pk_fma_f32 v[96:97], v[104:105], v[108:109], v[94:95] op_sel:[0,0,1] op_sel_hi:[1,1,0] neg_lo:[0,0,1] neg_hi:[0,0,1]
	v_pk_fma_f32 v[94:95], v[104:105], v[108:109], v[94:95] op_sel:[0,0,1] op_sel_hi:[1,0,0]
	v_mov_b32_e32 v94, v115
	v_mov_b32_e32 v97, v95
	s_waitcnt lgkmcnt(2)
	v_pk_mul_f32 v[94:95], v[4:5], v[94:95] op_sel_hi:[1,0]
	v_pk_add_f32 v[2:3], v[2:3], v[96:97]
	v_pk_fma_f32 v[96:97], v[4:5], v[114:115], v[94:95] op_sel:[0,0,1] op_sel_hi:[1,1,0] neg_lo:[0,0,1] neg_hi:[0,0,1]
	v_pk_fma_f32 v[4:5], v[4:5], v[114:115], v[94:95] op_sel:[0,0,1] op_sel_hi:[1,0,0]
	v_mov_b32_e32 v4, v113
	v_mov_b32_e32 v97, v5
	v_pk_mul_f32 v[4:5], v[6:7], v[4:5] op_sel_hi:[1,0]
	v_pk_fma_f32 v[94:95], v[6:7], v[112:113], v[4:5] op_sel:[0,0,1] op_sel_hi:[1,1,0] neg_lo:[0,0,1] neg_hi:[0,0,1]
	v_pk_fma_f32 v[4:5], v[6:7], v[112:113], v[4:5] op_sel:[0,0,1] op_sel_hi:[1,0,0]
	v_mov_b32_e32 v4, v111
	v_mov_b32_e32 v95, v5
	s_waitcnt lgkmcnt(1)
	v_pk_mul_f32 v[4:5], v[8:9], v[4:5] op_sel_hi:[1,0]
	v_pk_fma_f32 v[6:7], v[8:9], v[110:111], v[4:5] op_sel:[0,0,1] op_sel_hi:[1,1,0] neg_lo:[0,0,1] neg_hi:[0,0,1]
	v_pk_fma_f32 v[4:5], v[8:9], v[110:111], v[4:5] op_sel:[0,0,1] op_sel_hi:[1,0,0]
	v_pk_add_f32 v[2:3], v[2:3], v[96:97]
	s_waitcnt vmcnt(1)
	v_mov_b32_e32 v4, v121
	v_pk_add_f32 v[2:3], v[2:3], v[94:95]
	v_mov_b32_e32 v7, v5
	v_pk_mul_f32 v[4:5], v[10:11], v[4:5] op_sel_hi:[1,0]
	v_pk_add_f32 v[2:3], v[2:3], v[6:7]
	s_waitcnt vmcnt(0)
	v_pk_fma_f32 v[6:7], v[10:11], v[120:121], v[4:5] op_sel:[0,0,1] op_sel_hi:[1,1,0] neg_lo:[0,0,1] neg_hi:[0,0,1]
	v_pk_fma_f32 v[4:5], v[10:11], v[120:121], v[4:5] op_sel:[0,0,1] op_sel_hi:[1,0,0]
	v_mov_b32_e32 v4, v119
	v_mov_b32_e32 v7, v5
	s_waitcnt lgkmcnt(0)
	v_pk_mul_f32 v[4:5], v[12:13], v[4:5] op_sel_hi:[1,0]
	v_pk_add_f32 v[2:3], v[2:3], v[6:7]
	v_pk_fma_f32 v[6:7], v[12:13], v[118:119], v[4:5] op_sel:[0,0,1] op_sel_hi:[1,1,0] neg_lo:[0,0,1] neg_hi:[0,0,1]
	v_pk_fma_f32 v[4:5], v[12:13], v[118:119], v[4:5] op_sel:[0,0,1] op_sel_hi:[1,0,0]
	v_mov_b32_e32 v4, v117
	v_mov_b32_e32 v7, v5
	v_pk_mul_f32 v[4:5], v[14:15], v[4:5] op_sel_hi:[1,0]
	v_pk_add_f32 v[2:3], v[2:3], v[6:7]
	v_pk_fma_f32 v[6:7], v[14:15], v[116:117], v[4:5] op_sel:[0,0,1] op_sel_hi:[1,1,0] neg_lo:[0,0,1] neg_hi:[0,0,1]
	v_pk_fma_f32 v[4:5], v[14:15], v[116:117], v[4:5] op_sel:[0,0,1] op_sel_hi:[1,0,0]
	v_mov_b32_e32 v7, v5
	v_pk_add_f32 v[2:3], v[2:3], v[6:7]
	v_pk_add_f32 v[2:3], v[16:17], v[2:3] neg_lo:[0,1] neg_hi:[0,1]
	buffer_store_dword v3, off, s[0:3], 0 offset:156
	buffer_store_dword v2, off, s[0:3], 0 offset:152
	s_and_saveexec_b64 s[4:5], vcc
	s_cbranch_execz .LBB101_205
; %bb.204:
	buffer_load_dword v2, off, s[0:3], 0 offset:144
	buffer_load_dword v3, off, s[0:3], 0 offset:148
	v_mov_b32_e32 v4, 0
	buffer_store_dword v4, off, s[0:3], 0 offset:144
	buffer_store_dword v4, off, s[0:3], 0 offset:148
	s_waitcnt vmcnt(2)
	ds_write_b64 v1, v[2:3]
.LBB101_205:
	s_or_b64 exec, exec, s[4:5]
	s_waitcnt lgkmcnt(0)
	; wave barrier
	s_waitcnt lgkmcnt(0)
	buffer_load_dword v3, off, s[0:3], 0 offset:156
	buffer_load_dword v122, off, s[0:3], 0 offset:164
	;; [unrolled: 1-line block ×40, first 2 shown]
	v_mov_b32_e32 v2, 0
	ds_read2_b64 v[4:7], v2 offset0:57 offset1:58
	ds_read2_b64 v[8:11], v2 offset0:59 offset1:60
	;; [unrolled: 1-line block ×6, first 2 shown]
	v_cmp_lt_u32_e32 vcc, 17, v0
	s_waitcnt vmcnt(39) lgkmcnt(5)
	v_mul_f32_e32 v145, v4, v3
	s_waitcnt vmcnt(38)
	v_mul_f32_e32 v146, v6, v122
	v_mul_f32_e32 v3, v5, v3
	s_waitcnt vmcnt(37) lgkmcnt(4)
	v_mul_f32_e32 v147, v8, v124
	v_mul_f32_e32 v122, v7, v122
	s_waitcnt vmcnt(36)
	v_mul_f32_e32 v148, v10, v126
	s_waitcnt vmcnt(35) lgkmcnt(3)
	v_mul_f32_e32 v149, v12, v128
	s_waitcnt vmcnt(34)
	v_mul_f32_e32 v150, v14, v129
	s_waitcnt vmcnt(33) lgkmcnt(2)
	;; [unrolled: 4-line block ×3, first 2 shown]
	v_mul_f32_e32 v153, v98, v132
	s_waitcnt vmcnt(28)
	v_fmac_f32_e32 v145, v5, v127
	s_waitcnt vmcnt(27)
	v_fmac_f32_e32 v146, v7, v135
	v_fma_f32 v3, v4, v127, -v3
	v_add_f32_e32 v7, 0, v145
	s_waitcnt vmcnt(26)
	v_fmac_f32_e32 v147, v9, v136
	v_fma_f32 v4, v6, v135, -v122
	v_add_f32_e32 v3, 0, v3
	v_add_f32_e32 v7, v7, v146
	s_waitcnt vmcnt(25)
	v_fmac_f32_e32 v148, v11, v137
	v_add_f32_e32 v3, v3, v4
	v_add_f32_e32 v4, v7, v147
	s_waitcnt vmcnt(24)
	v_fmac_f32_e32 v149, v13, v138
	v_add_f32_e32 v4, v4, v148
	s_waitcnt vmcnt(23)
	v_fmac_f32_e32 v150, v15, v139
	;; [unrolled: 3-line block ×3, first 2 shown]
	v_add_f32_e32 v4, v4, v150
	v_mul_f32_e32 v124, v9, v124
	s_waitcnt vmcnt(21)
	v_fmac_f32_e32 v152, v97, v141
	v_add_f32_e32 v4, v4, v151
	v_mul_f32_e32 v126, v11, v126
	s_waitcnt vmcnt(20)
	v_fmac_f32_e32 v153, v99, v142
	v_fma_f32 v5, v8, v136, -v124
	v_add_f32_e32 v4, v4, v152
	v_fma_f32 v6, v10, v137, -v126
	v_add_f32_e32 v3, v3, v5
	v_add_f32_e32 v127, v4, v153
	v_mul_f32_e32 v4, v13, v128
	v_add_f32_e32 v3, v3, v6
	v_fma_f32 v4, v12, v138, -v4
	v_add_f32_e32 v3, v3, v4
	v_mul_f32_e32 v4, v15, v129
	v_fma_f32 v4, v14, v139, -v4
	v_add_f32_e32 v3, v3, v4
	v_mul_f32_e32 v4, v95, v130
	;; [unrolled: 3-line block ×4, first 2 shown]
	v_fma_f32 v4, v98, v142, -v4
	s_waitcnt vmcnt(9)
	v_mov_b32_e32 v98, v113
	v_mul_f32_e32 v123, v100, v133
	v_add_f32_e32 v126, v3, v4
	v_mul_f32_e32 v3, v101, v133
	s_waitcnt lgkmcnt(0)
	v_pk_mul_f32 v[98:99], v[104:105], v[98:99] op_sel_hi:[1,0]
	v_mul_f32_e32 v125, v102, v134
	v_fmac_f32_e32 v123, v101, v143
	v_fma_f32 v122, v100, v143, -v3
	v_mul_f32_e32 v3, v103, v134
	ds_read2_b64 v[4:7], v2 offset0:69 offset1:70
	ds_read2_b64 v[8:11], v2 offset0:71 offset1:72
	;; [unrolled: 1-line block ×3, first 2 shown]
	ds_read_b64 v[94:95], v2 offset:600
	s_waitcnt vmcnt(8)
	v_pk_fma_f32 v[100:101], v[104:105], v[112:113], v[98:99] op_sel:[0,0,1] op_sel_hi:[1,1,0] neg_lo:[0,0,1] neg_hi:[0,0,1]
	v_pk_fma_f32 v[98:99], v[104:105], v[112:113], v[98:99] op_sel:[0,0,1] op_sel_hi:[1,0,0]
	v_fmac_f32_e32 v125, v103, v144
	v_fma_f32 v124, v102, v144, -v3
	v_pk_add_f32 v[96:97], v[126:127], v[122:123]
	v_mov_b32_e32 v98, v111
	v_pk_add_f32 v[96:97], v[96:97], v[124:125]
	v_mov_b32_e32 v101, v99
	s_waitcnt lgkmcnt(3)
	v_pk_mul_f32 v[98:99], v[4:5], v[98:99] op_sel_hi:[1,0]
	v_pk_add_f32 v[96:97], v[96:97], v[100:101]
	v_pk_fma_f32 v[100:101], v[4:5], v[110:111], v[98:99] op_sel:[0,0,1] op_sel_hi:[1,1,0] neg_lo:[0,0,1] neg_hi:[0,0,1]
	v_pk_fma_f32 v[4:5], v[4:5], v[110:111], v[98:99] op_sel:[0,0,1] op_sel_hi:[1,0,0]
	v_mov_b32_e32 v101, v5
	v_pk_add_f32 v[4:5], v[96:97], v[100:101]
	v_mov_b32_e32 v96, v109
	v_pk_mul_f32 v[96:97], v[6:7], v[96:97] op_sel_hi:[1,0]
	v_pk_fma_f32 v[98:99], v[6:7], v[108:109], v[96:97] op_sel:[0,0,1] op_sel_hi:[1,1,0] neg_lo:[0,0,1] neg_hi:[0,0,1]
	v_pk_fma_f32 v[6:7], v[6:7], v[108:109], v[96:97] op_sel:[0,0,1] op_sel_hi:[1,0,0]
	v_mov_b32_e32 v6, v107
	v_mov_b32_e32 v99, v7
	s_waitcnt lgkmcnt(2)
	v_pk_mul_f32 v[6:7], v[8:9], v[6:7] op_sel_hi:[1,0]
	v_pk_fma_f32 v[96:97], v[8:9], v[106:107], v[6:7] op_sel:[0,0,1] op_sel_hi:[1,1,0] neg_lo:[0,0,1] neg_hi:[0,0,1]
	v_pk_fma_f32 v[6:7], v[8:9], v[106:107], v[6:7] op_sel:[0,0,1] op_sel_hi:[1,0,0]
	s_waitcnt vmcnt(1)
	v_mov_b32_e32 v6, v121
	v_mov_b32_e32 v97, v7
	v_pk_mul_f32 v[6:7], v[10:11], v[6:7] op_sel_hi:[1,0]
	s_waitcnt vmcnt(0)
	v_pk_fma_f32 v[8:9], v[10:11], v[120:121], v[6:7] op_sel:[0,0,1] op_sel_hi:[1,1,0] neg_lo:[0,0,1] neg_hi:[0,0,1]
	v_pk_fma_f32 v[6:7], v[10:11], v[120:121], v[6:7] op_sel:[0,0,1] op_sel_hi:[1,0,0]
	v_pk_add_f32 v[4:5], v[4:5], v[98:99]
	v_mov_b32_e32 v6, v119
	v_pk_add_f32 v[4:5], v[4:5], v[96:97]
	v_mov_b32_e32 v9, v7
	s_waitcnt lgkmcnt(1)
	v_pk_mul_f32 v[6:7], v[12:13], v[6:7] op_sel_hi:[1,0]
	v_pk_add_f32 v[4:5], v[4:5], v[8:9]
	v_pk_fma_f32 v[8:9], v[12:13], v[118:119], v[6:7] op_sel:[0,0,1] op_sel_hi:[1,1,0] neg_lo:[0,0,1] neg_hi:[0,0,1]
	v_pk_fma_f32 v[6:7], v[12:13], v[118:119], v[6:7] op_sel:[0,0,1] op_sel_hi:[1,0,0]
	v_mov_b32_e32 v6, v117
	v_mov_b32_e32 v9, v7
	v_pk_mul_f32 v[6:7], v[14:15], v[6:7] op_sel_hi:[1,0]
	v_pk_add_f32 v[4:5], v[4:5], v[8:9]
	v_pk_fma_f32 v[8:9], v[14:15], v[116:117], v[6:7] op_sel:[0,0,1] op_sel_hi:[1,1,0] neg_lo:[0,0,1] neg_hi:[0,0,1]
	v_pk_fma_f32 v[6:7], v[14:15], v[116:117], v[6:7] op_sel:[0,0,1] op_sel_hi:[1,0,0]
	v_mov_b32_e32 v6, v115
	v_mov_b32_e32 v9, v7
	s_waitcnt lgkmcnt(0)
	v_pk_mul_f32 v[6:7], v[94:95], v[6:7] op_sel_hi:[1,0]
	v_pk_add_f32 v[4:5], v[4:5], v[8:9]
	v_pk_fma_f32 v[8:9], v[94:95], v[114:115], v[6:7] op_sel:[0,0,1] op_sel_hi:[1,1,0] neg_lo:[0,0,1] neg_hi:[0,0,1]
	v_pk_fma_f32 v[6:7], v[94:95], v[114:115], v[6:7] op_sel:[0,0,1] op_sel_hi:[1,0,0]
	v_mov_b32_e32 v9, v7
	v_pk_add_f32 v[4:5], v[4:5], v[8:9]
	v_pk_add_f32 v[4:5], v[16:17], v[4:5] neg_lo:[0,1] neg_hi:[0,1]
	buffer_store_dword v5, off, s[0:3], 0 offset:148
	buffer_store_dword v4, off, s[0:3], 0 offset:144
	s_and_saveexec_b64 s[4:5], vcc
	s_cbranch_execz .LBB101_207
; %bb.206:
	buffer_load_dword v4, off, s[0:3], 0 offset:136
	buffer_load_dword v5, off, s[0:3], 0 offset:140
	s_waitcnt vmcnt(0)
	ds_write_b64 v1, v[4:5]
	buffer_store_dword v2, off, s[0:3], 0 offset:136
	buffer_store_dword v2, off, s[0:3], 0 offset:140
.LBB101_207:
	s_or_b64 exec, exec, s[4:5]
	s_waitcnt lgkmcnt(0)
	; wave barrier
	s_waitcnt lgkmcnt(0)
	buffer_load_dword v3, off, s[0:3], 0 offset:148
	buffer_load_dword v122, off, s[0:3], 0 offset:156
	buffer_load_dword v124, off, s[0:3], 0 offset:164
	buffer_load_dword v126, off, s[0:3], 0 offset:172
	buffer_load_dword v128, off, s[0:3], 0 offset:180
	buffer_load_dword v129, off, s[0:3], 0 offset:188
	buffer_load_dword v130, off, s[0:3], 0 offset:196
	buffer_load_dword v131, off, s[0:3], 0 offset:204
	buffer_load_dword v132, off, s[0:3], 0 offset:212
	buffer_load_dword v133, off, s[0:3], 0 offset:220
	buffer_load_dword v134, off, s[0:3], 0 offset:228
	buffer_load_dword v135, off, s[0:3], 0 offset:236
	buffer_load_dword v127, off, s[0:3], 0 offset:144
	buffer_load_dword v136, off, s[0:3], 0 offset:152
	buffer_load_dword v137, off, s[0:3], 0 offset:160
	buffer_load_dword v138, off, s[0:3], 0 offset:168
	buffer_load_dword v139, off, s[0:3], 0 offset:176
	buffer_load_dword v140, off, s[0:3], 0 offset:184
	buffer_load_dword v141, off, s[0:3], 0 offset:192
	buffer_load_dword v142, off, s[0:3], 0 offset:200
	buffer_load_dword v143, off, s[0:3], 0 offset:208
	buffer_load_dword v144, off, s[0:3], 0 offset:216
	buffer_load_dword v145, off, s[0:3], 0 offset:224
	buffer_load_dword v146, off, s[0:3], 0 offset:232
	buffer_load_dword v16, off, s[0:3], 0 offset:136
	buffer_load_dword v17, off, s[0:3], 0 offset:140
	ds_read_b128 v[4:7], v2 offset:448
	ds_read_b128 v[8:11], v2 offset:464
	;; [unrolled: 1-line block ×6, first 2 shown]
	buffer_load_dword v107, off, s[0:3], 0 offset:260
	buffer_load_dword v106, off, s[0:3], 0 offset:256
	;; [unrolled: 1-line block ×16, first 2 shown]
	v_cmp_lt_u32_e32 vcc, 16, v0
	s_waitcnt vmcnt(41) lgkmcnt(5)
	v_mul_f32_e32 v147, v4, v3
	s_waitcnt vmcnt(40)
	v_mul_f32_e32 v148, v6, v122
	v_mul_f32_e32 v3, v5, v3
	;; [unrolled: 1-line block ×3, first 2 shown]
	s_waitcnt vmcnt(39) lgkmcnt(4)
	v_mul_f32_e32 v149, v8, v124
	s_waitcnt vmcnt(38)
	v_mul_f32_e32 v150, v10, v126
	s_waitcnt vmcnt(37) lgkmcnt(3)
	v_mul_f32_e32 v151, v12, v128
	s_waitcnt vmcnt(36)
	v_mul_f32_e32 v152, v14, v129
	;; [unrolled: 4-line block ×4, first 2 shown]
	s_waitcnt vmcnt(29)
	v_fmac_f32_e32 v147, v5, v127
	s_waitcnt vmcnt(28)
	v_fmac_f32_e32 v148, v7, v136
	v_fma_f32 v3, v4, v127, -v3
	v_fma_f32 v4, v6, v136, -v122
	v_add_f32_e32 v6, 0, v147
	s_waitcnt vmcnt(27)
	v_fmac_f32_e32 v149, v9, v137
	v_add_f32_e32 v3, 0, v3
	v_add_f32_e32 v6, v6, v148
	s_waitcnt vmcnt(26)
	v_fmac_f32_e32 v150, v11, v138
	v_add_f32_e32 v3, v3, v4
	;; [unrolled: 4-line block ×3, first 2 shown]
	s_waitcnt vmcnt(24)
	v_fmac_f32_e32 v152, v15, v140
	v_add_f32_e32 v4, v4, v151
	s_waitcnt vmcnt(23)
	v_fmac_f32_e32 v153, v95, v141
	v_add_f32_e32 v4, v4, v152
	s_waitcnt vmcnt(22)
	v_fmac_f32_e32 v154, v97, v142
	v_add_f32_e32 v4, v4, v153
	s_waitcnt vmcnt(21)
	v_fmac_f32_e32 v155, v99, v143
	v_add_f32_e32 v4, v4, v154
	v_mul_f32_e32 v124, v9, v124
	s_waitcnt vmcnt(20)
	v_fmac_f32_e32 v156, v101, v144
	v_add_f32_e32 v4, v4, v155
	v_fma_f32 v5, v8, v137, -v124
	v_add_f32_e32 v127, v4, v156
	v_mul_f32_e32 v4, v11, v126
	v_add_f32_e32 v3, v3, v5
	v_fma_f32 v4, v10, v138, -v4
	v_add_f32_e32 v3, v3, v4
	v_mul_f32_e32 v4, v13, v128
	v_fma_f32 v4, v12, v139, -v4
	v_add_f32_e32 v3, v3, v4
	v_mul_f32_e32 v4, v15, v129
	;; [unrolled: 3-line block ×6, first 2 shown]
	v_fma_f32 v4, v100, v144, -v4
	v_add_f32_e32 v126, v3, v4
	ds_read_b128 v[4:7], v2 offset:544
	ds_read_b128 v[8:11], v2 offset:560
	;; [unrolled: 1-line block ×4, first 2 shown]
	s_waitcnt vmcnt(11)
	v_mov_b32_e32 v98, v111
	s_waitcnt lgkmcnt(3)
	v_pk_mul_f32 v[98:99], v[4:5], v[98:99] op_sel_hi:[1,0]
	s_waitcnt vmcnt(10)
	v_pk_fma_f32 v[100:101], v[4:5], v[110:111], v[98:99] op_sel:[0,0,1] op_sel_hi:[1,1,0] neg_lo:[0,0,1] neg_hi:[0,0,1]
	v_pk_fma_f32 v[4:5], v[4:5], v[110:111], v[98:99] op_sel:[0,0,1] op_sel_hi:[1,0,0]
	v_mov_b32_e32 v4, v109
	v_mov_b32_e32 v101, v5
	v_pk_mul_f32 v[4:5], v[6:7], v[4:5] op_sel_hi:[1,0]
	v_mul_f32_e32 v123, v102, v134
	v_mul_f32_e32 v3, v103, v134
	v_pk_fma_f32 v[98:99], v[6:7], v[108:109], v[4:5] op_sel:[0,0,1] op_sel_hi:[1,1,0] neg_lo:[0,0,1] neg_hi:[0,0,1]
	v_pk_fma_f32 v[4:5], v[6:7], v[108:109], v[4:5] op_sel:[0,0,1] op_sel_hi:[1,0,0]
	v_mul_f32_e32 v125, v104, v135
	v_fmac_f32_e32 v123, v103, v145
	v_fma_f32 v122, v102, v145, -v3
	v_mul_f32_e32 v3, v105, v135
	v_mov_b32_e32 v4, v107
	v_fmac_f32_e32 v125, v105, v146
	v_fma_f32 v124, v104, v146, -v3
	v_pk_add_f32 v[2:3], v[126:127], v[122:123]
	v_mov_b32_e32 v99, v5
	s_waitcnt lgkmcnt(2)
	v_pk_mul_f32 v[4:5], v[8:9], v[4:5] op_sel_hi:[1,0]
	v_pk_add_f32 v[2:3], v[2:3], v[124:125]
	v_pk_fma_f32 v[6:7], v[8:9], v[106:107], v[4:5] op_sel:[0,0,1] op_sel_hi:[1,1,0] neg_lo:[0,0,1] neg_hi:[0,0,1]
	v_pk_fma_f32 v[4:5], v[8:9], v[106:107], v[4:5] op_sel:[0,0,1] op_sel_hi:[1,0,0]
	v_pk_add_f32 v[2:3], v[2:3], v[100:101]
	s_waitcnt vmcnt(3)
	v_mov_b32_e32 v4, v119
	v_pk_add_f32 v[2:3], v[2:3], v[98:99]
	v_mov_b32_e32 v7, v5
	v_pk_mul_f32 v[4:5], v[10:11], v[4:5] op_sel_hi:[1,0]
	v_pk_add_f32 v[2:3], v[2:3], v[6:7]
	s_waitcnt vmcnt(2)
	v_pk_fma_f32 v[6:7], v[10:11], v[118:119], v[4:5] op_sel:[0,0,1] op_sel_hi:[1,1,0] neg_lo:[0,0,1] neg_hi:[0,0,1]
	v_pk_fma_f32 v[4:5], v[10:11], v[118:119], v[4:5] op_sel:[0,0,1] op_sel_hi:[1,0,0]
	v_mov_b32_e32 v4, v117
	v_mov_b32_e32 v7, v5
	s_waitcnt lgkmcnt(1)
	v_pk_mul_f32 v[4:5], v[12:13], v[4:5] op_sel_hi:[1,0]
	v_pk_add_f32 v[2:3], v[2:3], v[6:7]
	v_pk_fma_f32 v[6:7], v[12:13], v[116:117], v[4:5] op_sel:[0,0,1] op_sel_hi:[1,1,0] neg_lo:[0,0,1] neg_hi:[0,0,1]
	v_pk_fma_f32 v[4:5], v[12:13], v[116:117], v[4:5] op_sel:[0,0,1] op_sel_hi:[1,0,0]
	v_mov_b32_e32 v4, v115
	v_mov_b32_e32 v7, v5
	v_pk_mul_f32 v[4:5], v[14:15], v[4:5] op_sel_hi:[1,0]
	v_pk_add_f32 v[2:3], v[2:3], v[6:7]
	v_pk_fma_f32 v[6:7], v[14:15], v[114:115], v[4:5] op_sel:[0,0,1] op_sel_hi:[1,1,0] neg_lo:[0,0,1] neg_hi:[0,0,1]
	v_pk_fma_f32 v[4:5], v[14:15], v[114:115], v[4:5] op_sel:[0,0,1] op_sel_hi:[1,0,0]
	v_mov_b32_e32 v4, v113
	v_mov_b32_e32 v7, v5
	s_waitcnt lgkmcnt(0)
	v_pk_mul_f32 v[4:5], v[94:95], v[4:5] op_sel_hi:[1,0]
	v_pk_add_f32 v[2:3], v[2:3], v[6:7]
	v_pk_fma_f32 v[6:7], v[94:95], v[112:113], v[4:5] op_sel:[0,0,1] op_sel_hi:[1,1,0] neg_lo:[0,0,1] neg_hi:[0,0,1]
	v_pk_fma_f32 v[4:5], v[94:95], v[112:113], v[4:5] op_sel:[0,0,1] op_sel_hi:[1,0,0]
	s_waitcnt vmcnt(1)
	v_mov_b32_e32 v4, v121
	v_mov_b32_e32 v7, v5
	v_pk_mul_f32 v[4:5], v[96:97], v[4:5] op_sel_hi:[1,0]
	v_pk_add_f32 v[2:3], v[2:3], v[6:7]
	s_waitcnt vmcnt(0)
	v_pk_fma_f32 v[6:7], v[96:97], v[120:121], v[4:5] op_sel:[0,0,1] op_sel_hi:[1,1,0] neg_lo:[0,0,1] neg_hi:[0,0,1]
	v_pk_fma_f32 v[4:5], v[96:97], v[120:121], v[4:5] op_sel:[0,0,1] op_sel_hi:[1,0,0]
	v_mov_b32_e32 v7, v5
	v_pk_add_f32 v[2:3], v[2:3], v[6:7]
	v_pk_add_f32 v[2:3], v[16:17], v[2:3] neg_lo:[0,1] neg_hi:[0,1]
	buffer_store_dword v3, off, s[0:3], 0 offset:140
	buffer_store_dword v2, off, s[0:3], 0 offset:136
	s_and_saveexec_b64 s[4:5], vcc
	s_cbranch_execz .LBB101_209
; %bb.208:
	buffer_load_dword v2, off, s[0:3], 0 offset:128
	buffer_load_dword v3, off, s[0:3], 0 offset:132
	v_mov_b32_e32 v4, 0
	buffer_store_dword v4, off, s[0:3], 0 offset:128
	buffer_store_dword v4, off, s[0:3], 0 offset:132
	s_waitcnt vmcnt(2)
	ds_write_b64 v1, v[2:3]
.LBB101_209:
	s_or_b64 exec, exec, s[4:5]
	v_mov_b32_e32 v96, 0
	s_waitcnt lgkmcnt(0)
	; wave barrier
	s_waitcnt lgkmcnt(0)
	ds_read2_b64 v[12:15], v96 offset0:55 offset1:56
	buffer_load_dword v6, off, s[0:3], 0 offset:128
	buffer_load_dword v7, off, s[0:3], 0 offset:132
	;; [unrolled: 1-line block ×16, first 2 shown]
	ds_read2_b64 v[98:101], v96 offset0:57 offset1:58
	ds_read2_b64 v[102:105], v96 offset0:59 offset1:60
	;; [unrolled: 1-line block ×3, first 2 shown]
	buffer_load_dword v142, off, s[0:3], 0 offset:192
	buffer_load_dword v143, off, s[0:3], 0 offset:196
	ds_read2_b64 v[110:113], v96 offset0:63 offset1:64
	buffer_load_dword v144, off, s[0:3], 0 offset:200
	buffer_load_dword v145, off, s[0:3], 0 offset:204
	;; [unrolled: 1-line block ×4, first 2 shown]
	ds_read2_b64 v[114:117], v96 offset0:65 offset1:66
	buffer_load_dword v148, off, s[0:3], 0 offset:216
	buffer_load_dword v149, off, s[0:3], 0 offset:220
	;; [unrolled: 1-line block ×4, first 2 shown]
	v_cmp_lt_u32_e32 vcc, 15, v0
	s_waitcnt vmcnt(22) lgkmcnt(5)
	v_mul_f32_e32 v2, v12, v10
	v_fmac_f32_e32 v2, v13, v8
	s_waitcnt vmcnt(20)
	v_mul_f32_e32 v3, v14, v97
	v_add_f32_e32 v2, 0, v2
	v_fmac_f32_e32 v3, v15, v16
	v_add_f32_e32 v2, v2, v3
	s_waitcnt vmcnt(18) lgkmcnt(4)
	v_mul_f32_e32 v3, v98, v133
	v_fmac_f32_e32 v3, v99, v132
	v_add_f32_e32 v2, v2, v3
	s_waitcnt vmcnt(16)
	v_mul_f32_e32 v3, v100, v135
	v_fmac_f32_e32 v3, v101, v134
	v_add_f32_e32 v2, v2, v3
	s_waitcnt vmcnt(14) lgkmcnt(3)
	v_mul_f32_e32 v3, v102, v137
	v_fmac_f32_e32 v3, v103, v136
	v_add_f32_e32 v2, v2, v3
	s_waitcnt vmcnt(12)
	v_mul_f32_e32 v3, v104, v139
	;; [unrolled: 8-line block ×4, first 2 shown]
	v_fmac_f32_e32 v3, v113, v146
	v_add_f32_e32 v2, v2, v3
	s_waitcnt vmcnt(2) lgkmcnt(0)
	v_mul_f32_e32 v3, v114, v149
	v_fmac_f32_e32 v3, v115, v148
	v_add_f32_e32 v9, v2, v3
	ds_read2_b64 v[2:5], v96 offset0:67 offset1:68
	buffer_load_dword v152, off, s[0:3], 0 offset:232
	buffer_load_dword v153, off, s[0:3], 0 offset:236
	;; [unrolled: 1-line block ×18, first 2 shown]
	v_mul_f32_e32 v10, v13, v10
	v_fma_f32 v8, v12, v8, -v10
	v_mul_f32_e32 v10, v15, v97
	v_add_f32_e32 v8, 0, v8
	v_fma_f32 v10, v14, v16, -v10
	v_add_f32_e32 v8, v8, v10
	v_mul_f32_e32 v10, v99, v133
	v_fma_f32 v10, v98, v132, -v10
	v_add_f32_e32 v8, v8, v10
	v_mul_f32_e32 v10, v101, v135
	;; [unrolled: 3-line block ×9, first 2 shown]
	v_fma_f32 v10, v114, v148, -v10
	s_waitcnt vmcnt(18)
	v_mul_f32_e32 v11, v116, v151
	v_add_f32_e32 v8, v8, v10
	v_mul_f32_e32 v10, v117, v151
	v_fmac_f32_e32 v11, v117, v150
	v_fma_f32 v10, v116, v150, -v10
	v_pk_add_f32 v[8:9], v[8:9], v[10:11]
	s_waitcnt vmcnt(15)
	v_mov_b32_e32 v10, v95
	s_waitcnt lgkmcnt(0)
	v_pk_mul_f32 v[10:11], v[4:5], v[10:11] op_sel_hi:[1,0]
	v_mul_f32_e32 v17, v2, v153
	v_fmac_f32_e32 v17, v3, v152
	v_mul_f32_e32 v3, v3, v153
	v_fma_f32 v16, v2, v152, -v3
	v_pk_add_f32 v[8:9], v[8:9], v[16:17]
	s_waitcnt vmcnt(14)
	v_pk_fma_f32 v[16:17], v[4:5], v[94:95], v[10:11] op_sel:[0,0,1] op_sel_hi:[1,1,0] neg_lo:[0,0,1] neg_hi:[0,0,1]
	v_pk_fma_f32 v[4:5], v[4:5], v[94:95], v[10:11] op_sel:[0,0,1] op_sel_hi:[1,0,0]
	ds_read2_b64 v[12:15], v96 offset0:69 offset1:70
	ds_read2_b64 v[98:101], v96 offset0:71 offset1:72
	;; [unrolled: 1-line block ×3, first 2 shown]
	ds_read_b64 v[2:3], v96 offset:600
	v_mov_b32_e32 v17, v5
	v_pk_add_f32 v[4:5], v[8:9], v[16:17]
	s_waitcnt vmcnt(13)
	v_mov_b32_e32 v8, v119
	s_waitcnt lgkmcnt(3)
	v_pk_mul_f32 v[8:9], v[12:13], v[8:9] op_sel_hi:[1,0]
	s_waitcnt vmcnt(12)
	v_pk_fma_f32 v[10:11], v[12:13], v[118:119], v[8:9] op_sel:[0,0,1] op_sel_hi:[1,1,0] neg_lo:[0,0,1] neg_hi:[0,0,1]
	v_pk_fma_f32 v[8:9], v[12:13], v[118:119], v[8:9] op_sel:[0,0,1] op_sel_hi:[1,0,0]
	s_waitcnt vmcnt(11)
	v_mov_b32_e32 v8, v121
	v_mov_b32_e32 v11, v9
	v_pk_mul_f32 v[8:9], v[14:15], v[8:9] op_sel_hi:[1,0]
	v_pk_add_f32 v[4:5], v[4:5], v[10:11]
	s_waitcnt vmcnt(10)
	v_pk_fma_f32 v[10:11], v[14:15], v[120:121], v[8:9] op_sel:[0,0,1] op_sel_hi:[1,1,0] neg_lo:[0,0,1] neg_hi:[0,0,1]
	v_pk_fma_f32 v[8:9], v[14:15], v[120:121], v[8:9] op_sel:[0,0,1] op_sel_hi:[1,0,0]
	s_waitcnt vmcnt(9)
	v_mov_b32_e32 v8, v123
	v_mov_b32_e32 v11, v9
	s_waitcnt lgkmcnt(2)
	v_pk_mul_f32 v[8:9], v[98:99], v[8:9] op_sel_hi:[1,0]
	v_pk_add_f32 v[4:5], v[4:5], v[10:11]
	s_waitcnt vmcnt(8)
	v_pk_fma_f32 v[10:11], v[98:99], v[122:123], v[8:9] op_sel:[0,0,1] op_sel_hi:[1,1,0] neg_lo:[0,0,1] neg_hi:[0,0,1]
	v_pk_fma_f32 v[8:9], v[98:99], v[122:123], v[8:9] op_sel:[0,0,1] op_sel_hi:[1,0,0]
	s_waitcnt vmcnt(7)
	v_mov_b32_e32 v8, v125
	v_mov_b32_e32 v11, v9
	v_pk_mul_f32 v[8:9], v[100:101], v[8:9] op_sel_hi:[1,0]
	v_pk_add_f32 v[4:5], v[4:5], v[10:11]
	s_waitcnt vmcnt(6)
	v_pk_fma_f32 v[10:11], v[100:101], v[124:125], v[8:9] op_sel:[0,0,1] op_sel_hi:[1,1,0] neg_lo:[0,0,1] neg_hi:[0,0,1]
	v_pk_fma_f32 v[8:9], v[100:101], v[124:125], v[8:9] op_sel:[0,0,1] op_sel_hi:[1,0,0]
	s_waitcnt vmcnt(5)
	v_mov_b32_e32 v8, v127
	v_mov_b32_e32 v11, v9
	s_waitcnt lgkmcnt(1)
	v_pk_mul_f32 v[8:9], v[102:103], v[8:9] op_sel_hi:[1,0]
	v_pk_add_f32 v[4:5], v[4:5], v[10:11]
	;; [unrolled: 17-line block ×3, first 2 shown]
	s_waitcnt vmcnt(0)
	v_pk_fma_f32 v[10:11], v[2:3], v[130:131], v[8:9] op_sel:[0,0,1] op_sel_hi:[1,1,0] neg_lo:[0,0,1] neg_hi:[0,0,1]
	v_pk_fma_f32 v[2:3], v[2:3], v[130:131], v[8:9] op_sel:[0,0,1] op_sel_hi:[1,0,0]
	v_mov_b32_e32 v11, v3
	v_pk_add_f32 v[2:3], v[4:5], v[10:11]
	v_pk_add_f32 v[2:3], v[6:7], v[2:3] neg_lo:[0,1] neg_hi:[0,1]
	buffer_store_dword v3, off, s[0:3], 0 offset:132
	buffer_store_dword v2, off, s[0:3], 0 offset:128
	s_and_saveexec_b64 s[4:5], vcc
	s_cbranch_execz .LBB101_211
; %bb.210:
	buffer_load_dword v2, off, s[0:3], 0 offset:120
	buffer_load_dword v3, off, s[0:3], 0 offset:124
	s_waitcnt vmcnt(0)
	ds_write_b64 v1, v[2:3]
	buffer_store_dword v96, off, s[0:3], 0 offset:120
	buffer_store_dword v96, off, s[0:3], 0 offset:124
.LBB101_211:
	s_or_b64 exec, exec, s[4:5]
	s_waitcnt lgkmcnt(0)
	; wave barrier
	s_waitcnt lgkmcnt(0)
	ds_read_b128 v[14:17], v96 offset:432
	ds_read_b128 v[10:13], v96 offset:448
	;; [unrolled: 1-line block ×4, first 2 shown]
	buffer_load_dword v94, off, s[0:3], 0 offset:120
	buffer_load_dword v95, off, s[0:3], 0 offset:124
	;; [unrolled: 1-line block ×18, first 2 shown]
	v_cmp_lt_u32_e32 vcc, 14, v0
	s_waitcnt vmcnt(14) lgkmcnt(3)
	v_mul_f32_e32 v98, v14, v114
	v_fmac_f32_e32 v98, v15, v97
	s_waitcnt vmcnt(12)
	v_mul_f32_e32 v99, v16, v118
	v_add_f32_e32 v98, 0, v98
	v_fmac_f32_e32 v99, v17, v116
	v_add_f32_e32 v98, v98, v99
	s_waitcnt vmcnt(10) lgkmcnt(2)
	v_mul_f32_e32 v99, v10, v137
	v_fmac_f32_e32 v99, v11, v136
	v_add_f32_e32 v98, v98, v99
	s_waitcnt vmcnt(8)
	v_mul_f32_e32 v99, v12, v139
	v_fmac_f32_e32 v99, v13, v138
	v_add_f32_e32 v98, v98, v99
	s_waitcnt vmcnt(6) lgkmcnt(1)
	v_mul_f32_e32 v99, v6, v141
	v_fmac_f32_e32 v99, v7, v140
	v_add_f32_e32 v98, v98, v99
	s_waitcnt vmcnt(4)
	v_mul_f32_e32 v99, v8, v143
	;; [unrolled: 8-line block ×3, first 2 shown]
	v_fmac_f32_e32 v99, v5, v146
	v_add_f32_e32 v102, v98, v99
	ds_read_b128 v[98:101], v96 offset:496
	buffer_load_dword v148, off, s[0:3], 0 offset:192
	buffer_load_dword v149, off, s[0:3], 0 offset:196
	;; [unrolled: 1-line block ×4, first 2 shown]
	v_mul_f32_e32 v15, v15, v114
	v_fma_f32 v14, v14, v97, -v15
	v_mul_f32_e32 v15, v17, v118
	v_add_f32_e32 v14, 0, v14
	v_fma_f32 v15, v16, v116, -v15
	v_mul_f32_e32 v11, v11, v137
	v_add_f32_e32 v14, v14, v15
	;; [unrolled: 3-line block ×7, first 2 shown]
	v_fma_f32 v3, v4, v146, -v3
	v_add_f32_e32 v2, v2, v3
	s_waitcnt vmcnt(2) lgkmcnt(0)
	v_mul_f32_e32 v103, v98, v149
	v_fmac_f32_e32 v103, v99, v148
	v_add_f32_e32 v102, v102, v103
	s_waitcnt vmcnt(0)
	v_mul_f32_e32 v103, v100, v151
	v_fmac_f32_e32 v103, v101, v150
	v_add_f32_e32 v106, v102, v103
	ds_read_b128 v[102:105], v96 offset:512
	buffer_load_dword v152, off, s[0:3], 0 offset:208
	buffer_load_dword v153, off, s[0:3], 0 offset:212
	;; [unrolled: 1-line block ×4, first 2 shown]
	v_mul_f32_e32 v3, v99, v149
	v_fma_f32 v3, v98, v148, -v3
	v_add_f32_e32 v2, v2, v3
	v_mul_f32_e32 v3, v101, v151
	v_fma_f32 v3, v100, v150, -v3
	v_add_f32_e32 v2, v2, v3
	s_waitcnt vmcnt(2) lgkmcnt(0)
	v_mul_f32_e32 v107, v102, v153
	v_fmac_f32_e32 v107, v103, v152
	v_add_f32_e32 v106, v106, v107
	s_waitcnt vmcnt(0)
	v_mul_f32_e32 v107, v104, v155
	v_fmac_f32_e32 v107, v105, v154
	v_add_f32_e32 v115, v106, v107
	ds_read_b128 v[106:109], v96 offset:528
	buffer_load_dword v156, off, s[0:3], 0 offset:224
	buffer_load_dword v157, off, s[0:3], 0 offset:228
	;; [unrolled: 1-line block ×6, first 2 shown]
	ds_read_b128 v[110:113], v96 offset:544
	buffer_load_dword v123, off, s[0:3], 0 offset:252
	buffer_load_dword v122, off, s[0:3], 0 offset:248
	;; [unrolled: 1-line block ×14, first 2 shown]
	v_mul_f32_e32 v3, v103, v153
	v_fma_f32 v3, v102, v152, -v3
	v_add_f32_e32 v2, v2, v3
	v_mul_f32_e32 v3, v105, v155
	v_fma_f32 v3, v104, v154, -v3
	v_add_f32_e32 v114, v2, v3
	s_waitcnt vmcnt(18) lgkmcnt(1)
	v_mul_f32_e32 v2, v107, v157
	s_waitcnt vmcnt(15)
	v_mov_b32_e32 v16, v121
	v_mul_f32_e32 v117, v106, v157
	v_fma_f32 v116, v106, v156, -v2
	v_mul_f32_e32 v2, v109, v159
	s_waitcnt lgkmcnt(0)
	v_pk_mul_f32 v[16:17], v[110:111], v[16:17] op_sel_hi:[1,0]
	v_fmac_f32_e32 v117, v107, v156
	v_mul_f32_e32 v119, v108, v159
	v_fma_f32 v118, v108, v158, -v2
	ds_read_b128 v[2:5], v96 offset:560
	ds_read_b128 v[6:9], v96 offset:576
	ds_read_b128 v[10:13], v96 offset:592
	s_waitcnt vmcnt(14)
	v_pk_fma_f32 v[96:97], v[110:111], v[120:121], v[16:17] op_sel:[0,0,1] op_sel_hi:[1,1,0] neg_lo:[0,0,1] neg_hi:[0,0,1]
	v_pk_fma_f32 v[16:17], v[110:111], v[120:121], v[16:17] op_sel:[0,0,1] op_sel_hi:[1,0,0]
	v_fmac_f32_e32 v119, v109, v158
	v_pk_add_f32 v[14:15], v[114:115], v[116:117]
	s_waitcnt vmcnt(13)
	v_mov_b32_e32 v16, v123
	v_pk_add_f32 v[14:15], v[14:15], v[118:119]
	v_mov_b32_e32 v97, v17
	v_pk_mul_f32 v[16:17], v[112:113], v[16:17] op_sel_hi:[1,0]
	v_pk_add_f32 v[14:15], v[14:15], v[96:97]
	s_waitcnt vmcnt(12)
	v_pk_fma_f32 v[96:97], v[112:113], v[122:123], v[16:17] op_sel:[0,0,1] op_sel_hi:[1,1,0] neg_lo:[0,0,1] neg_hi:[0,0,1]
	v_pk_fma_f32 v[16:17], v[112:113], v[122:123], v[16:17] op_sel:[0,0,1] op_sel_hi:[1,0,0]
	s_waitcnt vmcnt(11)
	v_mov_b32_e32 v16, v125
	v_mov_b32_e32 v97, v17
	s_waitcnt lgkmcnt(2)
	v_pk_mul_f32 v[16:17], v[2:3], v[16:17] op_sel_hi:[1,0]
	v_pk_add_f32 v[14:15], v[14:15], v[96:97]
	s_waitcnt vmcnt(10)
	v_pk_fma_f32 v[96:97], v[2:3], v[124:125], v[16:17] op_sel:[0,0,1] op_sel_hi:[1,1,0] neg_lo:[0,0,1] neg_hi:[0,0,1]
	v_pk_fma_f32 v[2:3], v[2:3], v[124:125], v[16:17] op_sel:[0,0,1] op_sel_hi:[1,0,0]
	v_mov_b32_e32 v97, v3
	v_pk_add_f32 v[2:3], v[14:15], v[96:97]
	s_waitcnt vmcnt(9)
	v_mov_b32_e32 v14, v127
	v_pk_mul_f32 v[14:15], v[4:5], v[14:15] op_sel_hi:[1,0]
	s_waitcnt vmcnt(8)
	v_pk_fma_f32 v[16:17], v[4:5], v[126:127], v[14:15] op_sel:[0,0,1] op_sel_hi:[1,1,0] neg_lo:[0,0,1] neg_hi:[0,0,1]
	v_pk_fma_f32 v[4:5], v[4:5], v[126:127], v[14:15] op_sel:[0,0,1] op_sel_hi:[1,0,0]
	s_waitcnt vmcnt(7)
	v_mov_b32_e32 v4, v129
	v_mov_b32_e32 v17, v5
	s_waitcnt lgkmcnt(1)
	v_pk_mul_f32 v[4:5], v[6:7], v[4:5] op_sel_hi:[1,0]
	s_waitcnt vmcnt(6)
	v_pk_fma_f32 v[14:15], v[6:7], v[128:129], v[4:5] op_sel:[0,0,1] op_sel_hi:[1,1,0] neg_lo:[0,0,1] neg_hi:[0,0,1]
	v_pk_fma_f32 v[4:5], v[6:7], v[128:129], v[4:5] op_sel:[0,0,1] op_sel_hi:[1,0,0]
	s_waitcnt vmcnt(5)
	v_mov_b32_e32 v4, v131
	v_mov_b32_e32 v15, v5
	v_pk_mul_f32 v[4:5], v[8:9], v[4:5] op_sel_hi:[1,0]
	s_waitcnt vmcnt(4)
	v_pk_fma_f32 v[6:7], v[8:9], v[130:131], v[4:5] op_sel:[0,0,1] op_sel_hi:[1,1,0] neg_lo:[0,0,1] neg_hi:[0,0,1]
	v_pk_fma_f32 v[4:5], v[8:9], v[130:131], v[4:5] op_sel:[0,0,1] op_sel_hi:[1,0,0]
	v_pk_add_f32 v[2:3], v[2:3], v[16:17]
	s_waitcnt vmcnt(3)
	v_mov_b32_e32 v4, v133
	v_pk_add_f32 v[2:3], v[2:3], v[14:15]
	v_mov_b32_e32 v7, v5
	s_waitcnt lgkmcnt(0)
	v_pk_mul_f32 v[4:5], v[10:11], v[4:5] op_sel_hi:[1,0]
	v_pk_add_f32 v[2:3], v[2:3], v[6:7]
	s_waitcnt vmcnt(2)
	v_pk_fma_f32 v[6:7], v[10:11], v[132:133], v[4:5] op_sel:[0,0,1] op_sel_hi:[1,1,0] neg_lo:[0,0,1] neg_hi:[0,0,1]
	v_pk_fma_f32 v[4:5], v[10:11], v[132:133], v[4:5] op_sel:[0,0,1] op_sel_hi:[1,0,0]
	s_waitcnt vmcnt(1)
	v_mov_b32_e32 v4, v135
	v_mov_b32_e32 v7, v5
	v_pk_mul_f32 v[4:5], v[12:13], v[4:5] op_sel_hi:[1,0]
	v_pk_add_f32 v[2:3], v[2:3], v[6:7]
	s_waitcnt vmcnt(0)
	v_pk_fma_f32 v[6:7], v[12:13], v[134:135], v[4:5] op_sel:[0,0,1] op_sel_hi:[1,1,0] neg_lo:[0,0,1] neg_hi:[0,0,1]
	v_pk_fma_f32 v[4:5], v[12:13], v[134:135], v[4:5] op_sel:[0,0,1] op_sel_hi:[1,0,0]
	v_mov_b32_e32 v7, v5
	v_pk_add_f32 v[2:3], v[2:3], v[6:7]
	v_pk_add_f32 v[2:3], v[94:95], v[2:3] neg_lo:[0,1] neg_hi:[0,1]
	buffer_store_dword v3, off, s[0:3], 0 offset:124
	buffer_store_dword v2, off, s[0:3], 0 offset:120
	s_and_saveexec_b64 s[4:5], vcc
	s_cbranch_execz .LBB101_213
; %bb.212:
	buffer_load_dword v2, off, s[0:3], 0 offset:112
	buffer_load_dword v3, off, s[0:3], 0 offset:116
	v_mov_b32_e32 v4, 0
	buffer_store_dword v4, off, s[0:3], 0 offset:112
	buffer_store_dword v4, off, s[0:3], 0 offset:116
	s_waitcnt vmcnt(2)
	ds_write_b64 v1, v[2:3]
.LBB101_213:
	s_or_b64 exec, exec, s[4:5]
	v_mov_b32_e32 v96, 0
	s_waitcnt lgkmcnt(0)
	; wave barrier
	s_waitcnt lgkmcnt(0)
	ds_read2_b64 v[2:5], v96 offset0:53 offset1:54
	buffer_load_dword v94, off, s[0:3], 0 offset:112
	buffer_load_dword v95, off, s[0:3], 0 offset:116
	;; [unrolled: 1-line block ×16, first 2 shown]
	v_cmp_lt_u32_e32 vcc, 13, v0
	s_waitcnt vmcnt(12) lgkmcnt(0)
	v_mul_f32_e32 v6, v2, v114
	v_fmac_f32_e32 v6, v3, v97
	s_waitcnt vmcnt(10)
	v_mul_f32_e32 v7, v4, v118
	v_add_f32_e32 v6, 0, v6
	v_fmac_f32_e32 v7, v5, v116
	v_add_f32_e32 v10, v6, v7
	ds_read2_b64 v[6:9], v96 offset0:55 offset1:56
	v_mul_f32_e32 v3, v3, v114
	v_fma_f32 v2, v2, v97, -v3
	v_mul_f32_e32 v3, v5, v118
	v_add_f32_e32 v2, 0, v2
	s_waitcnt vmcnt(8) lgkmcnt(0)
	v_mul_f32_e32 v11, v6, v137
	v_fmac_f32_e32 v11, v7, v136
	v_add_f32_e32 v10, v10, v11
	s_waitcnt vmcnt(6)
	v_mul_f32_e32 v11, v8, v139
	v_fmac_f32_e32 v11, v9, v138
	v_add_f32_e32 v14, v10, v11
	ds_read2_b64 v[10:13], v96 offset0:57 offset1:58
	v_fma_f32 v3, v4, v116, -v3
	v_add_f32_e32 v2, v2, v3
	v_mul_f32_e32 v3, v7, v137
	v_fma_f32 v3, v6, v136, -v3
	s_waitcnt vmcnt(4) lgkmcnt(0)
	v_mul_f32_e32 v15, v10, v141
	v_fmac_f32_e32 v15, v11, v140
	v_add_f32_e32 v14, v14, v15
	s_waitcnt vmcnt(2)
	v_mul_f32_e32 v15, v12, v143
	v_fmac_f32_e32 v15, v13, v142
	v_add_f32_e32 v98, v14, v15
	ds_read2_b64 v[14:17], v96 offset0:59 offset1:60
	buffer_load_dword v146, off, s[0:3], 0 offset:176
	buffer_load_dword v147, off, s[0:3], 0 offset:180
	v_add_f32_e32 v2, v2, v3
	v_mul_f32_e32 v3, v9, v139
	v_fma_f32 v3, v8, v138, -v3
	s_waitcnt vmcnt(2) lgkmcnt(0)
	v_mul_f32_e32 v99, v14, v145
	v_fmac_f32_e32 v99, v15, v144
	v_add_f32_e32 v98, v98, v99
	v_add_f32_e32 v2, v2, v3
	v_mul_f32_e32 v3, v11, v141
	v_fma_f32 v3, v10, v140, -v3
	v_add_f32_e32 v2, v2, v3
	v_mul_f32_e32 v3, v13, v143
	v_fma_f32 v3, v12, v142, -v3
	;; [unrolled: 3-line block ×3, first 2 shown]
	v_add_f32_e32 v2, v2, v3
	s_waitcnt vmcnt(0)
	v_mul_f32_e32 v99, v16, v147
	v_fmac_f32_e32 v99, v17, v146
	v_add_f32_e32 v102, v98, v99
	ds_read2_b64 v[98:101], v96 offset0:61 offset1:62
	buffer_load_dword v148, off, s[0:3], 0 offset:184
	buffer_load_dword v149, off, s[0:3], 0 offset:188
	;; [unrolled: 1-line block ×4, first 2 shown]
	v_mul_f32_e32 v3, v17, v147
	v_fma_f32 v3, v16, v146, -v3
	v_add_f32_e32 v2, v2, v3
	s_waitcnt vmcnt(2) lgkmcnt(0)
	v_mul_f32_e32 v103, v98, v149
	v_fmac_f32_e32 v103, v99, v148
	v_add_f32_e32 v102, v102, v103
	s_waitcnt vmcnt(0)
	v_mul_f32_e32 v103, v100, v151
	v_fmac_f32_e32 v103, v101, v150
	v_add_f32_e32 v106, v102, v103
	ds_read2_b64 v[102:105], v96 offset0:63 offset1:64
	buffer_load_dword v152, off, s[0:3], 0 offset:200
	buffer_load_dword v153, off, s[0:3], 0 offset:204
	buffer_load_dword v154, off, s[0:3], 0 offset:208
	buffer_load_dword v155, off, s[0:3], 0 offset:212
	v_mul_f32_e32 v3, v99, v149
	v_fma_f32 v3, v98, v148, -v3
	v_add_f32_e32 v2, v2, v3
	v_mul_f32_e32 v3, v101, v151
	v_fma_f32 v3, v100, v150, -v3
	v_add_f32_e32 v2, v2, v3
	s_waitcnt vmcnt(2) lgkmcnt(0)
	v_mul_f32_e32 v107, v102, v153
	v_fmac_f32_e32 v107, v103, v152
	v_add_f32_e32 v106, v106, v107
	s_waitcnt vmcnt(0)
	v_mul_f32_e32 v107, v104, v155
	v_fmac_f32_e32 v107, v105, v154
	v_add_f32_e32 v110, v106, v107
	ds_read2_b64 v[106:109], v96 offset0:65 offset1:66
	buffer_load_dword v156, off, s[0:3], 0 offset:216
	buffer_load_dword v157, off, s[0:3], 0 offset:220
	;; [unrolled: 1-line block ×4, first 2 shown]
	v_mul_f32_e32 v3, v103, v153
	v_fma_f32 v3, v102, v152, -v3
	v_add_f32_e32 v2, v2, v3
	v_mul_f32_e32 v3, v105, v155
	v_fma_f32 v3, v104, v154, -v3
	v_add_f32_e32 v2, v2, v3
	s_waitcnt vmcnt(2) lgkmcnt(0)
	v_mul_f32_e32 v111, v106, v157
	v_fmac_f32_e32 v111, v107, v156
	v_add_f32_e32 v115, v110, v111
	ds_read2_b64 v[110:113], v96 offset0:67 offset1:68
	buffer_load_dword v160, off, s[0:3], 0 offset:232
	buffer_load_dword v161, off, s[0:3], 0 offset:236
	;; [unrolled: 1-line block ×18, first 2 shown]
	v_mul_f32_e32 v3, v107, v157
	v_fma_f32 v3, v106, v156, -v3
	v_add_f32_e32 v114, v2, v3
	s_waitcnt vmcnt(18)
	v_mul_f32_e32 v2, v109, v159
	v_mul_f32_e32 v117, v108, v159
	v_fma_f32 v116, v108, v158, -v2
	v_fmac_f32_e32 v117, v109, v158
	v_pk_add_f32 v[16:17], v[114:115], v[116:117]
	s_waitcnt vmcnt(15)
	v_mov_b32_e32 v98, v121
	s_waitcnt lgkmcnt(0)
	v_pk_mul_f32 v[98:99], v[112:113], v[98:99] op_sel_hi:[1,0]
	s_waitcnt vmcnt(14)
	v_pk_fma_f32 v[100:101], v[112:113], v[120:121], v[98:99] op_sel:[0,0,1] op_sel_hi:[1,1,0] neg_lo:[0,0,1] neg_hi:[0,0,1]
	v_pk_fma_f32 v[98:99], v[112:113], v[120:121], v[98:99] op_sel:[0,0,1] op_sel_hi:[1,0,0]
	s_waitcnt vmcnt(13)
	v_mov_b32_e32 v98, v123
	v_mov_b32_e32 v101, v99
	v_mul_f32_e32 v2, v111, v161
	v_mul_f32_e32 v119, v110, v161
	v_fma_f32 v118, v110, v160, -v2
	ds_read2_b64 v[2:5], v96 offset0:69 offset1:70
	ds_read2_b64 v[6:9], v96 offset0:71 offset1:72
	;; [unrolled: 1-line block ×3, first 2 shown]
	ds_read_b64 v[14:15], v96 offset:600
	v_fmac_f32_e32 v119, v111, v160
	v_pk_add_f32 v[16:17], v[16:17], v[118:119]
	s_waitcnt lgkmcnt(3)
	v_pk_mul_f32 v[98:99], v[2:3], v[98:99] op_sel_hi:[1,0]
	v_pk_add_f32 v[16:17], v[16:17], v[100:101]
	s_waitcnt vmcnt(12)
	v_pk_fma_f32 v[100:101], v[2:3], v[122:123], v[98:99] op_sel:[0,0,1] op_sel_hi:[1,1,0] neg_lo:[0,0,1] neg_hi:[0,0,1]
	v_pk_fma_f32 v[2:3], v[2:3], v[122:123], v[98:99] op_sel:[0,0,1] op_sel_hi:[1,0,0]
	v_mov_b32_e32 v101, v3
	v_pk_add_f32 v[2:3], v[16:17], v[100:101]
	s_waitcnt vmcnt(11)
	v_mov_b32_e32 v16, v125
	v_pk_mul_f32 v[16:17], v[4:5], v[16:17] op_sel_hi:[1,0]
	s_waitcnt vmcnt(10)
	v_pk_fma_f32 v[98:99], v[4:5], v[124:125], v[16:17] op_sel:[0,0,1] op_sel_hi:[1,1,0] neg_lo:[0,0,1] neg_hi:[0,0,1]
	v_pk_fma_f32 v[4:5], v[4:5], v[124:125], v[16:17] op_sel:[0,0,1] op_sel_hi:[1,0,0]
	s_waitcnt vmcnt(9)
	v_mov_b32_e32 v4, v127
	v_mov_b32_e32 v99, v5
	s_waitcnt lgkmcnt(2)
	v_pk_mul_f32 v[4:5], v[6:7], v[4:5] op_sel_hi:[1,0]
	s_waitcnt vmcnt(8)
	v_pk_fma_f32 v[16:17], v[6:7], v[126:127], v[4:5] op_sel:[0,0,1] op_sel_hi:[1,1,0] neg_lo:[0,0,1] neg_hi:[0,0,1]
	v_pk_fma_f32 v[4:5], v[6:7], v[126:127], v[4:5] op_sel:[0,0,1] op_sel_hi:[1,0,0]
	s_waitcnt vmcnt(7)
	v_mov_b32_e32 v4, v129
	v_mov_b32_e32 v17, v5
	v_pk_mul_f32 v[4:5], v[8:9], v[4:5] op_sel_hi:[1,0]
	s_waitcnt vmcnt(6)
	v_pk_fma_f32 v[6:7], v[8:9], v[128:129], v[4:5] op_sel:[0,0,1] op_sel_hi:[1,1,0] neg_lo:[0,0,1] neg_hi:[0,0,1]
	v_pk_fma_f32 v[4:5], v[8:9], v[128:129], v[4:5] op_sel:[0,0,1] op_sel_hi:[1,0,0]
	v_pk_add_f32 v[2:3], v[2:3], v[98:99]
	s_waitcnt vmcnt(5)
	v_mov_b32_e32 v4, v131
	v_pk_add_f32 v[2:3], v[2:3], v[16:17]
	v_mov_b32_e32 v7, v5
	s_waitcnt lgkmcnt(1)
	v_pk_mul_f32 v[4:5], v[10:11], v[4:5] op_sel_hi:[1,0]
	v_pk_add_f32 v[2:3], v[2:3], v[6:7]
	s_waitcnt vmcnt(4)
	v_pk_fma_f32 v[6:7], v[10:11], v[130:131], v[4:5] op_sel:[0,0,1] op_sel_hi:[1,1,0] neg_lo:[0,0,1] neg_hi:[0,0,1]
	v_pk_fma_f32 v[4:5], v[10:11], v[130:131], v[4:5] op_sel:[0,0,1] op_sel_hi:[1,0,0]
	s_waitcnt vmcnt(3)
	v_mov_b32_e32 v4, v133
	v_mov_b32_e32 v7, v5
	v_pk_mul_f32 v[4:5], v[12:13], v[4:5] op_sel_hi:[1,0]
	v_pk_add_f32 v[2:3], v[2:3], v[6:7]
	s_waitcnt vmcnt(2)
	v_pk_fma_f32 v[6:7], v[12:13], v[132:133], v[4:5] op_sel:[0,0,1] op_sel_hi:[1,1,0] neg_lo:[0,0,1] neg_hi:[0,0,1]
	v_pk_fma_f32 v[4:5], v[12:13], v[132:133], v[4:5] op_sel:[0,0,1] op_sel_hi:[1,0,0]
	s_waitcnt vmcnt(1)
	v_mov_b32_e32 v4, v135
	v_mov_b32_e32 v7, v5
	s_waitcnt lgkmcnt(0)
	v_pk_mul_f32 v[4:5], v[14:15], v[4:5] op_sel_hi:[1,0]
	v_pk_add_f32 v[2:3], v[2:3], v[6:7]
	s_waitcnt vmcnt(0)
	v_pk_fma_f32 v[6:7], v[14:15], v[134:135], v[4:5] op_sel:[0,0,1] op_sel_hi:[1,1,0] neg_lo:[0,0,1] neg_hi:[0,0,1]
	v_pk_fma_f32 v[4:5], v[14:15], v[134:135], v[4:5] op_sel:[0,0,1] op_sel_hi:[1,0,0]
	v_mov_b32_e32 v7, v5
	v_pk_add_f32 v[2:3], v[2:3], v[6:7]
	v_pk_add_f32 v[2:3], v[94:95], v[2:3] neg_lo:[0,1] neg_hi:[0,1]
	buffer_store_dword v3, off, s[0:3], 0 offset:116
	buffer_store_dword v2, off, s[0:3], 0 offset:112
	s_and_saveexec_b64 s[4:5], vcc
	s_cbranch_execz .LBB101_215
; %bb.214:
	buffer_load_dword v2, off, s[0:3], 0 offset:104
	buffer_load_dword v3, off, s[0:3], 0 offset:108
	s_waitcnt vmcnt(0)
	ds_write_b64 v1, v[2:3]
	buffer_store_dword v96, off, s[0:3], 0 offset:104
	buffer_store_dword v96, off, s[0:3], 0 offset:108
.LBB101_215:
	s_or_b64 exec, exec, s[4:5]
	s_waitcnt lgkmcnt(0)
	; wave barrier
	s_waitcnt lgkmcnt(0)
	buffer_load_dword v94, off, s[0:3], 0 offset:116
	buffer_load_dword v95, off, s[0:3], 0 offset:124
	;; [unrolled: 1-line block ×34, first 2 shown]
	ds_read_b128 v[4:7], v96 offset:416
	ds_read_b128 v[8:11], v96 offset:432
	;; [unrolled: 1-line block ×8, first 2 shown]
	buffer_load_dword v17, off, s[0:3], 0 offset:260
	buffer_load_dword v16, off, s[0:3], 0 offset:256
	;; [unrolled: 1-line block ×10, first 2 shown]
	v_cmp_lt_u32_e32 vcc, 12, v0
	s_waitcnt vmcnt(43) lgkmcnt(7)
	v_mul_f32_e32 v122, v4, v94
	s_waitcnt vmcnt(42)
	v_mul_f32_e32 v126, v6, v95
	s_waitcnt vmcnt(41) lgkmcnt(6)
	v_mul_f32_e32 v128, v8, v97
	s_waitcnt vmcnt(40)
	v_mul_f32_e32 v129, v10, v130
	;; [unrolled: 4-line block ×7, first 2 shown]
	s_waitcnt vmcnt(29)
	v_fmac_f32_e32 v122, v5, v146
	s_waitcnt vmcnt(28)
	v_fmac_f32_e32 v126, v7, v147
	v_add_f32_e32 v122, 0, v122
	s_waitcnt vmcnt(27)
	v_fmac_f32_e32 v128, v9, v148
	v_add_f32_e32 v122, v122, v126
	s_waitcnt vmcnt(26)
	v_fmac_f32_e32 v129, v11, v149
	v_add_f32_e32 v122, v122, v128
	s_waitcnt vmcnt(25)
	v_fmac_f32_e32 v131, v13, v150
	v_add_f32_e32 v122, v122, v129
	s_waitcnt vmcnt(24)
	v_fmac_f32_e32 v133, v15, v151
	v_add_f32_e32 v122, v122, v131
	s_waitcnt vmcnt(23)
	v_fmac_f32_e32 v135, v99, v152
	v_add_f32_e32 v122, v122, v133
	s_waitcnt vmcnt(22)
	v_fmac_f32_e32 v136, v101, v153
	v_add_f32_e32 v122, v122, v135
	s_waitcnt vmcnt(21)
	v_fmac_f32_e32 v137, v103, v154
	v_add_f32_e32 v122, v122, v136
	s_waitcnt vmcnt(20)
	v_fmac_f32_e32 v164, v105, v155
	v_add_f32_e32 v122, v122, v137
	s_waitcnt vmcnt(19)
	v_fmac_f32_e32 v165, v107, v156
	v_add_f32_e32 v122, v122, v164
	s_waitcnt vmcnt(18)
	v_fmac_f32_e32 v166, v109, v157
	v_add_f32_e32 v122, v122, v165
	s_waitcnt vmcnt(17)
	v_fmac_f32_e32 v167, v111, v158
	v_add_f32_e32 v122, v122, v166
	v_add_f32_e32 v131, v122, v167
	buffer_load_dword v126, off, s[0:3], 0 offset:280
	buffer_load_dword v129, off, s[0:3], 0 offset:276
	;; [unrolled: 1-line block ×6, first 2 shown]
	v_mul_f32_e32 v5, v5, v94
	v_fma_f32 v4, v4, v146, -v5
	v_mul_f32_e32 v5, v7, v95
	v_add_f32_e32 v4, 0, v4
	v_fma_f32 v5, v6, v147, -v5
	v_add_f32_e32 v4, v4, v5
	v_mul_f32_e32 v5, v9, v97
	v_fma_f32 v5, v8, v148, -v5
	v_add_f32_e32 v4, v4, v5
	v_mul_f32_e32 v5, v11, v130
	v_fma_f32 v5, v10, v149, -v5
	v_add_f32_e32 v4, v4, v5
	v_mul_f32_e32 v5, v13, v132
	v_fma_f32 v5, v12, v150, -v5
	v_add_f32_e32 v4, v4, v5
	v_mul_f32_e32 v5, v15, v134
	v_fma_f32 v5, v14, v151, -v5
	v_add_f32_e32 v4, v4, v5
	v_mul_f32_e32 v5, v99, v138
	v_fma_f32 v5, v98, v152, -v5
	v_add_f32_e32 v4, v4, v5
	v_mul_f32_e32 v5, v101, v139
	v_fma_f32 v5, v100, v153, -v5
	v_add_f32_e32 v4, v4, v5
	v_mul_f32_e32 v5, v103, v140
	v_fma_f32 v5, v102, v154, -v5
	v_add_f32_e32 v4, v4, v5
	v_mul_f32_e32 v5, v105, v141
	v_fma_f32 v5, v104, v155, -v5
	v_add_f32_e32 v4, v4, v5
	v_mul_f32_e32 v5, v107, v142
	v_fma_f32 v5, v106, v156, -v5
	v_add_f32_e32 v4, v4, v5
	v_mul_f32_e32 v5, v109, v143
	v_fma_f32 v5, v108, v157, -v5
	v_add_f32_e32 v4, v4, v5
	v_mul_f32_e32 v5, v111, v144
	v_fma_f32 v5, v110, v158, -v5
	v_add_f32_e32 v4, v4, v5
	v_mul_f32_e32 v5, v113, v145
	s_waitcnt vmcnt(22)
	v_fma_f32 v5, v112, v159, -v5
	v_add_f32_e32 v130, v4, v5
	s_waitcnt vmcnt(21) lgkmcnt(0)
	v_mul_f32_e32 v4, v115, v160
	s_waitcnt vmcnt(20)
	v_fma_f32 v132, v114, v161, -v4
	s_waitcnt vmcnt(19)
	v_mul_f32_e32 v4, v117, v162
	s_waitcnt vmcnt(18)
	v_fma_f32 v134, v116, v163, -v4
	ds_read_b128 v[4:7], v96 offset:544
	ds_read_b128 v[8:11], v96 offset:560
	;; [unrolled: 1-line block ×4, first 2 shown]
	v_fmac_f32_e32 v168, v113, v159
	v_mul_f32_e32 v133, v114, v160
	s_waitcnt vmcnt(11)
	v_mov_b32_e32 v100, v121
	v_add_f32_e32 v131, v131, v168
	v_fmac_f32_e32 v133, v115, v161
	v_mul_f32_e32 v135, v116, v162
	s_waitcnt lgkmcnt(3)
	v_pk_mul_f32 v[100:101], v[4:5], v[100:101] op_sel_hi:[1,0]
	v_fmac_f32_e32 v135, v117, v163
	v_pk_add_f32 v[98:99], v[130:131], v[132:133]
	s_waitcnt vmcnt(10)
	v_pk_fma_f32 v[102:103], v[4:5], v[120:121], v[100:101] op_sel:[0,0,1] op_sel_hi:[1,1,0] neg_lo:[0,0,1] neg_hi:[0,0,1]
	v_pk_fma_f32 v[4:5], v[4:5], v[120:121], v[100:101] op_sel:[0,0,1] op_sel_hi:[1,0,0]
	v_pk_add_f32 v[98:99], v[98:99], v[134:135]
	v_mov_b32_e32 v103, v5
	v_pk_add_f32 v[4:5], v[98:99], v[102:103]
	v_mov_b32_e32 v98, v119
	v_pk_mul_f32 v[98:99], v[6:7], v[98:99] op_sel_hi:[1,0]
	v_pk_fma_f32 v[100:101], v[6:7], v[118:119], v[98:99] op_sel:[0,0,1] op_sel_hi:[1,1,0] neg_lo:[0,0,1] neg_hi:[0,0,1]
	v_pk_fma_f32 v[6:7], v[6:7], v[118:119], v[98:99] op_sel:[0,0,1] op_sel_hi:[1,0,0]
	v_mov_b32_e32 v6, v17
	v_mov_b32_e32 v101, v7
	s_waitcnt lgkmcnt(2)
	v_pk_mul_f32 v[6:7], v[8:9], v[6:7] op_sel_hi:[1,0]
	v_pk_fma_f32 v[98:99], v[8:9], v[16:17], v[6:7] op_sel:[0,0,1] op_sel_hi:[1,1,0] neg_lo:[0,0,1] neg_hi:[0,0,1]
	v_pk_fma_f32 v[6:7], v[8:9], v[16:17], v[6:7] op_sel:[0,0,1] op_sel_hi:[1,0,0]
	s_waitcnt vmcnt(9)
	v_mov_b32_e32 v6, v123
	v_mov_b32_e32 v99, v7
	v_pk_mul_f32 v[6:7], v[10:11], v[6:7] op_sel_hi:[1,0]
	v_pk_add_f32 v[4:5], v[4:5], v[100:101]
	v_pk_add_f32 v[4:5], v[4:5], v[98:99]
	s_waitcnt vmcnt(2)
	v_pk_fma_f32 v[8:9], v[10:11], v[122:123], v[6:7] op_sel:[0,0,1] op_sel_hi:[1,1,0] neg_lo:[0,0,1] neg_hi:[0,0,1]
	v_pk_fma_f32 v[6:7], v[10:11], v[122:123], v[6:7] op_sel:[0,0,1] op_sel_hi:[1,0,0]
	v_mov_b32_e32 v6, v129
	v_mov_b32_e32 v9, v7
	s_waitcnt lgkmcnt(1)
	v_pk_mul_f32 v[6:7], v[12:13], v[6:7] op_sel_hi:[1,0]
	v_pk_add_f32 v[4:5], v[4:5], v[8:9]
	v_pk_fma_f32 v[8:9], v[12:13], v[128:129], v[6:7] op_sel:[0,0,1] op_sel_hi:[1,1,0] neg_lo:[0,0,1] neg_hi:[0,0,1]
	v_pk_fma_f32 v[6:7], v[12:13], v[128:129], v[6:7] op_sel:[0,0,1] op_sel_hi:[1,0,0]
	v_mov_b32_e32 v6, v127
	v_mov_b32_e32 v9, v7
	v_pk_mul_f32 v[6:7], v[14:15], v[6:7] op_sel_hi:[1,0]
	v_pk_add_f32 v[4:5], v[4:5], v[8:9]
	v_pk_fma_f32 v[8:9], v[14:15], v[126:127], v[6:7] op_sel:[0,0,1] op_sel_hi:[1,1,0] neg_lo:[0,0,1] neg_hi:[0,0,1]
	v_pk_fma_f32 v[6:7], v[14:15], v[126:127], v[6:7] op_sel:[0,0,1] op_sel_hi:[1,0,0]
	v_mov_b32_e32 v6, v125
	v_mov_b32_e32 v9, v7
	s_waitcnt lgkmcnt(0)
	v_pk_mul_f32 v[6:7], v[94:95], v[6:7] op_sel_hi:[1,0]
	v_pk_add_f32 v[4:5], v[4:5], v[8:9]
	v_pk_fma_f32 v[8:9], v[94:95], v[124:125], v[6:7] op_sel:[0,0,1] op_sel_hi:[1,1,0] neg_lo:[0,0,1] neg_hi:[0,0,1]
	v_pk_fma_f32 v[6:7], v[94:95], v[124:125], v[6:7] op_sel:[0,0,1] op_sel_hi:[1,0,0]
	s_waitcnt vmcnt(1)
	v_mov_b32_e32 v6, v137
	v_mov_b32_e32 v9, v7
	v_pk_mul_f32 v[6:7], v[96:97], v[6:7] op_sel_hi:[1,0]
	v_pk_add_f32 v[4:5], v[4:5], v[8:9]
	s_waitcnt vmcnt(0)
	v_pk_fma_f32 v[8:9], v[96:97], v[136:137], v[6:7] op_sel:[0,0,1] op_sel_hi:[1,1,0] neg_lo:[0,0,1] neg_hi:[0,0,1]
	v_pk_fma_f32 v[6:7], v[96:97], v[136:137], v[6:7] op_sel:[0,0,1] op_sel_hi:[1,0,0]
	v_mov_b32_e32 v9, v7
	v_pk_add_f32 v[4:5], v[4:5], v[8:9]
	v_pk_add_f32 v[2:3], v[2:3], v[4:5] neg_lo:[0,1] neg_hi:[0,1]
	buffer_store_dword v3, off, s[0:3], 0 offset:108
	buffer_store_dword v2, off, s[0:3], 0 offset:104
	s_and_saveexec_b64 s[4:5], vcc
	s_cbranch_execz .LBB101_217
; %bb.216:
	buffer_load_dword v2, off, s[0:3], 0 offset:96
	buffer_load_dword v3, off, s[0:3], 0 offset:100
	v_mov_b32_e32 v4, 0
	buffer_store_dword v4, off, s[0:3], 0 offset:96
	buffer_store_dword v4, off, s[0:3], 0 offset:100
	s_waitcnt vmcnt(2)
	ds_write_b64 v1, v[2:3]
.LBB101_217:
	s_or_b64 exec, exec, s[4:5]
	s_waitcnt lgkmcnt(0)
	; wave barrier
	s_waitcnt lgkmcnt(0)
	buffer_load_dword v5, off, s[0:3], 0 offset:108
	buffer_load_dword v134, off, s[0:3], 0 offset:116
	buffer_load_dword v136, off, s[0:3], 0 offset:124
	buffer_load_dword v138, off, s[0:3], 0 offset:132
	buffer_load_dword v144, off, s[0:3], 0 offset:140
	buffer_load_dword v145, off, s[0:3], 0 offset:148
	buffer_load_dword v146, off, s[0:3], 0 offset:156
	buffer_load_dword v147, off, s[0:3], 0 offset:164
	buffer_load_dword v148, off, s[0:3], 0 offset:172
	buffer_load_dword v149, off, s[0:3], 0 offset:180
	buffer_load_dword v150, off, s[0:3], 0 offset:188
	buffer_load_dword v151, off, s[0:3], 0 offset:196
	buffer_load_dword v152, off, s[0:3], 0 offset:204
	buffer_load_dword v153, off, s[0:3], 0 offset:212
	buffer_load_dword v154, off, s[0:3], 0 offset:220
	buffer_load_dword v155, off, s[0:3], 0 offset:104
	buffer_load_dword v156, off, s[0:3], 0 offset:112
	buffer_load_dword v157, off, s[0:3], 0 offset:120
	buffer_load_dword v158, off, s[0:3], 0 offset:128
	buffer_load_dword v159, off, s[0:3], 0 offset:136
	buffer_load_dword v160, off, s[0:3], 0 offset:144
	buffer_load_dword v161, off, s[0:3], 0 offset:152
	buffer_load_dword v162, off, s[0:3], 0 offset:160
	buffer_load_dword v163, off, s[0:3], 0 offset:168
	buffer_load_dword v164, off, s[0:3], 0 offset:176
	buffer_load_dword v165, off, s[0:3], 0 offset:184
	buffer_load_dword v166, off, s[0:3], 0 offset:192
	buffer_load_dword v167, off, s[0:3], 0 offset:200
	buffer_load_dword v168, off, s[0:3], 0 offset:208
	buffer_load_dword v169, off, s[0:3], 0 offset:216
	buffer_load_dword v170, off, s[0:3], 0 offset:228
	buffer_load_dword v171, off, s[0:3], 0 offset:224
	buffer_load_dword v172, off, s[0:3], 0 offset:236
	buffer_load_dword v173, off, s[0:3], 0 offset:232
	buffer_load_dword v2, off, s[0:3], 0 offset:96
	buffer_load_dword v3, off, s[0:3], 0 offset:100
	v_mov_b32_e32 v4, 0
	buffer_load_dword v123, off, s[0:3], 0 offset:252
	buffer_load_dword v122, off, s[0:3], 0 offset:248
	buffer_load_dword v125, off, s[0:3], 0 offset:244
	buffer_load_dword v124, off, s[0:3], 0 offset:240
	buffer_load_dword v127, off, s[0:3], 0 offset:260
	ds_read2_b64 v[6:9], v4 offset0:51 offset1:52
	ds_read2_b64 v[10:13], v4 offset0:53 offset1:54
	;; [unrolled: 1-line block ×8, first 2 shown]
	v_cmp_lt_u32_e32 vcc, 11, v0
	s_waitcnt vmcnt(40) lgkmcnt(7)
	v_mul_f32_e32 v114, v6, v5
	s_waitcnt vmcnt(39)
	v_mul_f32_e32 v115, v8, v134
	s_waitcnt vmcnt(38) lgkmcnt(6)
	v_mul_f32_e32 v116, v10, v136
	s_waitcnt vmcnt(37)
	v_mul_f32_e32 v117, v12, v138
	s_waitcnt vmcnt(36) lgkmcnt(5)
	v_mul_f32_e32 v118, v14, v144
	s_waitcnt vmcnt(35)
	v_mul_f32_e32 v119, v16, v145
	s_waitcnt vmcnt(34) lgkmcnt(4)
	v_mul_f32_e32 v120, v94, v146
	s_waitcnt vmcnt(33)
	v_mul_f32_e32 v121, v96, v147
	s_waitcnt vmcnt(32) lgkmcnt(3)
	v_mul_f32_e32 v126, v98, v148
	s_waitcnt vmcnt(31)
	v_mul_f32_e32 v128, v100, v149
	s_waitcnt vmcnt(30) lgkmcnt(2)
	v_mul_f32_e32 v129, v102, v150
	s_waitcnt vmcnt(29)
	v_mul_f32_e32 v130, v104, v151
	s_waitcnt vmcnt(28) lgkmcnt(1)
	v_mul_f32_e32 v131, v106, v152
	s_waitcnt vmcnt(27)
	v_mul_f32_e32 v132, v108, v153
	s_waitcnt vmcnt(26) lgkmcnt(0)
	v_mul_f32_e32 v135, v110, v154
	s_waitcnt vmcnt(25)
	v_fmac_f32_e32 v114, v7, v155
	s_waitcnt vmcnt(24)
	v_fmac_f32_e32 v115, v9, v156
	v_add_f32_e32 v114, 0, v114
	s_waitcnt vmcnt(23)
	v_fmac_f32_e32 v116, v11, v157
	v_add_f32_e32 v114, v114, v115
	;; [unrolled: 3-line block ×13, first 2 shown]
	v_add_f32_e32 v118, v114, v132
	buffer_load_dword v129, off, s[0:3], 0 offset:284
	buffer_load_dword v128, off, s[0:3], 0 offset:280
	;; [unrolled: 1-line block ×7, first 2 shown]
	s_waitcnt vmcnt(18)
	v_fmac_f32_e32 v135, v111, v169
	ds_read2_b64 v[114:117], v4 offset0:67 offset1:68
	v_add_f32_e32 v135, v118, v135
	ds_read2_b64 v[118:121], v4 offset0:69 offset1:70
	buffer_load_dword v141, off, s[0:3], 0 offset:300
	buffer_load_dword v140, off, s[0:3], 0 offset:296
	;; [unrolled: 1-line block ×4, first 2 shown]
	v_mul_f32_e32 v5, v7, v5
	v_fma_f32 v5, v6, v155, -v5
	v_mul_f32_e32 v6, v9, v134
	v_add_f32_e32 v5, 0, v5
	v_fma_f32 v6, v8, v156, -v6
	v_add_f32_e32 v5, v5, v6
	v_mul_f32_e32 v6, v11, v136
	v_fma_f32 v6, v10, v157, -v6
	v_add_f32_e32 v5, v5, v6
	v_mul_f32_e32 v6, v13, v138
	;; [unrolled: 3-line block ×13, first 2 shown]
	v_fma_f32 v6, v110, v169, -v6
	s_waitcnt vmcnt(13)
	v_mov_b32_e32 v94, v125
	v_mul_f32_e32 v137, v112, v170
	v_add_f32_e32 v134, v5, v6
	v_mul_f32_e32 v5, v113, v170
	s_waitcnt lgkmcnt(1)
	v_pk_mul_f32 v[94:95], v[116:117], v[94:95] op_sel_hi:[1,0]
	v_fmac_f32_e32 v137, v113, v171
	v_mul_f32_e32 v139, v114, v172
	v_fma_f32 v136, v112, v171, -v5
	v_mul_f32_e32 v5, v115, v172
	s_waitcnt vmcnt(12)
	v_pk_fma_f32 v[96:97], v[116:117], v[124:125], v[94:95] op_sel:[0,0,1] op_sel_hi:[1,1,0] neg_lo:[0,0,1] neg_hi:[0,0,1]
	v_pk_fma_f32 v[94:95], v[116:117], v[124:125], v[94:95] op_sel:[0,0,1] op_sel_hi:[1,0,0]
	v_fmac_f32_e32 v139, v115, v173
	v_fma_f32 v138, v114, v173, -v5
	v_pk_add_f32 v[16:17], v[134:135], v[136:137]
	v_mov_b32_e32 v94, v123
	v_pk_add_f32 v[16:17], v[16:17], v[138:139]
	v_mov_b32_e32 v97, v95
	s_waitcnt lgkmcnt(0)
	v_pk_mul_f32 v[94:95], v[118:119], v[94:95] op_sel_hi:[1,0]
	v_pk_add_f32 v[16:17], v[16:17], v[96:97]
	v_pk_fma_f32 v[96:97], v[118:119], v[122:123], v[94:95] op_sel:[0,0,1] op_sel_hi:[1,1,0] neg_lo:[0,0,1] neg_hi:[0,0,1]
	v_pk_fma_f32 v[94:95], v[118:119], v[122:123], v[94:95] op_sel:[0,0,1] op_sel_hi:[1,0,0]
	s_waitcnt vmcnt(11)
	v_mov_b32_e32 v94, v127
	ds_read2_b64 v[6:9], v4 offset0:71 offset1:72
	ds_read2_b64 v[10:13], v4 offset0:73 offset1:74
	ds_read_b64 v[14:15], v4 offset:600
	v_mov_b32_e32 v97, v95
	v_pk_mul_f32 v[94:95], v[120:121], v[94:95] op_sel_hi:[1,0]
	v_pk_add_f32 v[16:17], v[16:17], v[96:97]
	s_waitcnt vmcnt(4)
	v_pk_fma_f32 v[96:97], v[120:121], v[126:127], v[94:95] op_sel:[0,0,1] op_sel_hi:[1,1,0] neg_lo:[0,0,1] neg_hi:[0,0,1]
	v_pk_fma_f32 v[94:95], v[120:121], v[126:127], v[94:95] op_sel:[0,0,1] op_sel_hi:[1,0,0]
	v_mov_b32_e32 v94, v133
	v_mov_b32_e32 v97, v95
	s_waitcnt lgkmcnt(2)
	v_pk_mul_f32 v[94:95], v[6:7], v[94:95] op_sel_hi:[1,0]
	v_pk_add_f32 v[16:17], v[16:17], v[96:97]
	v_pk_fma_f32 v[96:97], v[6:7], v[132:133], v[94:95] op_sel:[0,0,1] op_sel_hi:[1,1,0] neg_lo:[0,0,1] neg_hi:[0,0,1]
	v_pk_fma_f32 v[6:7], v[6:7], v[132:133], v[94:95] op_sel:[0,0,1] op_sel_hi:[1,0,0]
	v_mov_b32_e32 v97, v7
	v_pk_add_f32 v[6:7], v[16:17], v[96:97]
	v_mov_b32_e32 v16, v131
	v_pk_mul_f32 v[16:17], v[8:9], v[16:17] op_sel_hi:[1,0]
	v_pk_fma_f32 v[94:95], v[8:9], v[130:131], v[16:17] op_sel:[0,0,1] op_sel_hi:[1,1,0] neg_lo:[0,0,1] neg_hi:[0,0,1]
	v_pk_fma_f32 v[8:9], v[8:9], v[130:131], v[16:17] op_sel:[0,0,1] op_sel_hi:[1,0,0]
	v_mov_b32_e32 v8, v129
	v_mov_b32_e32 v95, v9
	s_waitcnt lgkmcnt(1)
	v_pk_mul_f32 v[8:9], v[10:11], v[8:9] op_sel_hi:[1,0]
	v_pk_fma_f32 v[16:17], v[10:11], v[128:129], v[8:9] op_sel:[0,0,1] op_sel_hi:[1,1,0] neg_lo:[0,0,1] neg_hi:[0,0,1]
	v_pk_fma_f32 v[8:9], v[10:11], v[128:129], v[8:9] op_sel:[0,0,1] op_sel_hi:[1,0,0]
	s_waitcnt vmcnt(1)
	v_mov_b32_e32 v8, v143
	v_mov_b32_e32 v17, v9
	v_pk_mul_f32 v[8:9], v[12:13], v[8:9] op_sel_hi:[1,0]
	s_waitcnt vmcnt(0)
	v_pk_fma_f32 v[10:11], v[12:13], v[142:143], v[8:9] op_sel:[0,0,1] op_sel_hi:[1,1,0] neg_lo:[0,0,1] neg_hi:[0,0,1]
	v_pk_fma_f32 v[8:9], v[12:13], v[142:143], v[8:9] op_sel:[0,0,1] op_sel_hi:[1,0,0]
	v_pk_add_f32 v[6:7], v[6:7], v[94:95]
	v_mov_b32_e32 v8, v141
	v_pk_add_f32 v[6:7], v[6:7], v[16:17]
	v_mov_b32_e32 v11, v9
	s_waitcnt lgkmcnt(0)
	v_pk_mul_f32 v[8:9], v[14:15], v[8:9] op_sel_hi:[1,0]
	v_pk_add_f32 v[6:7], v[6:7], v[10:11]
	v_pk_fma_f32 v[10:11], v[14:15], v[140:141], v[8:9] op_sel:[0,0,1] op_sel_hi:[1,1,0] neg_lo:[0,0,1] neg_hi:[0,0,1]
	v_pk_fma_f32 v[8:9], v[14:15], v[140:141], v[8:9] op_sel:[0,0,1] op_sel_hi:[1,0,0]
	v_mov_b32_e32 v11, v9
	v_pk_add_f32 v[6:7], v[6:7], v[10:11]
	v_pk_add_f32 v[2:3], v[2:3], v[6:7] neg_lo:[0,1] neg_hi:[0,1]
	buffer_store_dword v3, off, s[0:3], 0 offset:100
	buffer_store_dword v2, off, s[0:3], 0 offset:96
	s_and_saveexec_b64 s[4:5], vcc
	s_cbranch_execz .LBB101_219
; %bb.218:
	buffer_load_dword v2, off, s[0:3], 0 offset:88
	buffer_load_dword v3, off, s[0:3], 0 offset:92
	s_waitcnt vmcnt(0)
	ds_write_b64 v1, v[2:3]
	buffer_store_dword v4, off, s[0:3], 0 offset:88
	buffer_store_dword v4, off, s[0:3], 0 offset:92
.LBB101_219:
	s_or_b64 exec, exec, s[4:5]
	s_waitcnt lgkmcnt(0)
	; wave barrier
	s_waitcnt lgkmcnt(0)
	buffer_load_dword v2, off, s[0:3], 0 offset:100
	buffer_load_dword v3, off, s[0:3], 0 offset:108
	;; [unrolled: 1-line block ×38, first 2 shown]
	ds_read_b128 v[6:9], v4 offset:400
	ds_read_b128 v[10:13], v4 offset:416
	;; [unrolled: 1-line block ×8, first 2 shown]
	buffer_load_dword v125, off, s[0:3], 0 offset:244
	buffer_load_dword v124, off, s[0:3], 0 offset:240
	;; [unrolled: 1-line block ×4, first 2 shown]
	v_cmp_lt_u32_e32 vcc, 10, v0
	s_waitcnt vmcnt(41) lgkmcnt(7)
	v_mul_f32_e32 v114, v6, v2
	s_waitcnt vmcnt(40)
	v_mul_f32_e32 v115, v8, v3
	s_waitcnt vmcnt(39) lgkmcnt(6)
	v_mul_f32_e32 v116, v10, v5
	s_waitcnt vmcnt(38)
	v_mul_f32_e32 v117, v12, v134
	;; [unrolled: 4-line block ×7, first 2 shown]
	s_waitcnt vmcnt(27) lgkmcnt(0)
	v_mul_f32_e32 v135, v110, v154
	s_waitcnt vmcnt(26)
	v_fmac_f32_e32 v114, v7, v155
	s_waitcnt vmcnt(25)
	v_fmac_f32_e32 v115, v9, v156
	v_add_f32_e32 v114, 0, v114
	s_waitcnt vmcnt(24)
	v_fmac_f32_e32 v116, v11, v157
	v_add_f32_e32 v114, v114, v115
	;; [unrolled: 3-line block ×13, first 2 shown]
	v_add_f32_e32 v114, v114, v133
	buffer_load_dword v129, off, s[0:3], 0 offset:268
	buffer_load_dword v128, off, s[0:3], 0 offset:264
	;; [unrolled: 1-line block ×6, first 2 shown]
	s_waitcnt vmcnt(18)
	v_fmac_f32_e32 v135, v111, v169
	s_waitcnt vmcnt(17)
	v_mul_f32_e32 v119, v112, v170
	v_add_f32_e32 v118, v114, v135
	s_waitcnt vmcnt(16)
	v_fmac_f32_e32 v119, v113, v171
	ds_read_b128 v[114:117], v4 offset:528
	v_add_f32_e32 v135, v118, v119
	ds_read_b128 v[118:121], v4 offset:544
	buffer_load_dword v141, off, s[0:3], 0 offset:300
	buffer_load_dword v140, off, s[0:3], 0 offset:296
	;; [unrolled: 1-line block ×6, first 2 shown]
	v_mul_f32_e32 v2, v7, v2
	v_fma_f32 v2, v6, v155, -v2
	v_mul_f32_e32 v3, v9, v3
	v_add_f32_e32 v2, 0, v2
	v_fma_f32 v3, v8, v156, -v3
	v_add_f32_e32 v2, v2, v3
	v_mul_f32_e32 v3, v11, v5
	v_fma_f32 v3, v10, v157, -v3
	v_add_f32_e32 v2, v2, v3
	v_mul_f32_e32 v3, v13, v134
	;; [unrolled: 3-line block ×14, first 2 shown]
	v_fma_f32 v3, v112, v171, -v3
	s_waitcnt vmcnt(15)
	v_mov_b32_e32 v16, v125
	s_waitcnt lgkmcnt(1)
	v_mul_f32_e32 v137, v114, v172
	v_add_f32_e32 v134, v2, v3
	v_mul_f32_e32 v2, v115, v172
	s_waitcnt lgkmcnt(0)
	v_pk_mul_f32 v[16:17], v[118:119], v[16:17] op_sel_hi:[1,0]
	v_fmac_f32_e32 v137, v115, v173
	v_mul_f32_e32 v139, v116, v174
	v_fma_f32 v136, v114, v173, -v2
	v_mul_f32_e32 v2, v117, v174
	s_waitcnt vmcnt(14)
	v_pk_fma_f32 v[94:95], v[118:119], v[124:125], v[16:17] op_sel:[0,0,1] op_sel_hi:[1,1,0] neg_lo:[0,0,1] neg_hi:[0,0,1]
	v_pk_fma_f32 v[16:17], v[118:119], v[124:125], v[16:17] op_sel:[0,0,1] op_sel_hi:[1,0,0]
	v_fmac_f32_e32 v139, v117, v175
	v_fma_f32 v138, v116, v175, -v2
	v_pk_add_f32 v[14:15], v[134:135], v[136:137]
	ds_read_b128 v[6:9], v4 offset:560
	ds_read_b128 v[10:13], v4 offset:576
	;; [unrolled: 1-line block ×3, first 2 shown]
	v_pk_add_f32 v[14:15], v[14:15], v[138:139]
	v_mov_b32_e32 v95, v17
	v_pk_add_f32 v[14:15], v[14:15], v[94:95]
	s_waitcnt vmcnt(7)
	v_mov_b32_e32 v16, v133
	v_pk_mul_f32 v[16:17], v[120:121], v[16:17] op_sel_hi:[1,0]
	s_waitcnt vmcnt(6)
	v_pk_fma_f32 v[94:95], v[120:121], v[132:133], v[16:17] op_sel:[0,0,1] op_sel_hi:[1,1,0] neg_lo:[0,0,1] neg_hi:[0,0,1]
	v_pk_fma_f32 v[16:17], v[120:121], v[132:133], v[16:17] op_sel:[0,0,1] op_sel_hi:[1,0,0]
	v_mov_b32_e32 v16, v131
	v_mov_b32_e32 v95, v17
	s_waitcnt lgkmcnt(2)
	v_pk_mul_f32 v[16:17], v[6:7], v[16:17] op_sel_hi:[1,0]
	v_pk_add_f32 v[14:15], v[14:15], v[94:95]
	v_pk_fma_f32 v[94:95], v[6:7], v[130:131], v[16:17] op_sel:[0,0,1] op_sel_hi:[1,1,0] neg_lo:[0,0,1] neg_hi:[0,0,1]
	v_pk_fma_f32 v[6:7], v[6:7], v[130:131], v[16:17] op_sel:[0,0,1] op_sel_hi:[1,0,0]
	v_mov_b32_e32 v95, v7
	v_pk_add_f32 v[6:7], v[14:15], v[94:95]
	v_mov_b32_e32 v14, v129
	v_pk_mul_f32 v[14:15], v[8:9], v[14:15] op_sel_hi:[1,0]
	v_pk_fma_f32 v[16:17], v[8:9], v[128:129], v[14:15] op_sel:[0,0,1] op_sel_hi:[1,1,0] neg_lo:[0,0,1] neg_hi:[0,0,1]
	v_pk_fma_f32 v[8:9], v[8:9], v[128:129], v[14:15] op_sel:[0,0,1] op_sel_hi:[1,0,0]
	v_mov_b32_e32 v8, v127
	v_mov_b32_e32 v17, v9
	s_waitcnt lgkmcnt(1)
	v_pk_mul_f32 v[8:9], v[10:11], v[8:9] op_sel_hi:[1,0]
	v_pk_fma_f32 v[14:15], v[10:11], v[126:127], v[8:9] op_sel:[0,0,1] op_sel_hi:[1,1,0] neg_lo:[0,0,1] neg_hi:[0,0,1]
	v_pk_fma_f32 v[8:9], v[10:11], v[126:127], v[8:9] op_sel:[0,0,1] op_sel_hi:[1,0,0]
	s_waitcnt vmcnt(1)
	v_mov_b32_e32 v8, v145
	v_mov_b32_e32 v15, v9
	v_pk_mul_f32 v[8:9], v[12:13], v[8:9] op_sel_hi:[1,0]
	s_waitcnt vmcnt(0)
	v_pk_fma_f32 v[10:11], v[12:13], v[144:145], v[8:9] op_sel:[0,0,1] op_sel_hi:[1,1,0] neg_lo:[0,0,1] neg_hi:[0,0,1]
	v_pk_fma_f32 v[8:9], v[12:13], v[144:145], v[8:9] op_sel:[0,0,1] op_sel_hi:[1,0,0]
	v_pk_add_f32 v[6:7], v[6:7], v[16:17]
	v_mov_b32_e32 v8, v143
	v_pk_add_f32 v[6:7], v[6:7], v[14:15]
	v_mov_b32_e32 v11, v9
	s_waitcnt lgkmcnt(0)
	v_pk_mul_f32 v[8:9], v[2:3], v[8:9] op_sel_hi:[1,0]
	v_pk_add_f32 v[6:7], v[6:7], v[10:11]
	v_pk_fma_f32 v[10:11], v[2:3], v[142:143], v[8:9] op_sel:[0,0,1] op_sel_hi:[1,1,0] neg_lo:[0,0,1] neg_hi:[0,0,1]
	v_pk_fma_f32 v[2:3], v[2:3], v[142:143], v[8:9] op_sel:[0,0,1] op_sel_hi:[1,0,0]
	v_mov_b32_e32 v11, v3
	v_pk_add_f32 v[2:3], v[6:7], v[10:11]
	v_mov_b32_e32 v6, v141
	v_pk_mul_f32 v[6:7], v[4:5], v[6:7] op_sel_hi:[1,0]
	v_pk_fma_f32 v[8:9], v[4:5], v[140:141], v[6:7] op_sel:[0,0,1] op_sel_hi:[1,1,0] neg_lo:[0,0,1] neg_hi:[0,0,1]
	v_pk_fma_f32 v[4:5], v[4:5], v[140:141], v[6:7] op_sel:[0,0,1] op_sel_hi:[1,0,0]
	v_mov_b32_e32 v9, v5
	v_pk_add_f32 v[2:3], v[2:3], v[8:9]
	v_pk_add_f32 v[2:3], v[122:123], v[2:3] neg_lo:[0,1] neg_hi:[0,1]
	buffer_store_dword v3, off, s[0:3], 0 offset:92
	buffer_store_dword v2, off, s[0:3], 0 offset:88
	s_and_saveexec_b64 s[4:5], vcc
	s_cbranch_execz .LBB101_221
; %bb.220:
	buffer_load_dword v2, off, s[0:3], 0 offset:80
	buffer_load_dword v3, off, s[0:3], 0 offset:84
	v_mov_b32_e32 v4, 0
	buffer_store_dword v4, off, s[0:3], 0 offset:80
	buffer_store_dword v4, off, s[0:3], 0 offset:84
	s_waitcnt vmcnt(2)
	ds_write_b64 v1, v[2:3]
.LBB101_221:
	s_or_b64 exec, exec, s[4:5]
	s_waitcnt lgkmcnt(0)
	; wave barrier
	s_waitcnt lgkmcnt(0)
	buffer_load_dword v5, off, s[0:3], 0 offset:92
	buffer_load_dword v130, off, s[0:3], 0 offset:100
	;; [unrolled: 1-line block ×40, first 2 shown]
	v_mov_b32_e32 v4, 0
	ds_read2_b64 v[6:9], v4 offset0:49 offset1:50
	ds_read2_b64 v[10:13], v4 offset0:51 offset1:52
	;; [unrolled: 1-line block ×8, first 2 shown]
	v_cmp_lt_u32_e32 vcc, 9, v0
	s_waitcnt vmcnt(39) lgkmcnt(7)
	v_mul_f32_e32 v114, v6, v5
	s_waitcnt vmcnt(38)
	v_mul_f32_e32 v115, v8, v130
	s_waitcnt vmcnt(37) lgkmcnt(6)
	v_mul_f32_e32 v116, v10, v132
	s_waitcnt vmcnt(36)
	v_mul_f32_e32 v117, v12, v134
	;; [unrolled: 4-line block ×8, first 2 shown]
	s_waitcnt vmcnt(23)
	v_fmac_f32_e32 v114, v7, v156
	s_waitcnt vmcnt(22)
	v_fmac_f32_e32 v115, v9, v157
	v_add_f32_e32 v114, 0, v114
	s_waitcnt vmcnt(21)
	v_fmac_f32_e32 v116, v11, v158
	v_add_f32_e32 v114, v114, v115
	;; [unrolled: 3-line block ×14, first 2 shown]
	v_add_f32_e32 v114, v114, v128
	s_waitcnt vmcnt(8)
	v_fmac_f32_e32 v129, v113, v171
	v_add_f32_e32 v131, v114, v129
	ds_read2_b64 v[114:117], v4 offset0:65 offset1:66
	buffer_load_dword v123, off, s[0:3], 0 offset:244
	buffer_load_dword v125, off, s[0:3], 0 offset:268
	;; [unrolled: 1-line block ×8, first 2 shown]
	ds_read2_b64 v[118:121], v4 offset0:67 offset1:68
	buffer_load_dword v137, off, s[0:3], 0 offset:300
	buffer_load_dword v136, off, s[0:3], 0 offset:296
	;; [unrolled: 1-line block ×8, first 2 shown]
	v_mul_f32_e32 v5, v7, v5
	v_fma_f32 v5, v6, v156, -v5
	v_mul_f32_e32 v6, v9, v130
	v_add_f32_e32 v5, 0, v5
	v_fma_f32 v6, v8, v157, -v6
	v_add_f32_e32 v5, v5, v6
	v_mul_f32_e32 v6, v11, v132
	v_fma_f32 v6, v10, v158, -v6
	v_add_f32_e32 v5, v5, v6
	v_mul_f32_e32 v6, v13, v134
	;; [unrolled: 3-line block ×14, first 2 shown]
	v_fma_f32 v6, v112, v171, -v6
	s_waitcnt vmcnt(23) lgkmcnt(1)
	v_mul_f32_e32 v133, v114, v172
	v_add_f32_e32 v5, v5, v6
	v_mul_f32_e32 v6, v115, v172
	s_waitcnt vmcnt(22)
	v_fmac_f32_e32 v133, v115, v173
	v_fma_f32 v6, v114, v173, -v6
	v_add_f32_e32 v131, v131, v133
	s_waitcnt vmcnt(21)
	v_mul_f32_e32 v133, v116, v174
	v_add_f32_e32 v130, v5, v6
	v_mul_f32_e32 v5, v117, v174
	s_waitcnt vmcnt(20)
	v_fmac_f32_e32 v133, v117, v175
	s_waitcnt vmcnt(19) lgkmcnt(0)
	v_mul_f32_e32 v135, v118, v176
	v_fma_f32 v132, v116, v175, -v5
	v_mul_f32_e32 v5, v119, v176
	ds_read2_b64 v[6:9], v4 offset0:69 offset1:70
	ds_read2_b64 v[10:13], v4 offset0:71 offset1:72
	;; [unrolled: 1-line block ×3, first 2 shown]
	ds_read_b64 v[94:95], v4 offset:600
	s_waitcnt vmcnt(18)
	v_fmac_f32_e32 v135, v119, v177
	v_fma_f32 v134, v118, v177, -v5
	v_pk_add_f32 v[96:97], v[130:131], v[132:133]
	v_pk_add_f32 v[96:97], v[96:97], v[134:135]
	s_waitcnt vmcnt(15)
	v_mov_b32_e32 v98, v123
	v_pk_mul_f32 v[98:99], v[120:121], v[98:99] op_sel_hi:[1,0]
	s_waitcnt vmcnt(8)
	v_pk_fma_f32 v[100:101], v[120:121], v[122:123], v[98:99] op_sel:[0,0,1] op_sel_hi:[1,1,0] neg_lo:[0,0,1] neg_hi:[0,0,1]
	v_pk_fma_f32 v[98:99], v[120:121], v[122:123], v[98:99] op_sel:[0,0,1] op_sel_hi:[1,0,0]
	v_mov_b32_e32 v98, v129
	v_mov_b32_e32 v101, v99
	s_waitcnt lgkmcnt(3)
	v_pk_mul_f32 v[98:99], v[6:7], v[98:99] op_sel_hi:[1,0]
	v_pk_add_f32 v[96:97], v[96:97], v[100:101]
	v_pk_fma_f32 v[100:101], v[6:7], v[128:129], v[98:99] op_sel:[0,0,1] op_sel_hi:[1,1,0] neg_lo:[0,0,1] neg_hi:[0,0,1]
	v_pk_fma_f32 v[6:7], v[6:7], v[128:129], v[98:99] op_sel:[0,0,1] op_sel_hi:[1,0,0]
	v_mov_b32_e32 v101, v7
	v_pk_add_f32 v[6:7], v[96:97], v[100:101]
	v_mov_b32_e32 v96, v127
	v_pk_mul_f32 v[96:97], v[8:9], v[96:97] op_sel_hi:[1,0]
	v_pk_fma_f32 v[98:99], v[8:9], v[126:127], v[96:97] op_sel:[0,0,1] op_sel_hi:[1,1,0] neg_lo:[0,0,1] neg_hi:[0,0,1]
	v_pk_fma_f32 v[8:9], v[8:9], v[126:127], v[96:97] op_sel:[0,0,1] op_sel_hi:[1,0,0]
	v_mov_b32_e32 v8, v125
	v_mov_b32_e32 v99, v9
	s_waitcnt lgkmcnt(2)
	v_pk_mul_f32 v[8:9], v[10:11], v[8:9] op_sel_hi:[1,0]
	v_pk_fma_f32 v[96:97], v[10:11], v[124:125], v[8:9] op_sel:[0,0,1] op_sel_hi:[1,1,0] neg_lo:[0,0,1] neg_hi:[0,0,1]
	v_pk_fma_f32 v[8:9], v[10:11], v[124:125], v[8:9] op_sel:[0,0,1] op_sel_hi:[1,0,0]
	s_waitcnt vmcnt(1)
	v_mov_b32_e32 v8, v143
	v_mov_b32_e32 v97, v9
	v_pk_mul_f32 v[8:9], v[12:13], v[8:9] op_sel_hi:[1,0]
	s_waitcnt vmcnt(0)
	v_pk_fma_f32 v[10:11], v[12:13], v[142:143], v[8:9] op_sel:[0,0,1] op_sel_hi:[1,1,0] neg_lo:[0,0,1] neg_hi:[0,0,1]
	v_pk_fma_f32 v[8:9], v[12:13], v[142:143], v[8:9] op_sel:[0,0,1] op_sel_hi:[1,0,0]
	v_pk_add_f32 v[6:7], v[6:7], v[98:99]
	v_mov_b32_e32 v8, v141
	v_pk_add_f32 v[6:7], v[6:7], v[96:97]
	v_mov_b32_e32 v11, v9
	s_waitcnt lgkmcnt(1)
	v_pk_mul_f32 v[8:9], v[14:15], v[8:9] op_sel_hi:[1,0]
	v_pk_add_f32 v[6:7], v[6:7], v[10:11]
	v_pk_fma_f32 v[10:11], v[14:15], v[140:141], v[8:9] op_sel:[0,0,1] op_sel_hi:[1,1,0] neg_lo:[0,0,1] neg_hi:[0,0,1]
	v_pk_fma_f32 v[8:9], v[14:15], v[140:141], v[8:9] op_sel:[0,0,1] op_sel_hi:[1,0,0]
	v_mov_b32_e32 v8, v139
	v_mov_b32_e32 v11, v9
	v_pk_mul_f32 v[8:9], v[16:17], v[8:9] op_sel_hi:[1,0]
	v_pk_add_f32 v[6:7], v[6:7], v[10:11]
	v_pk_fma_f32 v[10:11], v[16:17], v[138:139], v[8:9] op_sel:[0,0,1] op_sel_hi:[1,1,0] neg_lo:[0,0,1] neg_hi:[0,0,1]
	v_pk_fma_f32 v[8:9], v[16:17], v[138:139], v[8:9] op_sel:[0,0,1] op_sel_hi:[1,0,0]
	v_mov_b32_e32 v8, v137
	v_mov_b32_e32 v11, v9
	s_waitcnt lgkmcnt(0)
	v_pk_mul_f32 v[8:9], v[94:95], v[8:9] op_sel_hi:[1,0]
	v_pk_add_f32 v[6:7], v[6:7], v[10:11]
	v_pk_fma_f32 v[10:11], v[94:95], v[136:137], v[8:9] op_sel:[0,0,1] op_sel_hi:[1,1,0] neg_lo:[0,0,1] neg_hi:[0,0,1]
	v_pk_fma_f32 v[8:9], v[94:95], v[136:137], v[8:9] op_sel:[0,0,1] op_sel_hi:[1,0,0]
	v_mov_b32_e32 v11, v9
	v_pk_add_f32 v[6:7], v[6:7], v[10:11]
	v_pk_add_f32 v[2:3], v[2:3], v[6:7] neg_lo:[0,1] neg_hi:[0,1]
	buffer_store_dword v3, off, s[0:3], 0 offset:84
	buffer_store_dword v2, off, s[0:3], 0 offset:80
	s_and_saveexec_b64 s[4:5], vcc
	s_cbranch_execz .LBB101_223
; %bb.222:
	buffer_load_dword v2, off, s[0:3], 0 offset:72
	buffer_load_dword v3, off, s[0:3], 0 offset:76
	s_waitcnt vmcnt(0)
	ds_write_b64 v1, v[2:3]
	buffer_store_dword v4, off, s[0:3], 0 offset:72
	buffer_store_dword v4, off, s[0:3], 0 offset:76
.LBB101_223:
	s_or_b64 exec, exec, s[4:5]
	s_waitcnt lgkmcnt(0)
	; wave barrier
	s_waitcnt lgkmcnt(0)
	buffer_load_dword v5, off, s[0:3], 0 offset:84
	buffer_load_dword v122, off, s[0:3], 0 offset:92
	;; [unrolled: 1-line block ×42, first 2 shown]
	ds_read_b128 v[6:9], v4 offset:384
	ds_read_b128 v[10:13], v4 offset:400
	;; [unrolled: 1-line block ×8, first 2 shown]
	v_cmp_lt_u32_e32 vcc, 8, v0
	s_waitcnt vmcnt(41) lgkmcnt(7)
	v_mul_f32_e32 v114, v6, v5
	s_waitcnt vmcnt(40)
	v_mul_f32_e32 v115, v8, v122
	s_waitcnt vmcnt(39) lgkmcnt(6)
	v_mul_f32_e32 v116, v10, v124
	s_waitcnt vmcnt(38)
	v_mul_f32_e32 v117, v12, v132
	;; [unrolled: 4-line block ×7, first 2 shown]
	s_waitcnt vmcnt(27) lgkmcnt(0)
	v_mul_f32_e32 v130, v110, v154
	s_waitcnt vmcnt(26)
	v_fmac_f32_e32 v114, v7, v155
	s_waitcnt vmcnt(25)
	v_fmac_f32_e32 v115, v9, v156
	v_add_f32_e32 v114, 0, v114
	s_waitcnt vmcnt(24)
	v_fmac_f32_e32 v116, v11, v157
	v_add_f32_e32 v114, v114, v115
	;; [unrolled: 3-line block ×14, first 2 shown]
	s_waitcnt vmcnt(11)
	v_mul_f32_e32 v119, v112, v170
	v_add_f32_e32 v118, v114, v130
	s_waitcnt vmcnt(10)
	v_fmac_f32_e32 v119, v113, v171
	ds_read_b128 v[114:117], v4 offset:512
	v_add_f32_e32 v123, v118, v119
	ds_read_b128 v[118:121], v4 offset:528
	buffer_load_dword v127, off, s[0:3], 0 offset:244
	buffer_load_dword v129, off, s[0:3], 0 offset:260
	;; [unrolled: 1-line block ×16, first 2 shown]
	v_mul_f32_e32 v5, v7, v5
	v_fma_f32 v5, v6, v155, -v5
	v_mul_f32_e32 v6, v9, v122
	v_add_f32_e32 v5, 0, v5
	v_fma_f32 v6, v8, v156, -v6
	v_add_f32_e32 v5, v5, v6
	v_mul_f32_e32 v6, v11, v124
	v_fma_f32 v6, v10, v157, -v6
	v_add_f32_e32 v5, v5, v6
	v_mul_f32_e32 v6, v13, v132
	;; [unrolled: 3-line block ×14, first 2 shown]
	v_fma_f32 v6, v112, v171, -v6
	v_add_f32_e32 v5, v5, v6
	s_waitcnt vmcnt(25) lgkmcnt(1)
	v_mul_f32_e32 v6, v115, v172
	s_waitcnt vmcnt(24)
	v_fma_f32 v6, v114, v173, -v6
	v_add_f32_e32 v5, v5, v6
	s_waitcnt vmcnt(23)
	v_mul_f32_e32 v6, v117, v174
	s_waitcnt vmcnt(22)
	v_fma_f32 v6, v116, v175, -v6
	v_add_f32_e32 v122, v5, v6
	ds_read_b128 v[6:9], v4 offset:544
	ds_read_b128 v[10:13], v4 offset:560
	;; [unrolled: 1-line block ×4, first 2 shown]
	v_mul_f32_e32 v125, v114, v172
	v_fmac_f32_e32 v125, v115, v173
	v_add_f32_e32 v123, v123, v125
	v_mul_f32_e32 v125, v116, v174
	v_fmac_f32_e32 v125, v117, v175
	v_add_f32_e32 v123, v123, v125
	s_waitcnt vmcnt(21) lgkmcnt(4)
	v_mul_f32_e32 v125, v118, v176
	v_mul_f32_e32 v5, v119, v176
	s_waitcnt vmcnt(20)
	v_fmac_f32_e32 v125, v119, v177
	s_waitcnt vmcnt(19)
	v_mul_f32_e32 v133, v120, v178
	v_fma_f32 v124, v118, v177, -v5
	v_mul_f32_e32 v5, v121, v178
	s_waitcnt vmcnt(18)
	v_fmac_f32_e32 v133, v121, v179
	v_fma_f32 v132, v120, v179, -v5
	v_pk_add_f32 v[4:5], v[122:123], v[124:125]
	v_pk_add_f32 v[4:5], v[4:5], v[132:133]
	s_waitcnt vmcnt(15)
	v_mov_b32_e32 v98, v127
	s_waitcnt lgkmcnt(3)
	v_pk_mul_f32 v[98:99], v[6:7], v[98:99] op_sel_hi:[1,0]
	s_waitcnt vmcnt(10)
	v_pk_fma_f32 v[100:101], v[6:7], v[126:127], v[98:99] op_sel:[0,0,1] op_sel_hi:[1,1,0] neg_lo:[0,0,1] neg_hi:[0,0,1]
	v_pk_fma_f32 v[6:7], v[6:7], v[126:127], v[98:99] op_sel:[0,0,1] op_sel_hi:[1,0,0]
	v_mov_b32_e32 v6, v131
	v_mov_b32_e32 v101, v7
	v_pk_mul_f32 v[6:7], v[8:9], v[6:7] op_sel_hi:[1,0]
	v_pk_fma_f32 v[98:99], v[8:9], v[130:131], v[6:7] op_sel:[0,0,1] op_sel_hi:[1,1,0] neg_lo:[0,0,1] neg_hi:[0,0,1]
	v_pk_fma_f32 v[6:7], v[8:9], v[130:131], v[6:7] op_sel:[0,0,1] op_sel_hi:[1,0,0]
	v_mov_b32_e32 v6, v129
	v_mov_b32_e32 v99, v7
	s_waitcnt lgkmcnt(2)
	v_pk_mul_f32 v[6:7], v[10:11], v[6:7] op_sel_hi:[1,0]
	v_pk_fma_f32 v[8:9], v[10:11], v[128:129], v[6:7] op_sel:[0,0,1] op_sel_hi:[1,1,0] neg_lo:[0,0,1] neg_hi:[0,0,1]
	v_pk_fma_f32 v[6:7], v[10:11], v[128:129], v[6:7] op_sel:[0,0,1] op_sel_hi:[1,0,0]
	v_pk_add_f32 v[4:5], v[4:5], v[100:101]
	s_waitcnt vmcnt(3)
	v_mov_b32_e32 v6, v141
	v_pk_add_f32 v[4:5], v[4:5], v[98:99]
	v_mov_b32_e32 v9, v7
	v_pk_mul_f32 v[6:7], v[12:13], v[6:7] op_sel_hi:[1,0]
	v_pk_add_f32 v[4:5], v[4:5], v[8:9]
	s_waitcnt vmcnt(2)
	v_pk_fma_f32 v[8:9], v[12:13], v[140:141], v[6:7] op_sel:[0,0,1] op_sel_hi:[1,1,0] neg_lo:[0,0,1] neg_hi:[0,0,1]
	v_pk_fma_f32 v[6:7], v[12:13], v[140:141], v[6:7] op_sel:[0,0,1] op_sel_hi:[1,0,0]
	v_mov_b32_e32 v6, v139
	v_mov_b32_e32 v9, v7
	s_waitcnt lgkmcnt(1)
	v_pk_mul_f32 v[6:7], v[14:15], v[6:7] op_sel_hi:[1,0]
	v_pk_add_f32 v[4:5], v[4:5], v[8:9]
	v_pk_fma_f32 v[8:9], v[14:15], v[138:139], v[6:7] op_sel:[0,0,1] op_sel_hi:[1,1,0] neg_lo:[0,0,1] neg_hi:[0,0,1]
	v_pk_fma_f32 v[6:7], v[14:15], v[138:139], v[6:7] op_sel:[0,0,1] op_sel_hi:[1,0,0]
	v_mov_b32_e32 v6, v137
	v_mov_b32_e32 v9, v7
	v_pk_mul_f32 v[6:7], v[16:17], v[6:7] op_sel_hi:[1,0]
	v_pk_add_f32 v[4:5], v[4:5], v[8:9]
	v_pk_fma_f32 v[8:9], v[16:17], v[136:137], v[6:7] op_sel:[0,0,1] op_sel_hi:[1,1,0] neg_lo:[0,0,1] neg_hi:[0,0,1]
	v_pk_fma_f32 v[6:7], v[16:17], v[136:137], v[6:7] op_sel:[0,0,1] op_sel_hi:[1,0,0]
	v_mov_b32_e32 v6, v135
	v_mov_b32_e32 v9, v7
	s_waitcnt lgkmcnt(0)
	v_pk_mul_f32 v[6:7], v[94:95], v[6:7] op_sel_hi:[1,0]
	v_pk_add_f32 v[4:5], v[4:5], v[8:9]
	v_pk_fma_f32 v[8:9], v[94:95], v[134:135], v[6:7] op_sel:[0,0,1] op_sel_hi:[1,1,0] neg_lo:[0,0,1] neg_hi:[0,0,1]
	v_pk_fma_f32 v[6:7], v[94:95], v[134:135], v[6:7] op_sel:[0,0,1] op_sel_hi:[1,0,0]
	s_waitcnt vmcnt(1)
	v_mov_b32_e32 v6, v143
	v_mov_b32_e32 v9, v7
	v_pk_mul_f32 v[6:7], v[96:97], v[6:7] op_sel_hi:[1,0]
	v_pk_add_f32 v[4:5], v[4:5], v[8:9]
	s_waitcnt vmcnt(0)
	v_pk_fma_f32 v[8:9], v[96:97], v[142:143], v[6:7] op_sel:[0,0,1] op_sel_hi:[1,1,0] neg_lo:[0,0,1] neg_hi:[0,0,1]
	v_pk_fma_f32 v[6:7], v[96:97], v[142:143], v[6:7] op_sel:[0,0,1] op_sel_hi:[1,0,0]
	v_mov_b32_e32 v9, v7
	v_pk_add_f32 v[4:5], v[4:5], v[8:9]
	v_pk_add_f32 v[2:3], v[2:3], v[4:5] neg_lo:[0,1] neg_hi:[0,1]
	buffer_store_dword v3, off, s[0:3], 0 offset:76
	buffer_store_dword v2, off, s[0:3], 0 offset:72
	s_and_saveexec_b64 s[4:5], vcc
	s_cbranch_execz .LBB101_225
; %bb.224:
	buffer_load_dword v2, off, s[0:3], 0 offset:64
	buffer_load_dword v3, off, s[0:3], 0 offset:68
	v_mov_b32_e32 v4, 0
	buffer_store_dword v4, off, s[0:3], 0 offset:64
	buffer_store_dword v4, off, s[0:3], 0 offset:68
	s_waitcnt vmcnt(2)
	ds_write_b64 v1, v[2:3]
.LBB101_225:
	s_or_b64 exec, exec, s[4:5]
	s_waitcnt lgkmcnt(0)
	; wave barrier
	s_waitcnt lgkmcnt(0)
	buffer_load_dword v5, off, s[0:3], 0 offset:76
	buffer_load_dword v130, off, s[0:3], 0 offset:84
	;; [unrolled: 1-line block ×44, first 2 shown]
	v_mov_b32_e32 v4, 0
	ds_read2_b64 v[6:9], v4 offset0:47 offset1:48
	ds_read2_b64 v[10:13], v4 offset0:49 offset1:50
	;; [unrolled: 1-line block ×8, first 2 shown]
	v_cmp_lt_u32_e32 vcc, 7, v0
	s_waitcnt vmcnt(43) lgkmcnt(7)
	v_mul_f32_e32 v114, v6, v5
	s_waitcnt vmcnt(42)
	v_mul_f32_e32 v115, v8, v130
	s_waitcnt vmcnt(41) lgkmcnt(6)
	v_mul_f32_e32 v116, v10, v136
	s_waitcnt vmcnt(40)
	v_mul_f32_e32 v117, v12, v138
	s_waitcnt vmcnt(39) lgkmcnt(5)
	v_mul_f32_e32 v118, v14, v152
	s_waitcnt vmcnt(38)
	v_mul_f32_e32 v119, v16, v153
	s_waitcnt vmcnt(37) lgkmcnt(4)
	v_mul_f32_e32 v120, v94, v154
	s_waitcnt vmcnt(36)
	v_mul_f32_e32 v121, v96, v155
	s_waitcnt vmcnt(35) lgkmcnt(3)
	v_mul_f32_e32 v122, v98, v156
	s_waitcnt vmcnt(34)
	v_mul_f32_e32 v123, v100, v157
	s_waitcnt vmcnt(33) lgkmcnt(2)
	v_mul_f32_e32 v124, v102, v158
	s_waitcnt vmcnt(32)
	v_mul_f32_e32 v125, v104, v159
	s_waitcnt vmcnt(31) lgkmcnt(1)
	v_mul_f32_e32 v126, v106, v160
	s_waitcnt vmcnt(30)
	v_mul_f32_e32 v127, v108, v161
	s_waitcnt vmcnt(29)
	v_fmac_f32_e32 v114, v7, v162
	s_waitcnt vmcnt(28)
	v_fmac_f32_e32 v115, v9, v163
	v_add_f32_e32 v114, 0, v114
	s_waitcnt vmcnt(27)
	v_fmac_f32_e32 v116, v11, v164
	v_add_f32_e32 v114, v114, v115
	s_waitcnt vmcnt(26)
	v_fmac_f32_e32 v117, v13, v165
	v_add_f32_e32 v114, v114, v116
	s_waitcnt vmcnt(25)
	v_fmac_f32_e32 v118, v15, v166
	v_add_f32_e32 v114, v114, v117
	s_waitcnt vmcnt(24)
	v_fmac_f32_e32 v119, v17, v167
	v_add_f32_e32 v114, v114, v118
	s_waitcnt vmcnt(23)
	v_fmac_f32_e32 v120, v95, v168
	v_add_f32_e32 v114, v114, v119
	s_waitcnt vmcnt(22)
	v_fmac_f32_e32 v121, v97, v169
	v_add_f32_e32 v114, v114, v120
	s_waitcnt vmcnt(21)
	v_fmac_f32_e32 v122, v99, v170
	v_add_f32_e32 v114, v114, v121
	s_waitcnt vmcnt(20)
	v_fmac_f32_e32 v123, v101, v171
	v_add_f32_e32 v114, v114, v122
	s_waitcnt vmcnt(19)
	v_fmac_f32_e32 v124, v103, v172
	v_add_f32_e32 v114, v114, v123
	s_waitcnt vmcnt(18)
	v_fmac_f32_e32 v125, v105, v173
	v_add_f32_e32 v114, v114, v124
	s_waitcnt vmcnt(17)
	v_fmac_f32_e32 v126, v107, v174
	v_add_f32_e32 v114, v114, v125
	v_add_f32_e32 v114, v114, v126
	s_waitcnt vmcnt(16)
	v_fmac_f32_e32 v127, v109, v175
	s_waitcnt vmcnt(15) lgkmcnt(0)
	v_mul_f32_e32 v115, v110, v176
	v_add_f32_e32 v114, v114, v127
	s_waitcnt vmcnt(14)
	v_fmac_f32_e32 v115, v111, v177
	v_add_f32_e32 v118, v114, v115
	ds_read2_b64 v[114:117], v4 offset0:63 offset1:64
	s_waitcnt vmcnt(13)
	v_mul_f32_e32 v119, v112, v178
	s_waitcnt vmcnt(12)
	v_fmac_f32_e32 v119, v113, v179
	v_add_f32_e32 v122, v118, v119
	ds_read2_b64 v[118:121], v4 offset0:65 offset1:66
	s_waitcnt vmcnt(11) lgkmcnt(1)
	v_mul_f32_e32 v123, v114, v180
	s_waitcnt vmcnt(10)
	v_fmac_f32_e32 v123, v115, v181
	v_add_f32_e32 v122, v122, v123
	s_waitcnt vmcnt(9)
	v_mul_f32_e32 v123, v116, v182
	s_waitcnt vmcnt(8)
	v_fmac_f32_e32 v123, v117, v183
	v_add_f32_e32 v122, v122, v123
	s_waitcnt vmcnt(7) lgkmcnt(0)
	v_mul_f32_e32 v123, v118, v184
	s_waitcnt vmcnt(6)
	v_fmac_f32_e32 v123, v119, v185
	v_add_f32_e32 v131, v122, v123
	ds_read2_b64 v[122:125], v4 offset0:67 offset1:68
	buffer_load_dword v133, off, s[0:3], 0 offset:252
	buffer_load_dword v132, off, s[0:3], 0 offset:248
	;; [unrolled: 1-line block ×4, first 2 shown]
	ds_read2_b64 v[126:129], v4 offset0:69 offset1:70
	buffer_load_dword v141, off, s[0:3], 0 offset:284
	buffer_load_dword v140, off, s[0:3], 0 offset:280
	;; [unrolled: 1-line block ×12, first 2 shown]
	v_mul_f32_e32 v5, v7, v5
	v_fma_f32 v5, v6, v162, -v5
	v_mul_f32_e32 v6, v9, v130
	v_add_f32_e32 v5, 0, v5
	v_fma_f32 v6, v8, v163, -v6
	v_add_f32_e32 v5, v5, v6
	v_mul_f32_e32 v6, v11, v136
	v_fma_f32 v6, v10, v164, -v6
	v_add_f32_e32 v5, v5, v6
	v_mul_f32_e32 v6, v13, v138
	;; [unrolled: 3-line block ×17, first 2 shown]
	v_fma_f32 v6, v118, v185, -v6
	s_waitcnt vmcnt(21)
	v_mul_f32_e32 v137, v120, v186
	v_add_f32_e32 v130, v5, v6
	v_mul_f32_e32 v5, v121, v186
	s_waitcnt vmcnt(20)
	v_fmac_f32_e32 v137, v121, v187
	s_waitcnt vmcnt(19) lgkmcnt(1)
	v_mul_f32_e32 v139, v122, v188
	v_fma_f32 v136, v120, v187, -v5
	v_mul_f32_e32 v5, v123, v188
	s_waitcnt vmcnt(18)
	v_fmac_f32_e32 v139, v123, v189
	v_fma_f32 v138, v122, v189, -v5
	v_pk_add_f32 v[16:17], v[130:131], v[136:137]
	v_pk_add_f32 v[16:17], v[16:17], v[138:139]
	ds_read2_b64 v[6:9], v4 offset0:71 offset1:72
	ds_read2_b64 v[10:13], v4 offset0:73 offset1:74
	ds_read_b64 v[14:15], v4 offset:600
	s_waitcnt vmcnt(13)
	v_mov_b32_e32 v94, v135
	v_pk_mul_f32 v[94:95], v[124:125], v[94:95] op_sel_hi:[1,0]
	s_waitcnt vmcnt(12)
	v_pk_fma_f32 v[96:97], v[124:125], v[134:135], v[94:95] op_sel:[0,0,1] op_sel_hi:[1,1,0] neg_lo:[0,0,1] neg_hi:[0,0,1]
	v_pk_fma_f32 v[94:95], v[124:125], v[134:135], v[94:95] op_sel:[0,0,1] op_sel_hi:[1,0,0]
	v_mov_b32_e32 v94, v133
	v_mov_b32_e32 v97, v95
	s_waitcnt lgkmcnt(3)
	v_pk_mul_f32 v[94:95], v[126:127], v[94:95] op_sel_hi:[1,0]
	v_pk_add_f32 v[16:17], v[16:17], v[96:97]
	v_pk_fma_f32 v[96:97], v[126:127], v[132:133], v[94:95] op_sel:[0,0,1] op_sel_hi:[1,1,0] neg_lo:[0,0,1] neg_hi:[0,0,1]
	v_pk_fma_f32 v[94:95], v[126:127], v[132:133], v[94:95] op_sel:[0,0,1] op_sel_hi:[1,0,0]
	s_waitcnt vmcnt(5)
	v_mov_b32_e32 v94, v147
	v_mov_b32_e32 v97, v95
	v_pk_mul_f32 v[94:95], v[128:129], v[94:95] op_sel_hi:[1,0]
	v_pk_add_f32 v[16:17], v[16:17], v[96:97]
	s_waitcnt vmcnt(4)
	v_pk_fma_f32 v[96:97], v[128:129], v[146:147], v[94:95] op_sel:[0,0,1] op_sel_hi:[1,1,0] neg_lo:[0,0,1] neg_hi:[0,0,1]
	v_pk_fma_f32 v[94:95], v[128:129], v[146:147], v[94:95] op_sel:[0,0,1] op_sel_hi:[1,0,0]
	v_mov_b32_e32 v94, v145
	v_mov_b32_e32 v97, v95
	s_waitcnt lgkmcnt(2)
	v_pk_mul_f32 v[94:95], v[6:7], v[94:95] op_sel_hi:[1,0]
	v_pk_add_f32 v[16:17], v[16:17], v[96:97]
	v_pk_fma_f32 v[96:97], v[6:7], v[144:145], v[94:95] op_sel:[0,0,1] op_sel_hi:[1,1,0] neg_lo:[0,0,1] neg_hi:[0,0,1]
	v_pk_fma_f32 v[6:7], v[6:7], v[144:145], v[94:95] op_sel:[0,0,1] op_sel_hi:[1,0,0]
	v_mov_b32_e32 v97, v7
	v_pk_add_f32 v[6:7], v[16:17], v[96:97]
	v_mov_b32_e32 v16, v143
	v_pk_mul_f32 v[16:17], v[8:9], v[16:17] op_sel_hi:[1,0]
	v_pk_fma_f32 v[94:95], v[8:9], v[142:143], v[16:17] op_sel:[0,0,1] op_sel_hi:[1,1,0] neg_lo:[0,0,1] neg_hi:[0,0,1]
	v_pk_fma_f32 v[8:9], v[8:9], v[142:143], v[16:17] op_sel:[0,0,1] op_sel_hi:[1,0,0]
	v_mov_b32_e32 v8, v141
	v_mov_b32_e32 v95, v9
	s_waitcnt lgkmcnt(1)
	v_pk_mul_f32 v[8:9], v[10:11], v[8:9] op_sel_hi:[1,0]
	v_pk_fma_f32 v[16:17], v[10:11], v[140:141], v[8:9] op_sel:[0,0,1] op_sel_hi:[1,1,0] neg_lo:[0,0,1] neg_hi:[0,0,1]
	v_pk_fma_f32 v[8:9], v[10:11], v[140:141], v[8:9] op_sel:[0,0,1] op_sel_hi:[1,0,0]
	s_waitcnt vmcnt(1)
	v_mov_b32_e32 v8, v151
	v_mov_b32_e32 v17, v9
	v_pk_mul_f32 v[8:9], v[12:13], v[8:9] op_sel_hi:[1,0]
	s_waitcnt vmcnt(0)
	v_pk_fma_f32 v[10:11], v[12:13], v[150:151], v[8:9] op_sel:[0,0,1] op_sel_hi:[1,1,0] neg_lo:[0,0,1] neg_hi:[0,0,1]
	v_pk_fma_f32 v[8:9], v[12:13], v[150:151], v[8:9] op_sel:[0,0,1] op_sel_hi:[1,0,0]
	v_pk_add_f32 v[6:7], v[6:7], v[94:95]
	v_mov_b32_e32 v8, v149
	v_pk_add_f32 v[6:7], v[6:7], v[16:17]
	v_mov_b32_e32 v11, v9
	s_waitcnt lgkmcnt(0)
	v_pk_mul_f32 v[8:9], v[14:15], v[8:9] op_sel_hi:[1,0]
	v_pk_add_f32 v[6:7], v[6:7], v[10:11]
	v_pk_fma_f32 v[10:11], v[14:15], v[148:149], v[8:9] op_sel:[0,0,1] op_sel_hi:[1,1,0] neg_lo:[0,0,1] neg_hi:[0,0,1]
	v_pk_fma_f32 v[8:9], v[14:15], v[148:149], v[8:9] op_sel:[0,0,1] op_sel_hi:[1,0,0]
	v_mov_b32_e32 v11, v9
	v_pk_add_f32 v[6:7], v[6:7], v[10:11]
	v_pk_add_f32 v[2:3], v[2:3], v[6:7] neg_lo:[0,1] neg_hi:[0,1]
	buffer_store_dword v3, off, s[0:3], 0 offset:68
	buffer_store_dword v2, off, s[0:3], 0 offset:64
	s_and_saveexec_b64 s[4:5], vcc
	s_cbranch_execz .LBB101_227
; %bb.226:
	buffer_load_dword v2, off, s[0:3], 0 offset:56
	buffer_load_dword v3, off, s[0:3], 0 offset:60
	s_waitcnt vmcnt(0)
	ds_write_b64 v1, v[2:3]
	buffer_store_dword v4, off, s[0:3], 0 offset:56
	buffer_store_dword v4, off, s[0:3], 0 offset:60
.LBB101_227:
	s_or_b64 exec, exec, s[4:5]
	s_waitcnt lgkmcnt(0)
	; wave barrier
	s_waitcnt lgkmcnt(0)
	buffer_load_dword v5, off, s[0:3], 0 offset:68
	buffer_load_dword v132, off, s[0:3], 0 offset:76
	;; [unrolled: 1-line block ×46, first 2 shown]
	ds_read_b128 v[6:9], v4 offset:368
	ds_read_b128 v[10:13], v4 offset:384
	ds_read_b128 v[14:17], v4 offset:400
	ds_read_b128 v[94:97], v4 offset:416
	ds_read_b128 v[98:101], v4 offset:432
	ds_read_b128 v[102:105], v4 offset:448
	ds_read_b128 v[106:109], v4 offset:464
	ds_read_b128 v[110:113], v4 offset:480
	v_cmp_lt_u32_e32 vcc, 6, v0
	s_waitcnt vmcnt(45) lgkmcnt(7)
	v_mul_f32_e32 v114, v6, v5
	s_waitcnt vmcnt(44)
	v_mul_f32_e32 v115, v8, v132
	s_waitcnt vmcnt(43) lgkmcnt(6)
	v_mul_f32_e32 v116, v10, v134
	s_waitcnt vmcnt(42)
	v_mul_f32_e32 v117, v12, v136
	;; [unrolled: 4-line block ×6, first 2 shown]
	s_waitcnt vmcnt(33) lgkmcnt(1)
	v_mul_f32_e32 v126, v106, v160
	s_waitcnt vmcnt(32)
	v_fmac_f32_e32 v114, v7, v161
	s_waitcnt vmcnt(31)
	v_fmac_f32_e32 v115, v9, v162
	v_add_f32_e32 v114, 0, v114
	s_waitcnt vmcnt(30)
	v_fmac_f32_e32 v116, v11, v163
	v_add_f32_e32 v114, v114, v115
	;; [unrolled: 3-line block ×12, first 2 shown]
	s_waitcnt vmcnt(19)
	v_mul_f32_e32 v115, v108, v174
	v_add_f32_e32 v114, v114, v126
	s_waitcnt vmcnt(18)
	v_fmac_f32_e32 v115, v109, v175
	v_add_f32_e32 v114, v114, v115
	s_waitcnt vmcnt(17) lgkmcnt(0)
	v_mul_f32_e32 v115, v110, v176
	s_waitcnt vmcnt(16)
	v_fmac_f32_e32 v115, v111, v177
	v_add_f32_e32 v118, v114, v115
	ds_read_b128 v[114:117], v4 offset:496
	s_waitcnt vmcnt(15)
	v_mul_f32_e32 v119, v112, v178
	s_waitcnt vmcnt(14)
	v_fmac_f32_e32 v119, v113, v179
	v_add_f32_e32 v122, v118, v119
	ds_read_b128 v[118:121], v4 offset:512
	buffer_load_dword v131, off, s[0:3], 0 offset:244
	buffer_load_dword v130, off, s[0:3], 0 offset:240
	s_waitcnt vmcnt(15) lgkmcnt(1)
	v_mul_f32_e32 v123, v114, v180
	s_waitcnt vmcnt(14)
	v_fmac_f32_e32 v123, v115, v181
	v_add_f32_e32 v122, v122, v123
	s_waitcnt vmcnt(13)
	v_mul_f32_e32 v123, v116, v182
	s_waitcnt vmcnt(12)
	v_fmac_f32_e32 v123, v117, v183
	v_add_f32_e32 v122, v122, v123
	s_waitcnt vmcnt(11) lgkmcnt(0)
	v_mul_f32_e32 v123, v118, v184
	s_waitcnt vmcnt(10)
	v_fmac_f32_e32 v123, v119, v185
	s_waitcnt vmcnt(9)
	v_mul_f32_e32 v127, v120, v186
	v_add_f32_e32 v126, v122, v123
	s_waitcnt vmcnt(8)
	v_fmac_f32_e32 v127, v121, v187
	ds_read_b128 v[122:125], v4 offset:528
	v_add_f32_e32 v133, v126, v127
	ds_read_b128 v[126:129], v4 offset:544
	buffer_load_dword v139, off, s[0:3], 0 offset:276
	buffer_load_dword v138, off, s[0:3], 0 offset:272
	buffer_load_dword v141, off, s[0:3], 0 offset:268
	buffer_load_dword v140, off, s[0:3], 0 offset:264
	buffer_load_dword v143, off, s[0:3], 0 offset:260
	buffer_load_dword v142, off, s[0:3], 0 offset:256
	buffer_load_dword v145, off, s[0:3], 0 offset:252
	buffer_load_dword v144, off, s[0:3], 0 offset:248
	buffer_load_dword v147, off, s[0:3], 0 offset:300
	buffer_load_dword v146, off, s[0:3], 0 offset:296
	buffer_load_dword v149, off, s[0:3], 0 offset:292
	buffer_load_dword v148, off, s[0:3], 0 offset:288
	buffer_load_dword v151, off, s[0:3], 0 offset:284
	buffer_load_dword v150, off, s[0:3], 0 offset:280
	v_mul_f32_e32 v5, v7, v5
	v_fma_f32 v5, v6, v161, -v5
	v_mul_f32_e32 v6, v9, v132
	v_add_f32_e32 v5, 0, v5
	v_fma_f32 v6, v8, v162, -v6
	v_add_f32_e32 v5, v5, v6
	v_mul_f32_e32 v6, v11, v134
	v_fma_f32 v6, v10, v163, -v6
	v_add_f32_e32 v5, v5, v6
	v_mul_f32_e32 v6, v13, v136
	;; [unrolled: 3-line block ×18, first 2 shown]
	v_fma_f32 v6, v120, v187, -v6
	s_waitcnt vmcnt(21) lgkmcnt(1)
	v_mul_f32_e32 v135, v122, v188
	v_add_f32_e32 v132, v5, v6
	v_mul_f32_e32 v5, v123, v188
	s_waitcnt vmcnt(20)
	v_fmac_f32_e32 v135, v123, v189
	s_waitcnt vmcnt(15)
	v_mov_b32_e32 v94, v131
	s_waitcnt lgkmcnt(0)
	v_pk_mul_f32 v[94:95], v[126:127], v[94:95] op_sel_hi:[1,0]
	v_mul_f32_e32 v137, v124, v190
	v_fma_f32 v134, v122, v189, -v5
	v_mul_f32_e32 v5, v125, v190
	s_waitcnt vmcnt(14)
	v_pk_fma_f32 v[96:97], v[126:127], v[130:131], v[94:95] op_sel:[0,0,1] op_sel_hi:[1,1,0] neg_lo:[0,0,1] neg_hi:[0,0,1]
	v_pk_fma_f32 v[94:95], v[126:127], v[130:131], v[94:95] op_sel:[0,0,1] op_sel_hi:[1,0,0]
	v_fmac_f32_e32 v137, v125, v191
	v_fma_f32 v136, v124, v191, -v5
	ds_read_b128 v[6:9], v4 offset:560
	ds_read_b128 v[10:13], v4 offset:576
	;; [unrolled: 1-line block ×3, first 2 shown]
	v_pk_add_f32 v[4:5], v[132:133], v[134:135]
	s_waitcnt vmcnt(7)
	v_mov_b32_e32 v94, v145
	v_pk_add_f32 v[4:5], v[4:5], v[136:137]
	v_mov_b32_e32 v97, v95
	v_pk_mul_f32 v[94:95], v[128:129], v[94:95] op_sel_hi:[1,0]
	v_pk_add_f32 v[4:5], v[4:5], v[96:97]
	s_waitcnt vmcnt(6)
	v_pk_fma_f32 v[96:97], v[128:129], v[144:145], v[94:95] op_sel:[0,0,1] op_sel_hi:[1,1,0] neg_lo:[0,0,1] neg_hi:[0,0,1]
	v_pk_fma_f32 v[94:95], v[128:129], v[144:145], v[94:95] op_sel:[0,0,1] op_sel_hi:[1,0,0]
	v_mov_b32_e32 v94, v143
	v_mov_b32_e32 v97, v95
	s_waitcnt lgkmcnt(2)
	v_pk_mul_f32 v[94:95], v[6:7], v[94:95] op_sel_hi:[1,0]
	v_pk_add_f32 v[4:5], v[4:5], v[96:97]
	v_pk_fma_f32 v[96:97], v[6:7], v[142:143], v[94:95] op_sel:[0,0,1] op_sel_hi:[1,1,0] neg_lo:[0,0,1] neg_hi:[0,0,1]
	v_pk_fma_f32 v[6:7], v[6:7], v[142:143], v[94:95] op_sel:[0,0,1] op_sel_hi:[1,0,0]
	v_mov_b32_e32 v6, v141
	v_mov_b32_e32 v97, v7
	v_pk_mul_f32 v[6:7], v[8:9], v[6:7] op_sel_hi:[1,0]
	v_pk_fma_f32 v[94:95], v[8:9], v[140:141], v[6:7] op_sel:[0,0,1] op_sel_hi:[1,1,0] neg_lo:[0,0,1] neg_hi:[0,0,1]
	v_pk_fma_f32 v[6:7], v[8:9], v[140:141], v[6:7] op_sel:[0,0,1] op_sel_hi:[1,0,0]
	v_mov_b32_e32 v6, v139
	v_mov_b32_e32 v95, v7
	s_waitcnt lgkmcnt(1)
	v_pk_mul_f32 v[6:7], v[10:11], v[6:7] op_sel_hi:[1,0]
	v_pk_fma_f32 v[8:9], v[10:11], v[138:139], v[6:7] op_sel:[0,0,1] op_sel_hi:[1,1,0] neg_lo:[0,0,1] neg_hi:[0,0,1]
	v_pk_fma_f32 v[6:7], v[10:11], v[138:139], v[6:7] op_sel:[0,0,1] op_sel_hi:[1,0,0]
	v_pk_add_f32 v[4:5], v[4:5], v[96:97]
	s_waitcnt vmcnt(1)
	v_mov_b32_e32 v6, v151
	v_pk_add_f32 v[4:5], v[4:5], v[94:95]
	v_mov_b32_e32 v9, v7
	v_pk_mul_f32 v[6:7], v[12:13], v[6:7] op_sel_hi:[1,0]
	v_pk_add_f32 v[4:5], v[4:5], v[8:9]
	s_waitcnt vmcnt(0)
	v_pk_fma_f32 v[8:9], v[12:13], v[150:151], v[6:7] op_sel:[0,0,1] op_sel_hi:[1,1,0] neg_lo:[0,0,1] neg_hi:[0,0,1]
	v_pk_fma_f32 v[6:7], v[12:13], v[150:151], v[6:7] op_sel:[0,0,1] op_sel_hi:[1,0,0]
	v_mov_b32_e32 v6, v149
	v_mov_b32_e32 v9, v7
	s_waitcnt lgkmcnt(0)
	v_pk_mul_f32 v[6:7], v[14:15], v[6:7] op_sel_hi:[1,0]
	v_pk_add_f32 v[4:5], v[4:5], v[8:9]
	v_pk_fma_f32 v[8:9], v[14:15], v[148:149], v[6:7] op_sel:[0,0,1] op_sel_hi:[1,1,0] neg_lo:[0,0,1] neg_hi:[0,0,1]
	v_pk_fma_f32 v[6:7], v[14:15], v[148:149], v[6:7] op_sel:[0,0,1] op_sel_hi:[1,0,0]
	v_mov_b32_e32 v6, v147
	v_mov_b32_e32 v9, v7
	v_pk_mul_f32 v[6:7], v[16:17], v[6:7] op_sel_hi:[1,0]
	v_pk_add_f32 v[4:5], v[4:5], v[8:9]
	v_pk_fma_f32 v[8:9], v[16:17], v[146:147], v[6:7] op_sel:[0,0,1] op_sel_hi:[1,1,0] neg_lo:[0,0,1] neg_hi:[0,0,1]
	v_pk_fma_f32 v[6:7], v[16:17], v[146:147], v[6:7] op_sel:[0,0,1] op_sel_hi:[1,0,0]
	v_mov_b32_e32 v9, v7
	v_pk_add_f32 v[4:5], v[4:5], v[8:9]
	v_pk_add_f32 v[2:3], v[2:3], v[4:5] neg_lo:[0,1] neg_hi:[0,1]
	buffer_store_dword v3, off, s[0:3], 0 offset:60
	buffer_store_dword v2, off, s[0:3], 0 offset:56
	s_and_saveexec_b64 s[4:5], vcc
	s_cbranch_execz .LBB101_229
; %bb.228:
	buffer_load_dword v2, off, s[0:3], 0 offset:48
	buffer_load_dword v3, off, s[0:3], 0 offset:52
	v_mov_b32_e32 v4, 0
	buffer_store_dword v4, off, s[0:3], 0 offset:48
	buffer_store_dword v4, off, s[0:3], 0 offset:52
	s_waitcnt vmcnt(2)
	ds_write_b64 v1, v[2:3]
.LBB101_229:
	s_or_b64 exec, exec, s[4:5]
	s_waitcnt lgkmcnt(0)
	; wave barrier
	s_waitcnt lgkmcnt(0)
	buffer_load_dword v5, off, s[0:3], 0 offset:60
	buffer_load_dword v130, off, s[0:3], 0 offset:68
	;; [unrolled: 1-line block ×48, first 2 shown]
	v_mov_b32_e32 v4, 0
	ds_read2_b64 v[6:9], v4 offset0:45 offset1:46
	ds_read2_b64 v[10:13], v4 offset0:47 offset1:48
	;; [unrolled: 1-line block ×6, first 2 shown]
	v_cmp_lt_u32_e32 vcc, 5, v0
	s_waitcnt vmcnt(47) lgkmcnt(5)
	v_mul_f32_e32 v106, v6, v5
	s_waitcnt vmcnt(46)
	v_mul_f32_e32 v107, v8, v130
	s_waitcnt vmcnt(45) lgkmcnt(4)
	v_mul_f32_e32 v108, v10, v132
	s_waitcnt vmcnt(44)
	v_mul_f32_e32 v109, v12, v134
	;; [unrolled: 4-line block ×6, first 2 shown]
	s_waitcnt vmcnt(35)
	v_fmac_f32_e32 v106, v7, v160
	s_waitcnt vmcnt(34)
	v_fmac_f32_e32 v107, v9, v161
	v_add_f32_e32 v106, 0, v106
	s_waitcnt vmcnt(33)
	v_fmac_f32_e32 v108, v11, v162
	v_add_f32_e32 v106, v106, v107
	;; [unrolled: 3-line block ×8, first 2 shown]
	v_add_f32_e32 v110, v106, v114
	ds_read2_b64 v[106:109], v4 offset0:57 offset1:58
	s_waitcnt vmcnt(26)
	v_fmac_f32_e32 v115, v101, v169
	s_waitcnt vmcnt(25)
	v_fmac_f32_e32 v116, v103, v170
	v_add_f32_e32 v110, v110, v115
	s_waitcnt vmcnt(24)
	v_fmac_f32_e32 v117, v105, v171
	v_add_f32_e32 v110, v110, v116
	v_add_f32_e32 v114, v110, v117
	ds_read2_b64 v[110:113], v4 offset0:59 offset1:60
	s_waitcnt vmcnt(23) lgkmcnt(1)
	v_mul_f32_e32 v115, v106, v172
	s_waitcnt vmcnt(22)
	v_fmac_f32_e32 v115, v107, v173
	v_add_f32_e32 v114, v114, v115
	s_waitcnt vmcnt(21)
	v_mul_f32_e32 v115, v108, v174
	s_waitcnt vmcnt(20)
	v_fmac_f32_e32 v115, v109, v175
	v_add_f32_e32 v114, v114, v115
	s_waitcnt vmcnt(19) lgkmcnt(0)
	v_mul_f32_e32 v115, v110, v176
	s_waitcnt vmcnt(18)
	v_fmac_f32_e32 v115, v111, v177
	v_add_f32_e32 v118, v114, v115
	ds_read2_b64 v[114:117], v4 offset0:61 offset1:62
	s_waitcnt vmcnt(17)
	v_mul_f32_e32 v119, v112, v178
	s_waitcnt vmcnt(16)
	v_fmac_f32_e32 v119, v113, v179
	v_add_f32_e32 v122, v118, v119
	ds_read2_b64 v[118:121], v4 offset0:63 offset1:64
	s_waitcnt vmcnt(15) lgkmcnt(1)
	v_mul_f32_e32 v123, v114, v180
	s_waitcnt vmcnt(14)
	v_fmac_f32_e32 v123, v115, v181
	v_add_f32_e32 v122, v122, v123
	s_waitcnt vmcnt(13)
	v_mul_f32_e32 v123, v116, v182
	s_waitcnt vmcnt(12)
	v_fmac_f32_e32 v123, v117, v183
	v_add_f32_e32 v122, v122, v123
	s_waitcnt vmcnt(11) lgkmcnt(0)
	v_mul_f32_e32 v123, v118, v184
	s_waitcnt vmcnt(10)
	v_fmac_f32_e32 v123, v119, v185
	s_waitcnt vmcnt(9)
	v_mul_f32_e32 v127, v120, v186
	v_add_f32_e32 v126, v122, v123
	s_waitcnt vmcnt(8)
	v_fmac_f32_e32 v127, v121, v187
	ds_read2_b64 v[122:125], v4 offset0:65 offset1:66
	v_add_f32_e32 v131, v126, v127
	ds_read2_b64 v[126:129], v4 offset0:67 offset1:68
	buffer_load_dword v137, off, s[0:3], 0 offset:268
	buffer_load_dword v136, off, s[0:3], 0 offset:264
	buffer_load_dword v139, off, s[0:3], 0 offset:260
	buffer_load_dword v138, off, s[0:3], 0 offset:256
	buffer_load_dword v141, off, s[0:3], 0 offset:252
	buffer_load_dword v140, off, s[0:3], 0 offset:248
	buffer_load_dword v143, off, s[0:3], 0 offset:244
	buffer_load_dword v142, off, s[0:3], 0 offset:240
	buffer_load_dword v145, off, s[0:3], 0 offset:300
	buffer_load_dword v144, off, s[0:3], 0 offset:296
	buffer_load_dword v147, off, s[0:3], 0 offset:292
	buffer_load_dword v146, off, s[0:3], 0 offset:288
	buffer_load_dword v149, off, s[0:3], 0 offset:284
	buffer_load_dword v148, off, s[0:3], 0 offset:280
	buffer_load_dword v151, off, s[0:3], 0 offset:276
	buffer_load_dword v150, off, s[0:3], 0 offset:272
	v_mul_f32_e32 v5, v7, v5
	v_fma_f32 v5, v6, v160, -v5
	v_mul_f32_e32 v6, v9, v130
	v_add_f32_e32 v5, 0, v5
	v_fma_f32 v6, v8, v161, -v6
	v_add_f32_e32 v5, v5, v6
	v_mul_f32_e32 v6, v11, v132
	v_fma_f32 v6, v10, v162, -v6
	v_add_f32_e32 v5, v5, v6
	v_mul_f32_e32 v6, v13, v134
	;; [unrolled: 3-line block ×18, first 2 shown]
	v_fma_f32 v6, v120, v187, -v6
	s_waitcnt vmcnt(22) lgkmcnt(1)
	v_mul_f32_e32 v133, v122, v189
	v_add_f32_e32 v5, v5, v6
	v_mul_f32_e32 v6, v123, v189
	v_fmac_f32_e32 v133, v123, v188
	v_fma_f32 v6, v122, v188, -v6
	v_add_f32_e32 v131, v131, v133
	s_waitcnt vmcnt(19)
	v_mul_f32_e32 v133, v124, v190
	v_add_f32_e32 v130, v5, v6
	v_mul_f32_e32 v5, v125, v190
	s_waitcnt vmcnt(18)
	v_fmac_f32_e32 v133, v125, v191
	s_waitcnt vmcnt(17) lgkmcnt(0)
	v_mul_f32_e32 v135, v126, v192
	s_waitcnt vmcnt(9)
	v_mov_b32_e32 v98, v143
	v_pk_mul_f32 v[98:99], v[128:129], v[98:99] op_sel_hi:[1,0]
	v_fma_f32 v132, v124, v191, -v5
	v_mul_f32_e32 v5, v127, v192
	ds_read2_b64 v[6:9], v4 offset0:69 offset1:70
	ds_read2_b64 v[10:13], v4 offset0:71 offset1:72
	;; [unrolled: 1-line block ×3, first 2 shown]
	ds_read_b64 v[94:95], v4 offset:600
	s_waitcnt vmcnt(8)
	v_pk_fma_f32 v[100:101], v[128:129], v[142:143], v[98:99] op_sel:[0,0,1] op_sel_hi:[1,1,0] neg_lo:[0,0,1] neg_hi:[0,0,1]
	v_pk_fma_f32 v[98:99], v[128:129], v[142:143], v[98:99] op_sel:[0,0,1] op_sel_hi:[1,0,0]
	v_fmac_f32_e32 v135, v127, v193
	v_fma_f32 v134, v126, v193, -v5
	v_pk_add_f32 v[96:97], v[130:131], v[132:133]
	v_mov_b32_e32 v98, v141
	v_pk_add_f32 v[96:97], v[96:97], v[134:135]
	v_mov_b32_e32 v101, v99
	s_waitcnt lgkmcnt(3)
	v_pk_mul_f32 v[98:99], v[6:7], v[98:99] op_sel_hi:[1,0]
	v_pk_add_f32 v[96:97], v[96:97], v[100:101]
	v_pk_fma_f32 v[100:101], v[6:7], v[140:141], v[98:99] op_sel:[0,0,1] op_sel_hi:[1,1,0] neg_lo:[0,0,1] neg_hi:[0,0,1]
	v_pk_fma_f32 v[6:7], v[6:7], v[140:141], v[98:99] op_sel:[0,0,1] op_sel_hi:[1,0,0]
	v_mov_b32_e32 v101, v7
	v_pk_add_f32 v[6:7], v[96:97], v[100:101]
	v_mov_b32_e32 v96, v139
	v_pk_mul_f32 v[96:97], v[8:9], v[96:97] op_sel_hi:[1,0]
	v_pk_fma_f32 v[98:99], v[8:9], v[138:139], v[96:97] op_sel:[0,0,1] op_sel_hi:[1,1,0] neg_lo:[0,0,1] neg_hi:[0,0,1]
	v_pk_fma_f32 v[8:9], v[8:9], v[138:139], v[96:97] op_sel:[0,0,1] op_sel_hi:[1,0,0]
	v_mov_b32_e32 v8, v137
	v_mov_b32_e32 v99, v9
	s_waitcnt lgkmcnt(2)
	v_pk_mul_f32 v[8:9], v[10:11], v[8:9] op_sel_hi:[1,0]
	v_pk_fma_f32 v[96:97], v[10:11], v[136:137], v[8:9] op_sel:[0,0,1] op_sel_hi:[1,1,0] neg_lo:[0,0,1] neg_hi:[0,0,1]
	v_pk_fma_f32 v[8:9], v[10:11], v[136:137], v[8:9] op_sel:[0,0,1] op_sel_hi:[1,0,0]
	s_waitcnt vmcnt(1)
	v_mov_b32_e32 v8, v151
	v_mov_b32_e32 v97, v9
	v_pk_mul_f32 v[8:9], v[12:13], v[8:9] op_sel_hi:[1,0]
	s_waitcnt vmcnt(0)
	v_pk_fma_f32 v[10:11], v[12:13], v[150:151], v[8:9] op_sel:[0,0,1] op_sel_hi:[1,1,0] neg_lo:[0,0,1] neg_hi:[0,0,1]
	v_pk_fma_f32 v[8:9], v[12:13], v[150:151], v[8:9] op_sel:[0,0,1] op_sel_hi:[1,0,0]
	v_pk_add_f32 v[6:7], v[6:7], v[98:99]
	v_mov_b32_e32 v8, v149
	v_pk_add_f32 v[6:7], v[6:7], v[96:97]
	v_mov_b32_e32 v11, v9
	s_waitcnt lgkmcnt(1)
	v_pk_mul_f32 v[8:9], v[14:15], v[8:9] op_sel_hi:[1,0]
	v_pk_add_f32 v[6:7], v[6:7], v[10:11]
	v_pk_fma_f32 v[10:11], v[14:15], v[148:149], v[8:9] op_sel:[0,0,1] op_sel_hi:[1,1,0] neg_lo:[0,0,1] neg_hi:[0,0,1]
	v_pk_fma_f32 v[8:9], v[14:15], v[148:149], v[8:9] op_sel:[0,0,1] op_sel_hi:[1,0,0]
	v_mov_b32_e32 v8, v147
	v_mov_b32_e32 v11, v9
	v_pk_mul_f32 v[8:9], v[16:17], v[8:9] op_sel_hi:[1,0]
	v_pk_add_f32 v[6:7], v[6:7], v[10:11]
	v_pk_fma_f32 v[10:11], v[16:17], v[146:147], v[8:9] op_sel:[0,0,1] op_sel_hi:[1,1,0] neg_lo:[0,0,1] neg_hi:[0,0,1]
	v_pk_fma_f32 v[8:9], v[16:17], v[146:147], v[8:9] op_sel:[0,0,1] op_sel_hi:[1,0,0]
	v_mov_b32_e32 v8, v145
	v_mov_b32_e32 v11, v9
	s_waitcnt lgkmcnt(0)
	v_pk_mul_f32 v[8:9], v[94:95], v[8:9] op_sel_hi:[1,0]
	v_pk_add_f32 v[6:7], v[6:7], v[10:11]
	v_pk_fma_f32 v[10:11], v[94:95], v[144:145], v[8:9] op_sel:[0,0,1] op_sel_hi:[1,1,0] neg_lo:[0,0,1] neg_hi:[0,0,1]
	v_pk_fma_f32 v[8:9], v[94:95], v[144:145], v[8:9] op_sel:[0,0,1] op_sel_hi:[1,0,0]
	v_mov_b32_e32 v11, v9
	v_pk_add_f32 v[6:7], v[6:7], v[10:11]
	v_pk_add_f32 v[2:3], v[2:3], v[6:7] neg_lo:[0,1] neg_hi:[0,1]
	buffer_store_dword v3, off, s[0:3], 0 offset:52
	buffer_store_dword v2, off, s[0:3], 0 offset:48
	s_and_saveexec_b64 s[4:5], vcc
	s_cbranch_execz .LBB101_231
; %bb.230:
	buffer_load_dword v2, off, s[0:3], 0 offset:40
	buffer_load_dword v3, off, s[0:3], 0 offset:44
	s_waitcnt vmcnt(0)
	ds_write_b64 v1, v[2:3]
	buffer_store_dword v4, off, s[0:3], 0 offset:40
	buffer_store_dword v4, off, s[0:3], 0 offset:44
.LBB101_231:
	s_or_b64 exec, exec, s[4:5]
	s_waitcnt lgkmcnt(0)
	; wave barrier
	s_waitcnt lgkmcnt(0)
	buffer_load_dword v5, off, s[0:3], 0 offset:52
	buffer_load_dword v130, off, s[0:3], 0 offset:60
	;; [unrolled: 1-line block ×48, first 2 shown]
	ds_read_b128 v[6:9], v4 offset:352
	ds_read_b128 v[10:13], v4 offset:368
	;; [unrolled: 1-line block ×6, first 2 shown]
	buffer_load_dword v194, off, s[0:3], 0 offset:232
	buffer_load_dword v195, off, s[0:3], 0 offset:236
	v_cmp_lt_u32_e32 vcc, 4, v0
	s_waitcnt vmcnt(49) lgkmcnt(5)
	v_mul_f32_e32 v106, v6, v5
	s_waitcnt vmcnt(48)
	v_mul_f32_e32 v107, v8, v130
	s_waitcnt vmcnt(47) lgkmcnt(4)
	v_mul_f32_e32 v108, v10, v132
	s_waitcnt vmcnt(46)
	v_mul_f32_e32 v109, v12, v140
	;; [unrolled: 4-line block ×6, first 2 shown]
	s_waitcnt vmcnt(37)
	v_fmac_f32_e32 v106, v7, v160
	s_waitcnt vmcnt(36)
	v_fmac_f32_e32 v107, v9, v161
	v_add_f32_e32 v106, 0, v106
	s_waitcnt vmcnt(35)
	v_fmac_f32_e32 v108, v11, v162
	v_add_f32_e32 v106, v106, v107
	s_waitcnt vmcnt(34)
	v_fmac_f32_e32 v109, v13, v163
	v_add_f32_e32 v106, v106, v108
	s_waitcnt vmcnt(33)
	v_fmac_f32_e32 v110, v15, v164
	v_add_f32_e32 v106, v106, v109
	s_waitcnt vmcnt(32)
	v_fmac_f32_e32 v111, v17, v165
	v_add_f32_e32 v106, v106, v110
	s_waitcnt vmcnt(31)
	v_fmac_f32_e32 v112, v95, v166
	v_add_f32_e32 v106, v106, v111
	s_waitcnt vmcnt(30)
	v_fmac_f32_e32 v113, v97, v167
	v_add_f32_e32 v106, v106, v112
	s_waitcnt vmcnt(29)
	v_fmac_f32_e32 v114, v99, v168
	v_add_f32_e32 v106, v106, v113
	s_waitcnt vmcnt(28)
	v_fmac_f32_e32 v115, v101, v169
	v_add_f32_e32 v106, v106, v114
	v_add_f32_e32 v110, v106, v115
	ds_read_b128 v[106:109], v4 offset:448
	s_waitcnt vmcnt(27)
	v_fmac_f32_e32 v116, v103, v170
	v_add_f32_e32 v110, v110, v116
	s_waitcnt vmcnt(26)
	v_fmac_f32_e32 v117, v105, v171
	v_add_f32_e32 v114, v110, v117
	ds_read_b128 v[110:113], v4 offset:464
	s_waitcnt vmcnt(25) lgkmcnt(1)
	v_mul_f32_e32 v115, v106, v172
	s_waitcnt vmcnt(24)
	v_fmac_f32_e32 v115, v107, v173
	v_add_f32_e32 v114, v114, v115
	s_waitcnt vmcnt(23)
	v_mul_f32_e32 v115, v108, v174
	s_waitcnt vmcnt(22)
	v_fmac_f32_e32 v115, v109, v175
	v_add_f32_e32 v114, v114, v115
	s_waitcnt vmcnt(21) lgkmcnt(0)
	v_mul_f32_e32 v115, v110, v176
	s_waitcnt vmcnt(20)
	v_fmac_f32_e32 v115, v111, v177
	v_add_f32_e32 v118, v114, v115
	ds_read_b128 v[114:117], v4 offset:480
	s_waitcnt vmcnt(19)
	v_mul_f32_e32 v119, v112, v178
	s_waitcnt vmcnt(18)
	v_fmac_f32_e32 v119, v113, v179
	v_add_f32_e32 v122, v118, v119
	ds_read_b128 v[118:121], v4 offset:496
	s_waitcnt vmcnt(17) lgkmcnt(1)
	v_mul_f32_e32 v123, v114, v180
	s_waitcnt vmcnt(16)
	v_fmac_f32_e32 v123, v115, v181
	v_add_f32_e32 v122, v122, v123
	s_waitcnt vmcnt(15)
	v_mul_f32_e32 v123, v116, v182
	s_waitcnt vmcnt(14)
	v_fmac_f32_e32 v123, v117, v183
	v_add_f32_e32 v122, v122, v123
	s_waitcnt vmcnt(13) lgkmcnt(0)
	v_mul_f32_e32 v123, v118, v184
	s_waitcnt vmcnt(12)
	v_fmac_f32_e32 v123, v119, v185
	s_waitcnt vmcnt(11)
	v_mul_f32_e32 v127, v120, v186
	v_add_f32_e32 v126, v122, v123
	s_waitcnt vmcnt(10)
	v_fmac_f32_e32 v127, v121, v187
	ds_read_b128 v[122:125], v4 offset:512
	v_add_f32_e32 v131, v126, v127
	ds_read_b128 v[126:129], v4 offset:528
	buffer_load_dword v135, off, s[0:3], 0 offset:260
	buffer_load_dword v134, off, s[0:3], 0 offset:256
	;; [unrolled: 1-line block ×16, first 2 shown]
	v_mul_f32_e32 v5, v7, v5
	v_fma_f32 v5, v6, v160, -v5
	v_mul_f32_e32 v6, v9, v130
	v_add_f32_e32 v5, 0, v5
	v_fma_f32 v6, v8, v161, -v6
	v_add_f32_e32 v5, v5, v6
	v_mul_f32_e32 v6, v11, v132
	v_fma_f32 v6, v10, v162, -v6
	v_add_f32_e32 v5, v5, v6
	v_mul_f32_e32 v6, v13, v140
	;; [unrolled: 3-line block ×18, first 2 shown]
	v_fma_f32 v6, v120, v187, -v6
	v_add_f32_e32 v5, v5, v6
	s_waitcnt vmcnt(23) lgkmcnt(1)
	v_mul_f32_e32 v6, v123, v188
	s_waitcnt vmcnt(22)
	v_fma_f32 v6, v122, v189, -v6
	v_add_f32_e32 v5, v5, v6
	s_waitcnt vmcnt(20)
	v_mul_f32_e32 v6, v125, v191
	v_fma_f32 v6, v124, v190, -v6
	v_add_f32_e32 v130, v5, v6
	ds_read_b128 v[6:9], v4 offset:544
	ds_read_b128 v[10:13], v4 offset:560
	;; [unrolled: 1-line block ×4, first 2 shown]
	v_mul_f32_e32 v133, v122, v188
	v_fmac_f32_e32 v133, v123, v189
	v_add_f32_e32 v131, v131, v133
	v_mul_f32_e32 v133, v124, v191
	v_fmac_f32_e32 v133, v125, v190
	v_add_f32_e32 v131, v131, v133
	s_waitcnt vmcnt(18) lgkmcnt(4)
	v_mul_f32_e32 v133, v126, v193
	v_mul_f32_e32 v5, v127, v193
	v_fmac_f32_e32 v133, v127, v192
	s_waitcnt vmcnt(16)
	v_mul_f32_e32 v141, v128, v195
	s_waitcnt vmcnt(11)
	v_mov_b32_e32 v98, v139
	s_waitcnt lgkmcnt(3)
	v_pk_mul_f32 v[98:99], v[6:7], v[98:99] op_sel_hi:[1,0]
	s_waitcnt vmcnt(10)
	v_pk_fma_f32 v[100:101], v[6:7], v[138:139], v[98:99] op_sel:[0,0,1] op_sel_hi:[1,1,0] neg_lo:[0,0,1] neg_hi:[0,0,1]
	v_pk_fma_f32 v[6:7], v[6:7], v[138:139], v[98:99] op_sel:[0,0,1] op_sel_hi:[1,0,0]
	v_mov_b32_e32 v6, v137
	v_mov_b32_e32 v101, v7
	v_pk_mul_f32 v[6:7], v[8:9], v[6:7] op_sel_hi:[1,0]
	v_pk_fma_f32 v[98:99], v[8:9], v[136:137], v[6:7] op_sel:[0,0,1] op_sel_hi:[1,1,0] neg_lo:[0,0,1] neg_hi:[0,0,1]
	v_pk_fma_f32 v[6:7], v[8:9], v[136:137], v[6:7] op_sel:[0,0,1] op_sel_hi:[1,0,0]
	v_fma_f32 v132, v126, v192, -v5
	v_mul_f32_e32 v5, v129, v195
	v_mov_b32_e32 v6, v135
	v_fmac_f32_e32 v141, v129, v194
	v_fma_f32 v140, v128, v194, -v5
	v_pk_add_f32 v[4:5], v[130:131], v[132:133]
	v_mov_b32_e32 v99, v7
	s_waitcnt lgkmcnt(2)
	v_pk_mul_f32 v[6:7], v[10:11], v[6:7] op_sel_hi:[1,0]
	v_pk_add_f32 v[4:5], v[4:5], v[140:141]
	v_pk_fma_f32 v[8:9], v[10:11], v[134:135], v[6:7] op_sel:[0,0,1] op_sel_hi:[1,1,0] neg_lo:[0,0,1] neg_hi:[0,0,1]
	v_pk_fma_f32 v[6:7], v[10:11], v[134:135], v[6:7] op_sel:[0,0,1] op_sel_hi:[1,0,0]
	v_pk_add_f32 v[4:5], v[4:5], v[100:101]
	s_waitcnt vmcnt(3)
	v_mov_b32_e32 v6, v149
	v_pk_add_f32 v[4:5], v[4:5], v[98:99]
	v_mov_b32_e32 v9, v7
	v_pk_mul_f32 v[6:7], v[12:13], v[6:7] op_sel_hi:[1,0]
	v_pk_add_f32 v[4:5], v[4:5], v[8:9]
	s_waitcnt vmcnt(2)
	v_pk_fma_f32 v[8:9], v[12:13], v[148:149], v[6:7] op_sel:[0,0,1] op_sel_hi:[1,1,0] neg_lo:[0,0,1] neg_hi:[0,0,1]
	v_pk_fma_f32 v[6:7], v[12:13], v[148:149], v[6:7] op_sel:[0,0,1] op_sel_hi:[1,0,0]
	v_mov_b32_e32 v6, v147
	v_mov_b32_e32 v9, v7
	s_waitcnt lgkmcnt(1)
	v_pk_mul_f32 v[6:7], v[14:15], v[6:7] op_sel_hi:[1,0]
	v_pk_add_f32 v[4:5], v[4:5], v[8:9]
	v_pk_fma_f32 v[8:9], v[14:15], v[146:147], v[6:7] op_sel:[0,0,1] op_sel_hi:[1,1,0] neg_lo:[0,0,1] neg_hi:[0,0,1]
	v_pk_fma_f32 v[6:7], v[14:15], v[146:147], v[6:7] op_sel:[0,0,1] op_sel_hi:[1,0,0]
	v_mov_b32_e32 v6, v145
	v_mov_b32_e32 v9, v7
	v_pk_mul_f32 v[6:7], v[16:17], v[6:7] op_sel_hi:[1,0]
	v_pk_add_f32 v[4:5], v[4:5], v[8:9]
	v_pk_fma_f32 v[8:9], v[16:17], v[144:145], v[6:7] op_sel:[0,0,1] op_sel_hi:[1,1,0] neg_lo:[0,0,1] neg_hi:[0,0,1]
	v_pk_fma_f32 v[6:7], v[16:17], v[144:145], v[6:7] op_sel:[0,0,1] op_sel_hi:[1,0,0]
	v_mov_b32_e32 v6, v143
	v_mov_b32_e32 v9, v7
	s_waitcnt lgkmcnt(0)
	v_pk_mul_f32 v[6:7], v[94:95], v[6:7] op_sel_hi:[1,0]
	v_pk_add_f32 v[4:5], v[4:5], v[8:9]
	v_pk_fma_f32 v[8:9], v[94:95], v[142:143], v[6:7] op_sel:[0,0,1] op_sel_hi:[1,1,0] neg_lo:[0,0,1] neg_hi:[0,0,1]
	v_pk_fma_f32 v[6:7], v[94:95], v[142:143], v[6:7] op_sel:[0,0,1] op_sel_hi:[1,0,0]
	s_waitcnt vmcnt(1)
	v_mov_b32_e32 v6, v151
	v_mov_b32_e32 v9, v7
	v_pk_mul_f32 v[6:7], v[96:97], v[6:7] op_sel_hi:[1,0]
	v_pk_add_f32 v[4:5], v[4:5], v[8:9]
	s_waitcnt vmcnt(0)
	v_pk_fma_f32 v[8:9], v[96:97], v[150:151], v[6:7] op_sel:[0,0,1] op_sel_hi:[1,1,0] neg_lo:[0,0,1] neg_hi:[0,0,1]
	v_pk_fma_f32 v[6:7], v[96:97], v[150:151], v[6:7] op_sel:[0,0,1] op_sel_hi:[1,0,0]
	v_mov_b32_e32 v9, v7
	v_pk_add_f32 v[4:5], v[4:5], v[8:9]
	v_pk_add_f32 v[2:3], v[2:3], v[4:5] neg_lo:[0,1] neg_hi:[0,1]
	buffer_store_dword v3, off, s[0:3], 0 offset:44
	buffer_store_dword v2, off, s[0:3], 0 offset:40
	s_and_saveexec_b64 s[4:5], vcc
	s_cbranch_execz .LBB101_233
; %bb.232:
	buffer_load_dword v2, off, s[0:3], 0 offset:32
	buffer_load_dword v3, off, s[0:3], 0 offset:36
	v_mov_b32_e32 v4, 0
	buffer_store_dword v4, off, s[0:3], 0 offset:32
	buffer_store_dword v4, off, s[0:3], 0 offset:36
	s_waitcnt vmcnt(2)
	ds_write_b64 v1, v[2:3]
.LBB101_233:
	s_or_b64 exec, exec, s[4:5]
	s_waitcnt lgkmcnt(0)
	; wave barrier
	s_waitcnt lgkmcnt(0)
	buffer_load_dword v5, off, s[0:3], 0 offset:44
	buffer_load_dword v138, off, s[0:3], 0 offset:52
	;; [unrolled: 1-line block ×52, first 2 shown]
	v_mov_b32_e32 v4, 0
	ds_read2_b64 v[6:9], v4 offset0:43 offset1:44
	ds_read2_b64 v[10:13], v4 offset0:45 offset1:46
	;; [unrolled: 1-line block ×6, first 2 shown]
	v_cmp_lt_u32_e32 vcc, 3, v0
	s_waitcnt vmcnt(51) lgkmcnt(5)
	v_mul_f32_e32 v106, v6, v5
	s_waitcnt vmcnt(50)
	v_mul_f32_e32 v107, v8, v138
	s_waitcnt vmcnt(49) lgkmcnt(4)
	v_mul_f32_e32 v108, v10, v144
	s_waitcnt vmcnt(48)
	v_mul_f32_e32 v109, v12, v146
	;; [unrolled: 4-line block ×5, first 2 shown]
	s_waitcnt vmcnt(41) lgkmcnt(0)
	v_mul_f32_e32 v116, v102, v166
	s_waitcnt vmcnt(40)
	v_fmac_f32_e32 v106, v7, v167
	s_waitcnt vmcnt(39)
	v_fmac_f32_e32 v107, v9, v168
	v_add_f32_e32 v106, 0, v106
	s_waitcnt vmcnt(38)
	v_fmac_f32_e32 v108, v11, v169
	v_add_f32_e32 v106, v106, v107
	;; [unrolled: 3-line block ×9, first 2 shown]
	v_add_f32_e32 v106, v106, v115
	s_waitcnt vmcnt(30)
	v_fmac_f32_e32 v116, v103, v177
	v_add_f32_e32 v110, v106, v116
	ds_read2_b64 v[106:109], v4 offset0:55 offset1:56
	s_waitcnt vmcnt(29)
	v_mul_f32_e32 v111, v104, v178
	s_waitcnt vmcnt(28)
	v_fmac_f32_e32 v111, v105, v179
	v_add_f32_e32 v114, v110, v111
	ds_read2_b64 v[110:113], v4 offset0:57 offset1:58
	s_waitcnt vmcnt(27) lgkmcnt(1)
	v_mul_f32_e32 v115, v106, v180
	s_waitcnt vmcnt(26)
	v_fmac_f32_e32 v115, v107, v181
	v_add_f32_e32 v114, v114, v115
	s_waitcnt vmcnt(25)
	v_mul_f32_e32 v115, v108, v182
	s_waitcnt vmcnt(24)
	v_fmac_f32_e32 v115, v109, v183
	v_add_f32_e32 v114, v114, v115
	s_waitcnt vmcnt(23) lgkmcnt(0)
	v_mul_f32_e32 v115, v110, v184
	s_waitcnt vmcnt(22)
	v_fmac_f32_e32 v115, v111, v185
	v_add_f32_e32 v118, v114, v115
	ds_read2_b64 v[114:117], v4 offset0:59 offset1:60
	s_waitcnt vmcnt(21)
	v_mul_f32_e32 v119, v112, v186
	s_waitcnt vmcnt(20)
	v_fmac_f32_e32 v119, v113, v187
	v_add_f32_e32 v122, v118, v119
	ds_read2_b64 v[118:121], v4 offset0:61 offset1:62
	s_waitcnt vmcnt(19) lgkmcnt(1)
	v_mul_f32_e32 v123, v114, v188
	s_waitcnt vmcnt(18)
	v_fmac_f32_e32 v123, v115, v189
	v_add_f32_e32 v122, v122, v123
	s_waitcnt vmcnt(17)
	v_mul_f32_e32 v123, v116, v190
	s_waitcnt vmcnt(16)
	v_fmac_f32_e32 v123, v117, v191
	v_add_f32_e32 v122, v122, v123
	s_waitcnt vmcnt(14) lgkmcnt(0)
	v_mul_f32_e32 v123, v118, v193
	v_fmac_f32_e32 v123, v119, v192
	v_add_f32_e32 v126, v122, v123
	ds_read2_b64 v[122:125], v4 offset0:63 offset1:64
	s_waitcnt vmcnt(10)
	v_mul_f32_e32 v127, v120, v195
	v_fmac_f32_e32 v127, v121, v194
	v_add_f32_e32 v130, v126, v127
	ds_read2_b64 v[126:129], v4 offset0:65 offset1:66
	s_waitcnt vmcnt(8) lgkmcnt(1)
	v_mul_f32_e32 v131, v122, v197
	v_fmac_f32_e32 v131, v123, v196
	v_add_f32_e32 v130, v130, v131
	s_waitcnt vmcnt(6)
	v_mul_f32_e32 v131, v124, v199
	v_fmac_f32_e32 v131, v125, v198
	v_add_f32_e32 v130, v130, v131
	s_waitcnt vmcnt(4) lgkmcnt(0)
	v_mul_f32_e32 v131, v126, v201
	v_fmac_f32_e32 v131, v127, v200
	v_add_f32_e32 v139, v130, v131
	ds_read2_b64 v[130:133], v4 offset0:67 offset1:68
	buffer_load_dword v141, off, s[0:3], 0 offset:252
	buffer_load_dword v140, off, s[0:3], 0 offset:248
	;; [unrolled: 1-line block ×4, first 2 shown]
	ds_read2_b64 v[134:137], v4 offset0:69 offset1:70
	buffer_load_dword v149, off, s[0:3], 0 offset:284
	buffer_load_dword v148, off, s[0:3], 0 offset:280
	;; [unrolled: 1-line block ×12, first 2 shown]
	v_mul_f32_e32 v5, v7, v5
	v_fma_f32 v5, v6, v167, -v5
	v_mul_f32_e32 v6, v9, v138
	v_add_f32_e32 v5, 0, v5
	v_fma_f32 v6, v8, v168, -v6
	v_add_f32_e32 v5, v5, v6
	v_mul_f32_e32 v6, v11, v144
	v_fma_f32 v6, v10, v169, -v6
	v_add_f32_e32 v5, v5, v6
	v_mul_f32_e32 v6, v13, v146
	;; [unrolled: 3-line block ×21, first 2 shown]
	v_fma_f32 v6, v126, v200, -v6
	s_waitcnt vmcnt(18)
	v_mul_f32_e32 v145, v128, v203
	v_add_f32_e32 v138, v5, v6
	v_mul_f32_e32 v5, v129, v203
	v_fmac_f32_e32 v145, v129, v202
	s_waitcnt vmcnt(16) lgkmcnt(1)
	v_mul_f32_e32 v147, v130, v205
	v_fma_f32 v144, v128, v202, -v5
	v_mul_f32_e32 v5, v131, v205
	v_fmac_f32_e32 v147, v131, v204
	s_waitcnt vmcnt(13)
	v_mov_b32_e32 v94, v143
	v_pk_mul_f32 v[94:95], v[132:133], v[94:95] op_sel_hi:[1,0]
	s_waitcnt vmcnt(12)
	v_pk_fma_f32 v[96:97], v[132:133], v[142:143], v[94:95] op_sel:[0,0,1] op_sel_hi:[1,1,0] neg_lo:[0,0,1] neg_hi:[0,0,1]
	v_pk_fma_f32 v[94:95], v[132:133], v[142:143], v[94:95] op_sel:[0,0,1] op_sel_hi:[1,0,0]
	v_fma_f32 v146, v130, v204, -v5
	v_pk_add_f32 v[16:17], v[138:139], v[144:145]
	v_mov_b32_e32 v94, v141
	v_pk_add_f32 v[16:17], v[16:17], v[146:147]
	v_mov_b32_e32 v97, v95
	s_waitcnt lgkmcnt(0)
	v_pk_mul_f32 v[94:95], v[134:135], v[94:95] op_sel_hi:[1,0]
	v_pk_add_f32 v[16:17], v[16:17], v[96:97]
	v_pk_fma_f32 v[96:97], v[134:135], v[140:141], v[94:95] op_sel:[0,0,1] op_sel_hi:[1,1,0] neg_lo:[0,0,1] neg_hi:[0,0,1]
	v_pk_fma_f32 v[94:95], v[134:135], v[140:141], v[94:95] op_sel:[0,0,1] op_sel_hi:[1,0,0]
	s_waitcnt vmcnt(5)
	v_mov_b32_e32 v94, v155
	ds_read2_b64 v[6:9], v4 offset0:71 offset1:72
	ds_read2_b64 v[10:13], v4 offset0:73 offset1:74
	ds_read_b64 v[14:15], v4 offset:600
	v_mov_b32_e32 v97, v95
	v_pk_mul_f32 v[94:95], v[136:137], v[94:95] op_sel_hi:[1,0]
	v_pk_add_f32 v[16:17], v[16:17], v[96:97]
	s_waitcnt vmcnt(4)
	v_pk_fma_f32 v[96:97], v[136:137], v[154:155], v[94:95] op_sel:[0,0,1] op_sel_hi:[1,1,0] neg_lo:[0,0,1] neg_hi:[0,0,1]
	v_pk_fma_f32 v[94:95], v[136:137], v[154:155], v[94:95] op_sel:[0,0,1] op_sel_hi:[1,0,0]
	v_mov_b32_e32 v94, v153
	v_mov_b32_e32 v97, v95
	s_waitcnt lgkmcnt(2)
	v_pk_mul_f32 v[94:95], v[6:7], v[94:95] op_sel_hi:[1,0]
	v_pk_add_f32 v[16:17], v[16:17], v[96:97]
	v_pk_fma_f32 v[96:97], v[6:7], v[152:153], v[94:95] op_sel:[0,0,1] op_sel_hi:[1,1,0] neg_lo:[0,0,1] neg_hi:[0,0,1]
	v_pk_fma_f32 v[6:7], v[6:7], v[152:153], v[94:95] op_sel:[0,0,1] op_sel_hi:[1,0,0]
	v_mov_b32_e32 v97, v7
	v_pk_add_f32 v[6:7], v[16:17], v[96:97]
	v_mov_b32_e32 v16, v151
	v_pk_mul_f32 v[16:17], v[8:9], v[16:17] op_sel_hi:[1,0]
	v_pk_fma_f32 v[94:95], v[8:9], v[150:151], v[16:17] op_sel:[0,0,1] op_sel_hi:[1,1,0] neg_lo:[0,0,1] neg_hi:[0,0,1]
	v_pk_fma_f32 v[8:9], v[8:9], v[150:151], v[16:17] op_sel:[0,0,1] op_sel_hi:[1,0,0]
	v_mov_b32_e32 v8, v149
	v_mov_b32_e32 v95, v9
	s_waitcnt lgkmcnt(1)
	v_pk_mul_f32 v[8:9], v[10:11], v[8:9] op_sel_hi:[1,0]
	v_pk_fma_f32 v[16:17], v[10:11], v[148:149], v[8:9] op_sel:[0,0,1] op_sel_hi:[1,1,0] neg_lo:[0,0,1] neg_hi:[0,0,1]
	v_pk_fma_f32 v[8:9], v[10:11], v[148:149], v[8:9] op_sel:[0,0,1] op_sel_hi:[1,0,0]
	s_waitcnt vmcnt(1)
	v_mov_b32_e32 v8, v159
	v_mov_b32_e32 v17, v9
	v_pk_mul_f32 v[8:9], v[12:13], v[8:9] op_sel_hi:[1,0]
	s_waitcnt vmcnt(0)
	v_pk_fma_f32 v[10:11], v[12:13], v[158:159], v[8:9] op_sel:[0,0,1] op_sel_hi:[1,1,0] neg_lo:[0,0,1] neg_hi:[0,0,1]
	v_pk_fma_f32 v[8:9], v[12:13], v[158:159], v[8:9] op_sel:[0,0,1] op_sel_hi:[1,0,0]
	v_pk_add_f32 v[6:7], v[6:7], v[94:95]
	v_mov_b32_e32 v8, v157
	v_pk_add_f32 v[6:7], v[6:7], v[16:17]
	v_mov_b32_e32 v11, v9
	s_waitcnt lgkmcnt(0)
	v_pk_mul_f32 v[8:9], v[14:15], v[8:9] op_sel_hi:[1,0]
	v_pk_add_f32 v[6:7], v[6:7], v[10:11]
	v_pk_fma_f32 v[10:11], v[14:15], v[156:157], v[8:9] op_sel:[0,0,1] op_sel_hi:[1,1,0] neg_lo:[0,0,1] neg_hi:[0,0,1]
	v_pk_fma_f32 v[8:9], v[14:15], v[156:157], v[8:9] op_sel:[0,0,1] op_sel_hi:[1,0,0]
	v_mov_b32_e32 v11, v9
	v_pk_add_f32 v[6:7], v[6:7], v[10:11]
	v_pk_add_f32 v[2:3], v[2:3], v[6:7] neg_lo:[0,1] neg_hi:[0,1]
	buffer_store_dword v3, off, s[0:3], 0 offset:36
	buffer_store_dword v2, off, s[0:3], 0 offset:32
	s_and_saveexec_b64 s[4:5], vcc
	s_cbranch_execz .LBB101_235
; %bb.234:
	buffer_load_dword v2, off, s[0:3], 0 offset:24
	buffer_load_dword v3, off, s[0:3], 0 offset:28
	s_waitcnt vmcnt(0)
	ds_write_b64 v1, v[2:3]
	buffer_store_dword v4, off, s[0:3], 0 offset:24
	buffer_store_dword v4, off, s[0:3], 0 offset:28
.LBB101_235:
	s_or_b64 exec, exec, s[4:5]
	s_waitcnt lgkmcnt(0)
	; wave barrier
	s_waitcnt lgkmcnt(0)
	buffer_load_dword v5, off, s[0:3], 0 offset:36
	buffer_load_dword v140, off, s[0:3], 0 offset:44
	;; [unrolled: 1-line block ×42, first 2 shown]
	ds_read_b128 v[6:9], v4 offset:336
	ds_read_b128 v[10:13], v4 offset:352
	buffer_load_dword v196, off, s[0:3], 0 offset:192
	buffer_load_dword v197, off, s[0:3], 0 offset:196
	ds_read_b128 v[14:17], v4 offset:368
	ds_read_b128 v[94:97], v4 offset:384
	buffer_load_dword v198, off, s[0:3], 0 offset:200
	buffer_load_dword v199, off, s[0:3], 0 offset:204
	;; [unrolled: 1-line block ×4, first 2 shown]
	ds_read_b128 v[98:101], v4 offset:400
	ds_read_b128 v[102:105], v4 offset:416
	buffer_load_dword v202, off, s[0:3], 0 offset:216
	buffer_load_dword v203, off, s[0:3], 0 offset:220
	;; [unrolled: 1-line block ×6, first 2 shown]
	v_cmp_lt_u32_e32 vcc, 2, v0
	s_waitcnt vmcnt(53) lgkmcnt(5)
	v_mul_f32_e32 v106, v6, v5
	s_waitcnt vmcnt(52)
	v_mul_f32_e32 v107, v8, v140
	s_waitcnt vmcnt(51) lgkmcnt(4)
	v_mul_f32_e32 v108, v10, v142
	s_waitcnt vmcnt(50)
	v_mul_f32_e32 v109, v12, v144
	;; [unrolled: 4-line block ×5, first 2 shown]
	s_waitcnt vmcnt(43)
	v_fmac_f32_e32 v106, v7, v166
	s_waitcnt vmcnt(42)
	v_fmac_f32_e32 v107, v9, v167
	v_add_f32_e32 v106, 0, v106
	s_waitcnt vmcnt(41)
	v_fmac_f32_e32 v108, v11, v168
	v_add_f32_e32 v106, v106, v107
	;; [unrolled: 3-line block ×9, first 2 shown]
	s_waitcnt vmcnt(33) lgkmcnt(0)
	v_mul_f32_e32 v107, v102, v176
	v_add_f32_e32 v106, v106, v115
	s_waitcnt vmcnt(32)
	v_fmac_f32_e32 v107, v103, v177
	v_add_f32_e32 v110, v106, v107
	ds_read_b128 v[106:109], v4 offset:432
	s_waitcnt vmcnt(31)
	v_mul_f32_e32 v111, v104, v178
	s_waitcnt vmcnt(30)
	v_fmac_f32_e32 v111, v105, v179
	v_add_f32_e32 v114, v110, v111
	ds_read_b128 v[110:113], v4 offset:448
	s_waitcnt vmcnt(29) lgkmcnt(1)
	v_mul_f32_e32 v115, v106, v180
	s_waitcnt vmcnt(28)
	v_fmac_f32_e32 v115, v107, v181
	v_add_f32_e32 v114, v114, v115
	s_waitcnt vmcnt(27)
	v_mul_f32_e32 v115, v108, v182
	s_waitcnt vmcnt(26)
	v_fmac_f32_e32 v115, v109, v183
	v_add_f32_e32 v114, v114, v115
	s_waitcnt vmcnt(25) lgkmcnt(0)
	v_mul_f32_e32 v115, v110, v184
	s_waitcnt vmcnt(24)
	v_fmac_f32_e32 v115, v111, v185
	v_add_f32_e32 v118, v114, v115
	ds_read_b128 v[114:117], v4 offset:464
	s_waitcnt vmcnt(23)
	v_mul_f32_e32 v119, v112, v186
	s_waitcnt vmcnt(22)
	v_fmac_f32_e32 v119, v113, v187
	v_add_f32_e32 v122, v118, v119
	ds_read_b128 v[118:121], v4 offset:480
	s_waitcnt vmcnt(21) lgkmcnt(1)
	v_mul_f32_e32 v123, v114, v188
	s_waitcnt vmcnt(20)
	v_fmac_f32_e32 v123, v115, v189
	v_add_f32_e32 v122, v122, v123
	s_waitcnt vmcnt(18)
	v_mul_f32_e32 v123, v116, v191
	v_fmac_f32_e32 v123, v117, v190
	v_add_f32_e32 v122, v122, v123
	s_waitcnt vmcnt(15) lgkmcnt(0)
	v_mul_f32_e32 v123, v118, v192
	s_waitcnt vmcnt(14)
	v_fmac_f32_e32 v123, v119, v193
	v_add_f32_e32 v126, v122, v123
	ds_read_b128 v[122:125], v4 offset:496
	s_waitcnt vmcnt(12)
	v_mul_f32_e32 v127, v120, v195
	v_fmac_f32_e32 v127, v121, v194
	v_add_f32_e32 v130, v126, v127
	ds_read_b128 v[126:129], v4 offset:512
	buffer_load_dword v139, off, s[0:3], 0 offset:244
	buffer_load_dword v138, off, s[0:3], 0 offset:240
	s_waitcnt vmcnt(12) lgkmcnt(1)
	v_mul_f32_e32 v131, v122, v197
	v_fmac_f32_e32 v131, v123, v196
	v_add_f32_e32 v130, v130, v131
	s_waitcnt vmcnt(10)
	v_mul_f32_e32 v131, v124, v199
	v_fmac_f32_e32 v131, v125, v198
	v_add_f32_e32 v130, v130, v131
	s_waitcnt vmcnt(8) lgkmcnt(0)
	v_mul_f32_e32 v131, v126, v201
	v_fmac_f32_e32 v131, v127, v200
	s_waitcnt vmcnt(6)
	v_mul_f32_e32 v135, v128, v203
	v_add_f32_e32 v134, v130, v131
	v_fmac_f32_e32 v135, v129, v202
	ds_read_b128 v[130:133], v4 offset:528
	v_add_f32_e32 v141, v134, v135
	ds_read_b128 v[134:137], v4 offset:544
	buffer_load_dword v147, off, s[0:3], 0 offset:276
	buffer_load_dword v146, off, s[0:3], 0 offset:272
	;; [unrolled: 1-line block ×14, first 2 shown]
	v_mul_f32_e32 v5, v7, v5
	v_fma_f32 v5, v6, v166, -v5
	v_mul_f32_e32 v6, v9, v140
	v_add_f32_e32 v5, 0, v5
	v_fma_f32 v6, v8, v167, -v6
	v_add_f32_e32 v5, v5, v6
	v_mul_f32_e32 v6, v11, v142
	v_fma_f32 v6, v10, v168, -v6
	v_add_f32_e32 v5, v5, v6
	v_mul_f32_e32 v6, v13, v144
	;; [unrolled: 3-line block ×22, first 2 shown]
	v_fma_f32 v6, v128, v202, -v6
	s_waitcnt vmcnt(15)
	v_mov_b32_e32 v94, v139
	s_waitcnt lgkmcnt(1)
	v_mul_f32_e32 v143, v130, v205
	v_add_f32_e32 v140, v5, v6
	v_mul_f32_e32 v5, v131, v205
	s_waitcnt lgkmcnt(0)
	v_pk_mul_f32 v[94:95], v[134:135], v[94:95] op_sel_hi:[1,0]
	v_fmac_f32_e32 v143, v131, v204
	v_mul_f32_e32 v145, v132, v207
	v_fma_f32 v142, v130, v204, -v5
	v_mul_f32_e32 v5, v133, v207
	s_waitcnt vmcnt(14)
	v_pk_fma_f32 v[96:97], v[134:135], v[138:139], v[94:95] op_sel:[0,0,1] op_sel_hi:[1,1,0] neg_lo:[0,0,1] neg_hi:[0,0,1]
	v_pk_fma_f32 v[94:95], v[134:135], v[138:139], v[94:95] op_sel:[0,0,1] op_sel_hi:[1,0,0]
	v_fmac_f32_e32 v145, v133, v206
	v_fma_f32 v144, v132, v206, -v5
	ds_read_b128 v[6:9], v4 offset:560
	ds_read_b128 v[10:13], v4 offset:576
	;; [unrolled: 1-line block ×3, first 2 shown]
	v_pk_add_f32 v[4:5], v[140:141], v[142:143]
	s_waitcnt vmcnt(7)
	v_mov_b32_e32 v94, v153
	v_pk_add_f32 v[4:5], v[4:5], v[144:145]
	v_mov_b32_e32 v97, v95
	v_pk_mul_f32 v[94:95], v[136:137], v[94:95] op_sel_hi:[1,0]
	v_pk_add_f32 v[4:5], v[4:5], v[96:97]
	s_waitcnt vmcnt(6)
	v_pk_fma_f32 v[96:97], v[136:137], v[152:153], v[94:95] op_sel:[0,0,1] op_sel_hi:[1,1,0] neg_lo:[0,0,1] neg_hi:[0,0,1]
	v_pk_fma_f32 v[94:95], v[136:137], v[152:153], v[94:95] op_sel:[0,0,1] op_sel_hi:[1,0,0]
	v_mov_b32_e32 v94, v151
	v_mov_b32_e32 v97, v95
	s_waitcnt lgkmcnt(2)
	v_pk_mul_f32 v[94:95], v[6:7], v[94:95] op_sel_hi:[1,0]
	v_pk_add_f32 v[4:5], v[4:5], v[96:97]
	v_pk_fma_f32 v[96:97], v[6:7], v[150:151], v[94:95] op_sel:[0,0,1] op_sel_hi:[1,1,0] neg_lo:[0,0,1] neg_hi:[0,0,1]
	v_pk_fma_f32 v[6:7], v[6:7], v[150:151], v[94:95] op_sel:[0,0,1] op_sel_hi:[1,0,0]
	v_mov_b32_e32 v6, v149
	v_mov_b32_e32 v97, v7
	v_pk_mul_f32 v[6:7], v[8:9], v[6:7] op_sel_hi:[1,0]
	v_pk_fma_f32 v[94:95], v[8:9], v[148:149], v[6:7] op_sel:[0,0,1] op_sel_hi:[1,1,0] neg_lo:[0,0,1] neg_hi:[0,0,1]
	v_pk_fma_f32 v[6:7], v[8:9], v[148:149], v[6:7] op_sel:[0,0,1] op_sel_hi:[1,0,0]
	v_mov_b32_e32 v6, v147
	v_mov_b32_e32 v95, v7
	s_waitcnt lgkmcnt(1)
	v_pk_mul_f32 v[6:7], v[10:11], v[6:7] op_sel_hi:[1,0]
	v_pk_fma_f32 v[8:9], v[10:11], v[146:147], v[6:7] op_sel:[0,0,1] op_sel_hi:[1,1,0] neg_lo:[0,0,1] neg_hi:[0,0,1]
	v_pk_fma_f32 v[6:7], v[10:11], v[146:147], v[6:7] op_sel:[0,0,1] op_sel_hi:[1,0,0]
	v_pk_add_f32 v[4:5], v[4:5], v[96:97]
	s_waitcnt vmcnt(1)
	v_mov_b32_e32 v6, v159
	v_pk_add_f32 v[4:5], v[4:5], v[94:95]
	v_mov_b32_e32 v9, v7
	v_pk_mul_f32 v[6:7], v[12:13], v[6:7] op_sel_hi:[1,0]
	v_pk_add_f32 v[4:5], v[4:5], v[8:9]
	s_waitcnt vmcnt(0)
	v_pk_fma_f32 v[8:9], v[12:13], v[158:159], v[6:7] op_sel:[0,0,1] op_sel_hi:[1,1,0] neg_lo:[0,0,1] neg_hi:[0,0,1]
	v_pk_fma_f32 v[6:7], v[12:13], v[158:159], v[6:7] op_sel:[0,0,1] op_sel_hi:[1,0,0]
	v_mov_b32_e32 v6, v157
	v_mov_b32_e32 v9, v7
	s_waitcnt lgkmcnt(0)
	v_pk_mul_f32 v[6:7], v[14:15], v[6:7] op_sel_hi:[1,0]
	v_pk_add_f32 v[4:5], v[4:5], v[8:9]
	v_pk_fma_f32 v[8:9], v[14:15], v[156:157], v[6:7] op_sel:[0,0,1] op_sel_hi:[1,1,0] neg_lo:[0,0,1] neg_hi:[0,0,1]
	v_pk_fma_f32 v[6:7], v[14:15], v[156:157], v[6:7] op_sel:[0,0,1] op_sel_hi:[1,0,0]
	v_mov_b32_e32 v6, v155
	v_mov_b32_e32 v9, v7
	v_pk_mul_f32 v[6:7], v[16:17], v[6:7] op_sel_hi:[1,0]
	v_pk_add_f32 v[4:5], v[4:5], v[8:9]
	v_pk_fma_f32 v[8:9], v[16:17], v[154:155], v[6:7] op_sel:[0,0,1] op_sel_hi:[1,1,0] neg_lo:[0,0,1] neg_hi:[0,0,1]
	v_pk_fma_f32 v[6:7], v[16:17], v[154:155], v[6:7] op_sel:[0,0,1] op_sel_hi:[1,0,0]
	v_mov_b32_e32 v9, v7
	v_pk_add_f32 v[4:5], v[4:5], v[8:9]
	v_pk_add_f32 v[2:3], v[2:3], v[4:5] neg_lo:[0,1] neg_hi:[0,1]
	buffer_store_dword v3, off, s[0:3], 0 offset:28
	buffer_store_dword v2, off, s[0:3], 0 offset:24
	s_and_saveexec_b64 s[4:5], vcc
	s_cbranch_execz .LBB101_237
; %bb.236:
	buffer_load_dword v2, off, s[0:3], 0 offset:16
	buffer_load_dword v3, off, s[0:3], 0 offset:20
	v_mov_b32_e32 v4, 0
	buffer_store_dword v4, off, s[0:3], 0 offset:16
	buffer_store_dword v4, off, s[0:3], 0 offset:20
	s_waitcnt vmcnt(2)
	ds_write_b64 v1, v[2:3]
.LBB101_237:
	s_or_b64 exec, exec, s[4:5]
	s_waitcnt lgkmcnt(0)
	; wave barrier
	s_waitcnt lgkmcnt(0)
	buffer_load_dword v5, off, s[0:3], 0 offset:28
	buffer_load_dword v138, off, s[0:3], 0 offset:36
	buffer_load_dword v140, off, s[0:3], 0 offset:44
	buffer_load_dword v142, off, s[0:3], 0 offset:52
	buffer_load_dword v160, off, s[0:3], 0 offset:60
	buffer_load_dword v161, off, s[0:3], 0 offset:68
	buffer_load_dword v162, off, s[0:3], 0 offset:76
	buffer_load_dword v163, off, s[0:3], 0 offset:84
	buffer_load_dword v164, off, s[0:3], 0 offset:92
	buffer_load_dword v165, off, s[0:3], 0 offset:24
	buffer_load_dword v166, off, s[0:3], 0 offset:32
	buffer_load_dword v167, off, s[0:3], 0 offset:40
	buffer_load_dword v168, off, s[0:3], 0 offset:48
	buffer_load_dword v169, off, s[0:3], 0 offset:56
	buffer_load_dword v170, off, s[0:3], 0 offset:64
	buffer_load_dword v171, off, s[0:3], 0 offset:72
	buffer_load_dword v172, off, s[0:3], 0 offset:80
	buffer_load_dword v173, off, s[0:3], 0 offset:88
	buffer_load_dword v174, off, s[0:3], 0 offset:100
	buffer_load_dword v175, off, s[0:3], 0 offset:96
	buffer_load_dword v176, off, s[0:3], 0 offset:108
	buffer_load_dword v177, off, s[0:3], 0 offset:104
	buffer_load_dword v178, off, s[0:3], 0 offset:116
	buffer_load_dword v179, off, s[0:3], 0 offset:112
	buffer_load_dword v180, off, s[0:3], 0 offset:124
	buffer_load_dword v181, off, s[0:3], 0 offset:120
	buffer_load_dword v182, off, s[0:3], 0 offset:132
	buffer_load_dword v183, off, s[0:3], 0 offset:128
	buffer_load_dword v184, off, s[0:3], 0 offset:140
	buffer_load_dword v185, off, s[0:3], 0 offset:136
	buffer_load_dword v186, off, s[0:3], 0 offset:144
	buffer_load_dword v187, off, s[0:3], 0 offset:148
	buffer_load_dword v2, off, s[0:3], 0 offset:16
	buffer_load_dword v3, off, s[0:3], 0 offset:20
	buffer_load_dword v188, off, s[0:3], 0 offset:152
	buffer_load_dword v189, off, s[0:3], 0 offset:156
	buffer_load_dword v190, off, s[0:3], 0 offset:160
	buffer_load_dword v191, off, s[0:3], 0 offset:164
	buffer_load_dword v192, off, s[0:3], 0 offset:168
	buffer_load_dword v193, off, s[0:3], 0 offset:172
	buffer_load_dword v194, off, s[0:3], 0 offset:176
	buffer_load_dword v195, off, s[0:3], 0 offset:180
	buffer_load_dword v196, off, s[0:3], 0 offset:184
	buffer_load_dword v197, off, s[0:3], 0 offset:188
	buffer_load_dword v198, off, s[0:3], 0 offset:192
	buffer_load_dword v199, off, s[0:3], 0 offset:196
	buffer_load_dword v200, off, s[0:3], 0 offset:200
	buffer_load_dword v201, off, s[0:3], 0 offset:204
	buffer_load_dword v202, off, s[0:3], 0 offset:208
	buffer_load_dword v203, off, s[0:3], 0 offset:212
	buffer_load_dword v204, off, s[0:3], 0 offset:216
	buffer_load_dword v205, off, s[0:3], 0 offset:220
	buffer_load_dword v206, off, s[0:3], 0 offset:224
	buffer_load_dword v207, off, s[0:3], 0 offset:228
	buffer_load_dword v208, off, s[0:3], 0 offset:232
	buffer_load_dword v209, off, s[0:3], 0 offset:236
	v_mov_b32_e32 v4, 0
	ds_read2_b64 v[6:9], v4 offset0:41 offset1:42
	ds_read2_b64 v[10:13], v4 offset0:43 offset1:44
	;; [unrolled: 1-line block ×6, first 2 shown]
	v_cmp_lt_u32_e32 vcc, 1, v0
	s_waitcnt vmcnt(55) lgkmcnt(5)
	v_mul_f32_e32 v106, v6, v5
	s_waitcnt vmcnt(54)
	v_mul_f32_e32 v107, v8, v138
	s_waitcnt vmcnt(53) lgkmcnt(4)
	v_mul_f32_e32 v108, v10, v140
	s_waitcnt vmcnt(52)
	v_mul_f32_e32 v109, v12, v142
	;; [unrolled: 4-line block ×4, first 2 shown]
	s_waitcnt vmcnt(47) lgkmcnt(1)
	v_mul_f32_e32 v114, v98, v164
	s_waitcnt vmcnt(46)
	v_fmac_f32_e32 v106, v7, v165
	s_waitcnt vmcnt(45)
	v_fmac_f32_e32 v107, v9, v166
	v_add_f32_e32 v106, 0, v106
	s_waitcnt vmcnt(44)
	v_fmac_f32_e32 v108, v11, v167
	v_add_f32_e32 v106, v106, v107
	;; [unrolled: 3-line block ×7, first 2 shown]
	v_add_f32_e32 v106, v106, v113
	s_waitcnt vmcnt(38)
	v_fmac_f32_e32 v114, v99, v173
	s_waitcnt vmcnt(37)
	v_mul_f32_e32 v107, v100, v174
	v_add_f32_e32 v106, v106, v114
	s_waitcnt vmcnt(36)
	v_fmac_f32_e32 v107, v101, v175
	v_add_f32_e32 v106, v106, v107
	s_waitcnt vmcnt(35) lgkmcnt(0)
	v_mul_f32_e32 v107, v102, v176
	s_waitcnt vmcnt(34)
	v_fmac_f32_e32 v107, v103, v177
	v_add_f32_e32 v110, v106, v107
	ds_read2_b64 v[106:109], v4 offset0:53 offset1:54
	s_waitcnt vmcnt(33)
	v_mul_f32_e32 v111, v104, v178
	s_waitcnt vmcnt(32)
	v_fmac_f32_e32 v111, v105, v179
	v_add_f32_e32 v114, v110, v111
	ds_read2_b64 v[110:113], v4 offset0:55 offset1:56
	s_waitcnt vmcnt(31) lgkmcnt(1)
	v_mul_f32_e32 v115, v106, v180
	s_waitcnt vmcnt(30)
	v_fmac_f32_e32 v115, v107, v181
	v_add_f32_e32 v114, v114, v115
	s_waitcnt vmcnt(29)
	v_mul_f32_e32 v115, v108, v182
	s_waitcnt vmcnt(28)
	v_fmac_f32_e32 v115, v109, v183
	v_add_f32_e32 v114, v114, v115
	s_waitcnt vmcnt(27) lgkmcnt(0)
	v_mul_f32_e32 v115, v110, v184
	s_waitcnt vmcnt(26)
	v_fmac_f32_e32 v115, v111, v185
	v_add_f32_e32 v118, v114, v115
	ds_read2_b64 v[114:117], v4 offset0:57 offset1:58
	s_waitcnt vmcnt(24)
	v_mul_f32_e32 v119, v112, v187
	v_fmac_f32_e32 v119, v113, v186
	v_add_f32_e32 v122, v118, v119
	ds_read2_b64 v[118:121], v4 offset0:59 offset1:60
	s_waitcnt vmcnt(20) lgkmcnt(1)
	v_mul_f32_e32 v123, v114, v189
	v_fmac_f32_e32 v123, v115, v188
	v_add_f32_e32 v122, v122, v123
	s_waitcnt vmcnt(18)
	v_mul_f32_e32 v123, v116, v191
	v_fmac_f32_e32 v123, v117, v190
	v_add_f32_e32 v122, v122, v123
	s_waitcnt vmcnt(16) lgkmcnt(0)
	v_mul_f32_e32 v123, v118, v193
	v_fmac_f32_e32 v123, v119, v192
	v_add_f32_e32 v126, v122, v123
	ds_read2_b64 v[122:125], v4 offset0:61 offset1:62
	s_waitcnt vmcnt(14)
	v_mul_f32_e32 v127, v120, v195
	v_fmac_f32_e32 v127, v121, v194
	v_add_f32_e32 v130, v126, v127
	ds_read2_b64 v[126:129], v4 offset0:63 offset1:64
	s_waitcnt vmcnt(12) lgkmcnt(1)
	v_mul_f32_e32 v131, v122, v197
	v_fmac_f32_e32 v131, v123, v196
	v_add_f32_e32 v130, v130, v131
	s_waitcnt vmcnt(10)
	v_mul_f32_e32 v131, v124, v199
	v_fmac_f32_e32 v131, v125, v198
	v_add_f32_e32 v130, v130, v131
	s_waitcnt vmcnt(8) lgkmcnt(0)
	v_mul_f32_e32 v131, v126, v201
	v_fmac_f32_e32 v131, v127, v200
	s_waitcnt vmcnt(6)
	v_mul_f32_e32 v135, v128, v203
	v_add_f32_e32 v134, v130, v131
	v_fmac_f32_e32 v135, v129, v202
	ds_read2_b64 v[130:133], v4 offset0:65 offset1:66
	v_add_f32_e32 v139, v134, v135
	ds_read2_b64 v[134:137], v4 offset0:67 offset1:68
	buffer_load_dword v145, off, s[0:3], 0 offset:268
	buffer_load_dword v144, off, s[0:3], 0 offset:264
	;; [unrolled: 1-line block ×16, first 2 shown]
	v_mul_f32_e32 v5, v7, v5
	v_fma_f32 v5, v6, v165, -v5
	v_mul_f32_e32 v6, v9, v138
	v_add_f32_e32 v5, 0, v5
	v_fma_f32 v6, v8, v166, -v6
	v_add_f32_e32 v5, v5, v6
	v_mul_f32_e32 v6, v11, v140
	v_fma_f32 v6, v10, v167, -v6
	v_add_f32_e32 v5, v5, v6
	v_mul_f32_e32 v6, v13, v142
	;; [unrolled: 3-line block ×22, first 2 shown]
	v_fma_f32 v6, v128, v202, -v6
	s_waitcnt vmcnt(20) lgkmcnt(1)
	v_mul_f32_e32 v141, v130, v205
	v_add_f32_e32 v5, v5, v6
	v_mul_f32_e32 v6, v131, v205
	v_fmac_f32_e32 v141, v131, v204
	v_fma_f32 v6, v130, v204, -v6
	s_waitcnt vmcnt(9)
	v_mov_b32_e32 v98, v151
	v_add_f32_e32 v139, v139, v141
	v_mul_f32_e32 v141, v132, v207
	v_add_f32_e32 v138, v5, v6
	v_mul_f32_e32 v5, v133, v207
	s_waitcnt lgkmcnt(0)
	v_pk_mul_f32 v[98:99], v[136:137], v[98:99] op_sel_hi:[1,0]
	v_fmac_f32_e32 v141, v133, v206
	v_mul_f32_e32 v143, v134, v209
	v_fma_f32 v140, v132, v206, -v5
	v_mul_f32_e32 v5, v135, v209
	ds_read2_b64 v[6:9], v4 offset0:69 offset1:70
	ds_read2_b64 v[10:13], v4 offset0:71 offset1:72
	;; [unrolled: 1-line block ×3, first 2 shown]
	ds_read_b64 v[94:95], v4 offset:600
	s_waitcnt vmcnt(8)
	v_pk_fma_f32 v[100:101], v[136:137], v[150:151], v[98:99] op_sel:[0,0,1] op_sel_hi:[1,1,0] neg_lo:[0,0,1] neg_hi:[0,0,1]
	v_pk_fma_f32 v[98:99], v[136:137], v[150:151], v[98:99] op_sel:[0,0,1] op_sel_hi:[1,0,0]
	v_fmac_f32_e32 v143, v135, v208
	v_fma_f32 v142, v134, v208, -v5
	v_pk_add_f32 v[96:97], v[138:139], v[140:141]
	v_mov_b32_e32 v98, v149
	v_pk_add_f32 v[96:97], v[96:97], v[142:143]
	v_mov_b32_e32 v101, v99
	s_waitcnt lgkmcnt(3)
	v_pk_mul_f32 v[98:99], v[6:7], v[98:99] op_sel_hi:[1,0]
	v_pk_add_f32 v[96:97], v[96:97], v[100:101]
	v_pk_fma_f32 v[100:101], v[6:7], v[148:149], v[98:99] op_sel:[0,0,1] op_sel_hi:[1,1,0] neg_lo:[0,0,1] neg_hi:[0,0,1]
	v_pk_fma_f32 v[6:7], v[6:7], v[148:149], v[98:99] op_sel:[0,0,1] op_sel_hi:[1,0,0]
	v_mov_b32_e32 v101, v7
	v_pk_add_f32 v[6:7], v[96:97], v[100:101]
	v_mov_b32_e32 v96, v147
	v_pk_mul_f32 v[96:97], v[8:9], v[96:97] op_sel_hi:[1,0]
	v_pk_fma_f32 v[98:99], v[8:9], v[146:147], v[96:97] op_sel:[0,0,1] op_sel_hi:[1,1,0] neg_lo:[0,0,1] neg_hi:[0,0,1]
	v_pk_fma_f32 v[8:9], v[8:9], v[146:147], v[96:97] op_sel:[0,0,1] op_sel_hi:[1,0,0]
	v_mov_b32_e32 v8, v145
	v_mov_b32_e32 v99, v9
	s_waitcnt lgkmcnt(2)
	v_pk_mul_f32 v[8:9], v[10:11], v[8:9] op_sel_hi:[1,0]
	v_pk_fma_f32 v[96:97], v[10:11], v[144:145], v[8:9] op_sel:[0,0,1] op_sel_hi:[1,1,0] neg_lo:[0,0,1] neg_hi:[0,0,1]
	v_pk_fma_f32 v[8:9], v[10:11], v[144:145], v[8:9] op_sel:[0,0,1] op_sel_hi:[1,0,0]
	s_waitcnt vmcnt(1)
	v_mov_b32_e32 v8, v159
	v_mov_b32_e32 v97, v9
	v_pk_mul_f32 v[8:9], v[12:13], v[8:9] op_sel_hi:[1,0]
	s_waitcnt vmcnt(0)
	v_pk_fma_f32 v[10:11], v[12:13], v[158:159], v[8:9] op_sel:[0,0,1] op_sel_hi:[1,1,0] neg_lo:[0,0,1] neg_hi:[0,0,1]
	v_pk_fma_f32 v[8:9], v[12:13], v[158:159], v[8:9] op_sel:[0,0,1] op_sel_hi:[1,0,0]
	v_pk_add_f32 v[6:7], v[6:7], v[98:99]
	v_mov_b32_e32 v8, v157
	v_pk_add_f32 v[6:7], v[6:7], v[96:97]
	v_mov_b32_e32 v11, v9
	s_waitcnt lgkmcnt(1)
	v_pk_mul_f32 v[8:9], v[14:15], v[8:9] op_sel_hi:[1,0]
	v_pk_add_f32 v[6:7], v[6:7], v[10:11]
	v_pk_fma_f32 v[10:11], v[14:15], v[156:157], v[8:9] op_sel:[0,0,1] op_sel_hi:[1,1,0] neg_lo:[0,0,1] neg_hi:[0,0,1]
	v_pk_fma_f32 v[8:9], v[14:15], v[156:157], v[8:9] op_sel:[0,0,1] op_sel_hi:[1,0,0]
	v_mov_b32_e32 v8, v155
	v_mov_b32_e32 v11, v9
	v_pk_mul_f32 v[8:9], v[16:17], v[8:9] op_sel_hi:[1,0]
	v_pk_add_f32 v[6:7], v[6:7], v[10:11]
	v_pk_fma_f32 v[10:11], v[16:17], v[154:155], v[8:9] op_sel:[0,0,1] op_sel_hi:[1,1,0] neg_lo:[0,0,1] neg_hi:[0,0,1]
	v_pk_fma_f32 v[8:9], v[16:17], v[154:155], v[8:9] op_sel:[0,0,1] op_sel_hi:[1,0,0]
	v_mov_b32_e32 v8, v153
	v_mov_b32_e32 v11, v9
	s_waitcnt lgkmcnt(0)
	v_pk_mul_f32 v[8:9], v[94:95], v[8:9] op_sel_hi:[1,0]
	v_pk_add_f32 v[6:7], v[6:7], v[10:11]
	v_pk_fma_f32 v[10:11], v[94:95], v[152:153], v[8:9] op_sel:[0,0,1] op_sel_hi:[1,1,0] neg_lo:[0,0,1] neg_hi:[0,0,1]
	v_pk_fma_f32 v[8:9], v[94:95], v[152:153], v[8:9] op_sel:[0,0,1] op_sel_hi:[1,0,0]
	v_mov_b32_e32 v11, v9
	v_pk_add_f32 v[6:7], v[6:7], v[10:11]
	v_pk_add_f32 v[2:3], v[2:3], v[6:7] neg_lo:[0,1] neg_hi:[0,1]
	buffer_store_dword v3, off, s[0:3], 0 offset:20
	buffer_store_dword v2, off, s[0:3], 0 offset:16
	s_and_saveexec_b64 s[4:5], vcc
	s_cbranch_execz .LBB101_239
; %bb.238:
	buffer_load_dword v2, off, s[0:3], 0 offset:8
	buffer_load_dword v3, off, s[0:3], 0 offset:12
	s_waitcnt vmcnt(0)
	ds_write_b64 v1, v[2:3]
	buffer_store_dword v4, off, s[0:3], 0 offset:8
	buffer_store_dword v4, off, s[0:3], 0 offset:12
.LBB101_239:
	s_or_b64 exec, exec, s[4:5]
	s_waitcnt lgkmcnt(0)
	; wave barrier
	s_waitcnt lgkmcnt(0)
	buffer_load_dword v5, off, s[0:3], 0 offset:20
	buffer_load_dword v138, off, s[0:3], 0 offset:28
	;; [unrolled: 1-line block ×36, first 2 shown]
	ds_read_b128 v[6:9], v4 offset:320
	ds_read_b128 v[10:13], v4 offset:336
	buffer_load_dword v190, off, s[0:3], 0 offset:152
	buffer_load_dword v191, off, s[0:3], 0 offset:156
	;; [unrolled: 1-line block ×4, first 2 shown]
	ds_read_b128 v[14:17], v4 offset:352
	ds_read_b128 v[94:97], v4 offset:368
	buffer_load_dword v194, off, s[0:3], 0 offset:168
	buffer_load_dword v195, off, s[0:3], 0 offset:172
	ds_read_b128 v[98:101], v4 offset:384
	ds_read_b128 v[102:105], v4 offset:400
	buffer_load_dword v196, off, s[0:3], 0 offset:176
	buffer_load_dword v197, off, s[0:3], 0 offset:180
	;; [unrolled: 1-line block ×16, first 2 shown]
	v_cmp_ne_u32_e32 vcc, 0, v0
	s_waitcnt vmcnt(57) lgkmcnt(5)
	v_mul_f32_e32 v106, v6, v5
	s_waitcnt vmcnt(56)
	v_mul_f32_e32 v107, v8, v138
	s_waitcnt vmcnt(55) lgkmcnt(4)
	v_mul_f32_e32 v108, v10, v140
	s_waitcnt vmcnt(54)
	v_mul_f32_e32 v109, v12, v148
	;; [unrolled: 4-line block ×4, first 2 shown]
	s_waitcnt vmcnt(49)
	v_fmac_f32_e32 v106, v7, v164
	s_waitcnt vmcnt(48)
	v_fmac_f32_e32 v107, v9, v165
	v_add_f32_e32 v106, 0, v106
	s_waitcnt vmcnt(47)
	v_fmac_f32_e32 v108, v11, v166
	v_add_f32_e32 v106, v106, v107
	;; [unrolled: 3-line block ×7, first 2 shown]
	s_waitcnt vmcnt(41) lgkmcnt(1)
	v_mul_f32_e32 v107, v98, v172
	v_add_f32_e32 v106, v106, v113
	s_waitcnt vmcnt(40)
	v_fmac_f32_e32 v107, v99, v173
	v_add_f32_e32 v106, v106, v107
	s_waitcnt vmcnt(39)
	v_mul_f32_e32 v107, v100, v174
	s_waitcnt vmcnt(38)
	v_fmac_f32_e32 v107, v101, v175
	v_add_f32_e32 v106, v106, v107
	s_waitcnt vmcnt(37) lgkmcnt(0)
	v_mul_f32_e32 v107, v102, v176
	s_waitcnt vmcnt(36)
	v_fmac_f32_e32 v107, v103, v177
	v_add_f32_e32 v110, v106, v107
	ds_read_b128 v[106:109], v4 offset:416
	s_waitcnt vmcnt(35)
	v_mul_f32_e32 v111, v104, v178
	s_waitcnt vmcnt(34)
	v_fmac_f32_e32 v111, v105, v179
	v_add_f32_e32 v114, v110, v111
	ds_read_b128 v[110:113], v4 offset:432
	s_waitcnt vmcnt(33) lgkmcnt(1)
	v_mul_f32_e32 v115, v106, v180
	s_waitcnt vmcnt(32)
	v_fmac_f32_e32 v115, v107, v181
	v_add_f32_e32 v114, v114, v115
	s_waitcnt vmcnt(31)
	v_mul_f32_e32 v115, v108, v182
	s_waitcnt vmcnt(30)
	v_fmac_f32_e32 v115, v109, v183
	v_add_f32_e32 v114, v114, v115
	s_waitcnt vmcnt(29) lgkmcnt(0)
	v_mul_f32_e32 v115, v110, v184
	s_waitcnt vmcnt(28)
	v_fmac_f32_e32 v115, v111, v185
	v_add_f32_e32 v118, v114, v115
	ds_read_b128 v[114:117], v4 offset:448
	s_waitcnt vmcnt(25)
	v_mul_f32_e32 v119, v112, v186
	s_waitcnt vmcnt(24)
	v_fmac_f32_e32 v119, v113, v187
	v_add_f32_e32 v122, v118, v119
	ds_read_b128 v[118:121], v4 offset:464
	s_waitcnt vmcnt(22) lgkmcnt(1)
	v_mul_f32_e32 v123, v114, v189
	v_fmac_f32_e32 v123, v115, v188
	v_add_f32_e32 v122, v122, v123
	s_waitcnt vmcnt(20)
	v_mul_f32_e32 v123, v116, v191
	v_fmac_f32_e32 v123, v117, v190
	v_add_f32_e32 v122, v122, v123
	s_waitcnt vmcnt(18) lgkmcnt(0)
	v_mul_f32_e32 v123, v118, v193
	v_fmac_f32_e32 v123, v119, v192
	v_add_f32_e32 v126, v122, v123
	ds_read_b128 v[122:125], v4 offset:480
	s_waitcnt vmcnt(16)
	v_mul_f32_e32 v127, v120, v195
	v_fmac_f32_e32 v127, v121, v194
	v_add_f32_e32 v130, v126, v127
	ds_read_b128 v[126:129], v4 offset:496
	s_waitcnt vmcnt(14) lgkmcnt(1)
	v_mul_f32_e32 v131, v122, v197
	v_fmac_f32_e32 v131, v123, v196
	v_add_f32_e32 v130, v130, v131
	s_waitcnt vmcnt(12)
	v_mul_f32_e32 v131, v124, v199
	v_fmac_f32_e32 v131, v125, v198
	v_add_f32_e32 v130, v130, v131
	s_waitcnt vmcnt(10) lgkmcnt(0)
	v_mul_f32_e32 v131, v126, v201
	v_fmac_f32_e32 v131, v127, v200
	s_waitcnt vmcnt(8)
	v_mul_f32_e32 v135, v128, v203
	v_add_f32_e32 v134, v130, v131
	v_fmac_f32_e32 v135, v129, v202
	ds_read_b128 v[130:133], v4 offset:512
	v_add_f32_e32 v139, v134, v135
	ds_read_b128 v[134:137], v4 offset:528
	buffer_load_dword v143, off, s[0:3], 0 offset:260
	buffer_load_dword v142, off, s[0:3], 0 offset:256
	;; [unrolled: 1-line block ×16, first 2 shown]
	v_mul_f32_e32 v5, v7, v5
	v_fma_f32 v5, v6, v164, -v5
	v_mul_f32_e32 v6, v9, v138
	v_add_f32_e32 v5, 0, v5
	v_fma_f32 v6, v8, v165, -v6
	v_add_f32_e32 v5, v5, v6
	v_mul_f32_e32 v6, v11, v140
	v_fma_f32 v6, v10, v166, -v6
	v_add_f32_e32 v5, v5, v6
	v_mul_f32_e32 v6, v13, v148
	;; [unrolled: 3-line block ×22, first 2 shown]
	v_fma_f32 v6, v128, v202, -v6
	v_add_f32_e32 v5, v5, v6
	s_waitcnt vmcnt(22) lgkmcnt(1)
	v_mul_f32_e32 v6, v131, v205
	v_fma_f32 v6, v130, v204, -v6
	v_add_f32_e32 v5, v5, v6
	s_waitcnt vmcnt(20)
	v_mul_f32_e32 v6, v133, v207
	v_fma_f32 v6, v132, v206, -v6
	v_add_f32_e32 v138, v5, v6
	ds_read_b128 v[6:9], v4 offset:544
	ds_read_b128 v[10:13], v4 offset:560
	;; [unrolled: 1-line block ×4, first 2 shown]
	s_waitcnt vmcnt(11)
	v_mov_b32_e32 v98, v147
	v_mul_f32_e32 v141, v130, v205
	s_waitcnt lgkmcnt(3)
	v_pk_mul_f32 v[98:99], v[6:7], v[98:99] op_sel_hi:[1,0]
	v_fmac_f32_e32 v141, v131, v204
	s_waitcnt vmcnt(10)
	v_pk_fma_f32 v[100:101], v[6:7], v[146:147], v[98:99] op_sel:[0,0,1] op_sel_hi:[1,1,0] neg_lo:[0,0,1] neg_hi:[0,0,1]
	v_pk_fma_f32 v[6:7], v[6:7], v[146:147], v[98:99] op_sel:[0,0,1] op_sel_hi:[1,0,0]
	v_add_f32_e32 v139, v139, v141
	v_mul_f32_e32 v141, v132, v207
	v_mov_b32_e32 v6, v145
	v_fmac_f32_e32 v141, v133, v206
	v_mov_b32_e32 v101, v7
	v_pk_mul_f32 v[6:7], v[8:9], v[6:7] op_sel_hi:[1,0]
	v_add_f32_e32 v139, v139, v141
	v_mul_f32_e32 v141, v134, v209
	v_mul_f32_e32 v5, v135, v209
	v_pk_fma_f32 v[98:99], v[8:9], v[144:145], v[6:7] op_sel:[0,0,1] op_sel_hi:[1,1,0] neg_lo:[0,0,1] neg_hi:[0,0,1]
	v_pk_fma_f32 v[6:7], v[8:9], v[144:145], v[6:7] op_sel:[0,0,1] op_sel_hi:[1,0,0]
	v_fmac_f32_e32 v141, v135, v208
	v_mul_f32_e32 v149, v136, v211
	v_fma_f32 v140, v134, v208, -v5
	v_mul_f32_e32 v5, v137, v211
	v_mov_b32_e32 v6, v143
	v_fmac_f32_e32 v149, v137, v210
	v_fma_f32 v148, v136, v210, -v5
	v_pk_add_f32 v[4:5], v[138:139], v[140:141]
	v_mov_b32_e32 v99, v7
	s_waitcnt lgkmcnt(2)
	v_pk_mul_f32 v[6:7], v[10:11], v[6:7] op_sel_hi:[1,0]
	v_pk_add_f32 v[4:5], v[4:5], v[148:149]
	v_pk_fma_f32 v[8:9], v[10:11], v[142:143], v[6:7] op_sel:[0,0,1] op_sel_hi:[1,1,0] neg_lo:[0,0,1] neg_hi:[0,0,1]
	v_pk_fma_f32 v[6:7], v[10:11], v[142:143], v[6:7] op_sel:[0,0,1] op_sel_hi:[1,0,0]
	v_pk_add_f32 v[4:5], v[4:5], v[100:101]
	s_waitcnt vmcnt(3)
	v_mov_b32_e32 v6, v157
	v_pk_add_f32 v[4:5], v[4:5], v[98:99]
	v_mov_b32_e32 v9, v7
	v_pk_mul_f32 v[6:7], v[12:13], v[6:7] op_sel_hi:[1,0]
	v_pk_add_f32 v[4:5], v[4:5], v[8:9]
	s_waitcnt vmcnt(2)
	v_pk_fma_f32 v[8:9], v[12:13], v[156:157], v[6:7] op_sel:[0,0,1] op_sel_hi:[1,1,0] neg_lo:[0,0,1] neg_hi:[0,0,1]
	v_pk_fma_f32 v[6:7], v[12:13], v[156:157], v[6:7] op_sel:[0,0,1] op_sel_hi:[1,0,0]
	v_mov_b32_e32 v6, v155
	v_mov_b32_e32 v9, v7
	s_waitcnt lgkmcnt(1)
	v_pk_mul_f32 v[6:7], v[14:15], v[6:7] op_sel_hi:[1,0]
	v_pk_add_f32 v[4:5], v[4:5], v[8:9]
	v_pk_fma_f32 v[8:9], v[14:15], v[154:155], v[6:7] op_sel:[0,0,1] op_sel_hi:[1,1,0] neg_lo:[0,0,1] neg_hi:[0,0,1]
	v_pk_fma_f32 v[6:7], v[14:15], v[154:155], v[6:7] op_sel:[0,0,1] op_sel_hi:[1,0,0]
	v_mov_b32_e32 v6, v153
	v_mov_b32_e32 v9, v7
	v_pk_mul_f32 v[6:7], v[16:17], v[6:7] op_sel_hi:[1,0]
	v_pk_add_f32 v[4:5], v[4:5], v[8:9]
	v_pk_fma_f32 v[8:9], v[16:17], v[152:153], v[6:7] op_sel:[0,0,1] op_sel_hi:[1,1,0] neg_lo:[0,0,1] neg_hi:[0,0,1]
	v_pk_fma_f32 v[6:7], v[16:17], v[152:153], v[6:7] op_sel:[0,0,1] op_sel_hi:[1,0,0]
	v_mov_b32_e32 v6, v151
	v_mov_b32_e32 v9, v7
	s_waitcnt lgkmcnt(0)
	v_pk_mul_f32 v[6:7], v[94:95], v[6:7] op_sel_hi:[1,0]
	v_pk_add_f32 v[4:5], v[4:5], v[8:9]
	v_pk_fma_f32 v[8:9], v[94:95], v[150:151], v[6:7] op_sel:[0,0,1] op_sel_hi:[1,1,0] neg_lo:[0,0,1] neg_hi:[0,0,1]
	v_pk_fma_f32 v[6:7], v[94:95], v[150:151], v[6:7] op_sel:[0,0,1] op_sel_hi:[1,0,0]
	s_waitcnt vmcnt(1)
	v_mov_b32_e32 v6, v159
	v_mov_b32_e32 v9, v7
	v_pk_mul_f32 v[6:7], v[96:97], v[6:7] op_sel_hi:[1,0]
	v_pk_add_f32 v[4:5], v[4:5], v[8:9]
	s_waitcnt vmcnt(0)
	v_pk_fma_f32 v[8:9], v[96:97], v[158:159], v[6:7] op_sel:[0,0,1] op_sel_hi:[1,1,0] neg_lo:[0,0,1] neg_hi:[0,0,1]
	v_pk_fma_f32 v[6:7], v[96:97], v[158:159], v[6:7] op_sel:[0,0,1] op_sel_hi:[1,0,0]
	v_mov_b32_e32 v9, v7
	v_pk_add_f32 v[4:5], v[4:5], v[8:9]
	v_pk_add_f32 v[2:3], v[2:3], v[4:5] neg_lo:[0,1] neg_hi:[0,1]
	buffer_store_dword v3, off, s[0:3], 0 offset:12
	buffer_store_dword v2, off, s[0:3], 0 offset:8
	s_and_saveexec_b64 s[4:5], vcc
	s_cbranch_execz .LBB101_241
; %bb.240:
	buffer_load_dword v2, off, s[0:3], 0
	buffer_load_dword v3, off, s[0:3], 0 offset:4
	v_mov_b32_e32 v0, 0
	buffer_store_dword v0, off, s[0:3], 0
	buffer_store_dword v0, off, s[0:3], 0 offset:4
	s_waitcnt vmcnt(2)
	ds_write_b64 v1, v[2:3]
.LBB101_241:
	s_or_b64 exec, exec, s[4:5]
	s_waitcnt lgkmcnt(0)
	; wave barrier
	s_waitcnt lgkmcnt(0)
	buffer_load_dword v142, off, s[0:3], 0 offset:12
	buffer_load_dword v148, off, s[0:3], 0 offset:20
	;; [unrolled: 1-line block ×26, first 2 shown]
	buffer_load_dword v4, off, s[0:3], 0
	buffer_load_dword v5, off, s[0:3], 0 offset:4
	buffer_load_dword v187, off, s[0:3], 0 offset:116
	;; [unrolled: 1-line block ×29, first 2 shown]
	v_mov_b32_e32 v191, 0
	ds_read2_b64 v[0:3], v191 offset0:39 offset1:40
	buffer_load_dword v216, off, s[0:3], 0 offset:224
	buffer_load_dword v217, off, s[0:3], 0 offset:228
	;; [unrolled: 1-line block ×4, first 2 shown]
	ds_read2_b64 v[6:9], v191 offset0:41 offset1:42
	ds_read2_b64 v[10:13], v191 offset0:43 offset1:44
	;; [unrolled: 1-line block ×3, first 2 shown]
	s_and_b64 vcc, exec, s[16:17]
	s_waitcnt vmcnt(59) lgkmcnt(3)
	v_mul_f32_e32 v94, v0, v142
	s_waitcnt vmcnt(58)
	v_mul_f32_e32 v95, v2, v148
	s_waitcnt vmcnt(57) lgkmcnt(2)
	v_mul_f32_e32 v96, v6, v150
	s_waitcnt vmcnt(56)
	v_mul_f32_e32 v97, v8, v164
	;; [unrolled: 4-line block ×3, first 2 shown]
	s_waitcnt vmcnt(53) lgkmcnt(0)
	v_mul_f32_e32 v100, v14, v167
	s_waitcnt vmcnt(52)
	v_fmac_f32_e32 v94, v1, v168
	s_waitcnt vmcnt(51)
	v_fmac_f32_e32 v95, v3, v169
	v_add_f32_e32 v94, 0, v94
	s_waitcnt vmcnt(50)
	v_fmac_f32_e32 v96, v7, v170
	v_add_f32_e32 v94, v94, v95
	;; [unrolled: 3-line block ×6, first 2 shown]
	v_add_f32_e32 v98, v94, v100
	ds_read2_b64 v[94:97], v191 offset0:47 offset1:48
	s_waitcnt vmcnt(45)
	v_mul_f32_e32 v99, v16, v175
	s_waitcnt vmcnt(44)
	v_fmac_f32_e32 v99, v17, v176
	v_add_f32_e32 v102, v98, v99
	ds_read2_b64 v[98:101], v191 offset0:49 offset1:50
	s_waitcnt vmcnt(43) lgkmcnt(1)
	v_mul_f32_e32 v103, v94, v177
	s_waitcnt vmcnt(42)
	v_fmac_f32_e32 v103, v95, v178
	v_add_f32_e32 v102, v102, v103
	s_waitcnt vmcnt(41)
	v_mul_f32_e32 v103, v96, v179
	s_waitcnt vmcnt(40)
	v_fmac_f32_e32 v103, v97, v180
	v_add_f32_e32 v102, v102, v103
	s_waitcnt vmcnt(39) lgkmcnt(0)
	v_mul_f32_e32 v103, v98, v181
	s_waitcnt vmcnt(38)
	v_fmac_f32_e32 v103, v99, v182
	v_add_f32_e32 v106, v102, v103
	ds_read2_b64 v[102:105], v191 offset0:51 offset1:52
	s_waitcnt vmcnt(37)
	v_mul_f32_e32 v107, v100, v183
	s_waitcnt vmcnt(36)
	v_fmac_f32_e32 v107, v101, v184
	v_add_f32_e32 v110, v106, v107
	ds_read2_b64 v[106:109], v191 offset0:53 offset1:54
	s_waitcnt vmcnt(34) lgkmcnt(1)
	v_mul_f32_e32 v111, v102, v186
	v_fmac_f32_e32 v111, v103, v185
	v_add_f32_e32 v110, v110, v111
	s_waitcnt vmcnt(31)
	v_mul_f32_e32 v111, v104, v187
	s_waitcnt vmcnt(30)
	v_fmac_f32_e32 v111, v105, v188
	v_add_f32_e32 v110, v110, v111
	s_waitcnt vmcnt(28) lgkmcnt(0)
	v_mul_f32_e32 v111, v106, v190
	v_fmac_f32_e32 v111, v107, v189
	v_add_f32_e32 v114, v110, v111
	ds_read2_b64 v[110:113], v191 offset0:55 offset1:56
	s_waitcnt vmcnt(26)
	v_mul_f32_e32 v115, v108, v193
	v_fmac_f32_e32 v115, v109, v192
	v_add_f32_e32 v118, v114, v115
	ds_read2_b64 v[114:117], v191 offset0:57 offset1:58
	s_waitcnt vmcnt(24) lgkmcnt(1)
	v_mul_f32_e32 v119, v110, v195
	v_fmac_f32_e32 v119, v111, v194
	v_add_f32_e32 v118, v118, v119
	s_waitcnt vmcnt(22)
	v_mul_f32_e32 v119, v112, v197
	v_fmac_f32_e32 v119, v113, v196
	v_add_f32_e32 v118, v118, v119
	s_waitcnt vmcnt(20) lgkmcnt(0)
	v_mul_f32_e32 v119, v114, v199
	v_fmac_f32_e32 v119, v115, v198
	v_add_f32_e32 v122, v118, v119
	ds_read2_b64 v[118:121], v191 offset0:59 offset1:60
	s_waitcnt vmcnt(18)
	v_mul_f32_e32 v123, v116, v201
	v_fmac_f32_e32 v123, v117, v200
	v_add_f32_e32 v126, v122, v123
	ds_read2_b64 v[122:125], v191 offset0:61 offset1:62
	s_waitcnt vmcnt(16) lgkmcnt(1)
	v_mul_f32_e32 v127, v118, v203
	v_fmac_f32_e32 v127, v119, v202
	v_add_f32_e32 v126, v126, v127
	s_waitcnt vmcnt(14)
	v_mul_f32_e32 v127, v120, v205
	;; [unrolled: 18-line block ×3, first 2 shown]
	v_fmac_f32_e32 v135, v129, v212
	v_add_f32_e32 v134, v134, v135
	s_waitcnt vmcnt(4) lgkmcnt(0)
	v_mul_f32_e32 v135, v130, v215
	v_fmac_f32_e32 v135, v131, v214
	v_add_f32_e32 v143, v134, v135
	ds_read2_b64 v[134:137], v191 offset0:67 offset1:68
	buffer_load_dword v145, off, s[0:3], 0 offset:252
	buffer_load_dword v144, off, s[0:3], 0 offset:248
	;; [unrolled: 1-line block ×4, first 2 shown]
	ds_read2_b64 v[138:141], v191 offset0:69 offset1:70
	buffer_load_dword v153, off, s[0:3], 0 offset:284
	buffer_load_dword v152, off, s[0:3], 0 offset:280
	;; [unrolled: 1-line block ×12, first 2 shown]
	v_mul_f32_e32 v1, v1, v142
	v_fma_f32 v0, v0, v168, -v1
	v_mul_f32_e32 v1, v3, v148
	v_add_f32_e32 v0, 0, v0
	v_fma_f32 v1, v2, v169, -v1
	v_add_f32_e32 v0, v0, v1
	v_mul_f32_e32 v1, v7, v150
	v_fma_f32 v1, v6, v170, -v1
	v_add_f32_e32 v0, v0, v1
	v_mul_f32_e32 v1, v9, v164
	;; [unrolled: 3-line block ×25, first 2 shown]
	v_fma_f32 v1, v130, v214, -v1
	s_waitcnt vmcnt(13)
	v_mov_b32_e32 v14, v147
	v_mul_f32_e32 v149, v132, v217
	v_add_f32_e32 v142, v0, v1
	v_mul_f32_e32 v0, v133, v217
	s_waitcnt lgkmcnt(1)
	v_pk_mul_f32 v[14:15], v[136:137], v[14:15] op_sel_hi:[1,0]
	v_fmac_f32_e32 v149, v133, v216
	v_mul_f32_e32 v151, v134, v219
	v_fma_f32 v148, v132, v216, -v0
	v_mul_f32_e32 v0, v135, v219
	s_waitcnt vmcnt(12)
	v_pk_fma_f32 v[16:17], v[136:137], v[146:147], v[14:15] op_sel:[0,0,1] op_sel_hi:[1,1,0] neg_lo:[0,0,1] neg_hi:[0,0,1]
	v_pk_fma_f32 v[14:15], v[136:137], v[146:147], v[14:15] op_sel:[0,0,1] op_sel_hi:[1,0,0]
	v_fmac_f32_e32 v151, v135, v218
	v_fma_f32 v150, v134, v218, -v0
	v_pk_add_f32 v[12:13], v[142:143], v[148:149]
	v_mov_b32_e32 v14, v145
	v_pk_add_f32 v[12:13], v[12:13], v[150:151]
	v_mov_b32_e32 v17, v15
	s_waitcnt lgkmcnt(0)
	v_pk_mul_f32 v[14:15], v[138:139], v[14:15] op_sel_hi:[1,0]
	v_pk_add_f32 v[12:13], v[12:13], v[16:17]
	v_pk_fma_f32 v[16:17], v[138:139], v[144:145], v[14:15] op_sel:[0,0,1] op_sel_hi:[1,1,0] neg_lo:[0,0,1] neg_hi:[0,0,1]
	v_pk_fma_f32 v[14:15], v[138:139], v[144:145], v[14:15] op_sel:[0,0,1] op_sel_hi:[1,0,0]
	s_waitcnt vmcnt(5)
	v_mov_b32_e32 v14, v159
	ds_read2_b64 v[0:3], v191 offset0:71 offset1:72
	ds_read2_b64 v[6:9], v191 offset0:73 offset1:74
	ds_read_b64 v[10:11], v191 offset:600
	v_mov_b32_e32 v17, v15
	v_pk_mul_f32 v[14:15], v[140:141], v[14:15] op_sel_hi:[1,0]
	v_pk_add_f32 v[12:13], v[12:13], v[16:17]
	s_waitcnt vmcnt(4)
	v_pk_fma_f32 v[16:17], v[140:141], v[158:159], v[14:15] op_sel:[0,0,1] op_sel_hi:[1,1,0] neg_lo:[0,0,1] neg_hi:[0,0,1]
	v_pk_fma_f32 v[14:15], v[140:141], v[158:159], v[14:15] op_sel:[0,0,1] op_sel_hi:[1,0,0]
	v_mov_b32_e32 v14, v157
	v_mov_b32_e32 v17, v15
	s_waitcnt lgkmcnt(2)
	v_pk_mul_f32 v[14:15], v[0:1], v[14:15] op_sel_hi:[1,0]
	v_pk_add_f32 v[12:13], v[12:13], v[16:17]
	v_pk_fma_f32 v[16:17], v[0:1], v[156:157], v[14:15] op_sel:[0,0,1] op_sel_hi:[1,1,0] neg_lo:[0,0,1] neg_hi:[0,0,1]
	v_pk_fma_f32 v[0:1], v[0:1], v[156:157], v[14:15] op_sel:[0,0,1] op_sel_hi:[1,0,0]
	v_mov_b32_e32 v17, v1
	v_pk_add_f32 v[0:1], v[12:13], v[16:17]
	v_mov_b32_e32 v12, v155
	v_pk_mul_f32 v[12:13], v[2:3], v[12:13] op_sel_hi:[1,0]
	v_pk_fma_f32 v[14:15], v[2:3], v[154:155], v[12:13] op_sel:[0,0,1] op_sel_hi:[1,1,0] neg_lo:[0,0,1] neg_hi:[0,0,1]
	v_pk_fma_f32 v[2:3], v[2:3], v[154:155], v[12:13] op_sel:[0,0,1] op_sel_hi:[1,0,0]
	v_mov_b32_e32 v2, v153
	v_mov_b32_e32 v15, v3
	s_waitcnt lgkmcnt(1)
	v_pk_mul_f32 v[2:3], v[6:7], v[2:3] op_sel_hi:[1,0]
	v_pk_fma_f32 v[12:13], v[6:7], v[152:153], v[2:3] op_sel:[0,0,1] op_sel_hi:[1,1,0] neg_lo:[0,0,1] neg_hi:[0,0,1]
	v_pk_fma_f32 v[2:3], v[6:7], v[152:153], v[2:3] op_sel:[0,0,1] op_sel_hi:[1,0,0]
	s_waitcnt vmcnt(1)
	v_mov_b32_e32 v2, v163
	v_mov_b32_e32 v13, v3
	v_pk_mul_f32 v[2:3], v[8:9], v[2:3] op_sel_hi:[1,0]
	s_waitcnt vmcnt(0)
	v_pk_fma_f32 v[6:7], v[8:9], v[162:163], v[2:3] op_sel:[0,0,1] op_sel_hi:[1,1,0] neg_lo:[0,0,1] neg_hi:[0,0,1]
	v_pk_fma_f32 v[2:3], v[8:9], v[162:163], v[2:3] op_sel:[0,0,1] op_sel_hi:[1,0,0]
	v_pk_add_f32 v[0:1], v[0:1], v[14:15]
	v_mov_b32_e32 v2, v161
	v_pk_add_f32 v[0:1], v[0:1], v[12:13]
	v_mov_b32_e32 v7, v3
	s_waitcnt lgkmcnt(0)
	v_pk_mul_f32 v[2:3], v[10:11], v[2:3] op_sel_hi:[1,0]
	v_pk_add_f32 v[0:1], v[0:1], v[6:7]
	v_pk_fma_f32 v[6:7], v[10:11], v[160:161], v[2:3] op_sel:[0,0,1] op_sel_hi:[1,1,0] neg_lo:[0,0,1] neg_hi:[0,0,1]
	v_pk_fma_f32 v[2:3], v[10:11], v[160:161], v[2:3] op_sel:[0,0,1] op_sel_hi:[1,0,0]
	v_mov_b32_e32 v7, v3
	v_pk_add_f32 v[0:1], v[0:1], v[6:7]
	v_pk_add_f32 v[0:1], v[4:5], v[0:1] neg_lo:[0,1] neg_hi:[0,1]
	buffer_store_dword v1, off, s[0:3], 0 offset:4
	buffer_store_dword v0, off, s[0:3], 0
	s_cbranch_vccz .LBB101_317
; %bb.242:
	v_pk_mov_b32 v[0:1], s[10:11], s[10:11] op_sel:[0,1]
	flat_load_dword v0, v[0:1] offset:144
	s_waitcnt vmcnt(0) lgkmcnt(0)
	v_add_u32_e32 v0, -1, v0
	v_cmp_ne_u32_e32 vcc, 36, v0
	s_and_saveexec_b64 s[4:5], vcc
	s_cbranch_execz .LBB101_244
; %bb.243:
	v_mov_b32_e32 v1, 0
	v_lshl_add_u32 v0, v0, 3, v1
	buffer_load_dword v1, v0, s[0:3], 0 offen
	buffer_load_dword v2, v0, s[0:3], 0 offen offset:4
	buffer_load_dword v3, off, s[0:3], 0 offset:292
	buffer_load_dword v4, off, s[0:3], 0 offset:288
	s_waitcnt vmcnt(3)
	buffer_store_dword v1, off, s[0:3], 0 offset:288
	s_waitcnt vmcnt(3)
	buffer_store_dword v2, off, s[0:3], 0 offset:292
	s_waitcnt vmcnt(3)
	buffer_store_dword v3, v0, s[0:3], 0 offen offset:4
	s_waitcnt vmcnt(3)
	buffer_store_dword v4, v0, s[0:3], 0 offen
.LBB101_244:
	s_or_b64 exec, exec, s[4:5]
	v_pk_mov_b32 v[0:1], s[10:11], s[10:11] op_sel:[0,1]
	flat_load_dword v0, v[0:1] offset:140
	s_waitcnt vmcnt(0) lgkmcnt(0)
	v_add_u32_e32 v0, -1, v0
	v_cmp_ne_u32_e32 vcc, 35, v0
	s_and_saveexec_b64 s[4:5], vcc
	s_cbranch_execz .LBB101_246
; %bb.245:
	v_mov_b32_e32 v1, 0
	v_lshl_add_u32 v0, v0, 3, v1
	buffer_load_dword v1, v0, s[0:3], 0 offen
	buffer_load_dword v2, v0, s[0:3], 0 offen offset:4
	buffer_load_dword v3, off, s[0:3], 0 offset:280
	buffer_load_dword v4, off, s[0:3], 0 offset:284
	s_waitcnt vmcnt(3)
	buffer_store_dword v1, off, s[0:3], 0 offset:280
	s_waitcnt vmcnt(3)
	buffer_store_dword v2, off, s[0:3], 0 offset:284
	s_waitcnt vmcnt(3)
	buffer_store_dword v3, v0, s[0:3], 0 offen
	s_waitcnt vmcnt(3)
	buffer_store_dword v4, v0, s[0:3], 0 offen offset:4
.LBB101_246:
	s_or_b64 exec, exec, s[4:5]
	v_pk_mov_b32 v[0:1], s[10:11], s[10:11] op_sel:[0,1]
	flat_load_dword v0, v[0:1] offset:136
	s_waitcnt vmcnt(0) lgkmcnt(0)
	v_add_u32_e32 v0, -1, v0
	v_cmp_ne_u32_e32 vcc, 34, v0
	s_and_saveexec_b64 s[4:5], vcc
	s_cbranch_execz .LBB101_248
; %bb.247:
	v_mov_b32_e32 v1, 0
	v_lshl_add_u32 v0, v0, 3, v1
	buffer_load_dword v1, v0, s[0:3], 0 offen
	buffer_load_dword v2, v0, s[0:3], 0 offen offset:4
	buffer_load_dword v3, off, s[0:3], 0 offset:276
	buffer_load_dword v4, off, s[0:3], 0 offset:272
	s_waitcnt vmcnt(3)
	buffer_store_dword v1, off, s[0:3], 0 offset:272
	s_waitcnt vmcnt(3)
	buffer_store_dword v2, off, s[0:3], 0 offset:276
	s_waitcnt vmcnt(3)
	buffer_store_dword v3, v0, s[0:3], 0 offen offset:4
	s_waitcnt vmcnt(3)
	buffer_store_dword v4, v0, s[0:3], 0 offen
.LBB101_248:
	s_or_b64 exec, exec, s[4:5]
	v_pk_mov_b32 v[0:1], s[10:11], s[10:11] op_sel:[0,1]
	flat_load_dword v0, v[0:1] offset:132
	s_waitcnt vmcnt(0) lgkmcnt(0)
	v_add_u32_e32 v0, -1, v0
	v_cmp_ne_u32_e32 vcc, 33, v0
	s_and_saveexec_b64 s[4:5], vcc
	s_cbranch_execz .LBB101_250
; %bb.249:
	v_mov_b32_e32 v1, 0
	v_lshl_add_u32 v0, v0, 3, v1
	buffer_load_dword v1, v0, s[0:3], 0 offen
	buffer_load_dword v2, v0, s[0:3], 0 offen offset:4
	buffer_load_dword v3, off, s[0:3], 0 offset:264
	buffer_load_dword v4, off, s[0:3], 0 offset:268
	s_waitcnt vmcnt(3)
	buffer_store_dword v1, off, s[0:3], 0 offset:264
	s_waitcnt vmcnt(3)
	buffer_store_dword v2, off, s[0:3], 0 offset:268
	s_waitcnt vmcnt(3)
	buffer_store_dword v3, v0, s[0:3], 0 offen
	s_waitcnt vmcnt(3)
	buffer_store_dword v4, v0, s[0:3], 0 offen offset:4
.LBB101_250:
	s_or_b64 exec, exec, s[4:5]
	;; [unrolled: 48-line block ×18, first 2 shown]
	v_pk_mov_b32 v[0:1], s[10:11], s[10:11] op_sel:[0,1]
	flat_load_dword v2, v[0:1]
	s_nop 0
	buffer_load_dword v0, off, s[0:3], 0
	buffer_load_dword v1, off, s[0:3], 0 offset:4
	s_waitcnt vmcnt(0) lgkmcnt(0)
	v_add_u32_e32 v2, -1, v2
	v_cmp_ne_u32_e32 vcc, 0, v2
	s_and_saveexec_b64 s[4:5], vcc
	s_cbranch_execz .LBB101_316
; %bb.315:
	v_mov_b32_e32 v3, 0
	v_lshl_add_u32 v2, v2, 3, v3
	buffer_load_dword v3, v2, s[0:3], 0 offen offset:4
	buffer_load_dword v4, v2, s[0:3], 0 offen
	s_waitcnt vmcnt(1)
	buffer_store_dword v3, off, s[0:3], 0 offset:4
	s_waitcnt vmcnt(1)
	buffer_store_dword v4, off, s[0:3], 0
	buffer_store_dword v1, v2, s[0:3], 0 offen offset:4
	buffer_store_dword v0, v2, s[0:3], 0 offen
	buffer_load_dword v0, off, s[0:3], 0
	s_nop 0
	buffer_load_dword v1, off, s[0:3], 0 offset:4
.LBB101_316:
	s_or_b64 exec, exec, s[4:5]
.LBB101_317:
	buffer_load_dword v2, off, s[0:3], 0 offset:8
	buffer_load_dword v3, off, s[0:3], 0 offset:12
	;; [unrolled: 1-line block ×74, first 2 shown]
	s_waitcnt vmcnt(62)
	global_store_dwordx2 v[82:83], v[0:1], off
	global_store_dwordx2 v[84:85], v[2:3], off
	;; [unrolled: 1-line block ×7, first 2 shown]
	s_waitcnt vmcnt(62)
	global_store_dwordx2 v[28:29], v[14:15], off
	global_store_dwordx2 v[30:31], v[16:17], off
	;; [unrolled: 1-line block ×3, first 2 shown]
	s_waitcnt vmcnt(62)
	global_store_dwordx2 v[34:35], v[96:97], off
	global_store_dwordx2 v[36:37], v[98:99], off
	s_waitcnt vmcnt(62)
	global_store_dwordx2 v[38:39], v[100:101], off
	s_waitcnt vmcnt(61)
	;; [unrolled: 2-line block ×26, first 2 shown]
	global_store_dwordx2 v[92:93], v[150:151], off
	s_endpgm
	.section	.rodata,"a",@progbits
	.p2align	6, 0x0
	.amdhsa_kernel _ZN9rocsolver6v33100L18getri_kernel_smallILi38E19rocblas_complex_numIfEPKPS3_EEvT1_iilPiilS8_bb
		.amdhsa_group_segment_fixed_size 612
		.amdhsa_private_segment_fixed_size 320
		.amdhsa_kernarg_size 60
		.amdhsa_user_sgpr_count 8
		.amdhsa_user_sgpr_private_segment_buffer 1
		.amdhsa_user_sgpr_dispatch_ptr 0
		.amdhsa_user_sgpr_queue_ptr 0
		.amdhsa_user_sgpr_kernarg_segment_ptr 1
		.amdhsa_user_sgpr_dispatch_id 0
		.amdhsa_user_sgpr_flat_scratch_init 1
		.amdhsa_user_sgpr_kernarg_preload_length 0
		.amdhsa_user_sgpr_kernarg_preload_offset 0
		.amdhsa_user_sgpr_private_segment_size 0
		.amdhsa_uses_dynamic_stack 0
		.amdhsa_system_sgpr_private_segment_wavefront_offset 1
		.amdhsa_system_sgpr_workgroup_id_x 1
		.amdhsa_system_sgpr_workgroup_id_y 0
		.amdhsa_system_sgpr_workgroup_id_z 0
		.amdhsa_system_sgpr_workgroup_info 0
		.amdhsa_system_vgpr_workitem_id 0
		.amdhsa_next_free_vgpr 220
		.amdhsa_next_free_sgpr 22
		.amdhsa_accum_offset 220
		.amdhsa_reserve_vcc 1
		.amdhsa_reserve_flat_scratch 1
		.amdhsa_float_round_mode_32 0
		.amdhsa_float_round_mode_16_64 0
		.amdhsa_float_denorm_mode_32 3
		.amdhsa_float_denorm_mode_16_64 3
		.amdhsa_dx10_clamp 1
		.amdhsa_ieee_mode 1
		.amdhsa_fp16_overflow 0
		.amdhsa_tg_split 0
		.amdhsa_exception_fp_ieee_invalid_op 0
		.amdhsa_exception_fp_denorm_src 0
		.amdhsa_exception_fp_ieee_div_zero 0
		.amdhsa_exception_fp_ieee_overflow 0
		.amdhsa_exception_fp_ieee_underflow 0
		.amdhsa_exception_fp_ieee_inexact 0
		.amdhsa_exception_int_div_zero 0
	.end_amdhsa_kernel
	.section	.text._ZN9rocsolver6v33100L18getri_kernel_smallILi38E19rocblas_complex_numIfEPKPS3_EEvT1_iilPiilS8_bb,"axG",@progbits,_ZN9rocsolver6v33100L18getri_kernel_smallILi38E19rocblas_complex_numIfEPKPS3_EEvT1_iilPiilS8_bb,comdat
.Lfunc_end101:
	.size	_ZN9rocsolver6v33100L18getri_kernel_smallILi38E19rocblas_complex_numIfEPKPS3_EEvT1_iilPiilS8_bb, .Lfunc_end101-_ZN9rocsolver6v33100L18getri_kernel_smallILi38E19rocblas_complex_numIfEPKPS3_EEvT1_iilPiilS8_bb
                                        ; -- End function
	.section	.AMDGPU.csdata,"",@progbits
; Kernel info:
; codeLenInByte = 63024
; NumSgprs: 28
; NumVgprs: 220
; NumAgprs: 0
; TotalNumVgprs: 220
; ScratchSize: 320
; MemoryBound: 0
; FloatMode: 240
; IeeeMode: 1
; LDSByteSize: 612 bytes/workgroup (compile time only)
; SGPRBlocks: 3
; VGPRBlocks: 27
; NumSGPRsForWavesPerEU: 28
; NumVGPRsForWavesPerEU: 220
; AccumOffset: 220
; Occupancy: 2
; WaveLimiterHint : 1
; COMPUTE_PGM_RSRC2:SCRATCH_EN: 1
; COMPUTE_PGM_RSRC2:USER_SGPR: 8
; COMPUTE_PGM_RSRC2:TRAP_HANDLER: 0
; COMPUTE_PGM_RSRC2:TGID_X_EN: 1
; COMPUTE_PGM_RSRC2:TGID_Y_EN: 0
; COMPUTE_PGM_RSRC2:TGID_Z_EN: 0
; COMPUTE_PGM_RSRC2:TIDIG_COMP_CNT: 0
; COMPUTE_PGM_RSRC3_GFX90A:ACCUM_OFFSET: 54
; COMPUTE_PGM_RSRC3_GFX90A:TG_SPLIT: 0
	.section	.text._ZN9rocsolver6v33100L18getri_kernel_smallILi39E19rocblas_complex_numIfEPKPS3_EEvT1_iilPiilS8_bb,"axG",@progbits,_ZN9rocsolver6v33100L18getri_kernel_smallILi39E19rocblas_complex_numIfEPKPS3_EEvT1_iilPiilS8_bb,comdat
	.globl	_ZN9rocsolver6v33100L18getri_kernel_smallILi39E19rocblas_complex_numIfEPKPS3_EEvT1_iilPiilS8_bb ; -- Begin function _ZN9rocsolver6v33100L18getri_kernel_smallILi39E19rocblas_complex_numIfEPKPS3_EEvT1_iilPiilS8_bb
	.p2align	8
	.type	_ZN9rocsolver6v33100L18getri_kernel_smallILi39E19rocblas_complex_numIfEPKPS3_EEvT1_iilPiilS8_bb,@function
_ZN9rocsolver6v33100L18getri_kernel_smallILi39E19rocblas_complex_numIfEPKPS3_EEvT1_iilPiilS8_bb: ; @_ZN9rocsolver6v33100L18getri_kernel_smallILi39E19rocblas_complex_numIfEPKPS3_EEvT1_iilPiilS8_bb
; %bb.0:
	s_add_u32 flat_scratch_lo, s6, s9
	s_addc_u32 flat_scratch_hi, s7, 0
	s_add_u32 s0, s0, s9
	s_addc_u32 s1, s1, 0
	v_cmp_gt_u32_e32 vcc, 39, v0
	s_and_saveexec_b64 s[6:7], vcc
	s_cbranch_execz .LBB102_170
; %bb.1:
	s_load_dword s20, s[4:5], 0x38
	s_load_dwordx2 s[6:7], s[4:5], 0x0
	s_load_dwordx4 s[12:15], s[4:5], 0x28
	s_waitcnt lgkmcnt(0)
	s_bitcmp1_b32 s20, 8
	s_cselect_b64 s[16:17], -1, 0
	s_ashr_i32 s9, s8, 31
	s_lshl_b64 s[10:11], s[8:9], 3
	s_add_u32 s6, s6, s10
	s_addc_u32 s7, s7, s11
	s_load_dwordx2 s[18:19], s[6:7], 0x0
	s_bfe_u32 s6, s20, 0x10008
	s_cmp_eq_u32 s6, 0
                                        ; implicit-def: $sgpr10_sgpr11
	s_cbranch_scc1 .LBB102_3
; %bb.2:
	s_load_dword s6, s[4:5], 0x20
	s_load_dwordx2 s[10:11], s[4:5], 0x18
	s_mul_i32 s7, s8, s13
	s_mul_hi_u32 s13, s8, s12
	s_add_i32 s13, s13, s7
	s_mul_i32 s21, s9, s12
	s_add_i32 s13, s13, s21
	s_mul_i32 s12, s8, s12
	s_waitcnt lgkmcnt(0)
	s_ashr_i32 s7, s6, 31
	s_lshl_b64 s[12:13], s[12:13], 2
	s_add_u32 s10, s10, s12
	s_addc_u32 s11, s11, s13
	s_lshl_b64 s[6:7], s[6:7], 2
	s_add_u32 s10, s10, s6
	s_addc_u32 s11, s11, s7
.LBB102_3:
	s_load_dwordx2 s[6:7], s[4:5], 0x8
	v_lshlrev_b32_e32 v6, 3, v0
	s_waitcnt lgkmcnt(0)
	s_ashr_i32 s5, s6, 31
	s_mov_b32 s4, s6
	s_lshl_b64 s[4:5], s[4:5], 3
	s_add_u32 s4, s18, s4
	s_addc_u32 s5, s19, s5
	s_add_i32 s6, s7, s7
	v_add_u32_e32 v2, s6, v0
	v_ashrrev_i32_e32 v3, 31, v2
	v_lshlrev_b64 v[4:5], 3, v[2:3]
	v_add_u32_e32 v2, s7, v2
	v_mov_b32_e32 v1, s5
	v_add_co_u32_e32 v18, vcc, s4, v4
	v_ashrrev_i32_e32 v3, 31, v2
	v_addc_co_u32_e32 v19, vcc, v1, v5, vcc
	v_lshlrev_b64 v[4:5], 3, v[2:3]
	v_add_u32_e32 v2, s7, v2
	v_add_co_u32_e32 v20, vcc, s4, v4
	v_ashrrev_i32_e32 v3, 31, v2
	v_addc_co_u32_e32 v21, vcc, v1, v5, vcc
	v_lshlrev_b64 v[4:5], 3, v[2:3]
	v_add_u32_e32 v2, s7, v2
	;; [unrolled: 5-line block ×30, first 2 shown]
	v_add_co_u32_e32 v78, vcc, s4, v4
	v_ashrrev_i32_e32 v3, 31, v2
	v_addc_co_u32_e32 v79, vcc, v1, v5, vcc
	v_lshlrev_b64 v[4:5], 3, v[2:3]
	v_add_co_u32_e32 v80, vcc, s4, v4
	v_addc_co_u32_e32 v81, vcc, v1, v5, vcc
	v_mov_b32_e32 v7, s5
	v_add_co_u32_e32 v84, vcc, s4, v6
	s_ashr_i32 s13, s7, 31
	s_mov_b32 s12, s7
	v_add_u32_e32 v2, s7, v2
	v_addc_co_u32_e32 v85, vcc, 0, v7, vcc
	s_lshl_b64 s[12:13], s[12:13], 3
	v_ashrrev_i32_e32 v3, 31, v2
	v_mov_b32_e32 v7, s13
	v_add_co_u32_e32 v86, vcc, s12, v84
	v_addc_co_u32_e32 v87, vcc, v85, v7, vcc
	v_lshlrev_b64 v[10:11], 3, v[2:3]
	v_add_u32_e32 v2, s7, v2
	v_add_co_u32_e32 v82, vcc, s4, v10
	v_ashrrev_i32_e32 v3, 31, v2
	v_addc_co_u32_e32 v83, vcc, v1, v11, vcc
	v_lshlrev_b64 v[88:89], 3, v[2:3]
	v_add_u32_e32 v2, s7, v2
	v_add_co_u32_e32 v88, vcc, s4, v88
	v_ashrrev_i32_e32 v3, 31, v2
	;; [unrolled: 5-line block ×3, first 2 shown]
	v_addc_co_u32_e32 v91, vcc, v1, v91, vcc
	v_lshlrev_b64 v[92:93], 3, v[2:3]
	v_add_co_u32_e32 v92, vcc, s4, v92
	global_load_dwordx2 v[4:5], v6, s[4:5]
	global_load_dwordx2 v[8:9], v[86:87], off
	global_load_dwordx2 v[12:13], v[18:19], off
	;; [unrolled: 1-line block ×29, first 2 shown]
	v_addc_co_u32_e32 v93, vcc, v1, v93, vcc
	global_load_dwordx2 v[144:145], v[74:75], off
	global_load_dwordx2 v[146:147], v[76:77], off
	global_load_dwordx2 v[148:149], v[78:79], off
	global_load_dwordx2 v[150:151], v[80:81], off
	global_load_dwordx2 v[152:153], v[82:83], off
	global_load_dwordx2 v[154:155], v[88:89], off
	global_load_dwordx2 v[156:157], v[90:91], off
	global_load_dwordx2 v[158:159], v[92:93], off
	v_add_u32_e32 v2, s7, v2
	v_ashrrev_i32_e32 v3, 31, v2
	v_lshlrev_b64 v[2:3], 3, v[2:3]
	v_add_co_u32_e32 v94, vcc, s4, v2
	v_addc_co_u32_e32 v95, vcc, v1, v3, vcc
	global_load_dwordx2 v[2:3], v[94:95], off
	s_bitcmp0_b32 s20, 0
	s_mov_b64 s[6:7], -1
	s_waitcnt vmcnt(38)
	buffer_store_dword v5, off, s[0:3], 0 offset:4
	buffer_store_dword v4, off, s[0:3], 0
	s_waitcnt vmcnt(39)
	buffer_store_dword v9, off, s[0:3], 0 offset:12
	buffer_store_dword v8, off, s[0:3], 0 offset:8
	s_waitcnt vmcnt(40)
	buffer_store_dword v13, off, s[0:3], 0 offset:20
	buffer_store_dword v12, off, s[0:3], 0 offset:16
	;; [unrolled: 3-line block ×25, first 2 shown]
	buffer_store_dword v137, off, s[0:3], 0 offset:212
	buffer_store_dword v136, off, s[0:3], 0 offset:208
	s_waitcnt vmcnt(62)
	buffer_store_dword v138, off, s[0:3], 0 offset:216
	buffer_store_dword v139, off, s[0:3], 0 offset:220
	;; [unrolled: 1-line block ×8, first 2 shown]
	s_waitcnt vmcnt(62)
	buffer_store_dword v147, off, s[0:3], 0 offset:252
	buffer_store_dword v146, off, s[0:3], 0 offset:248
	;; [unrolled: 1-line block ×16, first 2 shown]
	s_cbranch_scc1 .LBB102_168
; %bb.4:
	v_cmp_eq_u32_e64 s[4:5], 0, v0
	s_and_saveexec_b64 s[6:7], s[4:5]
	s_cbranch_execz .LBB102_6
; %bb.5:
	v_mov_b32_e32 v1, 0
	ds_write_b32 v1, v1 offset:312
.LBB102_6:
	s_or_b64 exec, exec, s[6:7]
	v_mov_b32_e32 v1, 0
	v_lshl_add_u32 v7, v0, 3, v1
	s_waitcnt lgkmcnt(0)
	; wave barrier
	s_waitcnt lgkmcnt(0)
	buffer_load_dword v1, v7, s[0:3], 0 offen
	buffer_load_dword v2, v7, s[0:3], 0 offen offset:4
	s_waitcnt vmcnt(1)
	v_cmp_eq_f32_e32 vcc, 0, v1
	s_waitcnt vmcnt(0)
	v_cmp_eq_f32_e64 s[6:7], 0, v2
	s_and_b64 s[6:7], vcc, s[6:7]
	s_and_saveexec_b64 s[12:13], s[6:7]
	s_cbranch_execz .LBB102_10
; %bb.7:
	v_mov_b32_e32 v1, 0
	ds_read_b32 v3, v1 offset:312
	v_add_u32_e32 v2, 1, v0
	s_waitcnt lgkmcnt(0)
	v_readfirstlane_b32 s6, v3
	s_cmp_eq_u32 s6, 0
	s_cselect_b64 s[18:19], -1, 0
	v_cmp_gt_i32_e32 vcc, s6, v2
	s_or_b64 s[18:19], s[18:19], vcc
	s_and_b64 exec, exec, s[18:19]
	s_cbranch_execz .LBB102_10
; %bb.8:
	s_mov_b64 s[18:19], 0
	v_mov_b32_e32 v3, s6
.LBB102_9:                              ; =>This Inner Loop Header: Depth=1
	ds_cmpst_rtn_b32 v3, v1, v3, v2 offset:312
	s_waitcnt lgkmcnt(0)
	v_cmp_ne_u32_e32 vcc, 0, v3
	v_cmp_le_i32_e64 s[6:7], v3, v2
	s_and_b64 s[6:7], vcc, s[6:7]
	s_and_b64 s[6:7], exec, s[6:7]
	s_or_b64 s[18:19], s[6:7], s[18:19]
	s_andn2_b64 exec, exec, s[18:19]
	s_cbranch_execnz .LBB102_9
.LBB102_10:
	s_or_b64 exec, exec, s[12:13]
	v_mov_b32_e32 v2, 0
	s_waitcnt lgkmcnt(0)
	; wave barrier
	ds_read_b32 v1, v2 offset:312
	s_and_saveexec_b64 s[6:7], s[4:5]
	s_cbranch_execz .LBB102_12
; %bb.11:
	s_lshl_b64 s[12:13], s[8:9], 2
	s_add_u32 s12, s14, s12
	s_addc_u32 s13, s15, s13
	s_waitcnt lgkmcnt(0)
	global_store_dword v2, v1, s[12:13]
.LBB102_12:
	s_or_b64 exec, exec, s[6:7]
	s_waitcnt lgkmcnt(0)
	v_cmp_ne_u32_e32 vcc, 0, v1
	s_mov_b64 s[6:7], 0
	s_cbranch_vccnz .LBB102_168
; %bb.13:
	buffer_load_dword v8, v7, s[0:3], 0 offen offset:4
	buffer_load_dword v3, v7, s[0:3], 0 offen
	s_waitcnt vmcnt(1)
	v_cmp_gt_f32_e32 vcc, 0, v8
	v_cndmask_b32_e64 v1, v8, -v8, vcc
	s_waitcnt vmcnt(0)
	v_cmp_gt_f32_e32 vcc, 0, v3
	v_cndmask_b32_e64 v2, v3, -v3, vcc
	v_cmp_ngt_f32_e32 vcc, v2, v1
                                        ; implicit-def: $vgpr1
                                        ; implicit-def: $vgpr2
	s_and_saveexec_b64 s[6:7], vcc
	s_xor_b64 s[6:7], exec, s[6:7]
                                        ; implicit-def: $vgpr4_vgpr5
	s_cbranch_execz .LBB102_15
; %bb.14:
	v_div_scale_f32 v1, s[12:13], v8, v8, v3
	v_rcp_f32_e32 v2, v1
	v_div_scale_f32 v4, vcc, v3, v8, v3
	v_fma_f32 v5, -v1, v2, 1.0
	v_fmac_f32_e32 v2, v5, v2
	v_mul_f32_e32 v5, v4, v2
	v_fma_f32 v9, -v1, v5, v4
	v_fmac_f32_e32 v5, v9, v2
	v_fma_f32 v1, -v1, v5, v4
	v_div_fmas_f32 v1, v1, v2, v5
	v_div_fixup_f32 v2, v1, v8, v3
	v_fmac_f32_e32 v8, v3, v2
	v_div_scale_f32 v1, s[12:13], v8, v8, -1.0
	v_rcp_f32_e32 v3, v1
	v_fma_f32 v4, -v1, v3, 1.0
	v_fmac_f32_e32 v3, v4, v3
	v_div_scale_f32 v4, vcc, -1.0, v8, -1.0
	v_mul_f32_e32 v5, v4, v3
	v_fma_f32 v9, -v1, v5, v4
	v_fmac_f32_e32 v5, v9, v3
	v_fma_f32 v1, -v1, v5, v4
	v_div_fmas_f32 v1, v1, v3, v5
	v_div_fixup_f32 v1, v1, v8, -1.0
	v_mul_f32_e32 v2, v2, v1
	v_xor_b32_e32 v4, 0x80000000, v2
                                        ; implicit-def: $vgpr3
                                        ; implicit-def: $vgpr8
.LBB102_15:
	s_andn2_saveexec_b64 s[6:7], s[6:7]
	s_cbranch_execz .LBB102_17
; %bb.16:
	v_div_scale_f32 v1, s[12:13], v3, v3, v8
	v_rcp_f32_e32 v2, v1
	v_div_scale_f32 v4, vcc, v8, v3, v8
	v_fma_f32 v5, -v1, v2, 1.0
	v_fmac_f32_e32 v2, v5, v2
	v_mul_f32_e32 v5, v4, v2
	v_fma_f32 v9, -v1, v5, v4
	v_fmac_f32_e32 v5, v9, v2
	v_fma_f32 v1, -v1, v5, v4
	v_div_fmas_f32 v1, v1, v2, v5
	v_div_fixup_f32 v1, v1, v3, v8
	v_fmac_f32_e32 v3, v8, v1
	v_div_scale_f32 v2, s[12:13], v3, v3, 1.0
	v_rcp_f32_e32 v4, v2
	v_fma_f32 v5, -v2, v4, 1.0
	v_fmac_f32_e32 v4, v5, v4
	v_div_scale_f32 v5, vcc, 1.0, v3, 1.0
	v_mul_f32_e32 v8, v5, v4
	v_fma_f32 v9, -v2, v8, v5
	v_fmac_f32_e32 v8, v9, v4
	v_fma_f32 v2, -v2, v8, v5
	v_div_fmas_f32 v2, v2, v4, v8
	v_div_fixup_f32 v4, v2, v3, 1.0
	v_xor_b32_e32 v2, 0x80000000, v4
	v_mul_f32_e64 v1, v1, -v4
.LBB102_17:
	s_or_b64 exec, exec, s[6:7]
	buffer_store_dword v1, v7, s[0:3], 0 offen offset:4
	buffer_store_dword v4, v7, s[0:3], 0 offen
	buffer_load_dword v5, off, s[0:3], 0 offset:12
	s_nop 0
	buffer_load_dword v4, off, s[0:3], 0 offset:8
	v_xor_b32_e32 v3, 0x80000000, v1
	v_add_u32_e32 v1, 0x140, v6
	s_waitcnt vmcnt(0)
	ds_write2_b64 v6, v[2:3], v[4:5] offset1:40
	s_waitcnt lgkmcnt(0)
	; wave barrier
	s_waitcnt lgkmcnt(0)
	s_and_saveexec_b64 s[6:7], s[4:5]
	s_cbranch_execz .LBB102_19
; %bb.18:
	buffer_load_dword v8, v7, s[0:3], 0 offen offset:4
	buffer_load_dword v9, v7, s[0:3], 0 offen
	ds_read_b64 v[2:3], v1
	v_mov_b32_e32 v4, 0
	ds_read_b64 v[4:5], v4 offset:8
	s_waitcnt vmcnt(1) lgkmcnt(1)
	v_mul_f32_e32 v10, v3, v8
	v_mul_f32_e32 v8, v2, v8
	s_waitcnt vmcnt(0)
	v_fmac_f32_e32 v8, v3, v9
	v_fma_f32 v2, v2, v9, -v10
	v_add_f32_e32 v3, 0, v8
	v_add_f32_e32 v2, 0, v2
	s_waitcnt lgkmcnt(0)
	v_mul_f32_e32 v8, v3, v5
	v_mul_f32_e32 v5, v2, v5
	v_fma_f32 v2, v2, v4, -v8
	v_fmac_f32_e32 v5, v3, v4
	buffer_store_dword v2, off, s[0:3], 0 offset:8
	buffer_store_dword v5, off, s[0:3], 0 offset:12
.LBB102_19:
	s_or_b64 exec, exec, s[6:7]
	s_waitcnt lgkmcnt(0)
	; wave barrier
	buffer_load_dword v2, off, s[0:3], 0 offset:16
	buffer_load_dword v3, off, s[0:3], 0 offset:20
	v_cmp_gt_u32_e32 vcc, 2, v0
	s_waitcnt vmcnt(0)
	ds_write_b64 v1, v[2:3]
	s_waitcnt lgkmcnt(0)
	; wave barrier
	s_waitcnt lgkmcnt(0)
	s_and_saveexec_b64 s[6:7], vcc
	s_cbranch_execz .LBB102_23
; %bb.20:
	buffer_load_dword v4, v7, s[0:3], 0 offen offset:4
	buffer_load_dword v5, v7, s[0:3], 0 offen
	ds_read_b64 v[2:3], v1
	s_waitcnt vmcnt(1) lgkmcnt(0)
	v_mul_f32_e32 v7, v3, v4
	v_mul_f32_e32 v4, v2, v4
	s_waitcnt vmcnt(0)
	v_fma_f32 v2, v2, v5, -v7
	v_fmac_f32_e32 v4, v3, v5
	v_add_f32_e32 v3, 0, v2
	v_add_f32_e32 v2, 0, v4
	s_and_saveexec_b64 s[12:13], s[4:5]
	s_cbranch_execz .LBB102_22
; %bb.21:
	buffer_load_dword v7, off, s[0:3], 0 offset:12
	buffer_load_dword v8, off, s[0:3], 0 offset:8
	v_mov_b32_e32 v4, 0
	ds_read_b64 v[4:5], v4 offset:328
	s_waitcnt vmcnt(1) lgkmcnt(0)
	v_mul_f32_e32 v9, v4, v7
	v_mul_f32_e32 v7, v5, v7
	s_waitcnt vmcnt(0)
	v_fmac_f32_e32 v9, v5, v8
	v_fma_f32 v4, v4, v8, -v7
	v_add_f32_e32 v2, v2, v9
	v_add_f32_e32 v3, v3, v4
.LBB102_22:
	s_or_b64 exec, exec, s[12:13]
	v_mov_b32_e32 v4, 0
	ds_read_b64 v[4:5], v4 offset:16
	s_waitcnt lgkmcnt(0)
	v_mul_f32_e32 v7, v2, v5
	v_mul_f32_e32 v5, v3, v5
	v_fma_f32 v3, v3, v4, -v7
	v_fmac_f32_e32 v5, v2, v4
	buffer_store_dword v3, off, s[0:3], 0 offset:16
	buffer_store_dword v5, off, s[0:3], 0 offset:20
.LBB102_23:
	s_or_b64 exec, exec, s[6:7]
	s_waitcnt lgkmcnt(0)
	; wave barrier
	buffer_load_dword v2, off, s[0:3], 0 offset:24
	buffer_load_dword v3, off, s[0:3], 0 offset:28
	v_cmp_gt_u32_e32 vcc, 3, v0
	s_waitcnt vmcnt(0)
	ds_write_b64 v1, v[2:3]
	v_add_u32_e32 v2, -1, v0
	s_waitcnt lgkmcnt(0)
	; wave barrier
	s_waitcnt lgkmcnt(0)
	s_and_saveexec_b64 s[4:5], vcc
	s_cbranch_execz .LBB102_27
; %bb.24:
	v_add_u32_e32 v4, -1, v0
	v_add_u32_e32 v5, 0x140, v6
	v_add_u32_e32 v7, 0, v6
	s_mov_b64 s[6:7], 0
	v_mov_b32_e32 v3, 0
	v_mov_b32_e32 v8, 0
.LBB102_25:                             ; =>This Inner Loop Header: Depth=1
	buffer_load_dword v9, v7, s[0:3], 0 offen offset:4
	buffer_load_dword v12, v7, s[0:3], 0 offen
	ds_read_b64 v[10:11], v5
	v_add_u32_e32 v4, 1, v4
	v_cmp_lt_u32_e32 vcc, 1, v4
	v_add_u32_e32 v5, 8, v5
	v_add_u32_e32 v7, 8, v7
	s_or_b64 s[6:7], vcc, s[6:7]
	s_waitcnt vmcnt(1) lgkmcnt(0)
	v_mul_f32_e32 v13, v11, v9
	v_mul_f32_e32 v9, v10, v9
	s_waitcnt vmcnt(0)
	v_fma_f32 v10, v10, v12, -v13
	v_fmac_f32_e32 v9, v11, v12
	v_add_f32_e32 v8, v8, v10
	v_add_f32_e32 v3, v3, v9
	s_andn2_b64 exec, exec, s[6:7]
	s_cbranch_execnz .LBB102_25
; %bb.26:
	s_or_b64 exec, exec, s[6:7]
	v_mov_b32_e32 v4, 0
	ds_read_b64 v[4:5], v4 offset:24
	s_waitcnt lgkmcnt(0)
	v_mul_f32_e32 v7, v3, v5
	v_mul_f32_e32 v5, v8, v5
	v_fma_f32 v7, v8, v4, -v7
	v_fmac_f32_e32 v5, v3, v4
	buffer_store_dword v7, off, s[0:3], 0 offset:24
	buffer_store_dword v5, off, s[0:3], 0 offset:28
.LBB102_27:
	s_or_b64 exec, exec, s[4:5]
	s_waitcnt lgkmcnt(0)
	; wave barrier
	buffer_load_dword v4, off, s[0:3], 0 offset:32
	buffer_load_dword v5, off, s[0:3], 0 offset:36
	v_cmp_gt_u32_e32 vcc, 4, v0
	s_waitcnt vmcnt(0)
	ds_write_b64 v1, v[4:5]
	s_waitcnt lgkmcnt(0)
	; wave barrier
	s_waitcnt lgkmcnt(0)
	s_and_saveexec_b64 s[4:5], vcc
	s_cbranch_execz .LBB102_31
; %bb.28:
	v_add_u32_e32 v4, -1, v0
	v_add_u32_e32 v5, 0x140, v6
	v_add_u32_e32 v7, 0, v6
	s_mov_b64 s[6:7], 0
	v_mov_b32_e32 v3, 0
	v_mov_b32_e32 v8, 0
.LBB102_29:                             ; =>This Inner Loop Header: Depth=1
	buffer_load_dword v9, v7, s[0:3], 0 offen offset:4
	buffer_load_dword v12, v7, s[0:3], 0 offen
	ds_read_b64 v[10:11], v5
	v_add_u32_e32 v4, 1, v4
	v_cmp_lt_u32_e32 vcc, 2, v4
	v_add_u32_e32 v5, 8, v5
	v_add_u32_e32 v7, 8, v7
	s_or_b64 s[6:7], vcc, s[6:7]
	s_waitcnt vmcnt(1) lgkmcnt(0)
	v_mul_f32_e32 v13, v11, v9
	v_mul_f32_e32 v9, v10, v9
	s_waitcnt vmcnt(0)
	v_fma_f32 v10, v10, v12, -v13
	v_fmac_f32_e32 v9, v11, v12
	v_add_f32_e32 v8, v8, v10
	v_add_f32_e32 v3, v3, v9
	s_andn2_b64 exec, exec, s[6:7]
	s_cbranch_execnz .LBB102_29
; %bb.30:
	s_or_b64 exec, exec, s[6:7]
	v_mov_b32_e32 v4, 0
	ds_read_b64 v[4:5], v4 offset:32
	s_waitcnt lgkmcnt(0)
	v_mul_f32_e32 v7, v3, v5
	v_mul_f32_e32 v5, v8, v5
	v_fma_f32 v7, v8, v4, -v7
	v_fmac_f32_e32 v5, v3, v4
	buffer_store_dword v7, off, s[0:3], 0 offset:32
	buffer_store_dword v5, off, s[0:3], 0 offset:36
.LBB102_31:
	s_or_b64 exec, exec, s[4:5]
	s_waitcnt lgkmcnt(0)
	; wave barrier
	buffer_load_dword v4, off, s[0:3], 0 offset:40
	buffer_load_dword v5, off, s[0:3], 0 offset:44
	v_cmp_gt_u32_e32 vcc, 5, v0
	s_waitcnt vmcnt(0)
	ds_write_b64 v1, v[4:5]
	;; [unrolled: 51-line block ×19, first 2 shown]
	s_waitcnt lgkmcnt(0)
	; wave barrier
	s_waitcnt lgkmcnt(0)
	s_and_saveexec_b64 s[4:5], vcc
	s_cbranch_execz .LBB102_103
; %bb.100:
	v_add_u32_e32 v4, -1, v0
	v_add_u32_e32 v5, 0x140, v6
	v_add_u32_e32 v7, 0, v6
	s_mov_b64 s[6:7], 0
	v_mov_b32_e32 v3, 0
	v_mov_b32_e32 v8, 0
.LBB102_101:                            ; =>This Inner Loop Header: Depth=1
	buffer_load_dword v9, v7, s[0:3], 0 offen offset:4
	buffer_load_dword v12, v7, s[0:3], 0 offen
	ds_read_b64 v[10:11], v5
	v_add_u32_e32 v4, 1, v4
	v_cmp_lt_u32_e32 vcc, 20, v4
	v_add_u32_e32 v5, 8, v5
	v_add_u32_e32 v7, 8, v7
	s_or_b64 s[6:7], vcc, s[6:7]
	s_waitcnt vmcnt(1) lgkmcnt(0)
	v_mul_f32_e32 v13, v11, v9
	v_mul_f32_e32 v9, v10, v9
	s_waitcnt vmcnt(0)
	v_fma_f32 v10, v10, v12, -v13
	v_fmac_f32_e32 v9, v11, v12
	v_add_f32_e32 v8, v8, v10
	v_add_f32_e32 v3, v3, v9
	s_andn2_b64 exec, exec, s[6:7]
	s_cbranch_execnz .LBB102_101
; %bb.102:
	s_or_b64 exec, exec, s[6:7]
	v_mov_b32_e32 v4, 0
	ds_read_b64 v[4:5], v4 offset:176
	s_waitcnt lgkmcnt(0)
	v_mul_f32_e32 v7, v3, v5
	v_mul_f32_e32 v5, v8, v5
	v_fma_f32 v7, v8, v4, -v7
	v_fmac_f32_e32 v5, v3, v4
	buffer_store_dword v7, off, s[0:3], 0 offset:176
	buffer_store_dword v5, off, s[0:3], 0 offset:180
.LBB102_103:
	s_or_b64 exec, exec, s[4:5]
	s_waitcnt lgkmcnt(0)
	; wave barrier
	buffer_load_dword v4, off, s[0:3], 0 offset:184
	buffer_load_dword v5, off, s[0:3], 0 offset:188
	v_cmp_gt_u32_e32 vcc, 23, v0
	s_waitcnt vmcnt(0)
	ds_write_b64 v1, v[4:5]
	s_waitcnt lgkmcnt(0)
	; wave barrier
	s_waitcnt lgkmcnt(0)
	s_and_saveexec_b64 s[4:5], vcc
	s_cbranch_execz .LBB102_107
; %bb.104:
	v_add_u32_e32 v4, -1, v0
	v_add_u32_e32 v5, 0x140, v6
	v_add_u32_e32 v7, 0, v6
	s_mov_b64 s[6:7], 0
	v_mov_b32_e32 v3, 0
	v_mov_b32_e32 v8, 0
.LBB102_105:                            ; =>This Inner Loop Header: Depth=1
	buffer_load_dword v9, v7, s[0:3], 0 offen offset:4
	buffer_load_dword v12, v7, s[0:3], 0 offen
	ds_read_b64 v[10:11], v5
	v_add_u32_e32 v4, 1, v4
	v_cmp_lt_u32_e32 vcc, 21, v4
	v_add_u32_e32 v5, 8, v5
	v_add_u32_e32 v7, 8, v7
	s_or_b64 s[6:7], vcc, s[6:7]
	s_waitcnt vmcnt(1) lgkmcnt(0)
	v_mul_f32_e32 v13, v11, v9
	v_mul_f32_e32 v9, v10, v9
	s_waitcnt vmcnt(0)
	v_fma_f32 v10, v10, v12, -v13
	v_fmac_f32_e32 v9, v11, v12
	v_add_f32_e32 v8, v8, v10
	v_add_f32_e32 v3, v3, v9
	s_andn2_b64 exec, exec, s[6:7]
	s_cbranch_execnz .LBB102_105
; %bb.106:
	s_or_b64 exec, exec, s[6:7]
	v_mov_b32_e32 v4, 0
	ds_read_b64 v[4:5], v4 offset:184
	s_waitcnt lgkmcnt(0)
	v_mul_f32_e32 v7, v3, v5
	v_mul_f32_e32 v5, v8, v5
	v_fma_f32 v7, v8, v4, -v7
	v_fmac_f32_e32 v5, v3, v4
	buffer_store_dword v7, off, s[0:3], 0 offset:184
	buffer_store_dword v5, off, s[0:3], 0 offset:188
.LBB102_107:
	s_or_b64 exec, exec, s[4:5]
	s_waitcnt lgkmcnt(0)
	; wave barrier
	buffer_load_dword v4, off, s[0:3], 0 offset:192
	buffer_load_dword v5, off, s[0:3], 0 offset:196
	v_cmp_gt_u32_e32 vcc, 24, v0
	s_waitcnt vmcnt(0)
	ds_write_b64 v1, v[4:5]
	s_waitcnt lgkmcnt(0)
	; wave barrier
	s_waitcnt lgkmcnt(0)
	s_and_saveexec_b64 s[4:5], vcc
	s_cbranch_execz .LBB102_111
; %bb.108:
	v_add_u32_e32 v4, -1, v0
	v_add_u32_e32 v5, 0x140, v6
	v_add_u32_e32 v7, 0, v6
	s_mov_b64 s[6:7], 0
	v_mov_b32_e32 v3, 0
	v_mov_b32_e32 v8, 0
.LBB102_109:                            ; =>This Inner Loop Header: Depth=1
	buffer_load_dword v9, v7, s[0:3], 0 offen offset:4
	buffer_load_dword v12, v7, s[0:3], 0 offen
	ds_read_b64 v[10:11], v5
	v_add_u32_e32 v4, 1, v4
	v_cmp_lt_u32_e32 vcc, 22, v4
	v_add_u32_e32 v5, 8, v5
	v_add_u32_e32 v7, 8, v7
	s_or_b64 s[6:7], vcc, s[6:7]
	s_waitcnt vmcnt(1) lgkmcnt(0)
	v_mul_f32_e32 v13, v11, v9
	v_mul_f32_e32 v9, v10, v9
	s_waitcnt vmcnt(0)
	v_fma_f32 v10, v10, v12, -v13
	v_fmac_f32_e32 v9, v11, v12
	v_add_f32_e32 v8, v8, v10
	v_add_f32_e32 v3, v3, v9
	s_andn2_b64 exec, exec, s[6:7]
	s_cbranch_execnz .LBB102_109
; %bb.110:
	s_or_b64 exec, exec, s[6:7]
	v_mov_b32_e32 v4, 0
	ds_read_b64 v[4:5], v4 offset:192
	s_waitcnt lgkmcnt(0)
	v_mul_f32_e32 v7, v3, v5
	v_mul_f32_e32 v5, v8, v5
	v_fma_f32 v7, v8, v4, -v7
	v_fmac_f32_e32 v5, v3, v4
	buffer_store_dword v7, off, s[0:3], 0 offset:192
	buffer_store_dword v5, off, s[0:3], 0 offset:196
.LBB102_111:
	s_or_b64 exec, exec, s[4:5]
	s_waitcnt lgkmcnt(0)
	; wave barrier
	buffer_load_dword v4, off, s[0:3], 0 offset:200
	buffer_load_dword v5, off, s[0:3], 0 offset:204
	v_cmp_gt_u32_e32 vcc, 25, v0
	s_waitcnt vmcnt(0)
	ds_write_b64 v1, v[4:5]
	s_waitcnt lgkmcnt(0)
	; wave barrier
	s_waitcnt lgkmcnt(0)
	s_and_saveexec_b64 s[4:5], vcc
	s_cbranch_execz .LBB102_115
; %bb.112:
	v_add_u32_e32 v4, -1, v0
	v_add_u32_e32 v5, 0x140, v6
	v_add_u32_e32 v7, 0, v6
	s_mov_b64 s[6:7], 0
	v_mov_b32_e32 v3, 0
	v_mov_b32_e32 v8, 0
.LBB102_113:                            ; =>This Inner Loop Header: Depth=1
	buffer_load_dword v9, v7, s[0:3], 0 offen offset:4
	buffer_load_dword v12, v7, s[0:3], 0 offen
	ds_read_b64 v[10:11], v5
	v_add_u32_e32 v4, 1, v4
	v_cmp_lt_u32_e32 vcc, 23, v4
	v_add_u32_e32 v5, 8, v5
	v_add_u32_e32 v7, 8, v7
	s_or_b64 s[6:7], vcc, s[6:7]
	s_waitcnt vmcnt(1) lgkmcnt(0)
	v_mul_f32_e32 v13, v11, v9
	v_mul_f32_e32 v9, v10, v9
	s_waitcnt vmcnt(0)
	v_fma_f32 v10, v10, v12, -v13
	v_fmac_f32_e32 v9, v11, v12
	v_add_f32_e32 v8, v8, v10
	v_add_f32_e32 v3, v3, v9
	s_andn2_b64 exec, exec, s[6:7]
	s_cbranch_execnz .LBB102_113
; %bb.114:
	s_or_b64 exec, exec, s[6:7]
	v_mov_b32_e32 v4, 0
	ds_read_b64 v[4:5], v4 offset:200
	s_waitcnt lgkmcnt(0)
	v_mul_f32_e32 v7, v3, v5
	v_mul_f32_e32 v5, v8, v5
	v_fma_f32 v7, v8, v4, -v7
	v_fmac_f32_e32 v5, v3, v4
	buffer_store_dword v7, off, s[0:3], 0 offset:200
	buffer_store_dword v5, off, s[0:3], 0 offset:204
.LBB102_115:
	s_or_b64 exec, exec, s[4:5]
	s_waitcnt lgkmcnt(0)
	; wave barrier
	buffer_load_dword v4, off, s[0:3], 0 offset:208
	buffer_load_dword v5, off, s[0:3], 0 offset:212
	v_cmp_gt_u32_e32 vcc, 26, v0
	s_waitcnt vmcnt(0)
	ds_write_b64 v1, v[4:5]
	s_waitcnt lgkmcnt(0)
	; wave barrier
	s_waitcnt lgkmcnt(0)
	s_and_saveexec_b64 s[4:5], vcc
	s_cbranch_execz .LBB102_119
; %bb.116:
	v_add_u32_e32 v4, -1, v0
	v_add_u32_e32 v5, 0x140, v6
	v_add_u32_e32 v7, 0, v6
	s_mov_b64 s[6:7], 0
	v_mov_b32_e32 v3, 0
	v_mov_b32_e32 v8, 0
.LBB102_117:                            ; =>This Inner Loop Header: Depth=1
	buffer_load_dword v9, v7, s[0:3], 0 offen offset:4
	buffer_load_dword v12, v7, s[0:3], 0 offen
	ds_read_b64 v[10:11], v5
	v_add_u32_e32 v4, 1, v4
	v_cmp_lt_u32_e32 vcc, 24, v4
	v_add_u32_e32 v5, 8, v5
	v_add_u32_e32 v7, 8, v7
	s_or_b64 s[6:7], vcc, s[6:7]
	s_waitcnt vmcnt(1) lgkmcnt(0)
	v_mul_f32_e32 v13, v11, v9
	v_mul_f32_e32 v9, v10, v9
	s_waitcnt vmcnt(0)
	v_fma_f32 v10, v10, v12, -v13
	v_fmac_f32_e32 v9, v11, v12
	v_add_f32_e32 v8, v8, v10
	v_add_f32_e32 v3, v3, v9
	s_andn2_b64 exec, exec, s[6:7]
	s_cbranch_execnz .LBB102_117
; %bb.118:
	s_or_b64 exec, exec, s[6:7]
	v_mov_b32_e32 v4, 0
	ds_read_b64 v[4:5], v4 offset:208
	s_waitcnt lgkmcnt(0)
	v_mul_f32_e32 v7, v3, v5
	v_mul_f32_e32 v5, v8, v5
	v_fma_f32 v7, v8, v4, -v7
	v_fmac_f32_e32 v5, v3, v4
	buffer_store_dword v7, off, s[0:3], 0 offset:208
	buffer_store_dword v5, off, s[0:3], 0 offset:212
.LBB102_119:
	s_or_b64 exec, exec, s[4:5]
	s_waitcnt lgkmcnt(0)
	; wave barrier
	buffer_load_dword v4, off, s[0:3], 0 offset:216
	buffer_load_dword v5, off, s[0:3], 0 offset:220
	v_cmp_gt_u32_e32 vcc, 27, v0
	s_waitcnt vmcnt(0)
	ds_write_b64 v1, v[4:5]
	s_waitcnt lgkmcnt(0)
	; wave barrier
	s_waitcnt lgkmcnt(0)
	s_and_saveexec_b64 s[4:5], vcc
	s_cbranch_execz .LBB102_123
; %bb.120:
	v_add_u32_e32 v4, -1, v0
	v_add_u32_e32 v5, 0x140, v6
	v_add_u32_e32 v7, 0, v6
	s_mov_b64 s[6:7], 0
	v_mov_b32_e32 v3, 0
	v_mov_b32_e32 v8, 0
.LBB102_121:                            ; =>This Inner Loop Header: Depth=1
	buffer_load_dword v9, v7, s[0:3], 0 offen offset:4
	buffer_load_dword v12, v7, s[0:3], 0 offen
	ds_read_b64 v[10:11], v5
	v_add_u32_e32 v4, 1, v4
	v_cmp_lt_u32_e32 vcc, 25, v4
	v_add_u32_e32 v5, 8, v5
	v_add_u32_e32 v7, 8, v7
	s_or_b64 s[6:7], vcc, s[6:7]
	s_waitcnt vmcnt(1) lgkmcnt(0)
	v_mul_f32_e32 v13, v11, v9
	v_mul_f32_e32 v9, v10, v9
	s_waitcnt vmcnt(0)
	v_fma_f32 v10, v10, v12, -v13
	v_fmac_f32_e32 v9, v11, v12
	v_add_f32_e32 v8, v8, v10
	v_add_f32_e32 v3, v3, v9
	s_andn2_b64 exec, exec, s[6:7]
	s_cbranch_execnz .LBB102_121
; %bb.122:
	s_or_b64 exec, exec, s[6:7]
	v_mov_b32_e32 v4, 0
	ds_read_b64 v[4:5], v4 offset:216
	s_waitcnt lgkmcnt(0)
	v_mul_f32_e32 v7, v3, v5
	v_mul_f32_e32 v5, v8, v5
	v_fma_f32 v7, v8, v4, -v7
	v_fmac_f32_e32 v5, v3, v4
	buffer_store_dword v7, off, s[0:3], 0 offset:216
	buffer_store_dword v5, off, s[0:3], 0 offset:220
.LBB102_123:
	s_or_b64 exec, exec, s[4:5]
	s_waitcnt lgkmcnt(0)
	; wave barrier
	buffer_load_dword v4, off, s[0:3], 0 offset:224
	buffer_load_dword v5, off, s[0:3], 0 offset:228
	v_cmp_gt_u32_e32 vcc, 28, v0
	s_waitcnt vmcnt(0)
	ds_write_b64 v1, v[4:5]
	s_waitcnt lgkmcnt(0)
	; wave barrier
	s_waitcnt lgkmcnt(0)
	s_and_saveexec_b64 s[4:5], vcc
	s_cbranch_execz .LBB102_127
; %bb.124:
	v_add_u32_e32 v4, -1, v0
	v_add_u32_e32 v5, 0x140, v6
	v_add_u32_e32 v7, 0, v6
	s_mov_b64 s[6:7], 0
	v_mov_b32_e32 v3, 0
	v_mov_b32_e32 v8, 0
.LBB102_125:                            ; =>This Inner Loop Header: Depth=1
	buffer_load_dword v9, v7, s[0:3], 0 offen offset:4
	buffer_load_dword v12, v7, s[0:3], 0 offen
	ds_read_b64 v[10:11], v5
	v_add_u32_e32 v4, 1, v4
	v_cmp_lt_u32_e32 vcc, 26, v4
	v_add_u32_e32 v5, 8, v5
	v_add_u32_e32 v7, 8, v7
	s_or_b64 s[6:7], vcc, s[6:7]
	s_waitcnt vmcnt(1) lgkmcnt(0)
	v_mul_f32_e32 v13, v11, v9
	v_mul_f32_e32 v9, v10, v9
	s_waitcnt vmcnt(0)
	v_fma_f32 v10, v10, v12, -v13
	v_fmac_f32_e32 v9, v11, v12
	v_add_f32_e32 v8, v8, v10
	v_add_f32_e32 v3, v3, v9
	s_andn2_b64 exec, exec, s[6:7]
	s_cbranch_execnz .LBB102_125
; %bb.126:
	s_or_b64 exec, exec, s[6:7]
	v_mov_b32_e32 v4, 0
	ds_read_b64 v[4:5], v4 offset:224
	s_waitcnt lgkmcnt(0)
	v_mul_f32_e32 v7, v3, v5
	v_mul_f32_e32 v5, v8, v5
	v_fma_f32 v7, v8, v4, -v7
	v_fmac_f32_e32 v5, v3, v4
	buffer_store_dword v7, off, s[0:3], 0 offset:224
	buffer_store_dword v5, off, s[0:3], 0 offset:228
.LBB102_127:
	s_or_b64 exec, exec, s[4:5]
	s_waitcnt lgkmcnt(0)
	; wave barrier
	buffer_load_dword v4, off, s[0:3], 0 offset:232
	buffer_load_dword v5, off, s[0:3], 0 offset:236
	v_cmp_gt_u32_e32 vcc, 29, v0
	s_waitcnt vmcnt(0)
	ds_write_b64 v1, v[4:5]
	s_waitcnt lgkmcnt(0)
	; wave barrier
	s_waitcnt lgkmcnt(0)
	s_and_saveexec_b64 s[4:5], vcc
	s_cbranch_execz .LBB102_131
; %bb.128:
	v_add_u32_e32 v4, -1, v0
	v_add_u32_e32 v5, 0x140, v6
	v_add_u32_e32 v7, 0, v6
	s_mov_b64 s[6:7], 0
	v_mov_b32_e32 v3, 0
	v_mov_b32_e32 v8, 0
.LBB102_129:                            ; =>This Inner Loop Header: Depth=1
	buffer_load_dword v9, v7, s[0:3], 0 offen offset:4
	buffer_load_dword v12, v7, s[0:3], 0 offen
	ds_read_b64 v[10:11], v5
	v_add_u32_e32 v4, 1, v4
	v_cmp_lt_u32_e32 vcc, 27, v4
	v_add_u32_e32 v5, 8, v5
	v_add_u32_e32 v7, 8, v7
	s_or_b64 s[6:7], vcc, s[6:7]
	s_waitcnt vmcnt(1) lgkmcnt(0)
	v_mul_f32_e32 v13, v11, v9
	v_mul_f32_e32 v9, v10, v9
	s_waitcnt vmcnt(0)
	v_fma_f32 v10, v10, v12, -v13
	v_fmac_f32_e32 v9, v11, v12
	v_add_f32_e32 v8, v8, v10
	v_add_f32_e32 v3, v3, v9
	s_andn2_b64 exec, exec, s[6:7]
	s_cbranch_execnz .LBB102_129
; %bb.130:
	s_or_b64 exec, exec, s[6:7]
	v_mov_b32_e32 v4, 0
	ds_read_b64 v[4:5], v4 offset:232
	s_waitcnt lgkmcnt(0)
	v_mul_f32_e32 v7, v3, v5
	v_mul_f32_e32 v5, v8, v5
	v_fma_f32 v7, v8, v4, -v7
	v_fmac_f32_e32 v5, v3, v4
	buffer_store_dword v7, off, s[0:3], 0 offset:232
	buffer_store_dword v5, off, s[0:3], 0 offset:236
.LBB102_131:
	s_or_b64 exec, exec, s[4:5]
	s_waitcnt lgkmcnt(0)
	; wave barrier
	buffer_load_dword v4, off, s[0:3], 0 offset:240
	buffer_load_dword v5, off, s[0:3], 0 offset:244
	v_cmp_gt_u32_e32 vcc, 30, v0
	s_waitcnt vmcnt(0)
	ds_write_b64 v1, v[4:5]
	s_waitcnt lgkmcnt(0)
	; wave barrier
	s_waitcnt lgkmcnt(0)
	s_and_saveexec_b64 s[4:5], vcc
	s_cbranch_execz .LBB102_135
; %bb.132:
	v_add_u32_e32 v4, -1, v0
	v_add_u32_e32 v5, 0x140, v6
	v_add_u32_e32 v7, 0, v6
	s_mov_b64 s[6:7], 0
	v_mov_b32_e32 v3, 0
	v_mov_b32_e32 v8, 0
.LBB102_133:                            ; =>This Inner Loop Header: Depth=1
	buffer_load_dword v9, v7, s[0:3], 0 offen offset:4
	buffer_load_dword v12, v7, s[0:3], 0 offen
	ds_read_b64 v[10:11], v5
	v_add_u32_e32 v4, 1, v4
	v_cmp_lt_u32_e32 vcc, 28, v4
	v_add_u32_e32 v5, 8, v5
	v_add_u32_e32 v7, 8, v7
	s_or_b64 s[6:7], vcc, s[6:7]
	s_waitcnt vmcnt(1) lgkmcnt(0)
	v_mul_f32_e32 v13, v11, v9
	v_mul_f32_e32 v9, v10, v9
	s_waitcnt vmcnt(0)
	v_fma_f32 v10, v10, v12, -v13
	v_fmac_f32_e32 v9, v11, v12
	v_add_f32_e32 v8, v8, v10
	v_add_f32_e32 v3, v3, v9
	s_andn2_b64 exec, exec, s[6:7]
	s_cbranch_execnz .LBB102_133
; %bb.134:
	s_or_b64 exec, exec, s[6:7]
	v_mov_b32_e32 v4, 0
	ds_read_b64 v[4:5], v4 offset:240
	s_waitcnt lgkmcnt(0)
	v_mul_f32_e32 v7, v3, v5
	v_mul_f32_e32 v5, v8, v5
	v_fma_f32 v7, v8, v4, -v7
	v_fmac_f32_e32 v5, v3, v4
	buffer_store_dword v7, off, s[0:3], 0 offset:240
	buffer_store_dword v5, off, s[0:3], 0 offset:244
.LBB102_135:
	s_or_b64 exec, exec, s[4:5]
	s_waitcnt lgkmcnt(0)
	; wave barrier
	buffer_load_dword v4, off, s[0:3], 0 offset:248
	buffer_load_dword v5, off, s[0:3], 0 offset:252
	v_cmp_gt_u32_e32 vcc, 31, v0
	s_waitcnt vmcnt(0)
	ds_write_b64 v1, v[4:5]
	s_waitcnt lgkmcnt(0)
	; wave barrier
	s_waitcnt lgkmcnt(0)
	s_and_saveexec_b64 s[4:5], vcc
	s_cbranch_execz .LBB102_139
; %bb.136:
	v_add_u32_e32 v4, -1, v0
	v_add_u32_e32 v5, 0x140, v6
	v_add_u32_e32 v7, 0, v6
	s_mov_b64 s[6:7], 0
	v_mov_b32_e32 v3, 0
	v_mov_b32_e32 v8, 0
.LBB102_137:                            ; =>This Inner Loop Header: Depth=1
	buffer_load_dword v9, v7, s[0:3], 0 offen offset:4
	buffer_load_dword v12, v7, s[0:3], 0 offen
	ds_read_b64 v[10:11], v5
	v_add_u32_e32 v4, 1, v4
	v_cmp_lt_u32_e32 vcc, 29, v4
	v_add_u32_e32 v5, 8, v5
	v_add_u32_e32 v7, 8, v7
	s_or_b64 s[6:7], vcc, s[6:7]
	s_waitcnt vmcnt(1) lgkmcnt(0)
	v_mul_f32_e32 v13, v11, v9
	v_mul_f32_e32 v9, v10, v9
	s_waitcnt vmcnt(0)
	v_fma_f32 v10, v10, v12, -v13
	v_fmac_f32_e32 v9, v11, v12
	v_add_f32_e32 v8, v8, v10
	v_add_f32_e32 v3, v3, v9
	s_andn2_b64 exec, exec, s[6:7]
	s_cbranch_execnz .LBB102_137
; %bb.138:
	s_or_b64 exec, exec, s[6:7]
	v_mov_b32_e32 v4, 0
	ds_read_b64 v[4:5], v4 offset:248
	s_waitcnt lgkmcnt(0)
	v_mul_f32_e32 v7, v3, v5
	v_mul_f32_e32 v5, v8, v5
	v_fma_f32 v7, v8, v4, -v7
	v_fmac_f32_e32 v5, v3, v4
	buffer_store_dword v7, off, s[0:3], 0 offset:248
	buffer_store_dword v5, off, s[0:3], 0 offset:252
.LBB102_139:
	s_or_b64 exec, exec, s[4:5]
	s_waitcnt lgkmcnt(0)
	; wave barrier
	buffer_load_dword v4, off, s[0:3], 0 offset:256
	buffer_load_dword v5, off, s[0:3], 0 offset:260
	v_cmp_gt_u32_e32 vcc, 32, v0
	s_waitcnt vmcnt(0)
	ds_write_b64 v1, v[4:5]
	s_waitcnt lgkmcnt(0)
	; wave barrier
	s_waitcnt lgkmcnt(0)
	s_and_saveexec_b64 s[4:5], vcc
	s_cbranch_execz .LBB102_143
; %bb.140:
	v_add_u32_e32 v4, -1, v0
	v_add_u32_e32 v5, 0x140, v6
	v_add_u32_e32 v7, 0, v6
	s_mov_b64 s[6:7], 0
	v_mov_b32_e32 v3, 0
	v_mov_b32_e32 v8, 0
.LBB102_141:                            ; =>This Inner Loop Header: Depth=1
	buffer_load_dword v9, v7, s[0:3], 0 offen offset:4
	buffer_load_dword v12, v7, s[0:3], 0 offen
	ds_read_b64 v[10:11], v5
	v_add_u32_e32 v4, 1, v4
	v_cmp_lt_u32_e32 vcc, 30, v4
	v_add_u32_e32 v5, 8, v5
	v_add_u32_e32 v7, 8, v7
	s_or_b64 s[6:7], vcc, s[6:7]
	s_waitcnt vmcnt(1) lgkmcnt(0)
	v_mul_f32_e32 v13, v11, v9
	v_mul_f32_e32 v9, v10, v9
	s_waitcnt vmcnt(0)
	v_fma_f32 v10, v10, v12, -v13
	v_fmac_f32_e32 v9, v11, v12
	v_add_f32_e32 v8, v8, v10
	v_add_f32_e32 v3, v3, v9
	s_andn2_b64 exec, exec, s[6:7]
	s_cbranch_execnz .LBB102_141
; %bb.142:
	s_or_b64 exec, exec, s[6:7]
	v_mov_b32_e32 v4, 0
	ds_read_b64 v[4:5], v4 offset:256
	s_waitcnt lgkmcnt(0)
	v_mul_f32_e32 v7, v3, v5
	v_mul_f32_e32 v5, v8, v5
	v_fma_f32 v7, v8, v4, -v7
	v_fmac_f32_e32 v5, v3, v4
	buffer_store_dword v7, off, s[0:3], 0 offset:256
	buffer_store_dword v5, off, s[0:3], 0 offset:260
.LBB102_143:
	s_or_b64 exec, exec, s[4:5]
	s_waitcnt lgkmcnt(0)
	; wave barrier
	buffer_load_dword v4, off, s[0:3], 0 offset:264
	buffer_load_dword v5, off, s[0:3], 0 offset:268
	v_cmp_gt_u32_e32 vcc, 33, v0
	s_waitcnt vmcnt(0)
	ds_write_b64 v1, v[4:5]
	s_waitcnt lgkmcnt(0)
	; wave barrier
	s_waitcnt lgkmcnt(0)
	s_and_saveexec_b64 s[4:5], vcc
	s_cbranch_execz .LBB102_147
; %bb.144:
	v_add_u32_e32 v4, -1, v0
	v_add_u32_e32 v5, 0x140, v6
	v_add_u32_e32 v7, 0, v6
	s_mov_b64 s[6:7], 0
	v_mov_b32_e32 v3, 0
	v_mov_b32_e32 v8, 0
.LBB102_145:                            ; =>This Inner Loop Header: Depth=1
	buffer_load_dword v9, v7, s[0:3], 0 offen offset:4
	buffer_load_dword v12, v7, s[0:3], 0 offen
	ds_read_b64 v[10:11], v5
	v_add_u32_e32 v4, 1, v4
	v_cmp_lt_u32_e32 vcc, 31, v4
	v_add_u32_e32 v5, 8, v5
	v_add_u32_e32 v7, 8, v7
	s_or_b64 s[6:7], vcc, s[6:7]
	s_waitcnt vmcnt(1) lgkmcnt(0)
	v_mul_f32_e32 v13, v11, v9
	v_mul_f32_e32 v9, v10, v9
	s_waitcnt vmcnt(0)
	v_fma_f32 v10, v10, v12, -v13
	v_fmac_f32_e32 v9, v11, v12
	v_add_f32_e32 v8, v8, v10
	v_add_f32_e32 v3, v3, v9
	s_andn2_b64 exec, exec, s[6:7]
	s_cbranch_execnz .LBB102_145
; %bb.146:
	s_or_b64 exec, exec, s[6:7]
	v_mov_b32_e32 v4, 0
	ds_read_b64 v[4:5], v4 offset:264
	s_waitcnt lgkmcnt(0)
	v_mul_f32_e32 v7, v3, v5
	v_mul_f32_e32 v5, v8, v5
	v_fma_f32 v7, v8, v4, -v7
	v_fmac_f32_e32 v5, v3, v4
	buffer_store_dword v7, off, s[0:3], 0 offset:264
	buffer_store_dword v5, off, s[0:3], 0 offset:268
.LBB102_147:
	s_or_b64 exec, exec, s[4:5]
	s_waitcnt lgkmcnt(0)
	; wave barrier
	buffer_load_dword v4, off, s[0:3], 0 offset:272
	buffer_load_dword v5, off, s[0:3], 0 offset:276
	v_cmp_gt_u32_e32 vcc, 34, v0
	s_waitcnt vmcnt(0)
	ds_write_b64 v1, v[4:5]
	s_waitcnt lgkmcnt(0)
	; wave barrier
	s_waitcnt lgkmcnt(0)
	s_and_saveexec_b64 s[4:5], vcc
	s_cbranch_execz .LBB102_151
; %bb.148:
	v_add_u32_e32 v4, -1, v0
	v_add_u32_e32 v5, 0x140, v6
	v_add_u32_e32 v7, 0, v6
	s_mov_b64 s[6:7], 0
	v_mov_b32_e32 v3, 0
	v_mov_b32_e32 v8, 0
.LBB102_149:                            ; =>This Inner Loop Header: Depth=1
	buffer_load_dword v9, v7, s[0:3], 0 offen offset:4
	buffer_load_dword v12, v7, s[0:3], 0 offen
	ds_read_b64 v[10:11], v5
	v_add_u32_e32 v4, 1, v4
	v_cmp_lt_u32_e32 vcc, 32, v4
	v_add_u32_e32 v5, 8, v5
	v_add_u32_e32 v7, 8, v7
	s_or_b64 s[6:7], vcc, s[6:7]
	s_waitcnt vmcnt(1) lgkmcnt(0)
	v_mul_f32_e32 v13, v11, v9
	v_mul_f32_e32 v9, v10, v9
	s_waitcnt vmcnt(0)
	v_fma_f32 v10, v10, v12, -v13
	v_fmac_f32_e32 v9, v11, v12
	v_add_f32_e32 v8, v8, v10
	v_add_f32_e32 v3, v3, v9
	s_andn2_b64 exec, exec, s[6:7]
	s_cbranch_execnz .LBB102_149
; %bb.150:
	s_or_b64 exec, exec, s[6:7]
	v_mov_b32_e32 v4, 0
	ds_read_b64 v[4:5], v4 offset:272
	s_waitcnt lgkmcnt(0)
	v_mul_f32_e32 v7, v3, v5
	v_mul_f32_e32 v5, v8, v5
	v_fma_f32 v7, v8, v4, -v7
	v_fmac_f32_e32 v5, v3, v4
	buffer_store_dword v7, off, s[0:3], 0 offset:272
	buffer_store_dword v5, off, s[0:3], 0 offset:276
.LBB102_151:
	s_or_b64 exec, exec, s[4:5]
	s_waitcnt lgkmcnt(0)
	; wave barrier
	buffer_load_dword v4, off, s[0:3], 0 offset:280
	buffer_load_dword v5, off, s[0:3], 0 offset:284
	v_cmp_gt_u32_e32 vcc, 35, v0
	s_waitcnt vmcnt(0)
	ds_write_b64 v1, v[4:5]
	s_waitcnt lgkmcnt(0)
	; wave barrier
	s_waitcnt lgkmcnt(0)
	s_and_saveexec_b64 s[4:5], vcc
	s_cbranch_execz .LBB102_155
; %bb.152:
	v_add_u32_e32 v4, -1, v0
	v_add_u32_e32 v5, 0x140, v6
	v_add_u32_e32 v7, 0, v6
	s_mov_b64 s[6:7], 0
	v_mov_b32_e32 v3, 0
	v_mov_b32_e32 v8, 0
.LBB102_153:                            ; =>This Inner Loop Header: Depth=1
	buffer_load_dword v9, v7, s[0:3], 0 offen offset:4
	buffer_load_dword v12, v7, s[0:3], 0 offen
	ds_read_b64 v[10:11], v5
	v_add_u32_e32 v4, 1, v4
	v_cmp_lt_u32_e32 vcc, 33, v4
	v_add_u32_e32 v5, 8, v5
	v_add_u32_e32 v7, 8, v7
	s_or_b64 s[6:7], vcc, s[6:7]
	s_waitcnt vmcnt(1) lgkmcnt(0)
	v_mul_f32_e32 v13, v11, v9
	v_mul_f32_e32 v9, v10, v9
	s_waitcnt vmcnt(0)
	v_fma_f32 v10, v10, v12, -v13
	v_fmac_f32_e32 v9, v11, v12
	v_add_f32_e32 v8, v8, v10
	v_add_f32_e32 v3, v3, v9
	s_andn2_b64 exec, exec, s[6:7]
	s_cbranch_execnz .LBB102_153
; %bb.154:
	s_or_b64 exec, exec, s[6:7]
	v_mov_b32_e32 v4, 0
	ds_read_b64 v[4:5], v4 offset:280
	s_waitcnt lgkmcnt(0)
	v_mul_f32_e32 v7, v3, v5
	v_mul_f32_e32 v5, v8, v5
	v_fma_f32 v7, v8, v4, -v7
	v_fmac_f32_e32 v5, v3, v4
	buffer_store_dword v7, off, s[0:3], 0 offset:280
	buffer_store_dword v5, off, s[0:3], 0 offset:284
.LBB102_155:
	s_or_b64 exec, exec, s[4:5]
	s_waitcnt lgkmcnt(0)
	; wave barrier
	buffer_load_dword v4, off, s[0:3], 0 offset:288
	buffer_load_dword v5, off, s[0:3], 0 offset:292
	v_cmp_gt_u32_e32 vcc, 36, v0
	s_waitcnt vmcnt(0)
	ds_write_b64 v1, v[4:5]
	s_waitcnt lgkmcnt(0)
	; wave barrier
	s_waitcnt lgkmcnt(0)
	s_and_saveexec_b64 s[4:5], vcc
	s_cbranch_execz .LBB102_159
; %bb.156:
	v_add_u32_e32 v4, -1, v0
	v_add_u32_e32 v5, 0x140, v6
	v_add_u32_e32 v7, 0, v6
	s_mov_b64 s[6:7], 0
	v_mov_b32_e32 v3, 0
	v_mov_b32_e32 v8, 0
.LBB102_157:                            ; =>This Inner Loop Header: Depth=1
	buffer_load_dword v9, v7, s[0:3], 0 offen offset:4
	buffer_load_dword v12, v7, s[0:3], 0 offen
	ds_read_b64 v[10:11], v5
	v_add_u32_e32 v4, 1, v4
	v_cmp_lt_u32_e32 vcc, 34, v4
	v_add_u32_e32 v5, 8, v5
	v_add_u32_e32 v7, 8, v7
	s_or_b64 s[6:7], vcc, s[6:7]
	s_waitcnt vmcnt(1) lgkmcnt(0)
	v_mul_f32_e32 v13, v11, v9
	v_mul_f32_e32 v9, v10, v9
	s_waitcnt vmcnt(0)
	v_fma_f32 v10, v10, v12, -v13
	v_fmac_f32_e32 v9, v11, v12
	v_add_f32_e32 v8, v8, v10
	v_add_f32_e32 v3, v3, v9
	s_andn2_b64 exec, exec, s[6:7]
	s_cbranch_execnz .LBB102_157
; %bb.158:
	s_or_b64 exec, exec, s[6:7]
	v_mov_b32_e32 v4, 0
	ds_read_b64 v[4:5], v4 offset:288
	s_waitcnt lgkmcnt(0)
	v_mul_f32_e32 v7, v3, v5
	v_mul_f32_e32 v5, v8, v5
	v_fma_f32 v7, v8, v4, -v7
	v_fmac_f32_e32 v5, v3, v4
	buffer_store_dword v7, off, s[0:3], 0 offset:288
	buffer_store_dword v5, off, s[0:3], 0 offset:292
.LBB102_159:
	s_or_b64 exec, exec, s[4:5]
	s_waitcnt lgkmcnt(0)
	; wave barrier
	buffer_load_dword v4, off, s[0:3], 0 offset:296
	buffer_load_dword v5, off, s[0:3], 0 offset:300
	v_cmp_gt_u32_e32 vcc, 37, v0
	s_waitcnt vmcnt(0)
	ds_write_b64 v1, v[4:5]
	s_waitcnt lgkmcnt(0)
	; wave barrier
	s_waitcnt lgkmcnt(0)
	s_and_saveexec_b64 s[4:5], vcc
	s_cbranch_execz .LBB102_163
; %bb.160:
	v_add_u32_e32 v4, -1, v0
	v_add_u32_e32 v5, 0x140, v6
	v_add_u32_e32 v7, 0, v6
	s_mov_b64 s[6:7], 0
	v_mov_b32_e32 v3, 0
	v_mov_b32_e32 v8, 0
.LBB102_161:                            ; =>This Inner Loop Header: Depth=1
	buffer_load_dword v9, v7, s[0:3], 0 offen offset:4
	buffer_load_dword v12, v7, s[0:3], 0 offen
	ds_read_b64 v[10:11], v5
	v_add_u32_e32 v4, 1, v4
	v_cmp_lt_u32_e32 vcc, 35, v4
	v_add_u32_e32 v5, 8, v5
	v_add_u32_e32 v7, 8, v7
	s_or_b64 s[6:7], vcc, s[6:7]
	s_waitcnt vmcnt(1) lgkmcnt(0)
	v_mul_f32_e32 v13, v11, v9
	v_mul_f32_e32 v9, v10, v9
	s_waitcnt vmcnt(0)
	v_fma_f32 v10, v10, v12, -v13
	v_fmac_f32_e32 v9, v11, v12
	v_add_f32_e32 v8, v8, v10
	v_add_f32_e32 v3, v3, v9
	s_andn2_b64 exec, exec, s[6:7]
	s_cbranch_execnz .LBB102_161
; %bb.162:
	s_or_b64 exec, exec, s[6:7]
	v_mov_b32_e32 v4, 0
	ds_read_b64 v[4:5], v4 offset:296
	s_waitcnt lgkmcnt(0)
	v_mul_f32_e32 v7, v3, v5
	v_mul_f32_e32 v5, v8, v5
	v_fma_f32 v7, v8, v4, -v7
	v_fmac_f32_e32 v5, v3, v4
	buffer_store_dword v7, off, s[0:3], 0 offset:296
	buffer_store_dword v5, off, s[0:3], 0 offset:300
.LBB102_163:
	s_or_b64 exec, exec, s[4:5]
	s_waitcnt lgkmcnt(0)
	; wave barrier
	buffer_load_dword v4, off, s[0:3], 0 offset:304
	buffer_load_dword v5, off, s[0:3], 0 offset:308
	v_cmp_ne_u32_e32 vcc, 38, v0
	s_waitcnt vmcnt(0)
	ds_write_b64 v1, v[4:5]
	s_waitcnt lgkmcnt(0)
	; wave barrier
	s_waitcnt lgkmcnt(0)
	s_and_saveexec_b64 s[4:5], vcc
	s_cbranch_execz .LBB102_167
; %bb.164:
	v_add_u32_e32 v3, 0x140, v6
	v_add_u32_e32 v4, 0, v6
	s_mov_b64 s[6:7], 0
	v_mov_b32_e32 v1, 0
	v_mov_b32_e32 v5, 0
.LBB102_165:                            ; =>This Inner Loop Header: Depth=1
	buffer_load_dword v8, v4, s[0:3], 0 offen offset:4
	buffer_load_dword v9, v4, s[0:3], 0 offen
	ds_read_b64 v[6:7], v3
	v_add_u32_e32 v2, 1, v2
	v_cmp_lt_u32_e32 vcc, 36, v2
	v_add_u32_e32 v3, 8, v3
	v_add_u32_e32 v4, 8, v4
	s_or_b64 s[6:7], vcc, s[6:7]
	s_waitcnt vmcnt(1) lgkmcnt(0)
	v_mul_f32_e32 v10, v7, v8
	v_mul_f32_e32 v8, v6, v8
	s_waitcnt vmcnt(0)
	v_fma_f32 v6, v6, v9, -v10
	v_fmac_f32_e32 v8, v7, v9
	v_add_f32_e32 v5, v5, v6
	v_add_f32_e32 v1, v1, v8
	s_andn2_b64 exec, exec, s[6:7]
	s_cbranch_execnz .LBB102_165
; %bb.166:
	s_or_b64 exec, exec, s[6:7]
	v_mov_b32_e32 v2, 0
	ds_read_b64 v[2:3], v2 offset:304
	s_waitcnt lgkmcnt(0)
	v_mul_f32_e32 v4, v1, v3
	v_mul_f32_e32 v3, v5, v3
	v_fma_f32 v4, v5, v2, -v4
	v_fmac_f32_e32 v3, v1, v2
	buffer_store_dword v4, off, s[0:3], 0 offset:304
	buffer_store_dword v3, off, s[0:3], 0 offset:308
.LBB102_167:
	s_or_b64 exec, exec, s[4:5]
	s_mov_b64 s[6:7], -1
	s_waitcnt lgkmcnt(0)
	; wave barrier
.LBB102_168:
	s_and_b64 vcc, exec, s[6:7]
	s_cbranch_vccz .LBB102_170
; %bb.169:
	s_lshl_b64 s[4:5], s[8:9], 2
	s_add_u32 s4, s14, s4
	s_addc_u32 s5, s15, s5
	v_mov_b32_e32 v1, 0
	global_load_dword v1, v1, s[4:5]
	s_waitcnt vmcnt(0)
	v_cmp_ne_u32_e32 vcc, 0, v1
	s_cbranch_vccz .LBB102_171
.LBB102_170:
	s_endpgm
.LBB102_171:
	v_mov_b32_e32 v1, 0x140
	v_lshl_add_u32 v1, v0, 3, v1
	v_cmp_eq_u32_e32 vcc, 38, v0
	s_and_saveexec_b64 s[4:5], vcc
	s_cbranch_execz .LBB102_173
; %bb.172:
	buffer_load_dword v2, off, s[0:3], 0 offset:296
	buffer_load_dword v3, off, s[0:3], 0 offset:300
	v_mov_b32_e32 v4, 0
	buffer_store_dword v4, off, s[0:3], 0 offset:296
	buffer_store_dword v4, off, s[0:3], 0 offset:300
	s_waitcnt vmcnt(2)
	ds_write_b64 v1, v[2:3]
.LBB102_173:
	s_or_b64 exec, exec, s[4:5]
	s_waitcnt lgkmcnt(0)
	; wave barrier
	s_waitcnt lgkmcnt(0)
	buffer_load_dword v5, off, s[0:3], 0 offset:308
	buffer_load_dword v4, off, s[0:3], 0 offset:304
	;; [unrolled: 1-line block ×4, first 2 shown]
	v_mov_b32_e32 v2, 0
	ds_read_b64 v[8:9], v2 offset:624
	v_cmp_lt_u32_e32 vcc, 36, v0
	s_waitcnt vmcnt(3)
	v_mov_b32_e32 v10, v5
	s_waitcnt lgkmcnt(0)
	v_pk_mul_f32 v[10:11], v[8:9], v[10:11] op_sel_hi:[1,0]
	s_waitcnt vmcnt(2)
	v_pk_fma_f32 v[12:13], v[8:9], v[4:5], v[10:11] op_sel:[0,0,1] op_sel_hi:[1,1,0] neg_lo:[0,0,1] neg_hi:[0,0,1]
	v_pk_fma_f32 v[4:5], v[8:9], v[4:5], v[10:11] op_sel:[0,0,1] op_sel_hi:[1,0,0]
	v_mov_b32_e32 v13, v5
	v_pk_add_f32 v[4:5], v[12:13], 0 op_sel_hi:[1,0]
	s_waitcnt vmcnt(0)
	v_pk_add_f32 v[4:5], v[6:7], v[4:5] neg_lo:[0,1] neg_hi:[0,1]
	buffer_store_dword v4, off, s[0:3], 0 offset:296
	buffer_store_dword v5, off, s[0:3], 0 offset:300
	s_and_saveexec_b64 s[4:5], vcc
	s_cbranch_execz .LBB102_175
; %bb.174:
	buffer_load_dword v4, off, s[0:3], 0 offset:288
	buffer_load_dword v5, off, s[0:3], 0 offset:292
	s_waitcnt vmcnt(0)
	ds_write_b64 v1, v[4:5]
	buffer_store_dword v2, off, s[0:3], 0 offset:288
	buffer_store_dword v2, off, s[0:3], 0 offset:292
.LBB102_175:
	s_or_b64 exec, exec, s[4:5]
	s_waitcnt lgkmcnt(0)
	; wave barrier
	s_waitcnt lgkmcnt(0)
	buffer_load_dword v7, off, s[0:3], 0 offset:300
	buffer_load_dword v9, off, s[0:3], 0 offset:308
	;; [unrolled: 1-line block ×6, first 2 shown]
	ds_read2_b64 v[2:5], v2 offset0:77 offset1:78
	v_cmp_lt_u32_e32 vcc, 35, v0
	s_waitcnt vmcnt(5)
	v_mov_b32_e32 v12, v7
	s_waitcnt vmcnt(4)
	v_mov_b32_e32 v14, v9
	s_waitcnt lgkmcnt(0)
	v_pk_mul_f32 v[12:13], v[2:3], v[12:13] op_sel_hi:[1,0]
	v_pk_mul_f32 v[14:15], v[4:5], v[14:15] op_sel_hi:[1,0]
	s_waitcnt vmcnt(3)
	v_pk_fma_f32 v[16:17], v[2:3], v[6:7], v[12:13] op_sel:[0,0,1] op_sel_hi:[1,1,0] neg_lo:[0,0,1] neg_hi:[0,0,1]
	v_pk_fma_f32 v[2:3], v[2:3], v[6:7], v[12:13] op_sel:[0,0,1] op_sel_hi:[1,0,0]
	s_waitcnt vmcnt(2)
	v_pk_fma_f32 v[6:7], v[4:5], v[8:9], v[14:15] op_sel:[0,0,1] op_sel_hi:[1,1,0] neg_lo:[0,0,1] neg_hi:[0,0,1]
	v_pk_fma_f32 v[4:5], v[4:5], v[8:9], v[14:15] op_sel:[0,0,1] op_sel_hi:[1,0,0]
	v_mov_b32_e32 v17, v3
	v_mov_b32_e32 v7, v5
	v_pk_add_f32 v[2:3], v[16:17], 0 op_sel_hi:[1,0]
	v_pk_add_f32 v[2:3], v[2:3], v[6:7]
	s_waitcnt vmcnt(0)
	v_pk_add_f32 v[2:3], v[10:11], v[2:3] neg_lo:[0,1] neg_hi:[0,1]
	buffer_store_dword v2, off, s[0:3], 0 offset:288
	buffer_store_dword v3, off, s[0:3], 0 offset:292
	s_and_saveexec_b64 s[4:5], vcc
	s_cbranch_execz .LBB102_177
; %bb.176:
	buffer_load_dword v2, off, s[0:3], 0 offset:280
	buffer_load_dword v3, off, s[0:3], 0 offset:284
	v_mov_b32_e32 v4, 0
	buffer_store_dword v4, off, s[0:3], 0 offset:280
	buffer_store_dword v4, off, s[0:3], 0 offset:284
	s_waitcnt vmcnt(2)
	ds_write_b64 v1, v[2:3]
.LBB102_177:
	s_or_b64 exec, exec, s[4:5]
	s_waitcnt lgkmcnt(0)
	; wave barrier
	s_waitcnt lgkmcnt(0)
	buffer_load_dword v9, off, s[0:3], 0 offset:292
	buffer_load_dword v11, off, s[0:3], 0 offset:300
	;; [unrolled: 1-line block ×8, first 2 shown]
	v_mov_b32_e32 v2, 0
	ds_read_b128 v[4:7], v2 offset:608
	ds_read_b64 v[16:17], v2 offset:624
	v_cmp_lt_u32_e32 vcc, 34, v0
	s_waitcnt vmcnt(7)
	v_mov_b32_e32 v96, v9
	s_waitcnt vmcnt(6)
	v_mov_b32_e32 v98, v11
	s_waitcnt lgkmcnt(1)
	v_pk_mul_f32 v[96:97], v[4:5], v[96:97] op_sel_hi:[1,0]
	s_waitcnt vmcnt(5)
	v_mov_b32_e32 v100, v13
	v_pk_mul_f32 v[98:99], v[6:7], v[98:99] op_sel_hi:[1,0]
	s_waitcnt vmcnt(4)
	v_pk_fma_f32 v[102:103], v[4:5], v[8:9], v[96:97] op_sel:[0,0,1] op_sel_hi:[1,1,0] neg_lo:[0,0,1] neg_hi:[0,0,1]
	v_pk_fma_f32 v[4:5], v[4:5], v[8:9], v[96:97] op_sel:[0,0,1] op_sel_hi:[1,0,0]
	s_waitcnt lgkmcnt(0)
	v_pk_mul_f32 v[100:101], v[16:17], v[100:101] op_sel_hi:[1,0]
	s_waitcnt vmcnt(3)
	v_pk_fma_f32 v[8:9], v[6:7], v[10:11], v[98:99] op_sel:[0,0,1] op_sel_hi:[1,1,0] neg_lo:[0,0,1] neg_hi:[0,0,1]
	v_pk_fma_f32 v[6:7], v[6:7], v[10:11], v[98:99] op_sel:[0,0,1] op_sel_hi:[1,0,0]
	v_mov_b32_e32 v103, v5
	s_waitcnt vmcnt(2)
	v_pk_fma_f32 v[10:11], v[16:17], v[12:13], v[100:101] op_sel:[0,0,1] op_sel_hi:[1,1,0] neg_lo:[0,0,1] neg_hi:[0,0,1]
	v_pk_fma_f32 v[12:13], v[16:17], v[12:13], v[100:101] op_sel:[0,0,1] op_sel_hi:[1,0,0]
	v_mov_b32_e32 v9, v7
	v_pk_add_f32 v[4:5], v[102:103], 0 op_sel_hi:[1,0]
	v_mov_b32_e32 v11, v13
	v_pk_add_f32 v[4:5], v[4:5], v[8:9]
	v_pk_add_f32 v[4:5], v[4:5], v[10:11]
	s_waitcnt vmcnt(0)
	v_pk_add_f32 v[4:5], v[14:15], v[4:5] neg_lo:[0,1] neg_hi:[0,1]
	buffer_store_dword v4, off, s[0:3], 0 offset:280
	buffer_store_dword v5, off, s[0:3], 0 offset:284
	s_and_saveexec_b64 s[4:5], vcc
	s_cbranch_execz .LBB102_179
; %bb.178:
	buffer_load_dword v4, off, s[0:3], 0 offset:272
	buffer_load_dword v5, off, s[0:3], 0 offset:276
	s_waitcnt vmcnt(0)
	ds_write_b64 v1, v[4:5]
	buffer_store_dword v2, off, s[0:3], 0 offset:272
	buffer_store_dword v2, off, s[0:3], 0 offset:276
.LBB102_179:
	s_or_b64 exec, exec, s[4:5]
	s_waitcnt lgkmcnt(0)
	; wave barrier
	s_waitcnt lgkmcnt(0)
	buffer_load_dword v13, off, s[0:3], 0 offset:284
	buffer_load_dword v15, off, s[0:3], 0 offset:292
	;; [unrolled: 1-line block ×10, first 2 shown]
	ds_read2_b64 v[4:7], v2 offset0:75 offset1:76
	ds_read2_b64 v[8:11], v2 offset0:77 offset1:78
	v_cmp_lt_u32_e32 vcc, 33, v0
	s_waitcnt vmcnt(9)
	v_mov_b32_e32 v2, v13
	s_waitcnt vmcnt(8)
	v_mov_b32_e32 v100, v15
	s_waitcnt lgkmcnt(1)
	v_pk_mul_f32 v[2:3], v[4:5], v[2:3] op_sel_hi:[1,0]
	s_waitcnt vmcnt(7)
	v_mov_b32_e32 v102, v17
	v_pk_mul_f32 v[100:101], v[6:7], v[100:101] op_sel_hi:[1,0]
	s_waitcnt vmcnt(5)
	v_pk_fma_f32 v[106:107], v[4:5], v[12:13], v[2:3] op_sel:[0,0,1] op_sel_hi:[1,1,0] neg_lo:[0,0,1] neg_hi:[0,0,1]
	v_pk_fma_f32 v[2:3], v[4:5], v[12:13], v[2:3] op_sel:[0,0,1] op_sel_hi:[1,0,0]
	v_mov_b32_e32 v104, v97
	s_waitcnt lgkmcnt(0)
	v_pk_mul_f32 v[102:103], v[8:9], v[102:103] op_sel_hi:[1,0]
	s_waitcnt vmcnt(4)
	v_pk_fma_f32 v[4:5], v[6:7], v[14:15], v[100:101] op_sel:[0,0,1] op_sel_hi:[1,1,0] neg_lo:[0,0,1] neg_hi:[0,0,1]
	v_pk_fma_f32 v[6:7], v[6:7], v[14:15], v[100:101] op_sel:[0,0,1] op_sel_hi:[1,0,0]
	v_mov_b32_e32 v107, v3
	v_pk_mul_f32 v[104:105], v[10:11], v[104:105] op_sel_hi:[1,0]
	s_waitcnt vmcnt(3)
	v_pk_fma_f32 v[12:13], v[8:9], v[16:17], v[102:103] op_sel:[0,0,1] op_sel_hi:[1,1,0] neg_lo:[0,0,1] neg_hi:[0,0,1]
	v_pk_fma_f32 v[8:9], v[8:9], v[16:17], v[102:103] op_sel:[0,0,1] op_sel_hi:[1,0,0]
	v_mov_b32_e32 v5, v7
	v_pk_add_f32 v[2:3], v[106:107], 0 op_sel_hi:[1,0]
	s_waitcnt vmcnt(2)
	v_pk_fma_f32 v[14:15], v[10:11], v[96:97], v[104:105] op_sel:[0,0,1] op_sel_hi:[1,1,0] neg_lo:[0,0,1] neg_hi:[0,0,1]
	v_pk_fma_f32 v[10:11], v[10:11], v[96:97], v[104:105] op_sel:[0,0,1] op_sel_hi:[1,0,0]
	v_mov_b32_e32 v13, v9
	v_pk_add_f32 v[2:3], v[2:3], v[4:5]
	v_mov_b32_e32 v15, v11
	v_pk_add_f32 v[2:3], v[2:3], v[12:13]
	v_pk_add_f32 v[2:3], v[2:3], v[14:15]
	s_waitcnt vmcnt(0)
	v_pk_add_f32 v[2:3], v[98:99], v[2:3] neg_lo:[0,1] neg_hi:[0,1]
	buffer_store_dword v2, off, s[0:3], 0 offset:272
	buffer_store_dword v3, off, s[0:3], 0 offset:276
	s_and_saveexec_b64 s[4:5], vcc
	s_cbranch_execz .LBB102_181
; %bb.180:
	buffer_load_dword v2, off, s[0:3], 0 offset:264
	buffer_load_dword v3, off, s[0:3], 0 offset:268
	v_mov_b32_e32 v4, 0
	buffer_store_dword v4, off, s[0:3], 0 offset:264
	buffer_store_dword v4, off, s[0:3], 0 offset:268
	s_waitcnt vmcnt(2)
	ds_write_b64 v1, v[2:3]
.LBB102_181:
	s_or_b64 exec, exec, s[4:5]
	s_waitcnt lgkmcnt(0)
	; wave barrier
	s_waitcnt lgkmcnt(0)
	buffer_load_dword v13, off, s[0:3], 0 offset:276
	buffer_load_dword v15, off, s[0:3], 0 offset:284
	;; [unrolled: 1-line block ×12, first 2 shown]
	v_mov_b32_e32 v2, 0
	ds_read_b128 v[4:7], v2 offset:592
	ds_read_b128 v[8:11], v2 offset:608
	ds_read_b64 v[102:103], v2 offset:624
	v_cmp_lt_u32_e32 vcc, 32, v0
	s_waitcnt vmcnt(11)
	v_mov_b32_e32 v104, v13
	s_waitcnt vmcnt(10)
	v_mov_b32_e32 v106, v15
	s_waitcnt lgkmcnt(2)
	v_pk_mul_f32 v[104:105], v[4:5], v[104:105] op_sel_hi:[1,0]
	s_waitcnt vmcnt(9)
	v_mov_b32_e32 v108, v17
	v_pk_mul_f32 v[106:107], v[6:7], v[106:107] op_sel_hi:[1,0]
	s_waitcnt vmcnt(6)
	v_pk_fma_f32 v[114:115], v[4:5], v[12:13], v[104:105] op_sel:[0,0,1] op_sel_hi:[1,1,0] neg_lo:[0,0,1] neg_hi:[0,0,1]
	v_pk_fma_f32 v[4:5], v[4:5], v[12:13], v[104:105] op_sel:[0,0,1] op_sel_hi:[1,0,0]
	v_mov_b32_e32 v110, v97
	s_waitcnt lgkmcnt(1)
	v_pk_mul_f32 v[108:109], v[8:9], v[108:109] op_sel_hi:[1,0]
	s_waitcnt vmcnt(5)
	v_pk_fma_f32 v[12:13], v[6:7], v[14:15], v[106:107] op_sel:[0,0,1] op_sel_hi:[1,1,0] neg_lo:[0,0,1] neg_hi:[0,0,1]
	v_pk_fma_f32 v[6:7], v[6:7], v[14:15], v[106:107] op_sel:[0,0,1] op_sel_hi:[1,0,0]
	v_mov_b32_e32 v115, v5
	v_mov_b32_e32 v112, v99
	v_pk_mul_f32 v[110:111], v[10:11], v[110:111] op_sel_hi:[1,0]
	s_waitcnt vmcnt(4)
	v_pk_fma_f32 v[14:15], v[8:9], v[16:17], v[108:109] op_sel:[0,0,1] op_sel_hi:[1,1,0] neg_lo:[0,0,1] neg_hi:[0,0,1]
	v_pk_fma_f32 v[8:9], v[8:9], v[16:17], v[108:109] op_sel:[0,0,1] op_sel_hi:[1,0,0]
	v_mov_b32_e32 v13, v7
	v_pk_add_f32 v[4:5], v[114:115], 0 op_sel_hi:[1,0]
	s_waitcnt lgkmcnt(0)
	v_pk_mul_f32 v[112:113], v[102:103], v[112:113] op_sel_hi:[1,0]
	s_waitcnt vmcnt(3)
	v_pk_fma_f32 v[16:17], v[10:11], v[96:97], v[110:111] op_sel:[0,0,1] op_sel_hi:[1,1,0] neg_lo:[0,0,1] neg_hi:[0,0,1]
	v_pk_fma_f32 v[10:11], v[10:11], v[96:97], v[110:111] op_sel:[0,0,1] op_sel_hi:[1,0,0]
	v_mov_b32_e32 v15, v9
	v_pk_add_f32 v[4:5], v[4:5], v[12:13]
	s_waitcnt vmcnt(2)
	v_pk_fma_f32 v[96:97], v[102:103], v[98:99], v[112:113] op_sel:[0,0,1] op_sel_hi:[1,1,0] neg_lo:[0,0,1] neg_hi:[0,0,1]
	v_pk_fma_f32 v[98:99], v[102:103], v[98:99], v[112:113] op_sel:[0,0,1] op_sel_hi:[1,0,0]
	v_mov_b32_e32 v17, v11
	v_pk_add_f32 v[4:5], v[4:5], v[14:15]
	v_mov_b32_e32 v97, v99
	v_pk_add_f32 v[4:5], v[4:5], v[16:17]
	v_pk_add_f32 v[4:5], v[4:5], v[96:97]
	s_waitcnt vmcnt(0)
	v_pk_add_f32 v[4:5], v[100:101], v[4:5] neg_lo:[0,1] neg_hi:[0,1]
	buffer_store_dword v4, off, s[0:3], 0 offset:264
	buffer_store_dword v5, off, s[0:3], 0 offset:268
	s_and_saveexec_b64 s[4:5], vcc
	s_cbranch_execz .LBB102_183
; %bb.182:
	buffer_load_dword v4, off, s[0:3], 0 offset:256
	buffer_load_dword v5, off, s[0:3], 0 offset:260
	s_waitcnt vmcnt(0)
	ds_write_b64 v1, v[4:5]
	buffer_store_dword v2, off, s[0:3], 0 offset:256
	buffer_store_dword v2, off, s[0:3], 0 offset:260
.LBB102_183:
	s_or_b64 exec, exec, s[4:5]
	s_waitcnt lgkmcnt(0)
	; wave barrier
	s_waitcnt lgkmcnt(0)
	buffer_load_dword v17, off, s[0:3], 0 offset:268
	buffer_load_dword v97, off, s[0:3], 0 offset:276
	buffer_load_dword v99, off, s[0:3], 0 offset:284
	buffer_load_dword v101, off, s[0:3], 0 offset:292
	buffer_load_dword v103, off, s[0:3], 0 offset:300
	buffer_load_dword v105, off, s[0:3], 0 offset:308
	buffer_load_dword v16, off, s[0:3], 0 offset:264
	buffer_load_dword v96, off, s[0:3], 0 offset:272
	buffer_load_dword v98, off, s[0:3], 0 offset:280
	buffer_load_dword v100, off, s[0:3], 0 offset:288
	buffer_load_dword v102, off, s[0:3], 0 offset:296
	buffer_load_dword v104, off, s[0:3], 0 offset:304
	buffer_load_dword v106, off, s[0:3], 0 offset:256
	buffer_load_dword v107, off, s[0:3], 0 offset:260
	ds_read2_b64 v[4:7], v2 offset0:73 offset1:74
	ds_read2_b64 v[8:11], v2 offset0:75 offset1:76
	;; [unrolled: 1-line block ×3, first 2 shown]
	v_cmp_lt_u32_e32 vcc, 31, v0
	s_waitcnt vmcnt(13)
	v_mov_b32_e32 v2, v17
	s_waitcnt vmcnt(12)
	v_mov_b32_e32 v108, v97
	s_waitcnt lgkmcnt(2)
	v_pk_mul_f32 v[2:3], v[4:5], v[2:3] op_sel_hi:[1,0]
	s_waitcnt vmcnt(11)
	v_mov_b32_e32 v110, v99
	v_pk_mul_f32 v[108:109], v[6:7], v[108:109] op_sel_hi:[1,0]
	s_waitcnt vmcnt(10)
	v_mov_b32_e32 v112, v101
	s_waitcnt vmcnt(7)
	v_pk_fma_f32 v[118:119], v[4:5], v[16:17], v[2:3] op_sel:[0,0,1] op_sel_hi:[1,1,0] neg_lo:[0,0,1] neg_hi:[0,0,1]
	v_pk_fma_f32 v[2:3], v[4:5], v[16:17], v[2:3] op_sel:[0,0,1] op_sel_hi:[1,0,0]
	s_waitcnt lgkmcnt(1)
	v_pk_mul_f32 v[110:111], v[8:9], v[110:111] op_sel_hi:[1,0]
	s_waitcnt vmcnt(6)
	v_pk_fma_f32 v[4:5], v[6:7], v[96:97], v[108:109] op_sel:[0,0,1] op_sel_hi:[1,1,0] neg_lo:[0,0,1] neg_hi:[0,0,1]
	v_pk_fma_f32 v[6:7], v[6:7], v[96:97], v[108:109] op_sel:[0,0,1] op_sel_hi:[1,0,0]
	v_mov_b32_e32 v119, v3
	v_mov_b32_e32 v114, v103
	v_pk_mul_f32 v[112:113], v[10:11], v[112:113] op_sel_hi:[1,0]
	s_waitcnt vmcnt(5)
	v_pk_fma_f32 v[16:17], v[8:9], v[98:99], v[110:111] op_sel:[0,0,1] op_sel_hi:[1,1,0] neg_lo:[0,0,1] neg_hi:[0,0,1]
	v_pk_fma_f32 v[8:9], v[8:9], v[98:99], v[110:111] op_sel:[0,0,1] op_sel_hi:[1,0,0]
	v_mov_b32_e32 v5, v7
	v_pk_add_f32 v[2:3], v[118:119], 0 op_sel_hi:[1,0]
	v_mov_b32_e32 v116, v105
	s_waitcnt lgkmcnt(0)
	v_pk_mul_f32 v[114:115], v[12:13], v[114:115] op_sel_hi:[1,0]
	s_waitcnt vmcnt(4)
	v_pk_fma_f32 v[96:97], v[10:11], v[100:101], v[112:113] op_sel:[0,0,1] op_sel_hi:[1,1,0] neg_lo:[0,0,1] neg_hi:[0,0,1]
	v_pk_fma_f32 v[10:11], v[10:11], v[100:101], v[112:113] op_sel:[0,0,1] op_sel_hi:[1,0,0]
	v_mov_b32_e32 v17, v9
	v_pk_add_f32 v[2:3], v[2:3], v[4:5]
	v_pk_mul_f32 v[116:117], v[14:15], v[116:117] op_sel_hi:[1,0]
	s_waitcnt vmcnt(3)
	v_pk_fma_f32 v[98:99], v[12:13], v[102:103], v[114:115] op_sel:[0,0,1] op_sel_hi:[1,1,0] neg_lo:[0,0,1] neg_hi:[0,0,1]
	v_pk_fma_f32 v[12:13], v[12:13], v[102:103], v[114:115] op_sel:[0,0,1] op_sel_hi:[1,0,0]
	v_mov_b32_e32 v97, v11
	v_pk_add_f32 v[2:3], v[2:3], v[16:17]
	s_waitcnt vmcnt(2)
	v_pk_fma_f32 v[100:101], v[14:15], v[104:105], v[116:117] op_sel:[0,0,1] op_sel_hi:[1,1,0] neg_lo:[0,0,1] neg_hi:[0,0,1]
	v_pk_fma_f32 v[14:15], v[14:15], v[104:105], v[116:117] op_sel:[0,0,1] op_sel_hi:[1,0,0]
	v_mov_b32_e32 v99, v13
	v_pk_add_f32 v[2:3], v[2:3], v[96:97]
	v_mov_b32_e32 v101, v15
	v_pk_add_f32 v[2:3], v[2:3], v[98:99]
	v_pk_add_f32 v[2:3], v[2:3], v[100:101]
	s_waitcnt vmcnt(0)
	v_pk_add_f32 v[2:3], v[106:107], v[2:3] neg_lo:[0,1] neg_hi:[0,1]
	buffer_store_dword v2, off, s[0:3], 0 offset:256
	buffer_store_dword v3, off, s[0:3], 0 offset:260
	s_and_saveexec_b64 s[4:5], vcc
	s_cbranch_execz .LBB102_185
; %bb.184:
	buffer_load_dword v2, off, s[0:3], 0 offset:248
	buffer_load_dword v3, off, s[0:3], 0 offset:252
	v_mov_b32_e32 v4, 0
	buffer_store_dword v4, off, s[0:3], 0 offset:248
	buffer_store_dword v4, off, s[0:3], 0 offset:252
	s_waitcnt vmcnt(2)
	ds_write_b64 v1, v[2:3]
.LBB102_185:
	s_or_b64 exec, exec, s[4:5]
	s_waitcnt lgkmcnt(0)
	; wave barrier
	s_waitcnt lgkmcnt(0)
	buffer_load_dword v17, off, s[0:3], 0 offset:260
	buffer_load_dword v97, off, s[0:3], 0 offset:268
	buffer_load_dword v99, off, s[0:3], 0 offset:276
	buffer_load_dword v101, off, s[0:3], 0 offset:284
	buffer_load_dword v103, off, s[0:3], 0 offset:292
	buffer_load_dword v105, off, s[0:3], 0 offset:300
	buffer_load_dword v107, off, s[0:3], 0 offset:308
	buffer_load_dword v16, off, s[0:3], 0 offset:256
	buffer_load_dword v96, off, s[0:3], 0 offset:264
	buffer_load_dword v98, off, s[0:3], 0 offset:272
	buffer_load_dword v100, off, s[0:3], 0 offset:280
	buffer_load_dword v102, off, s[0:3], 0 offset:288
	buffer_load_dword v104, off, s[0:3], 0 offset:296
	buffer_load_dword v106, off, s[0:3], 0 offset:304
	buffer_load_dword v108, off, s[0:3], 0 offset:248
	buffer_load_dword v109, off, s[0:3], 0 offset:252
	v_mov_b32_e32 v2, 0
	ds_read_b128 v[4:7], v2 offset:576
	ds_read_b128 v[8:11], v2 offset:592
	;; [unrolled: 1-line block ×3, first 2 shown]
	ds_read_b64 v[110:111], v2 offset:624
	v_cmp_lt_u32_e32 vcc, 30, v0
	s_waitcnt vmcnt(15)
	v_mov_b32_e32 v112, v17
	s_waitcnt vmcnt(14)
	v_mov_b32_e32 v114, v97
	s_waitcnt lgkmcnt(3)
	v_pk_mul_f32 v[112:113], v[4:5], v[112:113] op_sel_hi:[1,0]
	s_waitcnt vmcnt(13)
	v_mov_b32_e32 v116, v99
	v_pk_mul_f32 v[114:115], v[6:7], v[114:115] op_sel_hi:[1,0]
	s_waitcnt vmcnt(12)
	v_mov_b32_e32 v118, v101
	s_waitcnt lgkmcnt(2)
	v_pk_mul_f32 v[116:117], v[8:9], v[116:117] op_sel_hi:[1,0]
	s_waitcnt vmcnt(8)
	v_pk_fma_f32 v[126:127], v[4:5], v[16:17], v[112:113] op_sel:[0,0,1] op_sel_hi:[1,1,0] neg_lo:[0,0,1] neg_hi:[0,0,1]
	v_pk_fma_f32 v[4:5], v[4:5], v[16:17], v[112:113] op_sel:[0,0,1] op_sel_hi:[1,0,0]
	s_waitcnt vmcnt(7)
	v_pk_fma_f32 v[16:17], v[6:7], v[96:97], v[114:115] op_sel:[0,0,1] op_sel_hi:[1,1,0] neg_lo:[0,0,1] neg_hi:[0,0,1]
	v_pk_fma_f32 v[6:7], v[6:7], v[96:97], v[114:115] op_sel:[0,0,1] op_sel_hi:[1,0,0]
	v_mov_b32_e32 v127, v5
	v_mov_b32_e32 v120, v103
	v_pk_mul_f32 v[118:119], v[10:11], v[118:119] op_sel_hi:[1,0]
	s_waitcnt vmcnt(6)
	v_pk_fma_f32 v[96:97], v[8:9], v[98:99], v[116:117] op_sel:[0,0,1] op_sel_hi:[1,1,0] neg_lo:[0,0,1] neg_hi:[0,0,1]
	v_pk_fma_f32 v[8:9], v[8:9], v[98:99], v[116:117] op_sel:[0,0,1] op_sel_hi:[1,0,0]
	v_mov_b32_e32 v17, v7
	v_pk_add_f32 v[4:5], v[126:127], 0 op_sel_hi:[1,0]
	v_mov_b32_e32 v122, v105
	s_waitcnt lgkmcnt(1)
	v_pk_mul_f32 v[120:121], v[12:13], v[120:121] op_sel_hi:[1,0]
	s_waitcnt vmcnt(5)
	v_pk_fma_f32 v[98:99], v[10:11], v[100:101], v[118:119] op_sel:[0,0,1] op_sel_hi:[1,1,0] neg_lo:[0,0,1] neg_hi:[0,0,1]
	v_pk_fma_f32 v[10:11], v[10:11], v[100:101], v[118:119] op_sel:[0,0,1] op_sel_hi:[1,0,0]
	v_mov_b32_e32 v97, v9
	v_pk_add_f32 v[4:5], v[4:5], v[16:17]
	v_mov_b32_e32 v124, v107
	v_pk_mul_f32 v[122:123], v[14:15], v[122:123] op_sel_hi:[1,0]
	s_waitcnt vmcnt(4)
	v_pk_fma_f32 v[100:101], v[12:13], v[102:103], v[120:121] op_sel:[0,0,1] op_sel_hi:[1,1,0] neg_lo:[0,0,1] neg_hi:[0,0,1]
	v_pk_fma_f32 v[12:13], v[12:13], v[102:103], v[120:121] op_sel:[0,0,1] op_sel_hi:[1,0,0]
	v_mov_b32_e32 v99, v11
	v_pk_add_f32 v[4:5], v[4:5], v[96:97]
	s_waitcnt lgkmcnt(0)
	v_pk_mul_f32 v[124:125], v[110:111], v[124:125] op_sel_hi:[1,0]
	s_waitcnt vmcnt(3)
	v_pk_fma_f32 v[102:103], v[14:15], v[104:105], v[122:123] op_sel:[0,0,1] op_sel_hi:[1,1,0] neg_lo:[0,0,1] neg_hi:[0,0,1]
	v_pk_fma_f32 v[14:15], v[14:15], v[104:105], v[122:123] op_sel:[0,0,1] op_sel_hi:[1,0,0]
	v_mov_b32_e32 v101, v13
	v_pk_add_f32 v[4:5], v[4:5], v[98:99]
	s_waitcnt vmcnt(2)
	v_pk_fma_f32 v[104:105], v[110:111], v[106:107], v[124:125] op_sel:[0,0,1] op_sel_hi:[1,1,0] neg_lo:[0,0,1] neg_hi:[0,0,1]
	v_pk_fma_f32 v[106:107], v[110:111], v[106:107], v[124:125] op_sel:[0,0,1] op_sel_hi:[1,0,0]
	v_mov_b32_e32 v103, v15
	v_pk_add_f32 v[4:5], v[4:5], v[100:101]
	v_mov_b32_e32 v105, v107
	v_pk_add_f32 v[4:5], v[4:5], v[102:103]
	v_pk_add_f32 v[4:5], v[4:5], v[104:105]
	s_waitcnt vmcnt(0)
	v_pk_add_f32 v[4:5], v[108:109], v[4:5] neg_lo:[0,1] neg_hi:[0,1]
	buffer_store_dword v4, off, s[0:3], 0 offset:248
	buffer_store_dword v5, off, s[0:3], 0 offset:252
	s_and_saveexec_b64 s[4:5], vcc
	s_cbranch_execz .LBB102_187
; %bb.186:
	buffer_load_dword v4, off, s[0:3], 0 offset:240
	buffer_load_dword v5, off, s[0:3], 0 offset:244
	s_waitcnt vmcnt(0)
	ds_write_b64 v1, v[4:5]
	buffer_store_dword v2, off, s[0:3], 0 offset:240
	buffer_store_dword v2, off, s[0:3], 0 offset:244
.LBB102_187:
	s_or_b64 exec, exec, s[4:5]
	s_waitcnt lgkmcnt(0)
	; wave barrier
	s_waitcnt lgkmcnt(0)
	buffer_load_dword v16, off, s[0:3], 0 offset:240
	buffer_load_dword v17, off, s[0:3], 0 offset:244
	;; [unrolled: 1-line block ×16, first 2 shown]
	ds_read2_b64 v[4:7], v2 offset0:71 offset1:72
	buffer_load_dword v115, off, s[0:3], 0 offset:308
	buffer_load_dword v114, off, s[0:3], 0 offset:304
	ds_read2_b64 v[8:11], v2 offset0:73 offset1:74
	ds_read2_b64 v[12:15], v2 offset0:75 offset1:76
	ds_read2_b64 v[96:99], v2 offset0:77 offset1:78
	v_cmp_lt_u32_e32 vcc, 29, v0
	s_waitcnt vmcnt(14)
	v_mov_b32_e32 v2, v101
	s_waitcnt lgkmcnt(3)
	v_pk_mul_f32 v[2:3], v[4:5], v[2:3] op_sel_hi:[1,0]
	v_pk_fma_f32 v[116:117], v[4:5], v[100:101], v[2:3] op_sel:[0,0,1] op_sel_hi:[1,1,0] neg_lo:[0,0,1] neg_hi:[0,0,1]
	v_pk_fma_f32 v[2:3], v[4:5], v[100:101], v[2:3] op_sel:[0,0,1] op_sel_hi:[1,0,0]
	s_waitcnt vmcnt(12)
	v_mov_b32_e32 v4, v103
	v_pk_mul_f32 v[4:5], v[6:7], v[4:5] op_sel_hi:[1,0]
	v_pk_fma_f32 v[100:101], v[6:7], v[102:103], v[4:5] op_sel:[0,0,1] op_sel_hi:[1,1,0] neg_lo:[0,0,1] neg_hi:[0,0,1]
	v_pk_fma_f32 v[4:5], v[6:7], v[102:103], v[4:5] op_sel:[0,0,1] op_sel_hi:[1,0,0]
	s_waitcnt vmcnt(10)
	v_mov_b32_e32 v4, v105
	v_mov_b32_e32 v101, v5
	s_waitcnt lgkmcnt(2)
	v_pk_mul_f32 v[4:5], v[8:9], v[4:5] op_sel_hi:[1,0]
	v_mov_b32_e32 v117, v3
	v_pk_fma_f32 v[6:7], v[8:9], v[104:105], v[4:5] op_sel:[0,0,1] op_sel_hi:[1,1,0] neg_lo:[0,0,1] neg_hi:[0,0,1]
	v_pk_fma_f32 v[4:5], v[8:9], v[104:105], v[4:5] op_sel:[0,0,1] op_sel_hi:[1,0,0]
	v_pk_add_f32 v[2:3], v[116:117], 0 op_sel_hi:[1,0]
	s_waitcnt vmcnt(8)
	v_mov_b32_e32 v4, v107
	v_pk_add_f32 v[2:3], v[2:3], v[100:101]
	v_mov_b32_e32 v7, v5
	v_pk_mul_f32 v[4:5], v[10:11], v[4:5] op_sel_hi:[1,0]
	v_pk_add_f32 v[2:3], v[2:3], v[6:7]
	v_pk_fma_f32 v[6:7], v[10:11], v[106:107], v[4:5] op_sel:[0,0,1] op_sel_hi:[1,1,0] neg_lo:[0,0,1] neg_hi:[0,0,1]
	v_pk_fma_f32 v[4:5], v[10:11], v[106:107], v[4:5] op_sel:[0,0,1] op_sel_hi:[1,0,0]
	s_waitcnt vmcnt(6)
	v_mov_b32_e32 v4, v109
	v_mov_b32_e32 v7, v5
	s_waitcnt lgkmcnt(1)
	v_pk_mul_f32 v[4:5], v[12:13], v[4:5] op_sel_hi:[1,0]
	v_pk_add_f32 v[2:3], v[2:3], v[6:7]
	v_pk_fma_f32 v[6:7], v[12:13], v[108:109], v[4:5] op_sel:[0,0,1] op_sel_hi:[1,1,0] neg_lo:[0,0,1] neg_hi:[0,0,1]
	v_pk_fma_f32 v[4:5], v[12:13], v[108:109], v[4:5] op_sel:[0,0,1] op_sel_hi:[1,0,0]
	s_waitcnt vmcnt(4)
	v_mov_b32_e32 v4, v111
	v_mov_b32_e32 v7, v5
	v_pk_mul_f32 v[4:5], v[14:15], v[4:5] op_sel_hi:[1,0]
	v_pk_add_f32 v[2:3], v[2:3], v[6:7]
	v_pk_fma_f32 v[6:7], v[14:15], v[110:111], v[4:5] op_sel:[0,0,1] op_sel_hi:[1,1,0] neg_lo:[0,0,1] neg_hi:[0,0,1]
	v_pk_fma_f32 v[4:5], v[14:15], v[110:111], v[4:5] op_sel:[0,0,1] op_sel_hi:[1,0,0]
	s_waitcnt vmcnt(2)
	v_mov_b32_e32 v4, v113
	v_mov_b32_e32 v7, v5
	s_waitcnt lgkmcnt(0)
	v_pk_mul_f32 v[4:5], v[96:97], v[4:5] op_sel_hi:[1,0]
	v_pk_add_f32 v[2:3], v[2:3], v[6:7]
	v_pk_fma_f32 v[6:7], v[96:97], v[112:113], v[4:5] op_sel:[0,0,1] op_sel_hi:[1,1,0] neg_lo:[0,0,1] neg_hi:[0,0,1]
	v_pk_fma_f32 v[4:5], v[96:97], v[112:113], v[4:5] op_sel:[0,0,1] op_sel_hi:[1,0,0]
	s_waitcnt vmcnt(1)
	v_mov_b32_e32 v4, v115
	v_mov_b32_e32 v7, v5
	v_pk_mul_f32 v[4:5], v[98:99], v[4:5] op_sel_hi:[1,0]
	v_pk_add_f32 v[2:3], v[2:3], v[6:7]
	s_waitcnt vmcnt(0)
	v_pk_fma_f32 v[6:7], v[98:99], v[114:115], v[4:5] op_sel:[0,0,1] op_sel_hi:[1,1,0] neg_lo:[0,0,1] neg_hi:[0,0,1]
	v_pk_fma_f32 v[4:5], v[98:99], v[114:115], v[4:5] op_sel:[0,0,1] op_sel_hi:[1,0,0]
	v_mov_b32_e32 v7, v5
	v_pk_add_f32 v[2:3], v[2:3], v[6:7]
	v_pk_add_f32 v[2:3], v[16:17], v[2:3] neg_lo:[0,1] neg_hi:[0,1]
	buffer_store_dword v2, off, s[0:3], 0 offset:240
	buffer_store_dword v3, off, s[0:3], 0 offset:244
	s_and_saveexec_b64 s[4:5], vcc
	s_cbranch_execz .LBB102_189
; %bb.188:
	buffer_load_dword v2, off, s[0:3], 0 offset:232
	buffer_load_dword v3, off, s[0:3], 0 offset:236
	v_mov_b32_e32 v4, 0
	buffer_store_dword v4, off, s[0:3], 0 offset:232
	buffer_store_dword v4, off, s[0:3], 0 offset:236
	s_waitcnt vmcnt(2)
	ds_write_b64 v1, v[2:3]
.LBB102_189:
	s_or_b64 exec, exec, s[4:5]
	v_mov_b32_e32 v2, 0
	s_waitcnt lgkmcnt(0)
	; wave barrier
	s_waitcnt lgkmcnt(0)
	ds_read_b128 v[4:7], v2 offset:560
	ds_read_b128 v[8:11], v2 offset:576
	;; [unrolled: 1-line block ×4, first 2 shown]
	buffer_load_dword v16, off, s[0:3], 0 offset:232
	buffer_load_dword v17, off, s[0:3], 0 offset:236
	;; [unrolled: 1-line block ×20, first 2 shown]
	v_cmp_lt_u32_e32 vcc, 28, v0
	s_waitcnt vmcnt(16) lgkmcnt(3)
	v_mul_f32_e32 v113, v4, v112
	v_fmac_f32_e32 v113, v5, v3
	s_waitcnt vmcnt(14)
	v_mov_b32_e32 v118, v101
	v_mul_f32_e32 v5, v5, v112
	v_pk_mul_f32 v[118:119], v[6:7], v[118:119] op_sel_hi:[1,0]
	v_fma_f32 v112, v4, v3, -v5
	v_pk_fma_f32 v[120:121], v[6:7], v[100:101], v[118:119] op_sel:[0,0,1] op_sel_hi:[1,1,0] neg_lo:[0,0,1] neg_hi:[0,0,1]
	v_pk_fma_f32 v[6:7], v[6:7], v[100:101], v[118:119] op_sel:[0,0,1] op_sel_hi:[1,0,0]
	s_waitcnt vmcnt(12)
	v_mov_b32_e32 v100, v103
	v_pk_add_f32 v[112:113], v[112:113], 0 op_sel_hi:[1,0]
	v_mov_b32_e32 v121, v7
	s_waitcnt lgkmcnt(2)
	v_pk_mul_f32 v[100:101], v[8:9], v[100:101] op_sel_hi:[1,0]
	v_pk_add_f32 v[6:7], v[112:113], v[120:121]
	v_pk_fma_f32 v[112:113], v[8:9], v[102:103], v[100:101] op_sel:[0,0,1] op_sel_hi:[1,1,0] neg_lo:[0,0,1] neg_hi:[0,0,1]
	v_pk_fma_f32 v[8:9], v[8:9], v[102:103], v[100:101] op_sel:[0,0,1] op_sel_hi:[1,0,0]
	s_waitcnt vmcnt(10)
	v_mov_b32_e32 v8, v105
	v_mov_b32_e32 v113, v9
	v_pk_mul_f32 v[8:9], v[10:11], v[8:9] op_sel_hi:[1,0]
	v_pk_fma_f32 v[100:101], v[10:11], v[104:105], v[8:9] op_sel:[0,0,1] op_sel_hi:[1,1,0] neg_lo:[0,0,1] neg_hi:[0,0,1]
	v_pk_fma_f32 v[8:9], v[10:11], v[104:105], v[8:9] op_sel:[0,0,1] op_sel_hi:[1,0,0]
	s_waitcnt vmcnt(8)
	v_mov_b32_e32 v8, v107
	v_mov_b32_e32 v101, v9
	s_waitcnt lgkmcnt(1)
	v_pk_mul_f32 v[8:9], v[12:13], v[8:9] op_sel_hi:[1,0]
	v_pk_fma_f32 v[10:11], v[12:13], v[106:107], v[8:9] op_sel:[0,0,1] op_sel_hi:[1,1,0] neg_lo:[0,0,1] neg_hi:[0,0,1]
	v_pk_fma_f32 v[8:9], v[12:13], v[106:107], v[8:9] op_sel:[0,0,1] op_sel_hi:[1,0,0]
	v_pk_add_f32 v[6:7], v[6:7], v[112:113]
	s_waitcnt vmcnt(6)
	v_mov_b32_e32 v8, v109
	v_pk_add_f32 v[6:7], v[6:7], v[100:101]
	v_mov_b32_e32 v11, v9
	v_pk_mul_f32 v[8:9], v[14:15], v[8:9] op_sel_hi:[1,0]
	v_pk_add_f32 v[6:7], v[6:7], v[10:11]
	v_pk_fma_f32 v[10:11], v[14:15], v[108:109], v[8:9] op_sel:[0,0,1] op_sel_hi:[1,1,0] neg_lo:[0,0,1] neg_hi:[0,0,1]
	v_pk_fma_f32 v[8:9], v[14:15], v[108:109], v[8:9] op_sel:[0,0,1] op_sel_hi:[1,0,0]
	s_waitcnt vmcnt(4)
	v_mov_b32_e32 v8, v111
	v_mov_b32_e32 v11, v9
	s_waitcnt lgkmcnt(0)
	v_pk_mul_f32 v[8:9], v[96:97], v[8:9] op_sel_hi:[1,0]
	ds_read_b64 v[4:5], v2 offset:624
	v_pk_add_f32 v[6:7], v[6:7], v[10:11]
	v_pk_fma_f32 v[10:11], v[96:97], v[110:111], v[8:9] op_sel:[0,0,1] op_sel_hi:[1,1,0] neg_lo:[0,0,1] neg_hi:[0,0,1]
	v_pk_fma_f32 v[8:9], v[96:97], v[110:111], v[8:9] op_sel:[0,0,1] op_sel_hi:[1,0,0]
	s_waitcnt vmcnt(3)
	v_mov_b32_e32 v8, v115
	v_mov_b32_e32 v11, v9
	v_pk_mul_f32 v[8:9], v[98:99], v[8:9] op_sel_hi:[1,0]
	v_pk_add_f32 v[6:7], v[6:7], v[10:11]
	s_waitcnt vmcnt(2)
	v_pk_fma_f32 v[10:11], v[98:99], v[114:115], v[8:9] op_sel:[0,0,1] op_sel_hi:[1,1,0] neg_lo:[0,0,1] neg_hi:[0,0,1]
	v_pk_fma_f32 v[8:9], v[98:99], v[114:115], v[8:9] op_sel:[0,0,1] op_sel_hi:[1,0,0]
	s_waitcnt vmcnt(1)
	v_mov_b32_e32 v8, v117
	v_mov_b32_e32 v11, v9
	s_waitcnt lgkmcnt(0)
	v_pk_mul_f32 v[8:9], v[4:5], v[8:9] op_sel_hi:[1,0]
	v_pk_add_f32 v[6:7], v[6:7], v[10:11]
	s_waitcnt vmcnt(0)
	v_pk_fma_f32 v[10:11], v[4:5], v[116:117], v[8:9] op_sel:[0,0,1] op_sel_hi:[1,1,0] neg_lo:[0,0,1] neg_hi:[0,0,1]
	v_pk_fma_f32 v[4:5], v[4:5], v[116:117], v[8:9] op_sel:[0,0,1] op_sel_hi:[1,0,0]
	v_mov_b32_e32 v11, v5
	v_pk_add_f32 v[4:5], v[6:7], v[10:11]
	v_pk_add_f32 v[4:5], v[16:17], v[4:5] neg_lo:[0,1] neg_hi:[0,1]
	buffer_store_dword v4, off, s[0:3], 0 offset:232
	buffer_store_dword v5, off, s[0:3], 0 offset:236
	s_and_saveexec_b64 s[4:5], vcc
	s_cbranch_execz .LBB102_191
; %bb.190:
	buffer_load_dword v4, off, s[0:3], 0 offset:224
	buffer_load_dword v5, off, s[0:3], 0 offset:228
	s_waitcnt vmcnt(0)
	ds_write_b64 v1, v[4:5]
	buffer_store_dword v2, off, s[0:3], 0 offset:224
	buffer_store_dword v2, off, s[0:3], 0 offset:228
.LBB102_191:
	s_or_b64 exec, exec, s[4:5]
	s_waitcnt lgkmcnt(0)
	; wave barrier
	s_waitcnt lgkmcnt(0)
	ds_read2_b64 v[4:7], v2 offset0:69 offset1:70
	buffer_load_dword v16, off, s[0:3], 0 offset:224
	buffer_load_dword v17, off, s[0:3], 0 offset:228
	;; [unrolled: 1-line block ×16, first 2 shown]
	ds_read2_b64 v[8:11], v2 offset0:71 offset1:72
	buffer_load_dword v115, off, s[0:3], 0 offset:292
	buffer_load_dword v114, off, s[0:3], 0 offset:288
	;; [unrolled: 1-line block ×6, first 2 shown]
	v_cmp_lt_u32_e32 vcc, 27, v0
	s_waitcnt vmcnt(18) lgkmcnt(1)
	v_mul_f32_e32 v111, v4, v12
	v_fmac_f32_e32 v111, v5, v3
	v_mul_f32_e32 v5, v5, v12
	s_waitcnt vmcnt(16)
	v_mul_f32_e32 v113, v6, v14
	v_fma_f32 v110, v4, v3, -v5
	v_mul_f32_e32 v3, v7, v14
	v_fmac_f32_e32 v113, v7, v13
	v_fma_f32 v112, v6, v13, -v3
	ds_read2_b64 v[4:7], v2 offset0:73 offset1:74
	ds_read2_b64 v[12:15], v2 offset0:75 offset1:76
	;; [unrolled: 1-line block ×3, first 2 shown]
	v_pk_add_f32 v[2:3], v[110:111], 0 op_sel_hi:[1,0]
	s_waitcnt vmcnt(14)
	v_mov_b32_e32 v110, v101
	s_waitcnt lgkmcnt(3)
	v_pk_mul_f32 v[110:111], v[8:9], v[110:111] op_sel_hi:[1,0]
	v_pk_add_f32 v[2:3], v[2:3], v[112:113]
	v_pk_fma_f32 v[112:113], v[8:9], v[100:101], v[110:111] op_sel:[0,0,1] op_sel_hi:[1,1,0] neg_lo:[0,0,1] neg_hi:[0,0,1]
	v_pk_fma_f32 v[8:9], v[8:9], v[100:101], v[110:111] op_sel:[0,0,1] op_sel_hi:[1,0,0]
	s_waitcnt vmcnt(12)
	v_mov_b32_e32 v8, v103
	v_mov_b32_e32 v113, v9
	v_pk_mul_f32 v[8:9], v[10:11], v[8:9] op_sel_hi:[1,0]
	v_pk_fma_f32 v[100:101], v[10:11], v[102:103], v[8:9] op_sel:[0,0,1] op_sel_hi:[1,1,0] neg_lo:[0,0,1] neg_hi:[0,0,1]
	v_pk_fma_f32 v[8:9], v[10:11], v[102:103], v[8:9] op_sel:[0,0,1] op_sel_hi:[1,0,0]
	s_waitcnt vmcnt(10)
	v_mov_b32_e32 v8, v105
	v_mov_b32_e32 v101, v9
	s_waitcnt lgkmcnt(2)
	v_pk_mul_f32 v[8:9], v[4:5], v[8:9] op_sel_hi:[1,0]
	v_pk_fma_f32 v[10:11], v[4:5], v[104:105], v[8:9] op_sel:[0,0,1] op_sel_hi:[1,1,0] neg_lo:[0,0,1] neg_hi:[0,0,1]
	v_pk_fma_f32 v[4:5], v[4:5], v[104:105], v[8:9] op_sel:[0,0,1] op_sel_hi:[1,0,0]
	s_waitcnt vmcnt(8)
	v_mov_b32_e32 v4, v107
	v_mov_b32_e32 v11, v5
	v_pk_mul_f32 v[4:5], v[6:7], v[4:5] op_sel_hi:[1,0]
	v_pk_fma_f32 v[8:9], v[6:7], v[106:107], v[4:5] op_sel:[0,0,1] op_sel_hi:[1,1,0] neg_lo:[0,0,1] neg_hi:[0,0,1]
	v_pk_fma_f32 v[4:5], v[6:7], v[106:107], v[4:5] op_sel:[0,0,1] op_sel_hi:[1,0,0]
	s_waitcnt vmcnt(6)
	v_mov_b32_e32 v4, v109
	v_pk_add_f32 v[2:3], v[2:3], v[112:113]
	v_mov_b32_e32 v9, v5
	s_waitcnt lgkmcnt(1)
	v_pk_mul_f32 v[4:5], v[12:13], v[4:5] op_sel_hi:[1,0]
	v_pk_add_f32 v[2:3], v[2:3], v[100:101]
	v_pk_fma_f32 v[6:7], v[12:13], v[108:109], v[4:5] op_sel:[0,0,1] op_sel_hi:[1,1,0] neg_lo:[0,0,1] neg_hi:[0,0,1]
	v_pk_fma_f32 v[4:5], v[12:13], v[108:109], v[4:5] op_sel:[0,0,1] op_sel_hi:[1,0,0]
	v_pk_add_f32 v[2:3], v[2:3], v[10:11]
	s_waitcnt vmcnt(5)
	v_mov_b32_e32 v4, v115
	v_pk_add_f32 v[2:3], v[2:3], v[8:9]
	v_mov_b32_e32 v7, v5
	v_pk_mul_f32 v[4:5], v[14:15], v[4:5] op_sel_hi:[1,0]
	v_pk_add_f32 v[2:3], v[2:3], v[6:7]
	s_waitcnt vmcnt(4)
	v_pk_fma_f32 v[6:7], v[14:15], v[114:115], v[4:5] op_sel:[0,0,1] op_sel_hi:[1,1,0] neg_lo:[0,0,1] neg_hi:[0,0,1]
	v_pk_fma_f32 v[4:5], v[14:15], v[114:115], v[4:5] op_sel:[0,0,1] op_sel_hi:[1,0,0]
	s_waitcnt vmcnt(3)
	v_mov_b32_e32 v4, v117
	v_mov_b32_e32 v7, v5
	s_waitcnt lgkmcnt(0)
	v_pk_mul_f32 v[4:5], v[96:97], v[4:5] op_sel_hi:[1,0]
	v_pk_add_f32 v[2:3], v[2:3], v[6:7]
	s_waitcnt vmcnt(2)
	v_pk_fma_f32 v[6:7], v[96:97], v[116:117], v[4:5] op_sel:[0,0,1] op_sel_hi:[1,1,0] neg_lo:[0,0,1] neg_hi:[0,0,1]
	v_pk_fma_f32 v[4:5], v[96:97], v[116:117], v[4:5] op_sel:[0,0,1] op_sel_hi:[1,0,0]
	s_waitcnt vmcnt(1)
	v_mov_b32_e32 v4, v119
	v_mov_b32_e32 v7, v5
	v_pk_mul_f32 v[4:5], v[98:99], v[4:5] op_sel_hi:[1,0]
	v_pk_add_f32 v[2:3], v[2:3], v[6:7]
	s_waitcnt vmcnt(0)
	v_pk_fma_f32 v[6:7], v[98:99], v[118:119], v[4:5] op_sel:[0,0,1] op_sel_hi:[1,1,0] neg_lo:[0,0,1] neg_hi:[0,0,1]
	v_pk_fma_f32 v[4:5], v[98:99], v[118:119], v[4:5] op_sel:[0,0,1] op_sel_hi:[1,0,0]
	v_mov_b32_e32 v7, v5
	v_pk_add_f32 v[2:3], v[2:3], v[6:7]
	v_pk_add_f32 v[2:3], v[16:17], v[2:3] neg_lo:[0,1] neg_hi:[0,1]
	buffer_store_dword v2, off, s[0:3], 0 offset:224
	buffer_store_dword v3, off, s[0:3], 0 offset:228
	s_and_saveexec_b64 s[4:5], vcc
	s_cbranch_execz .LBB102_193
; %bb.192:
	buffer_load_dword v2, off, s[0:3], 0 offset:216
	buffer_load_dword v3, off, s[0:3], 0 offset:220
	v_mov_b32_e32 v4, 0
	buffer_store_dword v4, off, s[0:3], 0 offset:216
	buffer_store_dword v4, off, s[0:3], 0 offset:220
	s_waitcnt vmcnt(2)
	ds_write_b64 v1, v[2:3]
.LBB102_193:
	s_or_b64 exec, exec, s[4:5]
	v_mov_b32_e32 v4, 0
	s_waitcnt lgkmcnt(0)
	; wave barrier
	s_waitcnt lgkmcnt(0)
	ds_read_b128 v[6:9], v4 offset:544
	ds_read_b128 v[10:13], v4 offset:560
	ds_read_b128 v[14:17], v4 offset:576
	ds_read_b128 v[96:99], v4 offset:592
	buffer_load_dword v2, off, s[0:3], 0 offset:216
	buffer_load_dword v3, off, s[0:3], 0 offset:220
	;; [unrolled: 1-line block ×24, first 2 shown]
	v_cmp_lt_u32_e32 vcc, 26, v0
	s_waitcnt vmcnt(20) lgkmcnt(3)
	v_mul_f32_e32 v109, v6, v108
	v_fmac_f32_e32 v109, v7, v5
	v_mul_f32_e32 v7, v7, v108
	v_fma_f32 v5, v6, v5, -v7
	s_waitcnt vmcnt(18)
	v_mul_f32_e32 v111, v8, v112
	v_add_f32_e32 v108, 0, v5
	v_mul_f32_e32 v5, v9, v112
	v_add_f32_e32 v109, 0, v109
	v_fmac_f32_e32 v111, v9, v110
	v_fma_f32 v110, v8, v110, -v5
	s_waitcnt vmcnt(16) lgkmcnt(2)
	v_mul_f32_e32 v113, v10, v123
	v_mul_f32_e32 v5, v11, v123
	v_pk_add_f32 v[108:109], v[108:109], v[110:111]
	s_waitcnt vmcnt(14)
	v_mov_b32_e32 v110, v101
	v_fmac_f32_e32 v113, v11, v122
	v_fma_f32 v112, v10, v122, -v5
	v_pk_mul_f32 v[110:111], v[12:13], v[110:111] op_sel_hi:[1,0]
	v_pk_add_f32 v[108:109], v[108:109], v[112:113]
	v_pk_fma_f32 v[112:113], v[12:13], v[100:101], v[110:111] op_sel:[0,0,1] op_sel_hi:[1,1,0] neg_lo:[0,0,1] neg_hi:[0,0,1]
	v_pk_fma_f32 v[12:13], v[12:13], v[100:101], v[110:111] op_sel:[0,0,1] op_sel_hi:[1,0,0]
	s_waitcnt vmcnt(12)
	v_mov_b32_e32 v100, v103
	v_mov_b32_e32 v113, v13
	s_waitcnt lgkmcnt(1)
	v_pk_mul_f32 v[100:101], v[14:15], v[100:101] op_sel_hi:[1,0]
	v_pk_add_f32 v[12:13], v[108:109], v[112:113]
	v_pk_fma_f32 v[108:109], v[14:15], v[102:103], v[100:101] op_sel:[0,0,1] op_sel_hi:[1,1,0] neg_lo:[0,0,1] neg_hi:[0,0,1]
	v_pk_fma_f32 v[14:15], v[14:15], v[102:103], v[100:101] op_sel:[0,0,1] op_sel_hi:[1,0,0]
	s_waitcnt vmcnt(10)
	v_mov_b32_e32 v14, v105
	v_mov_b32_e32 v109, v15
	v_pk_mul_f32 v[14:15], v[16:17], v[14:15] op_sel_hi:[1,0]
	v_pk_fma_f32 v[100:101], v[16:17], v[104:105], v[14:15] op_sel:[0,0,1] op_sel_hi:[1,1,0] neg_lo:[0,0,1] neg_hi:[0,0,1]
	v_pk_fma_f32 v[14:15], v[16:17], v[104:105], v[14:15] op_sel:[0,0,1] op_sel_hi:[1,0,0]
	s_waitcnt vmcnt(8)
	v_mov_b32_e32 v14, v107
	v_mov_b32_e32 v101, v15
	s_waitcnt lgkmcnt(0)
	v_pk_mul_f32 v[14:15], v[96:97], v[14:15] op_sel_hi:[1,0]
	v_pk_fma_f32 v[16:17], v[96:97], v[106:107], v[14:15] op_sel:[0,0,1] op_sel_hi:[1,1,0] neg_lo:[0,0,1] neg_hi:[0,0,1]
	v_pk_fma_f32 v[14:15], v[96:97], v[106:107], v[14:15] op_sel:[0,0,1] op_sel_hi:[1,0,0]
	ds_read_b128 v[6:9], v4 offset:608
	ds_read_b64 v[10:11], v4 offset:624
	v_pk_add_f32 v[12:13], v[12:13], v[108:109]
	s_waitcnt vmcnt(7)
	v_mov_b32_e32 v14, v115
	v_pk_add_f32 v[12:13], v[12:13], v[100:101]
	v_mov_b32_e32 v17, v15
	v_pk_mul_f32 v[14:15], v[98:99], v[14:15] op_sel_hi:[1,0]
	v_pk_add_f32 v[12:13], v[12:13], v[16:17]
	s_waitcnt vmcnt(6)
	v_pk_fma_f32 v[16:17], v[98:99], v[114:115], v[14:15] op_sel:[0,0,1] op_sel_hi:[1,1,0] neg_lo:[0,0,1] neg_hi:[0,0,1]
	v_pk_fma_f32 v[14:15], v[98:99], v[114:115], v[14:15] op_sel:[0,0,1] op_sel_hi:[1,0,0]
	s_waitcnt vmcnt(5)
	v_mov_b32_e32 v14, v117
	v_mov_b32_e32 v17, v15
	s_waitcnt lgkmcnt(1)
	v_pk_mul_f32 v[14:15], v[6:7], v[14:15] op_sel_hi:[1,0]
	v_pk_add_f32 v[12:13], v[12:13], v[16:17]
	s_waitcnt vmcnt(4)
	v_pk_fma_f32 v[16:17], v[6:7], v[116:117], v[14:15] op_sel:[0,0,1] op_sel_hi:[1,1,0] neg_lo:[0,0,1] neg_hi:[0,0,1]
	v_pk_fma_f32 v[6:7], v[6:7], v[116:117], v[14:15] op_sel:[0,0,1] op_sel_hi:[1,0,0]
	v_mov_b32_e32 v17, v7
	v_pk_add_f32 v[6:7], v[12:13], v[16:17]
	s_waitcnt vmcnt(3)
	v_mov_b32_e32 v12, v119
	v_pk_mul_f32 v[12:13], v[8:9], v[12:13] op_sel_hi:[1,0]
	s_waitcnt vmcnt(2)
	v_pk_fma_f32 v[14:15], v[8:9], v[118:119], v[12:13] op_sel:[0,0,1] op_sel_hi:[1,1,0] neg_lo:[0,0,1] neg_hi:[0,0,1]
	v_pk_fma_f32 v[8:9], v[8:9], v[118:119], v[12:13] op_sel:[0,0,1] op_sel_hi:[1,0,0]
	s_waitcnt vmcnt(1)
	v_mov_b32_e32 v8, v121
	v_mov_b32_e32 v15, v9
	s_waitcnt lgkmcnt(0)
	v_pk_mul_f32 v[8:9], v[10:11], v[8:9] op_sel_hi:[1,0]
	s_waitcnt vmcnt(0)
	v_pk_fma_f32 v[12:13], v[10:11], v[120:121], v[8:9] op_sel:[0,0,1] op_sel_hi:[1,1,0] neg_lo:[0,0,1] neg_hi:[0,0,1]
	v_pk_fma_f32 v[8:9], v[10:11], v[120:121], v[8:9] op_sel:[0,0,1] op_sel_hi:[1,0,0]
	v_pk_add_f32 v[6:7], v[6:7], v[14:15]
	v_mov_b32_e32 v13, v9
	v_pk_add_f32 v[6:7], v[6:7], v[12:13]
	v_pk_add_f32 v[2:3], v[2:3], v[6:7] neg_lo:[0,1] neg_hi:[0,1]
	buffer_store_dword v3, off, s[0:3], 0 offset:220
	buffer_store_dword v2, off, s[0:3], 0 offset:216
	s_and_saveexec_b64 s[4:5], vcc
	s_cbranch_execz .LBB102_195
; %bb.194:
	buffer_load_dword v2, off, s[0:3], 0 offset:208
	buffer_load_dword v3, off, s[0:3], 0 offset:212
	s_waitcnt vmcnt(0)
	ds_write_b64 v1, v[2:3]
	buffer_store_dword v4, off, s[0:3], 0 offset:208
	buffer_store_dword v4, off, s[0:3], 0 offset:212
.LBB102_195:
	s_or_b64 exec, exec, s[4:5]
	s_waitcnt lgkmcnt(0)
	; wave barrier
	s_waitcnt lgkmcnt(0)
	ds_read2_b64 v[6:9], v4 offset0:67 offset1:68
	buffer_load_dword v2, off, s[0:3], 0 offset:208
	buffer_load_dword v3, off, s[0:3], 0 offset:212
	;; [unrolled: 1-line block ×16, first 2 shown]
	v_cmp_lt_u32_e32 vcc, 25, v0
	ds_read2_b64 v[14:17], v4 offset0:71 offset1:72
	s_waitcnt vmcnt(12) lgkmcnt(1)
	v_mul_f32_e32 v10, v6, v96
	v_fmac_f32_e32 v10, v7, v5
	s_waitcnt vmcnt(10)
	v_mul_f32_e32 v11, v8, v98
	v_add_f32_e32 v10, 0, v10
	v_fmac_f32_e32 v11, v9, v97
	v_add_f32_e32 v107, v10, v11
	ds_read2_b64 v[10:13], v4 offset0:69 offset1:70
	buffer_load_dword v113, off, s[0:3], 0 offset:276
	buffer_load_dword v112, off, s[0:3], 0 offset:272
	;; [unrolled: 1-line block ×10, first 2 shown]
	v_mul_f32_e32 v7, v7, v96
	v_fma_f32 v5, v6, v5, -v7
	v_mul_f32_e32 v6, v9, v98
	v_add_f32_e32 v5, 0, v5
	v_fma_f32 v6, v8, v97, -v6
	s_waitcnt vmcnt(18) lgkmcnt(0)
	v_mul_f32_e32 v109, v10, v108
	v_add_f32_e32 v106, v5, v6
	v_mul_f32_e32 v5, v11, v108
	v_fmac_f32_e32 v109, v11, v99
	s_waitcnt vmcnt(16)
	v_mul_f32_e32 v111, v12, v122
	v_fma_f32 v108, v10, v99, -v5
	v_mul_f32_e32 v5, v13, v122
	v_fmac_f32_e32 v111, v13, v110
	v_fma_f32 v110, v12, v110, -v5
	ds_read2_b64 v[6:9], v4 offset0:73 offset1:74
	ds_read2_b64 v[10:13], v4 offset0:75 offset1:76
	;; [unrolled: 1-line block ×3, first 2 shown]
	v_pk_add_f32 v[4:5], v[106:107], v[108:109]
	s_waitcnt vmcnt(14)
	v_mov_b32_e32 v106, v101
	v_pk_mul_f32 v[106:107], v[14:15], v[106:107] op_sel_hi:[1,0]
	v_pk_fma_f32 v[108:109], v[14:15], v[100:101], v[106:107] op_sel:[0,0,1] op_sel_hi:[1,1,0] neg_lo:[0,0,1] neg_hi:[0,0,1]
	v_pk_fma_f32 v[14:15], v[14:15], v[100:101], v[106:107] op_sel:[0,0,1] op_sel_hi:[1,0,0]
	s_waitcnt vmcnt(12)
	v_mov_b32_e32 v14, v103
	v_mov_b32_e32 v109, v15
	v_pk_mul_f32 v[14:15], v[16:17], v[14:15] op_sel_hi:[1,0]
	v_pk_fma_f32 v[100:101], v[16:17], v[102:103], v[14:15] op_sel:[0,0,1] op_sel_hi:[1,1,0] neg_lo:[0,0,1] neg_hi:[0,0,1]
	v_pk_fma_f32 v[14:15], v[16:17], v[102:103], v[14:15] op_sel:[0,0,1] op_sel_hi:[1,0,0]
	s_waitcnt vmcnt(10)
	v_mov_b32_e32 v14, v105
	v_mov_b32_e32 v101, v15
	s_waitcnt lgkmcnt(2)
	v_pk_mul_f32 v[14:15], v[6:7], v[14:15] op_sel_hi:[1,0]
	v_pk_fma_f32 v[16:17], v[6:7], v[104:105], v[14:15] op_sel:[0,0,1] op_sel_hi:[1,1,0] neg_lo:[0,0,1] neg_hi:[0,0,1]
	v_pk_fma_f32 v[6:7], v[6:7], v[104:105], v[14:15] op_sel:[0,0,1] op_sel_hi:[1,0,0]
	v_mov_b32_e32 v17, v7
	v_pk_add_f32 v[4:5], v[4:5], v[110:111]
	v_pk_add_f32 v[4:5], v[4:5], v[108:109]
	;; [unrolled: 1-line block ×4, first 2 shown]
	s_waitcnt vmcnt(9)
	v_mov_b32_e32 v6, v113
	v_pk_mul_f32 v[6:7], v[8:9], v[6:7] op_sel_hi:[1,0]
	s_waitcnt vmcnt(8)
	v_pk_fma_f32 v[14:15], v[8:9], v[112:113], v[6:7] op_sel:[0,0,1] op_sel_hi:[1,1,0] neg_lo:[0,0,1] neg_hi:[0,0,1]
	v_pk_fma_f32 v[6:7], v[8:9], v[112:113], v[6:7] op_sel:[0,0,1] op_sel_hi:[1,0,0]
	s_waitcnt vmcnt(7)
	v_mov_b32_e32 v6, v115
	v_mov_b32_e32 v15, v7
	s_waitcnt lgkmcnt(1)
	v_pk_mul_f32 v[6:7], v[10:11], v[6:7] op_sel_hi:[1,0]
	s_waitcnt vmcnt(6)
	v_pk_fma_f32 v[8:9], v[10:11], v[114:115], v[6:7] op_sel:[0,0,1] op_sel_hi:[1,1,0] neg_lo:[0,0,1] neg_hi:[0,0,1]
	v_pk_fma_f32 v[6:7], v[10:11], v[114:115], v[6:7] op_sel:[0,0,1] op_sel_hi:[1,0,0]
	s_waitcnt vmcnt(5)
	v_mov_b32_e32 v6, v117
	v_pk_add_f32 v[4:5], v[4:5], v[14:15]
	v_mov_b32_e32 v9, v7
	v_pk_mul_f32 v[6:7], v[12:13], v[6:7] op_sel_hi:[1,0]
	v_pk_add_f32 v[4:5], v[4:5], v[8:9]
	s_waitcnt vmcnt(4)
	v_pk_fma_f32 v[8:9], v[12:13], v[116:117], v[6:7] op_sel:[0,0,1] op_sel_hi:[1,1,0] neg_lo:[0,0,1] neg_hi:[0,0,1]
	v_pk_fma_f32 v[6:7], v[12:13], v[116:117], v[6:7] op_sel:[0,0,1] op_sel_hi:[1,0,0]
	s_waitcnt vmcnt(3)
	v_mov_b32_e32 v6, v119
	v_mov_b32_e32 v9, v7
	s_waitcnt lgkmcnt(0)
	v_pk_mul_f32 v[6:7], v[96:97], v[6:7] op_sel_hi:[1,0]
	v_pk_add_f32 v[4:5], v[4:5], v[8:9]
	s_waitcnt vmcnt(2)
	v_pk_fma_f32 v[8:9], v[96:97], v[118:119], v[6:7] op_sel:[0,0,1] op_sel_hi:[1,1,0] neg_lo:[0,0,1] neg_hi:[0,0,1]
	v_pk_fma_f32 v[6:7], v[96:97], v[118:119], v[6:7] op_sel:[0,0,1] op_sel_hi:[1,0,0]
	s_waitcnt vmcnt(1)
	v_mov_b32_e32 v6, v121
	v_mov_b32_e32 v9, v7
	v_pk_mul_f32 v[6:7], v[98:99], v[6:7] op_sel_hi:[1,0]
	v_pk_add_f32 v[4:5], v[4:5], v[8:9]
	s_waitcnt vmcnt(0)
	v_pk_fma_f32 v[8:9], v[98:99], v[120:121], v[6:7] op_sel:[0,0,1] op_sel_hi:[1,1,0] neg_lo:[0,0,1] neg_hi:[0,0,1]
	v_pk_fma_f32 v[6:7], v[98:99], v[120:121], v[6:7] op_sel:[0,0,1] op_sel_hi:[1,0,0]
	v_mov_b32_e32 v9, v7
	v_pk_add_f32 v[4:5], v[4:5], v[8:9]
	v_pk_add_f32 v[2:3], v[2:3], v[4:5] neg_lo:[0,1] neg_hi:[0,1]
	buffer_store_dword v3, off, s[0:3], 0 offset:212
	buffer_store_dword v2, off, s[0:3], 0 offset:208
	s_and_saveexec_b64 s[4:5], vcc
	s_cbranch_execz .LBB102_197
; %bb.196:
	buffer_load_dword v2, off, s[0:3], 0 offset:200
	buffer_load_dword v3, off, s[0:3], 0 offset:204
	v_mov_b32_e32 v4, 0
	buffer_store_dword v4, off, s[0:3], 0 offset:200
	buffer_store_dword v4, off, s[0:3], 0 offset:204
	s_waitcnt vmcnt(2)
	ds_write_b64 v1, v[2:3]
.LBB102_197:
	s_or_b64 exec, exec, s[4:5]
	s_waitcnt lgkmcnt(0)
	; wave barrier
	s_waitcnt lgkmcnt(0)
	buffer_load_dword v3, off, s[0:3], 0 offset:212
	buffer_load_dword v126, off, s[0:3], 0 offset:220
	;; [unrolled: 1-line block ×28, first 2 shown]
	v_mov_b32_e32 v2, 0
	ds_read_b128 v[4:7], v2 offset:528
	ds_read_b128 v[8:11], v2 offset:544
	;; [unrolled: 1-line block ×6, first 2 shown]
	ds_read_b64 v[124:125], v2 offset:624
	v_cmp_lt_u32_e32 vcc, 24, v0
	s_waitcnt vmcnt(27) lgkmcnt(6)
	v_mul_f32_e32 v141, v4, v3
	v_mul_f32_e32 v3, v5, v3
	s_waitcnt vmcnt(26)
	v_mul_f32_e32 v142, v6, v126
	s_waitcnt vmcnt(24) lgkmcnt(5)
	v_mul_f32_e32 v127, v10, v130
	s_waitcnt vmcnt(23) lgkmcnt(4)
	v_mul_f32_e32 v129, v12, v131
	v_mul_f32_e32 v144, v11, v130
	;; [unrolled: 1-line block ×3, first 2 shown]
	s_waitcnt vmcnt(22)
	v_mov_b32_e32 v130, v17
	v_mul_f32_e32 v143, v8, v128
	v_mul_f32_e32 v126, v7, v126
	;; [unrolled: 1-line block ×3, first 2 shown]
	s_waitcnt vmcnt(17)
	v_fmac_f32_e32 v141, v5, v133
	v_fma_f32 v3, v4, v133, -v3
	v_pk_mul_f32 v[4:5], v[14:15], v[130:131] op_sel_hi:[1,0]
	s_waitcnt vmcnt(16)
	v_fmac_f32_e32 v142, v7, v135
	s_waitcnt vmcnt(13)
	v_fmac_f32_e32 v129, v13, v140
	v_fma_f32 v133, v6, v135, -v126
	v_fma_f32 v135, v8, v137, -v128
	;; [unrolled: 1-line block ×3, first 2 shown]
	v_add_f32_e32 v130, 0, v141
	v_add_f32_e32 v3, 0, v3
	s_waitcnt vmcnt(12)
	v_pk_fma_f32 v[12:13], v[14:15], v[16:17], v[4:5] op_sel:[0,0,1] op_sel_hi:[1,1,0] neg_lo:[0,0,1] neg_hi:[0,0,1]
	v_pk_fma_f32 v[4:5], v[14:15], v[16:17], v[4:5] op_sel:[0,0,1] op_sel_hi:[1,0,0]
	v_fmac_f32_e32 v143, v9, v137
	v_add_f32_e32 v4, v130, v142
	v_add_f32_e32 v3, v3, v133
	v_mov_b32_e32 v132, v109
	v_fmac_f32_e32 v127, v11, v139
	v_fma_f32 v126, v10, v139, -v144
	v_mov_b32_e32 v13, v5
	v_add_f32_e32 v5, v4, v143
	v_add_f32_e32 v4, v3, v135
	v_mov_b32_e32 v134, v111
	s_waitcnt lgkmcnt(3)
	v_pk_mul_f32 v[6:7], v[96:97], v[132:133] op_sel_hi:[1,0]
	v_pk_add_f32 v[4:5], v[4:5], v[126:127]
	v_mov_b32_e32 v136, v113
	v_mov_b32_e32 v138, v115
	v_pk_mul_f32 v[8:9], v[98:99], v[134:135] op_sel_hi:[1,0]
	s_waitcnt vmcnt(11)
	v_pk_fma_f32 v[14:15], v[96:97], v[108:109], v[6:7] op_sel:[0,0,1] op_sel_hi:[1,1,0] neg_lo:[0,0,1] neg_hi:[0,0,1]
	v_pk_fma_f32 v[6:7], v[96:97], v[108:109], v[6:7] op_sel:[0,0,1] op_sel_hi:[1,0,0]
	v_pk_add_f32 v[4:5], v[4:5], v[128:129]
	s_waitcnt lgkmcnt(2)
	v_pk_mul_f32 v[10:11], v[100:101], v[136:137] op_sel_hi:[1,0]
	s_waitcnt vmcnt(7)
	v_pk_fma_f32 v[16:17], v[98:99], v[110:111], v[8:9] op_sel:[0,0,1] op_sel_hi:[1,1,0] neg_lo:[0,0,1] neg_hi:[0,0,1]
	v_pk_fma_f32 v[8:9], v[98:99], v[110:111], v[8:9] op_sel:[0,0,1] op_sel_hi:[1,0,0]
	v_mov_b32_e32 v15, v7
	v_pk_add_f32 v[4:5], v[4:5], v[12:13]
	v_pk_mul_f32 v[6:7], v[102:103], v[138:139] op_sel_hi:[1,0]
	v_pk_fma_f32 v[96:97], v[100:101], v[112:113], v[10:11] op_sel:[0,0,1] op_sel_hi:[1,1,0] neg_lo:[0,0,1] neg_hi:[0,0,1]
	v_pk_fma_f32 v[10:11], v[100:101], v[112:113], v[10:11] op_sel:[0,0,1] op_sel_hi:[1,0,0]
	v_mov_b32_e32 v17, v9
	v_pk_add_f32 v[4:5], v[4:5], v[14:15]
	v_pk_fma_f32 v[8:9], v[102:103], v[114:115], v[6:7] op_sel:[0,0,1] op_sel_hi:[1,1,0] neg_lo:[0,0,1] neg_hi:[0,0,1]
	v_pk_fma_f32 v[6:7], v[102:103], v[114:115], v[6:7] op_sel:[0,0,1] op_sel_hi:[1,0,0]
	v_mov_b32_e32 v97, v11
	v_pk_add_f32 v[4:5], v[4:5], v[16:17]
	s_waitcnt vmcnt(6)
	v_mov_b32_e32 v6, v117
	v_pk_add_f32 v[4:5], v[4:5], v[96:97]
	v_mov_b32_e32 v9, v7
	s_waitcnt lgkmcnt(1)
	v_pk_mul_f32 v[6:7], v[104:105], v[6:7] op_sel_hi:[1,0]
	v_pk_add_f32 v[4:5], v[4:5], v[8:9]
	v_pk_fma_f32 v[8:9], v[104:105], v[116:117], v[6:7] op_sel:[0,0,1] op_sel_hi:[1,1,0] neg_lo:[0,0,1] neg_hi:[0,0,1]
	v_pk_fma_f32 v[6:7], v[104:105], v[116:117], v[6:7] op_sel:[0,0,1] op_sel_hi:[1,0,0]
	s_waitcnt vmcnt(5)
	v_mov_b32_e32 v6, v119
	v_mov_b32_e32 v9, v7
	v_pk_mul_f32 v[6:7], v[106:107], v[6:7] op_sel_hi:[1,0]
	v_pk_add_f32 v[4:5], v[4:5], v[8:9]
	s_waitcnt vmcnt(3)
	v_pk_fma_f32 v[8:9], v[106:107], v[118:119], v[6:7] op_sel:[0,0,1] op_sel_hi:[1,1,0] neg_lo:[0,0,1] neg_hi:[0,0,1]
	v_pk_fma_f32 v[6:7], v[106:107], v[118:119], v[6:7] op_sel:[0,0,1] op_sel_hi:[1,0,0]
	s_waitcnt vmcnt(2)
	v_mov_b32_e32 v6, v121
	v_mov_b32_e32 v9, v7
	s_waitcnt lgkmcnt(0)
	v_pk_mul_f32 v[6:7], v[124:125], v[6:7] op_sel_hi:[1,0]
	v_pk_add_f32 v[4:5], v[4:5], v[8:9]
	v_pk_fma_f32 v[8:9], v[124:125], v[120:121], v[6:7] op_sel:[0,0,1] op_sel_hi:[1,1,0] neg_lo:[0,0,1] neg_hi:[0,0,1]
	v_pk_fma_f32 v[6:7], v[124:125], v[120:121], v[6:7] op_sel:[0,0,1] op_sel_hi:[1,0,0]
	v_mov_b32_e32 v9, v7
	v_pk_add_f32 v[4:5], v[4:5], v[8:9]
	s_waitcnt vmcnt(0)
	v_pk_add_f32 v[4:5], v[122:123], v[4:5] neg_lo:[0,1] neg_hi:[0,1]
	buffer_store_dword v5, off, s[0:3], 0 offset:204
	buffer_store_dword v4, off, s[0:3], 0 offset:200
	s_and_saveexec_b64 s[4:5], vcc
	s_cbranch_execz .LBB102_199
; %bb.198:
	buffer_load_dword v4, off, s[0:3], 0 offset:192
	buffer_load_dword v5, off, s[0:3], 0 offset:196
	s_waitcnt vmcnt(0)
	ds_write_b64 v1, v[4:5]
	buffer_store_dword v2, off, s[0:3], 0 offset:192
	buffer_store_dword v2, off, s[0:3], 0 offset:196
.LBB102_199:
	s_or_b64 exec, exec, s[4:5]
	s_waitcnt lgkmcnt(0)
	; wave barrier
	s_waitcnt lgkmcnt(0)
	buffer_load_dword v128, off, s[0:3], 0 offset:204
	buffer_load_dword v130, off, s[0:3], 0 offset:212
	buffer_load_dword v131, off, s[0:3], 0 offset:220
	buffer_load_dword v132, off, s[0:3], 0 offset:228
	buffer_load_dword v133, off, s[0:3], 0 offset:236
	buffer_load_dword v134, off, s[0:3], 0 offset:244
	buffer_load_dword v17, off, s[0:3], 0 offset:252
	buffer_load_dword v113, off, s[0:3], 0 offset:260
	buffer_load_dword v115, off, s[0:3], 0 offset:268
	buffer_load_dword v135, off, s[0:3], 0 offset:200
	buffer_load_dword v136, off, s[0:3], 0 offset:208
	buffer_load_dword v137, off, s[0:3], 0 offset:216
	buffer_load_dword v138, off, s[0:3], 0 offset:224
	buffer_load_dword v139, off, s[0:3], 0 offset:232
	buffer_load_dword v140, off, s[0:3], 0 offset:240
	buffer_load_dword v16, off, s[0:3], 0 offset:248
	buffer_load_dword v116, off, s[0:3], 0 offset:280
	buffer_load_dword v118, off, s[0:3], 0 offset:272
	buffer_load_dword v114, off, s[0:3], 0 offset:264
	buffer_load_dword v112, off, s[0:3], 0 offset:256
	buffer_load_dword v119, off, s[0:3], 0 offset:276
	buffer_load_dword v117, off, s[0:3], 0 offset:284
	buffer_load_dword v121, off, s[0:3], 0 offset:292
	buffer_load_dword v122, off, s[0:3], 0 offset:304
	buffer_load_dword v124, off, s[0:3], 0 offset:296
	buffer_load_dword v120, off, s[0:3], 0 offset:288
	buffer_load_dword v125, off, s[0:3], 0 offset:300
	buffer_load_dword v126, off, s[0:3], 0 offset:192
	buffer_load_dword v127, off, s[0:3], 0 offset:196
	buffer_load_dword v123, off, s[0:3], 0 offset:308
	ds_read2_b64 v[4:7], v2 offset0:65 offset1:66
	ds_read2_b64 v[8:11], v2 offset0:67 offset1:68
	;; [unrolled: 1-line block ×7, first 2 shown]
	v_cmp_lt_u32_e32 vcc, 23, v0
	s_waitcnt vmcnt(29) lgkmcnt(6)
	v_mul_f32_e32 v141, v4, v128
	s_waitcnt vmcnt(28)
	v_mul_f32_e32 v142, v6, v130
	s_waitcnt vmcnt(27) lgkmcnt(5)
	v_mul_f32_e32 v143, v8, v131
	v_mul_f32_e32 v131, v9, v131
	s_waitcnt vmcnt(26)
	v_mul_f32_e32 v144, v10, v132
	s_waitcnt vmcnt(25) lgkmcnt(4)
	v_mul_f32_e32 v3, v12, v133
	v_mul_f32_e32 v2, v5, v128
	;; [unrolled: 1-line block ×5, first 2 shown]
	s_waitcnt vmcnt(23)
	v_mov_b32_e32 v130, v17
	s_waitcnt vmcnt(22)
	v_mov_b32_e32 v132, v113
	s_waitcnt vmcnt(18)
	v_fma_f32 v131, v8, v137, -v131
	v_fmac_f32_e32 v141, v5, v135
	v_fmac_f32_e32 v142, v7, v136
	s_waitcnt vmcnt(17)
	v_fmac_f32_e32 v144, v11, v138
	v_fma_f32 v11, v4, v135, -v2
	v_fma_f32 v135, v6, v136, -v128
	s_waitcnt lgkmcnt(3)
	v_pk_mul_f32 v[4:5], v[96:97], v[130:131] op_sel_hi:[1,0]
	v_pk_mul_f32 v[6:7], v[98:99], v[132:133] op_sel_hi:[1,0]
	s_waitcnt vmcnt(16)
	v_fmac_f32_e32 v3, v13, v139
	v_fma_f32 v136, v10, v138, -v145
	v_fma_f32 v2, v12, v139, -v133
	v_add_f32_e32 v130, 0, v141
	v_add_f32_e32 v132, 0, v11
	s_waitcnt vmcnt(14)
	v_pk_fma_f32 v[10:11], v[96:97], v[16:17], v[4:5] op_sel:[0,0,1] op_sel_hi:[1,1,0] neg_lo:[0,0,1] neg_hi:[0,0,1]
	v_pk_fma_f32 v[4:5], v[96:97], v[16:17], v[4:5] op_sel:[0,0,1] op_sel_hi:[1,0,0]
	s_waitcnt vmcnt(10)
	v_pk_fma_f32 v[12:13], v[98:99], v[112:113], v[6:7] op_sel:[0,0,1] op_sel_hi:[1,1,0] neg_lo:[0,0,1] neg_hi:[0,0,1]
	v_pk_fma_f32 v[6:7], v[98:99], v[112:113], v[6:7] op_sel:[0,0,1] op_sel_hi:[1,0,0]
	v_fmac_f32_e32 v143, v9, v137
	v_add_f32_e32 v4, v130, v142
	v_add_f32_e32 v6, v132, v135
	;; [unrolled: 1-line block ×4, first 2 shown]
	v_mul_f32_e32 v129, v14, v134
	v_mul_f32_e32 v146, v15, v134
	v_mov_b32_e32 v11, v5
	v_add_f32_e32 v5, v4, v144
	v_add_f32_e32 v4, v6, v136
	v_mov_b32_e32 v134, v115
	v_fmac_f32_e32 v129, v15, v140
	v_fma_f32 v128, v14, v140, -v146
	v_pk_add_f32 v[2:3], v[4:5], v[2:3]
	s_waitcnt vmcnt(9)
	v_mov_b32_e32 v4, v119
	s_waitcnt lgkmcnt(2)
	v_pk_mul_f32 v[8:9], v[100:101], v[134:135] op_sel_hi:[1,0]
	v_pk_add_f32 v[2:3], v[2:3], v[128:129]
	v_pk_mul_f32 v[4:5], v[102:103], v[4:5] op_sel_hi:[1,0]
	v_pk_fma_f32 v[14:15], v[100:101], v[114:115], v[8:9] op_sel:[0,0,1] op_sel_hi:[1,1,0] neg_lo:[0,0,1] neg_hi:[0,0,1]
	v_pk_fma_f32 v[8:9], v[100:101], v[114:115], v[8:9] op_sel:[0,0,1] op_sel_hi:[1,0,0]
	v_mov_b32_e32 v13, v7
	v_pk_add_f32 v[2:3], v[2:3], v[10:11]
	v_pk_fma_f32 v[6:7], v[102:103], v[118:119], v[4:5] op_sel:[0,0,1] op_sel_hi:[1,1,0] neg_lo:[0,0,1] neg_hi:[0,0,1]
	v_pk_fma_f32 v[4:5], v[102:103], v[118:119], v[4:5] op_sel:[0,0,1] op_sel_hi:[1,0,0]
	v_mov_b32_e32 v15, v9
	v_pk_add_f32 v[2:3], v[2:3], v[12:13]
	s_waitcnt vmcnt(8)
	v_mov_b32_e32 v4, v117
	v_pk_add_f32 v[2:3], v[2:3], v[14:15]
	v_mov_b32_e32 v7, v5
	s_waitcnt lgkmcnt(1)
	v_pk_mul_f32 v[4:5], v[104:105], v[4:5] op_sel_hi:[1,0]
	v_pk_add_f32 v[2:3], v[2:3], v[6:7]
	v_pk_fma_f32 v[6:7], v[104:105], v[116:117], v[4:5] op_sel:[0,0,1] op_sel_hi:[1,1,0] neg_lo:[0,0,1] neg_hi:[0,0,1]
	v_pk_fma_f32 v[4:5], v[104:105], v[116:117], v[4:5] op_sel:[0,0,1] op_sel_hi:[1,0,0]
	s_waitcnt vmcnt(7)
	v_mov_b32_e32 v4, v121
	v_mov_b32_e32 v7, v5
	v_pk_mul_f32 v[4:5], v[106:107], v[4:5] op_sel_hi:[1,0]
	v_pk_add_f32 v[2:3], v[2:3], v[6:7]
	s_waitcnt vmcnt(4)
	v_pk_fma_f32 v[6:7], v[106:107], v[120:121], v[4:5] op_sel:[0,0,1] op_sel_hi:[1,1,0] neg_lo:[0,0,1] neg_hi:[0,0,1]
	v_pk_fma_f32 v[4:5], v[106:107], v[120:121], v[4:5] op_sel:[0,0,1] op_sel_hi:[1,0,0]
	s_waitcnt vmcnt(3)
	v_mov_b32_e32 v4, v125
	v_mov_b32_e32 v7, v5
	s_waitcnt lgkmcnt(0)
	v_pk_mul_f32 v[4:5], v[108:109], v[4:5] op_sel_hi:[1,0]
	v_pk_add_f32 v[2:3], v[2:3], v[6:7]
	v_pk_fma_f32 v[6:7], v[108:109], v[124:125], v[4:5] op_sel:[0,0,1] op_sel_hi:[1,1,0] neg_lo:[0,0,1] neg_hi:[0,0,1]
	v_pk_fma_f32 v[4:5], v[108:109], v[124:125], v[4:5] op_sel:[0,0,1] op_sel_hi:[1,0,0]
	s_waitcnt vmcnt(0)
	v_mov_b32_e32 v4, v123
	v_mov_b32_e32 v7, v5
	v_pk_mul_f32 v[4:5], v[110:111], v[4:5] op_sel_hi:[1,0]
	v_pk_add_f32 v[2:3], v[2:3], v[6:7]
	v_pk_fma_f32 v[6:7], v[110:111], v[122:123], v[4:5] op_sel:[0,0,1] op_sel_hi:[1,1,0] neg_lo:[0,0,1] neg_hi:[0,0,1]
	v_pk_fma_f32 v[4:5], v[110:111], v[122:123], v[4:5] op_sel:[0,0,1] op_sel_hi:[1,0,0]
	v_mov_b32_e32 v7, v5
	v_pk_add_f32 v[2:3], v[2:3], v[6:7]
	v_pk_add_f32 v[2:3], v[126:127], v[2:3] neg_lo:[0,1] neg_hi:[0,1]
	buffer_store_dword v3, off, s[0:3], 0 offset:196
	buffer_store_dword v2, off, s[0:3], 0 offset:192
	s_and_saveexec_b64 s[4:5], vcc
	s_cbranch_execz .LBB102_201
; %bb.200:
	buffer_load_dword v2, off, s[0:3], 0 offset:184
	buffer_load_dword v3, off, s[0:3], 0 offset:188
	v_mov_b32_e32 v4, 0
	buffer_store_dword v4, off, s[0:3], 0 offset:184
	buffer_store_dword v4, off, s[0:3], 0 offset:188
	s_waitcnt vmcnt(2)
	ds_write_b64 v1, v[2:3]
.LBB102_201:
	s_or_b64 exec, exec, s[4:5]
	s_waitcnt lgkmcnt(0)
	; wave barrier
	s_waitcnt lgkmcnt(0)
	buffer_load_dword v3, off, s[0:3], 0 offset:196
	buffer_load_dword v130, off, s[0:3], 0 offset:204
	;; [unrolled: 1-line block ×32, first 2 shown]
	v_mov_b32_e32 v2, 0
	ds_read_b128 v[4:7], v2 offset:512
	ds_read_b128 v[8:11], v2 offset:528
	;; [unrolled: 1-line block ×7, first 2 shown]
	ds_read_b64 v[128:129], v2 offset:624
	v_cmp_lt_u32_e32 vcc, 22, v0
	s_waitcnt vmcnt(31) lgkmcnt(7)
	v_mul_f32_e32 v145, v4, v3
	v_mul_f32_e32 v3, v5, v3
	s_waitcnt vmcnt(30)
	v_mul_f32_e32 v146, v6, v130
	s_waitcnt vmcnt(28) lgkmcnt(6)
	v_mul_f32_e32 v148, v10, v134
	s_waitcnt vmcnt(27) lgkmcnt(5)
	v_mul_f32_e32 v149, v12, v135
	v_mul_f32_e32 v150, v11, v134
	v_mul_f32_e32 v135, v13, v135
	s_waitcnt vmcnt(24)
	v_mov_b32_e32 v134, v17
	v_mul_f32_e32 v147, v8, v132
	v_mul_f32_e32 v130, v7, v130
	s_waitcnt vmcnt(22)
	v_fmac_f32_e32 v145, v5, v138
	v_fma_f32 v3, v4, v138, -v3
	s_waitcnt lgkmcnt(4)
	v_pk_mul_f32 v[4:5], v[98:99], v[134:135] op_sel_hi:[1,0]
	v_mul_f32_e32 v132, v9, v132
	s_waitcnt vmcnt(21)
	v_fmac_f32_e32 v146, v7, v139
	s_waitcnt vmcnt(20)
	v_fmac_f32_e32 v147, v9, v140
	;; [unrolled: 2-line block ×3, first 2 shown]
	v_fma_f32 v9, v6, v139, -v130
	s_waitcnt vmcnt(18)
	v_fma_f32 v11, v12, v142, -v135
	v_add_f32_e32 v12, 0, v145
	v_add_f32_e32 v3, 0, v3
	s_waitcnt vmcnt(12)
	v_pk_fma_f32 v[6:7], v[98:99], v[16:17], v[4:5] op_sel:[0,0,1] op_sel_hi:[1,1,0] neg_lo:[0,0,1] neg_hi:[0,0,1]
	v_pk_fma_f32 v[4:5], v[98:99], v[16:17], v[4:5] op_sel:[0,0,1] op_sel_hi:[1,0,0]
	v_fma_f32 v8, v8, v140, -v132
	v_add_f32_e32 v4, v12, v146
	v_add_f32_e32 v3, v3, v9
	v_fma_f32 v10, v10, v141, -v150
	v_add_f32_e32 v4, v4, v147
	v_add_f32_e32 v3, v3, v8
	v_mul_f32_e32 v131, v14, v136
	v_mul_f32_e32 v151, v15, v136
	v_fmac_f32_e32 v149, v13, v142
	v_add_f32_e32 v4, v4, v148
	v_add_f32_e32 v3, v3, v10
	v_mul_f32_e32 v133, v96, v137
	v_mul_f32_e32 v137, v97, v137
	v_fmac_f32_e32 v131, v15, v143
	v_fma_f32 v130, v14, v143, -v151
	v_mov_b32_e32 v7, v5
	v_add_f32_e32 v5, v4, v149
	v_add_f32_e32 v4, v3, v11
	v_fmac_f32_e32 v133, v97, v144
	v_fma_f32 v132, v96, v144, -v137
	v_pk_add_f32 v[4:5], v[4:5], v[130:131]
	v_mov_b32_e32 v136, v113
	v_pk_add_f32 v[4:5], v[4:5], v[132:133]
	v_pk_add_f32 v[4:5], v[4:5], v[6:7]
	s_waitcnt lgkmcnt(3)
	v_pk_mul_f32 v[6:7], v[100:101], v[136:137] op_sel_hi:[1,0]
	v_pk_fma_f32 v[8:9], v[100:101], v[112:113], v[6:7] op_sel:[0,0,1] op_sel_hi:[1,1,0] neg_lo:[0,0,1] neg_hi:[0,0,1]
	v_pk_fma_f32 v[6:7], v[100:101], v[112:113], v[6:7] op_sel:[0,0,1] op_sel_hi:[1,0,0]
	s_waitcnt vmcnt(11)
	v_mov_b32_e32 v6, v117
	v_mov_b32_e32 v9, v7
	v_pk_mul_f32 v[6:7], v[102:103], v[6:7] op_sel_hi:[1,0]
	v_pk_add_f32 v[4:5], v[4:5], v[8:9]
	v_pk_fma_f32 v[8:9], v[102:103], v[116:117], v[6:7] op_sel:[0,0,1] op_sel_hi:[1,1,0] neg_lo:[0,0,1] neg_hi:[0,0,1]
	v_pk_fma_f32 v[6:7], v[102:103], v[116:117], v[6:7] op_sel:[0,0,1] op_sel_hi:[1,0,0]
	s_waitcnt vmcnt(10)
	v_mov_b32_e32 v6, v115
	v_mov_b32_e32 v9, v7
	s_waitcnt lgkmcnt(2)
	v_pk_mul_f32 v[6:7], v[104:105], v[6:7] op_sel_hi:[1,0]
	v_pk_add_f32 v[4:5], v[4:5], v[8:9]
	v_pk_fma_f32 v[8:9], v[104:105], v[114:115], v[6:7] op_sel:[0,0,1] op_sel_hi:[1,1,0] neg_lo:[0,0,1] neg_hi:[0,0,1]
	v_pk_fma_f32 v[6:7], v[104:105], v[114:115], v[6:7] op_sel:[0,0,1] op_sel_hi:[1,0,0]
	s_waitcnt vmcnt(9)
	v_mov_b32_e32 v6, v119
	v_mov_b32_e32 v9, v7
	v_pk_mul_f32 v[6:7], v[106:107], v[6:7] op_sel_hi:[1,0]
	v_pk_add_f32 v[4:5], v[4:5], v[8:9]
	s_waitcnt vmcnt(4)
	v_pk_fma_f32 v[8:9], v[106:107], v[118:119], v[6:7] op_sel:[0,0,1] op_sel_hi:[1,1,0] neg_lo:[0,0,1] neg_hi:[0,0,1]
	v_pk_fma_f32 v[6:7], v[106:107], v[118:119], v[6:7] op_sel:[0,0,1] op_sel_hi:[1,0,0]
	v_mov_b32_e32 v6, v125
	v_mov_b32_e32 v9, v7
	s_waitcnt lgkmcnt(1)
	v_pk_mul_f32 v[6:7], v[108:109], v[6:7] op_sel_hi:[1,0]
	v_pk_add_f32 v[4:5], v[4:5], v[8:9]
	v_pk_fma_f32 v[8:9], v[108:109], v[124:125], v[6:7] op_sel:[0,0,1] op_sel_hi:[1,1,0] neg_lo:[0,0,1] neg_hi:[0,0,1]
	v_pk_fma_f32 v[6:7], v[108:109], v[124:125], v[6:7] op_sel:[0,0,1] op_sel_hi:[1,0,0]
	s_waitcnt vmcnt(3)
	v_mov_b32_e32 v6, v123
	v_mov_b32_e32 v9, v7
	v_pk_mul_f32 v[6:7], v[110:111], v[6:7] op_sel_hi:[1,0]
	v_pk_add_f32 v[4:5], v[4:5], v[8:9]
	v_pk_fma_f32 v[8:9], v[110:111], v[122:123], v[6:7] op_sel:[0,0,1] op_sel_hi:[1,1,0] neg_lo:[0,0,1] neg_hi:[0,0,1]
	v_pk_fma_f32 v[6:7], v[110:111], v[122:123], v[6:7] op_sel:[0,0,1] op_sel_hi:[1,0,0]
	s_waitcnt vmcnt(0)
	v_mov_b32_e32 v6, v121
	v_mov_b32_e32 v9, v7
	s_waitcnt lgkmcnt(0)
	v_pk_mul_f32 v[6:7], v[128:129], v[6:7] op_sel_hi:[1,0]
	v_pk_add_f32 v[4:5], v[4:5], v[8:9]
	v_pk_fma_f32 v[8:9], v[128:129], v[120:121], v[6:7] op_sel:[0,0,1] op_sel_hi:[1,1,0] neg_lo:[0,0,1] neg_hi:[0,0,1]
	v_pk_fma_f32 v[6:7], v[128:129], v[120:121], v[6:7] op_sel:[0,0,1] op_sel_hi:[1,0,0]
	v_mov_b32_e32 v9, v7
	v_pk_add_f32 v[4:5], v[4:5], v[8:9]
	v_pk_add_f32 v[4:5], v[126:127], v[4:5] neg_lo:[0,1] neg_hi:[0,1]
	buffer_store_dword v5, off, s[0:3], 0 offset:188
	buffer_store_dword v4, off, s[0:3], 0 offset:184
	s_and_saveexec_b64 s[4:5], vcc
	s_cbranch_execz .LBB102_203
; %bb.202:
	buffer_load_dword v4, off, s[0:3], 0 offset:176
	buffer_load_dword v5, off, s[0:3], 0 offset:180
	s_waitcnt vmcnt(0)
	ds_write_b64 v1, v[4:5]
	buffer_store_dword v2, off, s[0:3], 0 offset:176
	buffer_store_dword v2, off, s[0:3], 0 offset:180
.LBB102_203:
	s_or_b64 exec, exec, s[4:5]
	s_waitcnt lgkmcnt(0)
	; wave barrier
	s_waitcnt lgkmcnt(0)
	buffer_load_dword v132, off, s[0:3], 0 offset:188
	buffer_load_dword v134, off, s[0:3], 0 offset:196
	buffer_load_dword v135, off, s[0:3], 0 offset:204
	buffer_load_dword v136, off, s[0:3], 0 offset:212
	buffer_load_dword v137, off, s[0:3], 0 offset:220
	buffer_load_dword v138, off, s[0:3], 0 offset:228
	buffer_load_dword v139, off, s[0:3], 0 offset:236
	buffer_load_dword v140, off, s[0:3], 0 offset:244
	buffer_load_dword v141, off, s[0:3], 0 offset:184
	buffer_load_dword v142, off, s[0:3], 0 offset:192
	buffer_load_dword v143, off, s[0:3], 0 offset:200
	buffer_load_dword v144, off, s[0:3], 0 offset:208
	buffer_load_dword v145, off, s[0:3], 0 offset:216
	buffer_load_dword v146, off, s[0:3], 0 offset:224
	buffer_load_dword v147, off, s[0:3], 0 offset:232
	buffer_load_dword v148, off, s[0:3], 0 offset:240
	buffer_load_dword v17, off, s[0:3], 0 offset:252
	buffer_load_dword v116, off, s[0:3], 0 offset:264
	buffer_load_dword v118, off, s[0:3], 0 offset:256
	buffer_load_dword v16, off, s[0:3], 0 offset:248
	buffer_load_dword v119, off, s[0:3], 0 offset:260
	buffer_load_dword v117, off, s[0:3], 0 offset:268
	buffer_load_dword v121, off, s[0:3], 0 offset:276
	buffer_load_dword v122, off, s[0:3], 0 offset:296
	buffer_load_dword v125, off, s[0:3], 0 offset:292
	buffer_load_dword v124, off, s[0:3], 0 offset:288
	buffer_load_dword v127, off, s[0:3], 0 offset:284
	buffer_load_dword v126, off, s[0:3], 0 offset:280
	buffer_load_dword v120, off, s[0:3], 0 offset:272
	buffer_load_dword v128, off, s[0:3], 0 offset:176
	buffer_load_dword v129, off, s[0:3], 0 offset:180
	buffer_load_dword v123, off, s[0:3], 0 offset:300
	ds_read2_b64 v[4:7], v2 offset0:63 offset1:64
	ds_read2_b64 v[8:11], v2 offset0:65 offset1:66
	;; [unrolled: 1-line block ×4, first 2 shown]
	buffer_load_dword v131, off, s[0:3], 0 offset:308
	buffer_load_dword v130, off, s[0:3], 0 offset:304
	ds_read2_b64 v[100:103], v2 offset0:71 offset1:72
	ds_read2_b64 v[104:107], v2 offset0:73 offset1:74
	;; [unrolled: 1-line block ×4, first 2 shown]
	v_cmp_lt_u32_e32 vcc, 21, v0
	s_waitcnt vmcnt(33) lgkmcnt(7)
	v_mul_f32_e32 v149, v4, v132
	v_mul_f32_e32 v2, v5, v132
	s_waitcnt vmcnt(32)
	v_mul_f32_e32 v150, v6, v134
	s_waitcnt vmcnt(31) lgkmcnt(6)
	v_mul_f32_e32 v151, v8, v135
	v_mul_f32_e32 v132, v7, v134
	;; [unrolled: 1-line block ×3, first 2 shown]
	s_waitcnt vmcnt(30)
	v_mul_f32_e32 v135, v11, v136
	v_mul_f32_e32 v152, v10, v136
	s_waitcnt vmcnt(25)
	v_fmac_f32_e32 v149, v5, v141
	v_fma_f32 v4, v4, v141, -v2
	s_waitcnt vmcnt(24)
	v_fmac_f32_e32 v150, v7, v142
	v_fma_f32 v5, v6, v142, -v132
	s_waitcnt vmcnt(22)
	v_fma_f32 v7, v10, v144, -v135
	v_add_f32_e32 v10, 0, v149
	v_add_f32_e32 v4, 0, v4
	v_fmac_f32_e32 v151, v9, v143
	v_fma_f32 v6, v8, v143, -v134
	v_add_f32_e32 v10, v10, v150
	v_add_f32_e32 v4, v4, v5
	s_waitcnt lgkmcnt(5)
	v_mul_f32_e32 v153, v12, v137
	v_mul_f32_e32 v136, v13, v137
	v_fmac_f32_e32 v152, v11, v144
	v_add_f32_e32 v5, v10, v151
	v_add_f32_e32 v4, v4, v6
	v_mul_f32_e32 v154, v14, v138
	v_mul_f32_e32 v137, v15, v138
	s_waitcnt vmcnt(21)
	v_fmac_f32_e32 v153, v13, v145
	v_fma_f32 v8, v12, v145, -v136
	v_add_f32_e32 v5, v5, v152
	v_add_f32_e32 v4, v4, v7
	s_waitcnt lgkmcnt(4)
	v_mul_f32_e32 v3, v96, v139
	v_mul_f32_e32 v138, v97, v139
	s_waitcnt vmcnt(20)
	v_fmac_f32_e32 v154, v15, v146
	v_fma_f32 v9, v14, v146, -v137
	v_add_f32_e32 v5, v5, v153
	v_add_f32_e32 v4, v4, v8
	s_waitcnt vmcnt(19)
	v_fmac_f32_e32 v3, v97, v147
	v_fma_f32 v2, v96, v147, -v138
	v_add_f32_e32 v5, v5, v154
	v_add_f32_e32 v4, v4, v9
	v_pk_add_f32 v[2:3], v[4:5], v[2:3]
	s_waitcnt vmcnt(17)
	v_mov_b32_e32 v4, v17
	s_waitcnt lgkmcnt(3)
	v_pk_mul_f32 v[4:5], v[100:101], v[4:5] op_sel_hi:[1,0]
	v_mul_f32_e32 v133, v98, v140
	v_mul_f32_e32 v139, v99, v140
	s_waitcnt vmcnt(14)
	v_pk_fma_f32 v[6:7], v[100:101], v[16:17], v[4:5] op_sel:[0,0,1] op_sel_hi:[1,1,0] neg_lo:[0,0,1] neg_hi:[0,0,1]
	v_pk_fma_f32 v[4:5], v[100:101], v[16:17], v[4:5] op_sel:[0,0,1] op_sel_hi:[1,0,0]
	v_fmac_f32_e32 v133, v99, v148
	v_fma_f32 v132, v98, v148, -v139
	s_waitcnt vmcnt(13)
	v_mov_b32_e32 v4, v119
	v_pk_add_f32 v[2:3], v[2:3], v[132:133]
	v_mov_b32_e32 v7, v5
	v_pk_mul_f32 v[4:5], v[102:103], v[4:5] op_sel_hi:[1,0]
	v_pk_add_f32 v[2:3], v[2:3], v[6:7]
	v_pk_fma_f32 v[6:7], v[102:103], v[118:119], v[4:5] op_sel:[0,0,1] op_sel_hi:[1,1,0] neg_lo:[0,0,1] neg_hi:[0,0,1]
	v_pk_fma_f32 v[4:5], v[102:103], v[118:119], v[4:5] op_sel:[0,0,1] op_sel_hi:[1,0,0]
	s_waitcnt vmcnt(12)
	v_mov_b32_e32 v4, v117
	v_mov_b32_e32 v7, v5
	s_waitcnt lgkmcnt(2)
	v_pk_mul_f32 v[4:5], v[104:105], v[4:5] op_sel_hi:[1,0]
	v_pk_add_f32 v[2:3], v[2:3], v[6:7]
	v_pk_fma_f32 v[6:7], v[104:105], v[116:117], v[4:5] op_sel:[0,0,1] op_sel_hi:[1,1,0] neg_lo:[0,0,1] neg_hi:[0,0,1]
	v_pk_fma_f32 v[4:5], v[104:105], v[116:117], v[4:5] op_sel:[0,0,1] op_sel_hi:[1,0,0]
	s_waitcnt vmcnt(11)
	v_mov_b32_e32 v4, v121
	v_mov_b32_e32 v7, v5
	v_pk_mul_f32 v[4:5], v[106:107], v[4:5] op_sel_hi:[1,0]
	v_pk_add_f32 v[2:3], v[2:3], v[6:7]
	s_waitcnt vmcnt(5)
	v_pk_fma_f32 v[6:7], v[106:107], v[120:121], v[4:5] op_sel:[0,0,1] op_sel_hi:[1,1,0] neg_lo:[0,0,1] neg_hi:[0,0,1]
	v_pk_fma_f32 v[4:5], v[106:107], v[120:121], v[4:5] op_sel:[0,0,1] op_sel_hi:[1,0,0]
	v_mov_b32_e32 v4, v127
	v_mov_b32_e32 v7, v5
	s_waitcnt lgkmcnt(1)
	v_pk_mul_f32 v[4:5], v[108:109], v[4:5] op_sel_hi:[1,0]
	v_pk_add_f32 v[2:3], v[2:3], v[6:7]
	v_pk_fma_f32 v[6:7], v[108:109], v[126:127], v[4:5] op_sel:[0,0,1] op_sel_hi:[1,1,0] neg_lo:[0,0,1] neg_hi:[0,0,1]
	v_pk_fma_f32 v[4:5], v[108:109], v[126:127], v[4:5] op_sel:[0,0,1] op_sel_hi:[1,0,0]
	v_mov_b32_e32 v4, v125
	v_mov_b32_e32 v7, v5
	v_pk_mul_f32 v[4:5], v[110:111], v[4:5] op_sel_hi:[1,0]
	v_pk_add_f32 v[2:3], v[2:3], v[6:7]
	v_pk_fma_f32 v[6:7], v[110:111], v[124:125], v[4:5] op_sel:[0,0,1] op_sel_hi:[1,1,0] neg_lo:[0,0,1] neg_hi:[0,0,1]
	v_pk_fma_f32 v[4:5], v[110:111], v[124:125], v[4:5] op_sel:[0,0,1] op_sel_hi:[1,0,0]
	s_waitcnt vmcnt(2)
	v_mov_b32_e32 v4, v123
	v_mov_b32_e32 v7, v5
	s_waitcnt lgkmcnt(0)
	v_pk_mul_f32 v[4:5], v[112:113], v[4:5] op_sel_hi:[1,0]
	v_pk_add_f32 v[2:3], v[2:3], v[6:7]
	v_pk_fma_f32 v[6:7], v[112:113], v[122:123], v[4:5] op_sel:[0,0,1] op_sel_hi:[1,1,0] neg_lo:[0,0,1] neg_hi:[0,0,1]
	v_pk_fma_f32 v[4:5], v[112:113], v[122:123], v[4:5] op_sel:[0,0,1] op_sel_hi:[1,0,0]
	s_waitcnt vmcnt(1)
	v_mov_b32_e32 v4, v131
	v_mov_b32_e32 v7, v5
	v_pk_mul_f32 v[4:5], v[114:115], v[4:5] op_sel_hi:[1,0]
	v_pk_add_f32 v[2:3], v[2:3], v[6:7]
	s_waitcnt vmcnt(0)
	v_pk_fma_f32 v[6:7], v[114:115], v[130:131], v[4:5] op_sel:[0,0,1] op_sel_hi:[1,1,0] neg_lo:[0,0,1] neg_hi:[0,0,1]
	v_pk_fma_f32 v[4:5], v[114:115], v[130:131], v[4:5] op_sel:[0,0,1] op_sel_hi:[1,0,0]
	v_mov_b32_e32 v7, v5
	v_pk_add_f32 v[2:3], v[2:3], v[6:7]
	v_pk_add_f32 v[2:3], v[128:129], v[2:3] neg_lo:[0,1] neg_hi:[0,1]
	buffer_store_dword v3, off, s[0:3], 0 offset:180
	buffer_store_dword v2, off, s[0:3], 0 offset:176
	s_and_saveexec_b64 s[4:5], vcc
	s_cbranch_execz .LBB102_205
; %bb.204:
	buffer_load_dword v2, off, s[0:3], 0 offset:168
	buffer_load_dword v3, off, s[0:3], 0 offset:172
	v_mov_b32_e32 v4, 0
	buffer_store_dword v4, off, s[0:3], 0 offset:168
	buffer_store_dword v4, off, s[0:3], 0 offset:172
	s_waitcnt vmcnt(2)
	ds_write_b64 v1, v[2:3]
.LBB102_205:
	s_or_b64 exec, exec, s[4:5]
	s_waitcnt lgkmcnt(0)
	; wave barrier
	s_waitcnt lgkmcnt(0)
	buffer_load_dword v3, off, s[0:3], 0 offset:180
	buffer_load_dword v124, off, s[0:3], 0 offset:188
	;; [unrolled: 1-line block ×36, first 2 shown]
	v_mov_b32_e32 v2, 0
	ds_read_b128 v[4:7], v2 offset:496
	ds_read_b128 v[8:11], v2 offset:512
	;; [unrolled: 1-line block ×6, first 2 shown]
	v_cmp_lt_u32_e32 vcc, 20, v0
	s_waitcnt vmcnt(35) lgkmcnt(5)
	v_mul_f32_e32 v143, v4, v3
	s_waitcnt vmcnt(34)
	v_mul_f32_e32 v144, v6, v124
	s_waitcnt vmcnt(33) lgkmcnt(4)
	v_mul_f32_e32 v145, v8, v126
	v_mul_f32_e32 v3, v5, v3
	;; [unrolled: 1-line block ×4, first 2 shown]
	s_waitcnt vmcnt(32)
	v_mul_f32_e32 v146, v10, v128
	s_waitcnt vmcnt(31) lgkmcnt(3)
	v_mul_f32_e32 v147, v12, v129
	v_mul_f32_e32 v128, v11, v128
	s_waitcnt vmcnt(26)
	v_fmac_f32_e32 v143, v5, v134
	s_waitcnt vmcnt(25)
	v_fmac_f32_e32 v144, v7, v135
	;; [unrolled: 2-line block ×3, first 2 shown]
	v_fma_f32 v3, v4, v134, -v3
	v_add_f32_e32 v9, 0, v143
	v_fma_f32 v4, v6, v135, -v124
	v_add_f32_e32 v3, 0, v3
	v_add_f32_e32 v9, v9, v144
	s_waitcnt vmcnt(23)
	v_fmac_f32_e32 v146, v11, v137
	v_fma_f32 v5, v8, v136, -v126
	v_add_f32_e32 v3, v3, v4
	v_add_f32_e32 v4, v9, v145
	v_mul_f32_e32 v148, v14, v130
	v_mul_f32_e32 v129, v13, v129
	s_waitcnt vmcnt(22)
	v_fmac_f32_e32 v147, v13, v138
	v_fma_f32 v6, v10, v137, -v128
	v_add_f32_e32 v3, v3, v5
	v_add_f32_e32 v4, v4, v146
	s_waitcnt lgkmcnt(2)
	v_mul_f32_e32 v149, v96, v131
	v_mul_f32_e32 v130, v15, v130
	s_waitcnt vmcnt(21)
	v_fmac_f32_e32 v148, v15, v139
	v_fma_f32 v7, v12, v138, -v129
	v_add_f32_e32 v3, v3, v6
	v_add_f32_e32 v4, v4, v147
	v_mul_f32_e32 v131, v97, v131
	s_waitcnt vmcnt(20)
	v_fmac_f32_e32 v149, v97, v140
	v_fma_f32 v8, v14, v139, -v130
	v_add_f32_e32 v3, v3, v7
	v_add_f32_e32 v4, v4, v148
	;; [unrolled: 1-line block ×4, first 2 shown]
	v_fma_f32 v4, v96, v140, -v131
	s_waitcnt vmcnt(17)
	v_mov_b32_e32 v96, v17
	v_mul_f32_e32 v125, v98, v132
	v_add_f32_e32 v12, v3, v4
	v_mul_f32_e32 v3, v99, v132
	s_waitcnt lgkmcnt(1)
	v_pk_mul_f32 v[96:97], v[102:103], v[96:97] op_sel_hi:[1,0]
	v_fmac_f32_e32 v125, v99, v141
	v_fma_f32 v124, v98, v141, -v3
	s_waitcnt vmcnt(15)
	v_pk_fma_f32 v[98:99], v[102:103], v[16:17], v[96:97] op_sel:[0,0,1] op_sel_hi:[1,1,0] neg_lo:[0,0,1] neg_hi:[0,0,1]
	v_pk_fma_f32 v[16:17], v[102:103], v[16:17], v[96:97] op_sel:[0,0,1] op_sel_hi:[1,0,0]
	s_waitcnt vmcnt(12)
	v_mov_b32_e32 v16, v109
	v_mul_f32_e32 v127, v100, v133
	v_mul_f32_e32 v3, v101, v133
	v_mov_b32_e32 v99, v17
	s_waitcnt lgkmcnt(0)
	v_pk_mul_f32 v[16:17], v[104:105], v[16:17] op_sel_hi:[1,0]
	v_fmac_f32_e32 v127, v101, v142
	v_fma_f32 v126, v100, v142, -v3
	v_pk_add_f32 v[12:13], v[12:13], v[124:125]
	v_pk_fma_f32 v[96:97], v[104:105], v[108:109], v[16:17] op_sel:[0,0,1] op_sel_hi:[1,1,0] neg_lo:[0,0,1] neg_hi:[0,0,1]
	v_pk_fma_f32 v[16:17], v[104:105], v[108:109], v[16:17] op_sel:[0,0,1] op_sel_hi:[1,0,0]
	v_pk_add_f32 v[12:13], v[12:13], v[126:127]
	s_waitcnt vmcnt(11)
	v_mov_b32_e32 v16, v113
	ds_read_b128 v[4:7], v2 offset:592
	ds_read_b128 v[8:11], v2 offset:608
	ds_read_b64 v[14:15], v2 offset:624
	v_pk_add_f32 v[12:13], v[12:13], v[98:99]
	v_mov_b32_e32 v97, v17
	v_pk_mul_f32 v[16:17], v[106:107], v[16:17] op_sel_hi:[1,0]
	v_pk_add_f32 v[12:13], v[12:13], v[96:97]
	s_waitcnt vmcnt(4)
	v_pk_fma_f32 v[96:97], v[106:107], v[112:113], v[16:17] op_sel:[0,0,1] op_sel_hi:[1,1,0] neg_lo:[0,0,1] neg_hi:[0,0,1]
	v_pk_fma_f32 v[16:17], v[106:107], v[112:113], v[16:17] op_sel:[0,0,1] op_sel_hi:[1,0,0]
	v_mov_b32_e32 v16, v119
	v_mov_b32_e32 v97, v17
	s_waitcnt lgkmcnt(2)
	v_pk_mul_f32 v[16:17], v[4:5], v[16:17] op_sel_hi:[1,0]
	v_pk_add_f32 v[12:13], v[12:13], v[96:97]
	v_pk_fma_f32 v[96:97], v[4:5], v[118:119], v[16:17] op_sel:[0,0,1] op_sel_hi:[1,1,0] neg_lo:[0,0,1] neg_hi:[0,0,1]
	v_pk_fma_f32 v[4:5], v[4:5], v[118:119], v[16:17] op_sel:[0,0,1] op_sel_hi:[1,0,0]
	v_mov_b32_e32 v97, v5
	v_pk_add_f32 v[4:5], v[12:13], v[96:97]
	v_mov_b32_e32 v12, v117
	v_pk_mul_f32 v[12:13], v[6:7], v[12:13] op_sel_hi:[1,0]
	v_pk_fma_f32 v[16:17], v[6:7], v[116:117], v[12:13] op_sel:[0,0,1] op_sel_hi:[1,1,0] neg_lo:[0,0,1] neg_hi:[0,0,1]
	v_pk_fma_f32 v[6:7], v[6:7], v[116:117], v[12:13] op_sel:[0,0,1] op_sel_hi:[1,0,0]
	v_mov_b32_e32 v6, v115
	v_mov_b32_e32 v17, v7
	s_waitcnt lgkmcnt(1)
	v_pk_mul_f32 v[6:7], v[8:9], v[6:7] op_sel_hi:[1,0]
	v_pk_fma_f32 v[12:13], v[8:9], v[114:115], v[6:7] op_sel:[0,0,1] op_sel_hi:[1,1,0] neg_lo:[0,0,1] neg_hi:[0,0,1]
	v_pk_fma_f32 v[6:7], v[8:9], v[114:115], v[6:7] op_sel:[0,0,1] op_sel_hi:[1,0,0]
	s_waitcnt vmcnt(1)
	v_mov_b32_e32 v6, v123
	v_mov_b32_e32 v13, v7
	v_pk_mul_f32 v[6:7], v[10:11], v[6:7] op_sel_hi:[1,0]
	s_waitcnt vmcnt(0)
	v_pk_fma_f32 v[8:9], v[10:11], v[122:123], v[6:7] op_sel:[0,0,1] op_sel_hi:[1,1,0] neg_lo:[0,0,1] neg_hi:[0,0,1]
	v_pk_fma_f32 v[6:7], v[10:11], v[122:123], v[6:7] op_sel:[0,0,1] op_sel_hi:[1,0,0]
	v_pk_add_f32 v[4:5], v[4:5], v[16:17]
	v_mov_b32_e32 v6, v121
	v_pk_add_f32 v[4:5], v[4:5], v[12:13]
	v_mov_b32_e32 v9, v7
	s_waitcnt lgkmcnt(0)
	v_pk_mul_f32 v[6:7], v[14:15], v[6:7] op_sel_hi:[1,0]
	v_pk_add_f32 v[4:5], v[4:5], v[8:9]
	v_pk_fma_f32 v[8:9], v[14:15], v[120:121], v[6:7] op_sel:[0,0,1] op_sel_hi:[1,1,0] neg_lo:[0,0,1] neg_hi:[0,0,1]
	v_pk_fma_f32 v[6:7], v[14:15], v[120:121], v[6:7] op_sel:[0,0,1] op_sel_hi:[1,0,0]
	v_mov_b32_e32 v9, v7
	v_pk_add_f32 v[4:5], v[4:5], v[8:9]
	v_pk_add_f32 v[4:5], v[110:111], v[4:5] neg_lo:[0,1] neg_hi:[0,1]
	buffer_store_dword v5, off, s[0:3], 0 offset:172
	buffer_store_dword v4, off, s[0:3], 0 offset:168
	s_and_saveexec_b64 s[4:5], vcc
	s_cbranch_execz .LBB102_207
; %bb.206:
	buffer_load_dword v4, off, s[0:3], 0 offset:160
	buffer_load_dword v5, off, s[0:3], 0 offset:164
	s_waitcnt vmcnt(0)
	ds_write_b64 v1, v[4:5]
	buffer_store_dword v2, off, s[0:3], 0 offset:160
	buffer_store_dword v2, off, s[0:3], 0 offset:164
.LBB102_207:
	s_or_b64 exec, exec, s[4:5]
	s_waitcnt lgkmcnt(0)
	; wave barrier
	s_waitcnt lgkmcnt(0)
	buffer_load_dword v3, off, s[0:3], 0 offset:172
	buffer_load_dword v124, off, s[0:3], 0 offset:180
	;; [unrolled: 1-line block ×22, first 2 shown]
	ds_read2_b64 v[4:7], v2 offset0:61 offset1:62
	ds_read2_b64 v[8:11], v2 offset0:63 offset1:64
	buffer_load_dword v109, off, s[0:3], 0 offset:252
	buffer_load_dword v108, off, s[0:3], 0 offset:248
	;; [unrolled: 1-line block ×10, first 2 shown]
	ds_read2_b64 v[12:15], v2 offset0:65 offset1:66
	ds_read2_b64 v[96:99], v2 offset0:67 offset1:68
	;; [unrolled: 1-line block ×4, first 2 shown]
	buffer_load_dword v119, off, s[0:3], 0 offset:308
	buffer_load_dword v118, off, s[0:3], 0 offset:304
	;; [unrolled: 1-line block ×6, first 2 shown]
	v_cmp_lt_u32_e32 vcc, 19, v0
	s_waitcnt vmcnt(37) lgkmcnt(5)
	v_mul_f32_e32 v145, v4, v3
	s_waitcnt vmcnt(36)
	v_mul_f32_e32 v146, v6, v124
	s_waitcnt vmcnt(35) lgkmcnt(4)
	v_mul_f32_e32 v147, v8, v126
	v_mul_f32_e32 v3, v5, v3
	;; [unrolled: 1-line block ×4, first 2 shown]
	s_waitcnt vmcnt(34)
	v_mul_f32_e32 v148, v10, v128
	s_waitcnt vmcnt(33) lgkmcnt(3)
	v_mul_f32_e32 v149, v12, v129
	s_waitcnt vmcnt(32)
	v_mul_f32_e32 v150, v14, v130
	s_waitcnt vmcnt(31) lgkmcnt(2)
	v_mul_f32_e32 v151, v96, v131
	s_waitcnt vmcnt(27)
	v_fmac_f32_e32 v145, v5, v135
	s_waitcnt vmcnt(26)
	v_fmac_f32_e32 v146, v7, v136
	v_fma_f32 v3, v4, v135, -v3
	s_waitcnt vmcnt(25)
	v_fma_f32 v5, v8, v137, -v126
	v_add_f32_e32 v8, 0, v145
	v_fmac_f32_e32 v147, v9, v137
	v_fma_f32 v4, v6, v136, -v124
	v_add_f32_e32 v3, 0, v3
	v_add_f32_e32 v8, v8, v146
	s_waitcnt vmcnt(24)
	v_fmac_f32_e32 v148, v11, v138
	v_add_f32_e32 v3, v3, v4
	v_add_f32_e32 v4, v8, v147
	s_waitcnt vmcnt(23)
	v_fmac_f32_e32 v149, v13, v139
	v_add_f32_e32 v4, v4, v148
	v_mul_f32_e32 v128, v11, v128
	s_waitcnt vmcnt(22)
	v_fmac_f32_e32 v150, v15, v140
	v_add_f32_e32 v4, v4, v149
	v_mul_f32_e32 v152, v98, v132
	v_mul_f32_e32 v129, v13, v129
	s_waitcnt vmcnt(21)
	v_fmac_f32_e32 v151, v97, v141
	v_fma_f32 v6, v10, v138, -v128
	v_add_f32_e32 v3, v3, v5
	v_add_f32_e32 v4, v4, v150
	v_mul_f32_e32 v130, v15, v130
	s_waitcnt vmcnt(20)
	v_fmac_f32_e32 v152, v99, v142
	v_fma_f32 v7, v12, v139, -v129
	v_add_f32_e32 v3, v3, v6
	v_add_f32_e32 v4, v4, v151
	;; [unrolled: 1-line block ×4, first 2 shown]
	v_fma_f32 v4, v14, v140, -v130
	v_add_f32_e32 v3, v3, v4
	v_mul_f32_e32 v4, v97, v131
	v_fma_f32 v4, v96, v141, -v4
	v_add_f32_e32 v3, v3, v4
	v_mul_f32_e32 v4, v99, v132
	v_fma_f32 v4, v98, v142, -v4
	s_waitcnt vmcnt(15)
	v_mov_b32_e32 v96, v109
	s_waitcnt lgkmcnt(1)
	v_mul_f32_e32 v125, v100, v133
	v_add_f32_e32 v128, v3, v4
	v_mul_f32_e32 v3, v101, v133
	s_waitcnt lgkmcnt(0)
	v_pk_mul_f32 v[96:97], v[104:105], v[96:97] op_sel_hi:[1,0]
	v_mul_f32_e32 v127, v102, v134
	v_fmac_f32_e32 v125, v101, v143
	v_fma_f32 v124, v100, v143, -v3
	v_mul_f32_e32 v3, v103, v134
	s_waitcnt vmcnt(14)
	v_pk_fma_f32 v[98:99], v[104:105], v[108:109], v[96:97] op_sel:[0,0,1] op_sel_hi:[1,1,0] neg_lo:[0,0,1] neg_hi:[0,0,1]
	v_pk_fma_f32 v[96:97], v[104:105], v[108:109], v[96:97] op_sel:[0,0,1] op_sel_hi:[1,0,0]
	v_fmac_f32_e32 v127, v103, v144
	v_fma_f32 v126, v102, v144, -v3
	ds_read2_b64 v[4:7], v2 offset0:73 offset1:74
	ds_read2_b64 v[8:11], v2 offset0:75 offset1:76
	;; [unrolled: 1-line block ×3, first 2 shown]
	v_pk_add_f32 v[2:3], v[128:129], v[124:125]
	s_waitcnt vmcnt(13)
	v_mov_b32_e32 v96, v111
	v_pk_add_f32 v[2:3], v[2:3], v[126:127]
	v_mov_b32_e32 v99, v97
	v_pk_mul_f32 v[96:97], v[106:107], v[96:97] op_sel_hi:[1,0]
	v_pk_add_f32 v[2:3], v[2:3], v[98:99]
	s_waitcnt vmcnt(6)
	v_pk_fma_f32 v[98:99], v[106:107], v[110:111], v[96:97] op_sel:[0,0,1] op_sel_hi:[1,1,0] neg_lo:[0,0,1] neg_hi:[0,0,1]
	v_pk_fma_f32 v[96:97], v[106:107], v[110:111], v[96:97] op_sel:[0,0,1] op_sel_hi:[1,0,0]
	v_mov_b32_e32 v96, v117
	v_mov_b32_e32 v99, v97
	s_waitcnt lgkmcnt(2)
	v_pk_mul_f32 v[96:97], v[4:5], v[96:97] op_sel_hi:[1,0]
	v_pk_add_f32 v[2:3], v[2:3], v[98:99]
	v_pk_fma_f32 v[98:99], v[4:5], v[116:117], v[96:97] op_sel:[0,0,1] op_sel_hi:[1,1,0] neg_lo:[0,0,1] neg_hi:[0,0,1]
	v_pk_fma_f32 v[4:5], v[4:5], v[116:117], v[96:97] op_sel:[0,0,1] op_sel_hi:[1,0,0]
	v_mov_b32_e32 v4, v115
	v_mov_b32_e32 v99, v5
	v_pk_mul_f32 v[4:5], v[6:7], v[4:5] op_sel_hi:[1,0]
	v_pk_fma_f32 v[96:97], v[6:7], v[114:115], v[4:5] op_sel:[0,0,1] op_sel_hi:[1,1,0] neg_lo:[0,0,1] neg_hi:[0,0,1]
	v_pk_fma_f32 v[4:5], v[6:7], v[114:115], v[4:5] op_sel:[0,0,1] op_sel_hi:[1,0,0]
	v_mov_b32_e32 v4, v113
	v_mov_b32_e32 v97, v5
	s_waitcnt lgkmcnt(1)
	v_pk_mul_f32 v[4:5], v[8:9], v[4:5] op_sel_hi:[1,0]
	v_pk_fma_f32 v[6:7], v[8:9], v[112:113], v[4:5] op_sel:[0,0,1] op_sel_hi:[1,1,0] neg_lo:[0,0,1] neg_hi:[0,0,1]
	v_pk_fma_f32 v[4:5], v[8:9], v[112:113], v[4:5] op_sel:[0,0,1] op_sel_hi:[1,0,0]
	v_pk_add_f32 v[2:3], v[2:3], v[98:99]
	s_waitcnt vmcnt(1)
	v_mov_b32_e32 v4, v123
	v_pk_add_f32 v[2:3], v[2:3], v[96:97]
	v_mov_b32_e32 v7, v5
	v_pk_mul_f32 v[4:5], v[10:11], v[4:5] op_sel_hi:[1,0]
	v_pk_add_f32 v[2:3], v[2:3], v[6:7]
	s_waitcnt vmcnt(0)
	v_pk_fma_f32 v[6:7], v[10:11], v[122:123], v[4:5] op_sel:[0,0,1] op_sel_hi:[1,1,0] neg_lo:[0,0,1] neg_hi:[0,0,1]
	v_pk_fma_f32 v[4:5], v[10:11], v[122:123], v[4:5] op_sel:[0,0,1] op_sel_hi:[1,0,0]
	v_mov_b32_e32 v4, v121
	v_mov_b32_e32 v7, v5
	s_waitcnt lgkmcnt(0)
	v_pk_mul_f32 v[4:5], v[12:13], v[4:5] op_sel_hi:[1,0]
	v_pk_add_f32 v[2:3], v[2:3], v[6:7]
	v_pk_fma_f32 v[6:7], v[12:13], v[120:121], v[4:5] op_sel:[0,0,1] op_sel_hi:[1,1,0] neg_lo:[0,0,1] neg_hi:[0,0,1]
	v_pk_fma_f32 v[4:5], v[12:13], v[120:121], v[4:5] op_sel:[0,0,1] op_sel_hi:[1,0,0]
	v_mov_b32_e32 v4, v119
	v_mov_b32_e32 v7, v5
	v_pk_mul_f32 v[4:5], v[14:15], v[4:5] op_sel_hi:[1,0]
	v_pk_add_f32 v[2:3], v[2:3], v[6:7]
	v_pk_fma_f32 v[6:7], v[14:15], v[118:119], v[4:5] op_sel:[0,0,1] op_sel_hi:[1,1,0] neg_lo:[0,0,1] neg_hi:[0,0,1]
	v_pk_fma_f32 v[4:5], v[14:15], v[118:119], v[4:5] op_sel:[0,0,1] op_sel_hi:[1,0,0]
	v_mov_b32_e32 v7, v5
	v_pk_add_f32 v[2:3], v[2:3], v[6:7]
	v_pk_add_f32 v[2:3], v[16:17], v[2:3] neg_lo:[0,1] neg_hi:[0,1]
	buffer_store_dword v3, off, s[0:3], 0 offset:164
	buffer_store_dword v2, off, s[0:3], 0 offset:160
	s_and_saveexec_b64 s[4:5], vcc
	s_cbranch_execz .LBB102_209
; %bb.208:
	buffer_load_dword v2, off, s[0:3], 0 offset:152
	buffer_load_dword v3, off, s[0:3], 0 offset:156
	v_mov_b32_e32 v4, 0
	buffer_store_dword v4, off, s[0:3], 0 offset:152
	buffer_store_dword v4, off, s[0:3], 0 offset:156
	s_waitcnt vmcnt(2)
	ds_write_b64 v1, v[2:3]
.LBB102_209:
	s_or_b64 exec, exec, s[4:5]
	s_waitcnt lgkmcnt(0)
	; wave barrier
	s_waitcnt lgkmcnt(0)
	buffer_load_dword v3, off, s[0:3], 0 offset:164
	buffer_load_dword v124, off, s[0:3], 0 offset:172
	;; [unrolled: 1-line block ×40, first 2 shown]
	v_mov_b32_e32 v2, 0
	ds_read_b128 v[4:7], v2 offset:480
	ds_read_b128 v[8:11], v2 offset:496
	;; [unrolled: 1-line block ×6, first 2 shown]
	v_cmp_lt_u32_e32 vcc, 18, v0
	s_waitcnt vmcnt(39) lgkmcnt(5)
	v_mul_f32_e32 v147, v4, v3
	s_waitcnt vmcnt(38)
	v_mul_f32_e32 v148, v6, v124
	v_mul_f32_e32 v3, v5, v3
	s_waitcnt vmcnt(37) lgkmcnt(4)
	v_mul_f32_e32 v149, v8, v126
	v_mul_f32_e32 v124, v7, v124
	s_waitcnt vmcnt(36)
	v_mul_f32_e32 v150, v10, v128
	s_waitcnt vmcnt(35) lgkmcnt(3)
	v_mul_f32_e32 v151, v12, v130
	s_waitcnt vmcnt(34)
	v_mul_f32_e32 v152, v14, v131
	s_waitcnt vmcnt(33) lgkmcnt(2)
	;; [unrolled: 4-line block ×3, first 2 shown]
	v_mul_f32_e32 v155, v100, v134
	s_waitcnt vmcnt(28)
	v_fmac_f32_e32 v147, v5, v129
	s_waitcnt vmcnt(27)
	v_fmac_f32_e32 v148, v7, v137
	v_fma_f32 v3, v4, v129, -v3
	v_add_f32_e32 v7, 0, v147
	s_waitcnt vmcnt(26)
	v_fmac_f32_e32 v149, v9, v138
	v_fma_f32 v4, v6, v137, -v124
	v_add_f32_e32 v3, 0, v3
	v_add_f32_e32 v7, v7, v148
	s_waitcnt vmcnt(25)
	v_fmac_f32_e32 v150, v11, v139
	v_add_f32_e32 v3, v3, v4
	v_add_f32_e32 v4, v7, v149
	s_waitcnt vmcnt(24)
	v_fmac_f32_e32 v151, v13, v140
	v_add_f32_e32 v4, v4, v150
	s_waitcnt vmcnt(23)
	v_fmac_f32_e32 v152, v15, v141
	;; [unrolled: 3-line block ×3, first 2 shown]
	v_add_f32_e32 v4, v4, v152
	v_mul_f32_e32 v126, v9, v126
	s_waitcnt vmcnt(21)
	v_fmac_f32_e32 v154, v99, v143
	v_add_f32_e32 v4, v4, v153
	v_mul_f32_e32 v128, v11, v128
	s_waitcnt vmcnt(20)
	v_fmac_f32_e32 v155, v101, v144
	v_fma_f32 v5, v8, v138, -v126
	v_add_f32_e32 v4, v4, v154
	v_fma_f32 v6, v10, v139, -v128
	v_add_f32_e32 v3, v3, v5
	v_add_f32_e32 v129, v4, v155
	v_mul_f32_e32 v4, v13, v130
	v_add_f32_e32 v3, v3, v6
	v_fma_f32 v4, v12, v140, -v4
	v_add_f32_e32 v3, v3, v4
	v_mul_f32_e32 v4, v15, v131
	v_fma_f32 v4, v14, v141, -v4
	v_add_f32_e32 v3, v3, v4
	v_mul_f32_e32 v4, v97, v132
	;; [unrolled: 3-line block ×4, first 2 shown]
	v_fma_f32 v4, v100, v144, -v4
	s_waitcnt vmcnt(9)
	v_mov_b32_e32 v100, v115
	v_mul_f32_e32 v125, v102, v135
	v_add_f32_e32 v128, v3, v4
	v_mul_f32_e32 v3, v103, v135
	s_waitcnt lgkmcnt(0)
	v_pk_mul_f32 v[100:101], v[106:107], v[100:101] op_sel_hi:[1,0]
	v_mul_f32_e32 v127, v104, v136
	v_fmac_f32_e32 v125, v103, v145
	v_fma_f32 v124, v102, v145, -v3
	v_mul_f32_e32 v3, v105, v136
	ds_read_b128 v[4:7], v2 offset:576
	ds_read_b128 v[8:11], v2 offset:592
	;; [unrolled: 1-line block ×3, first 2 shown]
	ds_read_b64 v[96:97], v2 offset:624
	s_waitcnt vmcnt(8)
	v_pk_fma_f32 v[102:103], v[106:107], v[114:115], v[100:101] op_sel:[0,0,1] op_sel_hi:[1,1,0] neg_lo:[0,0,1] neg_hi:[0,0,1]
	v_pk_fma_f32 v[100:101], v[106:107], v[114:115], v[100:101] op_sel:[0,0,1] op_sel_hi:[1,0,0]
	v_fmac_f32_e32 v127, v105, v146
	v_fma_f32 v126, v104, v146, -v3
	v_pk_add_f32 v[98:99], v[128:129], v[124:125]
	v_mov_b32_e32 v100, v113
	v_pk_add_f32 v[98:99], v[98:99], v[126:127]
	v_mov_b32_e32 v103, v101
	s_waitcnt lgkmcnt(3)
	v_pk_mul_f32 v[100:101], v[4:5], v[100:101] op_sel_hi:[1,0]
	v_pk_add_f32 v[98:99], v[98:99], v[102:103]
	v_pk_fma_f32 v[102:103], v[4:5], v[112:113], v[100:101] op_sel:[0,0,1] op_sel_hi:[1,1,0] neg_lo:[0,0,1] neg_hi:[0,0,1]
	v_pk_fma_f32 v[4:5], v[4:5], v[112:113], v[100:101] op_sel:[0,0,1] op_sel_hi:[1,0,0]
	v_mov_b32_e32 v103, v5
	v_pk_add_f32 v[4:5], v[98:99], v[102:103]
	v_mov_b32_e32 v98, v111
	v_pk_mul_f32 v[98:99], v[6:7], v[98:99] op_sel_hi:[1,0]
	v_pk_fma_f32 v[100:101], v[6:7], v[110:111], v[98:99] op_sel:[0,0,1] op_sel_hi:[1,1,0] neg_lo:[0,0,1] neg_hi:[0,0,1]
	v_pk_fma_f32 v[6:7], v[6:7], v[110:111], v[98:99] op_sel:[0,0,1] op_sel_hi:[1,0,0]
	v_mov_b32_e32 v6, v109
	v_mov_b32_e32 v101, v7
	s_waitcnt lgkmcnt(2)
	v_pk_mul_f32 v[6:7], v[8:9], v[6:7] op_sel_hi:[1,0]
	v_pk_fma_f32 v[98:99], v[8:9], v[108:109], v[6:7] op_sel:[0,0,1] op_sel_hi:[1,1,0] neg_lo:[0,0,1] neg_hi:[0,0,1]
	v_pk_fma_f32 v[6:7], v[8:9], v[108:109], v[6:7] op_sel:[0,0,1] op_sel_hi:[1,0,0]
	s_waitcnt vmcnt(1)
	v_mov_b32_e32 v6, v123
	v_mov_b32_e32 v99, v7
	v_pk_mul_f32 v[6:7], v[10:11], v[6:7] op_sel_hi:[1,0]
	s_waitcnt vmcnt(0)
	v_pk_fma_f32 v[8:9], v[10:11], v[122:123], v[6:7] op_sel:[0,0,1] op_sel_hi:[1,1,0] neg_lo:[0,0,1] neg_hi:[0,0,1]
	v_pk_fma_f32 v[6:7], v[10:11], v[122:123], v[6:7] op_sel:[0,0,1] op_sel_hi:[1,0,0]
	v_pk_add_f32 v[4:5], v[4:5], v[100:101]
	v_mov_b32_e32 v6, v121
	v_pk_add_f32 v[4:5], v[4:5], v[98:99]
	v_mov_b32_e32 v9, v7
	s_waitcnt lgkmcnt(1)
	v_pk_mul_f32 v[6:7], v[12:13], v[6:7] op_sel_hi:[1,0]
	v_pk_add_f32 v[4:5], v[4:5], v[8:9]
	v_pk_fma_f32 v[8:9], v[12:13], v[120:121], v[6:7] op_sel:[0,0,1] op_sel_hi:[1,1,0] neg_lo:[0,0,1] neg_hi:[0,0,1]
	v_pk_fma_f32 v[6:7], v[12:13], v[120:121], v[6:7] op_sel:[0,0,1] op_sel_hi:[1,0,0]
	v_mov_b32_e32 v6, v119
	v_mov_b32_e32 v9, v7
	v_pk_mul_f32 v[6:7], v[14:15], v[6:7] op_sel_hi:[1,0]
	v_pk_add_f32 v[4:5], v[4:5], v[8:9]
	v_pk_fma_f32 v[8:9], v[14:15], v[118:119], v[6:7] op_sel:[0,0,1] op_sel_hi:[1,1,0] neg_lo:[0,0,1] neg_hi:[0,0,1]
	v_pk_fma_f32 v[6:7], v[14:15], v[118:119], v[6:7] op_sel:[0,0,1] op_sel_hi:[1,0,0]
	v_mov_b32_e32 v6, v117
	v_mov_b32_e32 v9, v7
	s_waitcnt lgkmcnt(0)
	v_pk_mul_f32 v[6:7], v[96:97], v[6:7] op_sel_hi:[1,0]
	v_pk_add_f32 v[4:5], v[4:5], v[8:9]
	v_pk_fma_f32 v[8:9], v[96:97], v[116:117], v[6:7] op_sel:[0,0,1] op_sel_hi:[1,1,0] neg_lo:[0,0,1] neg_hi:[0,0,1]
	v_pk_fma_f32 v[6:7], v[96:97], v[116:117], v[6:7] op_sel:[0,0,1] op_sel_hi:[1,0,0]
	v_mov_b32_e32 v9, v7
	v_pk_add_f32 v[4:5], v[4:5], v[8:9]
	v_pk_add_f32 v[4:5], v[16:17], v[4:5] neg_lo:[0,1] neg_hi:[0,1]
	buffer_store_dword v5, off, s[0:3], 0 offset:156
	buffer_store_dword v4, off, s[0:3], 0 offset:152
	s_and_saveexec_b64 s[4:5], vcc
	s_cbranch_execz .LBB102_211
; %bb.210:
	buffer_load_dword v4, off, s[0:3], 0 offset:144
	buffer_load_dword v5, off, s[0:3], 0 offset:148
	s_waitcnt vmcnt(0)
	ds_write_b64 v1, v[4:5]
	buffer_store_dword v2, off, s[0:3], 0 offset:144
	buffer_store_dword v2, off, s[0:3], 0 offset:148
.LBB102_211:
	s_or_b64 exec, exec, s[4:5]
	s_waitcnt lgkmcnt(0)
	; wave barrier
	s_waitcnt lgkmcnt(0)
	buffer_load_dword v3, off, s[0:3], 0 offset:156
	buffer_load_dword v124, off, s[0:3], 0 offset:164
	;; [unrolled: 1-line block ×26, first 2 shown]
	ds_read2_b64 v[4:7], v2 offset0:59 offset1:60
	ds_read2_b64 v[8:11], v2 offset0:61 offset1:62
	;; [unrolled: 1-line block ×6, first 2 shown]
	buffer_load_dword v109, off, s[0:3], 0 offset:268
	buffer_load_dword v108, off, s[0:3], 0 offset:264
	;; [unrolled: 1-line block ×16, first 2 shown]
	v_cmp_lt_u32_e32 vcc, 17, v0
	s_waitcnt vmcnt(41) lgkmcnt(5)
	v_mul_f32_e32 v149, v4, v3
	s_waitcnt vmcnt(40)
	v_mul_f32_e32 v150, v6, v124
	v_mul_f32_e32 v3, v5, v3
	;; [unrolled: 1-line block ×3, first 2 shown]
	s_waitcnt vmcnt(39) lgkmcnt(4)
	v_mul_f32_e32 v151, v8, v126
	s_waitcnt vmcnt(38)
	v_mul_f32_e32 v152, v10, v128
	s_waitcnt vmcnt(37) lgkmcnt(3)
	v_mul_f32_e32 v153, v12, v130
	s_waitcnt vmcnt(36)
	v_mul_f32_e32 v154, v14, v131
	;; [unrolled: 4-line block ×4, first 2 shown]
	s_waitcnt vmcnt(29)
	v_fmac_f32_e32 v149, v5, v129
	s_waitcnt vmcnt(28)
	v_fmac_f32_e32 v150, v7, v138
	v_fma_f32 v3, v4, v129, -v3
	v_fma_f32 v4, v6, v138, -v124
	v_add_f32_e32 v6, 0, v149
	s_waitcnt vmcnt(27)
	v_fmac_f32_e32 v151, v9, v139
	v_add_f32_e32 v3, 0, v3
	v_add_f32_e32 v6, v6, v150
	s_waitcnt vmcnt(26)
	v_fmac_f32_e32 v152, v11, v140
	v_add_f32_e32 v3, v3, v4
	;; [unrolled: 4-line block ×3, first 2 shown]
	s_waitcnt vmcnt(24)
	v_fmac_f32_e32 v154, v15, v142
	v_add_f32_e32 v4, v4, v153
	s_waitcnt vmcnt(23)
	v_fmac_f32_e32 v155, v97, v143
	v_add_f32_e32 v4, v4, v154
	;; [unrolled: 3-line block ×4, first 2 shown]
	v_mul_f32_e32 v126, v9, v126
	s_waitcnt vmcnt(20)
	v_fmac_f32_e32 v158, v103, v146
	v_add_f32_e32 v4, v4, v157
	v_fma_f32 v5, v8, v139, -v126
	v_add_f32_e32 v129, v4, v158
	v_mul_f32_e32 v4, v11, v128
	v_add_f32_e32 v3, v3, v5
	v_fma_f32 v4, v10, v140, -v4
	v_add_f32_e32 v3, v3, v4
	v_mul_f32_e32 v4, v13, v130
	v_fma_f32 v4, v12, v141, -v4
	v_add_f32_e32 v3, v3, v4
	v_mul_f32_e32 v4, v15, v131
	;; [unrolled: 3-line block ×6, first 2 shown]
	v_fma_f32 v4, v102, v146, -v4
	v_add_f32_e32 v128, v3, v4
	ds_read2_b64 v[4:7], v2 offset0:71 offset1:72
	ds_read2_b64 v[8:11], v2 offset0:73 offset1:74
	;; [unrolled: 1-line block ×4, first 2 shown]
	s_waitcnt vmcnt(11)
	v_mov_b32_e32 v100, v113
	s_waitcnt lgkmcnt(3)
	v_pk_mul_f32 v[100:101], v[4:5], v[100:101] op_sel_hi:[1,0]
	s_waitcnt vmcnt(10)
	v_pk_fma_f32 v[102:103], v[4:5], v[112:113], v[100:101] op_sel:[0,0,1] op_sel_hi:[1,1,0] neg_lo:[0,0,1] neg_hi:[0,0,1]
	v_pk_fma_f32 v[4:5], v[4:5], v[112:113], v[100:101] op_sel:[0,0,1] op_sel_hi:[1,0,0]
	v_mov_b32_e32 v4, v111
	v_mov_b32_e32 v103, v5
	v_pk_mul_f32 v[4:5], v[6:7], v[4:5] op_sel_hi:[1,0]
	v_mul_f32_e32 v125, v104, v136
	v_mul_f32_e32 v3, v105, v136
	v_pk_fma_f32 v[100:101], v[6:7], v[110:111], v[4:5] op_sel:[0,0,1] op_sel_hi:[1,1,0] neg_lo:[0,0,1] neg_hi:[0,0,1]
	v_pk_fma_f32 v[4:5], v[6:7], v[110:111], v[4:5] op_sel:[0,0,1] op_sel_hi:[1,0,0]
	v_mul_f32_e32 v127, v106, v137
	v_fmac_f32_e32 v125, v105, v147
	v_fma_f32 v124, v104, v147, -v3
	v_mul_f32_e32 v3, v107, v137
	v_mov_b32_e32 v4, v109
	v_fmac_f32_e32 v127, v107, v148
	v_fma_f32 v126, v106, v148, -v3
	v_pk_add_f32 v[2:3], v[128:129], v[124:125]
	v_mov_b32_e32 v101, v5
	s_waitcnt lgkmcnt(2)
	v_pk_mul_f32 v[4:5], v[8:9], v[4:5] op_sel_hi:[1,0]
	v_pk_add_f32 v[2:3], v[2:3], v[126:127]
	v_pk_fma_f32 v[6:7], v[8:9], v[108:109], v[4:5] op_sel:[0,0,1] op_sel_hi:[1,1,0] neg_lo:[0,0,1] neg_hi:[0,0,1]
	v_pk_fma_f32 v[4:5], v[8:9], v[108:109], v[4:5] op_sel:[0,0,1] op_sel_hi:[1,0,0]
	v_pk_add_f32 v[2:3], v[2:3], v[102:103]
	s_waitcnt vmcnt(3)
	v_mov_b32_e32 v4, v121
	v_pk_add_f32 v[2:3], v[2:3], v[100:101]
	v_mov_b32_e32 v7, v5
	v_pk_mul_f32 v[4:5], v[10:11], v[4:5] op_sel_hi:[1,0]
	v_pk_add_f32 v[2:3], v[2:3], v[6:7]
	s_waitcnt vmcnt(2)
	v_pk_fma_f32 v[6:7], v[10:11], v[120:121], v[4:5] op_sel:[0,0,1] op_sel_hi:[1,1,0] neg_lo:[0,0,1] neg_hi:[0,0,1]
	v_pk_fma_f32 v[4:5], v[10:11], v[120:121], v[4:5] op_sel:[0,0,1] op_sel_hi:[1,0,0]
	v_mov_b32_e32 v4, v119
	v_mov_b32_e32 v7, v5
	s_waitcnt lgkmcnt(1)
	v_pk_mul_f32 v[4:5], v[12:13], v[4:5] op_sel_hi:[1,0]
	v_pk_add_f32 v[2:3], v[2:3], v[6:7]
	v_pk_fma_f32 v[6:7], v[12:13], v[118:119], v[4:5] op_sel:[0,0,1] op_sel_hi:[1,1,0] neg_lo:[0,0,1] neg_hi:[0,0,1]
	v_pk_fma_f32 v[4:5], v[12:13], v[118:119], v[4:5] op_sel:[0,0,1] op_sel_hi:[1,0,0]
	v_mov_b32_e32 v4, v117
	v_mov_b32_e32 v7, v5
	v_pk_mul_f32 v[4:5], v[14:15], v[4:5] op_sel_hi:[1,0]
	v_pk_add_f32 v[2:3], v[2:3], v[6:7]
	v_pk_fma_f32 v[6:7], v[14:15], v[116:117], v[4:5] op_sel:[0,0,1] op_sel_hi:[1,1,0] neg_lo:[0,0,1] neg_hi:[0,0,1]
	v_pk_fma_f32 v[4:5], v[14:15], v[116:117], v[4:5] op_sel:[0,0,1] op_sel_hi:[1,0,0]
	v_mov_b32_e32 v4, v115
	v_mov_b32_e32 v7, v5
	s_waitcnt lgkmcnt(0)
	v_pk_mul_f32 v[4:5], v[96:97], v[4:5] op_sel_hi:[1,0]
	v_pk_add_f32 v[2:3], v[2:3], v[6:7]
	v_pk_fma_f32 v[6:7], v[96:97], v[114:115], v[4:5] op_sel:[0,0,1] op_sel_hi:[1,1,0] neg_lo:[0,0,1] neg_hi:[0,0,1]
	v_pk_fma_f32 v[4:5], v[96:97], v[114:115], v[4:5] op_sel:[0,0,1] op_sel_hi:[1,0,0]
	s_waitcnt vmcnt(1)
	v_mov_b32_e32 v4, v123
	v_mov_b32_e32 v7, v5
	v_pk_mul_f32 v[4:5], v[98:99], v[4:5] op_sel_hi:[1,0]
	v_pk_add_f32 v[2:3], v[2:3], v[6:7]
	s_waitcnt vmcnt(0)
	v_pk_fma_f32 v[6:7], v[98:99], v[122:123], v[4:5] op_sel:[0,0,1] op_sel_hi:[1,1,0] neg_lo:[0,0,1] neg_hi:[0,0,1]
	v_pk_fma_f32 v[4:5], v[98:99], v[122:123], v[4:5] op_sel:[0,0,1] op_sel_hi:[1,0,0]
	v_mov_b32_e32 v7, v5
	v_pk_add_f32 v[2:3], v[2:3], v[6:7]
	v_pk_add_f32 v[2:3], v[16:17], v[2:3] neg_lo:[0,1] neg_hi:[0,1]
	buffer_store_dword v3, off, s[0:3], 0 offset:148
	buffer_store_dword v2, off, s[0:3], 0 offset:144
	s_and_saveexec_b64 s[4:5], vcc
	s_cbranch_execz .LBB102_213
; %bb.212:
	buffer_load_dword v2, off, s[0:3], 0 offset:136
	buffer_load_dword v3, off, s[0:3], 0 offset:140
	v_mov_b32_e32 v4, 0
	buffer_store_dword v4, off, s[0:3], 0 offset:136
	buffer_store_dword v4, off, s[0:3], 0 offset:140
	s_waitcnt vmcnt(2)
	ds_write_b64 v1, v[2:3]
.LBB102_213:
	s_or_b64 exec, exec, s[4:5]
	v_mov_b32_e32 v12, 0
	s_waitcnt lgkmcnt(0)
	; wave barrier
	s_waitcnt lgkmcnt(0)
	ds_read_b128 v[14:17], v12 offset:464
	ds_read_b128 v[96:99], v12 offset:480
	;; [unrolled: 1-line block ×4, first 2 shown]
	buffer_load_dword v6, off, s[0:3], 0 offset:136
	buffer_load_dword v7, off, s[0:3], 0 offset:140
	buffer_load_dword v8, off, s[0:3], 0 offset:144
	buffer_load_dword v10, off, s[0:3], 0 offset:148
	buffer_load_dword v13, off, s[0:3], 0 offset:152
	buffer_load_dword v116, off, s[0:3], 0 offset:156
	buffer_load_dword v134, off, s[0:3], 0 offset:160
	buffer_load_dword v135, off, s[0:3], 0 offset:164
	buffer_load_dword v136, off, s[0:3], 0 offset:168
	buffer_load_dword v137, off, s[0:3], 0 offset:172
	buffer_load_dword v138, off, s[0:3], 0 offset:176
	buffer_load_dword v139, off, s[0:3], 0 offset:180
	buffer_load_dword v140, off, s[0:3], 0 offset:184
	buffer_load_dword v141, off, s[0:3], 0 offset:188
	buffer_load_dword v142, off, s[0:3], 0 offset:192
	buffer_load_dword v143, off, s[0:3], 0 offset:196
	buffer_load_dword v144, off, s[0:3], 0 offset:200
	buffer_load_dword v145, off, s[0:3], 0 offset:204
	ds_read_b128 v[108:111], v12 offset:528
	buffer_load_dword v146, off, s[0:3], 0 offset:208
	buffer_load_dword v147, off, s[0:3], 0 offset:212
	;; [unrolled: 1-line block ×4, first 2 shown]
	ds_read_b128 v[112:115], v12 offset:544
	buffer_load_dword v150, off, s[0:3], 0 offset:224
	buffer_load_dword v151, off, s[0:3], 0 offset:228
	;; [unrolled: 1-line block ×4, first 2 shown]
	v_cmp_lt_u32_e32 vcc, 16, v0
	s_waitcnt vmcnt(22) lgkmcnt(5)
	v_mul_f32_e32 v2, v14, v10
	v_fmac_f32_e32 v2, v15, v8
	s_waitcnt vmcnt(20)
	v_mul_f32_e32 v3, v16, v116
	v_add_f32_e32 v2, 0, v2
	v_fmac_f32_e32 v3, v17, v13
	v_add_f32_e32 v2, v2, v3
	s_waitcnt vmcnt(18) lgkmcnt(4)
	v_mul_f32_e32 v3, v96, v135
	v_fmac_f32_e32 v3, v97, v134
	v_add_f32_e32 v2, v2, v3
	s_waitcnt vmcnt(16)
	v_mul_f32_e32 v3, v98, v137
	v_fmac_f32_e32 v3, v99, v136
	v_add_f32_e32 v2, v2, v3
	s_waitcnt vmcnt(14) lgkmcnt(3)
	v_mul_f32_e32 v3, v100, v139
	v_fmac_f32_e32 v3, v101, v138
	v_add_f32_e32 v2, v2, v3
	s_waitcnt vmcnt(12)
	v_mul_f32_e32 v3, v102, v141
	;; [unrolled: 8-line block ×4, first 2 shown]
	v_fmac_f32_e32 v3, v111, v148
	v_add_f32_e32 v2, v2, v3
	s_waitcnt vmcnt(2) lgkmcnt(0)
	v_mul_f32_e32 v3, v112, v151
	v_fmac_f32_e32 v3, v113, v150
	v_add_f32_e32 v9, v2, v3
	ds_read_b128 v[2:5], v12 offset:560
	buffer_load_dword v154, off, s[0:3], 0 offset:240
	buffer_load_dword v155, off, s[0:3], 0 offset:244
	;; [unrolled: 1-line block ×18, first 2 shown]
	v_mul_f32_e32 v10, v15, v10
	v_fma_f32 v8, v14, v8, -v10
	v_mul_f32_e32 v10, v17, v116
	v_add_f32_e32 v8, 0, v8
	v_fma_f32 v10, v16, v13, -v10
	v_add_f32_e32 v8, v8, v10
	v_mul_f32_e32 v10, v97, v135
	v_fma_f32 v10, v96, v134, -v10
	v_add_f32_e32 v8, v8, v10
	v_mul_f32_e32 v10, v99, v137
	;; [unrolled: 3-line block ×9, first 2 shown]
	v_fma_f32 v10, v112, v150, -v10
	s_waitcnt vmcnt(18)
	v_mul_f32_e32 v11, v114, v153
	v_add_f32_e32 v8, v8, v10
	v_mul_f32_e32 v10, v115, v153
	v_fmac_f32_e32 v11, v115, v152
	v_fma_f32 v10, v114, v152, -v10
	v_pk_add_f32 v[8:9], v[8:9], v[10:11]
	s_waitcnt vmcnt(15)
	v_mov_b32_e32 v10, v119
	s_waitcnt lgkmcnt(0)
	v_pk_mul_f32 v[10:11], v[4:5], v[10:11] op_sel_hi:[1,0]
	s_waitcnt vmcnt(14)
	v_pk_fma_f32 v[104:105], v[4:5], v[118:119], v[10:11] op_sel:[0,0,1] op_sel_hi:[1,1,0] neg_lo:[0,0,1] neg_hi:[0,0,1]
	v_pk_fma_f32 v[4:5], v[4:5], v[118:119], v[10:11] op_sel:[0,0,1] op_sel_hi:[1,0,0]
	v_mov_b32_e32 v105, v5
	v_mul_f32_e32 v117, v2, v155
	v_fmac_f32_e32 v117, v3, v154
	v_mul_f32_e32 v3, v3, v155
	v_fma_f32 v116, v2, v154, -v3
	ds_read_b128 v[14:17], v12 offset:576
	ds_read_b128 v[96:99], v12 offset:592
	ds_read_b128 v[100:103], v12 offset:608
	ds_read_b64 v[2:3], v12 offset:624
	v_pk_add_f32 v[8:9], v[8:9], v[116:117]
	v_pk_add_f32 v[4:5], v[8:9], v[104:105]
	s_waitcnt vmcnt(13)
	v_mov_b32_e32 v8, v121
	s_waitcnt lgkmcnt(3)
	v_pk_mul_f32 v[8:9], v[14:15], v[8:9] op_sel_hi:[1,0]
	s_waitcnt vmcnt(12)
	v_pk_fma_f32 v[10:11], v[14:15], v[120:121], v[8:9] op_sel:[0,0,1] op_sel_hi:[1,1,0] neg_lo:[0,0,1] neg_hi:[0,0,1]
	v_pk_fma_f32 v[8:9], v[14:15], v[120:121], v[8:9] op_sel:[0,0,1] op_sel_hi:[1,0,0]
	s_waitcnt vmcnt(11)
	v_mov_b32_e32 v8, v123
	v_mov_b32_e32 v11, v9
	v_pk_mul_f32 v[8:9], v[16:17], v[8:9] op_sel_hi:[1,0]
	v_pk_add_f32 v[4:5], v[4:5], v[10:11]
	s_waitcnt vmcnt(10)
	v_pk_fma_f32 v[10:11], v[16:17], v[122:123], v[8:9] op_sel:[0,0,1] op_sel_hi:[1,1,0] neg_lo:[0,0,1] neg_hi:[0,0,1]
	v_pk_fma_f32 v[8:9], v[16:17], v[122:123], v[8:9] op_sel:[0,0,1] op_sel_hi:[1,0,0]
	s_waitcnt vmcnt(9)
	v_mov_b32_e32 v8, v125
	v_mov_b32_e32 v11, v9
	s_waitcnt lgkmcnt(2)
	v_pk_mul_f32 v[8:9], v[96:97], v[8:9] op_sel_hi:[1,0]
	v_pk_add_f32 v[4:5], v[4:5], v[10:11]
	s_waitcnt vmcnt(8)
	v_pk_fma_f32 v[10:11], v[96:97], v[124:125], v[8:9] op_sel:[0,0,1] op_sel_hi:[1,1,0] neg_lo:[0,0,1] neg_hi:[0,0,1]
	v_pk_fma_f32 v[8:9], v[96:97], v[124:125], v[8:9] op_sel:[0,0,1] op_sel_hi:[1,0,0]
	s_waitcnt vmcnt(7)
	v_mov_b32_e32 v8, v127
	v_mov_b32_e32 v11, v9
	v_pk_mul_f32 v[8:9], v[98:99], v[8:9] op_sel_hi:[1,0]
	v_pk_add_f32 v[4:5], v[4:5], v[10:11]
	s_waitcnt vmcnt(6)
	v_pk_fma_f32 v[10:11], v[98:99], v[126:127], v[8:9] op_sel:[0,0,1] op_sel_hi:[1,1,0] neg_lo:[0,0,1] neg_hi:[0,0,1]
	v_pk_fma_f32 v[8:9], v[98:99], v[126:127], v[8:9] op_sel:[0,0,1] op_sel_hi:[1,0,0]
	s_waitcnt vmcnt(5)
	v_mov_b32_e32 v8, v129
	v_mov_b32_e32 v11, v9
	s_waitcnt lgkmcnt(1)
	v_pk_mul_f32 v[8:9], v[100:101], v[8:9] op_sel_hi:[1,0]
	v_pk_add_f32 v[4:5], v[4:5], v[10:11]
	;; [unrolled: 17-line block ×3, first 2 shown]
	s_waitcnt vmcnt(0)
	v_pk_fma_f32 v[10:11], v[2:3], v[132:133], v[8:9] op_sel:[0,0,1] op_sel_hi:[1,1,0] neg_lo:[0,0,1] neg_hi:[0,0,1]
	v_pk_fma_f32 v[2:3], v[2:3], v[132:133], v[8:9] op_sel:[0,0,1] op_sel_hi:[1,0,0]
	v_mov_b32_e32 v11, v3
	v_pk_add_f32 v[2:3], v[4:5], v[10:11]
	v_pk_add_f32 v[2:3], v[6:7], v[2:3] neg_lo:[0,1] neg_hi:[0,1]
	buffer_store_dword v3, off, s[0:3], 0 offset:140
	buffer_store_dword v2, off, s[0:3], 0 offset:136
	s_and_saveexec_b64 s[4:5], vcc
	s_cbranch_execz .LBB102_215
; %bb.214:
	buffer_load_dword v2, off, s[0:3], 0 offset:128
	buffer_load_dword v3, off, s[0:3], 0 offset:132
	s_waitcnt vmcnt(0)
	ds_write_b64 v1, v[2:3]
	buffer_store_dword v12, off, s[0:3], 0 offset:128
	buffer_store_dword v12, off, s[0:3], 0 offset:132
.LBB102_215:
	s_or_b64 exec, exec, s[4:5]
	s_waitcnt lgkmcnt(0)
	; wave barrier
	s_waitcnt lgkmcnt(0)
	ds_read2_b64 v[2:5], v12 offset0:57 offset1:58
	buffer_load_dword v6, off, s[0:3], 0 offset:128
	buffer_load_dword v7, off, s[0:3], 0 offset:132
	;; [unrolled: 1-line block ×16, first 2 shown]
	v_cmp_lt_u32_e32 vcc, 15, v0
	s_waitcnt vmcnt(12) lgkmcnt(0)
	v_mul_f32_e32 v8, v2, v116
	v_fmac_f32_e32 v8, v3, v13
	s_waitcnt vmcnt(10)
	v_mul_f32_e32 v9, v4, v120
	v_add_f32_e32 v8, 0, v8
	v_fmac_f32_e32 v9, v5, v118
	v_add_f32_e32 v14, v8, v9
	ds_read2_b64 v[8:11], v12 offset0:59 offset1:60
	v_mul_f32_e32 v3, v3, v116
	v_fma_f32 v2, v2, v13, -v3
	v_mul_f32_e32 v3, v5, v120
	v_add_f32_e32 v2, 0, v2
	s_waitcnt vmcnt(8) lgkmcnt(0)
	v_mul_f32_e32 v15, v8, v139
	v_fmac_f32_e32 v15, v9, v138
	v_add_f32_e32 v14, v14, v15
	s_waitcnt vmcnt(6)
	v_mul_f32_e32 v15, v10, v141
	v_fmac_f32_e32 v15, v11, v140
	v_add_f32_e32 v96, v14, v15
	ds_read2_b64 v[14:17], v12 offset0:61 offset1:62
	v_fma_f32 v3, v4, v118, -v3
	v_add_f32_e32 v2, v2, v3
	v_mul_f32_e32 v3, v9, v139
	v_fma_f32 v3, v8, v138, -v3
	s_waitcnt vmcnt(4) lgkmcnt(0)
	v_mul_f32_e32 v97, v14, v143
	v_fmac_f32_e32 v97, v15, v142
	v_add_f32_e32 v96, v96, v97
	s_waitcnt vmcnt(2)
	v_mul_f32_e32 v97, v16, v145
	v_fmac_f32_e32 v97, v17, v144
	v_add_f32_e32 v100, v96, v97
	ds_read2_b64 v[96:99], v12 offset0:63 offset1:64
	buffer_load_dword v148, off, s[0:3], 0 offset:192
	buffer_load_dword v149, off, s[0:3], 0 offset:196
	v_add_f32_e32 v2, v2, v3
	v_mul_f32_e32 v3, v11, v141
	v_fma_f32 v3, v10, v140, -v3
	s_waitcnt vmcnt(2) lgkmcnt(0)
	v_mul_f32_e32 v101, v96, v147
	v_fmac_f32_e32 v101, v97, v146
	v_add_f32_e32 v100, v100, v101
	v_add_f32_e32 v2, v2, v3
	v_mul_f32_e32 v3, v15, v143
	v_fma_f32 v3, v14, v142, -v3
	v_add_f32_e32 v2, v2, v3
	v_mul_f32_e32 v3, v17, v145
	v_fma_f32 v3, v16, v144, -v3
	;; [unrolled: 3-line block ×3, first 2 shown]
	v_add_f32_e32 v2, v2, v3
	s_waitcnt vmcnt(0)
	v_mul_f32_e32 v101, v98, v149
	v_fmac_f32_e32 v101, v99, v148
	v_add_f32_e32 v104, v100, v101
	ds_read2_b64 v[100:103], v12 offset0:65 offset1:66
	buffer_load_dword v150, off, s[0:3], 0 offset:200
	buffer_load_dword v151, off, s[0:3], 0 offset:204
	;; [unrolled: 1-line block ×4, first 2 shown]
	v_mul_f32_e32 v3, v99, v149
	v_fma_f32 v3, v98, v148, -v3
	v_add_f32_e32 v2, v2, v3
	s_waitcnt vmcnt(2) lgkmcnt(0)
	v_mul_f32_e32 v105, v100, v151
	v_fmac_f32_e32 v105, v101, v150
	v_add_f32_e32 v104, v104, v105
	s_waitcnt vmcnt(0)
	v_mul_f32_e32 v105, v102, v153
	v_fmac_f32_e32 v105, v103, v152
	v_add_f32_e32 v108, v104, v105
	ds_read2_b64 v[104:107], v12 offset0:67 offset1:68
	buffer_load_dword v154, off, s[0:3], 0 offset:216
	buffer_load_dword v155, off, s[0:3], 0 offset:220
	;; [unrolled: 1-line block ×4, first 2 shown]
	v_mul_f32_e32 v3, v101, v151
	v_fma_f32 v3, v100, v150, -v3
	v_add_f32_e32 v2, v2, v3
	v_mul_f32_e32 v3, v103, v153
	v_fma_f32 v3, v102, v152, -v3
	v_add_f32_e32 v2, v2, v3
	s_waitcnt vmcnt(2) lgkmcnt(0)
	v_mul_f32_e32 v109, v104, v155
	v_fmac_f32_e32 v109, v105, v154
	v_add_f32_e32 v108, v108, v109
	s_waitcnt vmcnt(0)
	v_mul_f32_e32 v109, v106, v157
	v_fmac_f32_e32 v109, v107, v156
	v_add_f32_e32 v117, v108, v109
	ds_read2_b64 v[108:111], v12 offset0:69 offset1:70
	buffer_load_dword v158, off, s[0:3], 0 offset:232
	buffer_load_dword v159, off, s[0:3], 0 offset:236
	;; [unrolled: 1-line block ×6, first 2 shown]
	ds_read2_b64 v[112:115], v12 offset0:71 offset1:72
	buffer_load_dword v125, off, s[0:3], 0 offset:260
	buffer_load_dword v124, off, s[0:3], 0 offset:256
	;; [unrolled: 1-line block ×14, first 2 shown]
	v_mul_f32_e32 v3, v105, v155
	v_fma_f32 v3, v104, v154, -v3
	v_add_f32_e32 v2, v2, v3
	v_mul_f32_e32 v3, v107, v157
	v_fma_f32 v3, v106, v156, -v3
	v_add_f32_e32 v116, v2, v3
	s_waitcnt vmcnt(18) lgkmcnt(1)
	v_mul_f32_e32 v119, v108, v159
	s_waitcnt vmcnt(15)
	v_mov_b32_e32 v96, v123
	v_mul_f32_e32 v2, v109, v159
	s_waitcnt lgkmcnt(0)
	v_pk_mul_f32 v[96:97], v[112:113], v[96:97] op_sel_hi:[1,0]
	v_fmac_f32_e32 v119, v109, v158
	v_mul_f32_e32 v121, v110, v161
	v_fma_f32 v118, v108, v158, -v2
	v_mul_f32_e32 v2, v111, v161
	s_waitcnt vmcnt(14)
	v_pk_fma_f32 v[98:99], v[112:113], v[122:123], v[96:97] op_sel:[0,0,1] op_sel_hi:[1,1,0] neg_lo:[0,0,1] neg_hi:[0,0,1]
	v_pk_fma_f32 v[96:97], v[112:113], v[122:123], v[96:97] op_sel:[0,0,1] op_sel_hi:[1,0,0]
	v_fmac_f32_e32 v121, v111, v160
	v_fma_f32 v120, v110, v160, -v2
	v_pk_add_f32 v[16:17], v[116:117], v[118:119]
	s_waitcnt vmcnt(13)
	v_mov_b32_e32 v96, v125
	ds_read2_b64 v[2:5], v12 offset0:73 offset1:74
	ds_read2_b64 v[8:11], v12 offset0:75 offset1:76
	;; [unrolled: 1-line block ×3, first 2 shown]
	v_pk_add_f32 v[16:17], v[16:17], v[120:121]
	v_mov_b32_e32 v99, v97
	v_pk_mul_f32 v[96:97], v[114:115], v[96:97] op_sel_hi:[1,0]
	v_pk_add_f32 v[16:17], v[16:17], v[98:99]
	s_waitcnt vmcnt(12)
	v_pk_fma_f32 v[98:99], v[114:115], v[124:125], v[96:97] op_sel:[0,0,1] op_sel_hi:[1,1,0] neg_lo:[0,0,1] neg_hi:[0,0,1]
	v_pk_fma_f32 v[96:97], v[114:115], v[124:125], v[96:97] op_sel:[0,0,1] op_sel_hi:[1,0,0]
	s_waitcnt vmcnt(11)
	v_mov_b32_e32 v96, v127
	v_mov_b32_e32 v99, v97
	s_waitcnt lgkmcnt(2)
	v_pk_mul_f32 v[96:97], v[2:3], v[96:97] op_sel_hi:[1,0]
	v_pk_add_f32 v[16:17], v[16:17], v[98:99]
	s_waitcnt vmcnt(10)
	v_pk_fma_f32 v[98:99], v[2:3], v[126:127], v[96:97] op_sel:[0,0,1] op_sel_hi:[1,1,0] neg_lo:[0,0,1] neg_hi:[0,0,1]
	v_pk_fma_f32 v[2:3], v[2:3], v[126:127], v[96:97] op_sel:[0,0,1] op_sel_hi:[1,0,0]
	v_mov_b32_e32 v99, v3
	v_pk_add_f32 v[2:3], v[16:17], v[98:99]
	s_waitcnt vmcnt(9)
	v_mov_b32_e32 v16, v129
	v_pk_mul_f32 v[16:17], v[4:5], v[16:17] op_sel_hi:[1,0]
	s_waitcnt vmcnt(8)
	v_pk_fma_f32 v[96:97], v[4:5], v[128:129], v[16:17] op_sel:[0,0,1] op_sel_hi:[1,1,0] neg_lo:[0,0,1] neg_hi:[0,0,1]
	v_pk_fma_f32 v[4:5], v[4:5], v[128:129], v[16:17] op_sel:[0,0,1] op_sel_hi:[1,0,0]
	s_waitcnt vmcnt(7)
	v_mov_b32_e32 v4, v131
	v_mov_b32_e32 v97, v5
	s_waitcnt lgkmcnt(1)
	v_pk_mul_f32 v[4:5], v[8:9], v[4:5] op_sel_hi:[1,0]
	s_waitcnt vmcnt(6)
	v_pk_fma_f32 v[16:17], v[8:9], v[130:131], v[4:5] op_sel:[0,0,1] op_sel_hi:[1,1,0] neg_lo:[0,0,1] neg_hi:[0,0,1]
	v_pk_fma_f32 v[4:5], v[8:9], v[130:131], v[4:5] op_sel:[0,0,1] op_sel_hi:[1,0,0]
	s_waitcnt vmcnt(5)
	v_mov_b32_e32 v4, v133
	v_mov_b32_e32 v17, v5
	v_pk_mul_f32 v[4:5], v[10:11], v[4:5] op_sel_hi:[1,0]
	s_waitcnt vmcnt(4)
	v_pk_fma_f32 v[8:9], v[10:11], v[132:133], v[4:5] op_sel:[0,0,1] op_sel_hi:[1,1,0] neg_lo:[0,0,1] neg_hi:[0,0,1]
	v_pk_fma_f32 v[4:5], v[10:11], v[132:133], v[4:5] op_sel:[0,0,1] op_sel_hi:[1,0,0]
	v_pk_add_f32 v[2:3], v[2:3], v[96:97]
	s_waitcnt vmcnt(3)
	v_mov_b32_e32 v4, v135
	v_pk_add_f32 v[2:3], v[2:3], v[16:17]
	v_mov_b32_e32 v9, v5
	s_waitcnt lgkmcnt(0)
	v_pk_mul_f32 v[4:5], v[12:13], v[4:5] op_sel_hi:[1,0]
	v_pk_add_f32 v[2:3], v[2:3], v[8:9]
	s_waitcnt vmcnt(2)
	v_pk_fma_f32 v[8:9], v[12:13], v[134:135], v[4:5] op_sel:[0,0,1] op_sel_hi:[1,1,0] neg_lo:[0,0,1] neg_hi:[0,0,1]
	v_pk_fma_f32 v[4:5], v[12:13], v[134:135], v[4:5] op_sel:[0,0,1] op_sel_hi:[1,0,0]
	s_waitcnt vmcnt(1)
	v_mov_b32_e32 v4, v137
	v_mov_b32_e32 v9, v5
	v_pk_mul_f32 v[4:5], v[14:15], v[4:5] op_sel_hi:[1,0]
	v_pk_add_f32 v[2:3], v[2:3], v[8:9]
	s_waitcnt vmcnt(0)
	v_pk_fma_f32 v[8:9], v[14:15], v[136:137], v[4:5] op_sel:[0,0,1] op_sel_hi:[1,1,0] neg_lo:[0,0,1] neg_hi:[0,0,1]
	v_pk_fma_f32 v[4:5], v[14:15], v[136:137], v[4:5] op_sel:[0,0,1] op_sel_hi:[1,0,0]
	v_mov_b32_e32 v9, v5
	v_pk_add_f32 v[2:3], v[2:3], v[8:9]
	v_pk_add_f32 v[2:3], v[6:7], v[2:3] neg_lo:[0,1] neg_hi:[0,1]
	buffer_store_dword v3, off, s[0:3], 0 offset:132
	buffer_store_dword v2, off, s[0:3], 0 offset:128
	s_and_saveexec_b64 s[4:5], vcc
	s_cbranch_execz .LBB102_217
; %bb.216:
	buffer_load_dword v2, off, s[0:3], 0 offset:120
	buffer_load_dword v3, off, s[0:3], 0 offset:124
	v_mov_b32_e32 v4, 0
	buffer_store_dword v4, off, s[0:3], 0 offset:120
	buffer_store_dword v4, off, s[0:3], 0 offset:124
	s_waitcnt vmcnt(2)
	ds_write_b64 v1, v[2:3]
.LBB102_217:
	s_or_b64 exec, exec, s[4:5]
	v_mov_b32_e32 v98, 0
	s_waitcnt lgkmcnt(0)
	; wave barrier
	s_waitcnt lgkmcnt(0)
	ds_read_b128 v[14:17], v98 offset:448
	ds_read_b128 v[10:13], v98 offset:464
	;; [unrolled: 1-line block ×4, first 2 shown]
	buffer_load_dword v96, off, s[0:3], 0 offset:120
	buffer_load_dword v97, off, s[0:3], 0 offset:124
	;; [unrolled: 1-line block ×18, first 2 shown]
	v_cmp_lt_u32_e32 vcc, 14, v0
	s_waitcnt vmcnt(14) lgkmcnt(3)
	v_mul_f32_e32 v100, v14, v116
	v_fmac_f32_e32 v100, v15, v99
	s_waitcnt vmcnt(12)
	v_mul_f32_e32 v101, v16, v120
	v_add_f32_e32 v100, 0, v100
	v_fmac_f32_e32 v101, v17, v118
	v_add_f32_e32 v100, v100, v101
	s_waitcnt vmcnt(10) lgkmcnt(2)
	v_mul_f32_e32 v101, v10, v139
	v_fmac_f32_e32 v101, v11, v138
	v_add_f32_e32 v100, v100, v101
	s_waitcnt vmcnt(8)
	v_mul_f32_e32 v101, v12, v141
	v_fmac_f32_e32 v101, v13, v140
	v_add_f32_e32 v100, v100, v101
	s_waitcnt vmcnt(6) lgkmcnt(1)
	v_mul_f32_e32 v101, v6, v143
	v_fmac_f32_e32 v101, v7, v142
	v_add_f32_e32 v100, v100, v101
	s_waitcnt vmcnt(4)
	v_mul_f32_e32 v101, v8, v145
	;; [unrolled: 8-line block ×3, first 2 shown]
	v_fmac_f32_e32 v101, v5, v148
	v_add_f32_e32 v104, v100, v101
	ds_read_b128 v[100:103], v98 offset:512
	buffer_load_dword v150, off, s[0:3], 0 offset:192
	buffer_load_dword v151, off, s[0:3], 0 offset:196
	;; [unrolled: 1-line block ×4, first 2 shown]
	v_mul_f32_e32 v15, v15, v116
	v_fma_f32 v14, v14, v99, -v15
	v_mul_f32_e32 v15, v17, v120
	v_add_f32_e32 v14, 0, v14
	v_fma_f32 v15, v16, v118, -v15
	v_mul_f32_e32 v11, v11, v139
	v_add_f32_e32 v14, v14, v15
	;; [unrolled: 3-line block ×7, first 2 shown]
	v_fma_f32 v3, v4, v148, -v3
	v_add_f32_e32 v2, v2, v3
	s_waitcnt vmcnt(2) lgkmcnt(0)
	v_mul_f32_e32 v105, v100, v151
	v_fmac_f32_e32 v105, v101, v150
	v_add_f32_e32 v104, v104, v105
	s_waitcnt vmcnt(0)
	v_mul_f32_e32 v105, v102, v153
	v_fmac_f32_e32 v105, v103, v152
	v_add_f32_e32 v108, v104, v105
	ds_read_b128 v[104:107], v98 offset:528
	buffer_load_dword v154, off, s[0:3], 0 offset:208
	buffer_load_dword v155, off, s[0:3], 0 offset:212
	;; [unrolled: 1-line block ×4, first 2 shown]
	v_mul_f32_e32 v3, v101, v151
	v_fma_f32 v3, v100, v150, -v3
	v_add_f32_e32 v2, v2, v3
	v_mul_f32_e32 v3, v103, v153
	v_fma_f32 v3, v102, v152, -v3
	v_add_f32_e32 v2, v2, v3
	s_waitcnt vmcnt(2) lgkmcnt(0)
	v_mul_f32_e32 v109, v104, v155
	v_fmac_f32_e32 v109, v105, v154
	v_add_f32_e32 v108, v108, v109
	s_waitcnt vmcnt(0)
	v_mul_f32_e32 v109, v106, v157
	v_fmac_f32_e32 v109, v107, v156
	v_add_f32_e32 v112, v108, v109
	ds_read_b128 v[108:111], v98 offset:544
	buffer_load_dword v158, off, s[0:3], 0 offset:224
	buffer_load_dword v159, off, s[0:3], 0 offset:228
	;; [unrolled: 1-line block ×4, first 2 shown]
	v_mul_f32_e32 v3, v105, v155
	v_fma_f32 v3, v104, v154, -v3
	v_add_f32_e32 v2, v2, v3
	v_mul_f32_e32 v3, v107, v157
	v_fma_f32 v3, v106, v156, -v3
	v_add_f32_e32 v2, v2, v3
	s_waitcnt vmcnt(2) lgkmcnt(0)
	v_mul_f32_e32 v113, v108, v159
	v_fmac_f32_e32 v113, v109, v158
	v_add_f32_e32 v117, v112, v113
	ds_read_b128 v[112:115], v98 offset:560
	buffer_load_dword v162, off, s[0:3], 0 offset:240
	buffer_load_dword v163, off, s[0:3], 0 offset:244
	;; [unrolled: 1-line block ×18, first 2 shown]
	v_mul_f32_e32 v3, v109, v159
	v_fma_f32 v3, v108, v158, -v3
	v_add_f32_e32 v116, v2, v3
	s_waitcnt vmcnt(18)
	v_mul_f32_e32 v2, v111, v161
	v_mul_f32_e32 v119, v110, v161
	v_fma_f32 v118, v110, v160, -v2
	v_fmac_f32_e32 v119, v111, v160
	v_pk_add_f32 v[16:17], v[116:117], v[118:119]
	s_waitcnt vmcnt(15)
	v_mov_b32_e32 v100, v123
	s_waitcnt lgkmcnt(0)
	v_pk_mul_f32 v[100:101], v[114:115], v[100:101] op_sel_hi:[1,0]
	s_waitcnt vmcnt(14)
	v_pk_fma_f32 v[102:103], v[114:115], v[122:123], v[100:101] op_sel:[0,0,1] op_sel_hi:[1,1,0] neg_lo:[0,0,1] neg_hi:[0,0,1]
	v_pk_fma_f32 v[100:101], v[114:115], v[122:123], v[100:101] op_sel:[0,0,1] op_sel_hi:[1,0,0]
	s_waitcnt vmcnt(13)
	v_mov_b32_e32 v100, v125
	v_mov_b32_e32 v103, v101
	v_mul_f32_e32 v2, v113, v163
	v_mul_f32_e32 v121, v112, v163
	v_fma_f32 v120, v112, v162, -v2
	ds_read_b128 v[2:5], v98 offset:576
	ds_read_b128 v[6:9], v98 offset:592
	;; [unrolled: 1-line block ×3, first 2 shown]
	ds_read_b64 v[14:15], v98 offset:624
	v_fmac_f32_e32 v121, v113, v162
	v_pk_add_f32 v[16:17], v[16:17], v[120:121]
	s_waitcnt lgkmcnt(3)
	v_pk_mul_f32 v[100:101], v[2:3], v[100:101] op_sel_hi:[1,0]
	v_pk_add_f32 v[16:17], v[16:17], v[102:103]
	s_waitcnt vmcnt(12)
	v_pk_fma_f32 v[102:103], v[2:3], v[124:125], v[100:101] op_sel:[0,0,1] op_sel_hi:[1,1,0] neg_lo:[0,0,1] neg_hi:[0,0,1]
	v_pk_fma_f32 v[2:3], v[2:3], v[124:125], v[100:101] op_sel:[0,0,1] op_sel_hi:[1,0,0]
	v_mov_b32_e32 v103, v3
	v_pk_add_f32 v[2:3], v[16:17], v[102:103]
	s_waitcnt vmcnt(11)
	v_mov_b32_e32 v16, v127
	v_pk_mul_f32 v[16:17], v[4:5], v[16:17] op_sel_hi:[1,0]
	s_waitcnt vmcnt(10)
	v_pk_fma_f32 v[100:101], v[4:5], v[126:127], v[16:17] op_sel:[0,0,1] op_sel_hi:[1,1,0] neg_lo:[0,0,1] neg_hi:[0,0,1]
	v_pk_fma_f32 v[4:5], v[4:5], v[126:127], v[16:17] op_sel:[0,0,1] op_sel_hi:[1,0,0]
	s_waitcnt vmcnt(9)
	v_mov_b32_e32 v4, v129
	v_mov_b32_e32 v101, v5
	s_waitcnt lgkmcnt(2)
	v_pk_mul_f32 v[4:5], v[6:7], v[4:5] op_sel_hi:[1,0]
	s_waitcnt vmcnt(8)
	v_pk_fma_f32 v[16:17], v[6:7], v[128:129], v[4:5] op_sel:[0,0,1] op_sel_hi:[1,1,0] neg_lo:[0,0,1] neg_hi:[0,0,1]
	v_pk_fma_f32 v[4:5], v[6:7], v[128:129], v[4:5] op_sel:[0,0,1] op_sel_hi:[1,0,0]
	s_waitcnt vmcnt(7)
	v_mov_b32_e32 v4, v131
	v_mov_b32_e32 v17, v5
	v_pk_mul_f32 v[4:5], v[8:9], v[4:5] op_sel_hi:[1,0]
	s_waitcnt vmcnt(6)
	v_pk_fma_f32 v[6:7], v[8:9], v[130:131], v[4:5] op_sel:[0,0,1] op_sel_hi:[1,1,0] neg_lo:[0,0,1] neg_hi:[0,0,1]
	v_pk_fma_f32 v[4:5], v[8:9], v[130:131], v[4:5] op_sel:[0,0,1] op_sel_hi:[1,0,0]
	v_pk_add_f32 v[2:3], v[2:3], v[100:101]
	s_waitcnt vmcnt(5)
	v_mov_b32_e32 v4, v133
	v_pk_add_f32 v[2:3], v[2:3], v[16:17]
	v_mov_b32_e32 v7, v5
	s_waitcnt lgkmcnt(1)
	v_pk_mul_f32 v[4:5], v[10:11], v[4:5] op_sel_hi:[1,0]
	v_pk_add_f32 v[2:3], v[2:3], v[6:7]
	s_waitcnt vmcnt(4)
	v_pk_fma_f32 v[6:7], v[10:11], v[132:133], v[4:5] op_sel:[0,0,1] op_sel_hi:[1,1,0] neg_lo:[0,0,1] neg_hi:[0,0,1]
	v_pk_fma_f32 v[4:5], v[10:11], v[132:133], v[4:5] op_sel:[0,0,1] op_sel_hi:[1,0,0]
	s_waitcnt vmcnt(3)
	v_mov_b32_e32 v4, v135
	v_mov_b32_e32 v7, v5
	v_pk_mul_f32 v[4:5], v[12:13], v[4:5] op_sel_hi:[1,0]
	v_pk_add_f32 v[2:3], v[2:3], v[6:7]
	s_waitcnt vmcnt(2)
	v_pk_fma_f32 v[6:7], v[12:13], v[134:135], v[4:5] op_sel:[0,0,1] op_sel_hi:[1,1,0] neg_lo:[0,0,1] neg_hi:[0,0,1]
	v_pk_fma_f32 v[4:5], v[12:13], v[134:135], v[4:5] op_sel:[0,0,1] op_sel_hi:[1,0,0]
	s_waitcnt vmcnt(1)
	v_mov_b32_e32 v4, v137
	v_mov_b32_e32 v7, v5
	s_waitcnt lgkmcnt(0)
	v_pk_mul_f32 v[4:5], v[14:15], v[4:5] op_sel_hi:[1,0]
	v_pk_add_f32 v[2:3], v[2:3], v[6:7]
	s_waitcnt vmcnt(0)
	v_pk_fma_f32 v[6:7], v[14:15], v[136:137], v[4:5] op_sel:[0,0,1] op_sel_hi:[1,1,0] neg_lo:[0,0,1] neg_hi:[0,0,1]
	v_pk_fma_f32 v[4:5], v[14:15], v[136:137], v[4:5] op_sel:[0,0,1] op_sel_hi:[1,0,0]
	v_mov_b32_e32 v7, v5
	v_pk_add_f32 v[2:3], v[2:3], v[6:7]
	v_pk_add_f32 v[2:3], v[96:97], v[2:3] neg_lo:[0,1] neg_hi:[0,1]
	buffer_store_dword v3, off, s[0:3], 0 offset:124
	buffer_store_dword v2, off, s[0:3], 0 offset:120
	s_and_saveexec_b64 s[4:5], vcc
	s_cbranch_execz .LBB102_219
; %bb.218:
	buffer_load_dword v2, off, s[0:3], 0 offset:112
	buffer_load_dword v3, off, s[0:3], 0 offset:116
	s_waitcnt vmcnt(0)
	ds_write_b64 v1, v[2:3]
	buffer_store_dword v98, off, s[0:3], 0 offset:112
	buffer_store_dword v98, off, s[0:3], 0 offset:116
.LBB102_219:
	s_or_b64 exec, exec, s[4:5]
	s_waitcnt lgkmcnt(0)
	; wave barrier
	s_waitcnt lgkmcnt(0)
	buffer_load_dword v96, off, s[0:3], 0 offset:124
	buffer_load_dword v97, off, s[0:3], 0 offset:132
	;; [unrolled: 1-line block ×34, first 2 shown]
	ds_read2_b64 v[4:7], v98 offset0:55 offset1:56
	ds_read2_b64 v[8:11], v98 offset0:57 offset1:58
	;; [unrolled: 1-line block ×8, first 2 shown]
	buffer_load_dword v17, off, s[0:3], 0 offset:268
	buffer_load_dword v16, off, s[0:3], 0 offset:264
	;; [unrolled: 1-line block ×10, first 2 shown]
	v_cmp_lt_u32_e32 vcc, 13, v0
	s_waitcnt vmcnt(43) lgkmcnt(7)
	v_mul_f32_e32 v124, v4, v96
	s_waitcnt vmcnt(42)
	v_mul_f32_e32 v128, v6, v97
	s_waitcnt vmcnt(41) lgkmcnt(6)
	v_mul_f32_e32 v130, v8, v99
	s_waitcnt vmcnt(40)
	v_mul_f32_e32 v131, v10, v132
	;; [unrolled: 4-line block ×7, first 2 shown]
	s_waitcnt vmcnt(29)
	v_fmac_f32_e32 v124, v5, v148
	s_waitcnt vmcnt(28)
	v_fmac_f32_e32 v128, v7, v149
	v_add_f32_e32 v124, 0, v124
	s_waitcnt vmcnt(27)
	v_fmac_f32_e32 v130, v9, v150
	v_add_f32_e32 v124, v124, v128
	s_waitcnt vmcnt(26)
	v_fmac_f32_e32 v131, v11, v151
	v_add_f32_e32 v124, v124, v130
	s_waitcnt vmcnt(25)
	v_fmac_f32_e32 v133, v13, v152
	v_add_f32_e32 v124, v124, v131
	s_waitcnt vmcnt(24)
	v_fmac_f32_e32 v135, v15, v153
	v_add_f32_e32 v124, v124, v133
	s_waitcnt vmcnt(23)
	v_fmac_f32_e32 v137, v101, v154
	v_add_f32_e32 v124, v124, v135
	s_waitcnt vmcnt(22)
	v_fmac_f32_e32 v138, v103, v155
	v_add_f32_e32 v124, v124, v137
	s_waitcnt vmcnt(21)
	v_fmac_f32_e32 v139, v105, v156
	v_add_f32_e32 v124, v124, v138
	s_waitcnt vmcnt(20)
	v_fmac_f32_e32 v166, v107, v157
	v_add_f32_e32 v124, v124, v139
	s_waitcnt vmcnt(19)
	v_fmac_f32_e32 v167, v109, v158
	v_add_f32_e32 v124, v124, v166
	s_waitcnt vmcnt(18)
	v_fmac_f32_e32 v168, v111, v159
	v_add_f32_e32 v124, v124, v167
	s_waitcnt vmcnt(17)
	v_fmac_f32_e32 v169, v113, v160
	v_add_f32_e32 v124, v124, v168
	v_add_f32_e32 v133, v124, v169
	buffer_load_dword v128, off, s[0:3], 0 offset:288
	buffer_load_dword v131, off, s[0:3], 0 offset:284
	;; [unrolled: 1-line block ×6, first 2 shown]
	v_mul_f32_e32 v5, v5, v96
	v_fma_f32 v4, v4, v148, -v5
	v_mul_f32_e32 v5, v7, v97
	v_add_f32_e32 v4, 0, v4
	v_fma_f32 v5, v6, v149, -v5
	v_add_f32_e32 v4, v4, v5
	v_mul_f32_e32 v5, v9, v99
	v_fma_f32 v5, v8, v150, -v5
	v_add_f32_e32 v4, v4, v5
	v_mul_f32_e32 v5, v11, v132
	;; [unrolled: 3-line block ×12, first 2 shown]
	s_waitcnt vmcnt(22)
	v_fma_f32 v5, v114, v161, -v5
	v_add_f32_e32 v132, v4, v5
	s_waitcnt vmcnt(21) lgkmcnt(0)
	v_mul_f32_e32 v4, v117, v162
	s_waitcnt vmcnt(20)
	v_fma_f32 v134, v116, v163, -v4
	s_waitcnt vmcnt(19)
	v_mul_f32_e32 v4, v119, v164
	s_waitcnt vmcnt(18)
	v_fma_f32 v136, v118, v165, -v4
	ds_read2_b64 v[4:7], v98 offset0:71 offset1:72
	ds_read2_b64 v[8:11], v98 offset0:73 offset1:74
	;; [unrolled: 1-line block ×4, first 2 shown]
	v_fmac_f32_e32 v170, v115, v161
	v_mul_f32_e32 v135, v116, v162
	s_waitcnt vmcnt(11)
	v_mov_b32_e32 v102, v123
	v_add_f32_e32 v133, v133, v170
	v_fmac_f32_e32 v135, v117, v163
	v_mul_f32_e32 v137, v118, v164
	s_waitcnt lgkmcnt(3)
	v_pk_mul_f32 v[102:103], v[4:5], v[102:103] op_sel_hi:[1,0]
	v_fmac_f32_e32 v137, v119, v165
	v_pk_add_f32 v[100:101], v[132:133], v[134:135]
	s_waitcnt vmcnt(10)
	v_pk_fma_f32 v[104:105], v[4:5], v[122:123], v[102:103] op_sel:[0,0,1] op_sel_hi:[1,1,0] neg_lo:[0,0,1] neg_hi:[0,0,1]
	v_pk_fma_f32 v[4:5], v[4:5], v[122:123], v[102:103] op_sel:[0,0,1] op_sel_hi:[1,0,0]
	v_pk_add_f32 v[100:101], v[100:101], v[136:137]
	v_mov_b32_e32 v105, v5
	v_pk_add_f32 v[4:5], v[100:101], v[104:105]
	v_mov_b32_e32 v100, v121
	v_pk_mul_f32 v[100:101], v[6:7], v[100:101] op_sel_hi:[1,0]
	v_pk_fma_f32 v[102:103], v[6:7], v[120:121], v[100:101] op_sel:[0,0,1] op_sel_hi:[1,1,0] neg_lo:[0,0,1] neg_hi:[0,0,1]
	v_pk_fma_f32 v[6:7], v[6:7], v[120:121], v[100:101] op_sel:[0,0,1] op_sel_hi:[1,0,0]
	v_mov_b32_e32 v6, v17
	v_mov_b32_e32 v103, v7
	s_waitcnt lgkmcnt(2)
	v_pk_mul_f32 v[6:7], v[8:9], v[6:7] op_sel_hi:[1,0]
	v_pk_fma_f32 v[100:101], v[8:9], v[16:17], v[6:7] op_sel:[0,0,1] op_sel_hi:[1,1,0] neg_lo:[0,0,1] neg_hi:[0,0,1]
	v_pk_fma_f32 v[6:7], v[8:9], v[16:17], v[6:7] op_sel:[0,0,1] op_sel_hi:[1,0,0]
	s_waitcnt vmcnt(9)
	v_mov_b32_e32 v6, v125
	v_mov_b32_e32 v101, v7
	v_pk_mul_f32 v[6:7], v[10:11], v[6:7] op_sel_hi:[1,0]
	v_pk_add_f32 v[4:5], v[4:5], v[102:103]
	v_pk_add_f32 v[4:5], v[4:5], v[100:101]
	s_waitcnt vmcnt(2)
	v_pk_fma_f32 v[8:9], v[10:11], v[124:125], v[6:7] op_sel:[0,0,1] op_sel_hi:[1,1,0] neg_lo:[0,0,1] neg_hi:[0,0,1]
	v_pk_fma_f32 v[6:7], v[10:11], v[124:125], v[6:7] op_sel:[0,0,1] op_sel_hi:[1,0,0]
	v_mov_b32_e32 v6, v131
	v_mov_b32_e32 v9, v7
	s_waitcnt lgkmcnt(1)
	v_pk_mul_f32 v[6:7], v[12:13], v[6:7] op_sel_hi:[1,0]
	v_pk_add_f32 v[4:5], v[4:5], v[8:9]
	v_pk_fma_f32 v[8:9], v[12:13], v[130:131], v[6:7] op_sel:[0,0,1] op_sel_hi:[1,1,0] neg_lo:[0,0,1] neg_hi:[0,0,1]
	v_pk_fma_f32 v[6:7], v[12:13], v[130:131], v[6:7] op_sel:[0,0,1] op_sel_hi:[1,0,0]
	v_mov_b32_e32 v6, v129
	v_mov_b32_e32 v9, v7
	v_pk_mul_f32 v[6:7], v[14:15], v[6:7] op_sel_hi:[1,0]
	v_pk_add_f32 v[4:5], v[4:5], v[8:9]
	v_pk_fma_f32 v[8:9], v[14:15], v[128:129], v[6:7] op_sel:[0,0,1] op_sel_hi:[1,1,0] neg_lo:[0,0,1] neg_hi:[0,0,1]
	v_pk_fma_f32 v[6:7], v[14:15], v[128:129], v[6:7] op_sel:[0,0,1] op_sel_hi:[1,0,0]
	v_mov_b32_e32 v6, v127
	v_mov_b32_e32 v9, v7
	s_waitcnt lgkmcnt(0)
	v_pk_mul_f32 v[6:7], v[96:97], v[6:7] op_sel_hi:[1,0]
	v_pk_add_f32 v[4:5], v[4:5], v[8:9]
	v_pk_fma_f32 v[8:9], v[96:97], v[126:127], v[6:7] op_sel:[0,0,1] op_sel_hi:[1,1,0] neg_lo:[0,0,1] neg_hi:[0,0,1]
	v_pk_fma_f32 v[6:7], v[96:97], v[126:127], v[6:7] op_sel:[0,0,1] op_sel_hi:[1,0,0]
	s_waitcnt vmcnt(1)
	v_mov_b32_e32 v6, v139
	v_mov_b32_e32 v9, v7
	v_pk_mul_f32 v[6:7], v[98:99], v[6:7] op_sel_hi:[1,0]
	v_pk_add_f32 v[4:5], v[4:5], v[8:9]
	s_waitcnt vmcnt(0)
	v_pk_fma_f32 v[8:9], v[98:99], v[138:139], v[6:7] op_sel:[0,0,1] op_sel_hi:[1,1,0] neg_lo:[0,0,1] neg_hi:[0,0,1]
	v_pk_fma_f32 v[6:7], v[98:99], v[138:139], v[6:7] op_sel:[0,0,1] op_sel_hi:[1,0,0]
	v_mov_b32_e32 v9, v7
	v_pk_add_f32 v[4:5], v[4:5], v[8:9]
	v_pk_add_f32 v[2:3], v[2:3], v[4:5] neg_lo:[0,1] neg_hi:[0,1]
	buffer_store_dword v3, off, s[0:3], 0 offset:116
	buffer_store_dword v2, off, s[0:3], 0 offset:112
	s_and_saveexec_b64 s[4:5], vcc
	s_cbranch_execz .LBB102_221
; %bb.220:
	buffer_load_dword v2, off, s[0:3], 0 offset:104
	buffer_load_dword v3, off, s[0:3], 0 offset:108
	v_mov_b32_e32 v4, 0
	buffer_store_dword v4, off, s[0:3], 0 offset:104
	buffer_store_dword v4, off, s[0:3], 0 offset:108
	s_waitcnt vmcnt(2)
	ds_write_b64 v1, v[2:3]
.LBB102_221:
	s_or_b64 exec, exec, s[4:5]
	s_waitcnt lgkmcnt(0)
	; wave barrier
	s_waitcnt lgkmcnt(0)
	buffer_load_dword v5, off, s[0:3], 0 offset:116
	buffer_load_dword v136, off, s[0:3], 0 offset:124
	;; [unrolled: 1-line block ×36, first 2 shown]
	v_mov_b32_e32 v4, 0
	buffer_load_dword v125, off, s[0:3], 0 offset:260
	buffer_load_dword v124, off, s[0:3], 0 offset:256
	;; [unrolled: 1-line block ×5, first 2 shown]
	ds_read_b128 v[6:9], v4 offset:432
	ds_read_b128 v[10:13], v4 offset:448
	;; [unrolled: 1-line block ×8, first 2 shown]
	v_cmp_lt_u32_e32 vcc, 12, v0
	s_waitcnt vmcnt(40) lgkmcnt(7)
	v_mul_f32_e32 v116, v6, v5
	s_waitcnt vmcnt(39)
	v_mul_f32_e32 v117, v8, v136
	s_waitcnt vmcnt(38) lgkmcnt(6)
	v_mul_f32_e32 v118, v10, v138
	s_waitcnt vmcnt(37)
	v_mul_f32_e32 v119, v12, v140
	;; [unrolled: 4-line block ×7, first 2 shown]
	s_waitcnt vmcnt(26) lgkmcnt(0)
	v_mul_f32_e32 v137, v112, v156
	s_waitcnt vmcnt(25)
	v_fmac_f32_e32 v116, v7, v157
	s_waitcnt vmcnt(24)
	v_fmac_f32_e32 v117, v9, v158
	v_add_f32_e32 v116, 0, v116
	s_waitcnt vmcnt(23)
	v_fmac_f32_e32 v118, v11, v159
	v_add_f32_e32 v116, v116, v117
	;; [unrolled: 3-line block ×13, first 2 shown]
	v_add_f32_e32 v120, v116, v134
	buffer_load_dword v131, off, s[0:3], 0 offset:292
	buffer_load_dword v130, off, s[0:3], 0 offset:288
	buffer_load_dword v133, off, s[0:3], 0 offset:284
	buffer_load_dword v132, off, s[0:3], 0 offset:280
	buffer_load_dword v135, off, s[0:3], 0 offset:276
	buffer_load_dword v134, off, s[0:3], 0 offset:272
	buffer_load_dword v128, off, s[0:3], 0 offset:264
	s_waitcnt vmcnt(18)
	v_fmac_f32_e32 v137, v113, v171
	ds_read_b128 v[116:119], v4 offset:560
	v_add_f32_e32 v137, v120, v137
	ds_read_b128 v[120:123], v4 offset:576
	buffer_load_dword v143, off, s[0:3], 0 offset:308
	buffer_load_dword v142, off, s[0:3], 0 offset:304
	;; [unrolled: 1-line block ×4, first 2 shown]
	v_mul_f32_e32 v5, v7, v5
	v_fma_f32 v5, v6, v157, -v5
	v_mul_f32_e32 v6, v9, v136
	v_add_f32_e32 v5, 0, v5
	v_fma_f32 v6, v8, v158, -v6
	v_add_f32_e32 v5, v5, v6
	v_mul_f32_e32 v6, v11, v138
	v_fma_f32 v6, v10, v159, -v6
	v_add_f32_e32 v5, v5, v6
	v_mul_f32_e32 v6, v13, v140
	;; [unrolled: 3-line block ×13, first 2 shown]
	v_fma_f32 v6, v112, v171, -v6
	s_waitcnt vmcnt(13)
	v_mov_b32_e32 v96, v127
	v_mul_f32_e32 v139, v114, v172
	v_add_f32_e32 v136, v5, v6
	v_mul_f32_e32 v5, v115, v172
	s_waitcnt lgkmcnt(1)
	v_pk_mul_f32 v[96:97], v[118:119], v[96:97] op_sel_hi:[1,0]
	v_fmac_f32_e32 v139, v115, v173
	v_mul_f32_e32 v141, v116, v174
	v_fma_f32 v138, v114, v173, -v5
	v_mul_f32_e32 v5, v117, v174
	s_waitcnt vmcnt(12)
	v_pk_fma_f32 v[98:99], v[118:119], v[126:127], v[96:97] op_sel:[0,0,1] op_sel_hi:[1,1,0] neg_lo:[0,0,1] neg_hi:[0,0,1]
	v_pk_fma_f32 v[96:97], v[118:119], v[126:127], v[96:97] op_sel:[0,0,1] op_sel_hi:[1,0,0]
	v_fmac_f32_e32 v141, v117, v175
	v_fma_f32 v140, v116, v175, -v5
	v_pk_add_f32 v[16:17], v[136:137], v[138:139]
	v_mov_b32_e32 v96, v125
	v_pk_add_f32 v[16:17], v[16:17], v[140:141]
	v_mov_b32_e32 v99, v97
	s_waitcnt lgkmcnt(0)
	v_pk_mul_f32 v[96:97], v[120:121], v[96:97] op_sel_hi:[1,0]
	v_pk_add_f32 v[16:17], v[16:17], v[98:99]
	v_pk_fma_f32 v[98:99], v[120:121], v[124:125], v[96:97] op_sel:[0,0,1] op_sel_hi:[1,1,0] neg_lo:[0,0,1] neg_hi:[0,0,1]
	v_pk_fma_f32 v[96:97], v[120:121], v[124:125], v[96:97] op_sel:[0,0,1] op_sel_hi:[1,0,0]
	s_waitcnt vmcnt(11)
	v_mov_b32_e32 v96, v129
	ds_read_b128 v[6:9], v4 offset:592
	ds_read_b128 v[10:13], v4 offset:608
	ds_read_b64 v[14:15], v4 offset:624
	v_mov_b32_e32 v99, v97
	v_pk_mul_f32 v[96:97], v[122:123], v[96:97] op_sel_hi:[1,0]
	v_pk_add_f32 v[16:17], v[16:17], v[98:99]
	s_waitcnt vmcnt(4)
	v_pk_fma_f32 v[98:99], v[122:123], v[128:129], v[96:97] op_sel:[0,0,1] op_sel_hi:[1,1,0] neg_lo:[0,0,1] neg_hi:[0,0,1]
	v_pk_fma_f32 v[96:97], v[122:123], v[128:129], v[96:97] op_sel:[0,0,1] op_sel_hi:[1,0,0]
	v_mov_b32_e32 v96, v135
	v_mov_b32_e32 v99, v97
	s_waitcnt lgkmcnt(2)
	v_pk_mul_f32 v[96:97], v[6:7], v[96:97] op_sel_hi:[1,0]
	v_pk_add_f32 v[16:17], v[16:17], v[98:99]
	v_pk_fma_f32 v[98:99], v[6:7], v[134:135], v[96:97] op_sel:[0,0,1] op_sel_hi:[1,1,0] neg_lo:[0,0,1] neg_hi:[0,0,1]
	v_pk_fma_f32 v[6:7], v[6:7], v[134:135], v[96:97] op_sel:[0,0,1] op_sel_hi:[1,0,0]
	v_mov_b32_e32 v99, v7
	v_pk_add_f32 v[6:7], v[16:17], v[98:99]
	v_mov_b32_e32 v16, v133
	v_pk_mul_f32 v[16:17], v[8:9], v[16:17] op_sel_hi:[1,0]
	v_pk_fma_f32 v[96:97], v[8:9], v[132:133], v[16:17] op_sel:[0,0,1] op_sel_hi:[1,1,0] neg_lo:[0,0,1] neg_hi:[0,0,1]
	v_pk_fma_f32 v[8:9], v[8:9], v[132:133], v[16:17] op_sel:[0,0,1] op_sel_hi:[1,0,0]
	v_mov_b32_e32 v8, v131
	v_mov_b32_e32 v97, v9
	s_waitcnt lgkmcnt(1)
	v_pk_mul_f32 v[8:9], v[10:11], v[8:9] op_sel_hi:[1,0]
	v_pk_fma_f32 v[16:17], v[10:11], v[130:131], v[8:9] op_sel:[0,0,1] op_sel_hi:[1,1,0] neg_lo:[0,0,1] neg_hi:[0,0,1]
	v_pk_fma_f32 v[8:9], v[10:11], v[130:131], v[8:9] op_sel:[0,0,1] op_sel_hi:[1,0,0]
	s_waitcnt vmcnt(1)
	v_mov_b32_e32 v8, v145
	v_mov_b32_e32 v17, v9
	v_pk_mul_f32 v[8:9], v[12:13], v[8:9] op_sel_hi:[1,0]
	s_waitcnt vmcnt(0)
	v_pk_fma_f32 v[10:11], v[12:13], v[144:145], v[8:9] op_sel:[0,0,1] op_sel_hi:[1,1,0] neg_lo:[0,0,1] neg_hi:[0,0,1]
	v_pk_fma_f32 v[8:9], v[12:13], v[144:145], v[8:9] op_sel:[0,0,1] op_sel_hi:[1,0,0]
	v_pk_add_f32 v[6:7], v[6:7], v[96:97]
	v_mov_b32_e32 v8, v143
	v_pk_add_f32 v[6:7], v[6:7], v[16:17]
	v_mov_b32_e32 v11, v9
	s_waitcnt lgkmcnt(0)
	v_pk_mul_f32 v[8:9], v[14:15], v[8:9] op_sel_hi:[1,0]
	v_pk_add_f32 v[6:7], v[6:7], v[10:11]
	v_pk_fma_f32 v[10:11], v[14:15], v[142:143], v[8:9] op_sel:[0,0,1] op_sel_hi:[1,1,0] neg_lo:[0,0,1] neg_hi:[0,0,1]
	v_pk_fma_f32 v[8:9], v[14:15], v[142:143], v[8:9] op_sel:[0,0,1] op_sel_hi:[1,0,0]
	v_mov_b32_e32 v11, v9
	v_pk_add_f32 v[6:7], v[6:7], v[10:11]
	v_pk_add_f32 v[2:3], v[2:3], v[6:7] neg_lo:[0,1] neg_hi:[0,1]
	buffer_store_dword v3, off, s[0:3], 0 offset:108
	buffer_store_dword v2, off, s[0:3], 0 offset:104
	s_and_saveexec_b64 s[4:5], vcc
	s_cbranch_execz .LBB102_223
; %bb.222:
	buffer_load_dword v2, off, s[0:3], 0 offset:96
	buffer_load_dword v3, off, s[0:3], 0 offset:100
	s_waitcnt vmcnt(0)
	ds_write_b64 v1, v[2:3]
	buffer_store_dword v4, off, s[0:3], 0 offset:96
	buffer_store_dword v4, off, s[0:3], 0 offset:100
.LBB102_223:
	s_or_b64 exec, exec, s[4:5]
	s_waitcnt lgkmcnt(0)
	; wave barrier
	s_waitcnt lgkmcnt(0)
	buffer_load_dword v2, off, s[0:3], 0 offset:108
	buffer_load_dword v3, off, s[0:3], 0 offset:116
	;; [unrolled: 1-line block ×38, first 2 shown]
	ds_read2_b64 v[6:9], v4 offset0:53 offset1:54
	ds_read2_b64 v[10:13], v4 offset0:55 offset1:56
	;; [unrolled: 1-line block ×8, first 2 shown]
	buffer_load_dword v127, off, s[0:3], 0 offset:252
	buffer_load_dword v126, off, s[0:3], 0 offset:248
	;; [unrolled: 1-line block ×4, first 2 shown]
	v_cmp_lt_u32_e32 vcc, 11, v0
	s_waitcnt vmcnt(41) lgkmcnt(7)
	v_mul_f32_e32 v116, v6, v2
	s_waitcnt vmcnt(40)
	v_mul_f32_e32 v117, v8, v3
	s_waitcnt vmcnt(39) lgkmcnt(6)
	v_mul_f32_e32 v118, v10, v5
	s_waitcnt vmcnt(38)
	v_mul_f32_e32 v119, v12, v136
	;; [unrolled: 4-line block ×7, first 2 shown]
	s_waitcnt vmcnt(27) lgkmcnt(0)
	v_mul_f32_e32 v137, v112, v156
	s_waitcnt vmcnt(26)
	v_fmac_f32_e32 v116, v7, v157
	s_waitcnt vmcnt(25)
	v_fmac_f32_e32 v117, v9, v158
	v_add_f32_e32 v116, 0, v116
	s_waitcnt vmcnt(24)
	v_fmac_f32_e32 v118, v11, v159
	v_add_f32_e32 v116, v116, v117
	s_waitcnt vmcnt(23)
	v_fmac_f32_e32 v119, v13, v160
	v_add_f32_e32 v116, v116, v118
	s_waitcnt vmcnt(22)
	v_fmac_f32_e32 v120, v15, v161
	v_add_f32_e32 v116, v116, v119
	s_waitcnt vmcnt(21)
	v_fmac_f32_e32 v121, v17, v162
	v_add_f32_e32 v116, v116, v120
	s_waitcnt vmcnt(20)
	v_fmac_f32_e32 v122, v97, v163
	v_add_f32_e32 v116, v116, v121
	s_waitcnt vmcnt(19)
	v_fmac_f32_e32 v123, v99, v164
	v_add_f32_e32 v116, v116, v122
	s_waitcnt vmcnt(18)
	v_fmac_f32_e32 v130, v101, v165
	v_add_f32_e32 v116, v116, v123
	s_waitcnt vmcnt(17)
	v_fmac_f32_e32 v131, v103, v166
	v_add_f32_e32 v116, v116, v130
	s_waitcnt vmcnt(16)
	v_fmac_f32_e32 v132, v105, v167
	v_add_f32_e32 v116, v116, v131
	s_waitcnt vmcnt(15)
	v_fmac_f32_e32 v133, v107, v168
	v_add_f32_e32 v116, v116, v132
	s_waitcnt vmcnt(14)
	v_fmac_f32_e32 v134, v109, v169
	v_add_f32_e32 v116, v116, v133
	s_waitcnt vmcnt(13)
	v_fmac_f32_e32 v135, v111, v170
	v_add_f32_e32 v116, v116, v134
	v_add_f32_e32 v116, v116, v135
	buffer_load_dword v131, off, s[0:3], 0 offset:276
	buffer_load_dword v130, off, s[0:3], 0 offset:272
	;; [unrolled: 1-line block ×6, first 2 shown]
	s_waitcnt vmcnt(18)
	v_fmac_f32_e32 v137, v113, v171
	s_waitcnt vmcnt(17)
	v_mul_f32_e32 v121, v114, v172
	v_add_f32_e32 v120, v116, v137
	s_waitcnt vmcnt(16)
	v_fmac_f32_e32 v121, v115, v173
	ds_read2_b64 v[116:119], v4 offset0:69 offset1:70
	v_add_f32_e32 v137, v120, v121
	ds_read2_b64 v[120:123], v4 offset0:71 offset1:72
	buffer_load_dword v143, off, s[0:3], 0 offset:308
	buffer_load_dword v142, off, s[0:3], 0 offset:304
	;; [unrolled: 1-line block ×6, first 2 shown]
	v_mul_f32_e32 v2, v7, v2
	v_fma_f32 v2, v6, v157, -v2
	v_mul_f32_e32 v3, v9, v3
	v_add_f32_e32 v2, 0, v2
	v_fma_f32 v3, v8, v158, -v3
	v_add_f32_e32 v2, v2, v3
	v_mul_f32_e32 v3, v11, v5
	v_fma_f32 v3, v10, v159, -v3
	v_add_f32_e32 v2, v2, v3
	v_mul_f32_e32 v3, v13, v136
	v_fma_f32 v3, v12, v160, -v3
	v_add_f32_e32 v2, v2, v3
	v_mul_f32_e32 v3, v15, v138
	v_fma_f32 v3, v14, v161, -v3
	v_add_f32_e32 v2, v2, v3
	v_mul_f32_e32 v3, v17, v140
	v_fma_f32 v3, v16, v162, -v3
	v_add_f32_e32 v2, v2, v3
	v_mul_f32_e32 v3, v97, v148
	v_fma_f32 v3, v96, v163, -v3
	v_add_f32_e32 v2, v2, v3
	v_mul_f32_e32 v3, v99, v149
	v_fma_f32 v3, v98, v164, -v3
	v_add_f32_e32 v2, v2, v3
	v_mul_f32_e32 v3, v101, v150
	v_fma_f32 v3, v100, v165, -v3
	v_add_f32_e32 v2, v2, v3
	v_mul_f32_e32 v3, v103, v151
	v_fma_f32 v3, v102, v166, -v3
	v_add_f32_e32 v2, v2, v3
	v_mul_f32_e32 v3, v105, v152
	v_fma_f32 v3, v104, v167, -v3
	v_add_f32_e32 v2, v2, v3
	v_mul_f32_e32 v3, v107, v153
	v_fma_f32 v3, v106, v168, -v3
	v_add_f32_e32 v2, v2, v3
	v_mul_f32_e32 v3, v109, v154
	v_fma_f32 v3, v108, v169, -v3
	v_add_f32_e32 v2, v2, v3
	v_mul_f32_e32 v3, v111, v155
	v_fma_f32 v3, v110, v170, -v3
	v_add_f32_e32 v2, v2, v3
	v_mul_f32_e32 v3, v113, v156
	v_fma_f32 v3, v112, v171, -v3
	v_add_f32_e32 v2, v2, v3
	v_mul_f32_e32 v3, v115, v172
	v_fma_f32 v3, v114, v173, -v3
	s_waitcnt vmcnt(15)
	v_mov_b32_e32 v16, v127
	s_waitcnt lgkmcnt(1)
	v_mul_f32_e32 v139, v116, v174
	v_add_f32_e32 v136, v2, v3
	v_mul_f32_e32 v2, v117, v174
	s_waitcnt lgkmcnt(0)
	v_pk_mul_f32 v[16:17], v[120:121], v[16:17] op_sel_hi:[1,0]
	v_fmac_f32_e32 v139, v117, v175
	v_mul_f32_e32 v141, v118, v176
	v_fma_f32 v138, v116, v175, -v2
	v_mul_f32_e32 v2, v119, v176
	s_waitcnt vmcnt(14)
	v_pk_fma_f32 v[96:97], v[120:121], v[126:127], v[16:17] op_sel:[0,0,1] op_sel_hi:[1,1,0] neg_lo:[0,0,1] neg_hi:[0,0,1]
	v_pk_fma_f32 v[16:17], v[120:121], v[126:127], v[16:17] op_sel:[0,0,1] op_sel_hi:[1,0,0]
	v_fmac_f32_e32 v141, v119, v177
	v_fma_f32 v140, v118, v177, -v2
	v_pk_add_f32 v[14:15], v[136:137], v[138:139]
	ds_read2_b64 v[6:9], v4 offset0:73 offset1:74
	ds_read2_b64 v[10:13], v4 offset0:75 offset1:76
	;; [unrolled: 1-line block ×3, first 2 shown]
	v_pk_add_f32 v[14:15], v[14:15], v[140:141]
	v_mov_b32_e32 v97, v17
	v_pk_add_f32 v[14:15], v[14:15], v[96:97]
	s_waitcnt vmcnt(7)
	v_mov_b32_e32 v16, v135
	v_pk_mul_f32 v[16:17], v[122:123], v[16:17] op_sel_hi:[1,0]
	s_waitcnt vmcnt(6)
	v_pk_fma_f32 v[96:97], v[122:123], v[134:135], v[16:17] op_sel:[0,0,1] op_sel_hi:[1,1,0] neg_lo:[0,0,1] neg_hi:[0,0,1]
	v_pk_fma_f32 v[16:17], v[122:123], v[134:135], v[16:17] op_sel:[0,0,1] op_sel_hi:[1,0,0]
	v_mov_b32_e32 v16, v133
	v_mov_b32_e32 v97, v17
	s_waitcnt lgkmcnt(2)
	v_pk_mul_f32 v[16:17], v[6:7], v[16:17] op_sel_hi:[1,0]
	v_pk_add_f32 v[14:15], v[14:15], v[96:97]
	v_pk_fma_f32 v[96:97], v[6:7], v[132:133], v[16:17] op_sel:[0,0,1] op_sel_hi:[1,1,0] neg_lo:[0,0,1] neg_hi:[0,0,1]
	v_pk_fma_f32 v[6:7], v[6:7], v[132:133], v[16:17] op_sel:[0,0,1] op_sel_hi:[1,0,0]
	v_mov_b32_e32 v97, v7
	v_pk_add_f32 v[6:7], v[14:15], v[96:97]
	v_mov_b32_e32 v14, v131
	v_pk_mul_f32 v[14:15], v[8:9], v[14:15] op_sel_hi:[1,0]
	v_pk_fma_f32 v[16:17], v[8:9], v[130:131], v[14:15] op_sel:[0,0,1] op_sel_hi:[1,1,0] neg_lo:[0,0,1] neg_hi:[0,0,1]
	v_pk_fma_f32 v[8:9], v[8:9], v[130:131], v[14:15] op_sel:[0,0,1] op_sel_hi:[1,0,0]
	v_mov_b32_e32 v8, v129
	v_mov_b32_e32 v17, v9
	s_waitcnt lgkmcnt(1)
	v_pk_mul_f32 v[8:9], v[10:11], v[8:9] op_sel_hi:[1,0]
	v_pk_fma_f32 v[14:15], v[10:11], v[128:129], v[8:9] op_sel:[0,0,1] op_sel_hi:[1,1,0] neg_lo:[0,0,1] neg_hi:[0,0,1]
	v_pk_fma_f32 v[8:9], v[10:11], v[128:129], v[8:9] op_sel:[0,0,1] op_sel_hi:[1,0,0]
	s_waitcnt vmcnt(1)
	v_mov_b32_e32 v8, v147
	v_mov_b32_e32 v15, v9
	v_pk_mul_f32 v[8:9], v[12:13], v[8:9] op_sel_hi:[1,0]
	s_waitcnt vmcnt(0)
	v_pk_fma_f32 v[10:11], v[12:13], v[146:147], v[8:9] op_sel:[0,0,1] op_sel_hi:[1,1,0] neg_lo:[0,0,1] neg_hi:[0,0,1]
	v_pk_fma_f32 v[8:9], v[12:13], v[146:147], v[8:9] op_sel:[0,0,1] op_sel_hi:[1,0,0]
	v_pk_add_f32 v[6:7], v[6:7], v[16:17]
	v_mov_b32_e32 v8, v145
	v_pk_add_f32 v[6:7], v[6:7], v[14:15]
	v_mov_b32_e32 v11, v9
	s_waitcnt lgkmcnt(0)
	v_pk_mul_f32 v[8:9], v[2:3], v[8:9] op_sel_hi:[1,0]
	v_pk_add_f32 v[6:7], v[6:7], v[10:11]
	v_pk_fma_f32 v[10:11], v[2:3], v[144:145], v[8:9] op_sel:[0,0,1] op_sel_hi:[1,1,0] neg_lo:[0,0,1] neg_hi:[0,0,1]
	v_pk_fma_f32 v[2:3], v[2:3], v[144:145], v[8:9] op_sel:[0,0,1] op_sel_hi:[1,0,0]
	v_mov_b32_e32 v11, v3
	v_pk_add_f32 v[2:3], v[6:7], v[10:11]
	v_mov_b32_e32 v6, v143
	v_pk_mul_f32 v[6:7], v[4:5], v[6:7] op_sel_hi:[1,0]
	v_pk_fma_f32 v[8:9], v[4:5], v[142:143], v[6:7] op_sel:[0,0,1] op_sel_hi:[1,1,0] neg_lo:[0,0,1] neg_hi:[0,0,1]
	v_pk_fma_f32 v[4:5], v[4:5], v[142:143], v[6:7] op_sel:[0,0,1] op_sel_hi:[1,0,0]
	v_mov_b32_e32 v9, v5
	v_pk_add_f32 v[2:3], v[2:3], v[8:9]
	v_pk_add_f32 v[2:3], v[124:125], v[2:3] neg_lo:[0,1] neg_hi:[0,1]
	buffer_store_dword v3, off, s[0:3], 0 offset:100
	buffer_store_dword v2, off, s[0:3], 0 offset:96
	s_and_saveexec_b64 s[4:5], vcc
	s_cbranch_execz .LBB102_225
; %bb.224:
	buffer_load_dword v2, off, s[0:3], 0 offset:88
	buffer_load_dword v3, off, s[0:3], 0 offset:92
	v_mov_b32_e32 v4, 0
	buffer_store_dword v4, off, s[0:3], 0 offset:88
	buffer_store_dword v4, off, s[0:3], 0 offset:92
	s_waitcnt vmcnt(2)
	ds_write_b64 v1, v[2:3]
.LBB102_225:
	s_or_b64 exec, exec, s[4:5]
	s_waitcnt lgkmcnt(0)
	; wave barrier
	s_waitcnt lgkmcnt(0)
	buffer_load_dword v5, off, s[0:3], 0 offset:100
	buffer_load_dword v132, off, s[0:3], 0 offset:108
	;; [unrolled: 1-line block ×40, first 2 shown]
	v_mov_b32_e32 v4, 0
	ds_read_b128 v[6:9], v4 offset:416
	ds_read_b128 v[10:13], v4 offset:432
	;; [unrolled: 1-line block ×8, first 2 shown]
	v_cmp_lt_u32_e32 vcc, 10, v0
	s_waitcnt vmcnt(39) lgkmcnt(7)
	v_mul_f32_e32 v116, v6, v5
	s_waitcnt vmcnt(38)
	v_mul_f32_e32 v117, v8, v132
	s_waitcnt vmcnt(37) lgkmcnt(6)
	v_mul_f32_e32 v118, v10, v134
	s_waitcnt vmcnt(36)
	v_mul_f32_e32 v119, v12, v136
	s_waitcnt vmcnt(35) lgkmcnt(5)
	v_mul_f32_e32 v120, v14, v146
	s_waitcnt vmcnt(34)
	v_mul_f32_e32 v121, v16, v147
	s_waitcnt vmcnt(33) lgkmcnt(4)
	v_mul_f32_e32 v122, v96, v148
	s_waitcnt vmcnt(32)
	v_mul_f32_e32 v123, v98, v149
	s_waitcnt vmcnt(31) lgkmcnt(3)
	v_mul_f32_e32 v124, v100, v150
	s_waitcnt vmcnt(30)
	v_mul_f32_e32 v125, v102, v151
	s_waitcnt vmcnt(29) lgkmcnt(2)
	v_mul_f32_e32 v126, v104, v152
	s_waitcnt vmcnt(28)
	v_mul_f32_e32 v127, v106, v153
	s_waitcnt vmcnt(27) lgkmcnt(1)
	v_mul_f32_e32 v128, v108, v154
	s_waitcnt vmcnt(26)
	v_mul_f32_e32 v129, v110, v155
	s_waitcnt vmcnt(25) lgkmcnt(0)
	v_mul_f32_e32 v130, v112, v156
	s_waitcnt vmcnt(24)
	v_mul_f32_e32 v131, v114, v157
	s_waitcnt vmcnt(23)
	v_fmac_f32_e32 v116, v7, v158
	s_waitcnt vmcnt(22)
	v_fmac_f32_e32 v117, v9, v159
	v_add_f32_e32 v116, 0, v116
	s_waitcnt vmcnt(21)
	v_fmac_f32_e32 v118, v11, v160
	v_add_f32_e32 v116, v116, v117
	;; [unrolled: 3-line block ×14, first 2 shown]
	v_add_f32_e32 v116, v116, v130
	s_waitcnt vmcnt(8)
	v_fmac_f32_e32 v131, v115, v173
	v_add_f32_e32 v133, v116, v131
	ds_read_b128 v[116:119], v4 offset:544
	buffer_load_dword v125, off, s[0:3], 0 offset:252
	buffer_load_dword v127, off, s[0:3], 0 offset:276
	;; [unrolled: 1-line block ×8, first 2 shown]
	ds_read_b128 v[120:123], v4 offset:560
	buffer_load_dword v139, off, s[0:3], 0 offset:308
	buffer_load_dword v138, off, s[0:3], 0 offset:304
	;; [unrolled: 1-line block ×8, first 2 shown]
	v_mul_f32_e32 v5, v7, v5
	v_fma_f32 v5, v6, v158, -v5
	v_mul_f32_e32 v6, v9, v132
	v_add_f32_e32 v5, 0, v5
	v_fma_f32 v6, v8, v159, -v6
	v_add_f32_e32 v5, v5, v6
	v_mul_f32_e32 v6, v11, v134
	v_fma_f32 v6, v10, v160, -v6
	v_add_f32_e32 v5, v5, v6
	v_mul_f32_e32 v6, v13, v136
	;; [unrolled: 3-line block ×14, first 2 shown]
	v_fma_f32 v6, v114, v173, -v6
	s_waitcnt vmcnt(23) lgkmcnt(1)
	v_mul_f32_e32 v135, v116, v174
	v_add_f32_e32 v5, v5, v6
	v_mul_f32_e32 v6, v117, v174
	s_waitcnt vmcnt(22)
	v_fmac_f32_e32 v135, v117, v175
	v_fma_f32 v6, v116, v175, -v6
	v_add_f32_e32 v133, v133, v135
	s_waitcnt vmcnt(21)
	v_mul_f32_e32 v135, v118, v176
	v_add_f32_e32 v132, v5, v6
	v_mul_f32_e32 v5, v119, v176
	s_waitcnt vmcnt(20)
	v_fmac_f32_e32 v135, v119, v177
	s_waitcnt vmcnt(19) lgkmcnt(0)
	v_mul_f32_e32 v137, v120, v178
	v_fma_f32 v134, v118, v177, -v5
	v_mul_f32_e32 v5, v121, v178
	ds_read_b128 v[6:9], v4 offset:576
	ds_read_b128 v[10:13], v4 offset:592
	;; [unrolled: 1-line block ×3, first 2 shown]
	ds_read_b64 v[96:97], v4 offset:624
	s_waitcnt vmcnt(18)
	v_fmac_f32_e32 v137, v121, v179
	v_fma_f32 v136, v120, v179, -v5
	v_pk_add_f32 v[98:99], v[132:133], v[134:135]
	v_pk_add_f32 v[98:99], v[98:99], v[136:137]
	s_waitcnt vmcnt(15)
	v_mov_b32_e32 v100, v125
	v_pk_mul_f32 v[100:101], v[122:123], v[100:101] op_sel_hi:[1,0]
	s_waitcnt vmcnt(8)
	v_pk_fma_f32 v[102:103], v[122:123], v[124:125], v[100:101] op_sel:[0,0,1] op_sel_hi:[1,1,0] neg_lo:[0,0,1] neg_hi:[0,0,1]
	v_pk_fma_f32 v[100:101], v[122:123], v[124:125], v[100:101] op_sel:[0,0,1] op_sel_hi:[1,0,0]
	v_mov_b32_e32 v100, v131
	v_mov_b32_e32 v103, v101
	s_waitcnt lgkmcnt(3)
	v_pk_mul_f32 v[100:101], v[6:7], v[100:101] op_sel_hi:[1,0]
	v_pk_add_f32 v[98:99], v[98:99], v[102:103]
	v_pk_fma_f32 v[102:103], v[6:7], v[130:131], v[100:101] op_sel:[0,0,1] op_sel_hi:[1,1,0] neg_lo:[0,0,1] neg_hi:[0,0,1]
	v_pk_fma_f32 v[6:7], v[6:7], v[130:131], v[100:101] op_sel:[0,0,1] op_sel_hi:[1,0,0]
	v_mov_b32_e32 v103, v7
	v_pk_add_f32 v[6:7], v[98:99], v[102:103]
	v_mov_b32_e32 v98, v129
	v_pk_mul_f32 v[98:99], v[8:9], v[98:99] op_sel_hi:[1,0]
	v_pk_fma_f32 v[100:101], v[8:9], v[128:129], v[98:99] op_sel:[0,0,1] op_sel_hi:[1,1,0] neg_lo:[0,0,1] neg_hi:[0,0,1]
	v_pk_fma_f32 v[8:9], v[8:9], v[128:129], v[98:99] op_sel:[0,0,1] op_sel_hi:[1,0,0]
	v_mov_b32_e32 v8, v127
	v_mov_b32_e32 v101, v9
	s_waitcnt lgkmcnt(2)
	v_pk_mul_f32 v[8:9], v[10:11], v[8:9] op_sel_hi:[1,0]
	v_pk_fma_f32 v[98:99], v[10:11], v[126:127], v[8:9] op_sel:[0,0,1] op_sel_hi:[1,1,0] neg_lo:[0,0,1] neg_hi:[0,0,1]
	v_pk_fma_f32 v[8:9], v[10:11], v[126:127], v[8:9] op_sel:[0,0,1] op_sel_hi:[1,0,0]
	s_waitcnt vmcnt(1)
	v_mov_b32_e32 v8, v145
	v_mov_b32_e32 v99, v9
	v_pk_mul_f32 v[8:9], v[12:13], v[8:9] op_sel_hi:[1,0]
	s_waitcnt vmcnt(0)
	v_pk_fma_f32 v[10:11], v[12:13], v[144:145], v[8:9] op_sel:[0,0,1] op_sel_hi:[1,1,0] neg_lo:[0,0,1] neg_hi:[0,0,1]
	v_pk_fma_f32 v[8:9], v[12:13], v[144:145], v[8:9] op_sel:[0,0,1] op_sel_hi:[1,0,0]
	v_pk_add_f32 v[6:7], v[6:7], v[100:101]
	v_mov_b32_e32 v8, v143
	v_pk_add_f32 v[6:7], v[6:7], v[98:99]
	v_mov_b32_e32 v11, v9
	s_waitcnt lgkmcnt(1)
	v_pk_mul_f32 v[8:9], v[14:15], v[8:9] op_sel_hi:[1,0]
	v_pk_add_f32 v[6:7], v[6:7], v[10:11]
	v_pk_fma_f32 v[10:11], v[14:15], v[142:143], v[8:9] op_sel:[0,0,1] op_sel_hi:[1,1,0] neg_lo:[0,0,1] neg_hi:[0,0,1]
	v_pk_fma_f32 v[8:9], v[14:15], v[142:143], v[8:9] op_sel:[0,0,1] op_sel_hi:[1,0,0]
	v_mov_b32_e32 v8, v141
	v_mov_b32_e32 v11, v9
	v_pk_mul_f32 v[8:9], v[16:17], v[8:9] op_sel_hi:[1,0]
	v_pk_add_f32 v[6:7], v[6:7], v[10:11]
	v_pk_fma_f32 v[10:11], v[16:17], v[140:141], v[8:9] op_sel:[0,0,1] op_sel_hi:[1,1,0] neg_lo:[0,0,1] neg_hi:[0,0,1]
	v_pk_fma_f32 v[8:9], v[16:17], v[140:141], v[8:9] op_sel:[0,0,1] op_sel_hi:[1,0,0]
	v_mov_b32_e32 v8, v139
	v_mov_b32_e32 v11, v9
	s_waitcnt lgkmcnt(0)
	v_pk_mul_f32 v[8:9], v[96:97], v[8:9] op_sel_hi:[1,0]
	v_pk_add_f32 v[6:7], v[6:7], v[10:11]
	v_pk_fma_f32 v[10:11], v[96:97], v[138:139], v[8:9] op_sel:[0,0,1] op_sel_hi:[1,1,0] neg_lo:[0,0,1] neg_hi:[0,0,1]
	v_pk_fma_f32 v[8:9], v[96:97], v[138:139], v[8:9] op_sel:[0,0,1] op_sel_hi:[1,0,0]
	v_mov_b32_e32 v11, v9
	v_pk_add_f32 v[6:7], v[6:7], v[10:11]
	v_pk_add_f32 v[2:3], v[2:3], v[6:7] neg_lo:[0,1] neg_hi:[0,1]
	buffer_store_dword v3, off, s[0:3], 0 offset:92
	buffer_store_dword v2, off, s[0:3], 0 offset:88
	s_and_saveexec_b64 s[4:5], vcc
	s_cbranch_execz .LBB102_227
; %bb.226:
	buffer_load_dword v2, off, s[0:3], 0 offset:80
	buffer_load_dword v3, off, s[0:3], 0 offset:84
	s_waitcnt vmcnt(0)
	ds_write_b64 v1, v[2:3]
	buffer_store_dword v4, off, s[0:3], 0 offset:80
	buffer_store_dword v4, off, s[0:3], 0 offset:84
.LBB102_227:
	s_or_b64 exec, exec, s[4:5]
	s_waitcnt lgkmcnt(0)
	; wave barrier
	s_waitcnt lgkmcnt(0)
	buffer_load_dword v5, off, s[0:3], 0 offset:92
	buffer_load_dword v124, off, s[0:3], 0 offset:100
	;; [unrolled: 1-line block ×42, first 2 shown]
	ds_read2_b64 v[6:9], v4 offset0:51 offset1:52
	ds_read2_b64 v[10:13], v4 offset0:53 offset1:54
	;; [unrolled: 1-line block ×8, first 2 shown]
	v_cmp_lt_u32_e32 vcc, 9, v0
	s_waitcnt vmcnt(41) lgkmcnt(7)
	v_mul_f32_e32 v116, v6, v5
	s_waitcnt vmcnt(40)
	v_mul_f32_e32 v117, v8, v124
	s_waitcnt vmcnt(39) lgkmcnt(6)
	v_mul_f32_e32 v118, v10, v126
	s_waitcnt vmcnt(38)
	v_mul_f32_e32 v119, v12, v134
	;; [unrolled: 4-line block ×7, first 2 shown]
	s_waitcnt vmcnt(27) lgkmcnt(0)
	v_mul_f32_e32 v132, v112, v156
	s_waitcnt vmcnt(26)
	v_fmac_f32_e32 v116, v7, v157
	s_waitcnt vmcnt(25)
	v_fmac_f32_e32 v117, v9, v158
	v_add_f32_e32 v116, 0, v116
	s_waitcnt vmcnt(24)
	v_fmac_f32_e32 v118, v11, v159
	v_add_f32_e32 v116, v116, v117
	;; [unrolled: 3-line block ×14, first 2 shown]
	s_waitcnt vmcnt(11)
	v_mul_f32_e32 v121, v114, v172
	v_add_f32_e32 v120, v116, v132
	s_waitcnt vmcnt(10)
	v_fmac_f32_e32 v121, v115, v173
	ds_read2_b64 v[116:119], v4 offset0:67 offset1:68
	v_add_f32_e32 v125, v120, v121
	ds_read2_b64 v[120:123], v4 offset0:69 offset1:70
	buffer_load_dword v129, off, s[0:3], 0 offset:252
	buffer_load_dword v131, off, s[0:3], 0 offset:268
	;; [unrolled: 1-line block ×16, first 2 shown]
	v_mul_f32_e32 v5, v7, v5
	v_fma_f32 v5, v6, v157, -v5
	v_mul_f32_e32 v6, v9, v124
	v_add_f32_e32 v5, 0, v5
	v_fma_f32 v6, v8, v158, -v6
	v_add_f32_e32 v5, v5, v6
	v_mul_f32_e32 v6, v11, v126
	v_fma_f32 v6, v10, v159, -v6
	v_add_f32_e32 v5, v5, v6
	v_mul_f32_e32 v6, v13, v134
	;; [unrolled: 3-line block ×14, first 2 shown]
	v_fma_f32 v6, v114, v173, -v6
	v_add_f32_e32 v5, v5, v6
	s_waitcnt vmcnt(25) lgkmcnt(1)
	v_mul_f32_e32 v6, v117, v174
	s_waitcnt vmcnt(24)
	v_fma_f32 v6, v116, v175, -v6
	v_add_f32_e32 v5, v5, v6
	s_waitcnt vmcnt(23)
	v_mul_f32_e32 v6, v119, v176
	s_waitcnt vmcnt(22)
	v_fma_f32 v6, v118, v177, -v6
	v_add_f32_e32 v124, v5, v6
	ds_read2_b64 v[6:9], v4 offset0:71 offset1:72
	ds_read2_b64 v[10:13], v4 offset0:73 offset1:74
	;; [unrolled: 1-line block ×4, first 2 shown]
	v_mul_f32_e32 v127, v116, v174
	v_fmac_f32_e32 v127, v117, v175
	v_add_f32_e32 v125, v125, v127
	v_mul_f32_e32 v127, v118, v176
	v_fmac_f32_e32 v127, v119, v177
	v_add_f32_e32 v125, v125, v127
	s_waitcnt vmcnt(21) lgkmcnt(4)
	v_mul_f32_e32 v127, v120, v178
	v_mul_f32_e32 v5, v121, v178
	s_waitcnt vmcnt(20)
	v_fmac_f32_e32 v127, v121, v179
	s_waitcnt vmcnt(19)
	v_mul_f32_e32 v135, v122, v180
	v_fma_f32 v126, v120, v179, -v5
	v_mul_f32_e32 v5, v123, v180
	s_waitcnt vmcnt(18)
	v_fmac_f32_e32 v135, v123, v181
	v_fma_f32 v134, v122, v181, -v5
	v_pk_add_f32 v[4:5], v[124:125], v[126:127]
	v_pk_add_f32 v[4:5], v[4:5], v[134:135]
	s_waitcnt vmcnt(15)
	v_mov_b32_e32 v100, v129
	s_waitcnt lgkmcnt(3)
	v_pk_mul_f32 v[100:101], v[6:7], v[100:101] op_sel_hi:[1,0]
	s_waitcnt vmcnt(10)
	v_pk_fma_f32 v[102:103], v[6:7], v[128:129], v[100:101] op_sel:[0,0,1] op_sel_hi:[1,1,0] neg_lo:[0,0,1] neg_hi:[0,0,1]
	v_pk_fma_f32 v[6:7], v[6:7], v[128:129], v[100:101] op_sel:[0,0,1] op_sel_hi:[1,0,0]
	v_mov_b32_e32 v6, v133
	v_mov_b32_e32 v103, v7
	v_pk_mul_f32 v[6:7], v[8:9], v[6:7] op_sel_hi:[1,0]
	v_pk_fma_f32 v[100:101], v[8:9], v[132:133], v[6:7] op_sel:[0,0,1] op_sel_hi:[1,1,0] neg_lo:[0,0,1] neg_hi:[0,0,1]
	v_pk_fma_f32 v[6:7], v[8:9], v[132:133], v[6:7] op_sel:[0,0,1] op_sel_hi:[1,0,0]
	v_mov_b32_e32 v6, v131
	v_mov_b32_e32 v101, v7
	s_waitcnt lgkmcnt(2)
	v_pk_mul_f32 v[6:7], v[10:11], v[6:7] op_sel_hi:[1,0]
	v_pk_fma_f32 v[8:9], v[10:11], v[130:131], v[6:7] op_sel:[0,0,1] op_sel_hi:[1,1,0] neg_lo:[0,0,1] neg_hi:[0,0,1]
	v_pk_fma_f32 v[6:7], v[10:11], v[130:131], v[6:7] op_sel:[0,0,1] op_sel_hi:[1,0,0]
	v_pk_add_f32 v[4:5], v[4:5], v[102:103]
	s_waitcnt vmcnt(3)
	v_mov_b32_e32 v6, v143
	v_pk_add_f32 v[4:5], v[4:5], v[100:101]
	v_mov_b32_e32 v9, v7
	v_pk_mul_f32 v[6:7], v[12:13], v[6:7] op_sel_hi:[1,0]
	v_pk_add_f32 v[4:5], v[4:5], v[8:9]
	s_waitcnt vmcnt(2)
	v_pk_fma_f32 v[8:9], v[12:13], v[142:143], v[6:7] op_sel:[0,0,1] op_sel_hi:[1,1,0] neg_lo:[0,0,1] neg_hi:[0,0,1]
	v_pk_fma_f32 v[6:7], v[12:13], v[142:143], v[6:7] op_sel:[0,0,1] op_sel_hi:[1,0,0]
	v_mov_b32_e32 v6, v141
	v_mov_b32_e32 v9, v7
	s_waitcnt lgkmcnt(1)
	v_pk_mul_f32 v[6:7], v[14:15], v[6:7] op_sel_hi:[1,0]
	v_pk_add_f32 v[4:5], v[4:5], v[8:9]
	v_pk_fma_f32 v[8:9], v[14:15], v[140:141], v[6:7] op_sel:[0,0,1] op_sel_hi:[1,1,0] neg_lo:[0,0,1] neg_hi:[0,0,1]
	v_pk_fma_f32 v[6:7], v[14:15], v[140:141], v[6:7] op_sel:[0,0,1] op_sel_hi:[1,0,0]
	v_mov_b32_e32 v6, v139
	v_mov_b32_e32 v9, v7
	v_pk_mul_f32 v[6:7], v[16:17], v[6:7] op_sel_hi:[1,0]
	v_pk_add_f32 v[4:5], v[4:5], v[8:9]
	v_pk_fma_f32 v[8:9], v[16:17], v[138:139], v[6:7] op_sel:[0,0,1] op_sel_hi:[1,1,0] neg_lo:[0,0,1] neg_hi:[0,0,1]
	v_pk_fma_f32 v[6:7], v[16:17], v[138:139], v[6:7] op_sel:[0,0,1] op_sel_hi:[1,0,0]
	v_mov_b32_e32 v6, v137
	v_mov_b32_e32 v9, v7
	s_waitcnt lgkmcnt(0)
	v_pk_mul_f32 v[6:7], v[96:97], v[6:7] op_sel_hi:[1,0]
	v_pk_add_f32 v[4:5], v[4:5], v[8:9]
	v_pk_fma_f32 v[8:9], v[96:97], v[136:137], v[6:7] op_sel:[0,0,1] op_sel_hi:[1,1,0] neg_lo:[0,0,1] neg_hi:[0,0,1]
	v_pk_fma_f32 v[6:7], v[96:97], v[136:137], v[6:7] op_sel:[0,0,1] op_sel_hi:[1,0,0]
	s_waitcnt vmcnt(1)
	v_mov_b32_e32 v6, v145
	v_mov_b32_e32 v9, v7
	v_pk_mul_f32 v[6:7], v[98:99], v[6:7] op_sel_hi:[1,0]
	v_pk_add_f32 v[4:5], v[4:5], v[8:9]
	s_waitcnt vmcnt(0)
	v_pk_fma_f32 v[8:9], v[98:99], v[144:145], v[6:7] op_sel:[0,0,1] op_sel_hi:[1,1,0] neg_lo:[0,0,1] neg_hi:[0,0,1]
	v_pk_fma_f32 v[6:7], v[98:99], v[144:145], v[6:7] op_sel:[0,0,1] op_sel_hi:[1,0,0]
	v_mov_b32_e32 v9, v7
	v_pk_add_f32 v[4:5], v[4:5], v[8:9]
	v_pk_add_f32 v[2:3], v[2:3], v[4:5] neg_lo:[0,1] neg_hi:[0,1]
	buffer_store_dword v3, off, s[0:3], 0 offset:84
	buffer_store_dword v2, off, s[0:3], 0 offset:80
	s_and_saveexec_b64 s[4:5], vcc
	s_cbranch_execz .LBB102_229
; %bb.228:
	buffer_load_dword v2, off, s[0:3], 0 offset:72
	buffer_load_dword v3, off, s[0:3], 0 offset:76
	v_mov_b32_e32 v4, 0
	buffer_store_dword v4, off, s[0:3], 0 offset:72
	buffer_store_dword v4, off, s[0:3], 0 offset:76
	s_waitcnt vmcnt(2)
	ds_write_b64 v1, v[2:3]
.LBB102_229:
	s_or_b64 exec, exec, s[4:5]
	s_waitcnt lgkmcnt(0)
	; wave barrier
	s_waitcnt lgkmcnt(0)
	buffer_load_dword v5, off, s[0:3], 0 offset:84
	buffer_load_dword v132, off, s[0:3], 0 offset:92
	;; [unrolled: 1-line block ×44, first 2 shown]
	v_mov_b32_e32 v4, 0
	ds_read_b128 v[6:9], v4 offset:400
	ds_read_b128 v[10:13], v4 offset:416
	;; [unrolled: 1-line block ×8, first 2 shown]
	v_cmp_lt_u32_e32 vcc, 8, v0
	s_waitcnt vmcnt(43) lgkmcnt(7)
	v_mul_f32_e32 v116, v6, v5
	s_waitcnt vmcnt(42)
	v_mul_f32_e32 v117, v8, v132
	s_waitcnt vmcnt(41) lgkmcnt(6)
	v_mul_f32_e32 v118, v10, v138
	s_waitcnt vmcnt(40)
	v_mul_f32_e32 v119, v12, v140
	;; [unrolled: 4-line block ×7, first 2 shown]
	s_waitcnt vmcnt(29)
	v_fmac_f32_e32 v116, v7, v164
	s_waitcnt vmcnt(28)
	v_fmac_f32_e32 v117, v9, v165
	v_add_f32_e32 v116, 0, v116
	s_waitcnt vmcnt(27)
	v_fmac_f32_e32 v118, v11, v166
	v_add_f32_e32 v116, v116, v117
	;; [unrolled: 3-line block ×12, first 2 shown]
	v_add_f32_e32 v116, v116, v128
	s_waitcnt vmcnt(16)
	v_fmac_f32_e32 v129, v111, v177
	s_waitcnt vmcnt(15) lgkmcnt(0)
	v_mul_f32_e32 v117, v112, v178
	v_add_f32_e32 v116, v116, v129
	s_waitcnt vmcnt(14)
	v_fmac_f32_e32 v117, v113, v179
	v_add_f32_e32 v120, v116, v117
	ds_read_b128 v[116:119], v4 offset:528
	s_waitcnt vmcnt(13)
	v_mul_f32_e32 v121, v114, v180
	s_waitcnt vmcnt(12)
	v_fmac_f32_e32 v121, v115, v181
	v_add_f32_e32 v124, v120, v121
	ds_read_b128 v[120:123], v4 offset:544
	s_waitcnt vmcnt(11) lgkmcnt(1)
	v_mul_f32_e32 v125, v116, v182
	s_waitcnt vmcnt(10)
	v_fmac_f32_e32 v125, v117, v183
	v_add_f32_e32 v124, v124, v125
	s_waitcnt vmcnt(9)
	v_mul_f32_e32 v125, v118, v184
	s_waitcnt vmcnt(8)
	v_fmac_f32_e32 v125, v119, v185
	v_add_f32_e32 v124, v124, v125
	s_waitcnt vmcnt(7) lgkmcnt(0)
	v_mul_f32_e32 v125, v120, v186
	s_waitcnt vmcnt(6)
	v_fmac_f32_e32 v125, v121, v187
	v_add_f32_e32 v133, v124, v125
	ds_read_b128 v[124:127], v4 offset:560
	buffer_load_dword v135, off, s[0:3], 0 offset:260
	buffer_load_dword v134, off, s[0:3], 0 offset:256
	;; [unrolled: 1-line block ×4, first 2 shown]
	ds_read_b128 v[128:131], v4 offset:576
	buffer_load_dword v143, off, s[0:3], 0 offset:292
	buffer_load_dword v142, off, s[0:3], 0 offset:288
	;; [unrolled: 1-line block ×12, first 2 shown]
	v_mul_f32_e32 v5, v7, v5
	v_fma_f32 v5, v6, v164, -v5
	v_mul_f32_e32 v6, v9, v132
	v_add_f32_e32 v5, 0, v5
	v_fma_f32 v6, v8, v165, -v6
	v_add_f32_e32 v5, v5, v6
	v_mul_f32_e32 v6, v11, v138
	v_fma_f32 v6, v10, v166, -v6
	v_add_f32_e32 v5, v5, v6
	v_mul_f32_e32 v6, v13, v140
	;; [unrolled: 3-line block ×17, first 2 shown]
	v_fma_f32 v6, v120, v187, -v6
	s_waitcnt vmcnt(21)
	v_mul_f32_e32 v139, v122, v188
	v_add_f32_e32 v132, v5, v6
	v_mul_f32_e32 v5, v123, v188
	s_waitcnt vmcnt(20)
	v_fmac_f32_e32 v139, v123, v189
	s_waitcnt vmcnt(19) lgkmcnt(1)
	v_mul_f32_e32 v141, v124, v190
	v_fma_f32 v138, v122, v189, -v5
	v_mul_f32_e32 v5, v125, v190
	s_waitcnt vmcnt(18)
	v_fmac_f32_e32 v141, v125, v191
	v_fma_f32 v140, v124, v191, -v5
	v_pk_add_f32 v[16:17], v[132:133], v[138:139]
	v_pk_add_f32 v[16:17], v[16:17], v[140:141]
	ds_read_b128 v[6:9], v4 offset:592
	ds_read_b128 v[10:13], v4 offset:608
	ds_read_b64 v[14:15], v4 offset:624
	s_waitcnt vmcnt(13)
	v_mov_b32_e32 v96, v137
	v_pk_mul_f32 v[96:97], v[126:127], v[96:97] op_sel_hi:[1,0]
	s_waitcnt vmcnt(12)
	v_pk_fma_f32 v[98:99], v[126:127], v[136:137], v[96:97] op_sel:[0,0,1] op_sel_hi:[1,1,0] neg_lo:[0,0,1] neg_hi:[0,0,1]
	v_pk_fma_f32 v[96:97], v[126:127], v[136:137], v[96:97] op_sel:[0,0,1] op_sel_hi:[1,0,0]
	v_mov_b32_e32 v96, v135
	v_mov_b32_e32 v99, v97
	s_waitcnt lgkmcnt(3)
	v_pk_mul_f32 v[96:97], v[128:129], v[96:97] op_sel_hi:[1,0]
	v_pk_add_f32 v[16:17], v[16:17], v[98:99]
	v_pk_fma_f32 v[98:99], v[128:129], v[134:135], v[96:97] op_sel:[0,0,1] op_sel_hi:[1,1,0] neg_lo:[0,0,1] neg_hi:[0,0,1]
	v_pk_fma_f32 v[96:97], v[128:129], v[134:135], v[96:97] op_sel:[0,0,1] op_sel_hi:[1,0,0]
	s_waitcnt vmcnt(5)
	v_mov_b32_e32 v96, v149
	v_mov_b32_e32 v99, v97
	v_pk_mul_f32 v[96:97], v[130:131], v[96:97] op_sel_hi:[1,0]
	v_pk_add_f32 v[16:17], v[16:17], v[98:99]
	s_waitcnt vmcnt(4)
	v_pk_fma_f32 v[98:99], v[130:131], v[148:149], v[96:97] op_sel:[0,0,1] op_sel_hi:[1,1,0] neg_lo:[0,0,1] neg_hi:[0,0,1]
	v_pk_fma_f32 v[96:97], v[130:131], v[148:149], v[96:97] op_sel:[0,0,1] op_sel_hi:[1,0,0]
	v_mov_b32_e32 v96, v147
	v_mov_b32_e32 v99, v97
	s_waitcnt lgkmcnt(2)
	v_pk_mul_f32 v[96:97], v[6:7], v[96:97] op_sel_hi:[1,0]
	v_pk_add_f32 v[16:17], v[16:17], v[98:99]
	v_pk_fma_f32 v[98:99], v[6:7], v[146:147], v[96:97] op_sel:[0,0,1] op_sel_hi:[1,1,0] neg_lo:[0,0,1] neg_hi:[0,0,1]
	v_pk_fma_f32 v[6:7], v[6:7], v[146:147], v[96:97] op_sel:[0,0,1] op_sel_hi:[1,0,0]
	v_mov_b32_e32 v99, v7
	v_pk_add_f32 v[6:7], v[16:17], v[98:99]
	v_mov_b32_e32 v16, v145
	v_pk_mul_f32 v[16:17], v[8:9], v[16:17] op_sel_hi:[1,0]
	v_pk_fma_f32 v[96:97], v[8:9], v[144:145], v[16:17] op_sel:[0,0,1] op_sel_hi:[1,1,0] neg_lo:[0,0,1] neg_hi:[0,0,1]
	v_pk_fma_f32 v[8:9], v[8:9], v[144:145], v[16:17] op_sel:[0,0,1] op_sel_hi:[1,0,0]
	v_mov_b32_e32 v8, v143
	v_mov_b32_e32 v97, v9
	s_waitcnt lgkmcnt(1)
	v_pk_mul_f32 v[8:9], v[10:11], v[8:9] op_sel_hi:[1,0]
	v_pk_fma_f32 v[16:17], v[10:11], v[142:143], v[8:9] op_sel:[0,0,1] op_sel_hi:[1,1,0] neg_lo:[0,0,1] neg_hi:[0,0,1]
	v_pk_fma_f32 v[8:9], v[10:11], v[142:143], v[8:9] op_sel:[0,0,1] op_sel_hi:[1,0,0]
	s_waitcnt vmcnt(1)
	v_mov_b32_e32 v8, v153
	v_mov_b32_e32 v17, v9
	v_pk_mul_f32 v[8:9], v[12:13], v[8:9] op_sel_hi:[1,0]
	s_waitcnt vmcnt(0)
	v_pk_fma_f32 v[10:11], v[12:13], v[152:153], v[8:9] op_sel:[0,0,1] op_sel_hi:[1,1,0] neg_lo:[0,0,1] neg_hi:[0,0,1]
	v_pk_fma_f32 v[8:9], v[12:13], v[152:153], v[8:9] op_sel:[0,0,1] op_sel_hi:[1,0,0]
	v_pk_add_f32 v[6:7], v[6:7], v[96:97]
	v_mov_b32_e32 v8, v151
	v_pk_add_f32 v[6:7], v[6:7], v[16:17]
	v_mov_b32_e32 v11, v9
	s_waitcnt lgkmcnt(0)
	v_pk_mul_f32 v[8:9], v[14:15], v[8:9] op_sel_hi:[1,0]
	v_pk_add_f32 v[6:7], v[6:7], v[10:11]
	v_pk_fma_f32 v[10:11], v[14:15], v[150:151], v[8:9] op_sel:[0,0,1] op_sel_hi:[1,1,0] neg_lo:[0,0,1] neg_hi:[0,0,1]
	v_pk_fma_f32 v[8:9], v[14:15], v[150:151], v[8:9] op_sel:[0,0,1] op_sel_hi:[1,0,0]
	v_mov_b32_e32 v11, v9
	v_pk_add_f32 v[6:7], v[6:7], v[10:11]
	v_pk_add_f32 v[2:3], v[2:3], v[6:7] neg_lo:[0,1] neg_hi:[0,1]
	buffer_store_dword v3, off, s[0:3], 0 offset:76
	buffer_store_dword v2, off, s[0:3], 0 offset:72
	s_and_saveexec_b64 s[4:5], vcc
	s_cbranch_execz .LBB102_231
; %bb.230:
	buffer_load_dword v2, off, s[0:3], 0 offset:64
	buffer_load_dword v3, off, s[0:3], 0 offset:68
	s_waitcnt vmcnt(0)
	ds_write_b64 v1, v[2:3]
	buffer_store_dword v4, off, s[0:3], 0 offset:64
	buffer_store_dword v4, off, s[0:3], 0 offset:68
.LBB102_231:
	s_or_b64 exec, exec, s[4:5]
	s_waitcnt lgkmcnt(0)
	; wave barrier
	s_waitcnt lgkmcnt(0)
	buffer_load_dword v5, off, s[0:3], 0 offset:76
	buffer_load_dword v134, off, s[0:3], 0 offset:84
	;; [unrolled: 1-line block ×46, first 2 shown]
	ds_read2_b64 v[6:9], v4 offset0:49 offset1:50
	ds_read2_b64 v[10:13], v4 offset0:51 offset1:52
	;; [unrolled: 1-line block ×8, first 2 shown]
	v_cmp_lt_u32_e32 vcc, 7, v0
	s_waitcnt vmcnt(45) lgkmcnt(7)
	v_mul_f32_e32 v116, v6, v5
	s_waitcnt vmcnt(44)
	v_mul_f32_e32 v117, v8, v134
	s_waitcnt vmcnt(43) lgkmcnt(6)
	v_mul_f32_e32 v118, v10, v136
	s_waitcnt vmcnt(42)
	v_mul_f32_e32 v119, v12, v138
	;; [unrolled: 4-line block ×6, first 2 shown]
	s_waitcnt vmcnt(33) lgkmcnt(1)
	v_mul_f32_e32 v128, v108, v162
	s_waitcnt vmcnt(32)
	v_fmac_f32_e32 v116, v7, v163
	s_waitcnt vmcnt(31)
	v_fmac_f32_e32 v117, v9, v164
	v_add_f32_e32 v116, 0, v116
	s_waitcnt vmcnt(30)
	v_fmac_f32_e32 v118, v11, v165
	v_add_f32_e32 v116, v116, v117
	;; [unrolled: 3-line block ×12, first 2 shown]
	s_waitcnt vmcnt(19)
	v_mul_f32_e32 v117, v110, v176
	v_add_f32_e32 v116, v116, v128
	s_waitcnt vmcnt(18)
	v_fmac_f32_e32 v117, v111, v177
	v_add_f32_e32 v116, v116, v117
	s_waitcnt vmcnt(17) lgkmcnt(0)
	v_mul_f32_e32 v117, v112, v178
	s_waitcnt vmcnt(16)
	v_fmac_f32_e32 v117, v113, v179
	v_add_f32_e32 v120, v116, v117
	ds_read2_b64 v[116:119], v4 offset0:65 offset1:66
	s_waitcnt vmcnt(15)
	v_mul_f32_e32 v121, v114, v180
	s_waitcnt vmcnt(14)
	v_fmac_f32_e32 v121, v115, v181
	v_add_f32_e32 v124, v120, v121
	ds_read2_b64 v[120:123], v4 offset0:67 offset1:68
	buffer_load_dword v133, off, s[0:3], 0 offset:252
	buffer_load_dword v132, off, s[0:3], 0 offset:248
	s_waitcnt vmcnt(15) lgkmcnt(1)
	v_mul_f32_e32 v125, v116, v182
	s_waitcnt vmcnt(14)
	v_fmac_f32_e32 v125, v117, v183
	v_add_f32_e32 v124, v124, v125
	s_waitcnt vmcnt(13)
	v_mul_f32_e32 v125, v118, v184
	s_waitcnt vmcnt(12)
	v_fmac_f32_e32 v125, v119, v185
	v_add_f32_e32 v124, v124, v125
	s_waitcnt vmcnt(11) lgkmcnt(0)
	v_mul_f32_e32 v125, v120, v186
	s_waitcnt vmcnt(10)
	v_fmac_f32_e32 v125, v121, v187
	s_waitcnt vmcnt(9)
	v_mul_f32_e32 v129, v122, v188
	v_add_f32_e32 v128, v124, v125
	s_waitcnt vmcnt(8)
	v_fmac_f32_e32 v129, v123, v189
	ds_read2_b64 v[124:127], v4 offset0:69 offset1:70
	v_add_f32_e32 v135, v128, v129
	ds_read2_b64 v[128:131], v4 offset0:71 offset1:72
	buffer_load_dword v141, off, s[0:3], 0 offset:284
	buffer_load_dword v140, off, s[0:3], 0 offset:280
	;; [unrolled: 1-line block ×14, first 2 shown]
	v_mul_f32_e32 v5, v7, v5
	v_fma_f32 v5, v6, v163, -v5
	v_mul_f32_e32 v6, v9, v134
	v_add_f32_e32 v5, 0, v5
	v_fma_f32 v6, v8, v164, -v6
	v_add_f32_e32 v5, v5, v6
	v_mul_f32_e32 v6, v11, v136
	v_fma_f32 v6, v10, v165, -v6
	v_add_f32_e32 v5, v5, v6
	v_mul_f32_e32 v6, v13, v138
	;; [unrolled: 3-line block ×18, first 2 shown]
	v_fma_f32 v6, v122, v189, -v6
	s_waitcnt vmcnt(21) lgkmcnt(1)
	v_mul_f32_e32 v137, v124, v190
	v_add_f32_e32 v134, v5, v6
	v_mul_f32_e32 v5, v125, v190
	s_waitcnt vmcnt(20)
	v_fmac_f32_e32 v137, v125, v191
	s_waitcnt vmcnt(15)
	v_mov_b32_e32 v96, v133
	s_waitcnt lgkmcnt(0)
	v_pk_mul_f32 v[96:97], v[128:129], v[96:97] op_sel_hi:[1,0]
	v_mul_f32_e32 v139, v126, v192
	v_fma_f32 v136, v124, v191, -v5
	v_mul_f32_e32 v5, v127, v192
	s_waitcnt vmcnt(14)
	v_pk_fma_f32 v[98:99], v[128:129], v[132:133], v[96:97] op_sel:[0,0,1] op_sel_hi:[1,1,0] neg_lo:[0,0,1] neg_hi:[0,0,1]
	v_pk_fma_f32 v[96:97], v[128:129], v[132:133], v[96:97] op_sel:[0,0,1] op_sel_hi:[1,0,0]
	v_fmac_f32_e32 v139, v127, v193
	v_fma_f32 v138, v126, v193, -v5
	ds_read2_b64 v[6:9], v4 offset0:73 offset1:74
	ds_read2_b64 v[10:13], v4 offset0:75 offset1:76
	ds_read2_b64 v[14:17], v4 offset0:77 offset1:78
	v_pk_add_f32 v[4:5], v[134:135], v[136:137]
	s_waitcnt vmcnt(7)
	v_mov_b32_e32 v96, v147
	v_pk_add_f32 v[4:5], v[4:5], v[138:139]
	v_mov_b32_e32 v99, v97
	v_pk_mul_f32 v[96:97], v[130:131], v[96:97] op_sel_hi:[1,0]
	v_pk_add_f32 v[4:5], v[4:5], v[98:99]
	s_waitcnt vmcnt(6)
	v_pk_fma_f32 v[98:99], v[130:131], v[146:147], v[96:97] op_sel:[0,0,1] op_sel_hi:[1,1,0] neg_lo:[0,0,1] neg_hi:[0,0,1]
	v_pk_fma_f32 v[96:97], v[130:131], v[146:147], v[96:97] op_sel:[0,0,1] op_sel_hi:[1,0,0]
	v_mov_b32_e32 v96, v145
	v_mov_b32_e32 v99, v97
	s_waitcnt lgkmcnt(2)
	v_pk_mul_f32 v[96:97], v[6:7], v[96:97] op_sel_hi:[1,0]
	v_pk_add_f32 v[4:5], v[4:5], v[98:99]
	v_pk_fma_f32 v[98:99], v[6:7], v[144:145], v[96:97] op_sel:[0,0,1] op_sel_hi:[1,1,0] neg_lo:[0,0,1] neg_hi:[0,0,1]
	v_pk_fma_f32 v[6:7], v[6:7], v[144:145], v[96:97] op_sel:[0,0,1] op_sel_hi:[1,0,0]
	v_mov_b32_e32 v6, v143
	v_mov_b32_e32 v99, v7
	v_pk_mul_f32 v[6:7], v[8:9], v[6:7] op_sel_hi:[1,0]
	v_pk_fma_f32 v[96:97], v[8:9], v[142:143], v[6:7] op_sel:[0,0,1] op_sel_hi:[1,1,0] neg_lo:[0,0,1] neg_hi:[0,0,1]
	v_pk_fma_f32 v[6:7], v[8:9], v[142:143], v[6:7] op_sel:[0,0,1] op_sel_hi:[1,0,0]
	v_mov_b32_e32 v6, v141
	v_mov_b32_e32 v97, v7
	s_waitcnt lgkmcnt(1)
	v_pk_mul_f32 v[6:7], v[10:11], v[6:7] op_sel_hi:[1,0]
	v_pk_fma_f32 v[8:9], v[10:11], v[140:141], v[6:7] op_sel:[0,0,1] op_sel_hi:[1,1,0] neg_lo:[0,0,1] neg_hi:[0,0,1]
	v_pk_fma_f32 v[6:7], v[10:11], v[140:141], v[6:7] op_sel:[0,0,1] op_sel_hi:[1,0,0]
	v_pk_add_f32 v[4:5], v[4:5], v[98:99]
	s_waitcnt vmcnt(1)
	v_mov_b32_e32 v6, v153
	v_pk_add_f32 v[4:5], v[4:5], v[96:97]
	v_mov_b32_e32 v9, v7
	v_pk_mul_f32 v[6:7], v[12:13], v[6:7] op_sel_hi:[1,0]
	v_pk_add_f32 v[4:5], v[4:5], v[8:9]
	s_waitcnt vmcnt(0)
	v_pk_fma_f32 v[8:9], v[12:13], v[152:153], v[6:7] op_sel:[0,0,1] op_sel_hi:[1,1,0] neg_lo:[0,0,1] neg_hi:[0,0,1]
	v_pk_fma_f32 v[6:7], v[12:13], v[152:153], v[6:7] op_sel:[0,0,1] op_sel_hi:[1,0,0]
	v_mov_b32_e32 v6, v151
	v_mov_b32_e32 v9, v7
	s_waitcnt lgkmcnt(0)
	v_pk_mul_f32 v[6:7], v[14:15], v[6:7] op_sel_hi:[1,0]
	v_pk_add_f32 v[4:5], v[4:5], v[8:9]
	v_pk_fma_f32 v[8:9], v[14:15], v[150:151], v[6:7] op_sel:[0,0,1] op_sel_hi:[1,1,0] neg_lo:[0,0,1] neg_hi:[0,0,1]
	v_pk_fma_f32 v[6:7], v[14:15], v[150:151], v[6:7] op_sel:[0,0,1] op_sel_hi:[1,0,0]
	v_mov_b32_e32 v6, v149
	v_mov_b32_e32 v9, v7
	v_pk_mul_f32 v[6:7], v[16:17], v[6:7] op_sel_hi:[1,0]
	v_pk_add_f32 v[4:5], v[4:5], v[8:9]
	v_pk_fma_f32 v[8:9], v[16:17], v[148:149], v[6:7] op_sel:[0,0,1] op_sel_hi:[1,1,0] neg_lo:[0,0,1] neg_hi:[0,0,1]
	v_pk_fma_f32 v[6:7], v[16:17], v[148:149], v[6:7] op_sel:[0,0,1] op_sel_hi:[1,0,0]
	v_mov_b32_e32 v9, v7
	v_pk_add_f32 v[4:5], v[4:5], v[8:9]
	v_pk_add_f32 v[2:3], v[2:3], v[4:5] neg_lo:[0,1] neg_hi:[0,1]
	buffer_store_dword v3, off, s[0:3], 0 offset:68
	buffer_store_dword v2, off, s[0:3], 0 offset:64
	s_and_saveexec_b64 s[4:5], vcc
	s_cbranch_execz .LBB102_233
; %bb.232:
	buffer_load_dword v2, off, s[0:3], 0 offset:56
	buffer_load_dword v3, off, s[0:3], 0 offset:60
	v_mov_b32_e32 v4, 0
	buffer_store_dword v4, off, s[0:3], 0 offset:56
	buffer_store_dword v4, off, s[0:3], 0 offset:60
	s_waitcnt vmcnt(2)
	ds_write_b64 v1, v[2:3]
.LBB102_233:
	s_or_b64 exec, exec, s[4:5]
	s_waitcnt lgkmcnt(0)
	; wave barrier
	s_waitcnt lgkmcnt(0)
	buffer_load_dword v5, off, s[0:3], 0 offset:68
	buffer_load_dword v132, off, s[0:3], 0 offset:76
	;; [unrolled: 1-line block ×48, first 2 shown]
	v_mov_b32_e32 v4, 0
	ds_read_b128 v[6:9], v4 offset:384
	ds_read_b128 v[10:13], v4 offset:400
	;; [unrolled: 1-line block ×6, first 2 shown]
	v_cmp_lt_u32_e32 vcc, 6, v0
	s_waitcnt vmcnt(47) lgkmcnt(5)
	v_mul_f32_e32 v108, v6, v5
	s_waitcnt vmcnt(46)
	v_mul_f32_e32 v109, v8, v132
	s_waitcnt vmcnt(45) lgkmcnt(4)
	v_mul_f32_e32 v110, v10, v134
	s_waitcnt vmcnt(44)
	v_mul_f32_e32 v111, v12, v136
	;; [unrolled: 4-line block ×6, first 2 shown]
	s_waitcnt vmcnt(35)
	v_fmac_f32_e32 v108, v7, v162
	s_waitcnt vmcnt(34)
	v_fmac_f32_e32 v109, v9, v163
	v_add_f32_e32 v108, 0, v108
	s_waitcnt vmcnt(33)
	v_fmac_f32_e32 v110, v11, v164
	v_add_f32_e32 v108, v108, v109
	;; [unrolled: 3-line block ×8, first 2 shown]
	v_add_f32_e32 v112, v108, v116
	ds_read_b128 v[108:111], v4 offset:480
	s_waitcnt vmcnt(26)
	v_fmac_f32_e32 v117, v103, v171
	s_waitcnt vmcnt(25)
	v_fmac_f32_e32 v118, v105, v172
	v_add_f32_e32 v112, v112, v117
	s_waitcnt vmcnt(24)
	v_fmac_f32_e32 v119, v107, v173
	v_add_f32_e32 v112, v112, v118
	v_add_f32_e32 v116, v112, v119
	ds_read_b128 v[112:115], v4 offset:496
	s_waitcnt vmcnt(23) lgkmcnt(1)
	v_mul_f32_e32 v117, v108, v174
	s_waitcnt vmcnt(22)
	v_fmac_f32_e32 v117, v109, v175
	v_add_f32_e32 v116, v116, v117
	s_waitcnt vmcnt(21)
	v_mul_f32_e32 v117, v110, v176
	s_waitcnt vmcnt(20)
	v_fmac_f32_e32 v117, v111, v177
	v_add_f32_e32 v116, v116, v117
	s_waitcnt vmcnt(19) lgkmcnt(0)
	v_mul_f32_e32 v117, v112, v178
	s_waitcnt vmcnt(18)
	v_fmac_f32_e32 v117, v113, v179
	v_add_f32_e32 v120, v116, v117
	ds_read_b128 v[116:119], v4 offset:512
	s_waitcnt vmcnt(17)
	v_mul_f32_e32 v121, v114, v180
	s_waitcnt vmcnt(16)
	v_fmac_f32_e32 v121, v115, v181
	v_add_f32_e32 v124, v120, v121
	ds_read_b128 v[120:123], v4 offset:528
	s_waitcnt vmcnt(15) lgkmcnt(1)
	v_mul_f32_e32 v125, v116, v182
	s_waitcnt vmcnt(14)
	v_fmac_f32_e32 v125, v117, v183
	v_add_f32_e32 v124, v124, v125
	s_waitcnt vmcnt(13)
	v_mul_f32_e32 v125, v118, v184
	s_waitcnt vmcnt(12)
	v_fmac_f32_e32 v125, v119, v185
	v_add_f32_e32 v124, v124, v125
	s_waitcnt vmcnt(11) lgkmcnt(0)
	v_mul_f32_e32 v125, v120, v186
	s_waitcnt vmcnt(10)
	v_fmac_f32_e32 v125, v121, v187
	s_waitcnt vmcnt(9)
	v_mul_f32_e32 v129, v122, v188
	v_add_f32_e32 v128, v124, v125
	s_waitcnt vmcnt(8)
	v_fmac_f32_e32 v129, v123, v189
	ds_read_b128 v[124:127], v4 offset:544
	v_add_f32_e32 v133, v128, v129
	ds_read_b128 v[128:131], v4 offset:560
	buffer_load_dword v139, off, s[0:3], 0 offset:276
	buffer_load_dword v138, off, s[0:3], 0 offset:272
	;; [unrolled: 1-line block ×16, first 2 shown]
	v_mul_f32_e32 v5, v7, v5
	v_fma_f32 v5, v6, v162, -v5
	v_mul_f32_e32 v6, v9, v132
	v_add_f32_e32 v5, 0, v5
	v_fma_f32 v6, v8, v163, -v6
	v_add_f32_e32 v5, v5, v6
	v_mul_f32_e32 v6, v11, v134
	v_fma_f32 v6, v10, v164, -v6
	v_add_f32_e32 v5, v5, v6
	v_mul_f32_e32 v6, v13, v136
	;; [unrolled: 3-line block ×18, first 2 shown]
	v_fma_f32 v6, v122, v189, -v6
	s_waitcnt vmcnt(22) lgkmcnt(1)
	v_mul_f32_e32 v135, v124, v191
	v_add_f32_e32 v5, v5, v6
	v_mul_f32_e32 v6, v125, v191
	v_fmac_f32_e32 v135, v125, v190
	v_fma_f32 v6, v124, v190, -v6
	v_add_f32_e32 v133, v133, v135
	s_waitcnt vmcnt(19)
	v_mul_f32_e32 v135, v126, v192
	v_add_f32_e32 v132, v5, v6
	v_mul_f32_e32 v5, v127, v192
	s_waitcnt vmcnt(18)
	v_fmac_f32_e32 v135, v127, v193
	s_waitcnt vmcnt(17) lgkmcnt(0)
	v_mul_f32_e32 v137, v128, v194
	s_waitcnt vmcnt(9)
	v_mov_b32_e32 v100, v145
	v_pk_mul_f32 v[100:101], v[130:131], v[100:101] op_sel_hi:[1,0]
	v_fma_f32 v134, v126, v193, -v5
	v_mul_f32_e32 v5, v129, v194
	ds_read_b128 v[6:9], v4 offset:576
	ds_read_b128 v[10:13], v4 offset:592
	;; [unrolled: 1-line block ×3, first 2 shown]
	ds_read_b64 v[96:97], v4 offset:624
	s_waitcnt vmcnt(8)
	v_pk_fma_f32 v[102:103], v[130:131], v[144:145], v[100:101] op_sel:[0,0,1] op_sel_hi:[1,1,0] neg_lo:[0,0,1] neg_hi:[0,0,1]
	v_pk_fma_f32 v[100:101], v[130:131], v[144:145], v[100:101] op_sel:[0,0,1] op_sel_hi:[1,0,0]
	v_fmac_f32_e32 v137, v129, v195
	v_fma_f32 v136, v128, v195, -v5
	v_pk_add_f32 v[98:99], v[132:133], v[134:135]
	v_mov_b32_e32 v100, v143
	v_pk_add_f32 v[98:99], v[98:99], v[136:137]
	v_mov_b32_e32 v103, v101
	s_waitcnt lgkmcnt(3)
	v_pk_mul_f32 v[100:101], v[6:7], v[100:101] op_sel_hi:[1,0]
	v_pk_add_f32 v[98:99], v[98:99], v[102:103]
	v_pk_fma_f32 v[102:103], v[6:7], v[142:143], v[100:101] op_sel:[0,0,1] op_sel_hi:[1,1,0] neg_lo:[0,0,1] neg_hi:[0,0,1]
	v_pk_fma_f32 v[6:7], v[6:7], v[142:143], v[100:101] op_sel:[0,0,1] op_sel_hi:[1,0,0]
	v_mov_b32_e32 v103, v7
	v_pk_add_f32 v[6:7], v[98:99], v[102:103]
	v_mov_b32_e32 v98, v141
	v_pk_mul_f32 v[98:99], v[8:9], v[98:99] op_sel_hi:[1,0]
	v_pk_fma_f32 v[100:101], v[8:9], v[140:141], v[98:99] op_sel:[0,0,1] op_sel_hi:[1,1,0] neg_lo:[0,0,1] neg_hi:[0,0,1]
	v_pk_fma_f32 v[8:9], v[8:9], v[140:141], v[98:99] op_sel:[0,0,1] op_sel_hi:[1,0,0]
	v_mov_b32_e32 v8, v139
	v_mov_b32_e32 v101, v9
	s_waitcnt lgkmcnt(2)
	v_pk_mul_f32 v[8:9], v[10:11], v[8:9] op_sel_hi:[1,0]
	v_pk_fma_f32 v[98:99], v[10:11], v[138:139], v[8:9] op_sel:[0,0,1] op_sel_hi:[1,1,0] neg_lo:[0,0,1] neg_hi:[0,0,1]
	v_pk_fma_f32 v[8:9], v[10:11], v[138:139], v[8:9] op_sel:[0,0,1] op_sel_hi:[1,0,0]
	s_waitcnt vmcnt(1)
	v_mov_b32_e32 v8, v153
	v_mov_b32_e32 v99, v9
	v_pk_mul_f32 v[8:9], v[12:13], v[8:9] op_sel_hi:[1,0]
	s_waitcnt vmcnt(0)
	v_pk_fma_f32 v[10:11], v[12:13], v[152:153], v[8:9] op_sel:[0,0,1] op_sel_hi:[1,1,0] neg_lo:[0,0,1] neg_hi:[0,0,1]
	v_pk_fma_f32 v[8:9], v[12:13], v[152:153], v[8:9] op_sel:[0,0,1] op_sel_hi:[1,0,0]
	v_pk_add_f32 v[6:7], v[6:7], v[100:101]
	v_mov_b32_e32 v8, v151
	v_pk_add_f32 v[6:7], v[6:7], v[98:99]
	v_mov_b32_e32 v11, v9
	s_waitcnt lgkmcnt(1)
	v_pk_mul_f32 v[8:9], v[14:15], v[8:9] op_sel_hi:[1,0]
	v_pk_add_f32 v[6:7], v[6:7], v[10:11]
	v_pk_fma_f32 v[10:11], v[14:15], v[150:151], v[8:9] op_sel:[0,0,1] op_sel_hi:[1,1,0] neg_lo:[0,0,1] neg_hi:[0,0,1]
	v_pk_fma_f32 v[8:9], v[14:15], v[150:151], v[8:9] op_sel:[0,0,1] op_sel_hi:[1,0,0]
	v_mov_b32_e32 v8, v149
	v_mov_b32_e32 v11, v9
	v_pk_mul_f32 v[8:9], v[16:17], v[8:9] op_sel_hi:[1,0]
	v_pk_add_f32 v[6:7], v[6:7], v[10:11]
	v_pk_fma_f32 v[10:11], v[16:17], v[148:149], v[8:9] op_sel:[0,0,1] op_sel_hi:[1,1,0] neg_lo:[0,0,1] neg_hi:[0,0,1]
	v_pk_fma_f32 v[8:9], v[16:17], v[148:149], v[8:9] op_sel:[0,0,1] op_sel_hi:[1,0,0]
	v_mov_b32_e32 v8, v147
	v_mov_b32_e32 v11, v9
	s_waitcnt lgkmcnt(0)
	v_pk_mul_f32 v[8:9], v[96:97], v[8:9] op_sel_hi:[1,0]
	v_pk_add_f32 v[6:7], v[6:7], v[10:11]
	v_pk_fma_f32 v[10:11], v[96:97], v[146:147], v[8:9] op_sel:[0,0,1] op_sel_hi:[1,1,0] neg_lo:[0,0,1] neg_hi:[0,0,1]
	v_pk_fma_f32 v[8:9], v[96:97], v[146:147], v[8:9] op_sel:[0,0,1] op_sel_hi:[1,0,0]
	v_mov_b32_e32 v11, v9
	v_pk_add_f32 v[6:7], v[6:7], v[10:11]
	v_pk_add_f32 v[2:3], v[2:3], v[6:7] neg_lo:[0,1] neg_hi:[0,1]
	buffer_store_dword v3, off, s[0:3], 0 offset:60
	buffer_store_dword v2, off, s[0:3], 0 offset:56
	s_and_saveexec_b64 s[4:5], vcc
	s_cbranch_execz .LBB102_235
; %bb.234:
	buffer_load_dword v2, off, s[0:3], 0 offset:48
	buffer_load_dword v3, off, s[0:3], 0 offset:52
	s_waitcnt vmcnt(0)
	ds_write_b64 v1, v[2:3]
	buffer_store_dword v4, off, s[0:3], 0 offset:48
	buffer_store_dword v4, off, s[0:3], 0 offset:52
.LBB102_235:
	s_or_b64 exec, exec, s[4:5]
	s_waitcnt lgkmcnt(0)
	; wave barrier
	s_waitcnt lgkmcnt(0)
	buffer_load_dword v5, off, s[0:3], 0 offset:60
	buffer_load_dword v132, off, s[0:3], 0 offset:68
	;; [unrolled: 1-line block ×48, first 2 shown]
	ds_read2_b64 v[6:9], v4 offset0:47 offset1:48
	ds_read2_b64 v[10:13], v4 offset0:49 offset1:50
	;; [unrolled: 1-line block ×6, first 2 shown]
	buffer_load_dword v196, off, s[0:3], 0 offset:240
	buffer_load_dword v197, off, s[0:3], 0 offset:244
	v_cmp_lt_u32_e32 vcc, 5, v0
	s_waitcnt vmcnt(49) lgkmcnt(5)
	v_mul_f32_e32 v108, v6, v5
	s_waitcnt vmcnt(48)
	v_mul_f32_e32 v109, v8, v132
	s_waitcnt vmcnt(47) lgkmcnt(4)
	v_mul_f32_e32 v110, v10, v134
	s_waitcnt vmcnt(46)
	v_mul_f32_e32 v111, v12, v142
	;; [unrolled: 4-line block ×6, first 2 shown]
	s_waitcnt vmcnt(37)
	v_fmac_f32_e32 v108, v7, v162
	s_waitcnt vmcnt(36)
	v_fmac_f32_e32 v109, v9, v163
	v_add_f32_e32 v108, 0, v108
	s_waitcnt vmcnt(35)
	v_fmac_f32_e32 v110, v11, v164
	v_add_f32_e32 v108, v108, v109
	;; [unrolled: 3-line block ×9, first 2 shown]
	v_add_f32_e32 v112, v108, v117
	ds_read2_b64 v[108:111], v4 offset0:59 offset1:60
	s_waitcnt vmcnt(27)
	v_fmac_f32_e32 v118, v105, v172
	v_add_f32_e32 v112, v112, v118
	s_waitcnt vmcnt(26)
	v_fmac_f32_e32 v119, v107, v173
	v_add_f32_e32 v116, v112, v119
	ds_read2_b64 v[112:115], v4 offset0:61 offset1:62
	s_waitcnt vmcnt(25) lgkmcnt(1)
	v_mul_f32_e32 v117, v108, v174
	s_waitcnt vmcnt(24)
	v_fmac_f32_e32 v117, v109, v175
	v_add_f32_e32 v116, v116, v117
	s_waitcnt vmcnt(23)
	v_mul_f32_e32 v117, v110, v176
	s_waitcnt vmcnt(22)
	v_fmac_f32_e32 v117, v111, v177
	v_add_f32_e32 v116, v116, v117
	s_waitcnt vmcnt(21) lgkmcnt(0)
	v_mul_f32_e32 v117, v112, v178
	s_waitcnt vmcnt(20)
	v_fmac_f32_e32 v117, v113, v179
	v_add_f32_e32 v120, v116, v117
	ds_read2_b64 v[116:119], v4 offset0:63 offset1:64
	s_waitcnt vmcnt(19)
	v_mul_f32_e32 v121, v114, v180
	s_waitcnt vmcnt(18)
	v_fmac_f32_e32 v121, v115, v181
	v_add_f32_e32 v124, v120, v121
	ds_read2_b64 v[120:123], v4 offset0:65 offset1:66
	s_waitcnt vmcnt(17) lgkmcnt(1)
	v_mul_f32_e32 v125, v116, v182
	s_waitcnt vmcnt(16)
	v_fmac_f32_e32 v125, v117, v183
	v_add_f32_e32 v124, v124, v125
	s_waitcnt vmcnt(15)
	v_mul_f32_e32 v125, v118, v184
	s_waitcnt vmcnt(14)
	v_fmac_f32_e32 v125, v119, v185
	v_add_f32_e32 v124, v124, v125
	s_waitcnt vmcnt(13) lgkmcnt(0)
	v_mul_f32_e32 v125, v120, v186
	s_waitcnt vmcnt(12)
	v_fmac_f32_e32 v125, v121, v187
	s_waitcnt vmcnt(11)
	v_mul_f32_e32 v129, v122, v188
	v_add_f32_e32 v128, v124, v125
	s_waitcnt vmcnt(10)
	v_fmac_f32_e32 v129, v123, v189
	ds_read2_b64 v[124:127], v4 offset0:67 offset1:68
	v_add_f32_e32 v133, v128, v129
	ds_read2_b64 v[128:131], v4 offset0:69 offset1:70
	buffer_load_dword v137, off, s[0:3], 0 offset:268
	buffer_load_dword v136, off, s[0:3], 0 offset:264
	;; [unrolled: 1-line block ×16, first 2 shown]
	v_mul_f32_e32 v5, v7, v5
	v_fma_f32 v5, v6, v162, -v5
	v_mul_f32_e32 v6, v9, v132
	v_add_f32_e32 v5, 0, v5
	v_fma_f32 v6, v8, v163, -v6
	v_add_f32_e32 v5, v5, v6
	v_mul_f32_e32 v6, v11, v134
	v_fma_f32 v6, v10, v164, -v6
	v_add_f32_e32 v5, v5, v6
	v_mul_f32_e32 v6, v13, v142
	;; [unrolled: 3-line block ×18, first 2 shown]
	v_fma_f32 v6, v122, v189, -v6
	v_add_f32_e32 v5, v5, v6
	s_waitcnt vmcnt(23) lgkmcnt(1)
	v_mul_f32_e32 v6, v125, v190
	s_waitcnt vmcnt(22)
	v_fma_f32 v6, v124, v191, -v6
	v_add_f32_e32 v5, v5, v6
	s_waitcnt vmcnt(20)
	v_mul_f32_e32 v6, v127, v193
	v_fma_f32 v6, v126, v192, -v6
	v_add_f32_e32 v132, v5, v6
	ds_read2_b64 v[6:9], v4 offset0:71 offset1:72
	ds_read2_b64 v[10:13], v4 offset0:73 offset1:74
	;; [unrolled: 1-line block ×4, first 2 shown]
	v_mul_f32_e32 v135, v124, v190
	v_fmac_f32_e32 v135, v125, v191
	v_add_f32_e32 v133, v133, v135
	v_mul_f32_e32 v135, v126, v193
	v_fmac_f32_e32 v135, v127, v192
	v_add_f32_e32 v133, v133, v135
	s_waitcnt vmcnt(18) lgkmcnt(4)
	v_mul_f32_e32 v135, v128, v195
	v_mul_f32_e32 v5, v129, v195
	v_fmac_f32_e32 v135, v129, v194
	s_waitcnt vmcnt(16)
	v_mul_f32_e32 v143, v130, v197
	s_waitcnt vmcnt(11)
	v_mov_b32_e32 v100, v141
	s_waitcnt lgkmcnt(3)
	v_pk_mul_f32 v[100:101], v[6:7], v[100:101] op_sel_hi:[1,0]
	s_waitcnt vmcnt(10)
	v_pk_fma_f32 v[102:103], v[6:7], v[140:141], v[100:101] op_sel:[0,0,1] op_sel_hi:[1,1,0] neg_lo:[0,0,1] neg_hi:[0,0,1]
	v_pk_fma_f32 v[6:7], v[6:7], v[140:141], v[100:101] op_sel:[0,0,1] op_sel_hi:[1,0,0]
	v_mov_b32_e32 v6, v139
	v_mov_b32_e32 v103, v7
	v_pk_mul_f32 v[6:7], v[8:9], v[6:7] op_sel_hi:[1,0]
	v_pk_fma_f32 v[100:101], v[8:9], v[138:139], v[6:7] op_sel:[0,0,1] op_sel_hi:[1,1,0] neg_lo:[0,0,1] neg_hi:[0,0,1]
	v_pk_fma_f32 v[6:7], v[8:9], v[138:139], v[6:7] op_sel:[0,0,1] op_sel_hi:[1,0,0]
	v_fma_f32 v134, v128, v194, -v5
	v_mul_f32_e32 v5, v131, v197
	v_mov_b32_e32 v6, v137
	v_fmac_f32_e32 v143, v131, v196
	v_fma_f32 v142, v130, v196, -v5
	v_pk_add_f32 v[4:5], v[132:133], v[134:135]
	v_mov_b32_e32 v101, v7
	s_waitcnt lgkmcnt(2)
	v_pk_mul_f32 v[6:7], v[10:11], v[6:7] op_sel_hi:[1,0]
	v_pk_add_f32 v[4:5], v[4:5], v[142:143]
	v_pk_fma_f32 v[8:9], v[10:11], v[136:137], v[6:7] op_sel:[0,0,1] op_sel_hi:[1,1,0] neg_lo:[0,0,1] neg_hi:[0,0,1]
	v_pk_fma_f32 v[6:7], v[10:11], v[136:137], v[6:7] op_sel:[0,0,1] op_sel_hi:[1,0,0]
	v_pk_add_f32 v[4:5], v[4:5], v[102:103]
	s_waitcnt vmcnt(3)
	v_mov_b32_e32 v6, v151
	v_pk_add_f32 v[4:5], v[4:5], v[100:101]
	v_mov_b32_e32 v9, v7
	v_pk_mul_f32 v[6:7], v[12:13], v[6:7] op_sel_hi:[1,0]
	v_pk_add_f32 v[4:5], v[4:5], v[8:9]
	s_waitcnt vmcnt(2)
	v_pk_fma_f32 v[8:9], v[12:13], v[150:151], v[6:7] op_sel:[0,0,1] op_sel_hi:[1,1,0] neg_lo:[0,0,1] neg_hi:[0,0,1]
	v_pk_fma_f32 v[6:7], v[12:13], v[150:151], v[6:7] op_sel:[0,0,1] op_sel_hi:[1,0,0]
	v_mov_b32_e32 v6, v149
	v_mov_b32_e32 v9, v7
	s_waitcnt lgkmcnt(1)
	v_pk_mul_f32 v[6:7], v[14:15], v[6:7] op_sel_hi:[1,0]
	v_pk_add_f32 v[4:5], v[4:5], v[8:9]
	v_pk_fma_f32 v[8:9], v[14:15], v[148:149], v[6:7] op_sel:[0,0,1] op_sel_hi:[1,1,0] neg_lo:[0,0,1] neg_hi:[0,0,1]
	v_pk_fma_f32 v[6:7], v[14:15], v[148:149], v[6:7] op_sel:[0,0,1] op_sel_hi:[1,0,0]
	v_mov_b32_e32 v6, v147
	v_mov_b32_e32 v9, v7
	v_pk_mul_f32 v[6:7], v[16:17], v[6:7] op_sel_hi:[1,0]
	v_pk_add_f32 v[4:5], v[4:5], v[8:9]
	v_pk_fma_f32 v[8:9], v[16:17], v[146:147], v[6:7] op_sel:[0,0,1] op_sel_hi:[1,1,0] neg_lo:[0,0,1] neg_hi:[0,0,1]
	v_pk_fma_f32 v[6:7], v[16:17], v[146:147], v[6:7] op_sel:[0,0,1] op_sel_hi:[1,0,0]
	v_mov_b32_e32 v6, v145
	v_mov_b32_e32 v9, v7
	s_waitcnt lgkmcnt(0)
	v_pk_mul_f32 v[6:7], v[96:97], v[6:7] op_sel_hi:[1,0]
	v_pk_add_f32 v[4:5], v[4:5], v[8:9]
	v_pk_fma_f32 v[8:9], v[96:97], v[144:145], v[6:7] op_sel:[0,0,1] op_sel_hi:[1,1,0] neg_lo:[0,0,1] neg_hi:[0,0,1]
	v_pk_fma_f32 v[6:7], v[96:97], v[144:145], v[6:7] op_sel:[0,0,1] op_sel_hi:[1,0,0]
	s_waitcnt vmcnt(1)
	v_mov_b32_e32 v6, v153
	v_mov_b32_e32 v9, v7
	v_pk_mul_f32 v[6:7], v[98:99], v[6:7] op_sel_hi:[1,0]
	v_pk_add_f32 v[4:5], v[4:5], v[8:9]
	s_waitcnt vmcnt(0)
	v_pk_fma_f32 v[8:9], v[98:99], v[152:153], v[6:7] op_sel:[0,0,1] op_sel_hi:[1,1,0] neg_lo:[0,0,1] neg_hi:[0,0,1]
	v_pk_fma_f32 v[6:7], v[98:99], v[152:153], v[6:7] op_sel:[0,0,1] op_sel_hi:[1,0,0]
	v_mov_b32_e32 v9, v7
	v_pk_add_f32 v[4:5], v[4:5], v[8:9]
	v_pk_add_f32 v[2:3], v[2:3], v[4:5] neg_lo:[0,1] neg_hi:[0,1]
	buffer_store_dword v3, off, s[0:3], 0 offset:52
	buffer_store_dword v2, off, s[0:3], 0 offset:48
	s_and_saveexec_b64 s[4:5], vcc
	s_cbranch_execz .LBB102_237
; %bb.236:
	buffer_load_dword v2, off, s[0:3], 0 offset:40
	buffer_load_dword v3, off, s[0:3], 0 offset:44
	v_mov_b32_e32 v4, 0
	buffer_store_dword v4, off, s[0:3], 0 offset:40
	buffer_store_dword v4, off, s[0:3], 0 offset:44
	s_waitcnt vmcnt(2)
	ds_write_b64 v1, v[2:3]
.LBB102_237:
	s_or_b64 exec, exec, s[4:5]
	s_waitcnt lgkmcnt(0)
	; wave barrier
	s_waitcnt lgkmcnt(0)
	buffer_load_dword v5, off, s[0:3], 0 offset:52
	buffer_load_dword v140, off, s[0:3], 0 offset:60
	;; [unrolled: 1-line block ×52, first 2 shown]
	v_mov_b32_e32 v4, 0
	ds_read_b128 v[6:9], v4 offset:368
	ds_read_b128 v[10:13], v4 offset:384
	;; [unrolled: 1-line block ×6, first 2 shown]
	v_cmp_lt_u32_e32 vcc, 4, v0
	s_waitcnt vmcnt(51) lgkmcnt(5)
	v_mul_f32_e32 v108, v6, v5
	s_waitcnt vmcnt(50)
	v_mul_f32_e32 v109, v8, v140
	s_waitcnt vmcnt(49) lgkmcnt(4)
	v_mul_f32_e32 v110, v10, v146
	s_waitcnt vmcnt(48)
	v_mul_f32_e32 v111, v12, v148
	;; [unrolled: 4-line block ×5, first 2 shown]
	s_waitcnt vmcnt(41) lgkmcnt(0)
	v_mul_f32_e32 v118, v104, v168
	s_waitcnt vmcnt(40)
	v_fmac_f32_e32 v108, v7, v169
	s_waitcnt vmcnt(39)
	v_fmac_f32_e32 v109, v9, v170
	v_add_f32_e32 v108, 0, v108
	s_waitcnt vmcnt(38)
	v_fmac_f32_e32 v110, v11, v171
	v_add_f32_e32 v108, v108, v109
	;; [unrolled: 3-line block ×9, first 2 shown]
	v_add_f32_e32 v108, v108, v117
	s_waitcnt vmcnt(30)
	v_fmac_f32_e32 v118, v105, v179
	v_add_f32_e32 v112, v108, v118
	ds_read_b128 v[108:111], v4 offset:464
	s_waitcnt vmcnt(29)
	v_mul_f32_e32 v113, v106, v180
	s_waitcnt vmcnt(28)
	v_fmac_f32_e32 v113, v107, v181
	v_add_f32_e32 v116, v112, v113
	ds_read_b128 v[112:115], v4 offset:480
	s_waitcnt vmcnt(27) lgkmcnt(1)
	v_mul_f32_e32 v117, v108, v182
	s_waitcnt vmcnt(26)
	v_fmac_f32_e32 v117, v109, v183
	v_add_f32_e32 v116, v116, v117
	s_waitcnt vmcnt(25)
	v_mul_f32_e32 v117, v110, v184
	s_waitcnt vmcnt(24)
	v_fmac_f32_e32 v117, v111, v185
	v_add_f32_e32 v116, v116, v117
	s_waitcnt vmcnt(23) lgkmcnt(0)
	v_mul_f32_e32 v117, v112, v186
	s_waitcnt vmcnt(22)
	v_fmac_f32_e32 v117, v113, v187
	v_add_f32_e32 v120, v116, v117
	ds_read_b128 v[116:119], v4 offset:496
	s_waitcnt vmcnt(21)
	v_mul_f32_e32 v121, v114, v188
	s_waitcnt vmcnt(20)
	v_fmac_f32_e32 v121, v115, v189
	v_add_f32_e32 v124, v120, v121
	ds_read_b128 v[120:123], v4 offset:512
	s_waitcnt vmcnt(19) lgkmcnt(1)
	v_mul_f32_e32 v125, v116, v190
	s_waitcnt vmcnt(18)
	v_fmac_f32_e32 v125, v117, v191
	v_add_f32_e32 v124, v124, v125
	s_waitcnt vmcnt(17)
	v_mul_f32_e32 v125, v118, v192
	s_waitcnt vmcnt(16)
	v_fmac_f32_e32 v125, v119, v193
	v_add_f32_e32 v124, v124, v125
	s_waitcnt vmcnt(14) lgkmcnt(0)
	v_mul_f32_e32 v125, v120, v195
	v_fmac_f32_e32 v125, v121, v194
	v_add_f32_e32 v128, v124, v125
	ds_read_b128 v[124:127], v4 offset:528
	s_waitcnt vmcnt(10)
	v_mul_f32_e32 v129, v122, v197
	v_fmac_f32_e32 v129, v123, v196
	v_add_f32_e32 v132, v128, v129
	ds_read_b128 v[128:131], v4 offset:544
	s_waitcnt vmcnt(8) lgkmcnt(1)
	v_mul_f32_e32 v133, v124, v199
	v_fmac_f32_e32 v133, v125, v198
	v_add_f32_e32 v132, v132, v133
	s_waitcnt vmcnt(6)
	v_mul_f32_e32 v133, v126, v201
	v_fmac_f32_e32 v133, v127, v200
	v_add_f32_e32 v132, v132, v133
	s_waitcnt vmcnt(4) lgkmcnt(0)
	v_mul_f32_e32 v133, v128, v203
	v_fmac_f32_e32 v133, v129, v202
	v_add_f32_e32 v141, v132, v133
	ds_read_b128 v[132:135], v4 offset:560
	buffer_load_dword v143, off, s[0:3], 0 offset:260
	buffer_load_dword v142, off, s[0:3], 0 offset:256
	;; [unrolled: 1-line block ×4, first 2 shown]
	ds_read_b128 v[136:139], v4 offset:576
	buffer_load_dword v151, off, s[0:3], 0 offset:292
	buffer_load_dword v150, off, s[0:3], 0 offset:288
	;; [unrolled: 1-line block ×12, first 2 shown]
	v_mul_f32_e32 v5, v7, v5
	v_fma_f32 v5, v6, v169, -v5
	v_mul_f32_e32 v6, v9, v140
	v_add_f32_e32 v5, 0, v5
	v_fma_f32 v6, v8, v170, -v6
	v_add_f32_e32 v5, v5, v6
	v_mul_f32_e32 v6, v11, v146
	v_fma_f32 v6, v10, v171, -v6
	v_add_f32_e32 v5, v5, v6
	v_mul_f32_e32 v6, v13, v148
	v_fma_f32 v6, v12, v172, -v6
	v_add_f32_e32 v5, v5, v6
	v_mul_f32_e32 v6, v15, v162
	v_fma_f32 v6, v14, v173, -v6
	v_add_f32_e32 v5, v5, v6
	v_mul_f32_e32 v6, v17, v163
	v_fma_f32 v6, v16, v174, -v6
	v_add_f32_e32 v5, v5, v6
	v_mul_f32_e32 v6, v97, v164
	v_fma_f32 v6, v96, v175, -v6
	v_add_f32_e32 v5, v5, v6
	v_mul_f32_e32 v6, v99, v165
	v_fma_f32 v6, v98, v176, -v6
	v_add_f32_e32 v5, v5, v6
	v_mul_f32_e32 v6, v101, v166
	v_fma_f32 v6, v100, v177, -v6
	v_add_f32_e32 v5, v5, v6
	v_mul_f32_e32 v6, v103, v167
	v_fma_f32 v6, v102, v178, -v6
	v_add_f32_e32 v5, v5, v6
	v_mul_f32_e32 v6, v105, v168
	v_fma_f32 v6, v104, v179, -v6
	v_add_f32_e32 v5, v5, v6
	v_mul_f32_e32 v6, v107, v180
	v_fma_f32 v6, v106, v181, -v6
	v_add_f32_e32 v5, v5, v6
	v_mul_f32_e32 v6, v109, v182
	v_fma_f32 v6, v108, v183, -v6
	v_add_f32_e32 v5, v5, v6
	v_mul_f32_e32 v6, v111, v184
	v_fma_f32 v6, v110, v185, -v6
	v_add_f32_e32 v5, v5, v6
	v_mul_f32_e32 v6, v113, v186
	v_fma_f32 v6, v112, v187, -v6
	v_add_f32_e32 v5, v5, v6
	v_mul_f32_e32 v6, v115, v188
	v_fma_f32 v6, v114, v189, -v6
	v_add_f32_e32 v5, v5, v6
	v_mul_f32_e32 v6, v117, v190
	v_fma_f32 v6, v116, v191, -v6
	v_add_f32_e32 v5, v5, v6
	v_mul_f32_e32 v6, v119, v192
	v_fma_f32 v6, v118, v193, -v6
	v_add_f32_e32 v5, v5, v6
	v_mul_f32_e32 v6, v121, v195
	v_fma_f32 v6, v120, v194, -v6
	v_add_f32_e32 v5, v5, v6
	v_mul_f32_e32 v6, v123, v197
	v_fma_f32 v6, v122, v196, -v6
	v_add_f32_e32 v5, v5, v6
	v_mul_f32_e32 v6, v125, v199
	v_fma_f32 v6, v124, v198, -v6
	v_add_f32_e32 v5, v5, v6
	v_mul_f32_e32 v6, v127, v201
	v_fma_f32 v6, v126, v200, -v6
	v_add_f32_e32 v5, v5, v6
	v_mul_f32_e32 v6, v129, v203
	v_fma_f32 v6, v128, v202, -v6
	s_waitcnt vmcnt(18)
	v_mul_f32_e32 v147, v130, v205
	v_add_f32_e32 v140, v5, v6
	v_mul_f32_e32 v5, v131, v205
	v_fmac_f32_e32 v147, v131, v204
	s_waitcnt vmcnt(16) lgkmcnt(1)
	v_mul_f32_e32 v149, v132, v207
	v_fma_f32 v146, v130, v204, -v5
	v_mul_f32_e32 v5, v133, v207
	v_fmac_f32_e32 v149, v133, v206
	s_waitcnt vmcnt(13)
	v_mov_b32_e32 v96, v145
	v_pk_mul_f32 v[96:97], v[134:135], v[96:97] op_sel_hi:[1,0]
	s_waitcnt vmcnt(12)
	v_pk_fma_f32 v[98:99], v[134:135], v[144:145], v[96:97] op_sel:[0,0,1] op_sel_hi:[1,1,0] neg_lo:[0,0,1] neg_hi:[0,0,1]
	v_pk_fma_f32 v[96:97], v[134:135], v[144:145], v[96:97] op_sel:[0,0,1] op_sel_hi:[1,0,0]
	v_fma_f32 v148, v132, v206, -v5
	v_pk_add_f32 v[16:17], v[140:141], v[146:147]
	v_mov_b32_e32 v96, v143
	v_pk_add_f32 v[16:17], v[16:17], v[148:149]
	v_mov_b32_e32 v99, v97
	s_waitcnt lgkmcnt(0)
	v_pk_mul_f32 v[96:97], v[136:137], v[96:97] op_sel_hi:[1,0]
	v_pk_add_f32 v[16:17], v[16:17], v[98:99]
	v_pk_fma_f32 v[98:99], v[136:137], v[142:143], v[96:97] op_sel:[0,0,1] op_sel_hi:[1,1,0] neg_lo:[0,0,1] neg_hi:[0,0,1]
	v_pk_fma_f32 v[96:97], v[136:137], v[142:143], v[96:97] op_sel:[0,0,1] op_sel_hi:[1,0,0]
	s_waitcnt vmcnt(5)
	v_mov_b32_e32 v96, v157
	ds_read_b128 v[6:9], v4 offset:592
	ds_read_b128 v[10:13], v4 offset:608
	ds_read_b64 v[14:15], v4 offset:624
	v_mov_b32_e32 v99, v97
	v_pk_mul_f32 v[96:97], v[138:139], v[96:97] op_sel_hi:[1,0]
	v_pk_add_f32 v[16:17], v[16:17], v[98:99]
	s_waitcnt vmcnt(4)
	v_pk_fma_f32 v[98:99], v[138:139], v[156:157], v[96:97] op_sel:[0,0,1] op_sel_hi:[1,1,0] neg_lo:[0,0,1] neg_hi:[0,0,1]
	v_pk_fma_f32 v[96:97], v[138:139], v[156:157], v[96:97] op_sel:[0,0,1] op_sel_hi:[1,0,0]
	v_mov_b32_e32 v96, v155
	v_mov_b32_e32 v99, v97
	s_waitcnt lgkmcnt(2)
	v_pk_mul_f32 v[96:97], v[6:7], v[96:97] op_sel_hi:[1,0]
	v_pk_add_f32 v[16:17], v[16:17], v[98:99]
	v_pk_fma_f32 v[98:99], v[6:7], v[154:155], v[96:97] op_sel:[0,0,1] op_sel_hi:[1,1,0] neg_lo:[0,0,1] neg_hi:[0,0,1]
	v_pk_fma_f32 v[6:7], v[6:7], v[154:155], v[96:97] op_sel:[0,0,1] op_sel_hi:[1,0,0]
	v_mov_b32_e32 v99, v7
	v_pk_add_f32 v[6:7], v[16:17], v[98:99]
	v_mov_b32_e32 v16, v153
	v_pk_mul_f32 v[16:17], v[8:9], v[16:17] op_sel_hi:[1,0]
	v_pk_fma_f32 v[96:97], v[8:9], v[152:153], v[16:17] op_sel:[0,0,1] op_sel_hi:[1,1,0] neg_lo:[0,0,1] neg_hi:[0,0,1]
	v_pk_fma_f32 v[8:9], v[8:9], v[152:153], v[16:17] op_sel:[0,0,1] op_sel_hi:[1,0,0]
	v_mov_b32_e32 v8, v151
	v_mov_b32_e32 v97, v9
	s_waitcnt lgkmcnt(1)
	v_pk_mul_f32 v[8:9], v[10:11], v[8:9] op_sel_hi:[1,0]
	v_pk_fma_f32 v[16:17], v[10:11], v[150:151], v[8:9] op_sel:[0,0,1] op_sel_hi:[1,1,0] neg_lo:[0,0,1] neg_hi:[0,0,1]
	v_pk_fma_f32 v[8:9], v[10:11], v[150:151], v[8:9] op_sel:[0,0,1] op_sel_hi:[1,0,0]
	s_waitcnt vmcnt(1)
	v_mov_b32_e32 v8, v161
	v_mov_b32_e32 v17, v9
	v_pk_mul_f32 v[8:9], v[12:13], v[8:9] op_sel_hi:[1,0]
	s_waitcnt vmcnt(0)
	v_pk_fma_f32 v[10:11], v[12:13], v[160:161], v[8:9] op_sel:[0,0,1] op_sel_hi:[1,1,0] neg_lo:[0,0,1] neg_hi:[0,0,1]
	v_pk_fma_f32 v[8:9], v[12:13], v[160:161], v[8:9] op_sel:[0,0,1] op_sel_hi:[1,0,0]
	v_pk_add_f32 v[6:7], v[6:7], v[96:97]
	v_mov_b32_e32 v8, v159
	v_pk_add_f32 v[6:7], v[6:7], v[16:17]
	v_mov_b32_e32 v11, v9
	s_waitcnt lgkmcnt(0)
	v_pk_mul_f32 v[8:9], v[14:15], v[8:9] op_sel_hi:[1,0]
	v_pk_add_f32 v[6:7], v[6:7], v[10:11]
	v_pk_fma_f32 v[10:11], v[14:15], v[158:159], v[8:9] op_sel:[0,0,1] op_sel_hi:[1,1,0] neg_lo:[0,0,1] neg_hi:[0,0,1]
	v_pk_fma_f32 v[8:9], v[14:15], v[158:159], v[8:9] op_sel:[0,0,1] op_sel_hi:[1,0,0]
	v_mov_b32_e32 v11, v9
	v_pk_add_f32 v[6:7], v[6:7], v[10:11]
	v_pk_add_f32 v[2:3], v[2:3], v[6:7] neg_lo:[0,1] neg_hi:[0,1]
	buffer_store_dword v3, off, s[0:3], 0 offset:44
	buffer_store_dword v2, off, s[0:3], 0 offset:40
	s_and_saveexec_b64 s[4:5], vcc
	s_cbranch_execz .LBB102_239
; %bb.238:
	buffer_load_dword v2, off, s[0:3], 0 offset:32
	buffer_load_dword v3, off, s[0:3], 0 offset:36
	s_waitcnt vmcnt(0)
	ds_write_b64 v1, v[2:3]
	buffer_store_dword v4, off, s[0:3], 0 offset:32
	buffer_store_dword v4, off, s[0:3], 0 offset:36
.LBB102_239:
	s_or_b64 exec, exec, s[4:5]
	s_waitcnt lgkmcnt(0)
	; wave barrier
	s_waitcnt lgkmcnt(0)
	buffer_load_dword v5, off, s[0:3], 0 offset:44
	buffer_load_dword v142, off, s[0:3], 0 offset:52
	buffer_load_dword v144, off, s[0:3], 0 offset:60
	buffer_load_dword v146, off, s[0:3], 0 offset:68
	buffer_load_dword v162, off, s[0:3], 0 offset:76
	buffer_load_dword v163, off, s[0:3], 0 offset:84
	buffer_load_dword v164, off, s[0:3], 0 offset:92
	buffer_load_dword v165, off, s[0:3], 0 offset:100
	buffer_load_dword v166, off, s[0:3], 0 offset:108
	buffer_load_dword v167, off, s[0:3], 0 offset:116
	buffer_load_dword v168, off, s[0:3], 0 offset:40
	buffer_load_dword v169, off, s[0:3], 0 offset:48
	buffer_load_dword v170, off, s[0:3], 0 offset:56
	buffer_load_dword v171, off, s[0:3], 0 offset:64
	buffer_load_dword v172, off, s[0:3], 0 offset:72
	buffer_load_dword v173, off, s[0:3], 0 offset:80
	buffer_load_dword v174, off, s[0:3], 0 offset:88
	buffer_load_dword v175, off, s[0:3], 0 offset:96
	buffer_load_dword v176, off, s[0:3], 0 offset:104
	buffer_load_dword v177, off, s[0:3], 0 offset:112
	buffer_load_dword v178, off, s[0:3], 0 offset:124
	buffer_load_dword v179, off, s[0:3], 0 offset:120
	buffer_load_dword v180, off, s[0:3], 0 offset:132
	buffer_load_dword v181, off, s[0:3], 0 offset:128
	buffer_load_dword v182, off, s[0:3], 0 offset:140
	buffer_load_dword v183, off, s[0:3], 0 offset:136
	buffer_load_dword v184, off, s[0:3], 0 offset:148
	buffer_load_dword v185, off, s[0:3], 0 offset:144
	buffer_load_dword v186, off, s[0:3], 0 offset:156
	buffer_load_dword v187, off, s[0:3], 0 offset:152
	buffer_load_dword v188, off, s[0:3], 0 offset:164
	buffer_load_dword v189, off, s[0:3], 0 offset:160
	buffer_load_dword v190, off, s[0:3], 0 offset:172
	buffer_load_dword v191, off, s[0:3], 0 offset:168
	buffer_load_dword v192, off, s[0:3], 0 offset:176
	buffer_load_dword v193, off, s[0:3], 0 offset:180
	buffer_load_dword v2, off, s[0:3], 0 offset:32
	buffer_load_dword v3, off, s[0:3], 0 offset:36
	buffer_load_dword v194, off, s[0:3], 0 offset:188
	buffer_load_dword v195, off, s[0:3], 0 offset:184
	buffer_load_dword v196, off, s[0:3], 0 offset:192
	buffer_load_dword v197, off, s[0:3], 0 offset:196
	ds_read2_b64 v[6:9], v4 offset0:45 offset1:46
	ds_read2_b64 v[10:13], v4 offset0:47 offset1:48
	buffer_load_dword v198, off, s[0:3], 0 offset:200
	buffer_load_dword v199, off, s[0:3], 0 offset:204
	ds_read2_b64 v[14:17], v4 offset0:49 offset1:50
	ds_read2_b64 v[96:99], v4 offset0:51 offset1:52
	buffer_load_dword v200, off, s[0:3], 0 offset:208
	buffer_load_dword v201, off, s[0:3], 0 offset:212
	;; [unrolled: 1-line block ×4, first 2 shown]
	ds_read2_b64 v[100:103], v4 offset0:53 offset1:54
	ds_read2_b64 v[104:107], v4 offset0:55 offset1:56
	buffer_load_dword v204, off, s[0:3], 0 offset:224
	buffer_load_dword v205, off, s[0:3], 0 offset:228
	;; [unrolled: 1-line block ×6, first 2 shown]
	v_cmp_lt_u32_e32 vcc, 3, v0
	s_waitcnt vmcnt(53) lgkmcnt(5)
	v_mul_f32_e32 v108, v6, v5
	s_waitcnt vmcnt(52)
	v_mul_f32_e32 v109, v8, v142
	s_waitcnt vmcnt(51) lgkmcnt(4)
	v_mul_f32_e32 v110, v10, v144
	s_waitcnt vmcnt(50)
	v_mul_f32_e32 v111, v12, v146
	;; [unrolled: 4-line block ×5, first 2 shown]
	s_waitcnt vmcnt(43)
	v_fmac_f32_e32 v108, v7, v168
	s_waitcnt vmcnt(42)
	v_fmac_f32_e32 v109, v9, v169
	v_add_f32_e32 v108, 0, v108
	s_waitcnt vmcnt(41)
	v_fmac_f32_e32 v110, v11, v170
	v_add_f32_e32 v108, v108, v109
	;; [unrolled: 3-line block ×9, first 2 shown]
	s_waitcnt vmcnt(33) lgkmcnt(0)
	v_mul_f32_e32 v109, v104, v178
	v_add_f32_e32 v108, v108, v117
	s_waitcnt vmcnt(32)
	v_fmac_f32_e32 v109, v105, v179
	v_add_f32_e32 v112, v108, v109
	ds_read2_b64 v[108:111], v4 offset0:57 offset1:58
	s_waitcnt vmcnt(31)
	v_mul_f32_e32 v113, v106, v180
	s_waitcnt vmcnt(30)
	v_fmac_f32_e32 v113, v107, v181
	v_add_f32_e32 v116, v112, v113
	ds_read2_b64 v[112:115], v4 offset0:59 offset1:60
	s_waitcnt vmcnt(29) lgkmcnt(1)
	v_mul_f32_e32 v117, v108, v182
	s_waitcnt vmcnt(28)
	v_fmac_f32_e32 v117, v109, v183
	v_add_f32_e32 v116, v116, v117
	s_waitcnt vmcnt(27)
	v_mul_f32_e32 v117, v110, v184
	s_waitcnt vmcnt(26)
	v_fmac_f32_e32 v117, v111, v185
	v_add_f32_e32 v116, v116, v117
	s_waitcnt vmcnt(25) lgkmcnt(0)
	v_mul_f32_e32 v117, v112, v186
	s_waitcnt vmcnt(24)
	v_fmac_f32_e32 v117, v113, v187
	v_add_f32_e32 v120, v116, v117
	ds_read2_b64 v[116:119], v4 offset0:61 offset1:62
	s_waitcnt vmcnt(23)
	v_mul_f32_e32 v121, v114, v188
	s_waitcnt vmcnt(22)
	v_fmac_f32_e32 v121, v115, v189
	v_add_f32_e32 v124, v120, v121
	ds_read2_b64 v[120:123], v4 offset0:63 offset1:64
	s_waitcnt vmcnt(21) lgkmcnt(1)
	v_mul_f32_e32 v125, v116, v190
	s_waitcnt vmcnt(20)
	v_fmac_f32_e32 v125, v117, v191
	v_add_f32_e32 v124, v124, v125
	s_waitcnt vmcnt(18)
	v_mul_f32_e32 v125, v118, v193
	v_fmac_f32_e32 v125, v119, v192
	v_add_f32_e32 v124, v124, v125
	s_waitcnt vmcnt(15) lgkmcnt(0)
	v_mul_f32_e32 v125, v120, v194
	s_waitcnt vmcnt(14)
	v_fmac_f32_e32 v125, v121, v195
	v_add_f32_e32 v128, v124, v125
	ds_read2_b64 v[124:127], v4 offset0:65 offset1:66
	s_waitcnt vmcnt(12)
	v_mul_f32_e32 v129, v122, v197
	v_fmac_f32_e32 v129, v123, v196
	v_add_f32_e32 v132, v128, v129
	ds_read2_b64 v[128:131], v4 offset0:67 offset1:68
	buffer_load_dword v141, off, s[0:3], 0 offset:252
	buffer_load_dword v140, off, s[0:3], 0 offset:248
	s_waitcnt vmcnt(12) lgkmcnt(1)
	v_mul_f32_e32 v133, v124, v199
	v_fmac_f32_e32 v133, v125, v198
	v_add_f32_e32 v132, v132, v133
	s_waitcnt vmcnt(10)
	v_mul_f32_e32 v133, v126, v201
	v_fmac_f32_e32 v133, v127, v200
	v_add_f32_e32 v132, v132, v133
	s_waitcnt vmcnt(8) lgkmcnt(0)
	v_mul_f32_e32 v133, v128, v203
	v_fmac_f32_e32 v133, v129, v202
	s_waitcnt vmcnt(6)
	v_mul_f32_e32 v137, v130, v205
	v_add_f32_e32 v136, v132, v133
	v_fmac_f32_e32 v137, v131, v204
	ds_read2_b64 v[132:135], v4 offset0:69 offset1:70
	v_add_f32_e32 v143, v136, v137
	ds_read2_b64 v[136:139], v4 offset0:71 offset1:72
	buffer_load_dword v149, off, s[0:3], 0 offset:284
	buffer_load_dword v148, off, s[0:3], 0 offset:280
	;; [unrolled: 1-line block ×14, first 2 shown]
	v_mul_f32_e32 v5, v7, v5
	v_fma_f32 v5, v6, v168, -v5
	v_mul_f32_e32 v6, v9, v142
	v_add_f32_e32 v5, 0, v5
	v_fma_f32 v6, v8, v169, -v6
	v_add_f32_e32 v5, v5, v6
	v_mul_f32_e32 v6, v11, v144
	v_fma_f32 v6, v10, v170, -v6
	v_add_f32_e32 v5, v5, v6
	v_mul_f32_e32 v6, v13, v146
	;; [unrolled: 3-line block ×22, first 2 shown]
	v_fma_f32 v6, v130, v204, -v6
	s_waitcnt vmcnt(15)
	v_mov_b32_e32 v96, v141
	s_waitcnt lgkmcnt(1)
	v_mul_f32_e32 v145, v132, v207
	v_add_f32_e32 v142, v5, v6
	v_mul_f32_e32 v5, v133, v207
	s_waitcnt lgkmcnt(0)
	v_pk_mul_f32 v[96:97], v[136:137], v[96:97] op_sel_hi:[1,0]
	v_fmac_f32_e32 v145, v133, v206
	v_mul_f32_e32 v147, v134, v209
	v_fma_f32 v144, v132, v206, -v5
	v_mul_f32_e32 v5, v135, v209
	s_waitcnt vmcnt(14)
	v_pk_fma_f32 v[98:99], v[136:137], v[140:141], v[96:97] op_sel:[0,0,1] op_sel_hi:[1,1,0] neg_lo:[0,0,1] neg_hi:[0,0,1]
	v_pk_fma_f32 v[96:97], v[136:137], v[140:141], v[96:97] op_sel:[0,0,1] op_sel_hi:[1,0,0]
	v_fmac_f32_e32 v147, v135, v208
	v_fma_f32 v146, v134, v208, -v5
	ds_read2_b64 v[6:9], v4 offset0:73 offset1:74
	ds_read2_b64 v[10:13], v4 offset0:75 offset1:76
	;; [unrolled: 1-line block ×3, first 2 shown]
	v_pk_add_f32 v[4:5], v[142:143], v[144:145]
	s_waitcnt vmcnt(7)
	v_mov_b32_e32 v96, v155
	v_pk_add_f32 v[4:5], v[4:5], v[146:147]
	v_mov_b32_e32 v99, v97
	v_pk_mul_f32 v[96:97], v[138:139], v[96:97] op_sel_hi:[1,0]
	v_pk_add_f32 v[4:5], v[4:5], v[98:99]
	s_waitcnt vmcnt(6)
	v_pk_fma_f32 v[98:99], v[138:139], v[154:155], v[96:97] op_sel:[0,0,1] op_sel_hi:[1,1,0] neg_lo:[0,0,1] neg_hi:[0,0,1]
	v_pk_fma_f32 v[96:97], v[138:139], v[154:155], v[96:97] op_sel:[0,0,1] op_sel_hi:[1,0,0]
	v_mov_b32_e32 v96, v153
	v_mov_b32_e32 v99, v97
	s_waitcnt lgkmcnt(2)
	v_pk_mul_f32 v[96:97], v[6:7], v[96:97] op_sel_hi:[1,0]
	v_pk_add_f32 v[4:5], v[4:5], v[98:99]
	v_pk_fma_f32 v[98:99], v[6:7], v[152:153], v[96:97] op_sel:[0,0,1] op_sel_hi:[1,1,0] neg_lo:[0,0,1] neg_hi:[0,0,1]
	v_pk_fma_f32 v[6:7], v[6:7], v[152:153], v[96:97] op_sel:[0,0,1] op_sel_hi:[1,0,0]
	v_mov_b32_e32 v6, v151
	v_mov_b32_e32 v99, v7
	v_pk_mul_f32 v[6:7], v[8:9], v[6:7] op_sel_hi:[1,0]
	v_pk_fma_f32 v[96:97], v[8:9], v[150:151], v[6:7] op_sel:[0,0,1] op_sel_hi:[1,1,0] neg_lo:[0,0,1] neg_hi:[0,0,1]
	v_pk_fma_f32 v[6:7], v[8:9], v[150:151], v[6:7] op_sel:[0,0,1] op_sel_hi:[1,0,0]
	v_mov_b32_e32 v6, v149
	v_mov_b32_e32 v97, v7
	s_waitcnt lgkmcnt(1)
	v_pk_mul_f32 v[6:7], v[10:11], v[6:7] op_sel_hi:[1,0]
	v_pk_fma_f32 v[8:9], v[10:11], v[148:149], v[6:7] op_sel:[0,0,1] op_sel_hi:[1,1,0] neg_lo:[0,0,1] neg_hi:[0,0,1]
	v_pk_fma_f32 v[6:7], v[10:11], v[148:149], v[6:7] op_sel:[0,0,1] op_sel_hi:[1,0,0]
	v_pk_add_f32 v[4:5], v[4:5], v[98:99]
	s_waitcnt vmcnt(1)
	v_mov_b32_e32 v6, v161
	v_pk_add_f32 v[4:5], v[4:5], v[96:97]
	v_mov_b32_e32 v9, v7
	v_pk_mul_f32 v[6:7], v[12:13], v[6:7] op_sel_hi:[1,0]
	v_pk_add_f32 v[4:5], v[4:5], v[8:9]
	s_waitcnt vmcnt(0)
	v_pk_fma_f32 v[8:9], v[12:13], v[160:161], v[6:7] op_sel:[0,0,1] op_sel_hi:[1,1,0] neg_lo:[0,0,1] neg_hi:[0,0,1]
	v_pk_fma_f32 v[6:7], v[12:13], v[160:161], v[6:7] op_sel:[0,0,1] op_sel_hi:[1,0,0]
	v_mov_b32_e32 v6, v159
	v_mov_b32_e32 v9, v7
	s_waitcnt lgkmcnt(0)
	v_pk_mul_f32 v[6:7], v[14:15], v[6:7] op_sel_hi:[1,0]
	v_pk_add_f32 v[4:5], v[4:5], v[8:9]
	v_pk_fma_f32 v[8:9], v[14:15], v[158:159], v[6:7] op_sel:[0,0,1] op_sel_hi:[1,1,0] neg_lo:[0,0,1] neg_hi:[0,0,1]
	v_pk_fma_f32 v[6:7], v[14:15], v[158:159], v[6:7] op_sel:[0,0,1] op_sel_hi:[1,0,0]
	v_mov_b32_e32 v6, v157
	v_mov_b32_e32 v9, v7
	v_pk_mul_f32 v[6:7], v[16:17], v[6:7] op_sel_hi:[1,0]
	v_pk_add_f32 v[4:5], v[4:5], v[8:9]
	v_pk_fma_f32 v[8:9], v[16:17], v[156:157], v[6:7] op_sel:[0,0,1] op_sel_hi:[1,1,0] neg_lo:[0,0,1] neg_hi:[0,0,1]
	v_pk_fma_f32 v[6:7], v[16:17], v[156:157], v[6:7] op_sel:[0,0,1] op_sel_hi:[1,0,0]
	v_mov_b32_e32 v9, v7
	v_pk_add_f32 v[4:5], v[4:5], v[8:9]
	v_pk_add_f32 v[2:3], v[2:3], v[4:5] neg_lo:[0,1] neg_hi:[0,1]
	buffer_store_dword v3, off, s[0:3], 0 offset:36
	buffer_store_dword v2, off, s[0:3], 0 offset:32
	s_and_saveexec_b64 s[4:5], vcc
	s_cbranch_execz .LBB102_241
; %bb.240:
	buffer_load_dword v2, off, s[0:3], 0 offset:24
	buffer_load_dword v3, off, s[0:3], 0 offset:28
	v_mov_b32_e32 v4, 0
	buffer_store_dword v4, off, s[0:3], 0 offset:24
	buffer_store_dword v4, off, s[0:3], 0 offset:28
	s_waitcnt vmcnt(2)
	ds_write_b64 v1, v[2:3]
.LBB102_241:
	s_or_b64 exec, exec, s[4:5]
	s_waitcnt lgkmcnt(0)
	; wave barrier
	s_waitcnt lgkmcnt(0)
	buffer_load_dword v5, off, s[0:3], 0 offset:36
	buffer_load_dword v140, off, s[0:3], 0 offset:44
	buffer_load_dword v142, off, s[0:3], 0 offset:52
	buffer_load_dword v144, off, s[0:3], 0 offset:60
	buffer_load_dword v162, off, s[0:3], 0 offset:68
	buffer_load_dword v163, off, s[0:3], 0 offset:76
	buffer_load_dword v164, off, s[0:3], 0 offset:84
	buffer_load_dword v165, off, s[0:3], 0 offset:92
	buffer_load_dword v166, off, s[0:3], 0 offset:100
	buffer_load_dword v167, off, s[0:3], 0 offset:32
	buffer_load_dword v168, off, s[0:3], 0 offset:40
	buffer_load_dword v169, off, s[0:3], 0 offset:48
	buffer_load_dword v170, off, s[0:3], 0 offset:56
	buffer_load_dword v171, off, s[0:3], 0 offset:64
	buffer_load_dword v172, off, s[0:3], 0 offset:72
	buffer_load_dword v173, off, s[0:3], 0 offset:80
	buffer_load_dword v174, off, s[0:3], 0 offset:88
	buffer_load_dword v175, off, s[0:3], 0 offset:96
	buffer_load_dword v176, off, s[0:3], 0 offset:108
	buffer_load_dword v177, off, s[0:3], 0 offset:104
	buffer_load_dword v178, off, s[0:3], 0 offset:116
	buffer_load_dword v179, off, s[0:3], 0 offset:112
	buffer_load_dword v180, off, s[0:3], 0 offset:124
	buffer_load_dword v181, off, s[0:3], 0 offset:120
	buffer_load_dword v182, off, s[0:3], 0 offset:132
	buffer_load_dword v183, off, s[0:3], 0 offset:128
	buffer_load_dword v184, off, s[0:3], 0 offset:140
	buffer_load_dword v185, off, s[0:3], 0 offset:136
	buffer_load_dword v186, off, s[0:3], 0 offset:148
	buffer_load_dword v187, off, s[0:3], 0 offset:144
	buffer_load_dword v188, off, s[0:3], 0 offset:152
	buffer_load_dword v189, off, s[0:3], 0 offset:156
	buffer_load_dword v2, off, s[0:3], 0 offset:24
	buffer_load_dword v3, off, s[0:3], 0 offset:28
	buffer_load_dword v190, off, s[0:3], 0 offset:160
	buffer_load_dword v191, off, s[0:3], 0 offset:164
	buffer_load_dword v192, off, s[0:3], 0 offset:168
	buffer_load_dword v193, off, s[0:3], 0 offset:172
	buffer_load_dword v194, off, s[0:3], 0 offset:176
	buffer_load_dword v195, off, s[0:3], 0 offset:180
	buffer_load_dword v196, off, s[0:3], 0 offset:184
	buffer_load_dword v197, off, s[0:3], 0 offset:188
	buffer_load_dword v198, off, s[0:3], 0 offset:192
	buffer_load_dword v199, off, s[0:3], 0 offset:196
	buffer_load_dword v200, off, s[0:3], 0 offset:200
	buffer_load_dword v201, off, s[0:3], 0 offset:204
	buffer_load_dword v202, off, s[0:3], 0 offset:208
	buffer_load_dword v203, off, s[0:3], 0 offset:212
	buffer_load_dword v204, off, s[0:3], 0 offset:216
	buffer_load_dword v205, off, s[0:3], 0 offset:220
	buffer_load_dword v206, off, s[0:3], 0 offset:224
	buffer_load_dword v207, off, s[0:3], 0 offset:228
	buffer_load_dword v208, off, s[0:3], 0 offset:232
	buffer_load_dword v209, off, s[0:3], 0 offset:236
	buffer_load_dword v210, off, s[0:3], 0 offset:240
	buffer_load_dword v211, off, s[0:3], 0 offset:244
	v_mov_b32_e32 v4, 0
	ds_read_b128 v[6:9], v4 offset:352
	ds_read_b128 v[10:13], v4 offset:368
	;; [unrolled: 1-line block ×6, first 2 shown]
	v_cmp_lt_u32_e32 vcc, 2, v0
	s_waitcnt vmcnt(55) lgkmcnt(5)
	v_mul_f32_e32 v108, v6, v5
	s_waitcnt vmcnt(54)
	v_mul_f32_e32 v109, v8, v140
	s_waitcnt vmcnt(53) lgkmcnt(4)
	v_mul_f32_e32 v110, v10, v142
	s_waitcnt vmcnt(52)
	v_mul_f32_e32 v111, v12, v144
	;; [unrolled: 4-line block ×4, first 2 shown]
	s_waitcnt vmcnt(47) lgkmcnt(1)
	v_mul_f32_e32 v116, v100, v166
	s_waitcnt vmcnt(46)
	v_fmac_f32_e32 v108, v7, v167
	s_waitcnt vmcnt(45)
	v_fmac_f32_e32 v109, v9, v168
	v_add_f32_e32 v108, 0, v108
	s_waitcnt vmcnt(44)
	v_fmac_f32_e32 v110, v11, v169
	v_add_f32_e32 v108, v108, v109
	;; [unrolled: 3-line block ×7, first 2 shown]
	v_add_f32_e32 v108, v108, v115
	s_waitcnt vmcnt(38)
	v_fmac_f32_e32 v116, v101, v175
	s_waitcnt vmcnt(37)
	v_mul_f32_e32 v109, v102, v176
	v_add_f32_e32 v108, v108, v116
	s_waitcnt vmcnt(36)
	v_fmac_f32_e32 v109, v103, v177
	v_add_f32_e32 v108, v108, v109
	s_waitcnt vmcnt(35) lgkmcnt(0)
	v_mul_f32_e32 v109, v104, v178
	s_waitcnt vmcnt(34)
	v_fmac_f32_e32 v109, v105, v179
	v_add_f32_e32 v112, v108, v109
	ds_read_b128 v[108:111], v4 offset:448
	s_waitcnt vmcnt(33)
	v_mul_f32_e32 v113, v106, v180
	s_waitcnt vmcnt(32)
	v_fmac_f32_e32 v113, v107, v181
	v_add_f32_e32 v116, v112, v113
	ds_read_b128 v[112:115], v4 offset:464
	s_waitcnt vmcnt(31) lgkmcnt(1)
	v_mul_f32_e32 v117, v108, v182
	s_waitcnt vmcnt(30)
	v_fmac_f32_e32 v117, v109, v183
	v_add_f32_e32 v116, v116, v117
	s_waitcnt vmcnt(29)
	v_mul_f32_e32 v117, v110, v184
	s_waitcnt vmcnt(28)
	v_fmac_f32_e32 v117, v111, v185
	v_add_f32_e32 v116, v116, v117
	s_waitcnt vmcnt(27) lgkmcnt(0)
	v_mul_f32_e32 v117, v112, v186
	s_waitcnt vmcnt(26)
	v_fmac_f32_e32 v117, v113, v187
	v_add_f32_e32 v120, v116, v117
	ds_read_b128 v[116:119], v4 offset:480
	s_waitcnt vmcnt(24)
	v_mul_f32_e32 v121, v114, v189
	v_fmac_f32_e32 v121, v115, v188
	v_add_f32_e32 v124, v120, v121
	ds_read_b128 v[120:123], v4 offset:496
	s_waitcnt vmcnt(20) lgkmcnt(1)
	v_mul_f32_e32 v125, v116, v191
	v_fmac_f32_e32 v125, v117, v190
	v_add_f32_e32 v124, v124, v125
	s_waitcnt vmcnt(18)
	v_mul_f32_e32 v125, v118, v193
	v_fmac_f32_e32 v125, v119, v192
	v_add_f32_e32 v124, v124, v125
	s_waitcnt vmcnt(16) lgkmcnt(0)
	v_mul_f32_e32 v125, v120, v195
	v_fmac_f32_e32 v125, v121, v194
	v_add_f32_e32 v128, v124, v125
	ds_read_b128 v[124:127], v4 offset:512
	s_waitcnt vmcnt(14)
	v_mul_f32_e32 v129, v122, v197
	v_fmac_f32_e32 v129, v123, v196
	v_add_f32_e32 v132, v128, v129
	ds_read_b128 v[128:131], v4 offset:528
	s_waitcnt vmcnt(12) lgkmcnt(1)
	v_mul_f32_e32 v133, v124, v199
	v_fmac_f32_e32 v133, v125, v198
	v_add_f32_e32 v132, v132, v133
	s_waitcnt vmcnt(10)
	v_mul_f32_e32 v133, v126, v201
	v_fmac_f32_e32 v133, v127, v200
	v_add_f32_e32 v132, v132, v133
	s_waitcnt vmcnt(8) lgkmcnt(0)
	v_mul_f32_e32 v133, v128, v203
	v_fmac_f32_e32 v133, v129, v202
	s_waitcnt vmcnt(6)
	v_mul_f32_e32 v137, v130, v205
	v_add_f32_e32 v136, v132, v133
	v_fmac_f32_e32 v137, v131, v204
	ds_read_b128 v[132:135], v4 offset:544
	v_add_f32_e32 v141, v136, v137
	ds_read_b128 v[136:139], v4 offset:560
	buffer_load_dword v147, off, s[0:3], 0 offset:276
	buffer_load_dword v146, off, s[0:3], 0 offset:272
	;; [unrolled: 1-line block ×16, first 2 shown]
	v_mul_f32_e32 v5, v7, v5
	v_fma_f32 v5, v6, v167, -v5
	v_mul_f32_e32 v6, v9, v140
	v_add_f32_e32 v5, 0, v5
	v_fma_f32 v6, v8, v168, -v6
	v_add_f32_e32 v5, v5, v6
	v_mul_f32_e32 v6, v11, v142
	v_fma_f32 v6, v10, v169, -v6
	v_add_f32_e32 v5, v5, v6
	v_mul_f32_e32 v6, v13, v144
	;; [unrolled: 3-line block ×22, first 2 shown]
	v_fma_f32 v6, v130, v204, -v6
	s_waitcnt vmcnt(20) lgkmcnt(1)
	v_mul_f32_e32 v143, v132, v207
	v_add_f32_e32 v5, v5, v6
	v_mul_f32_e32 v6, v133, v207
	v_fmac_f32_e32 v143, v133, v206
	v_fma_f32 v6, v132, v206, -v6
	s_waitcnt vmcnt(9)
	v_mov_b32_e32 v100, v153
	v_add_f32_e32 v141, v141, v143
	v_mul_f32_e32 v143, v134, v209
	v_add_f32_e32 v140, v5, v6
	v_mul_f32_e32 v5, v135, v209
	s_waitcnt lgkmcnt(0)
	v_pk_mul_f32 v[100:101], v[138:139], v[100:101] op_sel_hi:[1,0]
	v_fmac_f32_e32 v143, v135, v208
	v_mul_f32_e32 v145, v136, v211
	v_fma_f32 v142, v134, v208, -v5
	v_mul_f32_e32 v5, v137, v211
	ds_read_b128 v[6:9], v4 offset:576
	ds_read_b128 v[10:13], v4 offset:592
	;; [unrolled: 1-line block ×3, first 2 shown]
	ds_read_b64 v[96:97], v4 offset:624
	s_waitcnt vmcnt(8)
	v_pk_fma_f32 v[102:103], v[138:139], v[152:153], v[100:101] op_sel:[0,0,1] op_sel_hi:[1,1,0] neg_lo:[0,0,1] neg_hi:[0,0,1]
	v_pk_fma_f32 v[100:101], v[138:139], v[152:153], v[100:101] op_sel:[0,0,1] op_sel_hi:[1,0,0]
	v_fmac_f32_e32 v145, v137, v210
	v_fma_f32 v144, v136, v210, -v5
	v_pk_add_f32 v[98:99], v[140:141], v[142:143]
	v_mov_b32_e32 v100, v151
	v_pk_add_f32 v[98:99], v[98:99], v[144:145]
	v_mov_b32_e32 v103, v101
	s_waitcnt lgkmcnt(3)
	v_pk_mul_f32 v[100:101], v[6:7], v[100:101] op_sel_hi:[1,0]
	v_pk_add_f32 v[98:99], v[98:99], v[102:103]
	v_pk_fma_f32 v[102:103], v[6:7], v[150:151], v[100:101] op_sel:[0,0,1] op_sel_hi:[1,1,0] neg_lo:[0,0,1] neg_hi:[0,0,1]
	v_pk_fma_f32 v[6:7], v[6:7], v[150:151], v[100:101] op_sel:[0,0,1] op_sel_hi:[1,0,0]
	v_mov_b32_e32 v103, v7
	v_pk_add_f32 v[6:7], v[98:99], v[102:103]
	v_mov_b32_e32 v98, v149
	v_pk_mul_f32 v[98:99], v[8:9], v[98:99] op_sel_hi:[1,0]
	v_pk_fma_f32 v[100:101], v[8:9], v[148:149], v[98:99] op_sel:[0,0,1] op_sel_hi:[1,1,0] neg_lo:[0,0,1] neg_hi:[0,0,1]
	v_pk_fma_f32 v[8:9], v[8:9], v[148:149], v[98:99] op_sel:[0,0,1] op_sel_hi:[1,0,0]
	v_mov_b32_e32 v8, v147
	v_mov_b32_e32 v101, v9
	s_waitcnt lgkmcnt(2)
	v_pk_mul_f32 v[8:9], v[10:11], v[8:9] op_sel_hi:[1,0]
	v_pk_fma_f32 v[98:99], v[10:11], v[146:147], v[8:9] op_sel:[0,0,1] op_sel_hi:[1,1,0] neg_lo:[0,0,1] neg_hi:[0,0,1]
	v_pk_fma_f32 v[8:9], v[10:11], v[146:147], v[8:9] op_sel:[0,0,1] op_sel_hi:[1,0,0]
	s_waitcnt vmcnt(1)
	v_mov_b32_e32 v8, v161
	v_mov_b32_e32 v99, v9
	v_pk_mul_f32 v[8:9], v[12:13], v[8:9] op_sel_hi:[1,0]
	s_waitcnt vmcnt(0)
	v_pk_fma_f32 v[10:11], v[12:13], v[160:161], v[8:9] op_sel:[0,0,1] op_sel_hi:[1,1,0] neg_lo:[0,0,1] neg_hi:[0,0,1]
	v_pk_fma_f32 v[8:9], v[12:13], v[160:161], v[8:9] op_sel:[0,0,1] op_sel_hi:[1,0,0]
	v_pk_add_f32 v[6:7], v[6:7], v[100:101]
	v_mov_b32_e32 v8, v159
	v_pk_add_f32 v[6:7], v[6:7], v[98:99]
	v_mov_b32_e32 v11, v9
	s_waitcnt lgkmcnt(1)
	v_pk_mul_f32 v[8:9], v[14:15], v[8:9] op_sel_hi:[1,0]
	v_pk_add_f32 v[6:7], v[6:7], v[10:11]
	v_pk_fma_f32 v[10:11], v[14:15], v[158:159], v[8:9] op_sel:[0,0,1] op_sel_hi:[1,1,0] neg_lo:[0,0,1] neg_hi:[0,0,1]
	v_pk_fma_f32 v[8:9], v[14:15], v[158:159], v[8:9] op_sel:[0,0,1] op_sel_hi:[1,0,0]
	v_mov_b32_e32 v8, v157
	v_mov_b32_e32 v11, v9
	v_pk_mul_f32 v[8:9], v[16:17], v[8:9] op_sel_hi:[1,0]
	v_pk_add_f32 v[6:7], v[6:7], v[10:11]
	v_pk_fma_f32 v[10:11], v[16:17], v[156:157], v[8:9] op_sel:[0,0,1] op_sel_hi:[1,1,0] neg_lo:[0,0,1] neg_hi:[0,0,1]
	v_pk_fma_f32 v[8:9], v[16:17], v[156:157], v[8:9] op_sel:[0,0,1] op_sel_hi:[1,0,0]
	v_mov_b32_e32 v8, v155
	v_mov_b32_e32 v11, v9
	s_waitcnt lgkmcnt(0)
	v_pk_mul_f32 v[8:9], v[96:97], v[8:9] op_sel_hi:[1,0]
	v_pk_add_f32 v[6:7], v[6:7], v[10:11]
	v_pk_fma_f32 v[10:11], v[96:97], v[154:155], v[8:9] op_sel:[0,0,1] op_sel_hi:[1,1,0] neg_lo:[0,0,1] neg_hi:[0,0,1]
	v_pk_fma_f32 v[8:9], v[96:97], v[154:155], v[8:9] op_sel:[0,0,1] op_sel_hi:[1,0,0]
	v_mov_b32_e32 v11, v9
	v_pk_add_f32 v[6:7], v[6:7], v[10:11]
	v_pk_add_f32 v[2:3], v[2:3], v[6:7] neg_lo:[0,1] neg_hi:[0,1]
	buffer_store_dword v3, off, s[0:3], 0 offset:28
	buffer_store_dword v2, off, s[0:3], 0 offset:24
	s_and_saveexec_b64 s[4:5], vcc
	s_cbranch_execz .LBB102_243
; %bb.242:
	buffer_load_dword v2, off, s[0:3], 0 offset:16
	buffer_load_dword v3, off, s[0:3], 0 offset:20
	s_waitcnt vmcnt(0)
	ds_write_b64 v1, v[2:3]
	buffer_store_dword v4, off, s[0:3], 0 offset:16
	buffer_store_dword v4, off, s[0:3], 0 offset:20
.LBB102_243:
	s_or_b64 exec, exec, s[4:5]
	s_waitcnt lgkmcnt(0)
	; wave barrier
	s_waitcnt lgkmcnt(0)
	buffer_load_dword v5, off, s[0:3], 0 offset:28
	buffer_load_dword v140, off, s[0:3], 0 offset:36
	;; [unrolled: 1-line block ×36, first 2 shown]
	ds_read2_b64 v[6:9], v4 offset0:43 offset1:44
	ds_read2_b64 v[10:13], v4 offset0:45 offset1:46
	buffer_load_dword v192, off, s[0:3], 0 offset:160
	buffer_load_dword v193, off, s[0:3], 0 offset:164
	buffer_load_dword v194, off, s[0:3], 0 offset:168
	buffer_load_dword v195, off, s[0:3], 0 offset:172
	ds_read2_b64 v[14:17], v4 offset0:47 offset1:48
	ds_read2_b64 v[96:99], v4 offset0:49 offset1:50
	buffer_load_dword v196, off, s[0:3], 0 offset:176
	buffer_load_dword v197, off, s[0:3], 0 offset:180
	ds_read2_b64 v[100:103], v4 offset0:51 offset1:52
	ds_read2_b64 v[104:107], v4 offset0:53 offset1:54
	buffer_load_dword v198, off, s[0:3], 0 offset:184
	buffer_load_dword v199, off, s[0:3], 0 offset:188
	;; [unrolled: 1-line block ×16, first 2 shown]
	v_cmp_lt_u32_e32 vcc, 1, v0
	s_waitcnt vmcnt(57) lgkmcnt(5)
	v_mul_f32_e32 v108, v6, v5
	s_waitcnt vmcnt(56)
	v_mul_f32_e32 v109, v8, v140
	s_waitcnt vmcnt(55) lgkmcnt(4)
	v_mul_f32_e32 v110, v10, v142
	s_waitcnt vmcnt(54)
	v_mul_f32_e32 v111, v12, v150
	;; [unrolled: 4-line block ×4, first 2 shown]
	s_waitcnt vmcnt(49)
	v_fmac_f32_e32 v108, v7, v166
	s_waitcnt vmcnt(48)
	v_fmac_f32_e32 v109, v9, v167
	v_add_f32_e32 v108, 0, v108
	s_waitcnt vmcnt(47)
	v_fmac_f32_e32 v110, v11, v168
	v_add_f32_e32 v108, v108, v109
	;; [unrolled: 3-line block ×7, first 2 shown]
	s_waitcnt vmcnt(41) lgkmcnt(1)
	v_mul_f32_e32 v109, v100, v174
	v_add_f32_e32 v108, v108, v115
	s_waitcnt vmcnt(40)
	v_fmac_f32_e32 v109, v101, v175
	v_add_f32_e32 v108, v108, v109
	s_waitcnt vmcnt(39)
	v_mul_f32_e32 v109, v102, v176
	s_waitcnt vmcnt(38)
	v_fmac_f32_e32 v109, v103, v177
	v_add_f32_e32 v108, v108, v109
	s_waitcnt vmcnt(37) lgkmcnt(0)
	v_mul_f32_e32 v109, v104, v178
	s_waitcnt vmcnt(36)
	v_fmac_f32_e32 v109, v105, v179
	v_add_f32_e32 v112, v108, v109
	ds_read2_b64 v[108:111], v4 offset0:55 offset1:56
	s_waitcnt vmcnt(35)
	v_mul_f32_e32 v113, v106, v180
	s_waitcnt vmcnt(34)
	v_fmac_f32_e32 v113, v107, v181
	v_add_f32_e32 v116, v112, v113
	ds_read2_b64 v[112:115], v4 offset0:57 offset1:58
	s_waitcnt vmcnt(33) lgkmcnt(1)
	v_mul_f32_e32 v117, v108, v182
	s_waitcnt vmcnt(32)
	v_fmac_f32_e32 v117, v109, v183
	v_add_f32_e32 v116, v116, v117
	s_waitcnt vmcnt(31)
	v_mul_f32_e32 v117, v110, v184
	s_waitcnt vmcnt(30)
	v_fmac_f32_e32 v117, v111, v185
	v_add_f32_e32 v116, v116, v117
	s_waitcnt vmcnt(29) lgkmcnt(0)
	v_mul_f32_e32 v117, v112, v186
	s_waitcnt vmcnt(28)
	v_fmac_f32_e32 v117, v113, v187
	v_add_f32_e32 v120, v116, v117
	ds_read2_b64 v[116:119], v4 offset0:59 offset1:60
	s_waitcnt vmcnt(25)
	v_mul_f32_e32 v121, v114, v188
	s_waitcnt vmcnt(24)
	v_fmac_f32_e32 v121, v115, v189
	v_add_f32_e32 v124, v120, v121
	ds_read2_b64 v[120:123], v4 offset0:61 offset1:62
	s_waitcnt vmcnt(22) lgkmcnt(1)
	v_mul_f32_e32 v125, v116, v191
	v_fmac_f32_e32 v125, v117, v190
	v_add_f32_e32 v124, v124, v125
	s_waitcnt vmcnt(20)
	v_mul_f32_e32 v125, v118, v193
	v_fmac_f32_e32 v125, v119, v192
	v_add_f32_e32 v124, v124, v125
	s_waitcnt vmcnt(18) lgkmcnt(0)
	v_mul_f32_e32 v125, v120, v195
	v_fmac_f32_e32 v125, v121, v194
	v_add_f32_e32 v128, v124, v125
	ds_read2_b64 v[124:127], v4 offset0:63 offset1:64
	s_waitcnt vmcnt(16)
	v_mul_f32_e32 v129, v122, v197
	v_fmac_f32_e32 v129, v123, v196
	v_add_f32_e32 v132, v128, v129
	ds_read2_b64 v[128:131], v4 offset0:65 offset1:66
	s_waitcnt vmcnt(14) lgkmcnt(1)
	v_mul_f32_e32 v133, v124, v199
	v_fmac_f32_e32 v133, v125, v198
	v_add_f32_e32 v132, v132, v133
	s_waitcnt vmcnt(12)
	v_mul_f32_e32 v133, v126, v201
	v_fmac_f32_e32 v133, v127, v200
	v_add_f32_e32 v132, v132, v133
	s_waitcnt vmcnt(10) lgkmcnt(0)
	v_mul_f32_e32 v133, v128, v203
	v_fmac_f32_e32 v133, v129, v202
	s_waitcnt vmcnt(8)
	v_mul_f32_e32 v137, v130, v205
	v_add_f32_e32 v136, v132, v133
	v_fmac_f32_e32 v137, v131, v204
	ds_read2_b64 v[132:135], v4 offset0:67 offset1:68
	v_add_f32_e32 v141, v136, v137
	ds_read2_b64 v[136:139], v4 offset0:69 offset1:70
	buffer_load_dword v145, off, s[0:3], 0 offset:268
	buffer_load_dword v144, off, s[0:3], 0 offset:264
	;; [unrolled: 1-line block ×16, first 2 shown]
	v_mul_f32_e32 v5, v7, v5
	v_fma_f32 v5, v6, v166, -v5
	v_mul_f32_e32 v6, v9, v140
	v_add_f32_e32 v5, 0, v5
	v_fma_f32 v6, v8, v167, -v6
	v_add_f32_e32 v5, v5, v6
	v_mul_f32_e32 v6, v11, v142
	v_fma_f32 v6, v10, v168, -v6
	v_add_f32_e32 v5, v5, v6
	v_mul_f32_e32 v6, v13, v150
	;; [unrolled: 3-line block ×22, first 2 shown]
	v_fma_f32 v6, v130, v204, -v6
	v_add_f32_e32 v5, v5, v6
	s_waitcnt vmcnt(22) lgkmcnt(1)
	v_mul_f32_e32 v6, v133, v207
	v_fma_f32 v6, v132, v206, -v6
	v_add_f32_e32 v5, v5, v6
	s_waitcnt vmcnt(20)
	v_mul_f32_e32 v6, v135, v209
	v_fma_f32 v6, v134, v208, -v6
	v_add_f32_e32 v140, v5, v6
	ds_read2_b64 v[6:9], v4 offset0:71 offset1:72
	ds_read2_b64 v[10:13], v4 offset0:73 offset1:74
	ds_read2_b64 v[14:17], v4 offset0:75 offset1:76
	ds_read2_b64 v[96:99], v4 offset0:77 offset1:78
	s_waitcnt vmcnt(11)
	v_mov_b32_e32 v100, v149
	v_mul_f32_e32 v143, v132, v207
	s_waitcnt lgkmcnt(3)
	v_pk_mul_f32 v[100:101], v[6:7], v[100:101] op_sel_hi:[1,0]
	v_fmac_f32_e32 v143, v133, v206
	s_waitcnt vmcnt(10)
	v_pk_fma_f32 v[102:103], v[6:7], v[148:149], v[100:101] op_sel:[0,0,1] op_sel_hi:[1,1,0] neg_lo:[0,0,1] neg_hi:[0,0,1]
	v_pk_fma_f32 v[6:7], v[6:7], v[148:149], v[100:101] op_sel:[0,0,1] op_sel_hi:[1,0,0]
	v_add_f32_e32 v141, v141, v143
	v_mul_f32_e32 v143, v134, v209
	v_mov_b32_e32 v6, v147
	v_fmac_f32_e32 v143, v135, v208
	v_mov_b32_e32 v103, v7
	v_pk_mul_f32 v[6:7], v[8:9], v[6:7] op_sel_hi:[1,0]
	v_add_f32_e32 v141, v141, v143
	v_mul_f32_e32 v143, v136, v211
	v_mul_f32_e32 v5, v137, v211
	v_pk_fma_f32 v[100:101], v[8:9], v[146:147], v[6:7] op_sel:[0,0,1] op_sel_hi:[1,1,0] neg_lo:[0,0,1] neg_hi:[0,0,1]
	v_pk_fma_f32 v[6:7], v[8:9], v[146:147], v[6:7] op_sel:[0,0,1] op_sel_hi:[1,0,0]
	v_fmac_f32_e32 v143, v137, v210
	v_mul_f32_e32 v151, v138, v213
	v_fma_f32 v142, v136, v210, -v5
	v_mul_f32_e32 v5, v139, v213
	v_mov_b32_e32 v6, v145
	v_fmac_f32_e32 v151, v139, v212
	v_fma_f32 v150, v138, v212, -v5
	v_pk_add_f32 v[4:5], v[140:141], v[142:143]
	v_mov_b32_e32 v101, v7
	s_waitcnt lgkmcnt(2)
	v_pk_mul_f32 v[6:7], v[10:11], v[6:7] op_sel_hi:[1,0]
	v_pk_add_f32 v[4:5], v[4:5], v[150:151]
	v_pk_fma_f32 v[8:9], v[10:11], v[144:145], v[6:7] op_sel:[0,0,1] op_sel_hi:[1,1,0] neg_lo:[0,0,1] neg_hi:[0,0,1]
	v_pk_fma_f32 v[6:7], v[10:11], v[144:145], v[6:7] op_sel:[0,0,1] op_sel_hi:[1,0,0]
	v_pk_add_f32 v[4:5], v[4:5], v[102:103]
	s_waitcnt vmcnt(3)
	v_mov_b32_e32 v6, v159
	v_pk_add_f32 v[4:5], v[4:5], v[100:101]
	v_mov_b32_e32 v9, v7
	v_pk_mul_f32 v[6:7], v[12:13], v[6:7] op_sel_hi:[1,0]
	v_pk_add_f32 v[4:5], v[4:5], v[8:9]
	s_waitcnt vmcnt(2)
	v_pk_fma_f32 v[8:9], v[12:13], v[158:159], v[6:7] op_sel:[0,0,1] op_sel_hi:[1,1,0] neg_lo:[0,0,1] neg_hi:[0,0,1]
	v_pk_fma_f32 v[6:7], v[12:13], v[158:159], v[6:7] op_sel:[0,0,1] op_sel_hi:[1,0,0]
	v_mov_b32_e32 v6, v157
	v_mov_b32_e32 v9, v7
	s_waitcnt lgkmcnt(1)
	v_pk_mul_f32 v[6:7], v[14:15], v[6:7] op_sel_hi:[1,0]
	v_pk_add_f32 v[4:5], v[4:5], v[8:9]
	v_pk_fma_f32 v[8:9], v[14:15], v[156:157], v[6:7] op_sel:[0,0,1] op_sel_hi:[1,1,0] neg_lo:[0,0,1] neg_hi:[0,0,1]
	v_pk_fma_f32 v[6:7], v[14:15], v[156:157], v[6:7] op_sel:[0,0,1] op_sel_hi:[1,0,0]
	v_mov_b32_e32 v6, v155
	v_mov_b32_e32 v9, v7
	v_pk_mul_f32 v[6:7], v[16:17], v[6:7] op_sel_hi:[1,0]
	v_pk_add_f32 v[4:5], v[4:5], v[8:9]
	v_pk_fma_f32 v[8:9], v[16:17], v[154:155], v[6:7] op_sel:[0,0,1] op_sel_hi:[1,1,0] neg_lo:[0,0,1] neg_hi:[0,0,1]
	v_pk_fma_f32 v[6:7], v[16:17], v[154:155], v[6:7] op_sel:[0,0,1] op_sel_hi:[1,0,0]
	v_mov_b32_e32 v6, v153
	v_mov_b32_e32 v9, v7
	s_waitcnt lgkmcnt(0)
	v_pk_mul_f32 v[6:7], v[96:97], v[6:7] op_sel_hi:[1,0]
	v_pk_add_f32 v[4:5], v[4:5], v[8:9]
	v_pk_fma_f32 v[8:9], v[96:97], v[152:153], v[6:7] op_sel:[0,0,1] op_sel_hi:[1,1,0] neg_lo:[0,0,1] neg_hi:[0,0,1]
	v_pk_fma_f32 v[6:7], v[96:97], v[152:153], v[6:7] op_sel:[0,0,1] op_sel_hi:[1,0,0]
	s_waitcnt vmcnt(1)
	v_mov_b32_e32 v6, v161
	v_mov_b32_e32 v9, v7
	v_pk_mul_f32 v[6:7], v[98:99], v[6:7] op_sel_hi:[1,0]
	v_pk_add_f32 v[4:5], v[4:5], v[8:9]
	s_waitcnt vmcnt(0)
	v_pk_fma_f32 v[8:9], v[98:99], v[160:161], v[6:7] op_sel:[0,0,1] op_sel_hi:[1,1,0] neg_lo:[0,0,1] neg_hi:[0,0,1]
	v_pk_fma_f32 v[6:7], v[98:99], v[160:161], v[6:7] op_sel:[0,0,1] op_sel_hi:[1,0,0]
	v_mov_b32_e32 v9, v7
	v_pk_add_f32 v[4:5], v[4:5], v[8:9]
	v_pk_add_f32 v[2:3], v[2:3], v[4:5] neg_lo:[0,1] neg_hi:[0,1]
	buffer_store_dword v3, off, s[0:3], 0 offset:20
	buffer_store_dword v2, off, s[0:3], 0 offset:16
	s_and_saveexec_b64 s[4:5], vcc
	s_cbranch_execz .LBB102_245
; %bb.244:
	buffer_load_dword v2, off, s[0:3], 0 offset:8
	buffer_load_dword v3, off, s[0:3], 0 offset:12
	v_mov_b32_e32 v4, 0
	buffer_store_dword v4, off, s[0:3], 0 offset:8
	buffer_store_dword v4, off, s[0:3], 0 offset:12
	s_waitcnt vmcnt(2)
	ds_write_b64 v1, v[2:3]
.LBB102_245:
	s_or_b64 exec, exec, s[4:5]
	s_waitcnt lgkmcnt(0)
	; wave barrier
	s_waitcnt lgkmcnt(0)
	buffer_load_dword v12, off, s[0:3], 0 offset:20
	buffer_load_dword v15, off, s[0:3], 0 offset:28
	;; [unrolled: 1-line block ×56, first 2 shown]
	v_mov_b32_e32 v14, 0
	ds_read_b128 v[2:5], v14 offset:336
	buffer_load_dword v220, off, s[0:3], 0 offset:232
	buffer_load_dword v221, off, s[0:3], 0 offset:236
	;; [unrolled: 1-line block ×4, first 2 shown]
	ds_read_b128 v[8:11], v14 offset:352
	ds_read_b128 v[96:99], v14 offset:368
	;; [unrolled: 1-line block ×12, first 2 shown]
	v_cmp_ne_u32_e32 vcc, 0, v0
	ds_read_b128 v[108:111], v14 offset:416
	s_waitcnt vmcnt(59) lgkmcnt(13)
	v_mul_f32_e32 v13, v2, v12
	s_waitcnt vmcnt(58)
	v_mul_f32_e32 v16, v4, v15
	s_waitcnt vmcnt(57) lgkmcnt(12)
	v_mul_f32_e32 v17, v8, v154
	s_waitcnt vmcnt(56)
	v_mul_f32_e32 v104, v10, v156
	;; [unrolled: 4-line block ×3, first 2 shown]
	s_waitcnt vmcnt(53) lgkmcnt(10)
	v_mul_f32_e32 v107, v100, v172
	s_waitcnt vmcnt(52)
	v_fmac_f32_e32 v13, v3, v173
	s_waitcnt vmcnt(51)
	v_fmac_f32_e32 v16, v5, v174
	v_add_f32_e32 v13, 0, v13
	s_waitcnt vmcnt(50)
	v_fmac_f32_e32 v17, v9, v175
	v_add_f32_e32 v13, v13, v16
	;; [unrolled: 3-line block ×6, first 2 shown]
	v_add_f32_e32 v13, v13, v107
	ds_read_b128 v[104:107], v14 offset:400
	s_waitcnt vmcnt(45)
	v_mul_f32_e32 v16, v102, v180
	s_waitcnt vmcnt(44)
	v_fmac_f32_e32 v16, v103, v181
	v_add_f32_e32 v13, v13, v16
	v_mul_f32_e32 v3, v3, v12
	s_waitcnt vmcnt(43) lgkmcnt(0)
	v_mul_f32_e32 v16, v104, v182
	s_waitcnt vmcnt(42)
	v_fmac_f32_e32 v16, v105, v183
	v_add_f32_e32 v13, v13, v16
	s_waitcnt vmcnt(41)
	v_mul_f32_e32 v16, v106, v184
	s_waitcnt vmcnt(40)
	v_fmac_f32_e32 v16, v107, v185
	v_add_f32_e32 v13, v13, v16
	s_waitcnt vmcnt(39)
	;; [unrolled: 5-line block ×4, first 2 shown]
	v_mul_f32_e32 v16, v112, v191
	v_fmac_f32_e32 v16, v113, v190
	v_add_f32_e32 v13, v13, v16
	s_waitcnt vmcnt(31)
	v_mul_f32_e32 v16, v114, v192
	s_waitcnt vmcnt(30)
	v_fmac_f32_e32 v16, v115, v193
	v_add_f32_e32 v13, v13, v16
	s_waitcnt vmcnt(28)
	v_mul_f32_e32 v16, v116, v195
	v_fmac_f32_e32 v16, v117, v194
	v_add_f32_e32 v13, v13, v16
	s_waitcnt vmcnt(26)
	v_mul_f32_e32 v16, v118, v197
	;; [unrolled: 4-line block ×13, first 2 shown]
	v_fmac_f32_e32 v16, v141, v218
	v_add_f32_e32 v13, v13, v16
	buffer_load_dword v17, off, s[0:3], 0 offset:260
	buffer_load_dword v16, off, s[0:3], 0 offset:256
	;; [unrolled: 1-line block ×4, first 2 shown]
	ds_read_b128 v[148:151], v14 offset:576
	buffer_load_dword v159, off, s[0:3], 0 offset:292
	buffer_load_dword v158, off, s[0:3], 0 offset:288
	;; [unrolled: 1-line block ×12, first 2 shown]
	v_fma_f32 v2, v2, v173, -v3
	v_mul_f32_e32 v3, v5, v15
	v_add_f32_e32 v2, 0, v2
	v_fma_f32 v3, v4, v174, -v3
	v_add_f32_e32 v2, v2, v3
	v_mul_f32_e32 v3, v9, v154
	v_fma_f32 v3, v8, v175, -v3
	v_add_f32_e32 v2, v2, v3
	v_mul_f32_e32 v3, v11, v156
	;; [unrolled: 3-line block ×25, first 2 shown]
	v_fma_f32 v3, v140, v218, -v3
	s_waitcnt vmcnt(13)
	v_mov_b32_e32 v98, v153
	v_mul_f32_e32 v155, v142, v221
	v_add_f32_e32 v12, v2, v3
	v_mul_f32_e32 v2, v143, v221
	v_pk_mul_f32 v[98:99], v[146:147], v[98:99] op_sel_hi:[1,0]
	v_fmac_f32_e32 v155, v143, v220
	v_mul_f32_e32 v157, v144, v223
	v_fma_f32 v154, v142, v220, -v2
	v_mul_f32_e32 v2, v145, v223
	s_waitcnt vmcnt(12)
	v_pk_fma_f32 v[100:101], v[146:147], v[152:153], v[98:99] op_sel:[0,0,1] op_sel_hi:[1,1,0] neg_lo:[0,0,1] neg_hi:[0,0,1]
	v_pk_fma_f32 v[98:99], v[146:147], v[152:153], v[98:99] op_sel:[0,0,1] op_sel_hi:[1,0,0]
	v_fmac_f32_e32 v157, v145, v222
	v_fma_f32 v156, v144, v222, -v2
	v_pk_add_f32 v[12:13], v[12:13], v[154:155]
	v_mov_b32_e32 v98, v17
	v_pk_add_f32 v[12:13], v[12:13], v[156:157]
	v_mov_b32_e32 v101, v99
	s_waitcnt lgkmcnt(0)
	v_pk_mul_f32 v[98:99], v[148:149], v[98:99] op_sel_hi:[1,0]
	v_pk_add_f32 v[12:13], v[12:13], v[100:101]
	v_pk_fma_f32 v[100:101], v[148:149], v[16:17], v[98:99] op_sel:[0,0,1] op_sel_hi:[1,1,0] neg_lo:[0,0,1] neg_hi:[0,0,1]
	v_pk_fma_f32 v[16:17], v[148:149], v[16:17], v[98:99] op_sel:[0,0,1] op_sel_hi:[1,0,0]
	s_waitcnt vmcnt(5)
	v_mov_b32_e32 v16, v165
	ds_read_b128 v[2:5], v14 offset:592
	ds_read_b128 v[8:11], v14 offset:608
	ds_read_b64 v[96:97], v14 offset:624
	v_mov_b32_e32 v101, v17
	v_pk_mul_f32 v[16:17], v[150:151], v[16:17] op_sel_hi:[1,0]
	s_waitcnt vmcnt(4)
	v_pk_fma_f32 v[98:99], v[150:151], v[164:165], v[16:17] op_sel:[0,0,1] op_sel_hi:[1,1,0] neg_lo:[0,0,1] neg_hi:[0,0,1]
	v_pk_fma_f32 v[16:17], v[150:151], v[164:165], v[16:17] op_sel:[0,0,1] op_sel_hi:[1,0,0]
	v_mov_b32_e32 v16, v163
	v_pk_add_f32 v[12:13], v[12:13], v[100:101]
	v_mov_b32_e32 v99, v17
	s_waitcnt lgkmcnt(2)
	v_pk_mul_f32 v[16:17], v[2:3], v[16:17] op_sel_hi:[1,0]
	v_pk_add_f32 v[12:13], v[12:13], v[98:99]
	v_pk_fma_f32 v[98:99], v[2:3], v[162:163], v[16:17] op_sel:[0,0,1] op_sel_hi:[1,1,0] neg_lo:[0,0,1] neg_hi:[0,0,1]
	v_pk_fma_f32 v[2:3], v[2:3], v[162:163], v[16:17] op_sel:[0,0,1] op_sel_hi:[1,0,0]
	v_mov_b32_e32 v99, v3
	v_pk_add_f32 v[2:3], v[12:13], v[98:99]
	v_mov_b32_e32 v12, v161
	v_pk_mul_f32 v[12:13], v[4:5], v[12:13] op_sel_hi:[1,0]
	v_pk_fma_f32 v[16:17], v[4:5], v[160:161], v[12:13] op_sel:[0,0,1] op_sel_hi:[1,1,0] neg_lo:[0,0,1] neg_hi:[0,0,1]
	v_pk_fma_f32 v[4:5], v[4:5], v[160:161], v[12:13] op_sel:[0,0,1] op_sel_hi:[1,0,0]
	v_mov_b32_e32 v4, v159
	v_mov_b32_e32 v17, v5
	s_waitcnt lgkmcnt(1)
	v_pk_mul_f32 v[4:5], v[8:9], v[4:5] op_sel_hi:[1,0]
	v_pk_fma_f32 v[12:13], v[8:9], v[158:159], v[4:5] op_sel:[0,0,1] op_sel_hi:[1,1,0] neg_lo:[0,0,1] neg_hi:[0,0,1]
	v_pk_fma_f32 v[4:5], v[8:9], v[158:159], v[4:5] op_sel:[0,0,1] op_sel_hi:[1,0,0]
	s_waitcnt vmcnt(1)
	v_mov_b32_e32 v4, v169
	v_mov_b32_e32 v13, v5
	v_pk_mul_f32 v[4:5], v[10:11], v[4:5] op_sel_hi:[1,0]
	s_waitcnt vmcnt(0)
	v_pk_fma_f32 v[8:9], v[10:11], v[168:169], v[4:5] op_sel:[0,0,1] op_sel_hi:[1,1,0] neg_lo:[0,0,1] neg_hi:[0,0,1]
	v_pk_fma_f32 v[4:5], v[10:11], v[168:169], v[4:5] op_sel:[0,0,1] op_sel_hi:[1,0,0]
	v_pk_add_f32 v[2:3], v[2:3], v[16:17]
	v_mov_b32_e32 v4, v167
	v_pk_add_f32 v[2:3], v[2:3], v[12:13]
	v_mov_b32_e32 v9, v5
	s_waitcnt lgkmcnt(0)
	v_pk_mul_f32 v[4:5], v[96:97], v[4:5] op_sel_hi:[1,0]
	v_pk_add_f32 v[2:3], v[2:3], v[8:9]
	v_pk_fma_f32 v[8:9], v[96:97], v[166:167], v[4:5] op_sel:[0,0,1] op_sel_hi:[1,1,0] neg_lo:[0,0,1] neg_hi:[0,0,1]
	v_pk_fma_f32 v[4:5], v[96:97], v[166:167], v[4:5] op_sel:[0,0,1] op_sel_hi:[1,0,0]
	v_mov_b32_e32 v9, v5
	v_pk_add_f32 v[2:3], v[2:3], v[8:9]
	v_pk_add_f32 v[2:3], v[6:7], v[2:3] neg_lo:[0,1] neg_hi:[0,1]
	buffer_store_dword v3, off, s[0:3], 0 offset:12
	buffer_store_dword v2, off, s[0:3], 0 offset:8
	s_and_saveexec_b64 s[4:5], vcc
	s_cbranch_execz .LBB102_247
; %bb.246:
	buffer_load_dword v2, off, s[0:3], 0
	buffer_load_dword v3, off, s[0:3], 0 offset:4
	s_waitcnt vmcnt(0)
	ds_write_b64 v1, v[2:3]
	buffer_store_dword v14, off, s[0:3], 0
	buffer_store_dword v14, off, s[0:3], 0 offset:4
.LBB102_247:
	s_or_b64 exec, exec, s[4:5]
	s_waitcnt lgkmcnt(0)
	; wave barrier
	s_waitcnt lgkmcnt(0)
	buffer_load_dword v15, off, s[0:3], 0 offset:12
	buffer_load_dword v148, off, s[0:3], 0 offset:20
	;; [unrolled: 1-line block ×24, first 2 shown]
	buffer_load_dword v12, off, s[0:3], 0
	buffer_load_dword v13, off, s[0:3], 0 offset:4
	buffer_load_dword v188, off, s[0:3], 0 offset:108
	;; [unrolled: 1-line block ×7, first 2 shown]
	ds_read2_b64 v[96:99], v14 offset0:41 offset1:42
	ds_read2_b64 v[4:7], v14 offset0:43 offset1:44
	buffer_load_dword v194, off, s[0:3], 0 offset:128
	buffer_load_dword v195, off, s[0:3], 0 offset:132
	ds_read2_b64 v[8:11], v14 offset0:45 offset1:46
	ds_read2_b64 v[0:3], v14 offset0:47 offset1:48
	buffer_load_dword v196, off, s[0:3], 0 offset:136
	buffer_load_dword v197, off, s[0:3], 0 offset:140
	;; [unrolled: 1-line block ×28, first 2 shown]
	ds_read2_b64 v[108:111], v14 offset0:53 offset1:54
	ds_read2_b64 v[112:115], v14 offset0:55 offset1:56
	;; [unrolled: 1-line block ×8, first 2 shown]
	s_and_b64 vcc, exec, s[16:17]
	s_waitcnt vmcnt(61) lgkmcnt(11)
	v_mul_f32_e32 v16, v96, v15
	s_waitcnt vmcnt(60)
	v_mul_f32_e32 v17, v98, v148
	s_waitcnt vmcnt(59) lgkmcnt(10)
	v_mul_f32_e32 v100, v4, v150
	s_waitcnt vmcnt(58)
	v_mul_f32_e32 v101, v6, v152
	;; [unrolled: 4-line block ×3, first 2 shown]
	s_waitcnt vmcnt(55) lgkmcnt(8)
	v_mul_f32_e32 v104, v0, v170
	s_waitcnt vmcnt(54)
	v_fmac_f32_e32 v16, v97, v171
	s_waitcnt vmcnt(53)
	v_fmac_f32_e32 v17, v99, v172
	v_add_f32_e32 v16, 0, v16
	s_waitcnt vmcnt(52)
	v_fmac_f32_e32 v100, v5, v173
	v_add_f32_e32 v16, v16, v17
	;; [unrolled: 3-line block ×5, first 2 shown]
	v_add_f32_e32 v16, v16, v103
	ds_read2_b64 v[100:103], v14 offset0:49 offset1:50
	s_waitcnt vmcnt(48)
	v_fmac_f32_e32 v104, v1, v177
	s_waitcnt vmcnt(47)
	v_mul_f32_e32 v17, v2, v178
	v_add_f32_e32 v16, v16, v104
	ds_read2_b64 v[104:107], v14 offset0:51 offset1:52
	s_waitcnt vmcnt(46)
	v_fmac_f32_e32 v17, v3, v179
	v_add_f32_e32 v16, v16, v17
	s_waitcnt vmcnt(45) lgkmcnt(1)
	v_mul_f32_e32 v17, v100, v180
	s_waitcnt vmcnt(44)
	v_fmac_f32_e32 v17, v101, v181
	v_add_f32_e32 v16, v16, v17
	s_waitcnt vmcnt(43)
	v_mul_f32_e32 v17, v102, v182
	s_waitcnt vmcnt(42)
	v_fmac_f32_e32 v17, v103, v183
	v_add_f32_e32 v16, v16, v17
	s_waitcnt vmcnt(41) lgkmcnt(0)
	v_mul_f32_e32 v17, v104, v184
	s_waitcnt vmcnt(40)
	v_fmac_f32_e32 v17, v105, v185
	v_add_f32_e32 v16, v16, v17
	s_waitcnt vmcnt(39)
	v_mul_f32_e32 v17, v106, v186
	s_waitcnt vmcnt(38)
	v_fmac_f32_e32 v17, v107, v187
	v_add_f32_e32 v16, v16, v17
	s_waitcnt vmcnt(35)
	;; [unrolled: 5-line block ×3, first 2 shown]
	v_mul_f32_e32 v17, v110, v191
	v_fmac_f32_e32 v17, v111, v190
	v_add_f32_e32 v16, v16, v17
	s_waitcnt vmcnt(30)
	v_mul_f32_e32 v17, v112, v193
	v_fmac_f32_e32 v17, v113, v192
	v_add_f32_e32 v16, v16, v17
	s_waitcnt vmcnt(28)
	;; [unrolled: 4-line block ×13, first 2 shown]
	v_mul_f32_e32 v17, v136, v217
	v_fmac_f32_e32 v17, v137, v216
	v_add_f32_e32 v144, v16, v17
	buffer_load_dword v17, off, s[0:3], 0 offset:252
	buffer_load_dword v16, off, s[0:3], 0 offset:248
	s_waitcnt vmcnt(6)
	v_mul_f32_e32 v145, v138, v219
	v_fmac_f32_e32 v145, v139, v218
	ds_read2_b64 v[140:143], v14 offset0:69 offset1:70
	v_add_f32_e32 v149, v144, v145
	ds_read2_b64 v[144:147], v14 offset0:71 offset1:72
	buffer_load_dword v155, off, s[0:3], 0 offset:284
	buffer_load_dword v154, off, s[0:3], 0 offset:280
	;; [unrolled: 1-line block ×14, first 2 shown]
	v_mul_f32_e32 v15, v97, v15
	v_fma_f32 v15, v96, v171, -v15
	v_mul_f32_e32 v96, v99, v148
	v_add_f32_e32 v15, 0, v15
	v_fma_f32 v96, v98, v172, -v96
	v_mul_f32_e32 v5, v5, v150
	v_add_f32_e32 v15, v15, v96
	;; [unrolled: 3-line block ×3, first 2 shown]
	v_fma_f32 v5, v6, v174, -v5
	v_add_f32_e32 v4, v4, v5
	v_mul_f32_e32 v5, v9, v168
	v_fma_f32 v5, v8, v175, -v5
	v_add_f32_e32 v4, v4, v5
	v_mul_f32_e32 v5, v11, v169
	v_fma_f32 v5, v10, v176, -v5
	v_mul_f32_e32 v1, v1, v170
	v_add_f32_e32 v4, v4, v5
	v_fma_f32 v0, v0, v177, -v1
	v_mul_f32_e32 v1, v3, v178
	v_add_f32_e32 v0, v4, v0
	v_fma_f32 v1, v2, v179, -v1
	v_add_f32_e32 v0, v0, v1
	v_mul_f32_e32 v1, v101, v180
	v_fma_f32 v1, v100, v181, -v1
	v_add_f32_e32 v0, v0, v1
	v_mul_f32_e32 v1, v103, v182
	;; [unrolled: 3-line block ×20, first 2 shown]
	s_waitcnt vmcnt(15)
	v_mov_b32_e32 v96, v17
	v_fma_f32 v1, v138, v218, -v1
	s_waitcnt lgkmcnt(0)
	v_pk_mul_f32 v[96:97], v[144:145], v[96:97] op_sel_hi:[1,0]
	v_add_f32_e32 v148, v0, v1
	v_mul_f32_e32 v0, v141, v221
	s_waitcnt vmcnt(14)
	v_pk_fma_f32 v[98:99], v[144:145], v[16:17], v[96:97] op_sel:[0,0,1] op_sel_hi:[1,1,0] neg_lo:[0,0,1] neg_hi:[0,0,1]
	v_pk_fma_f32 v[16:17], v[144:145], v[16:17], v[96:97] op_sel:[0,0,1] op_sel_hi:[1,0,0]
	v_mul_f32_e32 v151, v140, v221
	v_fma_f32 v150, v140, v220, -v0
	v_mul_f32_e32 v0, v143, v223
	s_waitcnt vmcnt(7)
	v_mov_b32_e32 v16, v161
	v_fmac_f32_e32 v151, v141, v220
	v_mul_f32_e32 v153, v142, v223
	v_fma_f32 v152, v142, v222, -v0
	ds_read2_b64 v[0:3], v14 offset0:73 offset1:74
	ds_read2_b64 v[4:7], v14 offset0:75 offset1:76
	;; [unrolled: 1-line block ×3, first 2 shown]
	v_mov_b32_e32 v99, v17
	v_pk_mul_f32 v[16:17], v[146:147], v[16:17] op_sel_hi:[1,0]
	v_fmac_f32_e32 v153, v143, v222
	v_pk_add_f32 v[14:15], v[148:149], v[150:151]
	s_waitcnt vmcnt(6)
	v_pk_fma_f32 v[96:97], v[146:147], v[160:161], v[16:17] op_sel:[0,0,1] op_sel_hi:[1,1,0] neg_lo:[0,0,1] neg_hi:[0,0,1]
	v_pk_fma_f32 v[16:17], v[146:147], v[160:161], v[16:17] op_sel:[0,0,1] op_sel_hi:[1,0,0]
	v_pk_add_f32 v[14:15], v[14:15], v[152:153]
	v_mov_b32_e32 v16, v159
	v_pk_add_f32 v[14:15], v[14:15], v[98:99]
	v_mov_b32_e32 v97, v17
	s_waitcnt lgkmcnt(2)
	v_pk_mul_f32 v[16:17], v[0:1], v[16:17] op_sel_hi:[1,0]
	v_pk_add_f32 v[14:15], v[14:15], v[96:97]
	v_pk_fma_f32 v[96:97], v[0:1], v[158:159], v[16:17] op_sel:[0,0,1] op_sel_hi:[1,1,0] neg_lo:[0,0,1] neg_hi:[0,0,1]
	v_pk_fma_f32 v[0:1], v[0:1], v[158:159], v[16:17] op_sel:[0,0,1] op_sel_hi:[1,0,0]
	v_mov_b32_e32 v97, v1
	v_pk_add_f32 v[0:1], v[14:15], v[96:97]
	v_mov_b32_e32 v14, v157
	v_pk_mul_f32 v[14:15], v[2:3], v[14:15] op_sel_hi:[1,0]
	v_pk_fma_f32 v[16:17], v[2:3], v[156:157], v[14:15] op_sel:[0,0,1] op_sel_hi:[1,1,0] neg_lo:[0,0,1] neg_hi:[0,0,1]
	v_pk_fma_f32 v[2:3], v[2:3], v[156:157], v[14:15] op_sel:[0,0,1] op_sel_hi:[1,0,0]
	v_mov_b32_e32 v2, v155
	v_mov_b32_e32 v17, v3
	s_waitcnt lgkmcnt(1)
	v_pk_mul_f32 v[2:3], v[4:5], v[2:3] op_sel_hi:[1,0]
	v_pk_fma_f32 v[14:15], v[4:5], v[154:155], v[2:3] op_sel:[0,0,1] op_sel_hi:[1,1,0] neg_lo:[0,0,1] neg_hi:[0,0,1]
	v_pk_fma_f32 v[2:3], v[4:5], v[154:155], v[2:3] op_sel:[0,0,1] op_sel_hi:[1,0,0]
	s_waitcnt vmcnt(1)
	v_mov_b32_e32 v2, v167
	v_mov_b32_e32 v15, v3
	v_pk_mul_f32 v[2:3], v[6:7], v[2:3] op_sel_hi:[1,0]
	s_waitcnt vmcnt(0)
	v_pk_fma_f32 v[4:5], v[6:7], v[166:167], v[2:3] op_sel:[0,0,1] op_sel_hi:[1,1,0] neg_lo:[0,0,1] neg_hi:[0,0,1]
	v_pk_fma_f32 v[2:3], v[6:7], v[166:167], v[2:3] op_sel:[0,0,1] op_sel_hi:[1,0,0]
	v_pk_add_f32 v[0:1], v[0:1], v[16:17]
	v_mov_b32_e32 v2, v165
	v_pk_add_f32 v[0:1], v[0:1], v[14:15]
	v_mov_b32_e32 v5, v3
	s_waitcnt lgkmcnt(0)
	v_pk_mul_f32 v[2:3], v[8:9], v[2:3] op_sel_hi:[1,0]
	v_pk_add_f32 v[0:1], v[0:1], v[4:5]
	v_pk_fma_f32 v[4:5], v[8:9], v[164:165], v[2:3] op_sel:[0,0,1] op_sel_hi:[1,1,0] neg_lo:[0,0,1] neg_hi:[0,0,1]
	v_pk_fma_f32 v[2:3], v[8:9], v[164:165], v[2:3] op_sel:[0,0,1] op_sel_hi:[1,0,0]
	v_mov_b32_e32 v2, v163
	v_mov_b32_e32 v5, v3
	v_pk_mul_f32 v[2:3], v[10:11], v[2:3] op_sel_hi:[1,0]
	v_pk_add_f32 v[0:1], v[0:1], v[4:5]
	v_pk_fma_f32 v[4:5], v[10:11], v[162:163], v[2:3] op_sel:[0,0,1] op_sel_hi:[1,1,0] neg_lo:[0,0,1] neg_hi:[0,0,1]
	v_pk_fma_f32 v[2:3], v[10:11], v[162:163], v[2:3] op_sel:[0,0,1] op_sel_hi:[1,0,0]
	v_mov_b32_e32 v5, v3
	v_pk_add_f32 v[0:1], v[0:1], v[4:5]
	v_pk_add_f32 v[0:1], v[12:13], v[0:1] neg_lo:[0,1] neg_hi:[0,1]
	buffer_store_dword v1, off, s[0:3], 0 offset:4
	buffer_store_dword v0, off, s[0:3], 0
	s_cbranch_vccz .LBB102_325
; %bb.248:
	v_pk_mov_b32 v[0:1], s[10:11], s[10:11] op_sel:[0,1]
	flat_load_dword v0, v[0:1] offset:148
	s_waitcnt vmcnt(0) lgkmcnt(0)
	v_add_u32_e32 v0, -1, v0
	v_cmp_ne_u32_e32 vcc, 37, v0
	s_and_saveexec_b64 s[4:5], vcc
	s_cbranch_execz .LBB102_250
; %bb.249:
	v_mov_b32_e32 v1, 0
	v_lshl_add_u32 v0, v0, 3, v1
	buffer_load_dword v1, v0, s[0:3], 0 offen
	buffer_load_dword v2, v0, s[0:3], 0 offen offset:4
	buffer_load_dword v3, off, s[0:3], 0 offset:296
	buffer_load_dword v4, off, s[0:3], 0 offset:300
	s_waitcnt vmcnt(3)
	buffer_store_dword v1, off, s[0:3], 0 offset:296
	s_waitcnt vmcnt(3)
	buffer_store_dword v2, off, s[0:3], 0 offset:300
	s_waitcnt vmcnt(3)
	buffer_store_dword v3, v0, s[0:3], 0 offen
	s_waitcnt vmcnt(3)
	buffer_store_dword v4, v0, s[0:3], 0 offen offset:4
.LBB102_250:
	s_or_b64 exec, exec, s[4:5]
	v_pk_mov_b32 v[0:1], s[10:11], s[10:11] op_sel:[0,1]
	flat_load_dword v0, v[0:1] offset:144
	s_waitcnt vmcnt(0) lgkmcnt(0)
	v_add_u32_e32 v0, -1, v0
	v_cmp_ne_u32_e32 vcc, 36, v0
	s_and_saveexec_b64 s[4:5], vcc
	s_cbranch_execz .LBB102_252
; %bb.251:
	v_mov_b32_e32 v1, 0
	v_lshl_add_u32 v0, v0, 3, v1
	buffer_load_dword v1, v0, s[0:3], 0 offen
	buffer_load_dword v2, v0, s[0:3], 0 offen offset:4
	buffer_load_dword v3, off, s[0:3], 0 offset:292
	buffer_load_dword v4, off, s[0:3], 0 offset:288
	s_waitcnt vmcnt(3)
	buffer_store_dword v1, off, s[0:3], 0 offset:288
	s_waitcnt vmcnt(3)
	buffer_store_dword v2, off, s[0:3], 0 offset:292
	s_waitcnt vmcnt(3)
	buffer_store_dword v3, v0, s[0:3], 0 offen offset:4
	s_waitcnt vmcnt(3)
	buffer_store_dword v4, v0, s[0:3], 0 offen
.LBB102_252:
	s_or_b64 exec, exec, s[4:5]
	v_pk_mov_b32 v[0:1], s[10:11], s[10:11] op_sel:[0,1]
	flat_load_dword v0, v[0:1] offset:140
	s_waitcnt vmcnt(0) lgkmcnt(0)
	v_add_u32_e32 v0, -1, v0
	v_cmp_ne_u32_e32 vcc, 35, v0
	s_and_saveexec_b64 s[4:5], vcc
	s_cbranch_execz .LBB102_254
; %bb.253:
	v_mov_b32_e32 v1, 0
	v_lshl_add_u32 v0, v0, 3, v1
	buffer_load_dword v1, v0, s[0:3], 0 offen
	buffer_load_dword v2, v0, s[0:3], 0 offen offset:4
	buffer_load_dword v3, off, s[0:3], 0 offset:280
	buffer_load_dword v4, off, s[0:3], 0 offset:284
	s_waitcnt vmcnt(3)
	buffer_store_dword v1, off, s[0:3], 0 offset:280
	s_waitcnt vmcnt(3)
	buffer_store_dword v2, off, s[0:3], 0 offset:284
	s_waitcnt vmcnt(3)
	buffer_store_dword v3, v0, s[0:3], 0 offen
	s_waitcnt vmcnt(3)
	buffer_store_dword v4, v0, s[0:3], 0 offen offset:4
.LBB102_254:
	s_or_b64 exec, exec, s[4:5]
	v_pk_mov_b32 v[0:1], s[10:11], s[10:11] op_sel:[0,1]
	flat_load_dword v0, v[0:1] offset:136
	s_waitcnt vmcnt(0) lgkmcnt(0)
	v_add_u32_e32 v0, -1, v0
	v_cmp_ne_u32_e32 vcc, 34, v0
	s_and_saveexec_b64 s[4:5], vcc
	s_cbranch_execz .LBB102_256
; %bb.255:
	v_mov_b32_e32 v1, 0
	v_lshl_add_u32 v0, v0, 3, v1
	buffer_load_dword v1, v0, s[0:3], 0 offen
	buffer_load_dword v2, v0, s[0:3], 0 offen offset:4
	buffer_load_dword v3, off, s[0:3], 0 offset:276
	buffer_load_dword v4, off, s[0:3], 0 offset:272
	s_waitcnt vmcnt(3)
	buffer_store_dword v1, off, s[0:3], 0 offset:272
	s_waitcnt vmcnt(3)
	buffer_store_dword v2, off, s[0:3], 0 offset:276
	s_waitcnt vmcnt(3)
	buffer_store_dword v3, v0, s[0:3], 0 offen offset:4
	s_waitcnt vmcnt(3)
	buffer_store_dword v4, v0, s[0:3], 0 offen
.LBB102_256:
	s_or_b64 exec, exec, s[4:5]
	;; [unrolled: 48-line block ×18, first 2 shown]
	v_pk_mov_b32 v[0:1], s[10:11], s[10:11] op_sel:[0,1]
	flat_load_dword v0, v[0:1] offset:4
	s_waitcnt vmcnt(0) lgkmcnt(0)
	v_add_u32_e32 v0, -1, v0
	v_cmp_ne_u32_e32 vcc, 1, v0
	s_and_saveexec_b64 s[4:5], vcc
	s_cbranch_execz .LBB102_322
; %bb.321:
	v_mov_b32_e32 v1, 0
	v_lshl_add_u32 v0, v0, 3, v1
	buffer_load_dword v1, v0, s[0:3], 0 offen
	buffer_load_dword v2, v0, s[0:3], 0 offen offset:4
	buffer_load_dword v3, off, s[0:3], 0 offset:8
	buffer_load_dword v4, off, s[0:3], 0 offset:12
	s_waitcnt vmcnt(3)
	buffer_store_dword v1, off, s[0:3], 0 offset:8
	s_waitcnt vmcnt(3)
	buffer_store_dword v2, off, s[0:3], 0 offset:12
	s_waitcnt vmcnt(3)
	buffer_store_dword v3, v0, s[0:3], 0 offen
	s_waitcnt vmcnt(3)
	buffer_store_dword v4, v0, s[0:3], 0 offen offset:4
.LBB102_322:
	s_or_b64 exec, exec, s[4:5]
	v_pk_mov_b32 v[0:1], s[10:11], s[10:11] op_sel:[0,1]
	flat_load_dword v2, v[0:1]
	s_nop 0
	buffer_load_dword v0, off, s[0:3], 0
	buffer_load_dword v1, off, s[0:3], 0 offset:4
	s_waitcnt vmcnt(0) lgkmcnt(0)
	v_add_u32_e32 v2, -1, v2
	v_cmp_ne_u32_e32 vcc, 0, v2
	s_and_saveexec_b64 s[4:5], vcc
	s_cbranch_execz .LBB102_324
; %bb.323:
	v_mov_b32_e32 v3, 0
	v_lshl_add_u32 v2, v2, 3, v3
	buffer_load_dword v3, v2, s[0:3], 0 offen offset:4
	buffer_load_dword v4, v2, s[0:3], 0 offen
	s_waitcnt vmcnt(1)
	buffer_store_dword v3, off, s[0:3], 0 offset:4
	s_waitcnt vmcnt(1)
	buffer_store_dword v4, off, s[0:3], 0
	buffer_store_dword v1, v2, s[0:3], 0 offen offset:4
	buffer_store_dword v0, v2, s[0:3], 0 offen
	buffer_load_dword v0, off, s[0:3], 0
	s_nop 0
	buffer_load_dword v1, off, s[0:3], 0 offset:4
.LBB102_324:
	s_or_b64 exec, exec, s[4:5]
.LBB102_325:
	buffer_load_dword v2, off, s[0:3], 0 offset:8
	buffer_load_dword v3, off, s[0:3], 0 offset:12
	;; [unrolled: 1-line block ×76, first 2 shown]
	s_waitcnt vmcnt(62)
	global_store_dwordx2 v[84:85], v[0:1], off
	global_store_dwordx2 v[86:87], v[2:3], off
	;; [unrolled: 1-line block ×8, first 2 shown]
	s_waitcnt vmcnt(62)
	global_store_dwordx2 v[30:31], v[16:17], off
	global_store_dwordx2 v[32:33], v[96:97], off
	;; [unrolled: 1-line block ×4, first 2 shown]
	s_waitcnt vmcnt(62)
	global_store_dwordx2 v[38:39], v[102:103], off
	global_store_dwordx2 v[40:41], v[104:105], off
	s_waitcnt vmcnt(62)
	global_store_dwordx2 v[42:43], v[106:107], off
	s_waitcnt vmcnt(61)
	global_store_dwordx2 v[44:45], v[108:109], off
	s_waitcnt vmcnt(60)
	global_store_dwordx2 v[46:47], v[110:111], off
	s_waitcnt vmcnt(59)
	global_store_dwordx2 v[48:49], v[112:113], off
	s_waitcnt vmcnt(58)
	global_store_dwordx2 v[50:51], v[114:115], off
	s_waitcnt vmcnt(57)
	global_store_dwordx2 v[52:53], v[116:117], off
	s_waitcnt vmcnt(56)
	global_store_dwordx2 v[54:55], v[118:119], off
	s_waitcnt vmcnt(55)
	global_store_dwordx2 v[56:57], v[120:121], off
	s_waitcnt vmcnt(54)
	global_store_dwordx2 v[58:59], v[122:123], off
	s_waitcnt vmcnt(53)
	global_store_dwordx2 v[60:61], v[124:125], off
	s_waitcnt vmcnt(52)
	global_store_dwordx2 v[62:63], v[126:127], off
	s_waitcnt vmcnt(51)
	global_store_dwordx2 v[64:65], v[128:129], off
	s_waitcnt vmcnt(50)
	global_store_dwordx2 v[66:67], v[130:131], off
	s_waitcnt vmcnt(49)
	global_store_dwordx2 v[68:69], v[132:133], off
	s_waitcnt vmcnt(48)
	global_store_dwordx2 v[70:71], v[134:135], off
	s_waitcnt vmcnt(47)
	global_store_dwordx2 v[72:73], v[136:137], off
	s_waitcnt vmcnt(46)
	global_store_dwordx2 v[74:75], v[138:139], off
	s_waitcnt vmcnt(45)
	global_store_dwordx2 v[76:77], v[140:141], off
	s_waitcnt vmcnt(44)
	global_store_dwordx2 v[78:79], v[142:143], off
	s_waitcnt vmcnt(43)
	global_store_dwordx2 v[80:81], v[144:145], off
	s_waitcnt vmcnt(42)
	global_store_dwordx2 v[82:83], v[146:147], off
	s_waitcnt vmcnt(41)
	global_store_dwordx2 v[88:89], v[148:149], off
	s_waitcnt vmcnt(40)
	global_store_dwordx2 v[90:91], v[150:151], off
	s_waitcnt vmcnt(39)
	global_store_dwordx2 v[92:93], v[152:153], off
	s_waitcnt vmcnt(38)
	global_store_dwordx2 v[94:95], v[154:155], off
	s_endpgm
	.section	.rodata,"a",@progbits
	.p2align	6, 0x0
	.amdhsa_kernel _ZN9rocsolver6v33100L18getri_kernel_smallILi39E19rocblas_complex_numIfEPKPS3_EEvT1_iilPiilS8_bb
		.amdhsa_group_segment_fixed_size 632
		.amdhsa_private_segment_fixed_size 320
		.amdhsa_kernarg_size 60
		.amdhsa_user_sgpr_count 8
		.amdhsa_user_sgpr_private_segment_buffer 1
		.amdhsa_user_sgpr_dispatch_ptr 0
		.amdhsa_user_sgpr_queue_ptr 0
		.amdhsa_user_sgpr_kernarg_segment_ptr 1
		.amdhsa_user_sgpr_dispatch_id 0
		.amdhsa_user_sgpr_flat_scratch_init 1
		.amdhsa_user_sgpr_kernarg_preload_length 0
		.amdhsa_user_sgpr_kernarg_preload_offset 0
		.amdhsa_user_sgpr_private_segment_size 0
		.amdhsa_uses_dynamic_stack 0
		.amdhsa_system_sgpr_private_segment_wavefront_offset 1
		.amdhsa_system_sgpr_workgroup_id_x 1
		.amdhsa_system_sgpr_workgroup_id_y 0
		.amdhsa_system_sgpr_workgroup_id_z 0
		.amdhsa_system_sgpr_workgroup_info 0
		.amdhsa_system_vgpr_workitem_id 0
		.amdhsa_next_free_vgpr 224
		.amdhsa_next_free_sgpr 22
		.amdhsa_accum_offset 224
		.amdhsa_reserve_vcc 1
		.amdhsa_reserve_flat_scratch 1
		.amdhsa_float_round_mode_32 0
		.amdhsa_float_round_mode_16_64 0
		.amdhsa_float_denorm_mode_32 3
		.amdhsa_float_denorm_mode_16_64 3
		.amdhsa_dx10_clamp 1
		.amdhsa_ieee_mode 1
		.amdhsa_fp16_overflow 0
		.amdhsa_tg_split 0
		.amdhsa_exception_fp_ieee_invalid_op 0
		.amdhsa_exception_fp_denorm_src 0
		.amdhsa_exception_fp_ieee_div_zero 0
		.amdhsa_exception_fp_ieee_overflow 0
		.amdhsa_exception_fp_ieee_underflow 0
		.amdhsa_exception_fp_ieee_inexact 0
		.amdhsa_exception_int_div_zero 0
	.end_amdhsa_kernel
	.section	.text._ZN9rocsolver6v33100L18getri_kernel_smallILi39E19rocblas_complex_numIfEPKPS3_EEvT1_iilPiilS8_bb,"axG",@progbits,_ZN9rocsolver6v33100L18getri_kernel_smallILi39E19rocblas_complex_numIfEPKPS3_EEvT1_iilPiilS8_bb,comdat
.Lfunc_end102:
	.size	_ZN9rocsolver6v33100L18getri_kernel_smallILi39E19rocblas_complex_numIfEPKPS3_EEvT1_iilPiilS8_bb, .Lfunc_end102-_ZN9rocsolver6v33100L18getri_kernel_smallILi39E19rocblas_complex_numIfEPKPS3_EEvT1_iilPiilS8_bb
                                        ; -- End function
	.section	.AMDGPU.csdata,"",@progbits
; Kernel info:
; codeLenInByte = 65660
; NumSgprs: 28
; NumVgprs: 224
; NumAgprs: 0
; TotalNumVgprs: 224
; ScratchSize: 320
; MemoryBound: 0
; FloatMode: 240
; IeeeMode: 1
; LDSByteSize: 632 bytes/workgroup (compile time only)
; SGPRBlocks: 3
; VGPRBlocks: 27
; NumSGPRsForWavesPerEU: 28
; NumVGPRsForWavesPerEU: 224
; AccumOffset: 224
; Occupancy: 2
; WaveLimiterHint : 1
; COMPUTE_PGM_RSRC2:SCRATCH_EN: 1
; COMPUTE_PGM_RSRC2:USER_SGPR: 8
; COMPUTE_PGM_RSRC2:TRAP_HANDLER: 0
; COMPUTE_PGM_RSRC2:TGID_X_EN: 1
; COMPUTE_PGM_RSRC2:TGID_Y_EN: 0
; COMPUTE_PGM_RSRC2:TGID_Z_EN: 0
; COMPUTE_PGM_RSRC2:TIDIG_COMP_CNT: 0
; COMPUTE_PGM_RSRC3_GFX90A:ACCUM_OFFSET: 55
; COMPUTE_PGM_RSRC3_GFX90A:TG_SPLIT: 0
	.section	.text._ZN9rocsolver6v33100L18getri_kernel_smallILi40E19rocblas_complex_numIfEPKPS3_EEvT1_iilPiilS8_bb,"axG",@progbits,_ZN9rocsolver6v33100L18getri_kernel_smallILi40E19rocblas_complex_numIfEPKPS3_EEvT1_iilPiilS8_bb,comdat
	.globl	_ZN9rocsolver6v33100L18getri_kernel_smallILi40E19rocblas_complex_numIfEPKPS3_EEvT1_iilPiilS8_bb ; -- Begin function _ZN9rocsolver6v33100L18getri_kernel_smallILi40E19rocblas_complex_numIfEPKPS3_EEvT1_iilPiilS8_bb
	.p2align	8
	.type	_ZN9rocsolver6v33100L18getri_kernel_smallILi40E19rocblas_complex_numIfEPKPS3_EEvT1_iilPiilS8_bb,@function
_ZN9rocsolver6v33100L18getri_kernel_smallILi40E19rocblas_complex_numIfEPKPS3_EEvT1_iilPiilS8_bb: ; @_ZN9rocsolver6v33100L18getri_kernel_smallILi40E19rocblas_complex_numIfEPKPS3_EEvT1_iilPiilS8_bb
; %bb.0:
	s_add_u32 flat_scratch_lo, s6, s9
	s_addc_u32 flat_scratch_hi, s7, 0
	s_add_u32 s0, s0, s9
	s_addc_u32 s1, s1, 0
	v_cmp_gt_u32_e32 vcc, 40, v0
	s_and_saveexec_b64 s[6:7], vcc
	s_cbranch_execz .LBB103_174
; %bb.1:
	s_load_dword s20, s[4:5], 0x38
	s_load_dwordx2 s[6:7], s[4:5], 0x0
	s_load_dwordx4 s[12:15], s[4:5], 0x28
	s_waitcnt lgkmcnt(0)
	s_bitcmp1_b32 s20, 8
	s_cselect_b64 s[16:17], -1, 0
	s_ashr_i32 s9, s8, 31
	s_lshl_b64 s[10:11], s[8:9], 3
	s_add_u32 s6, s6, s10
	s_addc_u32 s7, s7, s11
	s_load_dwordx2 s[18:19], s[6:7], 0x0
	s_bfe_u32 s6, s20, 0x10008
	s_cmp_eq_u32 s6, 0
                                        ; implicit-def: $sgpr10_sgpr11
	s_cbranch_scc1 .LBB103_3
; %bb.2:
	s_load_dword s6, s[4:5], 0x20
	s_load_dwordx2 s[10:11], s[4:5], 0x18
	s_mul_i32 s7, s8, s13
	s_mul_hi_u32 s13, s8, s12
	s_add_i32 s13, s13, s7
	s_mul_i32 s21, s9, s12
	s_add_i32 s13, s13, s21
	s_mul_i32 s12, s8, s12
	s_waitcnt lgkmcnt(0)
	s_ashr_i32 s7, s6, 31
	s_lshl_b64 s[12:13], s[12:13], 2
	s_add_u32 s10, s10, s12
	s_addc_u32 s11, s11, s13
	s_lshl_b64 s[6:7], s[6:7], 2
	s_add_u32 s10, s10, s6
	s_addc_u32 s11, s11, s7
.LBB103_3:
	s_load_dwordx2 s[6:7], s[4:5], 0x8
	v_lshlrev_b32_e32 v6, 3, v0
	s_waitcnt lgkmcnt(0)
	s_ashr_i32 s5, s6, 31
	s_mov_b32 s4, s6
	s_lshl_b64 s[4:5], s[4:5], 3
	s_add_u32 s4, s18, s4
	s_addc_u32 s5, s19, s5
	s_add_i32 s6, s7, s7
	v_add_u32_e32 v2, s6, v0
	v_ashrrev_i32_e32 v3, 31, v2
	v_lshlrev_b64 v[4:5], 3, v[2:3]
	v_add_u32_e32 v2, s7, v2
	v_mov_b32_e32 v1, s5
	v_add_co_u32_e32 v18, vcc, s4, v4
	v_ashrrev_i32_e32 v3, 31, v2
	v_addc_co_u32_e32 v19, vcc, v1, v5, vcc
	v_lshlrev_b64 v[4:5], 3, v[2:3]
	v_add_u32_e32 v2, s7, v2
	v_add_co_u32_e32 v20, vcc, s4, v4
	v_ashrrev_i32_e32 v3, 31, v2
	v_addc_co_u32_e32 v21, vcc, v1, v5, vcc
	v_lshlrev_b64 v[4:5], 3, v[2:3]
	v_add_u32_e32 v2, s7, v2
	v_add_co_u32_e32 v22, vcc, s4, v4
	v_ashrrev_i32_e32 v3, 31, v2
	v_addc_co_u32_e32 v23, vcc, v1, v5, vcc
	v_lshlrev_b64 v[4:5], 3, v[2:3]
	v_add_u32_e32 v2, s7, v2
	v_add_co_u32_e32 v24, vcc, s4, v4
	v_ashrrev_i32_e32 v3, 31, v2
	v_addc_co_u32_e32 v25, vcc, v1, v5, vcc
	v_lshlrev_b64 v[4:5], 3, v[2:3]
	v_add_u32_e32 v2, s7, v2
	v_add_co_u32_e32 v26, vcc, s4, v4
	v_ashrrev_i32_e32 v3, 31, v2
	v_addc_co_u32_e32 v27, vcc, v1, v5, vcc
	v_lshlrev_b64 v[4:5], 3, v[2:3]
	v_add_u32_e32 v2, s7, v2
	v_add_co_u32_e32 v28, vcc, s4, v4
	v_ashrrev_i32_e32 v3, 31, v2
	v_addc_co_u32_e32 v29, vcc, v1, v5, vcc
	v_lshlrev_b64 v[4:5], 3, v[2:3]
	v_add_u32_e32 v2, s7, v2
	v_add_co_u32_e32 v30, vcc, s4, v4
	v_ashrrev_i32_e32 v3, 31, v2
	v_addc_co_u32_e32 v31, vcc, v1, v5, vcc
	v_lshlrev_b64 v[4:5], 3, v[2:3]
	v_add_u32_e32 v2, s7, v2
	v_add_co_u32_e32 v32, vcc, s4, v4
	v_ashrrev_i32_e32 v3, 31, v2
	v_addc_co_u32_e32 v33, vcc, v1, v5, vcc
	v_lshlrev_b64 v[4:5], 3, v[2:3]
	v_add_u32_e32 v2, s7, v2
	v_add_co_u32_e32 v34, vcc, s4, v4
	v_ashrrev_i32_e32 v3, 31, v2
	v_addc_co_u32_e32 v35, vcc, v1, v5, vcc
	v_lshlrev_b64 v[4:5], 3, v[2:3]
	v_add_u32_e32 v2, s7, v2
	v_add_co_u32_e32 v36, vcc, s4, v4
	v_ashrrev_i32_e32 v3, 31, v2
	v_addc_co_u32_e32 v37, vcc, v1, v5, vcc
	v_lshlrev_b64 v[4:5], 3, v[2:3]
	v_add_u32_e32 v2, s7, v2
	v_add_co_u32_e32 v38, vcc, s4, v4
	v_ashrrev_i32_e32 v3, 31, v2
	v_addc_co_u32_e32 v39, vcc, v1, v5, vcc
	v_lshlrev_b64 v[4:5], 3, v[2:3]
	v_add_u32_e32 v2, s7, v2
	v_add_co_u32_e32 v40, vcc, s4, v4
	v_ashrrev_i32_e32 v3, 31, v2
	v_addc_co_u32_e32 v41, vcc, v1, v5, vcc
	v_lshlrev_b64 v[4:5], 3, v[2:3]
	v_add_u32_e32 v2, s7, v2
	v_add_co_u32_e32 v42, vcc, s4, v4
	v_ashrrev_i32_e32 v3, 31, v2
	v_addc_co_u32_e32 v43, vcc, v1, v5, vcc
	v_lshlrev_b64 v[4:5], 3, v[2:3]
	v_add_u32_e32 v2, s7, v2
	v_add_co_u32_e32 v44, vcc, s4, v4
	v_ashrrev_i32_e32 v3, 31, v2
	v_addc_co_u32_e32 v45, vcc, v1, v5, vcc
	v_lshlrev_b64 v[4:5], 3, v[2:3]
	v_add_u32_e32 v2, s7, v2
	v_add_co_u32_e32 v46, vcc, s4, v4
	v_ashrrev_i32_e32 v3, 31, v2
	v_addc_co_u32_e32 v47, vcc, v1, v5, vcc
	v_lshlrev_b64 v[4:5], 3, v[2:3]
	v_add_u32_e32 v2, s7, v2
	v_add_co_u32_e32 v48, vcc, s4, v4
	v_ashrrev_i32_e32 v3, 31, v2
	v_addc_co_u32_e32 v49, vcc, v1, v5, vcc
	v_lshlrev_b64 v[4:5], 3, v[2:3]
	v_add_u32_e32 v2, s7, v2
	v_add_co_u32_e32 v50, vcc, s4, v4
	v_ashrrev_i32_e32 v3, 31, v2
	v_addc_co_u32_e32 v51, vcc, v1, v5, vcc
	v_lshlrev_b64 v[4:5], 3, v[2:3]
	v_add_u32_e32 v2, s7, v2
	v_add_co_u32_e32 v52, vcc, s4, v4
	v_ashrrev_i32_e32 v3, 31, v2
	v_addc_co_u32_e32 v53, vcc, v1, v5, vcc
	v_lshlrev_b64 v[4:5], 3, v[2:3]
	v_add_u32_e32 v2, s7, v2
	v_add_co_u32_e32 v54, vcc, s4, v4
	v_ashrrev_i32_e32 v3, 31, v2
	v_addc_co_u32_e32 v55, vcc, v1, v5, vcc
	v_lshlrev_b64 v[4:5], 3, v[2:3]
	v_add_u32_e32 v2, s7, v2
	v_add_co_u32_e32 v56, vcc, s4, v4
	v_ashrrev_i32_e32 v3, 31, v2
	v_addc_co_u32_e32 v57, vcc, v1, v5, vcc
	v_lshlrev_b64 v[4:5], 3, v[2:3]
	v_add_u32_e32 v2, s7, v2
	v_add_co_u32_e32 v58, vcc, s4, v4
	v_ashrrev_i32_e32 v3, 31, v2
	v_addc_co_u32_e32 v59, vcc, v1, v5, vcc
	v_lshlrev_b64 v[4:5], 3, v[2:3]
	v_add_u32_e32 v2, s7, v2
	v_add_co_u32_e32 v60, vcc, s4, v4
	v_ashrrev_i32_e32 v3, 31, v2
	v_addc_co_u32_e32 v61, vcc, v1, v5, vcc
	v_lshlrev_b64 v[4:5], 3, v[2:3]
	v_add_u32_e32 v2, s7, v2
	v_add_co_u32_e32 v62, vcc, s4, v4
	v_ashrrev_i32_e32 v3, 31, v2
	v_addc_co_u32_e32 v63, vcc, v1, v5, vcc
	v_lshlrev_b64 v[4:5], 3, v[2:3]
	v_add_u32_e32 v2, s7, v2
	v_add_co_u32_e32 v64, vcc, s4, v4
	v_ashrrev_i32_e32 v3, 31, v2
	v_addc_co_u32_e32 v65, vcc, v1, v5, vcc
	v_lshlrev_b64 v[4:5], 3, v[2:3]
	v_add_u32_e32 v2, s7, v2
	v_add_co_u32_e32 v66, vcc, s4, v4
	v_ashrrev_i32_e32 v3, 31, v2
	v_addc_co_u32_e32 v67, vcc, v1, v5, vcc
	v_lshlrev_b64 v[4:5], 3, v[2:3]
	v_add_u32_e32 v2, s7, v2
	v_add_co_u32_e32 v68, vcc, s4, v4
	v_ashrrev_i32_e32 v3, 31, v2
	v_addc_co_u32_e32 v69, vcc, v1, v5, vcc
	v_lshlrev_b64 v[4:5], 3, v[2:3]
	v_add_u32_e32 v2, s7, v2
	v_add_co_u32_e32 v70, vcc, s4, v4
	v_ashrrev_i32_e32 v3, 31, v2
	v_addc_co_u32_e32 v71, vcc, v1, v5, vcc
	v_lshlrev_b64 v[4:5], 3, v[2:3]
	v_add_u32_e32 v2, s7, v2
	v_add_co_u32_e32 v72, vcc, s4, v4
	v_ashrrev_i32_e32 v3, 31, v2
	v_addc_co_u32_e32 v73, vcc, v1, v5, vcc
	v_lshlrev_b64 v[4:5], 3, v[2:3]
	v_add_u32_e32 v2, s7, v2
	v_add_co_u32_e32 v74, vcc, s4, v4
	v_ashrrev_i32_e32 v3, 31, v2
	v_addc_co_u32_e32 v75, vcc, v1, v5, vcc
	v_lshlrev_b64 v[4:5], 3, v[2:3]
	v_add_u32_e32 v2, s7, v2
	v_add_co_u32_e32 v76, vcc, s4, v4
	v_ashrrev_i32_e32 v3, 31, v2
	v_addc_co_u32_e32 v77, vcc, v1, v5, vcc
	v_lshlrev_b64 v[4:5], 3, v[2:3]
	v_add_u32_e32 v2, s7, v2
	v_add_co_u32_e32 v78, vcc, s4, v4
	v_ashrrev_i32_e32 v3, 31, v2
	v_addc_co_u32_e32 v79, vcc, v1, v5, vcc
	v_lshlrev_b64 v[4:5], 3, v[2:3]
	v_add_u32_e32 v2, s7, v2
	v_add_co_u32_e32 v80, vcc, s4, v4
	v_ashrrev_i32_e32 v3, 31, v2
	v_addc_co_u32_e32 v81, vcc, v1, v5, vcc
	v_lshlrev_b64 v[4:5], 3, v[2:3]
	v_add_co_u32_e32 v82, vcc, s4, v4
	v_addc_co_u32_e32 v83, vcc, v1, v5, vcc
	v_add_co_u32_e32 v86, vcc, s4, v6
	s_ashr_i32 s13, s7, 31
	s_mov_b32 s12, s7
	v_add_u32_e32 v2, s7, v2
	v_addc_co_u32_e32 v87, vcc, 0, v1, vcc
	s_lshl_b64 s[12:13], s[12:13], 3
	v_ashrrev_i32_e32 v3, 31, v2
	v_mov_b32_e32 v1, s13
	v_add_co_u32_e32 v88, vcc, s12, v86
	v_addc_co_u32_e32 v89, vcc, v87, v1, vcc
	v_lshlrev_b64 v[12:13], 3, v[2:3]
	v_add_u32_e32 v2, s7, v2
	v_mov_b32_e32 v1, s5
	v_add_co_u32_e32 v84, vcc, s4, v12
	v_ashrrev_i32_e32 v3, 31, v2
	v_addc_co_u32_e32 v85, vcc, v1, v13, vcc
	v_lshlrev_b64 v[90:91], 3, v[2:3]
	v_add_u32_e32 v2, s7, v2
	v_add_co_u32_e32 v90, vcc, s4, v90
	v_ashrrev_i32_e32 v3, 31, v2
	v_addc_co_u32_e32 v91, vcc, v1, v91, vcc
	v_lshlrev_b64 v[92:93], 3, v[2:3]
	v_add_u32_e32 v2, s7, v2
	v_add_co_u32_e32 v92, vcc, s4, v92
	v_ashrrev_i32_e32 v3, 31, v2
	v_addc_co_u32_e32 v93, vcc, v1, v93, vcc
	v_lshlrev_b64 v[94:95], 3, v[2:3]
	v_add_co_u32_e32 v94, vcc, s4, v94
	global_load_dwordx2 v[4:5], v6, s[4:5]
	global_load_dwordx2 v[10:11], v[18:19], off
	global_load_dwordx2 v[8:9], v[88:89], off
	;; [unrolled: 1-line block ×30, first 2 shown]
	v_addc_co_u32_e32 v95, vcc, v1, v95, vcc
	global_load_dwordx2 v[148:149], v[76:77], off
	global_load_dwordx2 v[150:151], v[78:79], off
	;; [unrolled: 1-line block ×8, first 2 shown]
	v_add_u32_e32 v2, s7, v2
	v_ashrrev_i32_e32 v3, 31, v2
	v_lshlrev_b64 v[2:3], 3, v[2:3]
	v_add_co_u32_e32 v96, vcc, s4, v2
	v_addc_co_u32_e32 v97, vcc, v1, v3, vcc
	global_load_dwordx2 v[2:3], v[96:97], off
	s_bitcmp0_b32 s20, 0
	s_mov_b64 s[6:7], -1
	s_waitcnt vmcnt(39)
	buffer_store_dword v5, off, s[0:3], 0 offset:4
	buffer_store_dword v4, off, s[0:3], 0
	s_waitcnt vmcnt(39)
	buffer_store_dword v9, off, s[0:3], 0 offset:12
	buffer_store_dword v8, off, s[0:3], 0 offset:8
	buffer_store_dword v11, off, s[0:3], 0 offset:20
	buffer_store_dword v10, off, s[0:3], 0 offset:16
	s_waitcnt vmcnt(42)
	buffer_store_dword v15, off, s[0:3], 0 offset:28
	buffer_store_dword v14, off, s[0:3], 0 offset:24
	s_waitcnt vmcnt(43)
	buffer_store_dword v17, off, s[0:3], 0 offset:36
	buffer_store_dword v16, off, s[0:3], 0 offset:32
	;; [unrolled: 3-line block ×22, first 2 shown]
	buffer_store_dword v137, off, s[0:3], 0 offset:204
	buffer_store_dword v136, off, s[0:3], 0 offset:200
	s_waitcnt vmcnt(62)
	buffer_store_dword v139, off, s[0:3], 0 offset:212
	buffer_store_dword v138, off, s[0:3], 0 offset:208
	;; [unrolled: 1-line block ×8, first 2 shown]
	s_waitcnt vmcnt(62)
	buffer_store_dword v146, off, s[0:3], 0 offset:240
	buffer_store_dword v147, off, s[0:3], 0 offset:244
	;; [unrolled: 1-line block ×16, first 2 shown]
	s_waitcnt vmcnt(62)
	buffer_store_dword v163, off, s[0:3], 0 offset:308
	buffer_store_dword v162, off, s[0:3], 0 offset:304
	;; [unrolled: 1-line block ×4, first 2 shown]
	s_cbranch_scc1 .LBB103_172
; %bb.4:
	v_cmp_eq_u32_e64 s[4:5], 0, v0
	s_and_saveexec_b64 s[6:7], s[4:5]
	s_cbranch_execz .LBB103_6
; %bb.5:
	v_mov_b32_e32 v1, 0
	ds_write_b32 v1, v1 offset:640
.LBB103_6:
	s_or_b64 exec, exec, s[6:7]
	v_mov_b32_e32 v1, 0
	v_lshl_add_u32 v7, v0, 3, v1
	s_waitcnt lgkmcnt(0)
	; wave barrier
	s_waitcnt lgkmcnt(0)
	buffer_load_dword v1, v7, s[0:3], 0 offen
	buffer_load_dword v2, v7, s[0:3], 0 offen offset:4
	s_waitcnt vmcnt(1)
	v_cmp_eq_f32_e32 vcc, 0, v1
	s_waitcnt vmcnt(0)
	v_cmp_eq_f32_e64 s[6:7], 0, v2
	s_and_b64 s[6:7], vcc, s[6:7]
	s_and_saveexec_b64 s[12:13], s[6:7]
	s_cbranch_execz .LBB103_10
; %bb.7:
	v_mov_b32_e32 v1, 0
	ds_read_b32 v3, v1 offset:640
	v_add_u32_e32 v2, 1, v0
	s_waitcnt lgkmcnt(0)
	v_readfirstlane_b32 s6, v3
	s_cmp_eq_u32 s6, 0
	s_cselect_b64 s[18:19], -1, 0
	v_cmp_gt_i32_e32 vcc, s6, v2
	s_or_b64 s[18:19], s[18:19], vcc
	s_and_b64 exec, exec, s[18:19]
	s_cbranch_execz .LBB103_10
; %bb.8:
	s_mov_b64 s[18:19], 0
	v_mov_b32_e32 v3, s6
.LBB103_9:                              ; =>This Inner Loop Header: Depth=1
	ds_cmpst_rtn_b32 v3, v1, v3, v2 offset:640
	s_waitcnt lgkmcnt(0)
	v_cmp_ne_u32_e32 vcc, 0, v3
	v_cmp_le_i32_e64 s[6:7], v3, v2
	s_and_b64 s[6:7], vcc, s[6:7]
	s_and_b64 s[6:7], exec, s[6:7]
	s_or_b64 s[18:19], s[6:7], s[18:19]
	s_andn2_b64 exec, exec, s[18:19]
	s_cbranch_execnz .LBB103_9
.LBB103_10:
	s_or_b64 exec, exec, s[12:13]
	v_mov_b32_e32 v2, 0
	s_waitcnt lgkmcnt(0)
	; wave barrier
	ds_read_b32 v1, v2 offset:640
	s_and_saveexec_b64 s[6:7], s[4:5]
	s_cbranch_execz .LBB103_12
; %bb.11:
	s_lshl_b64 s[12:13], s[8:9], 2
	s_add_u32 s12, s14, s12
	s_addc_u32 s13, s15, s13
	s_waitcnt lgkmcnt(0)
	global_store_dword v2, v1, s[12:13]
.LBB103_12:
	s_or_b64 exec, exec, s[6:7]
	s_waitcnt lgkmcnt(0)
	v_cmp_ne_u32_e32 vcc, 0, v1
	s_mov_b64 s[6:7], 0
	s_cbranch_vccnz .LBB103_172
; %bb.13:
	buffer_load_dword v8, v7, s[0:3], 0 offen offset:4
	buffer_load_dword v3, v7, s[0:3], 0 offen
	s_waitcnt vmcnt(1)
	v_cmp_gt_f32_e32 vcc, 0, v8
	v_cndmask_b32_e64 v1, v8, -v8, vcc
	s_waitcnt vmcnt(0)
	v_cmp_gt_f32_e32 vcc, 0, v3
	v_cndmask_b32_e64 v2, v3, -v3, vcc
	v_cmp_ngt_f32_e32 vcc, v2, v1
                                        ; implicit-def: $vgpr1
                                        ; implicit-def: $vgpr2
	s_and_saveexec_b64 s[6:7], vcc
	s_xor_b64 s[6:7], exec, s[6:7]
                                        ; implicit-def: $vgpr4_vgpr5
	s_cbranch_execz .LBB103_15
; %bb.14:
	v_div_scale_f32 v1, s[12:13], v8, v8, v3
	v_rcp_f32_e32 v2, v1
	v_div_scale_f32 v4, vcc, v3, v8, v3
	v_fma_f32 v5, -v1, v2, 1.0
	v_fmac_f32_e32 v2, v5, v2
	v_mul_f32_e32 v5, v4, v2
	v_fma_f32 v9, -v1, v5, v4
	v_fmac_f32_e32 v5, v9, v2
	v_fma_f32 v1, -v1, v5, v4
	v_div_fmas_f32 v1, v1, v2, v5
	v_div_fixup_f32 v2, v1, v8, v3
	v_fmac_f32_e32 v8, v3, v2
	v_div_scale_f32 v1, s[12:13], v8, v8, -1.0
	v_rcp_f32_e32 v3, v1
	v_fma_f32 v4, -v1, v3, 1.0
	v_fmac_f32_e32 v3, v4, v3
	v_div_scale_f32 v4, vcc, -1.0, v8, -1.0
	v_mul_f32_e32 v5, v4, v3
	v_fma_f32 v9, -v1, v5, v4
	v_fmac_f32_e32 v5, v9, v3
	v_fma_f32 v1, -v1, v5, v4
	v_div_fmas_f32 v1, v1, v3, v5
	v_div_fixup_f32 v1, v1, v8, -1.0
	v_mul_f32_e32 v2, v2, v1
	v_xor_b32_e32 v4, 0x80000000, v2
                                        ; implicit-def: $vgpr3
                                        ; implicit-def: $vgpr8
.LBB103_15:
	s_andn2_saveexec_b64 s[6:7], s[6:7]
	s_cbranch_execz .LBB103_17
; %bb.16:
	v_div_scale_f32 v1, s[12:13], v3, v3, v8
	v_rcp_f32_e32 v2, v1
	v_div_scale_f32 v4, vcc, v8, v3, v8
	v_fma_f32 v5, -v1, v2, 1.0
	v_fmac_f32_e32 v2, v5, v2
	v_mul_f32_e32 v5, v4, v2
	v_fma_f32 v9, -v1, v5, v4
	v_fmac_f32_e32 v5, v9, v2
	v_fma_f32 v1, -v1, v5, v4
	v_div_fmas_f32 v1, v1, v2, v5
	v_div_fixup_f32 v1, v1, v3, v8
	v_fmac_f32_e32 v3, v8, v1
	v_div_scale_f32 v2, s[12:13], v3, v3, 1.0
	v_rcp_f32_e32 v4, v2
	v_fma_f32 v5, -v2, v4, 1.0
	v_fmac_f32_e32 v4, v5, v4
	v_div_scale_f32 v5, vcc, 1.0, v3, 1.0
	v_mul_f32_e32 v8, v5, v4
	v_fma_f32 v9, -v2, v8, v5
	v_fmac_f32_e32 v8, v9, v4
	v_fma_f32 v2, -v2, v8, v5
	v_div_fmas_f32 v2, v2, v4, v8
	v_div_fixup_f32 v4, v2, v3, 1.0
	v_xor_b32_e32 v2, 0x80000000, v4
	v_mul_f32_e64 v1, v1, -v4
.LBB103_17:
	s_or_b64 exec, exec, s[6:7]
	buffer_store_dword v1, v7, s[0:3], 0 offen offset:4
	buffer_store_dword v4, v7, s[0:3], 0 offen
	buffer_load_dword v5, off, s[0:3], 0 offset:12
	s_nop 0
	buffer_load_dword v4, off, s[0:3], 0 offset:8
	v_xor_b32_e32 v3, 0x80000000, v1
	v_add_u32_e32 v1, 0x140, v6
	s_waitcnt vmcnt(0)
	ds_write2_b64 v6, v[2:3], v[4:5] offset1:40
	s_waitcnt lgkmcnt(0)
	; wave barrier
	s_waitcnt lgkmcnt(0)
	s_and_saveexec_b64 s[6:7], s[4:5]
	s_cbranch_execz .LBB103_19
; %bb.18:
	buffer_load_dword v8, v7, s[0:3], 0 offen offset:4
	buffer_load_dword v9, v7, s[0:3], 0 offen
	ds_read_b64 v[2:3], v1
	v_mov_b32_e32 v4, 0
	ds_read_b64 v[4:5], v4 offset:8
	s_waitcnt vmcnt(1) lgkmcnt(1)
	v_mul_f32_e32 v10, v3, v8
	v_mul_f32_e32 v8, v2, v8
	s_waitcnt vmcnt(0)
	v_fmac_f32_e32 v8, v3, v9
	v_fma_f32 v2, v2, v9, -v10
	v_add_f32_e32 v3, 0, v8
	v_add_f32_e32 v2, 0, v2
	s_waitcnt lgkmcnt(0)
	v_mul_f32_e32 v8, v3, v5
	v_mul_f32_e32 v5, v2, v5
	v_fma_f32 v2, v2, v4, -v8
	v_fmac_f32_e32 v5, v3, v4
	buffer_store_dword v2, off, s[0:3], 0 offset:8
	buffer_store_dword v5, off, s[0:3], 0 offset:12
.LBB103_19:
	s_or_b64 exec, exec, s[6:7]
	s_waitcnt lgkmcnt(0)
	; wave barrier
	buffer_load_dword v2, off, s[0:3], 0 offset:16
	buffer_load_dword v3, off, s[0:3], 0 offset:20
	v_cmp_gt_u32_e32 vcc, 2, v0
	s_waitcnt vmcnt(0)
	ds_write_b64 v1, v[2:3]
	s_waitcnt lgkmcnt(0)
	; wave barrier
	s_waitcnt lgkmcnt(0)
	s_and_saveexec_b64 s[6:7], vcc
	s_cbranch_execz .LBB103_23
; %bb.20:
	buffer_load_dword v4, v7, s[0:3], 0 offen offset:4
	buffer_load_dword v5, v7, s[0:3], 0 offen
	ds_read_b64 v[2:3], v1
	s_waitcnt vmcnt(1) lgkmcnt(0)
	v_mul_f32_e32 v7, v3, v4
	v_mul_f32_e32 v4, v2, v4
	s_waitcnt vmcnt(0)
	v_fma_f32 v2, v2, v5, -v7
	v_fmac_f32_e32 v4, v3, v5
	v_add_f32_e32 v3, 0, v2
	v_add_f32_e32 v2, 0, v4
	s_and_saveexec_b64 s[12:13], s[4:5]
	s_cbranch_execz .LBB103_22
; %bb.21:
	buffer_load_dword v7, off, s[0:3], 0 offset:12
	buffer_load_dword v8, off, s[0:3], 0 offset:8
	v_mov_b32_e32 v4, 0
	ds_read_b64 v[4:5], v4 offset:328
	s_waitcnt vmcnt(1) lgkmcnt(0)
	v_mul_f32_e32 v9, v4, v7
	v_mul_f32_e32 v7, v5, v7
	s_waitcnt vmcnt(0)
	v_fmac_f32_e32 v9, v5, v8
	v_fma_f32 v4, v4, v8, -v7
	v_add_f32_e32 v2, v2, v9
	v_add_f32_e32 v3, v3, v4
.LBB103_22:
	s_or_b64 exec, exec, s[12:13]
	v_mov_b32_e32 v4, 0
	ds_read_b64 v[4:5], v4 offset:16
	s_waitcnt lgkmcnt(0)
	v_mul_f32_e32 v7, v2, v5
	v_mul_f32_e32 v5, v3, v5
	v_fma_f32 v3, v3, v4, -v7
	v_fmac_f32_e32 v5, v2, v4
	buffer_store_dword v3, off, s[0:3], 0 offset:16
	buffer_store_dword v5, off, s[0:3], 0 offset:20
.LBB103_23:
	s_or_b64 exec, exec, s[6:7]
	s_waitcnt lgkmcnt(0)
	; wave barrier
	buffer_load_dword v2, off, s[0:3], 0 offset:24
	buffer_load_dword v3, off, s[0:3], 0 offset:28
	v_cmp_gt_u32_e32 vcc, 3, v0
	s_waitcnt vmcnt(0)
	ds_write_b64 v1, v[2:3]
	v_add_u32_e32 v2, -1, v0
	s_waitcnt lgkmcnt(0)
	; wave barrier
	s_waitcnt lgkmcnt(0)
	s_and_saveexec_b64 s[4:5], vcc
	s_cbranch_execz .LBB103_27
; %bb.24:
	v_add_u32_e32 v4, -1, v0
	v_add_u32_e32 v5, 0x140, v6
	v_add_u32_e32 v7, 0, v6
	s_mov_b64 s[6:7], 0
	v_mov_b32_e32 v3, 0
	v_mov_b32_e32 v8, 0
.LBB103_25:                             ; =>This Inner Loop Header: Depth=1
	buffer_load_dword v9, v7, s[0:3], 0 offen offset:4
	buffer_load_dword v12, v7, s[0:3], 0 offen
	ds_read_b64 v[10:11], v5
	v_add_u32_e32 v4, 1, v4
	v_cmp_lt_u32_e32 vcc, 1, v4
	v_add_u32_e32 v5, 8, v5
	v_add_u32_e32 v7, 8, v7
	s_or_b64 s[6:7], vcc, s[6:7]
	s_waitcnt vmcnt(1) lgkmcnt(0)
	v_mul_f32_e32 v13, v11, v9
	v_mul_f32_e32 v9, v10, v9
	s_waitcnt vmcnt(0)
	v_fma_f32 v10, v10, v12, -v13
	v_fmac_f32_e32 v9, v11, v12
	v_add_f32_e32 v8, v8, v10
	v_add_f32_e32 v3, v3, v9
	s_andn2_b64 exec, exec, s[6:7]
	s_cbranch_execnz .LBB103_25
; %bb.26:
	s_or_b64 exec, exec, s[6:7]
	v_mov_b32_e32 v4, 0
	ds_read_b64 v[4:5], v4 offset:24
	s_waitcnt lgkmcnt(0)
	v_mul_f32_e32 v7, v3, v5
	v_mul_f32_e32 v5, v8, v5
	v_fma_f32 v7, v8, v4, -v7
	v_fmac_f32_e32 v5, v3, v4
	buffer_store_dword v7, off, s[0:3], 0 offset:24
	buffer_store_dword v5, off, s[0:3], 0 offset:28
.LBB103_27:
	s_or_b64 exec, exec, s[4:5]
	s_waitcnt lgkmcnt(0)
	; wave barrier
	buffer_load_dword v4, off, s[0:3], 0 offset:32
	buffer_load_dword v5, off, s[0:3], 0 offset:36
	v_cmp_gt_u32_e32 vcc, 4, v0
	s_waitcnt vmcnt(0)
	ds_write_b64 v1, v[4:5]
	s_waitcnt lgkmcnt(0)
	; wave barrier
	s_waitcnt lgkmcnt(0)
	s_and_saveexec_b64 s[4:5], vcc
	s_cbranch_execz .LBB103_31
; %bb.28:
	v_add_u32_e32 v4, -1, v0
	v_add_u32_e32 v5, 0x140, v6
	v_add_u32_e32 v7, 0, v6
	s_mov_b64 s[6:7], 0
	v_mov_b32_e32 v3, 0
	v_mov_b32_e32 v8, 0
.LBB103_29:                             ; =>This Inner Loop Header: Depth=1
	buffer_load_dword v9, v7, s[0:3], 0 offen offset:4
	buffer_load_dword v12, v7, s[0:3], 0 offen
	ds_read_b64 v[10:11], v5
	v_add_u32_e32 v4, 1, v4
	v_cmp_lt_u32_e32 vcc, 2, v4
	v_add_u32_e32 v5, 8, v5
	v_add_u32_e32 v7, 8, v7
	s_or_b64 s[6:7], vcc, s[6:7]
	s_waitcnt vmcnt(1) lgkmcnt(0)
	v_mul_f32_e32 v13, v11, v9
	v_mul_f32_e32 v9, v10, v9
	s_waitcnt vmcnt(0)
	v_fma_f32 v10, v10, v12, -v13
	v_fmac_f32_e32 v9, v11, v12
	v_add_f32_e32 v8, v8, v10
	v_add_f32_e32 v3, v3, v9
	s_andn2_b64 exec, exec, s[6:7]
	s_cbranch_execnz .LBB103_29
; %bb.30:
	s_or_b64 exec, exec, s[6:7]
	v_mov_b32_e32 v4, 0
	ds_read_b64 v[4:5], v4 offset:32
	s_waitcnt lgkmcnt(0)
	v_mul_f32_e32 v7, v3, v5
	v_mul_f32_e32 v5, v8, v5
	v_fma_f32 v7, v8, v4, -v7
	v_fmac_f32_e32 v5, v3, v4
	buffer_store_dword v7, off, s[0:3], 0 offset:32
	buffer_store_dword v5, off, s[0:3], 0 offset:36
.LBB103_31:
	s_or_b64 exec, exec, s[4:5]
	s_waitcnt lgkmcnt(0)
	; wave barrier
	buffer_load_dword v4, off, s[0:3], 0 offset:40
	buffer_load_dword v5, off, s[0:3], 0 offset:44
	v_cmp_gt_u32_e32 vcc, 5, v0
	s_waitcnt vmcnt(0)
	ds_write_b64 v1, v[4:5]
	;; [unrolled: 51-line block ×19, first 2 shown]
	s_waitcnt lgkmcnt(0)
	; wave barrier
	s_waitcnt lgkmcnt(0)
	s_and_saveexec_b64 s[4:5], vcc
	s_cbranch_execz .LBB103_103
; %bb.100:
	v_add_u32_e32 v4, -1, v0
	v_add_u32_e32 v5, 0x140, v6
	v_add_u32_e32 v7, 0, v6
	s_mov_b64 s[6:7], 0
	v_mov_b32_e32 v3, 0
	v_mov_b32_e32 v8, 0
.LBB103_101:                            ; =>This Inner Loop Header: Depth=1
	buffer_load_dword v9, v7, s[0:3], 0 offen offset:4
	buffer_load_dword v12, v7, s[0:3], 0 offen
	ds_read_b64 v[10:11], v5
	v_add_u32_e32 v4, 1, v4
	v_cmp_lt_u32_e32 vcc, 20, v4
	v_add_u32_e32 v5, 8, v5
	v_add_u32_e32 v7, 8, v7
	s_or_b64 s[6:7], vcc, s[6:7]
	s_waitcnt vmcnt(1) lgkmcnt(0)
	v_mul_f32_e32 v13, v11, v9
	v_mul_f32_e32 v9, v10, v9
	s_waitcnt vmcnt(0)
	v_fma_f32 v10, v10, v12, -v13
	v_fmac_f32_e32 v9, v11, v12
	v_add_f32_e32 v8, v8, v10
	v_add_f32_e32 v3, v3, v9
	s_andn2_b64 exec, exec, s[6:7]
	s_cbranch_execnz .LBB103_101
; %bb.102:
	s_or_b64 exec, exec, s[6:7]
	v_mov_b32_e32 v4, 0
	ds_read_b64 v[4:5], v4 offset:176
	s_waitcnt lgkmcnt(0)
	v_mul_f32_e32 v7, v3, v5
	v_mul_f32_e32 v5, v8, v5
	v_fma_f32 v7, v8, v4, -v7
	v_fmac_f32_e32 v5, v3, v4
	buffer_store_dword v7, off, s[0:3], 0 offset:176
	buffer_store_dword v5, off, s[0:3], 0 offset:180
.LBB103_103:
	s_or_b64 exec, exec, s[4:5]
	s_waitcnt lgkmcnt(0)
	; wave barrier
	buffer_load_dword v4, off, s[0:3], 0 offset:184
	buffer_load_dword v5, off, s[0:3], 0 offset:188
	v_cmp_gt_u32_e32 vcc, 23, v0
	s_waitcnt vmcnt(0)
	ds_write_b64 v1, v[4:5]
	s_waitcnt lgkmcnt(0)
	; wave barrier
	s_waitcnt lgkmcnt(0)
	s_and_saveexec_b64 s[4:5], vcc
	s_cbranch_execz .LBB103_107
; %bb.104:
	v_add_u32_e32 v4, -1, v0
	v_add_u32_e32 v5, 0x140, v6
	v_add_u32_e32 v7, 0, v6
	s_mov_b64 s[6:7], 0
	v_mov_b32_e32 v3, 0
	v_mov_b32_e32 v8, 0
.LBB103_105:                            ; =>This Inner Loop Header: Depth=1
	buffer_load_dword v9, v7, s[0:3], 0 offen offset:4
	buffer_load_dword v12, v7, s[0:3], 0 offen
	ds_read_b64 v[10:11], v5
	v_add_u32_e32 v4, 1, v4
	v_cmp_lt_u32_e32 vcc, 21, v4
	v_add_u32_e32 v5, 8, v5
	v_add_u32_e32 v7, 8, v7
	s_or_b64 s[6:7], vcc, s[6:7]
	s_waitcnt vmcnt(1) lgkmcnt(0)
	v_mul_f32_e32 v13, v11, v9
	v_mul_f32_e32 v9, v10, v9
	s_waitcnt vmcnt(0)
	v_fma_f32 v10, v10, v12, -v13
	v_fmac_f32_e32 v9, v11, v12
	v_add_f32_e32 v8, v8, v10
	v_add_f32_e32 v3, v3, v9
	s_andn2_b64 exec, exec, s[6:7]
	s_cbranch_execnz .LBB103_105
; %bb.106:
	s_or_b64 exec, exec, s[6:7]
	v_mov_b32_e32 v4, 0
	ds_read_b64 v[4:5], v4 offset:184
	s_waitcnt lgkmcnt(0)
	v_mul_f32_e32 v7, v3, v5
	v_mul_f32_e32 v5, v8, v5
	v_fma_f32 v7, v8, v4, -v7
	v_fmac_f32_e32 v5, v3, v4
	buffer_store_dword v7, off, s[0:3], 0 offset:184
	buffer_store_dword v5, off, s[0:3], 0 offset:188
.LBB103_107:
	s_or_b64 exec, exec, s[4:5]
	s_waitcnt lgkmcnt(0)
	; wave barrier
	buffer_load_dword v4, off, s[0:3], 0 offset:192
	buffer_load_dword v5, off, s[0:3], 0 offset:196
	v_cmp_gt_u32_e32 vcc, 24, v0
	s_waitcnt vmcnt(0)
	ds_write_b64 v1, v[4:5]
	;; [unrolled: 51-line block ×16, first 2 shown]
	s_waitcnt lgkmcnt(0)
	; wave barrier
	s_waitcnt lgkmcnt(0)
	s_and_saveexec_b64 s[4:5], vcc
	s_cbranch_execz .LBB103_167
; %bb.164:
	v_add_u32_e32 v4, -1, v0
	v_add_u32_e32 v5, 0x140, v6
	v_add_u32_e32 v7, 0, v6
	s_mov_b64 s[6:7], 0
	v_mov_b32_e32 v3, 0
	v_mov_b32_e32 v8, 0
.LBB103_165:                            ; =>This Inner Loop Header: Depth=1
	buffer_load_dword v9, v7, s[0:3], 0 offen offset:4
	buffer_load_dword v12, v7, s[0:3], 0 offen
	ds_read_b64 v[10:11], v5
	v_add_u32_e32 v4, 1, v4
	v_cmp_lt_u32_e32 vcc, 36, v4
	v_add_u32_e32 v5, 8, v5
	v_add_u32_e32 v7, 8, v7
	s_or_b64 s[6:7], vcc, s[6:7]
	s_waitcnt vmcnt(1) lgkmcnt(0)
	v_mul_f32_e32 v13, v11, v9
	v_mul_f32_e32 v9, v10, v9
	s_waitcnt vmcnt(0)
	v_fma_f32 v10, v10, v12, -v13
	v_fmac_f32_e32 v9, v11, v12
	v_add_f32_e32 v8, v8, v10
	v_add_f32_e32 v3, v3, v9
	s_andn2_b64 exec, exec, s[6:7]
	s_cbranch_execnz .LBB103_165
; %bb.166:
	s_or_b64 exec, exec, s[6:7]
	v_mov_b32_e32 v4, 0
	ds_read_b64 v[4:5], v4 offset:304
	s_waitcnt lgkmcnt(0)
	v_mul_f32_e32 v7, v3, v5
	v_mul_f32_e32 v5, v8, v5
	v_fma_f32 v7, v8, v4, -v7
	v_fmac_f32_e32 v5, v3, v4
	buffer_store_dword v7, off, s[0:3], 0 offset:304
	buffer_store_dword v5, off, s[0:3], 0 offset:308
.LBB103_167:
	s_or_b64 exec, exec, s[4:5]
	s_waitcnt lgkmcnt(0)
	; wave barrier
	buffer_load_dword v4, off, s[0:3], 0 offset:312
	buffer_load_dword v5, off, s[0:3], 0 offset:316
	v_cmp_ne_u32_e32 vcc, 39, v0
	s_waitcnt vmcnt(0)
	ds_write_b64 v1, v[4:5]
	s_waitcnt lgkmcnt(0)
	; wave barrier
	s_waitcnt lgkmcnt(0)
	s_and_saveexec_b64 s[4:5], vcc
	s_cbranch_execz .LBB103_171
; %bb.168:
	v_add_u32_e32 v3, 0x140, v6
	v_add_u32_e32 v4, 0, v6
	s_mov_b64 s[6:7], 0
	v_mov_b32_e32 v1, 0
	v_mov_b32_e32 v5, 0
.LBB103_169:                            ; =>This Inner Loop Header: Depth=1
	buffer_load_dword v8, v4, s[0:3], 0 offen offset:4
	buffer_load_dword v9, v4, s[0:3], 0 offen
	ds_read_b64 v[6:7], v3
	v_add_u32_e32 v2, 1, v2
	v_cmp_lt_u32_e32 vcc, 37, v2
	v_add_u32_e32 v3, 8, v3
	v_add_u32_e32 v4, 8, v4
	s_or_b64 s[6:7], vcc, s[6:7]
	s_waitcnt vmcnt(1) lgkmcnt(0)
	v_mul_f32_e32 v10, v7, v8
	v_mul_f32_e32 v8, v6, v8
	s_waitcnt vmcnt(0)
	v_fma_f32 v6, v6, v9, -v10
	v_fmac_f32_e32 v8, v7, v9
	v_add_f32_e32 v5, v5, v6
	v_add_f32_e32 v1, v1, v8
	s_andn2_b64 exec, exec, s[6:7]
	s_cbranch_execnz .LBB103_169
; %bb.170:
	s_or_b64 exec, exec, s[6:7]
	v_mov_b32_e32 v2, 0
	ds_read_b64 v[2:3], v2 offset:312
	s_waitcnt lgkmcnt(0)
	v_mul_f32_e32 v4, v1, v3
	v_mul_f32_e32 v3, v5, v3
	v_fma_f32 v4, v5, v2, -v4
	v_fmac_f32_e32 v3, v1, v2
	buffer_store_dword v4, off, s[0:3], 0 offset:312
	buffer_store_dword v3, off, s[0:3], 0 offset:316
.LBB103_171:
	s_or_b64 exec, exec, s[4:5]
	s_mov_b64 s[6:7], -1
	s_waitcnt lgkmcnt(0)
	; wave barrier
.LBB103_172:
	s_and_b64 vcc, exec, s[6:7]
	s_cbranch_vccz .LBB103_174
; %bb.173:
	s_lshl_b64 s[4:5], s[8:9], 2
	s_add_u32 s4, s14, s4
	s_addc_u32 s5, s15, s5
	v_mov_b32_e32 v1, 0
	global_load_dword v1, v1, s[4:5]
	s_waitcnt vmcnt(0)
	v_cmp_ne_u32_e32 vcc, 0, v1
	s_cbranch_vccz .LBB103_175
.LBB103_174:
	s_endpgm
.LBB103_175:
	v_mov_b32_e32 v1, 0x140
	v_lshl_add_u32 v1, v0, 3, v1
	v_cmp_eq_u32_e32 vcc, 39, v0
	s_and_saveexec_b64 s[4:5], vcc
	s_cbranch_execz .LBB103_177
; %bb.176:
	buffer_load_dword v2, off, s[0:3], 0 offset:304
	buffer_load_dword v3, off, s[0:3], 0 offset:308
	v_mov_b32_e32 v4, 0
	buffer_store_dword v4, off, s[0:3], 0 offset:304
	buffer_store_dword v4, off, s[0:3], 0 offset:308
	s_waitcnt vmcnt(2)
	ds_write_b64 v1, v[2:3]
.LBB103_177:
	s_or_b64 exec, exec, s[4:5]
	s_waitcnt lgkmcnt(0)
	; wave barrier
	s_waitcnt lgkmcnt(0)
	buffer_load_dword v5, off, s[0:3], 0 offset:316
	buffer_load_dword v4, off, s[0:3], 0 offset:312
	;; [unrolled: 1-line block ×4, first 2 shown]
	v_mov_b32_e32 v2, 0
	ds_read_b64 v[8:9], v2 offset:632
	v_cmp_lt_u32_e32 vcc, 37, v0
	s_waitcnt vmcnt(3)
	v_mov_b32_e32 v10, v5
	s_waitcnt lgkmcnt(0)
	v_pk_mul_f32 v[10:11], v[8:9], v[10:11] op_sel_hi:[1,0]
	s_waitcnt vmcnt(2)
	v_pk_fma_f32 v[12:13], v[8:9], v[4:5], v[10:11] op_sel:[0,0,1] op_sel_hi:[1,1,0] neg_lo:[0,0,1] neg_hi:[0,0,1]
	v_pk_fma_f32 v[4:5], v[8:9], v[4:5], v[10:11] op_sel:[0,0,1] op_sel_hi:[1,0,0]
	v_mov_b32_e32 v13, v5
	v_pk_add_f32 v[4:5], v[12:13], 0 op_sel_hi:[1,0]
	s_waitcnt vmcnt(0)
	v_pk_add_f32 v[4:5], v[6:7], v[4:5] neg_lo:[0,1] neg_hi:[0,1]
	buffer_store_dword v4, off, s[0:3], 0 offset:304
	buffer_store_dword v5, off, s[0:3], 0 offset:308
	s_and_saveexec_b64 s[4:5], vcc
	s_cbranch_execz .LBB103_179
; %bb.178:
	buffer_load_dword v4, off, s[0:3], 0 offset:296
	buffer_load_dword v5, off, s[0:3], 0 offset:300
	s_waitcnt vmcnt(0)
	ds_write_b64 v1, v[4:5]
	buffer_store_dword v2, off, s[0:3], 0 offset:296
	buffer_store_dword v2, off, s[0:3], 0 offset:300
.LBB103_179:
	s_or_b64 exec, exec, s[4:5]
	s_waitcnt lgkmcnt(0)
	; wave barrier
	s_waitcnt lgkmcnt(0)
	buffer_load_dword v7, off, s[0:3], 0 offset:308
	buffer_load_dword v9, off, s[0:3], 0 offset:316
	;; [unrolled: 1-line block ×6, first 2 shown]
	ds_read_b128 v[2:5], v2 offset:624
	v_cmp_lt_u32_e32 vcc, 36, v0
	s_waitcnt vmcnt(5)
	v_mov_b32_e32 v12, v7
	s_waitcnt vmcnt(4)
	v_mov_b32_e32 v14, v9
	s_waitcnt lgkmcnt(0)
	v_pk_mul_f32 v[12:13], v[2:3], v[12:13] op_sel_hi:[1,0]
	v_pk_mul_f32 v[14:15], v[4:5], v[14:15] op_sel_hi:[1,0]
	s_waitcnt vmcnt(3)
	v_pk_fma_f32 v[16:17], v[2:3], v[6:7], v[12:13] op_sel:[0,0,1] op_sel_hi:[1,1,0] neg_lo:[0,0,1] neg_hi:[0,0,1]
	v_pk_fma_f32 v[2:3], v[2:3], v[6:7], v[12:13] op_sel:[0,0,1] op_sel_hi:[1,0,0]
	s_waitcnt vmcnt(2)
	v_pk_fma_f32 v[6:7], v[4:5], v[8:9], v[14:15] op_sel:[0,0,1] op_sel_hi:[1,1,0] neg_lo:[0,0,1] neg_hi:[0,0,1]
	v_pk_fma_f32 v[4:5], v[4:5], v[8:9], v[14:15] op_sel:[0,0,1] op_sel_hi:[1,0,0]
	v_mov_b32_e32 v17, v3
	v_mov_b32_e32 v7, v5
	v_pk_add_f32 v[2:3], v[16:17], 0 op_sel_hi:[1,0]
	v_pk_add_f32 v[2:3], v[2:3], v[6:7]
	s_waitcnt vmcnt(0)
	v_pk_add_f32 v[2:3], v[10:11], v[2:3] neg_lo:[0,1] neg_hi:[0,1]
	buffer_store_dword v2, off, s[0:3], 0 offset:296
	buffer_store_dword v3, off, s[0:3], 0 offset:300
	s_and_saveexec_b64 s[4:5], vcc
	s_cbranch_execz .LBB103_181
; %bb.180:
	buffer_load_dword v2, off, s[0:3], 0 offset:288
	buffer_load_dword v3, off, s[0:3], 0 offset:292
	v_mov_b32_e32 v4, 0
	buffer_store_dword v4, off, s[0:3], 0 offset:288
	buffer_store_dword v4, off, s[0:3], 0 offset:292
	s_waitcnt vmcnt(2)
	ds_write_b64 v1, v[2:3]
.LBB103_181:
	s_or_b64 exec, exec, s[4:5]
	s_waitcnt lgkmcnt(0)
	; wave barrier
	s_waitcnt lgkmcnt(0)
	buffer_load_dword v9, off, s[0:3], 0 offset:300
	buffer_load_dword v11, off, s[0:3], 0 offset:308
	;; [unrolled: 1-line block ×8, first 2 shown]
	v_mov_b32_e32 v2, 0
	ds_read2_b64 v[4:7], v2 offset0:77 offset1:78
	ds_read_b64 v[16:17], v2 offset:632
	v_cmp_lt_u32_e32 vcc, 35, v0
	s_waitcnt vmcnt(7)
	v_mov_b32_e32 v98, v9
	s_waitcnt vmcnt(6)
	v_mov_b32_e32 v100, v11
	s_waitcnt lgkmcnt(1)
	v_pk_mul_f32 v[98:99], v[4:5], v[98:99] op_sel_hi:[1,0]
	s_waitcnt vmcnt(5)
	v_mov_b32_e32 v102, v13
	v_pk_mul_f32 v[100:101], v[6:7], v[100:101] op_sel_hi:[1,0]
	s_waitcnt vmcnt(4)
	v_pk_fma_f32 v[104:105], v[4:5], v[8:9], v[98:99] op_sel:[0,0,1] op_sel_hi:[1,1,0] neg_lo:[0,0,1] neg_hi:[0,0,1]
	v_pk_fma_f32 v[4:5], v[4:5], v[8:9], v[98:99] op_sel:[0,0,1] op_sel_hi:[1,0,0]
	s_waitcnt lgkmcnt(0)
	v_pk_mul_f32 v[102:103], v[16:17], v[102:103] op_sel_hi:[1,0]
	s_waitcnt vmcnt(3)
	v_pk_fma_f32 v[8:9], v[6:7], v[10:11], v[100:101] op_sel:[0,0,1] op_sel_hi:[1,1,0] neg_lo:[0,0,1] neg_hi:[0,0,1]
	v_pk_fma_f32 v[6:7], v[6:7], v[10:11], v[100:101] op_sel:[0,0,1] op_sel_hi:[1,0,0]
	v_mov_b32_e32 v105, v5
	s_waitcnt vmcnt(2)
	v_pk_fma_f32 v[10:11], v[16:17], v[12:13], v[102:103] op_sel:[0,0,1] op_sel_hi:[1,1,0] neg_lo:[0,0,1] neg_hi:[0,0,1]
	v_pk_fma_f32 v[12:13], v[16:17], v[12:13], v[102:103] op_sel:[0,0,1] op_sel_hi:[1,0,0]
	v_mov_b32_e32 v9, v7
	v_pk_add_f32 v[4:5], v[104:105], 0 op_sel_hi:[1,0]
	v_mov_b32_e32 v11, v13
	v_pk_add_f32 v[4:5], v[4:5], v[8:9]
	v_pk_add_f32 v[4:5], v[4:5], v[10:11]
	s_waitcnt vmcnt(0)
	v_pk_add_f32 v[4:5], v[14:15], v[4:5] neg_lo:[0,1] neg_hi:[0,1]
	buffer_store_dword v4, off, s[0:3], 0 offset:288
	buffer_store_dword v5, off, s[0:3], 0 offset:292
	s_and_saveexec_b64 s[4:5], vcc
	s_cbranch_execz .LBB103_183
; %bb.182:
	buffer_load_dword v4, off, s[0:3], 0 offset:280
	buffer_load_dword v5, off, s[0:3], 0 offset:284
	s_waitcnt vmcnt(0)
	ds_write_b64 v1, v[4:5]
	buffer_store_dword v2, off, s[0:3], 0 offset:280
	buffer_store_dword v2, off, s[0:3], 0 offset:284
.LBB103_183:
	s_or_b64 exec, exec, s[4:5]
	s_waitcnt lgkmcnt(0)
	; wave barrier
	s_waitcnt lgkmcnt(0)
	buffer_load_dword v13, off, s[0:3], 0 offset:292
	buffer_load_dword v15, off, s[0:3], 0 offset:300
	;; [unrolled: 1-line block ×10, first 2 shown]
	ds_read_b128 v[4:7], v2 offset:608
	ds_read_b128 v[8:11], v2 offset:624
	v_cmp_lt_u32_e32 vcc, 34, v0
	s_waitcnt vmcnt(9)
	v_mov_b32_e32 v2, v13
	s_waitcnt vmcnt(8)
	v_mov_b32_e32 v102, v15
	s_waitcnt lgkmcnt(1)
	v_pk_mul_f32 v[2:3], v[4:5], v[2:3] op_sel_hi:[1,0]
	s_waitcnt vmcnt(7)
	v_mov_b32_e32 v104, v17
	v_pk_mul_f32 v[102:103], v[6:7], v[102:103] op_sel_hi:[1,0]
	s_waitcnt vmcnt(5)
	v_pk_fma_f32 v[108:109], v[4:5], v[12:13], v[2:3] op_sel:[0,0,1] op_sel_hi:[1,1,0] neg_lo:[0,0,1] neg_hi:[0,0,1]
	v_pk_fma_f32 v[2:3], v[4:5], v[12:13], v[2:3] op_sel:[0,0,1] op_sel_hi:[1,0,0]
	v_mov_b32_e32 v106, v99
	s_waitcnt lgkmcnt(0)
	v_pk_mul_f32 v[104:105], v[8:9], v[104:105] op_sel_hi:[1,0]
	s_waitcnt vmcnt(4)
	v_pk_fma_f32 v[4:5], v[6:7], v[14:15], v[102:103] op_sel:[0,0,1] op_sel_hi:[1,1,0] neg_lo:[0,0,1] neg_hi:[0,0,1]
	v_pk_fma_f32 v[6:7], v[6:7], v[14:15], v[102:103] op_sel:[0,0,1] op_sel_hi:[1,0,0]
	v_mov_b32_e32 v109, v3
	v_pk_mul_f32 v[106:107], v[10:11], v[106:107] op_sel_hi:[1,0]
	s_waitcnt vmcnt(3)
	v_pk_fma_f32 v[12:13], v[8:9], v[16:17], v[104:105] op_sel:[0,0,1] op_sel_hi:[1,1,0] neg_lo:[0,0,1] neg_hi:[0,0,1]
	v_pk_fma_f32 v[8:9], v[8:9], v[16:17], v[104:105] op_sel:[0,0,1] op_sel_hi:[1,0,0]
	v_mov_b32_e32 v5, v7
	v_pk_add_f32 v[2:3], v[108:109], 0 op_sel_hi:[1,0]
	s_waitcnt vmcnt(2)
	v_pk_fma_f32 v[14:15], v[10:11], v[98:99], v[106:107] op_sel:[0,0,1] op_sel_hi:[1,1,0] neg_lo:[0,0,1] neg_hi:[0,0,1]
	v_pk_fma_f32 v[10:11], v[10:11], v[98:99], v[106:107] op_sel:[0,0,1] op_sel_hi:[1,0,0]
	v_mov_b32_e32 v13, v9
	v_pk_add_f32 v[2:3], v[2:3], v[4:5]
	v_mov_b32_e32 v15, v11
	v_pk_add_f32 v[2:3], v[2:3], v[12:13]
	v_pk_add_f32 v[2:3], v[2:3], v[14:15]
	s_waitcnt vmcnt(0)
	v_pk_add_f32 v[2:3], v[100:101], v[2:3] neg_lo:[0,1] neg_hi:[0,1]
	buffer_store_dword v2, off, s[0:3], 0 offset:280
	buffer_store_dword v3, off, s[0:3], 0 offset:284
	s_and_saveexec_b64 s[4:5], vcc
	s_cbranch_execz .LBB103_185
; %bb.184:
	buffer_load_dword v2, off, s[0:3], 0 offset:272
	buffer_load_dword v3, off, s[0:3], 0 offset:276
	v_mov_b32_e32 v4, 0
	buffer_store_dword v4, off, s[0:3], 0 offset:272
	buffer_store_dword v4, off, s[0:3], 0 offset:276
	s_waitcnt vmcnt(2)
	ds_write_b64 v1, v[2:3]
.LBB103_185:
	s_or_b64 exec, exec, s[4:5]
	s_waitcnt lgkmcnt(0)
	; wave barrier
	s_waitcnt lgkmcnt(0)
	buffer_load_dword v13, off, s[0:3], 0 offset:284
	buffer_load_dword v15, off, s[0:3], 0 offset:292
	;; [unrolled: 1-line block ×12, first 2 shown]
	v_mov_b32_e32 v2, 0
	ds_read2_b64 v[4:7], v2 offset0:75 offset1:76
	ds_read2_b64 v[8:11], v2 offset0:77 offset1:78
	ds_read_b64 v[104:105], v2 offset:632
	v_cmp_lt_u32_e32 vcc, 33, v0
	s_waitcnt vmcnt(11)
	v_mov_b32_e32 v106, v13
	s_waitcnt vmcnt(10)
	v_mov_b32_e32 v108, v15
	s_waitcnt lgkmcnt(2)
	v_pk_mul_f32 v[106:107], v[4:5], v[106:107] op_sel_hi:[1,0]
	s_waitcnt vmcnt(9)
	v_mov_b32_e32 v110, v17
	v_pk_mul_f32 v[108:109], v[6:7], v[108:109] op_sel_hi:[1,0]
	s_waitcnt vmcnt(6)
	v_pk_fma_f32 v[116:117], v[4:5], v[12:13], v[106:107] op_sel:[0,0,1] op_sel_hi:[1,1,0] neg_lo:[0,0,1] neg_hi:[0,0,1]
	v_pk_fma_f32 v[4:5], v[4:5], v[12:13], v[106:107] op_sel:[0,0,1] op_sel_hi:[1,0,0]
	v_mov_b32_e32 v112, v99
	s_waitcnt lgkmcnt(1)
	v_pk_mul_f32 v[110:111], v[8:9], v[110:111] op_sel_hi:[1,0]
	s_waitcnt vmcnt(5)
	v_pk_fma_f32 v[12:13], v[6:7], v[14:15], v[108:109] op_sel:[0,0,1] op_sel_hi:[1,1,0] neg_lo:[0,0,1] neg_hi:[0,0,1]
	v_pk_fma_f32 v[6:7], v[6:7], v[14:15], v[108:109] op_sel:[0,0,1] op_sel_hi:[1,0,0]
	v_mov_b32_e32 v117, v5
	v_mov_b32_e32 v114, v101
	v_pk_mul_f32 v[112:113], v[10:11], v[112:113] op_sel_hi:[1,0]
	s_waitcnt vmcnt(4)
	v_pk_fma_f32 v[14:15], v[8:9], v[16:17], v[110:111] op_sel:[0,0,1] op_sel_hi:[1,1,0] neg_lo:[0,0,1] neg_hi:[0,0,1]
	v_pk_fma_f32 v[8:9], v[8:9], v[16:17], v[110:111] op_sel:[0,0,1] op_sel_hi:[1,0,0]
	v_mov_b32_e32 v13, v7
	v_pk_add_f32 v[4:5], v[116:117], 0 op_sel_hi:[1,0]
	s_waitcnt lgkmcnt(0)
	v_pk_mul_f32 v[114:115], v[104:105], v[114:115] op_sel_hi:[1,0]
	s_waitcnt vmcnt(3)
	v_pk_fma_f32 v[16:17], v[10:11], v[98:99], v[112:113] op_sel:[0,0,1] op_sel_hi:[1,1,0] neg_lo:[0,0,1] neg_hi:[0,0,1]
	v_pk_fma_f32 v[10:11], v[10:11], v[98:99], v[112:113] op_sel:[0,0,1] op_sel_hi:[1,0,0]
	v_mov_b32_e32 v15, v9
	v_pk_add_f32 v[4:5], v[4:5], v[12:13]
	s_waitcnt vmcnt(2)
	v_pk_fma_f32 v[98:99], v[104:105], v[100:101], v[114:115] op_sel:[0,0,1] op_sel_hi:[1,1,0] neg_lo:[0,0,1] neg_hi:[0,0,1]
	v_pk_fma_f32 v[100:101], v[104:105], v[100:101], v[114:115] op_sel:[0,0,1] op_sel_hi:[1,0,0]
	v_mov_b32_e32 v17, v11
	v_pk_add_f32 v[4:5], v[4:5], v[14:15]
	v_mov_b32_e32 v99, v101
	v_pk_add_f32 v[4:5], v[4:5], v[16:17]
	v_pk_add_f32 v[4:5], v[4:5], v[98:99]
	s_waitcnt vmcnt(0)
	v_pk_add_f32 v[4:5], v[102:103], v[4:5] neg_lo:[0,1] neg_hi:[0,1]
	buffer_store_dword v4, off, s[0:3], 0 offset:272
	buffer_store_dword v5, off, s[0:3], 0 offset:276
	s_and_saveexec_b64 s[4:5], vcc
	s_cbranch_execz .LBB103_187
; %bb.186:
	buffer_load_dword v4, off, s[0:3], 0 offset:264
	buffer_load_dword v5, off, s[0:3], 0 offset:268
	s_waitcnt vmcnt(0)
	ds_write_b64 v1, v[4:5]
	buffer_store_dword v2, off, s[0:3], 0 offset:264
	buffer_store_dword v2, off, s[0:3], 0 offset:268
.LBB103_187:
	s_or_b64 exec, exec, s[4:5]
	s_waitcnt lgkmcnt(0)
	; wave barrier
	s_waitcnt lgkmcnt(0)
	buffer_load_dword v17, off, s[0:3], 0 offset:276
	buffer_load_dword v99, off, s[0:3], 0 offset:284
	;; [unrolled: 1-line block ×14, first 2 shown]
	ds_read_b128 v[4:7], v2 offset:592
	ds_read_b128 v[8:11], v2 offset:608
	;; [unrolled: 1-line block ×3, first 2 shown]
	v_cmp_lt_u32_e32 vcc, 32, v0
	s_waitcnt vmcnt(13)
	v_mov_b32_e32 v2, v17
	s_waitcnt vmcnt(12)
	v_mov_b32_e32 v110, v99
	s_waitcnt lgkmcnt(2)
	v_pk_mul_f32 v[2:3], v[4:5], v[2:3] op_sel_hi:[1,0]
	s_waitcnt vmcnt(11)
	v_mov_b32_e32 v112, v101
	v_pk_mul_f32 v[110:111], v[6:7], v[110:111] op_sel_hi:[1,0]
	s_waitcnt vmcnt(10)
	v_mov_b32_e32 v114, v103
	s_waitcnt vmcnt(7)
	v_pk_fma_f32 v[120:121], v[4:5], v[16:17], v[2:3] op_sel:[0,0,1] op_sel_hi:[1,1,0] neg_lo:[0,0,1] neg_hi:[0,0,1]
	v_pk_fma_f32 v[2:3], v[4:5], v[16:17], v[2:3] op_sel:[0,0,1] op_sel_hi:[1,0,0]
	s_waitcnt lgkmcnt(1)
	v_pk_mul_f32 v[112:113], v[8:9], v[112:113] op_sel_hi:[1,0]
	s_waitcnt vmcnt(6)
	v_pk_fma_f32 v[4:5], v[6:7], v[98:99], v[110:111] op_sel:[0,0,1] op_sel_hi:[1,1,0] neg_lo:[0,0,1] neg_hi:[0,0,1]
	v_pk_fma_f32 v[6:7], v[6:7], v[98:99], v[110:111] op_sel:[0,0,1] op_sel_hi:[1,0,0]
	v_mov_b32_e32 v121, v3
	v_mov_b32_e32 v116, v105
	v_pk_mul_f32 v[114:115], v[10:11], v[114:115] op_sel_hi:[1,0]
	s_waitcnt vmcnt(5)
	v_pk_fma_f32 v[16:17], v[8:9], v[100:101], v[112:113] op_sel:[0,0,1] op_sel_hi:[1,1,0] neg_lo:[0,0,1] neg_hi:[0,0,1]
	v_pk_fma_f32 v[8:9], v[8:9], v[100:101], v[112:113] op_sel:[0,0,1] op_sel_hi:[1,0,0]
	v_mov_b32_e32 v5, v7
	v_pk_add_f32 v[2:3], v[120:121], 0 op_sel_hi:[1,0]
	v_mov_b32_e32 v118, v107
	s_waitcnt lgkmcnt(0)
	v_pk_mul_f32 v[116:117], v[12:13], v[116:117] op_sel_hi:[1,0]
	s_waitcnt vmcnt(4)
	v_pk_fma_f32 v[98:99], v[10:11], v[102:103], v[114:115] op_sel:[0,0,1] op_sel_hi:[1,1,0] neg_lo:[0,0,1] neg_hi:[0,0,1]
	v_pk_fma_f32 v[10:11], v[10:11], v[102:103], v[114:115] op_sel:[0,0,1] op_sel_hi:[1,0,0]
	v_mov_b32_e32 v17, v9
	v_pk_add_f32 v[2:3], v[2:3], v[4:5]
	v_pk_mul_f32 v[118:119], v[14:15], v[118:119] op_sel_hi:[1,0]
	s_waitcnt vmcnt(3)
	v_pk_fma_f32 v[100:101], v[12:13], v[104:105], v[116:117] op_sel:[0,0,1] op_sel_hi:[1,1,0] neg_lo:[0,0,1] neg_hi:[0,0,1]
	v_pk_fma_f32 v[12:13], v[12:13], v[104:105], v[116:117] op_sel:[0,0,1] op_sel_hi:[1,0,0]
	v_mov_b32_e32 v99, v11
	v_pk_add_f32 v[2:3], v[2:3], v[16:17]
	s_waitcnt vmcnt(2)
	v_pk_fma_f32 v[102:103], v[14:15], v[106:107], v[118:119] op_sel:[0,0,1] op_sel_hi:[1,1,0] neg_lo:[0,0,1] neg_hi:[0,0,1]
	v_pk_fma_f32 v[14:15], v[14:15], v[106:107], v[118:119] op_sel:[0,0,1] op_sel_hi:[1,0,0]
	v_mov_b32_e32 v101, v13
	v_pk_add_f32 v[2:3], v[2:3], v[98:99]
	v_mov_b32_e32 v103, v15
	v_pk_add_f32 v[2:3], v[2:3], v[100:101]
	v_pk_add_f32 v[2:3], v[2:3], v[102:103]
	s_waitcnt vmcnt(0)
	v_pk_add_f32 v[2:3], v[108:109], v[2:3] neg_lo:[0,1] neg_hi:[0,1]
	buffer_store_dword v2, off, s[0:3], 0 offset:264
	buffer_store_dword v3, off, s[0:3], 0 offset:268
	s_and_saveexec_b64 s[4:5], vcc
	s_cbranch_execz .LBB103_189
; %bb.188:
	buffer_load_dword v2, off, s[0:3], 0 offset:256
	buffer_load_dword v3, off, s[0:3], 0 offset:260
	v_mov_b32_e32 v4, 0
	buffer_store_dword v4, off, s[0:3], 0 offset:256
	buffer_store_dword v4, off, s[0:3], 0 offset:260
	s_waitcnt vmcnt(2)
	ds_write_b64 v1, v[2:3]
.LBB103_189:
	s_or_b64 exec, exec, s[4:5]
	s_waitcnt lgkmcnt(0)
	; wave barrier
	s_waitcnt lgkmcnt(0)
	buffer_load_dword v16, off, s[0:3], 0 offset:256
	buffer_load_dword v17, off, s[0:3], 0 offset:260
	;; [unrolled: 1-line block ×16, first 2 shown]
	v_mov_b32_e32 v2, 0
	ds_read2_b64 v[4:7], v2 offset0:73 offset1:74
	ds_read2_b64 v[8:11], v2 offset0:75 offset1:76
	ds_read2_b64 v[12:15], v2 offset0:77 offset1:78
	ds_read_b64 v[112:113], v2 offset:632
	v_cmp_lt_u32_e32 vcc, 31, v0
	s_waitcnt vmcnt(12)
	v_mov_b32_e32 v114, v99
	s_waitcnt lgkmcnt(3)
	v_pk_mul_f32 v[114:115], v[4:5], v[114:115] op_sel_hi:[1,0]
	v_pk_fma_f32 v[116:117], v[4:5], v[98:99], v[114:115] op_sel:[0,0,1] op_sel_hi:[1,1,0] neg_lo:[0,0,1] neg_hi:[0,0,1]
	v_pk_fma_f32 v[4:5], v[4:5], v[98:99], v[114:115] op_sel:[0,0,1] op_sel_hi:[1,0,0]
	s_waitcnt vmcnt(10)
	v_mov_b32_e32 v98, v101
	v_pk_mul_f32 v[98:99], v[6:7], v[98:99] op_sel_hi:[1,0]
	v_pk_fma_f32 v[114:115], v[6:7], v[100:101], v[98:99] op_sel:[0,0,1] op_sel_hi:[1,1,0] neg_lo:[0,0,1] neg_hi:[0,0,1]
	v_pk_fma_f32 v[6:7], v[6:7], v[100:101], v[98:99] op_sel:[0,0,1] op_sel_hi:[1,0,0]
	s_waitcnt vmcnt(8)
	v_mov_b32_e32 v6, v103
	v_mov_b32_e32 v115, v7
	s_waitcnt lgkmcnt(2)
	v_pk_mul_f32 v[6:7], v[8:9], v[6:7] op_sel_hi:[1,0]
	v_pk_fma_f32 v[98:99], v[8:9], v[102:103], v[6:7] op_sel:[0,0,1] op_sel_hi:[1,1,0] neg_lo:[0,0,1] neg_hi:[0,0,1]
	v_pk_fma_f32 v[6:7], v[8:9], v[102:103], v[6:7] op_sel:[0,0,1] op_sel_hi:[1,0,0]
	s_waitcnt vmcnt(6)
	v_mov_b32_e32 v6, v105
	v_mov_b32_e32 v117, v5
	;; [unrolled: 1-line block ×3, first 2 shown]
	v_pk_mul_f32 v[6:7], v[10:11], v[6:7] op_sel_hi:[1,0]
	v_pk_add_f32 v[4:5], v[116:117], 0 op_sel_hi:[1,0]
	v_pk_fma_f32 v[8:9], v[10:11], v[104:105], v[6:7] op_sel:[0,0,1] op_sel_hi:[1,1,0] neg_lo:[0,0,1] neg_hi:[0,0,1]
	v_pk_fma_f32 v[6:7], v[10:11], v[104:105], v[6:7] op_sel:[0,0,1] op_sel_hi:[1,0,0]
	v_pk_add_f32 v[4:5], v[4:5], v[114:115]
	s_waitcnt vmcnt(4)
	v_mov_b32_e32 v6, v107
	v_pk_add_f32 v[4:5], v[4:5], v[98:99]
	v_mov_b32_e32 v9, v7
	s_waitcnt lgkmcnt(1)
	v_pk_mul_f32 v[6:7], v[12:13], v[6:7] op_sel_hi:[1,0]
	v_pk_add_f32 v[4:5], v[4:5], v[8:9]
	v_pk_fma_f32 v[8:9], v[12:13], v[106:107], v[6:7] op_sel:[0,0,1] op_sel_hi:[1,1,0] neg_lo:[0,0,1] neg_hi:[0,0,1]
	v_pk_fma_f32 v[6:7], v[12:13], v[106:107], v[6:7] op_sel:[0,0,1] op_sel_hi:[1,0,0]
	s_waitcnt vmcnt(2)
	v_mov_b32_e32 v6, v109
	v_mov_b32_e32 v9, v7
	v_pk_mul_f32 v[6:7], v[14:15], v[6:7] op_sel_hi:[1,0]
	v_pk_add_f32 v[4:5], v[4:5], v[8:9]
	v_pk_fma_f32 v[8:9], v[14:15], v[108:109], v[6:7] op_sel:[0,0,1] op_sel_hi:[1,1,0] neg_lo:[0,0,1] neg_hi:[0,0,1]
	v_pk_fma_f32 v[6:7], v[14:15], v[108:109], v[6:7] op_sel:[0,0,1] op_sel_hi:[1,0,0]
	s_waitcnt vmcnt(0)
	v_mov_b32_e32 v6, v111
	v_mov_b32_e32 v9, v7
	s_waitcnt lgkmcnt(0)
	v_pk_mul_f32 v[6:7], v[112:113], v[6:7] op_sel_hi:[1,0]
	v_pk_add_f32 v[4:5], v[4:5], v[8:9]
	v_pk_fma_f32 v[8:9], v[112:113], v[110:111], v[6:7] op_sel:[0,0,1] op_sel_hi:[1,1,0] neg_lo:[0,0,1] neg_hi:[0,0,1]
	v_pk_fma_f32 v[6:7], v[112:113], v[110:111], v[6:7] op_sel:[0,0,1] op_sel_hi:[1,0,0]
	v_mov_b32_e32 v9, v7
	v_pk_add_f32 v[4:5], v[4:5], v[8:9]
	v_pk_add_f32 v[4:5], v[16:17], v[4:5] neg_lo:[0,1] neg_hi:[0,1]
	buffer_store_dword v4, off, s[0:3], 0 offset:256
	buffer_store_dword v5, off, s[0:3], 0 offset:260
	s_and_saveexec_b64 s[4:5], vcc
	s_cbranch_execz .LBB103_191
; %bb.190:
	buffer_load_dword v4, off, s[0:3], 0 offset:248
	buffer_load_dword v5, off, s[0:3], 0 offset:252
	s_waitcnt vmcnt(0)
	ds_write_b64 v1, v[4:5]
	buffer_store_dword v2, off, s[0:3], 0 offset:248
	buffer_store_dword v2, off, s[0:3], 0 offset:252
.LBB103_191:
	s_or_b64 exec, exec, s[4:5]
	s_waitcnt lgkmcnt(0)
	; wave barrier
	s_waitcnt lgkmcnt(0)
	buffer_load_dword v16, off, s[0:3], 0 offset:248
	buffer_load_dword v17, off, s[0:3], 0 offset:252
	;; [unrolled: 1-line block ×16, first 2 shown]
	ds_read_b128 v[4:7], v2 offset:576
	ds_read_b128 v[8:11], v2 offset:592
	;; [unrolled: 1-line block ×4, first 2 shown]
	buffer_load_dword v3, off, s[0:3], 0 offset:316
	buffer_load_dword v2, off, s[0:3], 0 offset:312
	v_cmp_lt_u32_e32 vcc, 30, v0
	s_waitcnt vmcnt(14)
	v_mov_b32_e32 v116, v103
	s_waitcnt lgkmcnt(3)
	v_pk_mul_f32 v[116:117], v[4:5], v[116:117] op_sel_hi:[1,0]
	v_pk_fma_f32 v[118:119], v[4:5], v[102:103], v[116:117] op_sel:[0,0,1] op_sel_hi:[1,1,0] neg_lo:[0,0,1] neg_hi:[0,0,1]
	v_pk_fma_f32 v[4:5], v[4:5], v[102:103], v[116:117] op_sel:[0,0,1] op_sel_hi:[1,0,0]
	s_waitcnt vmcnt(12)
	v_mov_b32_e32 v102, v105
	v_pk_mul_f32 v[102:103], v[6:7], v[102:103] op_sel_hi:[1,0]
	v_pk_fma_f32 v[116:117], v[6:7], v[104:105], v[102:103] op_sel:[0,0,1] op_sel_hi:[1,1,0] neg_lo:[0,0,1] neg_hi:[0,0,1]
	v_pk_fma_f32 v[6:7], v[6:7], v[104:105], v[102:103] op_sel:[0,0,1] op_sel_hi:[1,0,0]
	s_waitcnt vmcnt(10)
	v_mov_b32_e32 v6, v107
	v_mov_b32_e32 v117, v7
	s_waitcnt lgkmcnt(2)
	v_pk_mul_f32 v[6:7], v[8:9], v[6:7] op_sel_hi:[1,0]
	v_pk_fma_f32 v[102:103], v[8:9], v[106:107], v[6:7] op_sel:[0,0,1] op_sel_hi:[1,1,0] neg_lo:[0,0,1] neg_hi:[0,0,1]
	v_pk_fma_f32 v[6:7], v[8:9], v[106:107], v[6:7] op_sel:[0,0,1] op_sel_hi:[1,0,0]
	s_waitcnt vmcnt(8)
	v_mov_b32_e32 v6, v109
	v_mov_b32_e32 v119, v5
	;; [unrolled: 1-line block ×3, first 2 shown]
	v_pk_mul_f32 v[6:7], v[10:11], v[6:7] op_sel_hi:[1,0]
	v_pk_add_f32 v[4:5], v[118:119], 0 op_sel_hi:[1,0]
	v_pk_fma_f32 v[8:9], v[10:11], v[108:109], v[6:7] op_sel:[0,0,1] op_sel_hi:[1,1,0] neg_lo:[0,0,1] neg_hi:[0,0,1]
	v_pk_fma_f32 v[6:7], v[10:11], v[108:109], v[6:7] op_sel:[0,0,1] op_sel_hi:[1,0,0]
	v_pk_add_f32 v[4:5], v[4:5], v[116:117]
	s_waitcnt vmcnt(6)
	v_mov_b32_e32 v6, v111
	v_pk_add_f32 v[4:5], v[4:5], v[102:103]
	v_mov_b32_e32 v9, v7
	s_waitcnt lgkmcnt(1)
	v_pk_mul_f32 v[6:7], v[12:13], v[6:7] op_sel_hi:[1,0]
	v_pk_add_f32 v[4:5], v[4:5], v[8:9]
	v_pk_fma_f32 v[8:9], v[12:13], v[110:111], v[6:7] op_sel:[0,0,1] op_sel_hi:[1,1,0] neg_lo:[0,0,1] neg_hi:[0,0,1]
	v_pk_fma_f32 v[6:7], v[12:13], v[110:111], v[6:7] op_sel:[0,0,1] op_sel_hi:[1,0,0]
	s_waitcnt vmcnt(4)
	v_mov_b32_e32 v6, v113
	v_mov_b32_e32 v9, v7
	v_pk_mul_f32 v[6:7], v[14:15], v[6:7] op_sel_hi:[1,0]
	v_pk_add_f32 v[4:5], v[4:5], v[8:9]
	v_pk_fma_f32 v[8:9], v[14:15], v[112:113], v[6:7] op_sel:[0,0,1] op_sel_hi:[1,1,0] neg_lo:[0,0,1] neg_hi:[0,0,1]
	v_pk_fma_f32 v[6:7], v[14:15], v[112:113], v[6:7] op_sel:[0,0,1] op_sel_hi:[1,0,0]
	s_waitcnt vmcnt(2)
	v_mov_b32_e32 v6, v115
	v_mov_b32_e32 v9, v7
	s_waitcnt lgkmcnt(0)
	v_pk_mul_f32 v[6:7], v[98:99], v[6:7] op_sel_hi:[1,0]
	v_pk_add_f32 v[4:5], v[4:5], v[8:9]
	v_pk_fma_f32 v[8:9], v[98:99], v[114:115], v[6:7] op_sel:[0,0,1] op_sel_hi:[1,1,0] neg_lo:[0,0,1] neg_hi:[0,0,1]
	v_pk_fma_f32 v[6:7], v[98:99], v[114:115], v[6:7] op_sel:[0,0,1] op_sel_hi:[1,0,0]
	s_waitcnt vmcnt(1)
	v_mov_b32_e32 v6, v3
	v_mov_b32_e32 v9, v7
	v_pk_mul_f32 v[6:7], v[100:101], v[6:7] op_sel_hi:[1,0]
	v_pk_add_f32 v[4:5], v[4:5], v[8:9]
	s_waitcnt vmcnt(0)
	v_pk_fma_f32 v[8:9], v[100:101], v[2:3], v[6:7] op_sel:[0,0,1] op_sel_hi:[1,1,0] neg_lo:[0,0,1] neg_hi:[0,0,1]
	v_pk_fma_f32 v[2:3], v[100:101], v[2:3], v[6:7] op_sel:[0,0,1] op_sel_hi:[1,0,0]
	v_mov_b32_e32 v9, v3
	v_pk_add_f32 v[2:3], v[4:5], v[8:9]
	v_pk_add_f32 v[2:3], v[16:17], v[2:3] neg_lo:[0,1] neg_hi:[0,1]
	buffer_store_dword v2, off, s[0:3], 0 offset:248
	buffer_store_dword v3, off, s[0:3], 0 offset:252
	s_and_saveexec_b64 s[4:5], vcc
	s_cbranch_execz .LBB103_193
; %bb.192:
	buffer_load_dword v2, off, s[0:3], 0 offset:240
	buffer_load_dword v3, off, s[0:3], 0 offset:244
	v_mov_b32_e32 v4, 0
	buffer_store_dword v4, off, s[0:3], 0 offset:240
	buffer_store_dword v4, off, s[0:3], 0 offset:244
	s_waitcnt vmcnt(2)
	ds_write_b64 v1, v[2:3]
.LBB103_193:
	s_or_b64 exec, exec, s[4:5]
	v_mov_b32_e32 v4, 0
	s_waitcnt lgkmcnt(0)
	; wave barrier
	s_waitcnt lgkmcnt(0)
	ds_read2_b64 v[6:9], v4 offset0:71 offset1:72
	buffer_load_dword v2, off, s[0:3], 0 offset:240
	buffer_load_dword v3, off, s[0:3], 0 offset:244
	buffer_load_dword v5, off, s[0:3], 0 offset:248
	buffer_load_dword v10, off, s[0:3], 0 offset:252
	buffer_load_dword v102, off, s[0:3], 0 offset:256
	buffer_load_dword v103, off, s[0:3], 0 offset:260
	buffer_load_dword v104, off, s[0:3], 0 offset:264
	buffer_load_dword v105, off, s[0:3], 0 offset:268
	buffer_load_dword v106, off, s[0:3], 0 offset:272
	buffer_load_dword v107, off, s[0:3], 0 offset:276
	buffer_load_dword v108, off, s[0:3], 0 offset:280
	buffer_load_dword v109, off, s[0:3], 0 offset:284
	buffer_load_dword v110, off, s[0:3], 0 offset:288
	buffer_load_dword v111, off, s[0:3], 0 offset:292
	buffer_load_dword v112, off, s[0:3], 0 offset:296
	buffer_load_dword v113, off, s[0:3], 0 offset:300
	buffer_load_dword v117, off, s[0:3], 0 offset:308
	buffer_load_dword v116, off, s[0:3], 0 offset:304
	buffer_load_dword v119, off, s[0:3], 0 offset:316
	buffer_load_dword v118, off, s[0:3], 0 offset:312
	v_cmp_lt_u32_e32 vcc, 29, v0
	s_waitcnt vmcnt(16) lgkmcnt(0)
	v_mul_f32_e32 v115, v6, v10
	v_fmac_f32_e32 v115, v7, v5
	v_mul_f32_e32 v7, v7, v10
	s_waitcnt vmcnt(14)
	v_mov_b32_e32 v120, v103
	v_fma_f32 v114, v6, v5, -v7
	ds_read2_b64 v[10:13], v4 offset0:73 offset1:74
	ds_read2_b64 v[14:17], v4 offset0:75 offset1:76
	;; [unrolled: 1-line block ×3, first 2 shown]
	ds_read_b64 v[6:7], v4 offset:632
	v_pk_mul_f32 v[120:121], v[8:9], v[120:121] op_sel_hi:[1,0]
	v_pk_fma_f32 v[122:123], v[8:9], v[102:103], v[120:121] op_sel:[0,0,1] op_sel_hi:[1,1,0] neg_lo:[0,0,1] neg_hi:[0,0,1]
	v_pk_fma_f32 v[8:9], v[8:9], v[102:103], v[120:121] op_sel:[0,0,1] op_sel_hi:[1,0,0]
	s_waitcnt vmcnt(12)
	v_mov_b32_e32 v102, v105
	v_pk_add_f32 v[114:115], v[114:115], 0 op_sel_hi:[1,0]
	v_mov_b32_e32 v123, v9
	s_waitcnt lgkmcnt(3)
	v_pk_mul_f32 v[102:103], v[10:11], v[102:103] op_sel_hi:[1,0]
	v_pk_add_f32 v[8:9], v[114:115], v[122:123]
	v_pk_fma_f32 v[114:115], v[10:11], v[104:105], v[102:103] op_sel:[0,0,1] op_sel_hi:[1,1,0] neg_lo:[0,0,1] neg_hi:[0,0,1]
	v_pk_fma_f32 v[10:11], v[10:11], v[104:105], v[102:103] op_sel:[0,0,1] op_sel_hi:[1,0,0]
	s_waitcnt vmcnt(10)
	v_mov_b32_e32 v10, v107
	v_mov_b32_e32 v115, v11
	v_pk_mul_f32 v[10:11], v[12:13], v[10:11] op_sel_hi:[1,0]
	v_pk_fma_f32 v[102:103], v[12:13], v[106:107], v[10:11] op_sel:[0,0,1] op_sel_hi:[1,1,0] neg_lo:[0,0,1] neg_hi:[0,0,1]
	v_pk_fma_f32 v[10:11], v[12:13], v[106:107], v[10:11] op_sel:[0,0,1] op_sel_hi:[1,0,0]
	s_waitcnt vmcnt(8)
	v_mov_b32_e32 v10, v109
	v_mov_b32_e32 v103, v11
	s_waitcnt lgkmcnt(2)
	v_pk_mul_f32 v[10:11], v[14:15], v[10:11] op_sel_hi:[1,0]
	v_pk_fma_f32 v[12:13], v[14:15], v[108:109], v[10:11] op_sel:[0,0,1] op_sel_hi:[1,1,0] neg_lo:[0,0,1] neg_hi:[0,0,1]
	v_pk_fma_f32 v[10:11], v[14:15], v[108:109], v[10:11] op_sel:[0,0,1] op_sel_hi:[1,0,0]
	v_pk_add_f32 v[8:9], v[8:9], v[114:115]
	s_waitcnt vmcnt(6)
	v_mov_b32_e32 v10, v111
	v_pk_add_f32 v[8:9], v[8:9], v[102:103]
	v_mov_b32_e32 v13, v11
	v_pk_mul_f32 v[10:11], v[16:17], v[10:11] op_sel_hi:[1,0]
	v_pk_add_f32 v[8:9], v[8:9], v[12:13]
	v_pk_fma_f32 v[12:13], v[16:17], v[110:111], v[10:11] op_sel:[0,0,1] op_sel_hi:[1,1,0] neg_lo:[0,0,1] neg_hi:[0,0,1]
	v_pk_fma_f32 v[10:11], v[16:17], v[110:111], v[10:11] op_sel:[0,0,1] op_sel_hi:[1,0,0]
	s_waitcnt vmcnt(4)
	v_mov_b32_e32 v10, v113
	v_mov_b32_e32 v13, v11
	s_waitcnt lgkmcnt(1)
	v_pk_mul_f32 v[10:11], v[98:99], v[10:11] op_sel_hi:[1,0]
	v_pk_add_f32 v[8:9], v[8:9], v[12:13]
	v_pk_fma_f32 v[12:13], v[98:99], v[112:113], v[10:11] op_sel:[0,0,1] op_sel_hi:[1,1,0] neg_lo:[0,0,1] neg_hi:[0,0,1]
	v_pk_fma_f32 v[10:11], v[98:99], v[112:113], v[10:11] op_sel:[0,0,1] op_sel_hi:[1,0,0]
	s_waitcnt vmcnt(3)
	v_mov_b32_e32 v10, v117
	v_mov_b32_e32 v13, v11
	v_pk_mul_f32 v[10:11], v[100:101], v[10:11] op_sel_hi:[1,0]
	v_pk_add_f32 v[8:9], v[8:9], v[12:13]
	s_waitcnt vmcnt(2)
	v_pk_fma_f32 v[12:13], v[100:101], v[116:117], v[10:11] op_sel:[0,0,1] op_sel_hi:[1,1,0] neg_lo:[0,0,1] neg_hi:[0,0,1]
	v_pk_fma_f32 v[10:11], v[100:101], v[116:117], v[10:11] op_sel:[0,0,1] op_sel_hi:[1,0,0]
	s_waitcnt vmcnt(1)
	v_mov_b32_e32 v10, v119
	v_mov_b32_e32 v13, v11
	s_waitcnt lgkmcnt(0)
	v_pk_mul_f32 v[10:11], v[6:7], v[10:11] op_sel_hi:[1,0]
	v_pk_add_f32 v[8:9], v[8:9], v[12:13]
	s_waitcnt vmcnt(0)
	v_pk_fma_f32 v[12:13], v[6:7], v[118:119], v[10:11] op_sel:[0,0,1] op_sel_hi:[1,1,0] neg_lo:[0,0,1] neg_hi:[0,0,1]
	v_pk_fma_f32 v[6:7], v[6:7], v[118:119], v[10:11] op_sel:[0,0,1] op_sel_hi:[1,0,0]
	v_mov_b32_e32 v13, v7
	v_pk_add_f32 v[6:7], v[8:9], v[12:13]
	v_pk_add_f32 v[2:3], v[2:3], v[6:7] neg_lo:[0,1] neg_hi:[0,1]
	buffer_store_dword v2, off, s[0:3], 0 offset:240
	buffer_store_dword v3, off, s[0:3], 0 offset:244
	s_and_saveexec_b64 s[4:5], vcc
	s_cbranch_execz .LBB103_195
; %bb.194:
	buffer_load_dword v2, off, s[0:3], 0 offset:232
	buffer_load_dword v3, off, s[0:3], 0 offset:236
	s_waitcnt vmcnt(0)
	ds_write_b64 v1, v[2:3]
	buffer_store_dword v4, off, s[0:3], 0 offset:232
	buffer_store_dword v4, off, s[0:3], 0 offset:236
.LBB103_195:
	s_or_b64 exec, exec, s[4:5]
	s_waitcnt lgkmcnt(0)
	; wave barrier
	s_waitcnt lgkmcnt(0)
	ds_read_b128 v[6:9], v4 offset:560
	ds_read_b128 v[10:13], v4 offset:576
	;; [unrolled: 1-line block ×4, first 2 shown]
	buffer_load_dword v2, off, s[0:3], 0 offset:232
	buffer_load_dword v3, off, s[0:3], 0 offset:236
	;; [unrolled: 1-line block ×22, first 2 shown]
	v_cmp_lt_u32_e32 vcc, 28, v0
	s_waitcnt vmcnt(18) lgkmcnt(3)
	v_mul_f32_e32 v113, v6, v112
	v_fmac_f32_e32 v113, v7, v5
	v_mul_f32_e32 v7, v7, v112
	s_waitcnt vmcnt(16)
	v_mul_f32_e32 v115, v8, v122
	v_fma_f32 v112, v6, v5, -v7
	v_mul_f32_e32 v5, v9, v122
	v_fmac_f32_e32 v115, v9, v114
	v_fma_f32 v114, v8, v114, -v5
	v_pk_add_f32 v[8:9], v[112:113], 0 op_sel_hi:[1,0]
	s_waitcnt vmcnt(14)
	v_mov_b32_e32 v112, v103
	s_waitcnt lgkmcnt(2)
	v_pk_mul_f32 v[112:113], v[10:11], v[112:113] op_sel_hi:[1,0]
	v_pk_add_f32 v[8:9], v[8:9], v[114:115]
	v_pk_fma_f32 v[114:115], v[10:11], v[102:103], v[112:113] op_sel:[0,0,1] op_sel_hi:[1,1,0] neg_lo:[0,0,1] neg_hi:[0,0,1]
	v_pk_fma_f32 v[10:11], v[10:11], v[102:103], v[112:113] op_sel:[0,0,1] op_sel_hi:[1,0,0]
	s_waitcnt vmcnt(12)
	v_mov_b32_e32 v10, v105
	v_mov_b32_e32 v115, v11
	v_pk_mul_f32 v[10:11], v[12:13], v[10:11] op_sel_hi:[1,0]
	v_pk_fma_f32 v[102:103], v[12:13], v[104:105], v[10:11] op_sel:[0,0,1] op_sel_hi:[1,1,0] neg_lo:[0,0,1] neg_hi:[0,0,1]
	v_pk_fma_f32 v[10:11], v[12:13], v[104:105], v[10:11] op_sel:[0,0,1] op_sel_hi:[1,0,0]
	s_waitcnt vmcnt(10)
	v_mov_b32_e32 v10, v107
	v_mov_b32_e32 v103, v11
	s_waitcnt lgkmcnt(1)
	v_pk_mul_f32 v[10:11], v[14:15], v[10:11] op_sel_hi:[1,0]
	v_pk_fma_f32 v[12:13], v[14:15], v[106:107], v[10:11] op_sel:[0,0,1] op_sel_hi:[1,1,0] neg_lo:[0,0,1] neg_hi:[0,0,1]
	v_pk_fma_f32 v[10:11], v[14:15], v[106:107], v[10:11] op_sel:[0,0,1] op_sel_hi:[1,0,0]
	v_pk_add_f32 v[8:9], v[8:9], v[114:115]
	s_waitcnt vmcnt(8)
	v_mov_b32_e32 v10, v109
	v_pk_add_f32 v[8:9], v[8:9], v[102:103]
	v_mov_b32_e32 v13, v11
	v_pk_mul_f32 v[10:11], v[16:17], v[10:11] op_sel_hi:[1,0]
	v_pk_add_f32 v[8:9], v[8:9], v[12:13]
	v_pk_fma_f32 v[12:13], v[16:17], v[108:109], v[10:11] op_sel:[0,0,1] op_sel_hi:[1,1,0] neg_lo:[0,0,1] neg_hi:[0,0,1]
	v_pk_fma_f32 v[10:11], v[16:17], v[108:109], v[10:11] op_sel:[0,0,1] op_sel_hi:[1,0,0]
	s_waitcnt vmcnt(6)
	v_mov_b32_e32 v10, v111
	v_mov_b32_e32 v13, v11
	s_waitcnt lgkmcnt(0)
	v_pk_mul_f32 v[10:11], v[98:99], v[10:11] op_sel_hi:[1,0]
	ds_read_b128 v[4:7], v4 offset:624
	v_pk_add_f32 v[8:9], v[8:9], v[12:13]
	v_pk_fma_f32 v[12:13], v[98:99], v[110:111], v[10:11] op_sel:[0,0,1] op_sel_hi:[1,1,0] neg_lo:[0,0,1] neg_hi:[0,0,1]
	v_pk_fma_f32 v[10:11], v[98:99], v[110:111], v[10:11] op_sel:[0,0,1] op_sel_hi:[1,0,0]
	s_waitcnt vmcnt(5)
	v_mov_b32_e32 v10, v117
	v_mov_b32_e32 v13, v11
	v_pk_mul_f32 v[10:11], v[100:101], v[10:11] op_sel_hi:[1,0]
	v_pk_add_f32 v[8:9], v[8:9], v[12:13]
	s_waitcnt vmcnt(4)
	v_pk_fma_f32 v[12:13], v[100:101], v[116:117], v[10:11] op_sel:[0,0,1] op_sel_hi:[1,1,0] neg_lo:[0,0,1] neg_hi:[0,0,1]
	v_pk_fma_f32 v[10:11], v[100:101], v[116:117], v[10:11] op_sel:[0,0,1] op_sel_hi:[1,0,0]
	s_waitcnt vmcnt(3)
	v_mov_b32_e32 v10, v119
	v_mov_b32_e32 v13, v11
	s_waitcnt lgkmcnt(0)
	v_pk_mul_f32 v[10:11], v[4:5], v[10:11] op_sel_hi:[1,0]
	v_pk_add_f32 v[8:9], v[8:9], v[12:13]
	s_waitcnt vmcnt(2)
	v_pk_fma_f32 v[12:13], v[4:5], v[118:119], v[10:11] op_sel:[0,0,1] op_sel_hi:[1,1,0] neg_lo:[0,0,1] neg_hi:[0,0,1]
	v_pk_fma_f32 v[4:5], v[4:5], v[118:119], v[10:11] op_sel:[0,0,1] op_sel_hi:[1,0,0]
	v_mov_b32_e32 v13, v5
	v_pk_add_f32 v[4:5], v[8:9], v[12:13]
	s_waitcnt vmcnt(1)
	v_mov_b32_e32 v8, v121
	v_pk_mul_f32 v[8:9], v[6:7], v[8:9] op_sel_hi:[1,0]
	s_waitcnt vmcnt(0)
	v_pk_fma_f32 v[10:11], v[6:7], v[120:121], v[8:9] op_sel:[0,0,1] op_sel_hi:[1,1,0] neg_lo:[0,0,1] neg_hi:[0,0,1]
	v_pk_fma_f32 v[6:7], v[6:7], v[120:121], v[8:9] op_sel:[0,0,1] op_sel_hi:[1,0,0]
	v_mov_b32_e32 v11, v7
	v_pk_add_f32 v[4:5], v[4:5], v[10:11]
	v_pk_add_f32 v[2:3], v[2:3], v[4:5] neg_lo:[0,1] neg_hi:[0,1]
	buffer_store_dword v2, off, s[0:3], 0 offset:232
	buffer_store_dword v3, off, s[0:3], 0 offset:236
	s_and_saveexec_b64 s[4:5], vcc
	s_cbranch_execz .LBB103_197
; %bb.196:
	buffer_load_dword v2, off, s[0:3], 0 offset:224
	buffer_load_dword v3, off, s[0:3], 0 offset:228
	v_mov_b32_e32 v4, 0
	buffer_store_dword v4, off, s[0:3], 0 offset:224
	buffer_store_dword v4, off, s[0:3], 0 offset:228
	s_waitcnt vmcnt(2)
	ds_write_b64 v1, v[2:3]
.LBB103_197:
	s_or_b64 exec, exec, s[4:5]
	v_mov_b32_e32 v4, 0
	s_waitcnt lgkmcnt(0)
	; wave barrier
	s_waitcnt lgkmcnt(0)
	ds_read2_b64 v[6:9], v4 offset0:69 offset1:70
	buffer_load_dword v2, off, s[0:3], 0 offset:224
	buffer_load_dword v3, off, s[0:3], 0 offset:228
	;; [unrolled: 1-line block ×16, first 2 shown]
	v_cmp_lt_u32_e32 vcc, 27, v0
	s_waitcnt vmcnt(12) lgkmcnt(0)
	v_mul_f32_e32 v10, v6, v14
	v_fmac_f32_e32 v10, v7, v5
	v_add_f32_e32 v111, 0, v10
	ds_read2_b64 v[10:13], v4 offset0:71 offset1:72
	buffer_load_dword v117, off, s[0:3], 0 offset:292
	buffer_load_dword v116, off, s[0:3], 0 offset:288
	;; [unrolled: 1-line block ×8, first 2 shown]
	v_mul_f32_e32 v7, v7, v14
	v_fma_f32 v5, v6, v5, -v7
	s_waitcnt vmcnt(18)
	v_mul_f32_e32 v113, v8, v16
	v_add_f32_e32 v110, 0, v5
	v_mul_f32_e32 v5, v9, v16
	v_fmac_f32_e32 v113, v9, v15
	v_fma_f32 v112, v8, v15, -v5
	s_waitcnt vmcnt(16) lgkmcnt(0)
	v_mul_f32_e32 v115, v10, v98
	v_mul_f32_e32 v5, v11, v98
	v_pk_add_f32 v[110:111], v[110:111], v[112:113]
	s_waitcnt vmcnt(14)
	v_mov_b32_e32 v112, v103
	v_fmac_f32_e32 v115, v11, v17
	v_fma_f32 v114, v10, v17, -v5
	ds_read2_b64 v[6:9], v4 offset0:73 offset1:74
	ds_read2_b64 v[14:17], v4 offset0:75 offset1:76
	;; [unrolled: 1-line block ×3, first 2 shown]
	ds_read_b64 v[10:11], v4 offset:632
	v_pk_mul_f32 v[112:113], v[12:13], v[112:113] op_sel_hi:[1,0]
	v_pk_add_f32 v[110:111], v[110:111], v[114:115]
	v_pk_fma_f32 v[114:115], v[12:13], v[102:103], v[112:113] op_sel:[0,0,1] op_sel_hi:[1,1,0] neg_lo:[0,0,1] neg_hi:[0,0,1]
	v_pk_fma_f32 v[12:13], v[12:13], v[102:103], v[112:113] op_sel:[0,0,1] op_sel_hi:[1,0,0]
	s_waitcnt vmcnt(12)
	v_mov_b32_e32 v102, v105
	v_mov_b32_e32 v115, v13
	s_waitcnt lgkmcnt(3)
	v_pk_mul_f32 v[102:103], v[6:7], v[102:103] op_sel_hi:[1,0]
	v_pk_add_f32 v[12:13], v[110:111], v[114:115]
	v_pk_fma_f32 v[110:111], v[6:7], v[104:105], v[102:103] op_sel:[0,0,1] op_sel_hi:[1,1,0] neg_lo:[0,0,1] neg_hi:[0,0,1]
	v_pk_fma_f32 v[6:7], v[6:7], v[104:105], v[102:103] op_sel:[0,0,1] op_sel_hi:[1,0,0]
	v_mov_b32_e32 v111, v7
	v_pk_add_f32 v[6:7], v[12:13], v[110:111]
	s_waitcnt vmcnt(10)
	v_mov_b32_e32 v12, v107
	v_pk_mul_f32 v[12:13], v[8:9], v[12:13] op_sel_hi:[1,0]
	v_pk_fma_f32 v[102:103], v[8:9], v[106:107], v[12:13] op_sel:[0,0,1] op_sel_hi:[1,1,0] neg_lo:[0,0,1] neg_hi:[0,0,1]
	v_pk_fma_f32 v[8:9], v[8:9], v[106:107], v[12:13] op_sel:[0,0,1] op_sel_hi:[1,0,0]
	s_waitcnt vmcnt(8)
	v_mov_b32_e32 v8, v109
	v_mov_b32_e32 v103, v9
	s_waitcnt lgkmcnt(2)
	v_pk_mul_f32 v[8:9], v[14:15], v[8:9] op_sel_hi:[1,0]
	v_pk_fma_f32 v[12:13], v[14:15], v[108:109], v[8:9] op_sel:[0,0,1] op_sel_hi:[1,1,0] neg_lo:[0,0,1] neg_hi:[0,0,1]
	v_pk_fma_f32 v[8:9], v[14:15], v[108:109], v[8:9] op_sel:[0,0,1] op_sel_hi:[1,0,0]
	v_pk_add_f32 v[6:7], v[6:7], v[102:103]
	v_mov_b32_e32 v13, v9
	v_pk_add_f32 v[6:7], v[6:7], v[12:13]
	s_waitcnt vmcnt(7)
	v_mov_b32_e32 v8, v117
	v_pk_mul_f32 v[8:9], v[16:17], v[8:9] op_sel_hi:[1,0]
	s_waitcnt vmcnt(6)
	v_pk_fma_f32 v[12:13], v[16:17], v[116:117], v[8:9] op_sel:[0,0,1] op_sel_hi:[1,1,0] neg_lo:[0,0,1] neg_hi:[0,0,1]
	v_pk_fma_f32 v[8:9], v[16:17], v[116:117], v[8:9] op_sel:[0,0,1] op_sel_hi:[1,0,0]
	s_waitcnt vmcnt(5)
	v_mov_b32_e32 v8, v119
	v_mov_b32_e32 v13, v9
	s_waitcnt lgkmcnt(1)
	v_pk_mul_f32 v[8:9], v[98:99], v[8:9] op_sel_hi:[1,0]
	v_pk_add_f32 v[6:7], v[6:7], v[12:13]
	s_waitcnt vmcnt(4)
	v_pk_fma_f32 v[12:13], v[98:99], v[118:119], v[8:9] op_sel:[0,0,1] op_sel_hi:[1,1,0] neg_lo:[0,0,1] neg_hi:[0,0,1]
	v_pk_fma_f32 v[8:9], v[98:99], v[118:119], v[8:9] op_sel:[0,0,1] op_sel_hi:[1,0,0]
	s_waitcnt vmcnt(3)
	v_mov_b32_e32 v8, v121
	v_mov_b32_e32 v13, v9
	v_pk_mul_f32 v[8:9], v[100:101], v[8:9] op_sel_hi:[1,0]
	v_pk_add_f32 v[6:7], v[6:7], v[12:13]
	s_waitcnt vmcnt(2)
	v_pk_fma_f32 v[12:13], v[100:101], v[120:121], v[8:9] op_sel:[0,0,1] op_sel_hi:[1,1,0] neg_lo:[0,0,1] neg_hi:[0,0,1]
	v_pk_fma_f32 v[8:9], v[100:101], v[120:121], v[8:9] op_sel:[0,0,1] op_sel_hi:[1,0,0]
	s_waitcnt vmcnt(1)
	v_mov_b32_e32 v8, v123
	v_mov_b32_e32 v13, v9
	s_waitcnt lgkmcnt(0)
	v_pk_mul_f32 v[8:9], v[10:11], v[8:9] op_sel_hi:[1,0]
	v_pk_add_f32 v[6:7], v[6:7], v[12:13]
	s_waitcnt vmcnt(0)
	v_pk_fma_f32 v[12:13], v[10:11], v[122:123], v[8:9] op_sel:[0,0,1] op_sel_hi:[1,1,0] neg_lo:[0,0,1] neg_hi:[0,0,1]
	v_pk_fma_f32 v[8:9], v[10:11], v[122:123], v[8:9] op_sel:[0,0,1] op_sel_hi:[1,0,0]
	v_mov_b32_e32 v13, v9
	v_pk_add_f32 v[6:7], v[6:7], v[12:13]
	v_pk_add_f32 v[2:3], v[2:3], v[6:7] neg_lo:[0,1] neg_hi:[0,1]
	buffer_store_dword v3, off, s[0:3], 0 offset:228
	buffer_store_dword v2, off, s[0:3], 0 offset:224
	s_and_saveexec_b64 s[4:5], vcc
	s_cbranch_execz .LBB103_199
; %bb.198:
	buffer_load_dword v2, off, s[0:3], 0 offset:216
	buffer_load_dword v3, off, s[0:3], 0 offset:220
	s_waitcnt vmcnt(0)
	ds_write_b64 v1, v[2:3]
	buffer_store_dword v4, off, s[0:3], 0 offset:216
	buffer_store_dword v4, off, s[0:3], 0 offset:220
.LBB103_199:
	s_or_b64 exec, exec, s[4:5]
	s_waitcnt lgkmcnt(0)
	; wave barrier
	s_waitcnt lgkmcnt(0)
	buffer_load_dword v124, off, s[0:3], 0 offset:228
	buffer_load_dword v126, off, s[0:3], 0 offset:236
	;; [unrolled: 1-line block ×26, first 2 shown]
	ds_read_b128 v[6:9], v4 offset:544
	ds_read_b128 v[10:13], v4 offset:560
	;; [unrolled: 1-line block ×6, first 2 shown]
	v_cmp_lt_u32_e32 vcc, 26, v0
	s_waitcnt vmcnt(25) lgkmcnt(5)
	v_mul_f32_e32 v139, v6, v124
	v_mul_f32_e32 v124, v7, v124
	s_waitcnt vmcnt(24)
	v_mul_f32_e32 v140, v8, v126
	s_waitcnt vmcnt(23) lgkmcnt(4)
	v_mul_f32_e32 v125, v10, v128
	s_waitcnt vmcnt(22)
	v_mul_f32_e32 v127, v12, v129
	v_mul_f32_e32 v126, v9, v126
	;; [unrolled: 1-line block ×4, first 2 shown]
	s_waitcnt vmcnt(21)
	v_mov_b32_e32 v128, v107
	s_waitcnt vmcnt(20)
	v_mov_b32_e32 v130, v109
	s_waitcnt vmcnt(18)
	v_mov_b32_e32 v134, v113
	s_waitcnt vmcnt(15)
	v_fmac_f32_e32 v139, v7, v131
	v_fma_f32 v142, v6, v131, -v124
	v_mov_b32_e32 v132, v111
	s_waitcnt vmcnt(14)
	v_fmac_f32_e32 v140, v9, v133
	s_waitcnt vmcnt(13)
	v_fmac_f32_e32 v125, v11, v135
	;; [unrolled: 2-line block ×3, first 2 shown]
	v_fma_f32 v143, v8, v133, -v126
	v_fma_f32 v124, v10, v135, -v141
	v_fma_f32 v126, v12, v137, -v129
	s_waitcnt lgkmcnt(3)
	v_pk_mul_f32 v[6:7], v[14:15], v[128:129] op_sel_hi:[1,0]
	v_pk_mul_f32 v[8:9], v[16:17], v[130:131] op_sel_hi:[1,0]
	s_waitcnt lgkmcnt(2)
	v_pk_mul_f32 v[12:13], v[100:101], v[134:135] op_sel_hi:[1,0]
	v_add_f32_e32 v134, 0, v139
	v_add_f32_e32 v135, 0, v142
	v_pk_mul_f32 v[10:11], v[98:99], v[132:133] op_sel_hi:[1,0]
	s_waitcnt vmcnt(11)
	v_pk_fma_f32 v[132:133], v[14:15], v[106:107], v[6:7] op_sel:[0,0,1] op_sel_hi:[1,1,0] neg_lo:[0,0,1] neg_hi:[0,0,1]
	v_pk_fma_f32 v[6:7], v[14:15], v[106:107], v[6:7] op_sel:[0,0,1] op_sel_hi:[1,0,0]
	s_waitcnt vmcnt(10)
	v_pk_fma_f32 v[14:15], v[16:17], v[108:109], v[8:9] op_sel:[0,0,1] op_sel_hi:[1,1,0] neg_lo:[0,0,1] neg_hi:[0,0,1]
	v_pk_fma_f32 v[8:9], v[16:17], v[108:109], v[8:9] op_sel:[0,0,1] op_sel_hi:[1,0,0]
	v_add_f32_e32 v109, v134, v140
	v_add_f32_e32 v108, v135, v143
	v_mov_b32_e32 v133, v7
	v_pk_add_f32 v[6:7], v[108:109], v[124:125]
	v_pk_add_f32 v[6:7], v[6:7], v[126:127]
	v_mov_b32_e32 v136, v115
	s_waitcnt vmcnt(9)
	v_pk_fma_f32 v[16:17], v[98:99], v[110:111], v[10:11] op_sel:[0,0,1] op_sel_hi:[1,1,0] neg_lo:[0,0,1] neg_hi:[0,0,1]
	v_pk_fma_f32 v[10:11], v[98:99], v[110:111], v[10:11] op_sel:[0,0,1] op_sel_hi:[1,0,0]
	v_mov_b32_e32 v15, v9
	v_pk_add_f32 v[6:7], v[6:7], v[132:133]
	v_mov_b32_e32 v138, v117
	s_waitcnt lgkmcnt(1)
	v_pk_mul_f32 v[128:129], v[102:103], v[136:137] op_sel_hi:[1,0]
	s_waitcnt vmcnt(5)
	v_pk_fma_f32 v[98:99], v[100:101], v[112:113], v[12:13] op_sel:[0,0,1] op_sel_hi:[1,1,0] neg_lo:[0,0,1] neg_hi:[0,0,1]
	v_pk_fma_f32 v[12:13], v[100:101], v[112:113], v[12:13] op_sel:[0,0,1] op_sel_hi:[1,0,0]
	v_mov_b32_e32 v17, v11
	v_pk_add_f32 v[6:7], v[6:7], v[14:15]
	v_pk_mul_f32 v[130:131], v[104:105], v[138:139] op_sel_hi:[1,0]
	v_pk_fma_f32 v[100:101], v[102:103], v[114:115], v[128:129] op_sel:[0,0,1] op_sel_hi:[1,1,0] neg_lo:[0,0,1] neg_hi:[0,0,1]
	v_pk_fma_f32 v[102:103], v[102:103], v[114:115], v[128:129] op_sel:[0,0,1] op_sel_hi:[1,0,0]
	v_mov_b32_e32 v99, v13
	v_pk_add_f32 v[6:7], v[6:7], v[16:17]
	s_waitcnt vmcnt(4)
	v_mov_b32_e32 v8, v119
	v_pk_fma_f32 v[106:107], v[104:105], v[116:117], v[130:131] op_sel:[0,0,1] op_sel_hi:[1,1,0] neg_lo:[0,0,1] neg_hi:[0,0,1]
	v_pk_fma_f32 v[104:105], v[104:105], v[116:117], v[130:131] op_sel:[0,0,1] op_sel_hi:[1,0,0]
	v_mov_b32_e32 v101, v103
	v_pk_add_f32 v[6:7], v[6:7], v[98:99]
	s_waitcnt lgkmcnt(0)
	v_pk_mul_f32 v[8:9], v[2:3], v[8:9] op_sel_hi:[1,0]
	v_mov_b32_e32 v107, v105
	v_pk_add_f32 v[6:7], v[6:7], v[100:101]
	v_pk_fma_f32 v[10:11], v[2:3], v[118:119], v[8:9] op_sel:[0,0,1] op_sel_hi:[1,1,0] neg_lo:[0,0,1] neg_hi:[0,0,1]
	v_pk_fma_f32 v[2:3], v[2:3], v[118:119], v[8:9] op_sel:[0,0,1] op_sel_hi:[1,0,0]
	v_pk_add_f32 v[6:7], v[6:7], v[106:107]
	v_mov_b32_e32 v11, v3
	v_pk_add_f32 v[2:3], v[6:7], v[10:11]
	s_waitcnt vmcnt(3)
	v_mov_b32_e32 v6, v121
	v_pk_mul_f32 v[6:7], v[4:5], v[6:7] op_sel_hi:[1,0]
	s_waitcnt vmcnt(2)
	v_pk_fma_f32 v[8:9], v[4:5], v[120:121], v[6:7] op_sel:[0,0,1] op_sel_hi:[1,1,0] neg_lo:[0,0,1] neg_hi:[0,0,1]
	v_pk_fma_f32 v[4:5], v[4:5], v[120:121], v[6:7] op_sel:[0,0,1] op_sel_hi:[1,0,0]
	v_mov_b32_e32 v9, v5
	v_pk_add_f32 v[2:3], v[2:3], v[8:9]
	s_waitcnt vmcnt(0)
	v_pk_add_f32 v[2:3], v[122:123], v[2:3] neg_lo:[0,1] neg_hi:[0,1]
	buffer_store_dword v3, off, s[0:3], 0 offset:220
	buffer_store_dword v2, off, s[0:3], 0 offset:216
	s_and_saveexec_b64 s[4:5], vcc
	s_cbranch_execz .LBB103_201
; %bb.200:
	buffer_load_dword v2, off, s[0:3], 0 offset:208
	buffer_load_dword v3, off, s[0:3], 0 offset:212
	v_mov_b32_e32 v4, 0
	buffer_store_dword v4, off, s[0:3], 0 offset:208
	buffer_store_dword v4, off, s[0:3], 0 offset:212
	s_waitcnt vmcnt(2)
	ds_write_b64 v1, v[2:3]
.LBB103_201:
	s_or_b64 exec, exec, s[4:5]
	s_waitcnt lgkmcnt(0)
	; wave barrier
	s_waitcnt lgkmcnt(0)
	buffer_load_dword v3, off, s[0:3], 0 offset:220
	buffer_load_dword v128, off, s[0:3], 0 offset:228
	;; [unrolled: 1-line block ×28, first 2 shown]
	v_mov_b32_e32 v2, 0
	ds_read2_b64 v[4:7], v2 offset0:67 offset1:68
	ds_read2_b64 v[8:11], v2 offset0:69 offset1:70
	;; [unrolled: 1-line block ×6, first 2 shown]
	ds_read_b64 v[126:127], v2 offset:632
	v_cmp_lt_u32_e32 vcc, 25, v0
	s_waitcnt vmcnt(27) lgkmcnt(6)
	v_mul_f32_e32 v143, v4, v3
	v_mul_f32_e32 v3, v5, v3
	s_waitcnt vmcnt(26)
	v_mul_f32_e32 v144, v6, v128
	s_waitcnt vmcnt(24) lgkmcnt(5)
	v_mul_f32_e32 v129, v10, v132
	s_waitcnt vmcnt(23) lgkmcnt(4)
	v_mul_f32_e32 v131, v12, v133
	v_mul_f32_e32 v146, v11, v132
	v_mul_f32_e32 v133, v13, v133
	s_waitcnt vmcnt(22)
	v_mov_b32_e32 v132, v17
	v_mul_f32_e32 v145, v8, v130
	v_mul_f32_e32 v128, v7, v128
	;; [unrolled: 1-line block ×3, first 2 shown]
	s_waitcnt vmcnt(17)
	v_fmac_f32_e32 v143, v5, v135
	v_fma_f32 v3, v4, v135, -v3
	v_pk_mul_f32 v[4:5], v[14:15], v[132:133] op_sel_hi:[1,0]
	s_waitcnt vmcnt(16)
	v_fmac_f32_e32 v144, v7, v137
	s_waitcnt vmcnt(13)
	v_fmac_f32_e32 v131, v13, v142
	v_fma_f32 v135, v6, v137, -v128
	v_fma_f32 v137, v8, v139, -v130
	;; [unrolled: 1-line block ×3, first 2 shown]
	v_add_f32_e32 v132, 0, v143
	v_add_f32_e32 v3, 0, v3
	s_waitcnt vmcnt(12)
	v_pk_fma_f32 v[12:13], v[14:15], v[16:17], v[4:5] op_sel:[0,0,1] op_sel_hi:[1,1,0] neg_lo:[0,0,1] neg_hi:[0,0,1]
	v_pk_fma_f32 v[4:5], v[14:15], v[16:17], v[4:5] op_sel:[0,0,1] op_sel_hi:[1,0,0]
	v_fmac_f32_e32 v145, v9, v139
	v_add_f32_e32 v4, v132, v144
	v_add_f32_e32 v3, v3, v135
	v_mov_b32_e32 v134, v111
	v_fmac_f32_e32 v129, v11, v141
	v_fma_f32 v128, v10, v141, -v146
	v_mov_b32_e32 v13, v5
	v_add_f32_e32 v5, v4, v145
	v_add_f32_e32 v4, v3, v137
	v_mov_b32_e32 v136, v113
	s_waitcnt lgkmcnt(3)
	v_pk_mul_f32 v[6:7], v[98:99], v[134:135] op_sel_hi:[1,0]
	v_pk_add_f32 v[4:5], v[4:5], v[128:129]
	v_mov_b32_e32 v138, v115
	v_mov_b32_e32 v140, v117
	v_pk_mul_f32 v[8:9], v[100:101], v[136:137] op_sel_hi:[1,0]
	s_waitcnt vmcnt(11)
	v_pk_fma_f32 v[14:15], v[98:99], v[110:111], v[6:7] op_sel:[0,0,1] op_sel_hi:[1,1,0] neg_lo:[0,0,1] neg_hi:[0,0,1]
	v_pk_fma_f32 v[6:7], v[98:99], v[110:111], v[6:7] op_sel:[0,0,1] op_sel_hi:[1,0,0]
	v_pk_add_f32 v[4:5], v[4:5], v[130:131]
	s_waitcnt lgkmcnt(2)
	v_pk_mul_f32 v[10:11], v[102:103], v[138:139] op_sel_hi:[1,0]
	s_waitcnt vmcnt(7)
	v_pk_fma_f32 v[16:17], v[100:101], v[112:113], v[8:9] op_sel:[0,0,1] op_sel_hi:[1,1,0] neg_lo:[0,0,1] neg_hi:[0,0,1]
	v_pk_fma_f32 v[8:9], v[100:101], v[112:113], v[8:9] op_sel:[0,0,1] op_sel_hi:[1,0,0]
	v_mov_b32_e32 v15, v7
	v_pk_add_f32 v[4:5], v[4:5], v[12:13]
	v_pk_mul_f32 v[6:7], v[104:105], v[140:141] op_sel_hi:[1,0]
	v_pk_fma_f32 v[98:99], v[102:103], v[114:115], v[10:11] op_sel:[0,0,1] op_sel_hi:[1,1,0] neg_lo:[0,0,1] neg_hi:[0,0,1]
	v_pk_fma_f32 v[10:11], v[102:103], v[114:115], v[10:11] op_sel:[0,0,1] op_sel_hi:[1,0,0]
	v_mov_b32_e32 v17, v9
	v_pk_add_f32 v[4:5], v[4:5], v[14:15]
	v_pk_fma_f32 v[8:9], v[104:105], v[116:117], v[6:7] op_sel:[0,0,1] op_sel_hi:[1,1,0] neg_lo:[0,0,1] neg_hi:[0,0,1]
	v_pk_fma_f32 v[6:7], v[104:105], v[116:117], v[6:7] op_sel:[0,0,1] op_sel_hi:[1,0,0]
	v_mov_b32_e32 v99, v11
	v_pk_add_f32 v[4:5], v[4:5], v[16:17]
	s_waitcnt vmcnt(6)
	v_mov_b32_e32 v6, v119
	v_pk_add_f32 v[4:5], v[4:5], v[98:99]
	v_mov_b32_e32 v9, v7
	s_waitcnt lgkmcnt(1)
	v_pk_mul_f32 v[6:7], v[106:107], v[6:7] op_sel_hi:[1,0]
	v_pk_add_f32 v[4:5], v[4:5], v[8:9]
	v_pk_fma_f32 v[8:9], v[106:107], v[118:119], v[6:7] op_sel:[0,0,1] op_sel_hi:[1,1,0] neg_lo:[0,0,1] neg_hi:[0,0,1]
	v_pk_fma_f32 v[6:7], v[106:107], v[118:119], v[6:7] op_sel:[0,0,1] op_sel_hi:[1,0,0]
	s_waitcnt vmcnt(5)
	v_mov_b32_e32 v6, v121
	v_mov_b32_e32 v9, v7
	v_pk_mul_f32 v[6:7], v[108:109], v[6:7] op_sel_hi:[1,0]
	v_pk_add_f32 v[4:5], v[4:5], v[8:9]
	s_waitcnt vmcnt(3)
	v_pk_fma_f32 v[8:9], v[108:109], v[120:121], v[6:7] op_sel:[0,0,1] op_sel_hi:[1,1,0] neg_lo:[0,0,1] neg_hi:[0,0,1]
	v_pk_fma_f32 v[6:7], v[108:109], v[120:121], v[6:7] op_sel:[0,0,1] op_sel_hi:[1,0,0]
	s_waitcnt vmcnt(2)
	v_mov_b32_e32 v6, v123
	v_mov_b32_e32 v9, v7
	s_waitcnt lgkmcnt(0)
	v_pk_mul_f32 v[6:7], v[126:127], v[6:7] op_sel_hi:[1,0]
	v_pk_add_f32 v[4:5], v[4:5], v[8:9]
	v_pk_fma_f32 v[8:9], v[126:127], v[122:123], v[6:7] op_sel:[0,0,1] op_sel_hi:[1,1,0] neg_lo:[0,0,1] neg_hi:[0,0,1]
	v_pk_fma_f32 v[6:7], v[126:127], v[122:123], v[6:7] op_sel:[0,0,1] op_sel_hi:[1,0,0]
	v_mov_b32_e32 v9, v7
	v_pk_add_f32 v[4:5], v[4:5], v[8:9]
	s_waitcnt vmcnt(0)
	v_pk_add_f32 v[4:5], v[124:125], v[4:5] neg_lo:[0,1] neg_hi:[0,1]
	buffer_store_dword v5, off, s[0:3], 0 offset:212
	buffer_store_dword v4, off, s[0:3], 0 offset:208
	s_and_saveexec_b64 s[4:5], vcc
	s_cbranch_execz .LBB103_203
; %bb.202:
	buffer_load_dword v4, off, s[0:3], 0 offset:200
	buffer_load_dword v5, off, s[0:3], 0 offset:204
	s_waitcnt vmcnt(0)
	ds_write_b64 v1, v[4:5]
	buffer_store_dword v2, off, s[0:3], 0 offset:200
	buffer_store_dword v2, off, s[0:3], 0 offset:204
.LBB103_203:
	s_or_b64 exec, exec, s[4:5]
	s_waitcnt lgkmcnt(0)
	; wave barrier
	s_waitcnt lgkmcnt(0)
	buffer_load_dword v130, off, s[0:3], 0 offset:212
	buffer_load_dword v132, off, s[0:3], 0 offset:220
	;; [unrolled: 1-line block ×30, first 2 shown]
	ds_read_b128 v[4:7], v2 offset:528
	ds_read_b128 v[8:11], v2 offset:544
	;; [unrolled: 1-line block ×7, first 2 shown]
	v_cmp_lt_u32_e32 vcc, 24, v0
	s_waitcnt vmcnt(29) lgkmcnt(6)
	v_mul_f32_e32 v143, v4, v130
	s_waitcnt vmcnt(28)
	v_mul_f32_e32 v144, v6, v132
	s_waitcnt vmcnt(27) lgkmcnt(5)
	v_mul_f32_e32 v145, v8, v133
	v_mul_f32_e32 v133, v9, v133
	s_waitcnt vmcnt(26)
	v_mul_f32_e32 v146, v10, v134
	s_waitcnt vmcnt(25) lgkmcnt(4)
	v_mul_f32_e32 v3, v12, v135
	v_mul_f32_e32 v2, v5, v130
	;; [unrolled: 1-line block ×5, first 2 shown]
	s_waitcnt vmcnt(23)
	v_mov_b32_e32 v132, v17
	s_waitcnt vmcnt(22)
	v_mov_b32_e32 v134, v115
	s_waitcnt vmcnt(18)
	v_fma_f32 v133, v8, v139, -v133
	v_fmac_f32_e32 v143, v5, v137
	v_fmac_f32_e32 v144, v7, v138
	s_waitcnt vmcnt(17)
	v_fmac_f32_e32 v146, v11, v140
	v_fma_f32 v11, v4, v137, -v2
	v_fma_f32 v137, v6, v138, -v130
	s_waitcnt lgkmcnt(3)
	v_pk_mul_f32 v[4:5], v[98:99], v[132:133] op_sel_hi:[1,0]
	v_pk_mul_f32 v[6:7], v[100:101], v[134:135] op_sel_hi:[1,0]
	s_waitcnt vmcnt(16)
	v_fmac_f32_e32 v3, v13, v141
	v_fma_f32 v138, v10, v140, -v147
	v_fma_f32 v2, v12, v141, -v135
	v_add_f32_e32 v132, 0, v143
	v_add_f32_e32 v134, 0, v11
	s_waitcnt vmcnt(14)
	v_pk_fma_f32 v[10:11], v[98:99], v[16:17], v[4:5] op_sel:[0,0,1] op_sel_hi:[1,1,0] neg_lo:[0,0,1] neg_hi:[0,0,1]
	v_pk_fma_f32 v[4:5], v[98:99], v[16:17], v[4:5] op_sel:[0,0,1] op_sel_hi:[1,0,0]
	s_waitcnt vmcnt(10)
	v_pk_fma_f32 v[12:13], v[100:101], v[114:115], v[6:7] op_sel:[0,0,1] op_sel_hi:[1,1,0] neg_lo:[0,0,1] neg_hi:[0,0,1]
	v_pk_fma_f32 v[6:7], v[100:101], v[114:115], v[6:7] op_sel:[0,0,1] op_sel_hi:[1,0,0]
	v_fmac_f32_e32 v145, v9, v139
	v_add_f32_e32 v4, v132, v144
	v_add_f32_e32 v6, v134, v137
	;; [unrolled: 1-line block ×4, first 2 shown]
	v_mul_f32_e32 v131, v14, v136
	v_mul_f32_e32 v148, v15, v136
	v_mov_b32_e32 v11, v5
	v_add_f32_e32 v5, v4, v146
	v_add_f32_e32 v4, v6, v138
	v_mov_b32_e32 v136, v117
	v_fmac_f32_e32 v131, v15, v142
	v_fma_f32 v130, v14, v142, -v148
	v_pk_add_f32 v[2:3], v[4:5], v[2:3]
	s_waitcnt vmcnt(9)
	v_mov_b32_e32 v4, v121
	s_waitcnt lgkmcnt(2)
	v_pk_mul_f32 v[8:9], v[102:103], v[136:137] op_sel_hi:[1,0]
	v_pk_add_f32 v[2:3], v[2:3], v[130:131]
	v_pk_mul_f32 v[4:5], v[104:105], v[4:5] op_sel_hi:[1,0]
	v_pk_fma_f32 v[14:15], v[102:103], v[116:117], v[8:9] op_sel:[0,0,1] op_sel_hi:[1,1,0] neg_lo:[0,0,1] neg_hi:[0,0,1]
	v_pk_fma_f32 v[8:9], v[102:103], v[116:117], v[8:9] op_sel:[0,0,1] op_sel_hi:[1,0,0]
	v_mov_b32_e32 v13, v7
	v_pk_add_f32 v[2:3], v[2:3], v[10:11]
	v_pk_fma_f32 v[6:7], v[104:105], v[120:121], v[4:5] op_sel:[0,0,1] op_sel_hi:[1,1,0] neg_lo:[0,0,1] neg_hi:[0,0,1]
	v_pk_fma_f32 v[4:5], v[104:105], v[120:121], v[4:5] op_sel:[0,0,1] op_sel_hi:[1,0,0]
	v_mov_b32_e32 v15, v9
	v_pk_add_f32 v[2:3], v[2:3], v[12:13]
	s_waitcnt vmcnt(8)
	v_mov_b32_e32 v4, v119
	v_pk_add_f32 v[2:3], v[2:3], v[14:15]
	v_mov_b32_e32 v7, v5
	s_waitcnt lgkmcnt(1)
	v_pk_mul_f32 v[4:5], v[106:107], v[4:5] op_sel_hi:[1,0]
	v_pk_add_f32 v[2:3], v[2:3], v[6:7]
	v_pk_fma_f32 v[6:7], v[106:107], v[118:119], v[4:5] op_sel:[0,0,1] op_sel_hi:[1,1,0] neg_lo:[0,0,1] neg_hi:[0,0,1]
	v_pk_fma_f32 v[4:5], v[106:107], v[118:119], v[4:5] op_sel:[0,0,1] op_sel_hi:[1,0,0]
	s_waitcnt vmcnt(7)
	v_mov_b32_e32 v4, v123
	v_mov_b32_e32 v7, v5
	v_pk_mul_f32 v[4:5], v[108:109], v[4:5] op_sel_hi:[1,0]
	v_pk_add_f32 v[2:3], v[2:3], v[6:7]
	s_waitcnt vmcnt(4)
	v_pk_fma_f32 v[6:7], v[108:109], v[122:123], v[4:5] op_sel:[0,0,1] op_sel_hi:[1,1,0] neg_lo:[0,0,1] neg_hi:[0,0,1]
	v_pk_fma_f32 v[4:5], v[108:109], v[122:123], v[4:5] op_sel:[0,0,1] op_sel_hi:[1,0,0]
	s_waitcnt vmcnt(3)
	v_mov_b32_e32 v4, v127
	v_mov_b32_e32 v7, v5
	s_waitcnt lgkmcnt(0)
	v_pk_mul_f32 v[4:5], v[110:111], v[4:5] op_sel_hi:[1,0]
	v_pk_add_f32 v[2:3], v[2:3], v[6:7]
	v_pk_fma_f32 v[6:7], v[110:111], v[126:127], v[4:5] op_sel:[0,0,1] op_sel_hi:[1,1,0] neg_lo:[0,0,1] neg_hi:[0,0,1]
	v_pk_fma_f32 v[4:5], v[110:111], v[126:127], v[4:5] op_sel:[0,0,1] op_sel_hi:[1,0,0]
	s_waitcnt vmcnt(0)
	v_mov_b32_e32 v4, v125
	v_mov_b32_e32 v7, v5
	v_pk_mul_f32 v[4:5], v[112:113], v[4:5] op_sel_hi:[1,0]
	v_pk_add_f32 v[2:3], v[2:3], v[6:7]
	v_pk_fma_f32 v[6:7], v[112:113], v[124:125], v[4:5] op_sel:[0,0,1] op_sel_hi:[1,1,0] neg_lo:[0,0,1] neg_hi:[0,0,1]
	v_pk_fma_f32 v[4:5], v[112:113], v[124:125], v[4:5] op_sel:[0,0,1] op_sel_hi:[1,0,0]
	v_mov_b32_e32 v7, v5
	v_pk_add_f32 v[2:3], v[2:3], v[6:7]
	v_pk_add_f32 v[2:3], v[128:129], v[2:3] neg_lo:[0,1] neg_hi:[0,1]
	buffer_store_dword v3, off, s[0:3], 0 offset:204
	buffer_store_dword v2, off, s[0:3], 0 offset:200
	s_and_saveexec_b64 s[4:5], vcc
	s_cbranch_execz .LBB103_205
; %bb.204:
	buffer_load_dword v2, off, s[0:3], 0 offset:192
	buffer_load_dword v3, off, s[0:3], 0 offset:196
	v_mov_b32_e32 v4, 0
	buffer_store_dword v4, off, s[0:3], 0 offset:192
	buffer_store_dword v4, off, s[0:3], 0 offset:196
	s_waitcnt vmcnt(2)
	ds_write_b64 v1, v[2:3]
.LBB103_205:
	s_or_b64 exec, exec, s[4:5]
	s_waitcnt lgkmcnt(0)
	; wave barrier
	s_waitcnt lgkmcnt(0)
	buffer_load_dword v3, off, s[0:3], 0 offset:204
	buffer_load_dword v132, off, s[0:3], 0 offset:212
	;; [unrolled: 1-line block ×32, first 2 shown]
	v_mov_b32_e32 v2, 0
	ds_read2_b64 v[4:7], v2 offset0:65 offset1:66
	ds_read2_b64 v[8:11], v2 offset0:67 offset1:68
	;; [unrolled: 1-line block ×7, first 2 shown]
	ds_read_b64 v[130:131], v2 offset:632
	v_cmp_lt_u32_e32 vcc, 23, v0
	s_waitcnt vmcnt(31) lgkmcnt(7)
	v_mul_f32_e32 v147, v4, v3
	v_mul_f32_e32 v3, v5, v3
	s_waitcnt vmcnt(30)
	v_mul_f32_e32 v148, v6, v132
	s_waitcnt vmcnt(28) lgkmcnt(6)
	v_mul_f32_e32 v150, v10, v136
	s_waitcnt vmcnt(27) lgkmcnt(5)
	v_mul_f32_e32 v151, v12, v137
	v_mul_f32_e32 v152, v11, v136
	;; [unrolled: 1-line block ×3, first 2 shown]
	s_waitcnt vmcnt(24)
	v_mov_b32_e32 v136, v17
	v_mul_f32_e32 v149, v8, v134
	v_mul_f32_e32 v132, v7, v132
	s_waitcnt vmcnt(22)
	v_fmac_f32_e32 v147, v5, v140
	v_fma_f32 v3, v4, v140, -v3
	s_waitcnt lgkmcnt(4)
	v_pk_mul_f32 v[4:5], v[100:101], v[136:137] op_sel_hi:[1,0]
	v_mul_f32_e32 v134, v9, v134
	s_waitcnt vmcnt(21)
	v_fmac_f32_e32 v148, v7, v141
	s_waitcnt vmcnt(20)
	v_fmac_f32_e32 v149, v9, v142
	;; [unrolled: 2-line block ×3, first 2 shown]
	v_fma_f32 v9, v6, v141, -v132
	s_waitcnt vmcnt(18)
	v_fma_f32 v11, v12, v144, -v137
	v_add_f32_e32 v12, 0, v147
	v_add_f32_e32 v3, 0, v3
	s_waitcnt vmcnt(12)
	v_pk_fma_f32 v[6:7], v[100:101], v[16:17], v[4:5] op_sel:[0,0,1] op_sel_hi:[1,1,0] neg_lo:[0,0,1] neg_hi:[0,0,1]
	v_pk_fma_f32 v[4:5], v[100:101], v[16:17], v[4:5] op_sel:[0,0,1] op_sel_hi:[1,0,0]
	v_fma_f32 v8, v8, v142, -v134
	v_add_f32_e32 v4, v12, v148
	v_add_f32_e32 v3, v3, v9
	v_fma_f32 v10, v10, v143, -v152
	v_add_f32_e32 v4, v4, v149
	v_add_f32_e32 v3, v3, v8
	v_mul_f32_e32 v133, v14, v138
	v_mul_f32_e32 v153, v15, v138
	v_fmac_f32_e32 v151, v13, v144
	v_add_f32_e32 v4, v4, v150
	v_add_f32_e32 v3, v3, v10
	v_mul_f32_e32 v135, v98, v139
	v_mul_f32_e32 v139, v99, v139
	v_fmac_f32_e32 v133, v15, v145
	v_fma_f32 v132, v14, v145, -v153
	v_mov_b32_e32 v7, v5
	v_add_f32_e32 v5, v4, v151
	v_add_f32_e32 v4, v3, v11
	v_fmac_f32_e32 v135, v99, v146
	v_fma_f32 v134, v98, v146, -v139
	v_pk_add_f32 v[4:5], v[4:5], v[132:133]
	v_mov_b32_e32 v138, v115
	v_pk_add_f32 v[4:5], v[4:5], v[134:135]
	v_pk_add_f32 v[4:5], v[4:5], v[6:7]
	s_waitcnt lgkmcnt(3)
	v_pk_mul_f32 v[6:7], v[102:103], v[138:139] op_sel_hi:[1,0]
	v_pk_fma_f32 v[8:9], v[102:103], v[114:115], v[6:7] op_sel:[0,0,1] op_sel_hi:[1,1,0] neg_lo:[0,0,1] neg_hi:[0,0,1]
	v_pk_fma_f32 v[6:7], v[102:103], v[114:115], v[6:7] op_sel:[0,0,1] op_sel_hi:[1,0,0]
	s_waitcnt vmcnt(11)
	v_mov_b32_e32 v6, v119
	v_mov_b32_e32 v9, v7
	v_pk_mul_f32 v[6:7], v[104:105], v[6:7] op_sel_hi:[1,0]
	v_pk_add_f32 v[4:5], v[4:5], v[8:9]
	v_pk_fma_f32 v[8:9], v[104:105], v[118:119], v[6:7] op_sel:[0,0,1] op_sel_hi:[1,1,0] neg_lo:[0,0,1] neg_hi:[0,0,1]
	v_pk_fma_f32 v[6:7], v[104:105], v[118:119], v[6:7] op_sel:[0,0,1] op_sel_hi:[1,0,0]
	s_waitcnt vmcnt(10)
	v_mov_b32_e32 v6, v117
	v_mov_b32_e32 v9, v7
	s_waitcnt lgkmcnt(2)
	v_pk_mul_f32 v[6:7], v[106:107], v[6:7] op_sel_hi:[1,0]
	v_pk_add_f32 v[4:5], v[4:5], v[8:9]
	v_pk_fma_f32 v[8:9], v[106:107], v[116:117], v[6:7] op_sel:[0,0,1] op_sel_hi:[1,1,0] neg_lo:[0,0,1] neg_hi:[0,0,1]
	v_pk_fma_f32 v[6:7], v[106:107], v[116:117], v[6:7] op_sel:[0,0,1] op_sel_hi:[1,0,0]
	s_waitcnt vmcnt(9)
	v_mov_b32_e32 v6, v121
	v_mov_b32_e32 v9, v7
	v_pk_mul_f32 v[6:7], v[108:109], v[6:7] op_sel_hi:[1,0]
	v_pk_add_f32 v[4:5], v[4:5], v[8:9]
	s_waitcnt vmcnt(4)
	v_pk_fma_f32 v[8:9], v[108:109], v[120:121], v[6:7] op_sel:[0,0,1] op_sel_hi:[1,1,0] neg_lo:[0,0,1] neg_hi:[0,0,1]
	v_pk_fma_f32 v[6:7], v[108:109], v[120:121], v[6:7] op_sel:[0,0,1] op_sel_hi:[1,0,0]
	v_mov_b32_e32 v6, v127
	v_mov_b32_e32 v9, v7
	s_waitcnt lgkmcnt(1)
	v_pk_mul_f32 v[6:7], v[110:111], v[6:7] op_sel_hi:[1,0]
	v_pk_add_f32 v[4:5], v[4:5], v[8:9]
	v_pk_fma_f32 v[8:9], v[110:111], v[126:127], v[6:7] op_sel:[0,0,1] op_sel_hi:[1,1,0] neg_lo:[0,0,1] neg_hi:[0,0,1]
	v_pk_fma_f32 v[6:7], v[110:111], v[126:127], v[6:7] op_sel:[0,0,1] op_sel_hi:[1,0,0]
	s_waitcnt vmcnt(3)
	v_mov_b32_e32 v6, v125
	v_mov_b32_e32 v9, v7
	v_pk_mul_f32 v[6:7], v[112:113], v[6:7] op_sel_hi:[1,0]
	v_pk_add_f32 v[4:5], v[4:5], v[8:9]
	v_pk_fma_f32 v[8:9], v[112:113], v[124:125], v[6:7] op_sel:[0,0,1] op_sel_hi:[1,1,0] neg_lo:[0,0,1] neg_hi:[0,0,1]
	v_pk_fma_f32 v[6:7], v[112:113], v[124:125], v[6:7] op_sel:[0,0,1] op_sel_hi:[1,0,0]
	s_waitcnt vmcnt(0)
	v_mov_b32_e32 v6, v123
	v_mov_b32_e32 v9, v7
	s_waitcnt lgkmcnt(0)
	v_pk_mul_f32 v[6:7], v[130:131], v[6:7] op_sel_hi:[1,0]
	v_pk_add_f32 v[4:5], v[4:5], v[8:9]
	v_pk_fma_f32 v[8:9], v[130:131], v[122:123], v[6:7] op_sel:[0,0,1] op_sel_hi:[1,1,0] neg_lo:[0,0,1] neg_hi:[0,0,1]
	v_pk_fma_f32 v[6:7], v[130:131], v[122:123], v[6:7] op_sel:[0,0,1] op_sel_hi:[1,0,0]
	v_mov_b32_e32 v9, v7
	v_pk_add_f32 v[4:5], v[4:5], v[8:9]
	v_pk_add_f32 v[4:5], v[128:129], v[4:5] neg_lo:[0,1] neg_hi:[0,1]
	buffer_store_dword v5, off, s[0:3], 0 offset:196
	buffer_store_dword v4, off, s[0:3], 0 offset:192
	s_and_saveexec_b64 s[4:5], vcc
	s_cbranch_execz .LBB103_207
; %bb.206:
	buffer_load_dword v4, off, s[0:3], 0 offset:184
	buffer_load_dword v5, off, s[0:3], 0 offset:188
	s_waitcnt vmcnt(0)
	ds_write_b64 v1, v[4:5]
	buffer_store_dword v2, off, s[0:3], 0 offset:184
	buffer_store_dword v2, off, s[0:3], 0 offset:188
.LBB103_207:
	s_or_b64 exec, exec, s[4:5]
	s_waitcnt lgkmcnt(0)
	; wave barrier
	s_waitcnt lgkmcnt(0)
	buffer_load_dword v134, off, s[0:3], 0 offset:196
	buffer_load_dword v136, off, s[0:3], 0 offset:204
	;; [unrolled: 1-line block ×32, first 2 shown]
	ds_read_b128 v[4:7], v2 offset:512
	ds_read_b128 v[8:11], v2 offset:528
	;; [unrolled: 1-line block ×4, first 2 shown]
	buffer_load_dword v133, off, s[0:3], 0 offset:316
	buffer_load_dword v132, off, s[0:3], 0 offset:312
	ds_read_b128 v[102:105], v2 offset:576
	ds_read_b128 v[106:109], v2 offset:592
	;; [unrolled: 1-line block ×4, first 2 shown]
	v_cmp_lt_u32_e32 vcc, 22, v0
	s_waitcnt vmcnt(33) lgkmcnt(7)
	v_mul_f32_e32 v151, v4, v134
	v_mul_f32_e32 v2, v5, v134
	s_waitcnt vmcnt(32)
	v_mul_f32_e32 v152, v6, v136
	s_waitcnt vmcnt(31) lgkmcnt(6)
	v_mul_f32_e32 v153, v8, v137
	v_mul_f32_e32 v134, v7, v136
	;; [unrolled: 1-line block ×3, first 2 shown]
	s_waitcnt vmcnt(30)
	v_mul_f32_e32 v137, v11, v138
	v_mul_f32_e32 v154, v10, v138
	s_waitcnt vmcnt(25)
	v_fmac_f32_e32 v151, v5, v143
	v_fma_f32 v4, v4, v143, -v2
	s_waitcnt vmcnt(24)
	v_fmac_f32_e32 v152, v7, v144
	v_fma_f32 v5, v6, v144, -v134
	s_waitcnt vmcnt(22)
	v_fma_f32 v7, v10, v146, -v137
	v_add_f32_e32 v10, 0, v151
	v_add_f32_e32 v4, 0, v4
	v_fmac_f32_e32 v153, v9, v145
	v_fma_f32 v6, v8, v145, -v136
	v_add_f32_e32 v10, v10, v152
	v_add_f32_e32 v4, v4, v5
	s_waitcnt lgkmcnt(5)
	v_mul_f32_e32 v155, v12, v139
	v_mul_f32_e32 v138, v13, v139
	v_fmac_f32_e32 v154, v11, v146
	v_add_f32_e32 v5, v10, v153
	v_add_f32_e32 v4, v4, v6
	v_mul_f32_e32 v156, v14, v140
	v_mul_f32_e32 v139, v15, v140
	s_waitcnt vmcnt(21)
	v_fmac_f32_e32 v155, v13, v147
	v_fma_f32 v8, v12, v147, -v138
	v_add_f32_e32 v5, v5, v154
	v_add_f32_e32 v4, v4, v7
	s_waitcnt lgkmcnt(4)
	v_mul_f32_e32 v3, v98, v141
	v_mul_f32_e32 v140, v99, v141
	s_waitcnt vmcnt(20)
	v_fmac_f32_e32 v156, v15, v148
	v_fma_f32 v9, v14, v148, -v139
	v_add_f32_e32 v5, v5, v155
	v_add_f32_e32 v4, v4, v8
	s_waitcnt vmcnt(19)
	v_fmac_f32_e32 v3, v99, v149
	v_fma_f32 v2, v98, v149, -v140
	v_add_f32_e32 v5, v5, v156
	v_add_f32_e32 v4, v4, v9
	v_pk_add_f32 v[2:3], v[4:5], v[2:3]
	s_waitcnt vmcnt(17)
	v_mov_b32_e32 v4, v17
	s_waitcnt lgkmcnt(3)
	v_pk_mul_f32 v[4:5], v[102:103], v[4:5] op_sel_hi:[1,0]
	v_mul_f32_e32 v135, v100, v142
	v_mul_f32_e32 v141, v101, v142
	s_waitcnt vmcnt(14)
	v_pk_fma_f32 v[6:7], v[102:103], v[16:17], v[4:5] op_sel:[0,0,1] op_sel_hi:[1,1,0] neg_lo:[0,0,1] neg_hi:[0,0,1]
	v_pk_fma_f32 v[4:5], v[102:103], v[16:17], v[4:5] op_sel:[0,0,1] op_sel_hi:[1,0,0]
	v_fmac_f32_e32 v135, v101, v150
	v_fma_f32 v134, v100, v150, -v141
	s_waitcnt vmcnt(13)
	v_mov_b32_e32 v4, v121
	v_pk_add_f32 v[2:3], v[2:3], v[134:135]
	v_mov_b32_e32 v7, v5
	v_pk_mul_f32 v[4:5], v[104:105], v[4:5] op_sel_hi:[1,0]
	v_pk_add_f32 v[2:3], v[2:3], v[6:7]
	v_pk_fma_f32 v[6:7], v[104:105], v[120:121], v[4:5] op_sel:[0,0,1] op_sel_hi:[1,1,0] neg_lo:[0,0,1] neg_hi:[0,0,1]
	v_pk_fma_f32 v[4:5], v[104:105], v[120:121], v[4:5] op_sel:[0,0,1] op_sel_hi:[1,0,0]
	s_waitcnt vmcnt(12)
	v_mov_b32_e32 v4, v119
	v_mov_b32_e32 v7, v5
	s_waitcnt lgkmcnt(2)
	v_pk_mul_f32 v[4:5], v[106:107], v[4:5] op_sel_hi:[1,0]
	v_pk_add_f32 v[2:3], v[2:3], v[6:7]
	v_pk_fma_f32 v[6:7], v[106:107], v[118:119], v[4:5] op_sel:[0,0,1] op_sel_hi:[1,1,0] neg_lo:[0,0,1] neg_hi:[0,0,1]
	v_pk_fma_f32 v[4:5], v[106:107], v[118:119], v[4:5] op_sel:[0,0,1] op_sel_hi:[1,0,0]
	s_waitcnt vmcnt(11)
	v_mov_b32_e32 v4, v123
	v_mov_b32_e32 v7, v5
	v_pk_mul_f32 v[4:5], v[108:109], v[4:5] op_sel_hi:[1,0]
	v_pk_add_f32 v[2:3], v[2:3], v[6:7]
	s_waitcnt vmcnt(5)
	v_pk_fma_f32 v[6:7], v[108:109], v[122:123], v[4:5] op_sel:[0,0,1] op_sel_hi:[1,1,0] neg_lo:[0,0,1] neg_hi:[0,0,1]
	v_pk_fma_f32 v[4:5], v[108:109], v[122:123], v[4:5] op_sel:[0,0,1] op_sel_hi:[1,0,0]
	v_mov_b32_e32 v4, v129
	v_mov_b32_e32 v7, v5
	s_waitcnt lgkmcnt(1)
	v_pk_mul_f32 v[4:5], v[110:111], v[4:5] op_sel_hi:[1,0]
	v_pk_add_f32 v[2:3], v[2:3], v[6:7]
	v_pk_fma_f32 v[6:7], v[110:111], v[128:129], v[4:5] op_sel:[0,0,1] op_sel_hi:[1,1,0] neg_lo:[0,0,1] neg_hi:[0,0,1]
	v_pk_fma_f32 v[4:5], v[110:111], v[128:129], v[4:5] op_sel:[0,0,1] op_sel_hi:[1,0,0]
	v_mov_b32_e32 v4, v127
	v_mov_b32_e32 v7, v5
	v_pk_mul_f32 v[4:5], v[112:113], v[4:5] op_sel_hi:[1,0]
	v_pk_add_f32 v[2:3], v[2:3], v[6:7]
	v_pk_fma_f32 v[6:7], v[112:113], v[126:127], v[4:5] op_sel:[0,0,1] op_sel_hi:[1,1,0] neg_lo:[0,0,1] neg_hi:[0,0,1]
	v_pk_fma_f32 v[4:5], v[112:113], v[126:127], v[4:5] op_sel:[0,0,1] op_sel_hi:[1,0,0]
	s_waitcnt vmcnt(2)
	v_mov_b32_e32 v4, v125
	v_mov_b32_e32 v7, v5
	s_waitcnt lgkmcnt(0)
	v_pk_mul_f32 v[4:5], v[114:115], v[4:5] op_sel_hi:[1,0]
	v_pk_add_f32 v[2:3], v[2:3], v[6:7]
	v_pk_fma_f32 v[6:7], v[114:115], v[124:125], v[4:5] op_sel:[0,0,1] op_sel_hi:[1,1,0] neg_lo:[0,0,1] neg_hi:[0,0,1]
	v_pk_fma_f32 v[4:5], v[114:115], v[124:125], v[4:5] op_sel:[0,0,1] op_sel_hi:[1,0,0]
	s_waitcnt vmcnt(1)
	v_mov_b32_e32 v4, v133
	v_mov_b32_e32 v7, v5
	v_pk_mul_f32 v[4:5], v[116:117], v[4:5] op_sel_hi:[1,0]
	v_pk_add_f32 v[2:3], v[2:3], v[6:7]
	s_waitcnt vmcnt(0)
	v_pk_fma_f32 v[6:7], v[116:117], v[132:133], v[4:5] op_sel:[0,0,1] op_sel_hi:[1,1,0] neg_lo:[0,0,1] neg_hi:[0,0,1]
	v_pk_fma_f32 v[4:5], v[116:117], v[132:133], v[4:5] op_sel:[0,0,1] op_sel_hi:[1,0,0]
	v_mov_b32_e32 v7, v5
	v_pk_add_f32 v[2:3], v[2:3], v[6:7]
	v_pk_add_f32 v[2:3], v[130:131], v[2:3] neg_lo:[0,1] neg_hi:[0,1]
	buffer_store_dword v3, off, s[0:3], 0 offset:188
	buffer_store_dword v2, off, s[0:3], 0 offset:184
	s_and_saveexec_b64 s[4:5], vcc
	s_cbranch_execz .LBB103_209
; %bb.208:
	buffer_load_dword v2, off, s[0:3], 0 offset:176
	buffer_load_dword v3, off, s[0:3], 0 offset:180
	v_mov_b32_e32 v4, 0
	buffer_store_dword v4, off, s[0:3], 0 offset:176
	buffer_store_dword v4, off, s[0:3], 0 offset:180
	s_waitcnt vmcnt(2)
	ds_write_b64 v1, v[2:3]
.LBB103_209:
	s_or_b64 exec, exec, s[4:5]
	s_waitcnt lgkmcnt(0)
	; wave barrier
	s_waitcnt lgkmcnt(0)
	buffer_load_dword v3, off, s[0:3], 0 offset:188
	buffer_load_dword v126, off, s[0:3], 0 offset:196
	;; [unrolled: 1-line block ×36, first 2 shown]
	v_mov_b32_e32 v2, 0
	ds_read2_b64 v[4:7], v2 offset0:63 offset1:64
	ds_read2_b64 v[8:11], v2 offset0:65 offset1:66
	;; [unrolled: 1-line block ×6, first 2 shown]
	v_cmp_lt_u32_e32 vcc, 21, v0
	s_waitcnt vmcnt(35) lgkmcnt(5)
	v_mul_f32_e32 v145, v4, v3
	s_waitcnt vmcnt(34)
	v_mul_f32_e32 v146, v6, v126
	s_waitcnt vmcnt(33) lgkmcnt(4)
	v_mul_f32_e32 v147, v8, v128
	v_mul_f32_e32 v3, v5, v3
	;; [unrolled: 1-line block ×4, first 2 shown]
	s_waitcnt vmcnt(32)
	v_mul_f32_e32 v148, v10, v130
	s_waitcnt vmcnt(31) lgkmcnt(3)
	v_mul_f32_e32 v149, v12, v131
	v_mul_f32_e32 v130, v11, v130
	s_waitcnt vmcnt(26)
	v_fmac_f32_e32 v145, v5, v136
	s_waitcnt vmcnt(25)
	v_fmac_f32_e32 v146, v7, v137
	;; [unrolled: 2-line block ×3, first 2 shown]
	v_fma_f32 v3, v4, v136, -v3
	v_add_f32_e32 v9, 0, v145
	v_fma_f32 v4, v6, v137, -v126
	v_add_f32_e32 v3, 0, v3
	v_add_f32_e32 v9, v9, v146
	s_waitcnt vmcnt(23)
	v_fmac_f32_e32 v148, v11, v139
	v_fma_f32 v5, v8, v138, -v128
	v_add_f32_e32 v3, v3, v4
	v_add_f32_e32 v4, v9, v147
	v_mul_f32_e32 v150, v14, v132
	v_mul_f32_e32 v131, v13, v131
	s_waitcnt vmcnt(22)
	v_fmac_f32_e32 v149, v13, v140
	v_fma_f32 v6, v10, v139, -v130
	v_add_f32_e32 v3, v3, v5
	v_add_f32_e32 v4, v4, v148
	s_waitcnt lgkmcnt(2)
	v_mul_f32_e32 v151, v98, v133
	v_mul_f32_e32 v132, v15, v132
	s_waitcnt vmcnt(21)
	v_fmac_f32_e32 v150, v15, v141
	v_fma_f32 v7, v12, v140, -v131
	v_add_f32_e32 v3, v3, v6
	v_add_f32_e32 v4, v4, v149
	v_mul_f32_e32 v133, v99, v133
	s_waitcnt vmcnt(20)
	v_fmac_f32_e32 v151, v99, v142
	v_fma_f32 v8, v14, v141, -v132
	v_add_f32_e32 v3, v3, v7
	v_add_f32_e32 v4, v4, v150
	;; [unrolled: 1-line block ×4, first 2 shown]
	v_fma_f32 v4, v98, v142, -v133
	s_waitcnt vmcnt(17)
	v_mov_b32_e32 v98, v17
	v_mul_f32_e32 v127, v100, v134
	v_add_f32_e32 v12, v3, v4
	v_mul_f32_e32 v3, v101, v134
	s_waitcnt lgkmcnt(1)
	v_pk_mul_f32 v[98:99], v[104:105], v[98:99] op_sel_hi:[1,0]
	v_fmac_f32_e32 v127, v101, v143
	v_fma_f32 v126, v100, v143, -v3
	s_waitcnt vmcnt(15)
	v_pk_fma_f32 v[100:101], v[104:105], v[16:17], v[98:99] op_sel:[0,0,1] op_sel_hi:[1,1,0] neg_lo:[0,0,1] neg_hi:[0,0,1]
	v_pk_fma_f32 v[16:17], v[104:105], v[16:17], v[98:99] op_sel:[0,0,1] op_sel_hi:[1,0,0]
	s_waitcnt vmcnt(12)
	v_mov_b32_e32 v16, v111
	v_mul_f32_e32 v129, v102, v135
	v_mul_f32_e32 v3, v103, v135
	v_mov_b32_e32 v101, v17
	s_waitcnt lgkmcnt(0)
	v_pk_mul_f32 v[16:17], v[106:107], v[16:17] op_sel_hi:[1,0]
	v_fmac_f32_e32 v129, v103, v144
	v_fma_f32 v128, v102, v144, -v3
	v_pk_add_f32 v[12:13], v[12:13], v[126:127]
	v_pk_fma_f32 v[98:99], v[106:107], v[110:111], v[16:17] op_sel:[0,0,1] op_sel_hi:[1,1,0] neg_lo:[0,0,1] neg_hi:[0,0,1]
	v_pk_fma_f32 v[16:17], v[106:107], v[110:111], v[16:17] op_sel:[0,0,1] op_sel_hi:[1,0,0]
	v_pk_add_f32 v[12:13], v[12:13], v[128:129]
	s_waitcnt vmcnt(11)
	v_mov_b32_e32 v16, v115
	ds_read2_b64 v[4:7], v2 offset0:75 offset1:76
	ds_read2_b64 v[8:11], v2 offset0:77 offset1:78
	ds_read_b64 v[14:15], v2 offset:632
	v_pk_add_f32 v[12:13], v[12:13], v[100:101]
	v_mov_b32_e32 v99, v17
	v_pk_mul_f32 v[16:17], v[108:109], v[16:17] op_sel_hi:[1,0]
	v_pk_add_f32 v[12:13], v[12:13], v[98:99]
	s_waitcnt vmcnt(4)
	v_pk_fma_f32 v[98:99], v[108:109], v[114:115], v[16:17] op_sel:[0,0,1] op_sel_hi:[1,1,0] neg_lo:[0,0,1] neg_hi:[0,0,1]
	v_pk_fma_f32 v[16:17], v[108:109], v[114:115], v[16:17] op_sel:[0,0,1] op_sel_hi:[1,0,0]
	v_mov_b32_e32 v16, v121
	v_mov_b32_e32 v99, v17
	s_waitcnt lgkmcnt(2)
	v_pk_mul_f32 v[16:17], v[4:5], v[16:17] op_sel_hi:[1,0]
	v_pk_add_f32 v[12:13], v[12:13], v[98:99]
	v_pk_fma_f32 v[98:99], v[4:5], v[120:121], v[16:17] op_sel:[0,0,1] op_sel_hi:[1,1,0] neg_lo:[0,0,1] neg_hi:[0,0,1]
	v_pk_fma_f32 v[4:5], v[4:5], v[120:121], v[16:17] op_sel:[0,0,1] op_sel_hi:[1,0,0]
	v_mov_b32_e32 v99, v5
	v_pk_add_f32 v[4:5], v[12:13], v[98:99]
	v_mov_b32_e32 v12, v119
	v_pk_mul_f32 v[12:13], v[6:7], v[12:13] op_sel_hi:[1,0]
	v_pk_fma_f32 v[16:17], v[6:7], v[118:119], v[12:13] op_sel:[0,0,1] op_sel_hi:[1,1,0] neg_lo:[0,0,1] neg_hi:[0,0,1]
	v_pk_fma_f32 v[6:7], v[6:7], v[118:119], v[12:13] op_sel:[0,0,1] op_sel_hi:[1,0,0]
	v_mov_b32_e32 v6, v117
	v_mov_b32_e32 v17, v7
	s_waitcnt lgkmcnt(1)
	v_pk_mul_f32 v[6:7], v[8:9], v[6:7] op_sel_hi:[1,0]
	v_pk_fma_f32 v[12:13], v[8:9], v[116:117], v[6:7] op_sel:[0,0,1] op_sel_hi:[1,1,0] neg_lo:[0,0,1] neg_hi:[0,0,1]
	v_pk_fma_f32 v[6:7], v[8:9], v[116:117], v[6:7] op_sel:[0,0,1] op_sel_hi:[1,0,0]
	s_waitcnt vmcnt(1)
	v_mov_b32_e32 v6, v125
	v_mov_b32_e32 v13, v7
	v_pk_mul_f32 v[6:7], v[10:11], v[6:7] op_sel_hi:[1,0]
	s_waitcnt vmcnt(0)
	v_pk_fma_f32 v[8:9], v[10:11], v[124:125], v[6:7] op_sel:[0,0,1] op_sel_hi:[1,1,0] neg_lo:[0,0,1] neg_hi:[0,0,1]
	v_pk_fma_f32 v[6:7], v[10:11], v[124:125], v[6:7] op_sel:[0,0,1] op_sel_hi:[1,0,0]
	v_pk_add_f32 v[4:5], v[4:5], v[16:17]
	v_mov_b32_e32 v6, v123
	v_pk_add_f32 v[4:5], v[4:5], v[12:13]
	v_mov_b32_e32 v9, v7
	s_waitcnt lgkmcnt(0)
	v_pk_mul_f32 v[6:7], v[14:15], v[6:7] op_sel_hi:[1,0]
	v_pk_add_f32 v[4:5], v[4:5], v[8:9]
	v_pk_fma_f32 v[8:9], v[14:15], v[122:123], v[6:7] op_sel:[0,0,1] op_sel_hi:[1,1,0] neg_lo:[0,0,1] neg_hi:[0,0,1]
	v_pk_fma_f32 v[6:7], v[14:15], v[122:123], v[6:7] op_sel:[0,0,1] op_sel_hi:[1,0,0]
	v_mov_b32_e32 v9, v7
	v_pk_add_f32 v[4:5], v[4:5], v[8:9]
	v_pk_add_f32 v[4:5], v[112:113], v[4:5] neg_lo:[0,1] neg_hi:[0,1]
	buffer_store_dword v5, off, s[0:3], 0 offset:180
	buffer_store_dword v4, off, s[0:3], 0 offset:176
	s_and_saveexec_b64 s[4:5], vcc
	s_cbranch_execz .LBB103_211
; %bb.210:
	buffer_load_dword v4, off, s[0:3], 0 offset:168
	buffer_load_dword v5, off, s[0:3], 0 offset:172
	s_waitcnt vmcnt(0)
	ds_write_b64 v1, v[4:5]
	buffer_store_dword v2, off, s[0:3], 0 offset:168
	buffer_store_dword v2, off, s[0:3], 0 offset:172
.LBB103_211:
	s_or_b64 exec, exec, s[4:5]
	s_waitcnt lgkmcnt(0)
	; wave barrier
	s_waitcnt lgkmcnt(0)
	buffer_load_dword v3, off, s[0:3], 0 offset:180
	buffer_load_dword v126, off, s[0:3], 0 offset:188
	;; [unrolled: 1-line block ×22, first 2 shown]
	ds_read_b128 v[4:7], v2 offset:496
	ds_read_b128 v[8:11], v2 offset:512
	buffer_load_dword v111, off, s[0:3], 0 offset:260
	buffer_load_dword v110, off, s[0:3], 0 offset:256
	;; [unrolled: 1-line block ×10, first 2 shown]
	ds_read_b128 v[12:15], v2 offset:528
	ds_read_b128 v[98:101], v2 offset:544
	;; [unrolled: 1-line block ×4, first 2 shown]
	buffer_load_dword v121, off, s[0:3], 0 offset:316
	buffer_load_dword v120, off, s[0:3], 0 offset:312
	;; [unrolled: 1-line block ×6, first 2 shown]
	v_cmp_lt_u32_e32 vcc, 20, v0
	s_waitcnt vmcnt(37) lgkmcnt(5)
	v_mul_f32_e32 v147, v4, v3
	s_waitcnt vmcnt(36)
	v_mul_f32_e32 v148, v6, v126
	s_waitcnt vmcnt(35) lgkmcnt(4)
	v_mul_f32_e32 v149, v8, v128
	v_mul_f32_e32 v3, v5, v3
	;; [unrolled: 1-line block ×4, first 2 shown]
	s_waitcnt vmcnt(34)
	v_mul_f32_e32 v150, v10, v130
	s_waitcnt vmcnt(33) lgkmcnt(3)
	v_mul_f32_e32 v151, v12, v131
	s_waitcnt vmcnt(32)
	v_mul_f32_e32 v152, v14, v132
	s_waitcnt vmcnt(31) lgkmcnt(2)
	v_mul_f32_e32 v153, v98, v133
	s_waitcnt vmcnt(27)
	v_fmac_f32_e32 v147, v5, v137
	s_waitcnt vmcnt(26)
	v_fmac_f32_e32 v148, v7, v138
	v_fma_f32 v3, v4, v137, -v3
	s_waitcnt vmcnt(25)
	v_fma_f32 v5, v8, v139, -v128
	v_add_f32_e32 v8, 0, v147
	v_fmac_f32_e32 v149, v9, v139
	v_fma_f32 v4, v6, v138, -v126
	v_add_f32_e32 v3, 0, v3
	v_add_f32_e32 v8, v8, v148
	s_waitcnt vmcnt(24)
	v_fmac_f32_e32 v150, v11, v140
	v_add_f32_e32 v3, v3, v4
	v_add_f32_e32 v4, v8, v149
	s_waitcnt vmcnt(23)
	v_fmac_f32_e32 v151, v13, v141
	v_add_f32_e32 v4, v4, v150
	v_mul_f32_e32 v130, v11, v130
	s_waitcnt vmcnt(22)
	v_fmac_f32_e32 v152, v15, v142
	v_add_f32_e32 v4, v4, v151
	v_mul_f32_e32 v154, v100, v134
	v_mul_f32_e32 v131, v13, v131
	s_waitcnt vmcnt(21)
	v_fmac_f32_e32 v153, v99, v143
	v_fma_f32 v6, v10, v140, -v130
	v_add_f32_e32 v3, v3, v5
	v_add_f32_e32 v4, v4, v152
	v_mul_f32_e32 v132, v15, v132
	s_waitcnt vmcnt(20)
	v_fmac_f32_e32 v154, v101, v144
	v_fma_f32 v7, v12, v141, -v131
	v_add_f32_e32 v3, v3, v6
	v_add_f32_e32 v4, v4, v153
	;; [unrolled: 1-line block ×4, first 2 shown]
	v_fma_f32 v4, v14, v142, -v132
	v_add_f32_e32 v3, v3, v4
	v_mul_f32_e32 v4, v99, v133
	v_fma_f32 v4, v98, v143, -v4
	v_add_f32_e32 v3, v3, v4
	v_mul_f32_e32 v4, v101, v134
	v_fma_f32 v4, v100, v144, -v4
	s_waitcnt vmcnt(15)
	v_mov_b32_e32 v98, v111
	s_waitcnt lgkmcnt(1)
	v_mul_f32_e32 v127, v102, v135
	v_add_f32_e32 v130, v3, v4
	v_mul_f32_e32 v3, v103, v135
	s_waitcnt lgkmcnt(0)
	v_pk_mul_f32 v[98:99], v[106:107], v[98:99] op_sel_hi:[1,0]
	v_mul_f32_e32 v129, v104, v136
	v_fmac_f32_e32 v127, v103, v145
	v_fma_f32 v126, v102, v145, -v3
	v_mul_f32_e32 v3, v105, v136
	s_waitcnt vmcnt(14)
	v_pk_fma_f32 v[100:101], v[106:107], v[110:111], v[98:99] op_sel:[0,0,1] op_sel_hi:[1,1,0] neg_lo:[0,0,1] neg_hi:[0,0,1]
	v_pk_fma_f32 v[98:99], v[106:107], v[110:111], v[98:99] op_sel:[0,0,1] op_sel_hi:[1,0,0]
	v_fmac_f32_e32 v129, v105, v146
	v_fma_f32 v128, v104, v146, -v3
	ds_read_b128 v[4:7], v2 offset:592
	ds_read_b128 v[8:11], v2 offset:608
	;; [unrolled: 1-line block ×3, first 2 shown]
	v_pk_add_f32 v[2:3], v[130:131], v[126:127]
	s_waitcnt vmcnt(13)
	v_mov_b32_e32 v98, v113
	v_pk_add_f32 v[2:3], v[2:3], v[128:129]
	v_mov_b32_e32 v101, v99
	v_pk_mul_f32 v[98:99], v[108:109], v[98:99] op_sel_hi:[1,0]
	v_pk_add_f32 v[2:3], v[2:3], v[100:101]
	s_waitcnt vmcnt(6)
	v_pk_fma_f32 v[100:101], v[108:109], v[112:113], v[98:99] op_sel:[0,0,1] op_sel_hi:[1,1,0] neg_lo:[0,0,1] neg_hi:[0,0,1]
	v_pk_fma_f32 v[98:99], v[108:109], v[112:113], v[98:99] op_sel:[0,0,1] op_sel_hi:[1,0,0]
	v_mov_b32_e32 v98, v119
	v_mov_b32_e32 v101, v99
	s_waitcnt lgkmcnt(2)
	v_pk_mul_f32 v[98:99], v[4:5], v[98:99] op_sel_hi:[1,0]
	v_pk_add_f32 v[2:3], v[2:3], v[100:101]
	v_pk_fma_f32 v[100:101], v[4:5], v[118:119], v[98:99] op_sel:[0,0,1] op_sel_hi:[1,1,0] neg_lo:[0,0,1] neg_hi:[0,0,1]
	v_pk_fma_f32 v[4:5], v[4:5], v[118:119], v[98:99] op_sel:[0,0,1] op_sel_hi:[1,0,0]
	v_mov_b32_e32 v4, v117
	v_mov_b32_e32 v101, v5
	v_pk_mul_f32 v[4:5], v[6:7], v[4:5] op_sel_hi:[1,0]
	v_pk_fma_f32 v[98:99], v[6:7], v[116:117], v[4:5] op_sel:[0,0,1] op_sel_hi:[1,1,0] neg_lo:[0,0,1] neg_hi:[0,0,1]
	v_pk_fma_f32 v[4:5], v[6:7], v[116:117], v[4:5] op_sel:[0,0,1] op_sel_hi:[1,0,0]
	v_mov_b32_e32 v4, v115
	v_mov_b32_e32 v99, v5
	s_waitcnt lgkmcnt(1)
	v_pk_mul_f32 v[4:5], v[8:9], v[4:5] op_sel_hi:[1,0]
	v_pk_fma_f32 v[6:7], v[8:9], v[114:115], v[4:5] op_sel:[0,0,1] op_sel_hi:[1,1,0] neg_lo:[0,0,1] neg_hi:[0,0,1]
	v_pk_fma_f32 v[4:5], v[8:9], v[114:115], v[4:5] op_sel:[0,0,1] op_sel_hi:[1,0,0]
	v_pk_add_f32 v[2:3], v[2:3], v[100:101]
	s_waitcnt vmcnt(1)
	v_mov_b32_e32 v4, v125
	v_pk_add_f32 v[2:3], v[2:3], v[98:99]
	v_mov_b32_e32 v7, v5
	v_pk_mul_f32 v[4:5], v[10:11], v[4:5] op_sel_hi:[1,0]
	v_pk_add_f32 v[2:3], v[2:3], v[6:7]
	s_waitcnt vmcnt(0)
	v_pk_fma_f32 v[6:7], v[10:11], v[124:125], v[4:5] op_sel:[0,0,1] op_sel_hi:[1,1,0] neg_lo:[0,0,1] neg_hi:[0,0,1]
	v_pk_fma_f32 v[4:5], v[10:11], v[124:125], v[4:5] op_sel:[0,0,1] op_sel_hi:[1,0,0]
	v_mov_b32_e32 v4, v123
	v_mov_b32_e32 v7, v5
	s_waitcnt lgkmcnt(0)
	v_pk_mul_f32 v[4:5], v[12:13], v[4:5] op_sel_hi:[1,0]
	v_pk_add_f32 v[2:3], v[2:3], v[6:7]
	v_pk_fma_f32 v[6:7], v[12:13], v[122:123], v[4:5] op_sel:[0,0,1] op_sel_hi:[1,1,0] neg_lo:[0,0,1] neg_hi:[0,0,1]
	v_pk_fma_f32 v[4:5], v[12:13], v[122:123], v[4:5] op_sel:[0,0,1] op_sel_hi:[1,0,0]
	v_mov_b32_e32 v4, v121
	v_mov_b32_e32 v7, v5
	v_pk_mul_f32 v[4:5], v[14:15], v[4:5] op_sel_hi:[1,0]
	v_pk_add_f32 v[2:3], v[2:3], v[6:7]
	v_pk_fma_f32 v[6:7], v[14:15], v[120:121], v[4:5] op_sel:[0,0,1] op_sel_hi:[1,1,0] neg_lo:[0,0,1] neg_hi:[0,0,1]
	v_pk_fma_f32 v[4:5], v[14:15], v[120:121], v[4:5] op_sel:[0,0,1] op_sel_hi:[1,0,0]
	v_mov_b32_e32 v7, v5
	v_pk_add_f32 v[2:3], v[2:3], v[6:7]
	v_pk_add_f32 v[2:3], v[16:17], v[2:3] neg_lo:[0,1] neg_hi:[0,1]
	buffer_store_dword v3, off, s[0:3], 0 offset:172
	buffer_store_dword v2, off, s[0:3], 0 offset:168
	s_and_saveexec_b64 s[4:5], vcc
	s_cbranch_execz .LBB103_213
; %bb.212:
	buffer_load_dword v2, off, s[0:3], 0 offset:160
	buffer_load_dword v3, off, s[0:3], 0 offset:164
	v_mov_b32_e32 v4, 0
	buffer_store_dword v4, off, s[0:3], 0 offset:160
	buffer_store_dword v4, off, s[0:3], 0 offset:164
	s_waitcnt vmcnt(2)
	ds_write_b64 v1, v[2:3]
.LBB103_213:
	s_or_b64 exec, exec, s[4:5]
	s_waitcnt lgkmcnt(0)
	; wave barrier
	s_waitcnt lgkmcnt(0)
	buffer_load_dword v3, off, s[0:3], 0 offset:172
	buffer_load_dword v126, off, s[0:3], 0 offset:180
	;; [unrolled: 1-line block ×40, first 2 shown]
	v_mov_b32_e32 v2, 0
	ds_read2_b64 v[4:7], v2 offset0:61 offset1:62
	ds_read2_b64 v[8:11], v2 offset0:63 offset1:64
	;; [unrolled: 1-line block ×6, first 2 shown]
	v_cmp_lt_u32_e32 vcc, 19, v0
	s_waitcnt vmcnt(39) lgkmcnt(5)
	v_mul_f32_e32 v149, v4, v3
	s_waitcnt vmcnt(38)
	v_mul_f32_e32 v150, v6, v126
	v_mul_f32_e32 v3, v5, v3
	s_waitcnt vmcnt(37) lgkmcnt(4)
	v_mul_f32_e32 v151, v8, v128
	v_mul_f32_e32 v126, v7, v126
	s_waitcnt vmcnt(36)
	v_mul_f32_e32 v152, v10, v130
	s_waitcnt vmcnt(35) lgkmcnt(3)
	v_mul_f32_e32 v153, v12, v132
	s_waitcnt vmcnt(34)
	v_mul_f32_e32 v154, v14, v133
	s_waitcnt vmcnt(33) lgkmcnt(2)
	;; [unrolled: 4-line block ×3, first 2 shown]
	v_mul_f32_e32 v157, v102, v136
	s_waitcnt vmcnt(28)
	v_fmac_f32_e32 v149, v5, v131
	s_waitcnt vmcnt(27)
	v_fmac_f32_e32 v150, v7, v139
	v_fma_f32 v3, v4, v131, -v3
	v_add_f32_e32 v7, 0, v149
	s_waitcnt vmcnt(26)
	v_fmac_f32_e32 v151, v9, v140
	v_fma_f32 v4, v6, v139, -v126
	v_add_f32_e32 v3, 0, v3
	v_add_f32_e32 v7, v7, v150
	s_waitcnt vmcnt(25)
	v_fmac_f32_e32 v152, v11, v141
	v_add_f32_e32 v3, v3, v4
	v_add_f32_e32 v4, v7, v151
	s_waitcnt vmcnt(24)
	v_fmac_f32_e32 v153, v13, v142
	v_add_f32_e32 v4, v4, v152
	s_waitcnt vmcnt(23)
	v_fmac_f32_e32 v154, v15, v143
	;; [unrolled: 3-line block ×3, first 2 shown]
	v_add_f32_e32 v4, v4, v154
	v_mul_f32_e32 v128, v9, v128
	s_waitcnt vmcnt(21)
	v_fmac_f32_e32 v156, v101, v145
	v_add_f32_e32 v4, v4, v155
	v_mul_f32_e32 v130, v11, v130
	s_waitcnt vmcnt(20)
	v_fmac_f32_e32 v157, v103, v146
	v_fma_f32 v5, v8, v140, -v128
	v_add_f32_e32 v4, v4, v156
	v_fma_f32 v6, v10, v141, -v130
	v_add_f32_e32 v3, v3, v5
	v_add_f32_e32 v131, v4, v157
	v_mul_f32_e32 v4, v13, v132
	v_add_f32_e32 v3, v3, v6
	v_fma_f32 v4, v12, v142, -v4
	v_add_f32_e32 v3, v3, v4
	v_mul_f32_e32 v4, v15, v133
	v_fma_f32 v4, v14, v143, -v4
	v_add_f32_e32 v3, v3, v4
	v_mul_f32_e32 v4, v99, v134
	v_fma_f32 v4, v98, v144, -v4
	v_add_f32_e32 v3, v3, v4
	v_mul_f32_e32 v4, v101, v135
	v_fma_f32 v4, v100, v145, -v4
	v_add_f32_e32 v3, v3, v4
	v_mul_f32_e32 v4, v103, v136
	v_fma_f32 v4, v102, v146, -v4
	s_waitcnt vmcnt(9)
	v_mov_b32_e32 v102, v117
	v_mul_f32_e32 v127, v104, v137
	v_add_f32_e32 v130, v3, v4
	v_mul_f32_e32 v3, v105, v137
	s_waitcnt lgkmcnt(0)
	v_pk_mul_f32 v[102:103], v[108:109], v[102:103] op_sel_hi:[1,0]
	v_mul_f32_e32 v129, v106, v138
	v_fmac_f32_e32 v127, v105, v147
	v_fma_f32 v126, v104, v147, -v3
	v_mul_f32_e32 v3, v107, v138
	ds_read2_b64 v[4:7], v2 offset0:73 offset1:74
	ds_read2_b64 v[8:11], v2 offset0:75 offset1:76
	;; [unrolled: 1-line block ×3, first 2 shown]
	ds_read_b64 v[98:99], v2 offset:632
	s_waitcnt vmcnt(8)
	v_pk_fma_f32 v[104:105], v[108:109], v[116:117], v[102:103] op_sel:[0,0,1] op_sel_hi:[1,1,0] neg_lo:[0,0,1] neg_hi:[0,0,1]
	v_pk_fma_f32 v[102:103], v[108:109], v[116:117], v[102:103] op_sel:[0,0,1] op_sel_hi:[1,0,0]
	v_fmac_f32_e32 v129, v107, v148
	v_fma_f32 v128, v106, v148, -v3
	v_pk_add_f32 v[100:101], v[130:131], v[126:127]
	v_mov_b32_e32 v102, v115
	v_pk_add_f32 v[100:101], v[100:101], v[128:129]
	v_mov_b32_e32 v105, v103
	s_waitcnt lgkmcnt(3)
	v_pk_mul_f32 v[102:103], v[4:5], v[102:103] op_sel_hi:[1,0]
	v_pk_add_f32 v[100:101], v[100:101], v[104:105]
	v_pk_fma_f32 v[104:105], v[4:5], v[114:115], v[102:103] op_sel:[0,0,1] op_sel_hi:[1,1,0] neg_lo:[0,0,1] neg_hi:[0,0,1]
	v_pk_fma_f32 v[4:5], v[4:5], v[114:115], v[102:103] op_sel:[0,0,1] op_sel_hi:[1,0,0]
	v_mov_b32_e32 v105, v5
	v_pk_add_f32 v[4:5], v[100:101], v[104:105]
	v_mov_b32_e32 v100, v113
	v_pk_mul_f32 v[100:101], v[6:7], v[100:101] op_sel_hi:[1,0]
	v_pk_fma_f32 v[102:103], v[6:7], v[112:113], v[100:101] op_sel:[0,0,1] op_sel_hi:[1,1,0] neg_lo:[0,0,1] neg_hi:[0,0,1]
	v_pk_fma_f32 v[6:7], v[6:7], v[112:113], v[100:101] op_sel:[0,0,1] op_sel_hi:[1,0,0]
	v_mov_b32_e32 v6, v111
	v_mov_b32_e32 v103, v7
	s_waitcnt lgkmcnt(2)
	v_pk_mul_f32 v[6:7], v[8:9], v[6:7] op_sel_hi:[1,0]
	v_pk_fma_f32 v[100:101], v[8:9], v[110:111], v[6:7] op_sel:[0,0,1] op_sel_hi:[1,1,0] neg_lo:[0,0,1] neg_hi:[0,0,1]
	v_pk_fma_f32 v[6:7], v[8:9], v[110:111], v[6:7] op_sel:[0,0,1] op_sel_hi:[1,0,0]
	s_waitcnt vmcnt(1)
	v_mov_b32_e32 v6, v125
	v_mov_b32_e32 v101, v7
	v_pk_mul_f32 v[6:7], v[10:11], v[6:7] op_sel_hi:[1,0]
	s_waitcnt vmcnt(0)
	v_pk_fma_f32 v[8:9], v[10:11], v[124:125], v[6:7] op_sel:[0,0,1] op_sel_hi:[1,1,0] neg_lo:[0,0,1] neg_hi:[0,0,1]
	v_pk_fma_f32 v[6:7], v[10:11], v[124:125], v[6:7] op_sel:[0,0,1] op_sel_hi:[1,0,0]
	v_pk_add_f32 v[4:5], v[4:5], v[102:103]
	v_mov_b32_e32 v6, v123
	v_pk_add_f32 v[4:5], v[4:5], v[100:101]
	v_mov_b32_e32 v9, v7
	s_waitcnt lgkmcnt(1)
	v_pk_mul_f32 v[6:7], v[12:13], v[6:7] op_sel_hi:[1,0]
	v_pk_add_f32 v[4:5], v[4:5], v[8:9]
	v_pk_fma_f32 v[8:9], v[12:13], v[122:123], v[6:7] op_sel:[0,0,1] op_sel_hi:[1,1,0] neg_lo:[0,0,1] neg_hi:[0,0,1]
	v_pk_fma_f32 v[6:7], v[12:13], v[122:123], v[6:7] op_sel:[0,0,1] op_sel_hi:[1,0,0]
	v_mov_b32_e32 v6, v121
	v_mov_b32_e32 v9, v7
	v_pk_mul_f32 v[6:7], v[14:15], v[6:7] op_sel_hi:[1,0]
	v_pk_add_f32 v[4:5], v[4:5], v[8:9]
	v_pk_fma_f32 v[8:9], v[14:15], v[120:121], v[6:7] op_sel:[0,0,1] op_sel_hi:[1,1,0] neg_lo:[0,0,1] neg_hi:[0,0,1]
	v_pk_fma_f32 v[6:7], v[14:15], v[120:121], v[6:7] op_sel:[0,0,1] op_sel_hi:[1,0,0]
	v_mov_b32_e32 v6, v119
	v_mov_b32_e32 v9, v7
	s_waitcnt lgkmcnt(0)
	v_pk_mul_f32 v[6:7], v[98:99], v[6:7] op_sel_hi:[1,0]
	v_pk_add_f32 v[4:5], v[4:5], v[8:9]
	v_pk_fma_f32 v[8:9], v[98:99], v[118:119], v[6:7] op_sel:[0,0,1] op_sel_hi:[1,1,0] neg_lo:[0,0,1] neg_hi:[0,0,1]
	v_pk_fma_f32 v[6:7], v[98:99], v[118:119], v[6:7] op_sel:[0,0,1] op_sel_hi:[1,0,0]
	v_mov_b32_e32 v9, v7
	v_pk_add_f32 v[4:5], v[4:5], v[8:9]
	v_pk_add_f32 v[4:5], v[16:17], v[4:5] neg_lo:[0,1] neg_hi:[0,1]
	buffer_store_dword v5, off, s[0:3], 0 offset:164
	buffer_store_dword v4, off, s[0:3], 0 offset:160
	s_and_saveexec_b64 s[4:5], vcc
	s_cbranch_execz .LBB103_215
; %bb.214:
	buffer_load_dword v4, off, s[0:3], 0 offset:152
	buffer_load_dword v5, off, s[0:3], 0 offset:156
	s_waitcnt vmcnt(0)
	ds_write_b64 v1, v[4:5]
	buffer_store_dword v2, off, s[0:3], 0 offset:152
	buffer_store_dword v2, off, s[0:3], 0 offset:156
.LBB103_215:
	s_or_b64 exec, exec, s[4:5]
	s_waitcnt lgkmcnt(0)
	; wave barrier
	s_waitcnt lgkmcnt(0)
	buffer_load_dword v3, off, s[0:3], 0 offset:164
	buffer_load_dword v126, off, s[0:3], 0 offset:172
	;; [unrolled: 1-line block ×26, first 2 shown]
	ds_read_b128 v[4:7], v2 offset:480
	ds_read_b128 v[8:11], v2 offset:496
	;; [unrolled: 1-line block ×6, first 2 shown]
	buffer_load_dword v111, off, s[0:3], 0 offset:276
	buffer_load_dword v110, off, s[0:3], 0 offset:272
	;; [unrolled: 1-line block ×16, first 2 shown]
	v_cmp_lt_u32_e32 vcc, 18, v0
	s_waitcnt vmcnt(41) lgkmcnt(5)
	v_mul_f32_e32 v151, v4, v3
	s_waitcnt vmcnt(40)
	v_mul_f32_e32 v152, v6, v126
	v_mul_f32_e32 v3, v5, v3
	;; [unrolled: 1-line block ×3, first 2 shown]
	s_waitcnt vmcnt(39) lgkmcnt(4)
	v_mul_f32_e32 v153, v8, v128
	s_waitcnt vmcnt(38)
	v_mul_f32_e32 v154, v10, v130
	s_waitcnt vmcnt(37) lgkmcnt(3)
	v_mul_f32_e32 v155, v12, v132
	s_waitcnt vmcnt(36)
	v_mul_f32_e32 v156, v14, v133
	s_waitcnt vmcnt(35) lgkmcnt(2)
	v_mul_f32_e32 v157, v98, v134
	s_waitcnt vmcnt(34)
	v_mul_f32_e32 v158, v100, v135
	s_waitcnt vmcnt(33) lgkmcnt(1)
	v_mul_f32_e32 v159, v102, v136
	s_waitcnt vmcnt(32)
	v_mul_f32_e32 v160, v104, v137
	s_waitcnt vmcnt(29)
	v_fmac_f32_e32 v151, v5, v131
	s_waitcnt vmcnt(28)
	v_fmac_f32_e32 v152, v7, v140
	v_fma_f32 v3, v4, v131, -v3
	v_fma_f32 v4, v6, v140, -v126
	v_add_f32_e32 v6, 0, v151
	s_waitcnt vmcnt(27)
	v_fmac_f32_e32 v153, v9, v141
	v_add_f32_e32 v3, 0, v3
	v_add_f32_e32 v6, v6, v152
	s_waitcnt vmcnt(26)
	v_fmac_f32_e32 v154, v11, v142
	v_add_f32_e32 v3, v3, v4
	;; [unrolled: 4-line block ×3, first 2 shown]
	s_waitcnt vmcnt(24)
	v_fmac_f32_e32 v156, v15, v144
	v_add_f32_e32 v4, v4, v155
	s_waitcnt vmcnt(23)
	v_fmac_f32_e32 v157, v99, v145
	v_add_f32_e32 v4, v4, v156
	;; [unrolled: 3-line block ×4, first 2 shown]
	v_mul_f32_e32 v128, v9, v128
	s_waitcnt vmcnt(20)
	v_fmac_f32_e32 v160, v105, v148
	v_add_f32_e32 v4, v4, v159
	v_fma_f32 v5, v8, v141, -v128
	v_add_f32_e32 v131, v4, v160
	v_mul_f32_e32 v4, v11, v130
	v_add_f32_e32 v3, v3, v5
	v_fma_f32 v4, v10, v142, -v4
	v_add_f32_e32 v3, v3, v4
	v_mul_f32_e32 v4, v13, v132
	v_fma_f32 v4, v12, v143, -v4
	v_add_f32_e32 v3, v3, v4
	v_mul_f32_e32 v4, v15, v133
	;; [unrolled: 3-line block ×6, first 2 shown]
	v_fma_f32 v4, v104, v148, -v4
	v_add_f32_e32 v130, v3, v4
	ds_read_b128 v[4:7], v2 offset:576
	ds_read_b128 v[8:11], v2 offset:592
	;; [unrolled: 1-line block ×4, first 2 shown]
	s_waitcnt vmcnt(11)
	v_mov_b32_e32 v102, v115
	s_waitcnt lgkmcnt(3)
	v_pk_mul_f32 v[102:103], v[4:5], v[102:103] op_sel_hi:[1,0]
	s_waitcnt vmcnt(10)
	v_pk_fma_f32 v[104:105], v[4:5], v[114:115], v[102:103] op_sel:[0,0,1] op_sel_hi:[1,1,0] neg_lo:[0,0,1] neg_hi:[0,0,1]
	v_pk_fma_f32 v[4:5], v[4:5], v[114:115], v[102:103] op_sel:[0,0,1] op_sel_hi:[1,0,0]
	v_mov_b32_e32 v4, v113
	v_mov_b32_e32 v105, v5
	v_pk_mul_f32 v[4:5], v[6:7], v[4:5] op_sel_hi:[1,0]
	v_mul_f32_e32 v127, v106, v138
	v_mul_f32_e32 v3, v107, v138
	v_pk_fma_f32 v[102:103], v[6:7], v[112:113], v[4:5] op_sel:[0,0,1] op_sel_hi:[1,1,0] neg_lo:[0,0,1] neg_hi:[0,0,1]
	v_pk_fma_f32 v[4:5], v[6:7], v[112:113], v[4:5] op_sel:[0,0,1] op_sel_hi:[1,0,0]
	v_mul_f32_e32 v129, v108, v139
	v_fmac_f32_e32 v127, v107, v149
	v_fma_f32 v126, v106, v149, -v3
	v_mul_f32_e32 v3, v109, v139
	v_mov_b32_e32 v4, v111
	v_fmac_f32_e32 v129, v109, v150
	v_fma_f32 v128, v108, v150, -v3
	v_pk_add_f32 v[2:3], v[130:131], v[126:127]
	v_mov_b32_e32 v103, v5
	s_waitcnt lgkmcnt(2)
	v_pk_mul_f32 v[4:5], v[8:9], v[4:5] op_sel_hi:[1,0]
	v_pk_add_f32 v[2:3], v[2:3], v[128:129]
	v_pk_fma_f32 v[6:7], v[8:9], v[110:111], v[4:5] op_sel:[0,0,1] op_sel_hi:[1,1,0] neg_lo:[0,0,1] neg_hi:[0,0,1]
	v_pk_fma_f32 v[4:5], v[8:9], v[110:111], v[4:5] op_sel:[0,0,1] op_sel_hi:[1,0,0]
	v_pk_add_f32 v[2:3], v[2:3], v[104:105]
	s_waitcnt vmcnt(3)
	v_mov_b32_e32 v4, v123
	v_pk_add_f32 v[2:3], v[2:3], v[102:103]
	v_mov_b32_e32 v7, v5
	v_pk_mul_f32 v[4:5], v[10:11], v[4:5] op_sel_hi:[1,0]
	v_pk_add_f32 v[2:3], v[2:3], v[6:7]
	s_waitcnt vmcnt(2)
	v_pk_fma_f32 v[6:7], v[10:11], v[122:123], v[4:5] op_sel:[0,0,1] op_sel_hi:[1,1,0] neg_lo:[0,0,1] neg_hi:[0,0,1]
	v_pk_fma_f32 v[4:5], v[10:11], v[122:123], v[4:5] op_sel:[0,0,1] op_sel_hi:[1,0,0]
	v_mov_b32_e32 v4, v121
	v_mov_b32_e32 v7, v5
	s_waitcnt lgkmcnt(1)
	v_pk_mul_f32 v[4:5], v[12:13], v[4:5] op_sel_hi:[1,0]
	v_pk_add_f32 v[2:3], v[2:3], v[6:7]
	v_pk_fma_f32 v[6:7], v[12:13], v[120:121], v[4:5] op_sel:[0,0,1] op_sel_hi:[1,1,0] neg_lo:[0,0,1] neg_hi:[0,0,1]
	v_pk_fma_f32 v[4:5], v[12:13], v[120:121], v[4:5] op_sel:[0,0,1] op_sel_hi:[1,0,0]
	v_mov_b32_e32 v4, v119
	v_mov_b32_e32 v7, v5
	v_pk_mul_f32 v[4:5], v[14:15], v[4:5] op_sel_hi:[1,0]
	v_pk_add_f32 v[2:3], v[2:3], v[6:7]
	v_pk_fma_f32 v[6:7], v[14:15], v[118:119], v[4:5] op_sel:[0,0,1] op_sel_hi:[1,1,0] neg_lo:[0,0,1] neg_hi:[0,0,1]
	v_pk_fma_f32 v[4:5], v[14:15], v[118:119], v[4:5] op_sel:[0,0,1] op_sel_hi:[1,0,0]
	v_mov_b32_e32 v4, v117
	v_mov_b32_e32 v7, v5
	s_waitcnt lgkmcnt(0)
	v_pk_mul_f32 v[4:5], v[98:99], v[4:5] op_sel_hi:[1,0]
	v_pk_add_f32 v[2:3], v[2:3], v[6:7]
	v_pk_fma_f32 v[6:7], v[98:99], v[116:117], v[4:5] op_sel:[0,0,1] op_sel_hi:[1,1,0] neg_lo:[0,0,1] neg_hi:[0,0,1]
	v_pk_fma_f32 v[4:5], v[98:99], v[116:117], v[4:5] op_sel:[0,0,1] op_sel_hi:[1,0,0]
	s_waitcnt vmcnt(1)
	v_mov_b32_e32 v4, v125
	v_mov_b32_e32 v7, v5
	v_pk_mul_f32 v[4:5], v[100:101], v[4:5] op_sel_hi:[1,0]
	v_pk_add_f32 v[2:3], v[2:3], v[6:7]
	s_waitcnt vmcnt(0)
	v_pk_fma_f32 v[6:7], v[100:101], v[124:125], v[4:5] op_sel:[0,0,1] op_sel_hi:[1,1,0] neg_lo:[0,0,1] neg_hi:[0,0,1]
	v_pk_fma_f32 v[4:5], v[100:101], v[124:125], v[4:5] op_sel:[0,0,1] op_sel_hi:[1,0,0]
	v_mov_b32_e32 v7, v5
	v_pk_add_f32 v[2:3], v[2:3], v[6:7]
	v_pk_add_f32 v[2:3], v[16:17], v[2:3] neg_lo:[0,1] neg_hi:[0,1]
	buffer_store_dword v3, off, s[0:3], 0 offset:156
	buffer_store_dword v2, off, s[0:3], 0 offset:152
	s_and_saveexec_b64 s[4:5], vcc
	s_cbranch_execz .LBB103_217
; %bb.216:
	buffer_load_dword v2, off, s[0:3], 0 offset:144
	buffer_load_dword v3, off, s[0:3], 0 offset:148
	v_mov_b32_e32 v4, 0
	buffer_store_dword v4, off, s[0:3], 0 offset:144
	buffer_store_dword v4, off, s[0:3], 0 offset:148
	s_waitcnt vmcnt(2)
	ds_write_b64 v1, v[2:3]
.LBB103_217:
	s_or_b64 exec, exec, s[4:5]
	v_mov_b32_e32 v100, 0
	s_waitcnt lgkmcnt(0)
	; wave barrier
	s_waitcnt lgkmcnt(0)
	ds_read2_b64 v[12:15], v100 offset0:59 offset1:60
	buffer_load_dword v6, off, s[0:3], 0 offset:144
	buffer_load_dword v7, off, s[0:3], 0 offset:148
	;; [unrolled: 1-line block ×16, first 2 shown]
	ds_read2_b64 v[102:105], v100 offset0:61 offset1:62
	ds_read2_b64 v[106:109], v100 offset0:63 offset1:64
	;; [unrolled: 1-line block ×3, first 2 shown]
	buffer_load_dword v146, off, s[0:3], 0 offset:208
	buffer_load_dword v147, off, s[0:3], 0 offset:212
	ds_read2_b64 v[114:117], v100 offset0:67 offset1:68
	buffer_load_dword v148, off, s[0:3], 0 offset:216
	buffer_load_dword v149, off, s[0:3], 0 offset:220
	;; [unrolled: 1-line block ×4, first 2 shown]
	ds_read2_b64 v[118:121], v100 offset0:69 offset1:70
	buffer_load_dword v152, off, s[0:3], 0 offset:232
	buffer_load_dword v153, off, s[0:3], 0 offset:236
	;; [unrolled: 1-line block ×4, first 2 shown]
	v_cmp_lt_u32_e32 vcc, 17, v0
	s_waitcnt vmcnt(22) lgkmcnt(5)
	v_mul_f32_e32 v2, v12, v10
	v_fmac_f32_e32 v2, v13, v8
	s_waitcnt vmcnt(20)
	v_mul_f32_e32 v3, v14, v101
	v_add_f32_e32 v2, 0, v2
	v_fmac_f32_e32 v3, v15, v16
	v_add_f32_e32 v2, v2, v3
	s_waitcnt vmcnt(18) lgkmcnt(4)
	v_mul_f32_e32 v3, v102, v137
	v_fmac_f32_e32 v3, v103, v136
	v_add_f32_e32 v2, v2, v3
	s_waitcnt vmcnt(16)
	v_mul_f32_e32 v3, v104, v139
	v_fmac_f32_e32 v3, v105, v138
	v_add_f32_e32 v2, v2, v3
	s_waitcnt vmcnt(14) lgkmcnt(3)
	v_mul_f32_e32 v3, v106, v141
	v_fmac_f32_e32 v3, v107, v140
	v_add_f32_e32 v2, v2, v3
	s_waitcnt vmcnt(12)
	v_mul_f32_e32 v3, v108, v143
	;; [unrolled: 8-line block ×4, first 2 shown]
	v_fmac_f32_e32 v3, v117, v150
	v_add_f32_e32 v2, v2, v3
	s_waitcnt vmcnt(2) lgkmcnt(0)
	v_mul_f32_e32 v3, v118, v153
	v_fmac_f32_e32 v3, v119, v152
	v_add_f32_e32 v9, v2, v3
	ds_read2_b64 v[2:5], v100 offset0:71 offset1:72
	buffer_load_dword v156, off, s[0:3], 0 offset:248
	buffer_load_dword v157, off, s[0:3], 0 offset:252
	;; [unrolled: 1-line block ×18, first 2 shown]
	v_mul_f32_e32 v10, v13, v10
	v_fma_f32 v8, v12, v8, -v10
	v_mul_f32_e32 v10, v15, v101
	v_add_f32_e32 v8, 0, v8
	v_fma_f32 v10, v14, v16, -v10
	v_add_f32_e32 v8, v8, v10
	v_mul_f32_e32 v10, v103, v137
	v_fma_f32 v10, v102, v136, -v10
	v_add_f32_e32 v8, v8, v10
	v_mul_f32_e32 v10, v105, v139
	;; [unrolled: 3-line block ×9, first 2 shown]
	v_fma_f32 v10, v118, v152, -v10
	s_waitcnt vmcnt(18)
	v_mul_f32_e32 v11, v120, v155
	v_add_f32_e32 v8, v8, v10
	v_mul_f32_e32 v10, v121, v155
	v_fmac_f32_e32 v11, v121, v154
	v_fma_f32 v10, v120, v154, -v10
	v_pk_add_f32 v[8:9], v[8:9], v[10:11]
	s_waitcnt vmcnt(15)
	v_mov_b32_e32 v10, v99
	s_waitcnt lgkmcnt(0)
	v_pk_mul_f32 v[10:11], v[4:5], v[10:11] op_sel_hi:[1,0]
	v_mul_f32_e32 v17, v2, v157
	v_fmac_f32_e32 v17, v3, v156
	v_mul_f32_e32 v3, v3, v157
	v_fma_f32 v16, v2, v156, -v3
	v_pk_add_f32 v[8:9], v[8:9], v[16:17]
	s_waitcnt vmcnt(14)
	v_pk_fma_f32 v[16:17], v[4:5], v[98:99], v[10:11] op_sel:[0,0,1] op_sel_hi:[1,1,0] neg_lo:[0,0,1] neg_hi:[0,0,1]
	v_pk_fma_f32 v[4:5], v[4:5], v[98:99], v[10:11] op_sel:[0,0,1] op_sel_hi:[1,0,0]
	ds_read2_b64 v[12:15], v100 offset0:73 offset1:74
	ds_read2_b64 v[102:105], v100 offset0:75 offset1:76
	;; [unrolled: 1-line block ×3, first 2 shown]
	ds_read_b64 v[2:3], v100 offset:632
	v_mov_b32_e32 v17, v5
	v_pk_add_f32 v[4:5], v[8:9], v[16:17]
	s_waitcnt vmcnt(13)
	v_mov_b32_e32 v8, v123
	s_waitcnt lgkmcnt(3)
	v_pk_mul_f32 v[8:9], v[12:13], v[8:9] op_sel_hi:[1,0]
	s_waitcnt vmcnt(12)
	v_pk_fma_f32 v[10:11], v[12:13], v[122:123], v[8:9] op_sel:[0,0,1] op_sel_hi:[1,1,0] neg_lo:[0,0,1] neg_hi:[0,0,1]
	v_pk_fma_f32 v[8:9], v[12:13], v[122:123], v[8:9] op_sel:[0,0,1] op_sel_hi:[1,0,0]
	s_waitcnt vmcnt(11)
	v_mov_b32_e32 v8, v125
	v_mov_b32_e32 v11, v9
	v_pk_mul_f32 v[8:9], v[14:15], v[8:9] op_sel_hi:[1,0]
	v_pk_add_f32 v[4:5], v[4:5], v[10:11]
	s_waitcnt vmcnt(10)
	v_pk_fma_f32 v[10:11], v[14:15], v[124:125], v[8:9] op_sel:[0,0,1] op_sel_hi:[1,1,0] neg_lo:[0,0,1] neg_hi:[0,0,1]
	v_pk_fma_f32 v[8:9], v[14:15], v[124:125], v[8:9] op_sel:[0,0,1] op_sel_hi:[1,0,0]
	s_waitcnt vmcnt(9)
	v_mov_b32_e32 v8, v127
	v_mov_b32_e32 v11, v9
	s_waitcnt lgkmcnt(2)
	v_pk_mul_f32 v[8:9], v[102:103], v[8:9] op_sel_hi:[1,0]
	v_pk_add_f32 v[4:5], v[4:5], v[10:11]
	s_waitcnt vmcnt(8)
	v_pk_fma_f32 v[10:11], v[102:103], v[126:127], v[8:9] op_sel:[0,0,1] op_sel_hi:[1,1,0] neg_lo:[0,0,1] neg_hi:[0,0,1]
	v_pk_fma_f32 v[8:9], v[102:103], v[126:127], v[8:9] op_sel:[0,0,1] op_sel_hi:[1,0,0]
	s_waitcnt vmcnt(7)
	v_mov_b32_e32 v8, v129
	v_mov_b32_e32 v11, v9
	v_pk_mul_f32 v[8:9], v[104:105], v[8:9] op_sel_hi:[1,0]
	v_pk_add_f32 v[4:5], v[4:5], v[10:11]
	s_waitcnt vmcnt(6)
	v_pk_fma_f32 v[10:11], v[104:105], v[128:129], v[8:9] op_sel:[0,0,1] op_sel_hi:[1,1,0] neg_lo:[0,0,1] neg_hi:[0,0,1]
	v_pk_fma_f32 v[8:9], v[104:105], v[128:129], v[8:9] op_sel:[0,0,1] op_sel_hi:[1,0,0]
	s_waitcnt vmcnt(5)
	v_mov_b32_e32 v8, v131
	v_mov_b32_e32 v11, v9
	s_waitcnt lgkmcnt(1)
	v_pk_mul_f32 v[8:9], v[106:107], v[8:9] op_sel_hi:[1,0]
	v_pk_add_f32 v[4:5], v[4:5], v[10:11]
	;; [unrolled: 17-line block ×3, first 2 shown]
	s_waitcnt vmcnt(0)
	v_pk_fma_f32 v[10:11], v[2:3], v[134:135], v[8:9] op_sel:[0,0,1] op_sel_hi:[1,1,0] neg_lo:[0,0,1] neg_hi:[0,0,1]
	v_pk_fma_f32 v[2:3], v[2:3], v[134:135], v[8:9] op_sel:[0,0,1] op_sel_hi:[1,0,0]
	v_mov_b32_e32 v11, v3
	v_pk_add_f32 v[2:3], v[4:5], v[10:11]
	v_pk_add_f32 v[2:3], v[6:7], v[2:3] neg_lo:[0,1] neg_hi:[0,1]
	buffer_store_dword v3, off, s[0:3], 0 offset:148
	buffer_store_dword v2, off, s[0:3], 0 offset:144
	s_and_saveexec_b64 s[4:5], vcc
	s_cbranch_execz .LBB103_219
; %bb.218:
	buffer_load_dword v2, off, s[0:3], 0 offset:136
	buffer_load_dword v3, off, s[0:3], 0 offset:140
	s_waitcnt vmcnt(0)
	ds_write_b64 v1, v[2:3]
	buffer_store_dword v100, off, s[0:3], 0 offset:136
	buffer_store_dword v100, off, s[0:3], 0 offset:140
.LBB103_219:
	s_or_b64 exec, exec, s[4:5]
	s_waitcnt lgkmcnt(0)
	; wave barrier
	s_waitcnt lgkmcnt(0)
	ds_read_b128 v[14:17], v100 offset:464
	ds_read_b128 v[10:13], v100 offset:480
	;; [unrolled: 1-line block ×4, first 2 shown]
	buffer_load_dword v98, off, s[0:3], 0 offset:136
	buffer_load_dword v99, off, s[0:3], 0 offset:140
	;; [unrolled: 1-line block ×18, first 2 shown]
	v_cmp_lt_u32_e32 vcc, 16, v0
	s_waitcnt vmcnt(14) lgkmcnt(3)
	v_mul_f32_e32 v102, v14, v118
	v_fmac_f32_e32 v102, v15, v101
	s_waitcnt vmcnt(12)
	v_mul_f32_e32 v103, v16, v122
	v_add_f32_e32 v102, 0, v102
	v_fmac_f32_e32 v103, v17, v120
	v_add_f32_e32 v102, v102, v103
	s_waitcnt vmcnt(10) lgkmcnt(2)
	v_mul_f32_e32 v103, v10, v141
	v_fmac_f32_e32 v103, v11, v140
	v_add_f32_e32 v102, v102, v103
	s_waitcnt vmcnt(8)
	v_mul_f32_e32 v103, v12, v143
	v_fmac_f32_e32 v103, v13, v142
	v_add_f32_e32 v102, v102, v103
	s_waitcnt vmcnt(6) lgkmcnt(1)
	v_mul_f32_e32 v103, v6, v145
	v_fmac_f32_e32 v103, v7, v144
	v_add_f32_e32 v102, v102, v103
	s_waitcnt vmcnt(4)
	v_mul_f32_e32 v103, v8, v147
	v_fmac_f32_e32 v103, v9, v146
	v_add_f32_e32 v102, v102, v103
	s_waitcnt vmcnt(2) lgkmcnt(0)
	v_mul_f32_e32 v103, v2, v149
	v_fmac_f32_e32 v103, v3, v148
	v_add_f32_e32 v102, v102, v103
	s_waitcnt vmcnt(0)
	v_mul_f32_e32 v103, v4, v151
	v_fmac_f32_e32 v103, v5, v150
	v_add_f32_e32 v106, v102, v103
	ds_read_b128 v[102:105], v100 offset:528
	buffer_load_dword v152, off, s[0:3], 0 offset:208
	buffer_load_dword v153, off, s[0:3], 0 offset:212
	;; [unrolled: 1-line block ×4, first 2 shown]
	v_mul_f32_e32 v15, v15, v118
	v_fma_f32 v14, v14, v101, -v15
	v_mul_f32_e32 v15, v17, v122
	v_add_f32_e32 v14, 0, v14
	v_fma_f32 v15, v16, v120, -v15
	v_mul_f32_e32 v11, v11, v141
	v_add_f32_e32 v14, v14, v15
	;; [unrolled: 3-line block ×7, first 2 shown]
	v_fma_f32 v3, v4, v150, -v3
	v_add_f32_e32 v2, v2, v3
	s_waitcnt vmcnt(2) lgkmcnt(0)
	v_mul_f32_e32 v107, v102, v153
	v_fmac_f32_e32 v107, v103, v152
	v_add_f32_e32 v106, v106, v107
	s_waitcnt vmcnt(0)
	v_mul_f32_e32 v107, v104, v155
	v_fmac_f32_e32 v107, v105, v154
	v_add_f32_e32 v110, v106, v107
	ds_read_b128 v[106:109], v100 offset:544
	buffer_load_dword v156, off, s[0:3], 0 offset:224
	buffer_load_dword v157, off, s[0:3], 0 offset:228
	;; [unrolled: 1-line block ×4, first 2 shown]
	v_mul_f32_e32 v3, v103, v153
	v_fma_f32 v3, v102, v152, -v3
	v_add_f32_e32 v2, v2, v3
	v_mul_f32_e32 v3, v105, v155
	v_fma_f32 v3, v104, v154, -v3
	v_add_f32_e32 v2, v2, v3
	s_waitcnt vmcnt(2) lgkmcnt(0)
	v_mul_f32_e32 v111, v106, v157
	v_fmac_f32_e32 v111, v107, v156
	v_add_f32_e32 v110, v110, v111
	s_waitcnt vmcnt(0)
	v_mul_f32_e32 v111, v108, v159
	v_fmac_f32_e32 v111, v109, v158
	v_add_f32_e32 v119, v110, v111
	ds_read_b128 v[110:113], v100 offset:560
	buffer_load_dword v160, off, s[0:3], 0 offset:240
	buffer_load_dword v161, off, s[0:3], 0 offset:244
	;; [unrolled: 1-line block ×6, first 2 shown]
	ds_read_b128 v[114:117], v100 offset:576
	buffer_load_dword v127, off, s[0:3], 0 offset:268
	buffer_load_dword v126, off, s[0:3], 0 offset:264
	;; [unrolled: 1-line block ×14, first 2 shown]
	v_mul_f32_e32 v3, v107, v157
	v_fma_f32 v3, v106, v156, -v3
	v_add_f32_e32 v2, v2, v3
	v_mul_f32_e32 v3, v109, v159
	v_fma_f32 v3, v108, v158, -v3
	v_add_f32_e32 v118, v2, v3
	s_waitcnt vmcnt(18) lgkmcnt(1)
	v_mul_f32_e32 v2, v111, v161
	s_waitcnt vmcnt(15)
	v_mov_b32_e32 v16, v125
	v_mul_f32_e32 v121, v110, v161
	v_fma_f32 v120, v110, v160, -v2
	v_mul_f32_e32 v2, v113, v163
	s_waitcnt lgkmcnt(0)
	v_pk_mul_f32 v[16:17], v[114:115], v[16:17] op_sel_hi:[1,0]
	v_fmac_f32_e32 v121, v111, v160
	v_mul_f32_e32 v123, v112, v163
	v_fma_f32 v122, v112, v162, -v2
	ds_read_b128 v[2:5], v100 offset:592
	ds_read_b128 v[6:9], v100 offset:608
	;; [unrolled: 1-line block ×3, first 2 shown]
	s_waitcnt vmcnt(14)
	v_pk_fma_f32 v[100:101], v[114:115], v[124:125], v[16:17] op_sel:[0,0,1] op_sel_hi:[1,1,0] neg_lo:[0,0,1] neg_hi:[0,0,1]
	v_pk_fma_f32 v[16:17], v[114:115], v[124:125], v[16:17] op_sel:[0,0,1] op_sel_hi:[1,0,0]
	v_fmac_f32_e32 v123, v113, v162
	v_pk_add_f32 v[14:15], v[118:119], v[120:121]
	s_waitcnt vmcnt(13)
	v_mov_b32_e32 v16, v127
	v_pk_add_f32 v[14:15], v[14:15], v[122:123]
	v_mov_b32_e32 v101, v17
	v_pk_mul_f32 v[16:17], v[116:117], v[16:17] op_sel_hi:[1,0]
	v_pk_add_f32 v[14:15], v[14:15], v[100:101]
	s_waitcnt vmcnt(12)
	v_pk_fma_f32 v[100:101], v[116:117], v[126:127], v[16:17] op_sel:[0,0,1] op_sel_hi:[1,1,0] neg_lo:[0,0,1] neg_hi:[0,0,1]
	v_pk_fma_f32 v[16:17], v[116:117], v[126:127], v[16:17] op_sel:[0,0,1] op_sel_hi:[1,0,0]
	s_waitcnt vmcnt(11)
	v_mov_b32_e32 v16, v129
	v_mov_b32_e32 v101, v17
	s_waitcnt lgkmcnt(2)
	v_pk_mul_f32 v[16:17], v[2:3], v[16:17] op_sel_hi:[1,0]
	v_pk_add_f32 v[14:15], v[14:15], v[100:101]
	s_waitcnt vmcnt(10)
	v_pk_fma_f32 v[100:101], v[2:3], v[128:129], v[16:17] op_sel:[0,0,1] op_sel_hi:[1,1,0] neg_lo:[0,0,1] neg_hi:[0,0,1]
	v_pk_fma_f32 v[2:3], v[2:3], v[128:129], v[16:17] op_sel:[0,0,1] op_sel_hi:[1,0,0]
	v_mov_b32_e32 v101, v3
	v_pk_add_f32 v[2:3], v[14:15], v[100:101]
	s_waitcnt vmcnt(9)
	v_mov_b32_e32 v14, v131
	v_pk_mul_f32 v[14:15], v[4:5], v[14:15] op_sel_hi:[1,0]
	s_waitcnt vmcnt(8)
	v_pk_fma_f32 v[16:17], v[4:5], v[130:131], v[14:15] op_sel:[0,0,1] op_sel_hi:[1,1,0] neg_lo:[0,0,1] neg_hi:[0,0,1]
	v_pk_fma_f32 v[4:5], v[4:5], v[130:131], v[14:15] op_sel:[0,0,1] op_sel_hi:[1,0,0]
	s_waitcnt vmcnt(7)
	v_mov_b32_e32 v4, v133
	v_mov_b32_e32 v17, v5
	s_waitcnt lgkmcnt(1)
	v_pk_mul_f32 v[4:5], v[6:7], v[4:5] op_sel_hi:[1,0]
	s_waitcnt vmcnt(6)
	v_pk_fma_f32 v[14:15], v[6:7], v[132:133], v[4:5] op_sel:[0,0,1] op_sel_hi:[1,1,0] neg_lo:[0,0,1] neg_hi:[0,0,1]
	v_pk_fma_f32 v[4:5], v[6:7], v[132:133], v[4:5] op_sel:[0,0,1] op_sel_hi:[1,0,0]
	s_waitcnt vmcnt(5)
	v_mov_b32_e32 v4, v135
	v_mov_b32_e32 v15, v5
	v_pk_mul_f32 v[4:5], v[8:9], v[4:5] op_sel_hi:[1,0]
	s_waitcnt vmcnt(4)
	v_pk_fma_f32 v[6:7], v[8:9], v[134:135], v[4:5] op_sel:[0,0,1] op_sel_hi:[1,1,0] neg_lo:[0,0,1] neg_hi:[0,0,1]
	v_pk_fma_f32 v[4:5], v[8:9], v[134:135], v[4:5] op_sel:[0,0,1] op_sel_hi:[1,0,0]
	v_pk_add_f32 v[2:3], v[2:3], v[16:17]
	s_waitcnt vmcnt(3)
	v_mov_b32_e32 v4, v137
	v_pk_add_f32 v[2:3], v[2:3], v[14:15]
	v_mov_b32_e32 v7, v5
	s_waitcnt lgkmcnt(0)
	v_pk_mul_f32 v[4:5], v[10:11], v[4:5] op_sel_hi:[1,0]
	v_pk_add_f32 v[2:3], v[2:3], v[6:7]
	s_waitcnt vmcnt(2)
	v_pk_fma_f32 v[6:7], v[10:11], v[136:137], v[4:5] op_sel:[0,0,1] op_sel_hi:[1,1,0] neg_lo:[0,0,1] neg_hi:[0,0,1]
	v_pk_fma_f32 v[4:5], v[10:11], v[136:137], v[4:5] op_sel:[0,0,1] op_sel_hi:[1,0,0]
	s_waitcnt vmcnt(1)
	v_mov_b32_e32 v4, v139
	v_mov_b32_e32 v7, v5
	v_pk_mul_f32 v[4:5], v[12:13], v[4:5] op_sel_hi:[1,0]
	v_pk_add_f32 v[2:3], v[2:3], v[6:7]
	s_waitcnt vmcnt(0)
	v_pk_fma_f32 v[6:7], v[12:13], v[138:139], v[4:5] op_sel:[0,0,1] op_sel_hi:[1,1,0] neg_lo:[0,0,1] neg_hi:[0,0,1]
	v_pk_fma_f32 v[4:5], v[12:13], v[138:139], v[4:5] op_sel:[0,0,1] op_sel_hi:[1,0,0]
	v_mov_b32_e32 v7, v5
	v_pk_add_f32 v[2:3], v[2:3], v[6:7]
	v_pk_add_f32 v[2:3], v[98:99], v[2:3] neg_lo:[0,1] neg_hi:[0,1]
	buffer_store_dword v3, off, s[0:3], 0 offset:140
	buffer_store_dword v2, off, s[0:3], 0 offset:136
	s_and_saveexec_b64 s[4:5], vcc
	s_cbranch_execz .LBB103_221
; %bb.220:
	buffer_load_dword v2, off, s[0:3], 0 offset:128
	buffer_load_dword v3, off, s[0:3], 0 offset:132
	v_mov_b32_e32 v4, 0
	buffer_store_dword v4, off, s[0:3], 0 offset:128
	buffer_store_dword v4, off, s[0:3], 0 offset:132
	s_waitcnt vmcnt(2)
	ds_write_b64 v1, v[2:3]
.LBB103_221:
	s_or_b64 exec, exec, s[4:5]
	v_mov_b32_e32 v100, 0
	s_waitcnt lgkmcnt(0)
	; wave barrier
	s_waitcnt lgkmcnt(0)
	ds_read2_b64 v[2:5], v100 offset0:57 offset1:58
	buffer_load_dword v98, off, s[0:3], 0 offset:128
	buffer_load_dword v99, off, s[0:3], 0 offset:132
	buffer_load_dword v101, off, s[0:3], 0 offset:136
	buffer_load_dword v118, off, s[0:3], 0 offset:140
	buffer_load_dword v120, off, s[0:3], 0 offset:144
	buffer_load_dword v122, off, s[0:3], 0 offset:148
	buffer_load_dword v140, off, s[0:3], 0 offset:152
	buffer_load_dword v141, off, s[0:3], 0 offset:156
	buffer_load_dword v142, off, s[0:3], 0 offset:160
	buffer_load_dword v143, off, s[0:3], 0 offset:164
	buffer_load_dword v144, off, s[0:3], 0 offset:168
	buffer_load_dword v145, off, s[0:3], 0 offset:172
	buffer_load_dword v146, off, s[0:3], 0 offset:176
	buffer_load_dword v147, off, s[0:3], 0 offset:180
	buffer_load_dword v148, off, s[0:3], 0 offset:184
	buffer_load_dword v149, off, s[0:3], 0 offset:188
	v_cmp_lt_u32_e32 vcc, 15, v0
	s_waitcnt vmcnt(12) lgkmcnt(0)
	v_mul_f32_e32 v6, v2, v118
	v_fmac_f32_e32 v6, v3, v101
	s_waitcnt vmcnt(10)
	v_mul_f32_e32 v7, v4, v122
	v_add_f32_e32 v6, 0, v6
	v_fmac_f32_e32 v7, v5, v120
	v_add_f32_e32 v10, v6, v7
	ds_read2_b64 v[6:9], v100 offset0:59 offset1:60
	v_mul_f32_e32 v3, v3, v118
	v_fma_f32 v2, v2, v101, -v3
	v_mul_f32_e32 v3, v5, v122
	v_add_f32_e32 v2, 0, v2
	s_waitcnt vmcnt(8) lgkmcnt(0)
	v_mul_f32_e32 v11, v6, v141
	v_fmac_f32_e32 v11, v7, v140
	v_add_f32_e32 v10, v10, v11
	s_waitcnt vmcnt(6)
	v_mul_f32_e32 v11, v8, v143
	v_fmac_f32_e32 v11, v9, v142
	v_add_f32_e32 v14, v10, v11
	ds_read2_b64 v[10:13], v100 offset0:61 offset1:62
	v_fma_f32 v3, v4, v120, -v3
	v_add_f32_e32 v2, v2, v3
	v_mul_f32_e32 v3, v7, v141
	v_fma_f32 v3, v6, v140, -v3
	s_waitcnt vmcnt(4) lgkmcnt(0)
	v_mul_f32_e32 v15, v10, v145
	v_fmac_f32_e32 v15, v11, v144
	v_add_f32_e32 v14, v14, v15
	s_waitcnt vmcnt(2)
	v_mul_f32_e32 v15, v12, v147
	v_fmac_f32_e32 v15, v13, v146
	v_add_f32_e32 v102, v14, v15
	ds_read2_b64 v[14:17], v100 offset0:63 offset1:64
	buffer_load_dword v150, off, s[0:3], 0 offset:192
	buffer_load_dword v151, off, s[0:3], 0 offset:196
	v_add_f32_e32 v2, v2, v3
	v_mul_f32_e32 v3, v9, v143
	v_fma_f32 v3, v8, v142, -v3
	s_waitcnt vmcnt(2) lgkmcnt(0)
	v_mul_f32_e32 v103, v14, v149
	v_fmac_f32_e32 v103, v15, v148
	v_add_f32_e32 v102, v102, v103
	v_add_f32_e32 v2, v2, v3
	v_mul_f32_e32 v3, v11, v145
	v_fma_f32 v3, v10, v144, -v3
	v_add_f32_e32 v2, v2, v3
	v_mul_f32_e32 v3, v13, v147
	v_fma_f32 v3, v12, v146, -v3
	;; [unrolled: 3-line block ×3, first 2 shown]
	v_add_f32_e32 v2, v2, v3
	s_waitcnt vmcnt(0)
	v_mul_f32_e32 v103, v16, v151
	v_fmac_f32_e32 v103, v17, v150
	v_add_f32_e32 v106, v102, v103
	ds_read2_b64 v[102:105], v100 offset0:65 offset1:66
	buffer_load_dword v152, off, s[0:3], 0 offset:200
	buffer_load_dword v153, off, s[0:3], 0 offset:204
	;; [unrolled: 1-line block ×4, first 2 shown]
	v_mul_f32_e32 v3, v17, v151
	v_fma_f32 v3, v16, v150, -v3
	v_add_f32_e32 v2, v2, v3
	s_waitcnt vmcnt(2) lgkmcnt(0)
	v_mul_f32_e32 v107, v102, v153
	v_fmac_f32_e32 v107, v103, v152
	v_add_f32_e32 v106, v106, v107
	s_waitcnt vmcnt(0)
	v_mul_f32_e32 v107, v104, v155
	v_fmac_f32_e32 v107, v105, v154
	v_add_f32_e32 v110, v106, v107
	ds_read2_b64 v[106:109], v100 offset0:67 offset1:68
	buffer_load_dword v156, off, s[0:3], 0 offset:216
	buffer_load_dword v157, off, s[0:3], 0 offset:220
	;; [unrolled: 1-line block ×4, first 2 shown]
	v_mul_f32_e32 v3, v103, v153
	v_fma_f32 v3, v102, v152, -v3
	v_add_f32_e32 v2, v2, v3
	v_mul_f32_e32 v3, v105, v155
	v_fma_f32 v3, v104, v154, -v3
	v_add_f32_e32 v2, v2, v3
	s_waitcnt vmcnt(2) lgkmcnt(0)
	v_mul_f32_e32 v111, v106, v157
	v_fmac_f32_e32 v111, v107, v156
	v_add_f32_e32 v110, v110, v111
	s_waitcnt vmcnt(0)
	v_mul_f32_e32 v111, v108, v159
	v_fmac_f32_e32 v111, v109, v158
	v_add_f32_e32 v114, v110, v111
	ds_read2_b64 v[110:113], v100 offset0:69 offset1:70
	buffer_load_dword v160, off, s[0:3], 0 offset:232
	buffer_load_dword v161, off, s[0:3], 0 offset:236
	;; [unrolled: 1-line block ×4, first 2 shown]
	v_mul_f32_e32 v3, v107, v157
	v_fma_f32 v3, v106, v156, -v3
	v_add_f32_e32 v2, v2, v3
	v_mul_f32_e32 v3, v109, v159
	v_fma_f32 v3, v108, v158, -v3
	v_add_f32_e32 v2, v2, v3
	s_waitcnt vmcnt(2) lgkmcnt(0)
	v_mul_f32_e32 v115, v110, v161
	v_fmac_f32_e32 v115, v111, v160
	v_add_f32_e32 v119, v114, v115
	ds_read2_b64 v[114:117], v100 offset0:71 offset1:72
	buffer_load_dword v164, off, s[0:3], 0 offset:248
	buffer_load_dword v165, off, s[0:3], 0 offset:252
	;; [unrolled: 1-line block ×18, first 2 shown]
	v_mul_f32_e32 v3, v111, v161
	v_fma_f32 v3, v110, v160, -v3
	v_add_f32_e32 v118, v2, v3
	s_waitcnt vmcnt(18)
	v_mul_f32_e32 v2, v113, v163
	v_mul_f32_e32 v121, v112, v163
	v_fma_f32 v120, v112, v162, -v2
	v_fmac_f32_e32 v121, v113, v162
	v_pk_add_f32 v[16:17], v[118:119], v[120:121]
	s_waitcnt vmcnt(15)
	v_mov_b32_e32 v102, v125
	s_waitcnt lgkmcnt(0)
	v_pk_mul_f32 v[102:103], v[116:117], v[102:103] op_sel_hi:[1,0]
	s_waitcnt vmcnt(14)
	v_pk_fma_f32 v[104:105], v[116:117], v[124:125], v[102:103] op_sel:[0,0,1] op_sel_hi:[1,1,0] neg_lo:[0,0,1] neg_hi:[0,0,1]
	v_pk_fma_f32 v[102:103], v[116:117], v[124:125], v[102:103] op_sel:[0,0,1] op_sel_hi:[1,0,0]
	s_waitcnt vmcnt(13)
	v_mov_b32_e32 v102, v127
	v_mov_b32_e32 v105, v103
	v_mul_f32_e32 v2, v115, v165
	v_mul_f32_e32 v123, v114, v165
	v_fma_f32 v122, v114, v164, -v2
	ds_read2_b64 v[2:5], v100 offset0:73 offset1:74
	ds_read2_b64 v[6:9], v100 offset0:75 offset1:76
	ds_read2_b64 v[10:13], v100 offset0:77 offset1:78
	ds_read_b64 v[14:15], v100 offset:632
	v_fmac_f32_e32 v123, v115, v164
	v_pk_add_f32 v[16:17], v[16:17], v[122:123]
	s_waitcnt lgkmcnt(3)
	v_pk_mul_f32 v[102:103], v[2:3], v[102:103] op_sel_hi:[1,0]
	v_pk_add_f32 v[16:17], v[16:17], v[104:105]
	s_waitcnt vmcnt(12)
	v_pk_fma_f32 v[104:105], v[2:3], v[126:127], v[102:103] op_sel:[0,0,1] op_sel_hi:[1,1,0] neg_lo:[0,0,1] neg_hi:[0,0,1]
	v_pk_fma_f32 v[2:3], v[2:3], v[126:127], v[102:103] op_sel:[0,0,1] op_sel_hi:[1,0,0]
	v_mov_b32_e32 v105, v3
	v_pk_add_f32 v[2:3], v[16:17], v[104:105]
	s_waitcnt vmcnt(11)
	v_mov_b32_e32 v16, v129
	v_pk_mul_f32 v[16:17], v[4:5], v[16:17] op_sel_hi:[1,0]
	s_waitcnt vmcnt(10)
	v_pk_fma_f32 v[102:103], v[4:5], v[128:129], v[16:17] op_sel:[0,0,1] op_sel_hi:[1,1,0] neg_lo:[0,0,1] neg_hi:[0,0,1]
	v_pk_fma_f32 v[4:5], v[4:5], v[128:129], v[16:17] op_sel:[0,0,1] op_sel_hi:[1,0,0]
	s_waitcnt vmcnt(9)
	v_mov_b32_e32 v4, v131
	v_mov_b32_e32 v103, v5
	s_waitcnt lgkmcnt(2)
	v_pk_mul_f32 v[4:5], v[6:7], v[4:5] op_sel_hi:[1,0]
	s_waitcnt vmcnt(8)
	v_pk_fma_f32 v[16:17], v[6:7], v[130:131], v[4:5] op_sel:[0,0,1] op_sel_hi:[1,1,0] neg_lo:[0,0,1] neg_hi:[0,0,1]
	v_pk_fma_f32 v[4:5], v[6:7], v[130:131], v[4:5] op_sel:[0,0,1] op_sel_hi:[1,0,0]
	s_waitcnt vmcnt(7)
	v_mov_b32_e32 v4, v133
	v_mov_b32_e32 v17, v5
	v_pk_mul_f32 v[4:5], v[8:9], v[4:5] op_sel_hi:[1,0]
	s_waitcnt vmcnt(6)
	v_pk_fma_f32 v[6:7], v[8:9], v[132:133], v[4:5] op_sel:[0,0,1] op_sel_hi:[1,1,0] neg_lo:[0,0,1] neg_hi:[0,0,1]
	v_pk_fma_f32 v[4:5], v[8:9], v[132:133], v[4:5] op_sel:[0,0,1] op_sel_hi:[1,0,0]
	v_pk_add_f32 v[2:3], v[2:3], v[102:103]
	s_waitcnt vmcnt(5)
	v_mov_b32_e32 v4, v135
	v_pk_add_f32 v[2:3], v[2:3], v[16:17]
	v_mov_b32_e32 v7, v5
	s_waitcnt lgkmcnt(1)
	v_pk_mul_f32 v[4:5], v[10:11], v[4:5] op_sel_hi:[1,0]
	v_pk_add_f32 v[2:3], v[2:3], v[6:7]
	s_waitcnt vmcnt(4)
	v_pk_fma_f32 v[6:7], v[10:11], v[134:135], v[4:5] op_sel:[0,0,1] op_sel_hi:[1,1,0] neg_lo:[0,0,1] neg_hi:[0,0,1]
	v_pk_fma_f32 v[4:5], v[10:11], v[134:135], v[4:5] op_sel:[0,0,1] op_sel_hi:[1,0,0]
	s_waitcnt vmcnt(3)
	v_mov_b32_e32 v4, v137
	v_mov_b32_e32 v7, v5
	v_pk_mul_f32 v[4:5], v[12:13], v[4:5] op_sel_hi:[1,0]
	v_pk_add_f32 v[2:3], v[2:3], v[6:7]
	s_waitcnt vmcnt(2)
	v_pk_fma_f32 v[6:7], v[12:13], v[136:137], v[4:5] op_sel:[0,0,1] op_sel_hi:[1,1,0] neg_lo:[0,0,1] neg_hi:[0,0,1]
	v_pk_fma_f32 v[4:5], v[12:13], v[136:137], v[4:5] op_sel:[0,0,1] op_sel_hi:[1,0,0]
	s_waitcnt vmcnt(1)
	v_mov_b32_e32 v4, v139
	v_mov_b32_e32 v7, v5
	s_waitcnt lgkmcnt(0)
	v_pk_mul_f32 v[4:5], v[14:15], v[4:5] op_sel_hi:[1,0]
	v_pk_add_f32 v[2:3], v[2:3], v[6:7]
	s_waitcnt vmcnt(0)
	v_pk_fma_f32 v[6:7], v[14:15], v[138:139], v[4:5] op_sel:[0,0,1] op_sel_hi:[1,1,0] neg_lo:[0,0,1] neg_hi:[0,0,1]
	v_pk_fma_f32 v[4:5], v[14:15], v[138:139], v[4:5] op_sel:[0,0,1] op_sel_hi:[1,0,0]
	v_mov_b32_e32 v7, v5
	v_pk_add_f32 v[2:3], v[2:3], v[6:7]
	v_pk_add_f32 v[2:3], v[98:99], v[2:3] neg_lo:[0,1] neg_hi:[0,1]
	buffer_store_dword v3, off, s[0:3], 0 offset:132
	buffer_store_dword v2, off, s[0:3], 0 offset:128
	s_and_saveexec_b64 s[4:5], vcc
	s_cbranch_execz .LBB103_223
; %bb.222:
	buffer_load_dword v2, off, s[0:3], 0 offset:120
	buffer_load_dword v3, off, s[0:3], 0 offset:124
	s_waitcnt vmcnt(0)
	ds_write_b64 v1, v[2:3]
	buffer_store_dword v100, off, s[0:3], 0 offset:120
	buffer_store_dword v100, off, s[0:3], 0 offset:124
.LBB103_223:
	s_or_b64 exec, exec, s[4:5]
	s_waitcnt lgkmcnt(0)
	; wave barrier
	s_waitcnt lgkmcnt(0)
	buffer_load_dword v98, off, s[0:3], 0 offset:132
	buffer_load_dword v99, off, s[0:3], 0 offset:140
	;; [unrolled: 1-line block ×34, first 2 shown]
	ds_read_b128 v[4:7], v100 offset:448
	ds_read_b128 v[8:11], v100 offset:464
	;; [unrolled: 1-line block ×8, first 2 shown]
	buffer_load_dword v17, off, s[0:3], 0 offset:276
	buffer_load_dword v16, off, s[0:3], 0 offset:272
	;; [unrolled: 1-line block ×10, first 2 shown]
	v_cmp_lt_u32_e32 vcc, 14, v0
	s_waitcnt vmcnt(43) lgkmcnt(7)
	v_mul_f32_e32 v126, v4, v98
	s_waitcnt vmcnt(42)
	v_mul_f32_e32 v130, v6, v99
	s_waitcnt vmcnt(41) lgkmcnt(6)
	v_mul_f32_e32 v132, v8, v101
	s_waitcnt vmcnt(40)
	v_mul_f32_e32 v133, v10, v134
	;; [unrolled: 4-line block ×7, first 2 shown]
	s_waitcnt vmcnt(29)
	v_fmac_f32_e32 v126, v5, v150
	s_waitcnt vmcnt(28)
	v_fmac_f32_e32 v130, v7, v151
	v_add_f32_e32 v126, 0, v126
	s_waitcnt vmcnt(27)
	v_fmac_f32_e32 v132, v9, v152
	v_add_f32_e32 v126, v126, v130
	;; [unrolled: 3-line block ×12, first 2 shown]
	v_add_f32_e32 v135, v126, v171
	buffer_load_dword v130, off, s[0:3], 0 offset:296
	buffer_load_dword v133, off, s[0:3], 0 offset:292
	;; [unrolled: 1-line block ×6, first 2 shown]
	v_mul_f32_e32 v5, v5, v98
	v_fma_f32 v4, v4, v150, -v5
	v_mul_f32_e32 v5, v7, v99
	v_add_f32_e32 v4, 0, v4
	v_fma_f32 v5, v6, v151, -v5
	v_add_f32_e32 v4, v4, v5
	v_mul_f32_e32 v5, v9, v101
	v_fma_f32 v5, v8, v152, -v5
	v_add_f32_e32 v4, v4, v5
	v_mul_f32_e32 v5, v11, v134
	;; [unrolled: 3-line block ×12, first 2 shown]
	s_waitcnt vmcnt(22)
	v_fma_f32 v5, v116, v163, -v5
	v_add_f32_e32 v134, v4, v5
	s_waitcnt vmcnt(21) lgkmcnt(0)
	v_mul_f32_e32 v4, v119, v164
	s_waitcnt vmcnt(20)
	v_fma_f32 v136, v118, v165, -v4
	s_waitcnt vmcnt(19)
	v_mul_f32_e32 v4, v121, v166
	s_waitcnt vmcnt(18)
	v_fma_f32 v138, v120, v167, -v4
	ds_read_b128 v[4:7], v100 offset:576
	ds_read_b128 v[8:11], v100 offset:592
	;; [unrolled: 1-line block ×4, first 2 shown]
	v_fmac_f32_e32 v172, v117, v163
	v_mul_f32_e32 v137, v118, v164
	s_waitcnt vmcnt(11)
	v_mov_b32_e32 v104, v125
	v_add_f32_e32 v135, v135, v172
	v_fmac_f32_e32 v137, v119, v165
	v_mul_f32_e32 v139, v120, v166
	s_waitcnt lgkmcnt(3)
	v_pk_mul_f32 v[104:105], v[4:5], v[104:105] op_sel_hi:[1,0]
	v_fmac_f32_e32 v139, v121, v167
	v_pk_add_f32 v[102:103], v[134:135], v[136:137]
	s_waitcnt vmcnt(10)
	v_pk_fma_f32 v[106:107], v[4:5], v[124:125], v[104:105] op_sel:[0,0,1] op_sel_hi:[1,1,0] neg_lo:[0,0,1] neg_hi:[0,0,1]
	v_pk_fma_f32 v[4:5], v[4:5], v[124:125], v[104:105] op_sel:[0,0,1] op_sel_hi:[1,0,0]
	v_pk_add_f32 v[102:103], v[102:103], v[138:139]
	v_mov_b32_e32 v107, v5
	v_pk_add_f32 v[4:5], v[102:103], v[106:107]
	v_mov_b32_e32 v102, v123
	v_pk_mul_f32 v[102:103], v[6:7], v[102:103] op_sel_hi:[1,0]
	v_pk_fma_f32 v[104:105], v[6:7], v[122:123], v[102:103] op_sel:[0,0,1] op_sel_hi:[1,1,0] neg_lo:[0,0,1] neg_hi:[0,0,1]
	v_pk_fma_f32 v[6:7], v[6:7], v[122:123], v[102:103] op_sel:[0,0,1] op_sel_hi:[1,0,0]
	v_mov_b32_e32 v6, v17
	v_mov_b32_e32 v105, v7
	s_waitcnt lgkmcnt(2)
	v_pk_mul_f32 v[6:7], v[8:9], v[6:7] op_sel_hi:[1,0]
	v_pk_fma_f32 v[102:103], v[8:9], v[16:17], v[6:7] op_sel:[0,0,1] op_sel_hi:[1,1,0] neg_lo:[0,0,1] neg_hi:[0,0,1]
	v_pk_fma_f32 v[6:7], v[8:9], v[16:17], v[6:7] op_sel:[0,0,1] op_sel_hi:[1,0,0]
	s_waitcnt vmcnt(9)
	v_mov_b32_e32 v6, v127
	v_mov_b32_e32 v103, v7
	v_pk_mul_f32 v[6:7], v[10:11], v[6:7] op_sel_hi:[1,0]
	v_pk_add_f32 v[4:5], v[4:5], v[104:105]
	v_pk_add_f32 v[4:5], v[4:5], v[102:103]
	s_waitcnt vmcnt(2)
	v_pk_fma_f32 v[8:9], v[10:11], v[126:127], v[6:7] op_sel:[0,0,1] op_sel_hi:[1,1,0] neg_lo:[0,0,1] neg_hi:[0,0,1]
	v_pk_fma_f32 v[6:7], v[10:11], v[126:127], v[6:7] op_sel:[0,0,1] op_sel_hi:[1,0,0]
	v_mov_b32_e32 v6, v133
	v_mov_b32_e32 v9, v7
	s_waitcnt lgkmcnt(1)
	v_pk_mul_f32 v[6:7], v[12:13], v[6:7] op_sel_hi:[1,0]
	v_pk_add_f32 v[4:5], v[4:5], v[8:9]
	v_pk_fma_f32 v[8:9], v[12:13], v[132:133], v[6:7] op_sel:[0,0,1] op_sel_hi:[1,1,0] neg_lo:[0,0,1] neg_hi:[0,0,1]
	v_pk_fma_f32 v[6:7], v[12:13], v[132:133], v[6:7] op_sel:[0,0,1] op_sel_hi:[1,0,0]
	v_mov_b32_e32 v6, v131
	v_mov_b32_e32 v9, v7
	v_pk_mul_f32 v[6:7], v[14:15], v[6:7] op_sel_hi:[1,0]
	v_pk_add_f32 v[4:5], v[4:5], v[8:9]
	v_pk_fma_f32 v[8:9], v[14:15], v[130:131], v[6:7] op_sel:[0,0,1] op_sel_hi:[1,1,0] neg_lo:[0,0,1] neg_hi:[0,0,1]
	v_pk_fma_f32 v[6:7], v[14:15], v[130:131], v[6:7] op_sel:[0,0,1] op_sel_hi:[1,0,0]
	v_mov_b32_e32 v6, v129
	v_mov_b32_e32 v9, v7
	s_waitcnt lgkmcnt(0)
	v_pk_mul_f32 v[6:7], v[98:99], v[6:7] op_sel_hi:[1,0]
	v_pk_add_f32 v[4:5], v[4:5], v[8:9]
	v_pk_fma_f32 v[8:9], v[98:99], v[128:129], v[6:7] op_sel:[0,0,1] op_sel_hi:[1,1,0] neg_lo:[0,0,1] neg_hi:[0,0,1]
	v_pk_fma_f32 v[6:7], v[98:99], v[128:129], v[6:7] op_sel:[0,0,1] op_sel_hi:[1,0,0]
	s_waitcnt vmcnt(1)
	v_mov_b32_e32 v6, v141
	v_mov_b32_e32 v9, v7
	v_pk_mul_f32 v[6:7], v[100:101], v[6:7] op_sel_hi:[1,0]
	v_pk_add_f32 v[4:5], v[4:5], v[8:9]
	s_waitcnt vmcnt(0)
	v_pk_fma_f32 v[8:9], v[100:101], v[140:141], v[6:7] op_sel:[0,0,1] op_sel_hi:[1,1,0] neg_lo:[0,0,1] neg_hi:[0,0,1]
	v_pk_fma_f32 v[6:7], v[100:101], v[140:141], v[6:7] op_sel:[0,0,1] op_sel_hi:[1,0,0]
	v_mov_b32_e32 v9, v7
	v_pk_add_f32 v[4:5], v[4:5], v[8:9]
	v_pk_add_f32 v[2:3], v[2:3], v[4:5] neg_lo:[0,1] neg_hi:[0,1]
	buffer_store_dword v3, off, s[0:3], 0 offset:124
	buffer_store_dword v2, off, s[0:3], 0 offset:120
	s_and_saveexec_b64 s[4:5], vcc
	s_cbranch_execz .LBB103_225
; %bb.224:
	buffer_load_dword v2, off, s[0:3], 0 offset:112
	buffer_load_dword v3, off, s[0:3], 0 offset:116
	v_mov_b32_e32 v4, 0
	buffer_store_dword v4, off, s[0:3], 0 offset:112
	buffer_store_dword v4, off, s[0:3], 0 offset:116
	s_waitcnt vmcnt(2)
	ds_write_b64 v1, v[2:3]
.LBB103_225:
	s_or_b64 exec, exec, s[4:5]
	s_waitcnt lgkmcnt(0)
	; wave barrier
	s_waitcnt lgkmcnt(0)
	buffer_load_dword v5, off, s[0:3], 0 offset:124
	buffer_load_dword v138, off, s[0:3], 0 offset:132
	;; [unrolled: 1-line block ×36, first 2 shown]
	v_mov_b32_e32 v4, 0
	buffer_load_dword v127, off, s[0:3], 0 offset:268
	buffer_load_dword v126, off, s[0:3], 0 offset:264
	;; [unrolled: 1-line block ×5, first 2 shown]
	ds_read2_b64 v[6:9], v4 offset0:55 offset1:56
	ds_read2_b64 v[10:13], v4 offset0:57 offset1:58
	;; [unrolled: 1-line block ×8, first 2 shown]
	v_cmp_lt_u32_e32 vcc, 13, v0
	s_waitcnt vmcnt(40) lgkmcnt(7)
	v_mul_f32_e32 v118, v6, v5
	s_waitcnt vmcnt(39)
	v_mul_f32_e32 v119, v8, v138
	s_waitcnt vmcnt(38) lgkmcnt(6)
	v_mul_f32_e32 v120, v10, v140
	s_waitcnt vmcnt(37)
	v_mul_f32_e32 v121, v12, v142
	;; [unrolled: 4-line block ×7, first 2 shown]
	s_waitcnt vmcnt(26) lgkmcnt(0)
	v_mul_f32_e32 v139, v114, v158
	s_waitcnt vmcnt(25)
	v_fmac_f32_e32 v118, v7, v159
	s_waitcnt vmcnt(24)
	v_fmac_f32_e32 v119, v9, v160
	v_add_f32_e32 v118, 0, v118
	s_waitcnt vmcnt(23)
	v_fmac_f32_e32 v120, v11, v161
	v_add_f32_e32 v118, v118, v119
	;; [unrolled: 3-line block ×13, first 2 shown]
	v_add_f32_e32 v122, v118, v136
	buffer_load_dword v133, off, s[0:3], 0 offset:300
	buffer_load_dword v132, off, s[0:3], 0 offset:296
	;; [unrolled: 1-line block ×7, first 2 shown]
	s_waitcnt vmcnt(18)
	v_fmac_f32_e32 v139, v115, v173
	ds_read2_b64 v[118:121], v4 offset0:71 offset1:72
	v_add_f32_e32 v139, v122, v139
	ds_read2_b64 v[122:125], v4 offset0:73 offset1:74
	buffer_load_dword v145, off, s[0:3], 0 offset:316
	buffer_load_dword v144, off, s[0:3], 0 offset:312
	;; [unrolled: 1-line block ×4, first 2 shown]
	v_mul_f32_e32 v5, v7, v5
	v_fma_f32 v5, v6, v159, -v5
	v_mul_f32_e32 v6, v9, v138
	v_add_f32_e32 v5, 0, v5
	v_fma_f32 v6, v8, v160, -v6
	v_add_f32_e32 v5, v5, v6
	v_mul_f32_e32 v6, v11, v140
	v_fma_f32 v6, v10, v161, -v6
	v_add_f32_e32 v5, v5, v6
	v_mul_f32_e32 v6, v13, v142
	;; [unrolled: 3-line block ×13, first 2 shown]
	v_fma_f32 v6, v114, v173, -v6
	s_waitcnt vmcnt(13)
	v_mov_b32_e32 v98, v129
	v_mul_f32_e32 v141, v116, v174
	v_add_f32_e32 v138, v5, v6
	v_mul_f32_e32 v5, v117, v174
	s_waitcnt lgkmcnt(1)
	v_pk_mul_f32 v[98:99], v[120:121], v[98:99] op_sel_hi:[1,0]
	v_fmac_f32_e32 v141, v117, v175
	v_mul_f32_e32 v143, v118, v176
	v_fma_f32 v140, v116, v175, -v5
	v_mul_f32_e32 v5, v119, v176
	s_waitcnt vmcnt(12)
	v_pk_fma_f32 v[100:101], v[120:121], v[128:129], v[98:99] op_sel:[0,0,1] op_sel_hi:[1,1,0] neg_lo:[0,0,1] neg_hi:[0,0,1]
	v_pk_fma_f32 v[98:99], v[120:121], v[128:129], v[98:99] op_sel:[0,0,1] op_sel_hi:[1,0,0]
	v_fmac_f32_e32 v143, v119, v177
	v_fma_f32 v142, v118, v177, -v5
	v_pk_add_f32 v[16:17], v[138:139], v[140:141]
	v_mov_b32_e32 v98, v127
	v_pk_add_f32 v[16:17], v[16:17], v[142:143]
	v_mov_b32_e32 v101, v99
	s_waitcnt lgkmcnt(0)
	v_pk_mul_f32 v[98:99], v[122:123], v[98:99] op_sel_hi:[1,0]
	v_pk_add_f32 v[16:17], v[16:17], v[100:101]
	v_pk_fma_f32 v[100:101], v[122:123], v[126:127], v[98:99] op_sel:[0,0,1] op_sel_hi:[1,1,0] neg_lo:[0,0,1] neg_hi:[0,0,1]
	v_pk_fma_f32 v[98:99], v[122:123], v[126:127], v[98:99] op_sel:[0,0,1] op_sel_hi:[1,0,0]
	s_waitcnt vmcnt(11)
	v_mov_b32_e32 v98, v131
	ds_read2_b64 v[6:9], v4 offset0:75 offset1:76
	ds_read2_b64 v[10:13], v4 offset0:77 offset1:78
	ds_read_b64 v[14:15], v4 offset:632
	v_mov_b32_e32 v101, v99
	v_pk_mul_f32 v[98:99], v[124:125], v[98:99] op_sel_hi:[1,0]
	v_pk_add_f32 v[16:17], v[16:17], v[100:101]
	s_waitcnt vmcnt(4)
	v_pk_fma_f32 v[100:101], v[124:125], v[130:131], v[98:99] op_sel:[0,0,1] op_sel_hi:[1,1,0] neg_lo:[0,0,1] neg_hi:[0,0,1]
	v_pk_fma_f32 v[98:99], v[124:125], v[130:131], v[98:99] op_sel:[0,0,1] op_sel_hi:[1,0,0]
	v_mov_b32_e32 v98, v137
	v_mov_b32_e32 v101, v99
	s_waitcnt lgkmcnt(2)
	v_pk_mul_f32 v[98:99], v[6:7], v[98:99] op_sel_hi:[1,0]
	v_pk_add_f32 v[16:17], v[16:17], v[100:101]
	v_pk_fma_f32 v[100:101], v[6:7], v[136:137], v[98:99] op_sel:[0,0,1] op_sel_hi:[1,1,0] neg_lo:[0,0,1] neg_hi:[0,0,1]
	v_pk_fma_f32 v[6:7], v[6:7], v[136:137], v[98:99] op_sel:[0,0,1] op_sel_hi:[1,0,0]
	v_mov_b32_e32 v101, v7
	v_pk_add_f32 v[6:7], v[16:17], v[100:101]
	v_mov_b32_e32 v16, v135
	v_pk_mul_f32 v[16:17], v[8:9], v[16:17] op_sel_hi:[1,0]
	v_pk_fma_f32 v[98:99], v[8:9], v[134:135], v[16:17] op_sel:[0,0,1] op_sel_hi:[1,1,0] neg_lo:[0,0,1] neg_hi:[0,0,1]
	v_pk_fma_f32 v[8:9], v[8:9], v[134:135], v[16:17] op_sel:[0,0,1] op_sel_hi:[1,0,0]
	v_mov_b32_e32 v8, v133
	v_mov_b32_e32 v99, v9
	s_waitcnt lgkmcnt(1)
	v_pk_mul_f32 v[8:9], v[10:11], v[8:9] op_sel_hi:[1,0]
	v_pk_fma_f32 v[16:17], v[10:11], v[132:133], v[8:9] op_sel:[0,0,1] op_sel_hi:[1,1,0] neg_lo:[0,0,1] neg_hi:[0,0,1]
	v_pk_fma_f32 v[8:9], v[10:11], v[132:133], v[8:9] op_sel:[0,0,1] op_sel_hi:[1,0,0]
	s_waitcnt vmcnt(1)
	v_mov_b32_e32 v8, v147
	v_mov_b32_e32 v17, v9
	v_pk_mul_f32 v[8:9], v[12:13], v[8:9] op_sel_hi:[1,0]
	s_waitcnt vmcnt(0)
	v_pk_fma_f32 v[10:11], v[12:13], v[146:147], v[8:9] op_sel:[0,0,1] op_sel_hi:[1,1,0] neg_lo:[0,0,1] neg_hi:[0,0,1]
	v_pk_fma_f32 v[8:9], v[12:13], v[146:147], v[8:9] op_sel:[0,0,1] op_sel_hi:[1,0,0]
	v_pk_add_f32 v[6:7], v[6:7], v[98:99]
	v_mov_b32_e32 v8, v145
	v_pk_add_f32 v[6:7], v[6:7], v[16:17]
	v_mov_b32_e32 v11, v9
	s_waitcnt lgkmcnt(0)
	v_pk_mul_f32 v[8:9], v[14:15], v[8:9] op_sel_hi:[1,0]
	v_pk_add_f32 v[6:7], v[6:7], v[10:11]
	v_pk_fma_f32 v[10:11], v[14:15], v[144:145], v[8:9] op_sel:[0,0,1] op_sel_hi:[1,1,0] neg_lo:[0,0,1] neg_hi:[0,0,1]
	v_pk_fma_f32 v[8:9], v[14:15], v[144:145], v[8:9] op_sel:[0,0,1] op_sel_hi:[1,0,0]
	v_mov_b32_e32 v11, v9
	v_pk_add_f32 v[6:7], v[6:7], v[10:11]
	v_pk_add_f32 v[2:3], v[2:3], v[6:7] neg_lo:[0,1] neg_hi:[0,1]
	buffer_store_dword v3, off, s[0:3], 0 offset:116
	buffer_store_dword v2, off, s[0:3], 0 offset:112
	s_and_saveexec_b64 s[4:5], vcc
	s_cbranch_execz .LBB103_227
; %bb.226:
	buffer_load_dword v2, off, s[0:3], 0 offset:104
	buffer_load_dword v3, off, s[0:3], 0 offset:108
	s_waitcnt vmcnt(0)
	ds_write_b64 v1, v[2:3]
	buffer_store_dword v4, off, s[0:3], 0 offset:104
	buffer_store_dword v4, off, s[0:3], 0 offset:108
.LBB103_227:
	s_or_b64 exec, exec, s[4:5]
	s_waitcnt lgkmcnt(0)
	; wave barrier
	s_waitcnt lgkmcnt(0)
	buffer_load_dword v2, off, s[0:3], 0 offset:116
	buffer_load_dword v3, off, s[0:3], 0 offset:124
	;; [unrolled: 1-line block ×38, first 2 shown]
	ds_read_b128 v[6:9], v4 offset:432
	ds_read_b128 v[10:13], v4 offset:448
	;; [unrolled: 1-line block ×8, first 2 shown]
	buffer_load_dword v129, off, s[0:3], 0 offset:260
	buffer_load_dword v128, off, s[0:3], 0 offset:256
	;; [unrolled: 1-line block ×4, first 2 shown]
	v_cmp_lt_u32_e32 vcc, 12, v0
	s_waitcnt vmcnt(41) lgkmcnt(7)
	v_mul_f32_e32 v118, v6, v2
	s_waitcnt vmcnt(40)
	v_mul_f32_e32 v119, v8, v3
	s_waitcnt vmcnt(39) lgkmcnt(6)
	v_mul_f32_e32 v120, v10, v5
	s_waitcnt vmcnt(38)
	v_mul_f32_e32 v121, v12, v138
	;; [unrolled: 4-line block ×7, first 2 shown]
	s_waitcnt vmcnt(27) lgkmcnt(0)
	v_mul_f32_e32 v139, v114, v158
	s_waitcnt vmcnt(26)
	v_fmac_f32_e32 v118, v7, v159
	s_waitcnt vmcnt(25)
	v_fmac_f32_e32 v119, v9, v160
	v_add_f32_e32 v118, 0, v118
	s_waitcnt vmcnt(24)
	v_fmac_f32_e32 v120, v11, v161
	v_add_f32_e32 v118, v118, v119
	;; [unrolled: 3-line block ×13, first 2 shown]
	v_add_f32_e32 v118, v118, v137
	buffer_load_dword v133, off, s[0:3], 0 offset:284
	buffer_load_dword v132, off, s[0:3], 0 offset:280
	;; [unrolled: 1-line block ×6, first 2 shown]
	s_waitcnt vmcnt(18)
	v_fmac_f32_e32 v139, v115, v173
	s_waitcnt vmcnt(17)
	v_mul_f32_e32 v123, v116, v174
	v_add_f32_e32 v122, v118, v139
	s_waitcnt vmcnt(16)
	v_fmac_f32_e32 v123, v117, v175
	ds_read_b128 v[118:121], v4 offset:560
	v_add_f32_e32 v139, v122, v123
	ds_read_b128 v[122:125], v4 offset:576
	buffer_load_dword v145, off, s[0:3], 0 offset:316
	buffer_load_dword v144, off, s[0:3], 0 offset:312
	;; [unrolled: 1-line block ×6, first 2 shown]
	v_mul_f32_e32 v2, v7, v2
	v_fma_f32 v2, v6, v159, -v2
	v_mul_f32_e32 v3, v9, v3
	v_add_f32_e32 v2, 0, v2
	v_fma_f32 v3, v8, v160, -v3
	v_add_f32_e32 v2, v2, v3
	v_mul_f32_e32 v3, v11, v5
	v_fma_f32 v3, v10, v161, -v3
	v_add_f32_e32 v2, v2, v3
	v_mul_f32_e32 v3, v13, v138
	;; [unrolled: 3-line block ×14, first 2 shown]
	v_fma_f32 v3, v116, v175, -v3
	s_waitcnt vmcnt(15)
	v_mov_b32_e32 v16, v129
	s_waitcnt lgkmcnt(1)
	v_mul_f32_e32 v141, v118, v176
	v_add_f32_e32 v138, v2, v3
	v_mul_f32_e32 v2, v119, v176
	s_waitcnt lgkmcnt(0)
	v_pk_mul_f32 v[16:17], v[122:123], v[16:17] op_sel_hi:[1,0]
	v_fmac_f32_e32 v141, v119, v177
	v_mul_f32_e32 v143, v120, v178
	v_fma_f32 v140, v118, v177, -v2
	v_mul_f32_e32 v2, v121, v178
	s_waitcnt vmcnt(14)
	v_pk_fma_f32 v[98:99], v[122:123], v[128:129], v[16:17] op_sel:[0,0,1] op_sel_hi:[1,1,0] neg_lo:[0,0,1] neg_hi:[0,0,1]
	v_pk_fma_f32 v[16:17], v[122:123], v[128:129], v[16:17] op_sel:[0,0,1] op_sel_hi:[1,0,0]
	v_fmac_f32_e32 v143, v121, v179
	v_fma_f32 v142, v120, v179, -v2
	v_pk_add_f32 v[14:15], v[138:139], v[140:141]
	ds_read_b128 v[6:9], v4 offset:592
	ds_read_b128 v[10:13], v4 offset:608
	;; [unrolled: 1-line block ×3, first 2 shown]
	v_pk_add_f32 v[14:15], v[14:15], v[142:143]
	v_mov_b32_e32 v99, v17
	v_pk_add_f32 v[14:15], v[14:15], v[98:99]
	s_waitcnt vmcnt(7)
	v_mov_b32_e32 v16, v137
	v_pk_mul_f32 v[16:17], v[124:125], v[16:17] op_sel_hi:[1,0]
	s_waitcnt vmcnt(6)
	v_pk_fma_f32 v[98:99], v[124:125], v[136:137], v[16:17] op_sel:[0,0,1] op_sel_hi:[1,1,0] neg_lo:[0,0,1] neg_hi:[0,0,1]
	v_pk_fma_f32 v[16:17], v[124:125], v[136:137], v[16:17] op_sel:[0,0,1] op_sel_hi:[1,0,0]
	v_mov_b32_e32 v16, v135
	v_mov_b32_e32 v99, v17
	s_waitcnt lgkmcnt(2)
	v_pk_mul_f32 v[16:17], v[6:7], v[16:17] op_sel_hi:[1,0]
	v_pk_add_f32 v[14:15], v[14:15], v[98:99]
	v_pk_fma_f32 v[98:99], v[6:7], v[134:135], v[16:17] op_sel:[0,0,1] op_sel_hi:[1,1,0] neg_lo:[0,0,1] neg_hi:[0,0,1]
	v_pk_fma_f32 v[6:7], v[6:7], v[134:135], v[16:17] op_sel:[0,0,1] op_sel_hi:[1,0,0]
	v_mov_b32_e32 v99, v7
	v_pk_add_f32 v[6:7], v[14:15], v[98:99]
	v_mov_b32_e32 v14, v133
	v_pk_mul_f32 v[14:15], v[8:9], v[14:15] op_sel_hi:[1,0]
	v_pk_fma_f32 v[16:17], v[8:9], v[132:133], v[14:15] op_sel:[0,0,1] op_sel_hi:[1,1,0] neg_lo:[0,0,1] neg_hi:[0,0,1]
	v_pk_fma_f32 v[8:9], v[8:9], v[132:133], v[14:15] op_sel:[0,0,1] op_sel_hi:[1,0,0]
	v_mov_b32_e32 v8, v131
	v_mov_b32_e32 v17, v9
	s_waitcnt lgkmcnt(1)
	v_pk_mul_f32 v[8:9], v[10:11], v[8:9] op_sel_hi:[1,0]
	v_pk_fma_f32 v[14:15], v[10:11], v[130:131], v[8:9] op_sel:[0,0,1] op_sel_hi:[1,1,0] neg_lo:[0,0,1] neg_hi:[0,0,1]
	v_pk_fma_f32 v[8:9], v[10:11], v[130:131], v[8:9] op_sel:[0,0,1] op_sel_hi:[1,0,0]
	s_waitcnt vmcnt(1)
	v_mov_b32_e32 v8, v149
	v_mov_b32_e32 v15, v9
	v_pk_mul_f32 v[8:9], v[12:13], v[8:9] op_sel_hi:[1,0]
	s_waitcnt vmcnt(0)
	v_pk_fma_f32 v[10:11], v[12:13], v[148:149], v[8:9] op_sel:[0,0,1] op_sel_hi:[1,1,0] neg_lo:[0,0,1] neg_hi:[0,0,1]
	v_pk_fma_f32 v[8:9], v[12:13], v[148:149], v[8:9] op_sel:[0,0,1] op_sel_hi:[1,0,0]
	v_pk_add_f32 v[6:7], v[6:7], v[16:17]
	v_mov_b32_e32 v8, v147
	v_pk_add_f32 v[6:7], v[6:7], v[14:15]
	v_mov_b32_e32 v11, v9
	s_waitcnt lgkmcnt(0)
	v_pk_mul_f32 v[8:9], v[2:3], v[8:9] op_sel_hi:[1,0]
	v_pk_add_f32 v[6:7], v[6:7], v[10:11]
	v_pk_fma_f32 v[10:11], v[2:3], v[146:147], v[8:9] op_sel:[0,0,1] op_sel_hi:[1,1,0] neg_lo:[0,0,1] neg_hi:[0,0,1]
	v_pk_fma_f32 v[2:3], v[2:3], v[146:147], v[8:9] op_sel:[0,0,1] op_sel_hi:[1,0,0]
	v_mov_b32_e32 v11, v3
	v_pk_add_f32 v[2:3], v[6:7], v[10:11]
	v_mov_b32_e32 v6, v145
	v_pk_mul_f32 v[6:7], v[4:5], v[6:7] op_sel_hi:[1,0]
	v_pk_fma_f32 v[8:9], v[4:5], v[144:145], v[6:7] op_sel:[0,0,1] op_sel_hi:[1,1,0] neg_lo:[0,0,1] neg_hi:[0,0,1]
	v_pk_fma_f32 v[4:5], v[4:5], v[144:145], v[6:7] op_sel:[0,0,1] op_sel_hi:[1,0,0]
	v_mov_b32_e32 v9, v5
	v_pk_add_f32 v[2:3], v[2:3], v[8:9]
	v_pk_add_f32 v[2:3], v[126:127], v[2:3] neg_lo:[0,1] neg_hi:[0,1]
	buffer_store_dword v3, off, s[0:3], 0 offset:108
	buffer_store_dword v2, off, s[0:3], 0 offset:104
	s_and_saveexec_b64 s[4:5], vcc
	s_cbranch_execz .LBB103_229
; %bb.228:
	buffer_load_dword v2, off, s[0:3], 0 offset:96
	buffer_load_dword v3, off, s[0:3], 0 offset:100
	v_mov_b32_e32 v4, 0
	buffer_store_dword v4, off, s[0:3], 0 offset:96
	buffer_store_dword v4, off, s[0:3], 0 offset:100
	s_waitcnt vmcnt(2)
	ds_write_b64 v1, v[2:3]
.LBB103_229:
	s_or_b64 exec, exec, s[4:5]
	s_waitcnt lgkmcnt(0)
	; wave barrier
	s_waitcnt lgkmcnt(0)
	buffer_load_dword v5, off, s[0:3], 0 offset:108
	buffer_load_dword v134, off, s[0:3], 0 offset:116
	;; [unrolled: 1-line block ×40, first 2 shown]
	v_mov_b32_e32 v4, 0
	ds_read2_b64 v[6:9], v4 offset0:53 offset1:54
	ds_read2_b64 v[10:13], v4 offset0:55 offset1:56
	;; [unrolled: 1-line block ×8, first 2 shown]
	v_cmp_lt_u32_e32 vcc, 11, v0
	s_waitcnt vmcnt(39) lgkmcnt(7)
	v_mul_f32_e32 v118, v6, v5
	s_waitcnt vmcnt(38)
	v_mul_f32_e32 v119, v8, v134
	s_waitcnt vmcnt(37) lgkmcnt(6)
	v_mul_f32_e32 v120, v10, v136
	s_waitcnt vmcnt(36)
	v_mul_f32_e32 v121, v12, v138
	;; [unrolled: 4-line block ×8, first 2 shown]
	s_waitcnt vmcnt(23)
	v_fmac_f32_e32 v118, v7, v160
	s_waitcnt vmcnt(22)
	v_fmac_f32_e32 v119, v9, v161
	v_add_f32_e32 v118, 0, v118
	s_waitcnt vmcnt(21)
	v_fmac_f32_e32 v120, v11, v162
	v_add_f32_e32 v118, v118, v119
	;; [unrolled: 3-line block ×14, first 2 shown]
	v_add_f32_e32 v118, v118, v132
	s_waitcnt vmcnt(8)
	v_fmac_f32_e32 v133, v117, v175
	v_add_f32_e32 v135, v118, v133
	ds_read2_b64 v[118:121], v4 offset0:69 offset1:70
	buffer_load_dword v127, off, s[0:3], 0 offset:260
	buffer_load_dword v129, off, s[0:3], 0 offset:284
	;; [unrolled: 1-line block ×8, first 2 shown]
	ds_read2_b64 v[122:125], v4 offset0:71 offset1:72
	buffer_load_dword v141, off, s[0:3], 0 offset:316
	buffer_load_dword v140, off, s[0:3], 0 offset:312
	;; [unrolled: 1-line block ×8, first 2 shown]
	v_mul_f32_e32 v5, v7, v5
	v_fma_f32 v5, v6, v160, -v5
	v_mul_f32_e32 v6, v9, v134
	v_add_f32_e32 v5, 0, v5
	v_fma_f32 v6, v8, v161, -v6
	v_add_f32_e32 v5, v5, v6
	v_mul_f32_e32 v6, v11, v136
	v_fma_f32 v6, v10, v162, -v6
	v_add_f32_e32 v5, v5, v6
	v_mul_f32_e32 v6, v13, v138
	;; [unrolled: 3-line block ×14, first 2 shown]
	v_fma_f32 v6, v116, v175, -v6
	s_waitcnt vmcnt(23) lgkmcnt(1)
	v_mul_f32_e32 v137, v118, v176
	v_add_f32_e32 v5, v5, v6
	v_mul_f32_e32 v6, v119, v176
	s_waitcnt vmcnt(22)
	v_fmac_f32_e32 v137, v119, v177
	v_fma_f32 v6, v118, v177, -v6
	v_add_f32_e32 v135, v135, v137
	s_waitcnt vmcnt(21)
	v_mul_f32_e32 v137, v120, v178
	v_add_f32_e32 v134, v5, v6
	v_mul_f32_e32 v5, v121, v178
	s_waitcnt vmcnt(20)
	v_fmac_f32_e32 v137, v121, v179
	s_waitcnt vmcnt(19) lgkmcnt(0)
	v_mul_f32_e32 v139, v122, v180
	v_fma_f32 v136, v120, v179, -v5
	v_mul_f32_e32 v5, v123, v180
	ds_read2_b64 v[6:9], v4 offset0:73 offset1:74
	ds_read2_b64 v[10:13], v4 offset0:75 offset1:76
	;; [unrolled: 1-line block ×3, first 2 shown]
	ds_read_b64 v[98:99], v4 offset:632
	s_waitcnt vmcnt(18)
	v_fmac_f32_e32 v139, v123, v181
	v_fma_f32 v138, v122, v181, -v5
	v_pk_add_f32 v[100:101], v[134:135], v[136:137]
	v_pk_add_f32 v[100:101], v[100:101], v[138:139]
	s_waitcnt vmcnt(15)
	v_mov_b32_e32 v102, v127
	v_pk_mul_f32 v[102:103], v[124:125], v[102:103] op_sel_hi:[1,0]
	s_waitcnt vmcnt(8)
	v_pk_fma_f32 v[104:105], v[124:125], v[126:127], v[102:103] op_sel:[0,0,1] op_sel_hi:[1,1,0] neg_lo:[0,0,1] neg_hi:[0,0,1]
	v_pk_fma_f32 v[102:103], v[124:125], v[126:127], v[102:103] op_sel:[0,0,1] op_sel_hi:[1,0,0]
	v_mov_b32_e32 v102, v133
	v_mov_b32_e32 v105, v103
	s_waitcnt lgkmcnt(3)
	v_pk_mul_f32 v[102:103], v[6:7], v[102:103] op_sel_hi:[1,0]
	v_pk_add_f32 v[100:101], v[100:101], v[104:105]
	v_pk_fma_f32 v[104:105], v[6:7], v[132:133], v[102:103] op_sel:[0,0,1] op_sel_hi:[1,1,0] neg_lo:[0,0,1] neg_hi:[0,0,1]
	v_pk_fma_f32 v[6:7], v[6:7], v[132:133], v[102:103] op_sel:[0,0,1] op_sel_hi:[1,0,0]
	v_mov_b32_e32 v105, v7
	v_pk_add_f32 v[6:7], v[100:101], v[104:105]
	v_mov_b32_e32 v100, v131
	v_pk_mul_f32 v[100:101], v[8:9], v[100:101] op_sel_hi:[1,0]
	v_pk_fma_f32 v[102:103], v[8:9], v[130:131], v[100:101] op_sel:[0,0,1] op_sel_hi:[1,1,0] neg_lo:[0,0,1] neg_hi:[0,0,1]
	v_pk_fma_f32 v[8:9], v[8:9], v[130:131], v[100:101] op_sel:[0,0,1] op_sel_hi:[1,0,0]
	v_mov_b32_e32 v8, v129
	v_mov_b32_e32 v103, v9
	s_waitcnt lgkmcnt(2)
	v_pk_mul_f32 v[8:9], v[10:11], v[8:9] op_sel_hi:[1,0]
	v_pk_fma_f32 v[100:101], v[10:11], v[128:129], v[8:9] op_sel:[0,0,1] op_sel_hi:[1,1,0] neg_lo:[0,0,1] neg_hi:[0,0,1]
	v_pk_fma_f32 v[8:9], v[10:11], v[128:129], v[8:9] op_sel:[0,0,1] op_sel_hi:[1,0,0]
	s_waitcnt vmcnt(1)
	v_mov_b32_e32 v8, v147
	v_mov_b32_e32 v101, v9
	v_pk_mul_f32 v[8:9], v[12:13], v[8:9] op_sel_hi:[1,0]
	s_waitcnt vmcnt(0)
	v_pk_fma_f32 v[10:11], v[12:13], v[146:147], v[8:9] op_sel:[0,0,1] op_sel_hi:[1,1,0] neg_lo:[0,0,1] neg_hi:[0,0,1]
	v_pk_fma_f32 v[8:9], v[12:13], v[146:147], v[8:9] op_sel:[0,0,1] op_sel_hi:[1,0,0]
	v_pk_add_f32 v[6:7], v[6:7], v[102:103]
	v_mov_b32_e32 v8, v145
	v_pk_add_f32 v[6:7], v[6:7], v[100:101]
	v_mov_b32_e32 v11, v9
	s_waitcnt lgkmcnt(1)
	v_pk_mul_f32 v[8:9], v[14:15], v[8:9] op_sel_hi:[1,0]
	v_pk_add_f32 v[6:7], v[6:7], v[10:11]
	v_pk_fma_f32 v[10:11], v[14:15], v[144:145], v[8:9] op_sel:[0,0,1] op_sel_hi:[1,1,0] neg_lo:[0,0,1] neg_hi:[0,0,1]
	v_pk_fma_f32 v[8:9], v[14:15], v[144:145], v[8:9] op_sel:[0,0,1] op_sel_hi:[1,0,0]
	v_mov_b32_e32 v8, v143
	v_mov_b32_e32 v11, v9
	v_pk_mul_f32 v[8:9], v[16:17], v[8:9] op_sel_hi:[1,0]
	v_pk_add_f32 v[6:7], v[6:7], v[10:11]
	v_pk_fma_f32 v[10:11], v[16:17], v[142:143], v[8:9] op_sel:[0,0,1] op_sel_hi:[1,1,0] neg_lo:[0,0,1] neg_hi:[0,0,1]
	v_pk_fma_f32 v[8:9], v[16:17], v[142:143], v[8:9] op_sel:[0,0,1] op_sel_hi:[1,0,0]
	v_mov_b32_e32 v8, v141
	v_mov_b32_e32 v11, v9
	s_waitcnt lgkmcnt(0)
	v_pk_mul_f32 v[8:9], v[98:99], v[8:9] op_sel_hi:[1,0]
	v_pk_add_f32 v[6:7], v[6:7], v[10:11]
	v_pk_fma_f32 v[10:11], v[98:99], v[140:141], v[8:9] op_sel:[0,0,1] op_sel_hi:[1,1,0] neg_lo:[0,0,1] neg_hi:[0,0,1]
	v_pk_fma_f32 v[8:9], v[98:99], v[140:141], v[8:9] op_sel:[0,0,1] op_sel_hi:[1,0,0]
	v_mov_b32_e32 v11, v9
	v_pk_add_f32 v[6:7], v[6:7], v[10:11]
	v_pk_add_f32 v[2:3], v[2:3], v[6:7] neg_lo:[0,1] neg_hi:[0,1]
	buffer_store_dword v3, off, s[0:3], 0 offset:100
	buffer_store_dword v2, off, s[0:3], 0 offset:96
	s_and_saveexec_b64 s[4:5], vcc
	s_cbranch_execz .LBB103_231
; %bb.230:
	buffer_load_dword v2, off, s[0:3], 0 offset:88
	buffer_load_dword v3, off, s[0:3], 0 offset:92
	s_waitcnt vmcnt(0)
	ds_write_b64 v1, v[2:3]
	buffer_store_dword v4, off, s[0:3], 0 offset:88
	buffer_store_dword v4, off, s[0:3], 0 offset:92
.LBB103_231:
	s_or_b64 exec, exec, s[4:5]
	s_waitcnt lgkmcnt(0)
	; wave barrier
	s_waitcnt lgkmcnt(0)
	buffer_load_dword v5, off, s[0:3], 0 offset:100
	buffer_load_dword v126, off, s[0:3], 0 offset:108
	;; [unrolled: 1-line block ×42, first 2 shown]
	ds_read_b128 v[6:9], v4 offset:416
	ds_read_b128 v[10:13], v4 offset:432
	;; [unrolled: 1-line block ×8, first 2 shown]
	v_cmp_lt_u32_e32 vcc, 10, v0
	s_waitcnt vmcnt(41) lgkmcnt(7)
	v_mul_f32_e32 v118, v6, v5
	s_waitcnt vmcnt(40)
	v_mul_f32_e32 v119, v8, v126
	s_waitcnt vmcnt(39) lgkmcnt(6)
	v_mul_f32_e32 v120, v10, v128
	s_waitcnt vmcnt(38)
	v_mul_f32_e32 v121, v12, v136
	;; [unrolled: 4-line block ×7, first 2 shown]
	s_waitcnt vmcnt(27) lgkmcnt(0)
	v_mul_f32_e32 v134, v114, v158
	s_waitcnt vmcnt(26)
	v_fmac_f32_e32 v118, v7, v159
	s_waitcnt vmcnt(25)
	v_fmac_f32_e32 v119, v9, v160
	v_add_f32_e32 v118, 0, v118
	s_waitcnt vmcnt(24)
	v_fmac_f32_e32 v120, v11, v161
	v_add_f32_e32 v118, v118, v119
	;; [unrolled: 3-line block ×14, first 2 shown]
	s_waitcnt vmcnt(11)
	v_mul_f32_e32 v123, v116, v174
	v_add_f32_e32 v122, v118, v134
	s_waitcnt vmcnt(10)
	v_fmac_f32_e32 v123, v117, v175
	ds_read_b128 v[118:121], v4 offset:544
	v_add_f32_e32 v127, v122, v123
	ds_read_b128 v[122:125], v4 offset:560
	buffer_load_dword v131, off, s[0:3], 0 offset:260
	buffer_load_dword v133, off, s[0:3], 0 offset:276
	;; [unrolled: 1-line block ×16, first 2 shown]
	v_mul_f32_e32 v5, v7, v5
	v_fma_f32 v5, v6, v159, -v5
	v_mul_f32_e32 v6, v9, v126
	v_add_f32_e32 v5, 0, v5
	v_fma_f32 v6, v8, v160, -v6
	v_add_f32_e32 v5, v5, v6
	v_mul_f32_e32 v6, v11, v128
	v_fma_f32 v6, v10, v161, -v6
	v_add_f32_e32 v5, v5, v6
	v_mul_f32_e32 v6, v13, v136
	;; [unrolled: 3-line block ×14, first 2 shown]
	v_fma_f32 v6, v116, v175, -v6
	v_add_f32_e32 v5, v5, v6
	s_waitcnt vmcnt(25) lgkmcnt(1)
	v_mul_f32_e32 v6, v119, v176
	s_waitcnt vmcnt(24)
	v_fma_f32 v6, v118, v177, -v6
	v_add_f32_e32 v5, v5, v6
	s_waitcnt vmcnt(23)
	v_mul_f32_e32 v6, v121, v178
	s_waitcnt vmcnt(22)
	v_fma_f32 v6, v120, v179, -v6
	v_add_f32_e32 v126, v5, v6
	ds_read_b128 v[6:9], v4 offset:576
	ds_read_b128 v[10:13], v4 offset:592
	;; [unrolled: 1-line block ×4, first 2 shown]
	v_mul_f32_e32 v129, v118, v176
	v_fmac_f32_e32 v129, v119, v177
	v_add_f32_e32 v127, v127, v129
	v_mul_f32_e32 v129, v120, v178
	v_fmac_f32_e32 v129, v121, v179
	v_add_f32_e32 v127, v127, v129
	s_waitcnt vmcnt(21) lgkmcnt(4)
	v_mul_f32_e32 v129, v122, v180
	v_mul_f32_e32 v5, v123, v180
	s_waitcnt vmcnt(20)
	v_fmac_f32_e32 v129, v123, v181
	s_waitcnt vmcnt(19)
	v_mul_f32_e32 v137, v124, v182
	v_fma_f32 v128, v122, v181, -v5
	v_mul_f32_e32 v5, v125, v182
	s_waitcnt vmcnt(18)
	v_fmac_f32_e32 v137, v125, v183
	v_fma_f32 v136, v124, v183, -v5
	v_pk_add_f32 v[4:5], v[126:127], v[128:129]
	v_pk_add_f32 v[4:5], v[4:5], v[136:137]
	s_waitcnt vmcnt(15)
	v_mov_b32_e32 v102, v131
	s_waitcnt lgkmcnt(3)
	v_pk_mul_f32 v[102:103], v[6:7], v[102:103] op_sel_hi:[1,0]
	s_waitcnt vmcnt(10)
	v_pk_fma_f32 v[104:105], v[6:7], v[130:131], v[102:103] op_sel:[0,0,1] op_sel_hi:[1,1,0] neg_lo:[0,0,1] neg_hi:[0,0,1]
	v_pk_fma_f32 v[6:7], v[6:7], v[130:131], v[102:103] op_sel:[0,0,1] op_sel_hi:[1,0,0]
	v_mov_b32_e32 v6, v135
	v_mov_b32_e32 v105, v7
	v_pk_mul_f32 v[6:7], v[8:9], v[6:7] op_sel_hi:[1,0]
	v_pk_fma_f32 v[102:103], v[8:9], v[134:135], v[6:7] op_sel:[0,0,1] op_sel_hi:[1,1,0] neg_lo:[0,0,1] neg_hi:[0,0,1]
	v_pk_fma_f32 v[6:7], v[8:9], v[134:135], v[6:7] op_sel:[0,0,1] op_sel_hi:[1,0,0]
	v_mov_b32_e32 v6, v133
	v_mov_b32_e32 v103, v7
	s_waitcnt lgkmcnt(2)
	v_pk_mul_f32 v[6:7], v[10:11], v[6:7] op_sel_hi:[1,0]
	v_pk_fma_f32 v[8:9], v[10:11], v[132:133], v[6:7] op_sel:[0,0,1] op_sel_hi:[1,1,0] neg_lo:[0,0,1] neg_hi:[0,0,1]
	v_pk_fma_f32 v[6:7], v[10:11], v[132:133], v[6:7] op_sel:[0,0,1] op_sel_hi:[1,0,0]
	v_pk_add_f32 v[4:5], v[4:5], v[104:105]
	s_waitcnt vmcnt(3)
	v_mov_b32_e32 v6, v145
	v_pk_add_f32 v[4:5], v[4:5], v[102:103]
	v_mov_b32_e32 v9, v7
	v_pk_mul_f32 v[6:7], v[12:13], v[6:7] op_sel_hi:[1,0]
	v_pk_add_f32 v[4:5], v[4:5], v[8:9]
	s_waitcnt vmcnt(2)
	v_pk_fma_f32 v[8:9], v[12:13], v[144:145], v[6:7] op_sel:[0,0,1] op_sel_hi:[1,1,0] neg_lo:[0,0,1] neg_hi:[0,0,1]
	v_pk_fma_f32 v[6:7], v[12:13], v[144:145], v[6:7] op_sel:[0,0,1] op_sel_hi:[1,0,0]
	v_mov_b32_e32 v6, v143
	v_mov_b32_e32 v9, v7
	s_waitcnt lgkmcnt(1)
	v_pk_mul_f32 v[6:7], v[14:15], v[6:7] op_sel_hi:[1,0]
	v_pk_add_f32 v[4:5], v[4:5], v[8:9]
	v_pk_fma_f32 v[8:9], v[14:15], v[142:143], v[6:7] op_sel:[0,0,1] op_sel_hi:[1,1,0] neg_lo:[0,0,1] neg_hi:[0,0,1]
	v_pk_fma_f32 v[6:7], v[14:15], v[142:143], v[6:7] op_sel:[0,0,1] op_sel_hi:[1,0,0]
	v_mov_b32_e32 v6, v141
	v_mov_b32_e32 v9, v7
	v_pk_mul_f32 v[6:7], v[16:17], v[6:7] op_sel_hi:[1,0]
	v_pk_add_f32 v[4:5], v[4:5], v[8:9]
	v_pk_fma_f32 v[8:9], v[16:17], v[140:141], v[6:7] op_sel:[0,0,1] op_sel_hi:[1,1,0] neg_lo:[0,0,1] neg_hi:[0,0,1]
	v_pk_fma_f32 v[6:7], v[16:17], v[140:141], v[6:7] op_sel:[0,0,1] op_sel_hi:[1,0,0]
	v_mov_b32_e32 v6, v139
	v_mov_b32_e32 v9, v7
	s_waitcnt lgkmcnt(0)
	v_pk_mul_f32 v[6:7], v[98:99], v[6:7] op_sel_hi:[1,0]
	v_pk_add_f32 v[4:5], v[4:5], v[8:9]
	v_pk_fma_f32 v[8:9], v[98:99], v[138:139], v[6:7] op_sel:[0,0,1] op_sel_hi:[1,1,0] neg_lo:[0,0,1] neg_hi:[0,0,1]
	v_pk_fma_f32 v[6:7], v[98:99], v[138:139], v[6:7] op_sel:[0,0,1] op_sel_hi:[1,0,0]
	s_waitcnt vmcnt(1)
	v_mov_b32_e32 v6, v147
	v_mov_b32_e32 v9, v7
	v_pk_mul_f32 v[6:7], v[100:101], v[6:7] op_sel_hi:[1,0]
	v_pk_add_f32 v[4:5], v[4:5], v[8:9]
	s_waitcnt vmcnt(0)
	v_pk_fma_f32 v[8:9], v[100:101], v[146:147], v[6:7] op_sel:[0,0,1] op_sel_hi:[1,1,0] neg_lo:[0,0,1] neg_hi:[0,0,1]
	v_pk_fma_f32 v[6:7], v[100:101], v[146:147], v[6:7] op_sel:[0,0,1] op_sel_hi:[1,0,0]
	v_mov_b32_e32 v9, v7
	v_pk_add_f32 v[4:5], v[4:5], v[8:9]
	v_pk_add_f32 v[2:3], v[2:3], v[4:5] neg_lo:[0,1] neg_hi:[0,1]
	buffer_store_dword v3, off, s[0:3], 0 offset:92
	buffer_store_dword v2, off, s[0:3], 0 offset:88
	s_and_saveexec_b64 s[4:5], vcc
	s_cbranch_execz .LBB103_233
; %bb.232:
	buffer_load_dword v2, off, s[0:3], 0 offset:80
	buffer_load_dword v3, off, s[0:3], 0 offset:84
	v_mov_b32_e32 v4, 0
	buffer_store_dword v4, off, s[0:3], 0 offset:80
	buffer_store_dword v4, off, s[0:3], 0 offset:84
	s_waitcnt vmcnt(2)
	ds_write_b64 v1, v[2:3]
.LBB103_233:
	s_or_b64 exec, exec, s[4:5]
	s_waitcnt lgkmcnt(0)
	; wave barrier
	s_waitcnt lgkmcnt(0)
	buffer_load_dword v5, off, s[0:3], 0 offset:92
	buffer_load_dword v134, off, s[0:3], 0 offset:100
	;; [unrolled: 1-line block ×44, first 2 shown]
	v_mov_b32_e32 v4, 0
	ds_read2_b64 v[6:9], v4 offset0:51 offset1:52
	ds_read2_b64 v[10:13], v4 offset0:53 offset1:54
	;; [unrolled: 1-line block ×8, first 2 shown]
	v_cmp_lt_u32_e32 vcc, 9, v0
	s_waitcnt vmcnt(43) lgkmcnt(7)
	v_mul_f32_e32 v118, v6, v5
	s_waitcnt vmcnt(42)
	v_mul_f32_e32 v119, v8, v134
	s_waitcnt vmcnt(41) lgkmcnt(6)
	v_mul_f32_e32 v120, v10, v140
	s_waitcnt vmcnt(40)
	v_mul_f32_e32 v121, v12, v142
	;; [unrolled: 4-line block ×7, first 2 shown]
	s_waitcnt vmcnt(29)
	v_fmac_f32_e32 v118, v7, v166
	s_waitcnt vmcnt(28)
	v_fmac_f32_e32 v119, v9, v167
	v_add_f32_e32 v118, 0, v118
	s_waitcnt vmcnt(27)
	v_fmac_f32_e32 v120, v11, v168
	v_add_f32_e32 v118, v118, v119
	s_waitcnt vmcnt(26)
	v_fmac_f32_e32 v121, v13, v169
	v_add_f32_e32 v118, v118, v120
	s_waitcnt vmcnt(25)
	v_fmac_f32_e32 v122, v15, v170
	v_add_f32_e32 v118, v118, v121
	s_waitcnt vmcnt(24)
	v_fmac_f32_e32 v123, v17, v171
	v_add_f32_e32 v118, v118, v122
	s_waitcnt vmcnt(23)
	v_fmac_f32_e32 v124, v99, v172
	v_add_f32_e32 v118, v118, v123
	s_waitcnt vmcnt(22)
	v_fmac_f32_e32 v125, v101, v173
	v_add_f32_e32 v118, v118, v124
	s_waitcnt vmcnt(21)
	v_fmac_f32_e32 v126, v103, v174
	v_add_f32_e32 v118, v118, v125
	s_waitcnt vmcnt(20)
	v_fmac_f32_e32 v127, v105, v175
	v_add_f32_e32 v118, v118, v126
	s_waitcnt vmcnt(19)
	v_fmac_f32_e32 v128, v107, v176
	v_add_f32_e32 v118, v118, v127
	s_waitcnt vmcnt(18)
	v_fmac_f32_e32 v129, v109, v177
	v_add_f32_e32 v118, v118, v128
	s_waitcnt vmcnt(17)
	v_fmac_f32_e32 v130, v111, v178
	v_add_f32_e32 v118, v118, v129
	v_add_f32_e32 v118, v118, v130
	s_waitcnt vmcnt(16)
	v_fmac_f32_e32 v131, v113, v179
	s_waitcnt vmcnt(15) lgkmcnt(0)
	v_mul_f32_e32 v119, v114, v180
	v_add_f32_e32 v118, v118, v131
	s_waitcnt vmcnt(14)
	v_fmac_f32_e32 v119, v115, v181
	v_add_f32_e32 v122, v118, v119
	ds_read2_b64 v[118:121], v4 offset0:67 offset1:68
	s_waitcnt vmcnt(13)
	v_mul_f32_e32 v123, v116, v182
	s_waitcnt vmcnt(12)
	v_fmac_f32_e32 v123, v117, v183
	v_add_f32_e32 v126, v122, v123
	ds_read2_b64 v[122:125], v4 offset0:69 offset1:70
	s_waitcnt vmcnt(11) lgkmcnt(1)
	v_mul_f32_e32 v127, v118, v184
	s_waitcnt vmcnt(10)
	v_fmac_f32_e32 v127, v119, v185
	v_add_f32_e32 v126, v126, v127
	s_waitcnt vmcnt(9)
	v_mul_f32_e32 v127, v120, v186
	s_waitcnt vmcnt(8)
	v_fmac_f32_e32 v127, v121, v187
	v_add_f32_e32 v126, v126, v127
	s_waitcnt vmcnt(7) lgkmcnt(0)
	v_mul_f32_e32 v127, v122, v188
	s_waitcnt vmcnt(6)
	v_fmac_f32_e32 v127, v123, v189
	v_add_f32_e32 v135, v126, v127
	ds_read2_b64 v[126:129], v4 offset0:71 offset1:72
	buffer_load_dword v137, off, s[0:3], 0 offset:268
	buffer_load_dword v136, off, s[0:3], 0 offset:264
	;; [unrolled: 1-line block ×4, first 2 shown]
	ds_read2_b64 v[130:133], v4 offset0:73 offset1:74
	buffer_load_dword v145, off, s[0:3], 0 offset:300
	buffer_load_dword v144, off, s[0:3], 0 offset:296
	;; [unrolled: 1-line block ×12, first 2 shown]
	v_mul_f32_e32 v5, v7, v5
	v_fma_f32 v5, v6, v166, -v5
	v_mul_f32_e32 v6, v9, v134
	v_add_f32_e32 v5, 0, v5
	v_fma_f32 v6, v8, v167, -v6
	v_add_f32_e32 v5, v5, v6
	v_mul_f32_e32 v6, v11, v140
	v_fma_f32 v6, v10, v168, -v6
	v_add_f32_e32 v5, v5, v6
	v_mul_f32_e32 v6, v13, v142
	;; [unrolled: 3-line block ×17, first 2 shown]
	v_fma_f32 v6, v122, v189, -v6
	s_waitcnt vmcnt(21)
	v_mul_f32_e32 v141, v124, v190
	v_add_f32_e32 v134, v5, v6
	v_mul_f32_e32 v5, v125, v190
	s_waitcnt vmcnt(20)
	v_fmac_f32_e32 v141, v125, v191
	s_waitcnt vmcnt(19) lgkmcnt(1)
	v_mul_f32_e32 v143, v126, v192
	v_fma_f32 v140, v124, v191, -v5
	v_mul_f32_e32 v5, v127, v192
	s_waitcnt vmcnt(18)
	v_fmac_f32_e32 v143, v127, v193
	v_fma_f32 v142, v126, v193, -v5
	v_pk_add_f32 v[16:17], v[134:135], v[140:141]
	v_pk_add_f32 v[16:17], v[16:17], v[142:143]
	ds_read2_b64 v[6:9], v4 offset0:75 offset1:76
	ds_read2_b64 v[10:13], v4 offset0:77 offset1:78
	ds_read_b64 v[14:15], v4 offset:632
	s_waitcnt vmcnt(13)
	v_mov_b32_e32 v98, v139
	v_pk_mul_f32 v[98:99], v[128:129], v[98:99] op_sel_hi:[1,0]
	s_waitcnt vmcnt(12)
	v_pk_fma_f32 v[100:101], v[128:129], v[138:139], v[98:99] op_sel:[0,0,1] op_sel_hi:[1,1,0] neg_lo:[0,0,1] neg_hi:[0,0,1]
	v_pk_fma_f32 v[98:99], v[128:129], v[138:139], v[98:99] op_sel:[0,0,1] op_sel_hi:[1,0,0]
	v_mov_b32_e32 v98, v137
	v_mov_b32_e32 v101, v99
	s_waitcnt lgkmcnt(3)
	v_pk_mul_f32 v[98:99], v[130:131], v[98:99] op_sel_hi:[1,0]
	v_pk_add_f32 v[16:17], v[16:17], v[100:101]
	v_pk_fma_f32 v[100:101], v[130:131], v[136:137], v[98:99] op_sel:[0,0,1] op_sel_hi:[1,1,0] neg_lo:[0,0,1] neg_hi:[0,0,1]
	v_pk_fma_f32 v[98:99], v[130:131], v[136:137], v[98:99] op_sel:[0,0,1] op_sel_hi:[1,0,0]
	s_waitcnt vmcnt(5)
	v_mov_b32_e32 v98, v151
	v_mov_b32_e32 v101, v99
	v_pk_mul_f32 v[98:99], v[132:133], v[98:99] op_sel_hi:[1,0]
	v_pk_add_f32 v[16:17], v[16:17], v[100:101]
	s_waitcnt vmcnt(4)
	v_pk_fma_f32 v[100:101], v[132:133], v[150:151], v[98:99] op_sel:[0,0,1] op_sel_hi:[1,1,0] neg_lo:[0,0,1] neg_hi:[0,0,1]
	v_pk_fma_f32 v[98:99], v[132:133], v[150:151], v[98:99] op_sel:[0,0,1] op_sel_hi:[1,0,0]
	v_mov_b32_e32 v98, v149
	v_mov_b32_e32 v101, v99
	s_waitcnt lgkmcnt(2)
	v_pk_mul_f32 v[98:99], v[6:7], v[98:99] op_sel_hi:[1,0]
	v_pk_add_f32 v[16:17], v[16:17], v[100:101]
	v_pk_fma_f32 v[100:101], v[6:7], v[148:149], v[98:99] op_sel:[0,0,1] op_sel_hi:[1,1,0] neg_lo:[0,0,1] neg_hi:[0,0,1]
	v_pk_fma_f32 v[6:7], v[6:7], v[148:149], v[98:99] op_sel:[0,0,1] op_sel_hi:[1,0,0]
	v_mov_b32_e32 v101, v7
	v_pk_add_f32 v[6:7], v[16:17], v[100:101]
	v_mov_b32_e32 v16, v147
	v_pk_mul_f32 v[16:17], v[8:9], v[16:17] op_sel_hi:[1,0]
	v_pk_fma_f32 v[98:99], v[8:9], v[146:147], v[16:17] op_sel:[0,0,1] op_sel_hi:[1,1,0] neg_lo:[0,0,1] neg_hi:[0,0,1]
	v_pk_fma_f32 v[8:9], v[8:9], v[146:147], v[16:17] op_sel:[0,0,1] op_sel_hi:[1,0,0]
	v_mov_b32_e32 v8, v145
	v_mov_b32_e32 v99, v9
	s_waitcnt lgkmcnt(1)
	v_pk_mul_f32 v[8:9], v[10:11], v[8:9] op_sel_hi:[1,0]
	v_pk_fma_f32 v[16:17], v[10:11], v[144:145], v[8:9] op_sel:[0,0,1] op_sel_hi:[1,1,0] neg_lo:[0,0,1] neg_hi:[0,0,1]
	v_pk_fma_f32 v[8:9], v[10:11], v[144:145], v[8:9] op_sel:[0,0,1] op_sel_hi:[1,0,0]
	s_waitcnt vmcnt(1)
	v_mov_b32_e32 v8, v155
	v_mov_b32_e32 v17, v9
	v_pk_mul_f32 v[8:9], v[12:13], v[8:9] op_sel_hi:[1,0]
	s_waitcnt vmcnt(0)
	v_pk_fma_f32 v[10:11], v[12:13], v[154:155], v[8:9] op_sel:[0,0,1] op_sel_hi:[1,1,0] neg_lo:[0,0,1] neg_hi:[0,0,1]
	v_pk_fma_f32 v[8:9], v[12:13], v[154:155], v[8:9] op_sel:[0,0,1] op_sel_hi:[1,0,0]
	v_pk_add_f32 v[6:7], v[6:7], v[98:99]
	v_mov_b32_e32 v8, v153
	v_pk_add_f32 v[6:7], v[6:7], v[16:17]
	v_mov_b32_e32 v11, v9
	s_waitcnt lgkmcnt(0)
	v_pk_mul_f32 v[8:9], v[14:15], v[8:9] op_sel_hi:[1,0]
	v_pk_add_f32 v[6:7], v[6:7], v[10:11]
	v_pk_fma_f32 v[10:11], v[14:15], v[152:153], v[8:9] op_sel:[0,0,1] op_sel_hi:[1,1,0] neg_lo:[0,0,1] neg_hi:[0,0,1]
	v_pk_fma_f32 v[8:9], v[14:15], v[152:153], v[8:9] op_sel:[0,0,1] op_sel_hi:[1,0,0]
	v_mov_b32_e32 v11, v9
	v_pk_add_f32 v[6:7], v[6:7], v[10:11]
	v_pk_add_f32 v[2:3], v[2:3], v[6:7] neg_lo:[0,1] neg_hi:[0,1]
	buffer_store_dword v3, off, s[0:3], 0 offset:84
	buffer_store_dword v2, off, s[0:3], 0 offset:80
	s_and_saveexec_b64 s[4:5], vcc
	s_cbranch_execz .LBB103_235
; %bb.234:
	buffer_load_dword v2, off, s[0:3], 0 offset:72
	buffer_load_dword v3, off, s[0:3], 0 offset:76
	s_waitcnt vmcnt(0)
	ds_write_b64 v1, v[2:3]
	buffer_store_dword v4, off, s[0:3], 0 offset:72
	buffer_store_dword v4, off, s[0:3], 0 offset:76
.LBB103_235:
	s_or_b64 exec, exec, s[4:5]
	s_waitcnt lgkmcnt(0)
	; wave barrier
	s_waitcnt lgkmcnt(0)
	buffer_load_dword v5, off, s[0:3], 0 offset:84
	buffer_load_dword v136, off, s[0:3], 0 offset:92
	;; [unrolled: 1-line block ×46, first 2 shown]
	ds_read_b128 v[6:9], v4 offset:400
	ds_read_b128 v[10:13], v4 offset:416
	;; [unrolled: 1-line block ×8, first 2 shown]
	v_cmp_lt_u32_e32 vcc, 8, v0
	s_waitcnt vmcnt(45) lgkmcnt(7)
	v_mul_f32_e32 v118, v6, v5
	s_waitcnt vmcnt(44)
	v_mul_f32_e32 v119, v8, v136
	s_waitcnt vmcnt(43) lgkmcnt(6)
	v_mul_f32_e32 v120, v10, v138
	s_waitcnt vmcnt(42)
	v_mul_f32_e32 v121, v12, v140
	;; [unrolled: 4-line block ×6, first 2 shown]
	s_waitcnt vmcnt(33) lgkmcnt(1)
	v_mul_f32_e32 v130, v110, v164
	s_waitcnt vmcnt(32)
	v_fmac_f32_e32 v118, v7, v165
	s_waitcnt vmcnt(31)
	v_fmac_f32_e32 v119, v9, v166
	v_add_f32_e32 v118, 0, v118
	s_waitcnt vmcnt(30)
	v_fmac_f32_e32 v120, v11, v167
	v_add_f32_e32 v118, v118, v119
	;; [unrolled: 3-line block ×12, first 2 shown]
	s_waitcnt vmcnt(19)
	v_mul_f32_e32 v119, v112, v178
	v_add_f32_e32 v118, v118, v130
	s_waitcnt vmcnt(18)
	v_fmac_f32_e32 v119, v113, v179
	v_add_f32_e32 v118, v118, v119
	s_waitcnt vmcnt(17) lgkmcnt(0)
	v_mul_f32_e32 v119, v114, v180
	s_waitcnt vmcnt(16)
	v_fmac_f32_e32 v119, v115, v181
	v_add_f32_e32 v122, v118, v119
	ds_read_b128 v[118:121], v4 offset:528
	s_waitcnt vmcnt(15)
	v_mul_f32_e32 v123, v116, v182
	s_waitcnt vmcnt(14)
	v_fmac_f32_e32 v123, v117, v183
	v_add_f32_e32 v126, v122, v123
	ds_read_b128 v[122:125], v4 offset:544
	buffer_load_dword v135, off, s[0:3], 0 offset:260
	buffer_load_dword v134, off, s[0:3], 0 offset:256
	s_waitcnt vmcnt(15) lgkmcnt(1)
	v_mul_f32_e32 v127, v118, v184
	s_waitcnt vmcnt(14)
	v_fmac_f32_e32 v127, v119, v185
	v_add_f32_e32 v126, v126, v127
	s_waitcnt vmcnt(13)
	v_mul_f32_e32 v127, v120, v186
	s_waitcnt vmcnt(12)
	v_fmac_f32_e32 v127, v121, v187
	v_add_f32_e32 v126, v126, v127
	s_waitcnt vmcnt(11) lgkmcnt(0)
	v_mul_f32_e32 v127, v122, v188
	s_waitcnt vmcnt(10)
	v_fmac_f32_e32 v127, v123, v189
	s_waitcnt vmcnt(9)
	v_mul_f32_e32 v131, v124, v190
	v_add_f32_e32 v130, v126, v127
	s_waitcnt vmcnt(8)
	v_fmac_f32_e32 v131, v125, v191
	ds_read_b128 v[126:129], v4 offset:560
	v_add_f32_e32 v137, v130, v131
	ds_read_b128 v[130:133], v4 offset:576
	buffer_load_dword v143, off, s[0:3], 0 offset:292
	buffer_load_dword v142, off, s[0:3], 0 offset:288
	;; [unrolled: 1-line block ×14, first 2 shown]
	v_mul_f32_e32 v5, v7, v5
	v_fma_f32 v5, v6, v165, -v5
	v_mul_f32_e32 v6, v9, v136
	v_add_f32_e32 v5, 0, v5
	v_fma_f32 v6, v8, v166, -v6
	v_add_f32_e32 v5, v5, v6
	v_mul_f32_e32 v6, v11, v138
	v_fma_f32 v6, v10, v167, -v6
	v_add_f32_e32 v5, v5, v6
	v_mul_f32_e32 v6, v13, v140
	;; [unrolled: 3-line block ×18, first 2 shown]
	v_fma_f32 v6, v124, v191, -v6
	s_waitcnt vmcnt(21) lgkmcnt(1)
	v_mul_f32_e32 v139, v126, v192
	v_add_f32_e32 v136, v5, v6
	v_mul_f32_e32 v5, v127, v192
	s_waitcnt vmcnt(20)
	v_fmac_f32_e32 v139, v127, v193
	s_waitcnt vmcnt(15)
	v_mov_b32_e32 v98, v135
	s_waitcnt lgkmcnt(0)
	v_pk_mul_f32 v[98:99], v[130:131], v[98:99] op_sel_hi:[1,0]
	v_mul_f32_e32 v141, v128, v194
	v_fma_f32 v138, v126, v193, -v5
	v_mul_f32_e32 v5, v129, v194
	s_waitcnt vmcnt(14)
	v_pk_fma_f32 v[100:101], v[130:131], v[134:135], v[98:99] op_sel:[0,0,1] op_sel_hi:[1,1,0] neg_lo:[0,0,1] neg_hi:[0,0,1]
	v_pk_fma_f32 v[98:99], v[130:131], v[134:135], v[98:99] op_sel:[0,0,1] op_sel_hi:[1,0,0]
	v_fmac_f32_e32 v141, v129, v195
	v_fma_f32 v140, v128, v195, -v5
	ds_read_b128 v[6:9], v4 offset:592
	ds_read_b128 v[10:13], v4 offset:608
	;; [unrolled: 1-line block ×3, first 2 shown]
	v_pk_add_f32 v[4:5], v[136:137], v[138:139]
	s_waitcnt vmcnt(7)
	v_mov_b32_e32 v98, v149
	v_pk_add_f32 v[4:5], v[4:5], v[140:141]
	v_mov_b32_e32 v101, v99
	v_pk_mul_f32 v[98:99], v[132:133], v[98:99] op_sel_hi:[1,0]
	v_pk_add_f32 v[4:5], v[4:5], v[100:101]
	s_waitcnt vmcnt(6)
	v_pk_fma_f32 v[100:101], v[132:133], v[148:149], v[98:99] op_sel:[0,0,1] op_sel_hi:[1,1,0] neg_lo:[0,0,1] neg_hi:[0,0,1]
	v_pk_fma_f32 v[98:99], v[132:133], v[148:149], v[98:99] op_sel:[0,0,1] op_sel_hi:[1,0,0]
	v_mov_b32_e32 v98, v147
	v_mov_b32_e32 v101, v99
	s_waitcnt lgkmcnt(2)
	v_pk_mul_f32 v[98:99], v[6:7], v[98:99] op_sel_hi:[1,0]
	v_pk_add_f32 v[4:5], v[4:5], v[100:101]
	v_pk_fma_f32 v[100:101], v[6:7], v[146:147], v[98:99] op_sel:[0,0,1] op_sel_hi:[1,1,0] neg_lo:[0,0,1] neg_hi:[0,0,1]
	v_pk_fma_f32 v[6:7], v[6:7], v[146:147], v[98:99] op_sel:[0,0,1] op_sel_hi:[1,0,0]
	v_mov_b32_e32 v6, v145
	v_mov_b32_e32 v101, v7
	v_pk_mul_f32 v[6:7], v[8:9], v[6:7] op_sel_hi:[1,0]
	v_pk_fma_f32 v[98:99], v[8:9], v[144:145], v[6:7] op_sel:[0,0,1] op_sel_hi:[1,1,0] neg_lo:[0,0,1] neg_hi:[0,0,1]
	v_pk_fma_f32 v[6:7], v[8:9], v[144:145], v[6:7] op_sel:[0,0,1] op_sel_hi:[1,0,0]
	v_mov_b32_e32 v6, v143
	v_mov_b32_e32 v99, v7
	s_waitcnt lgkmcnt(1)
	v_pk_mul_f32 v[6:7], v[10:11], v[6:7] op_sel_hi:[1,0]
	v_pk_fma_f32 v[8:9], v[10:11], v[142:143], v[6:7] op_sel:[0,0,1] op_sel_hi:[1,1,0] neg_lo:[0,0,1] neg_hi:[0,0,1]
	v_pk_fma_f32 v[6:7], v[10:11], v[142:143], v[6:7] op_sel:[0,0,1] op_sel_hi:[1,0,0]
	v_pk_add_f32 v[4:5], v[4:5], v[100:101]
	s_waitcnt vmcnt(1)
	v_mov_b32_e32 v6, v155
	v_pk_add_f32 v[4:5], v[4:5], v[98:99]
	v_mov_b32_e32 v9, v7
	v_pk_mul_f32 v[6:7], v[12:13], v[6:7] op_sel_hi:[1,0]
	v_pk_add_f32 v[4:5], v[4:5], v[8:9]
	s_waitcnt vmcnt(0)
	v_pk_fma_f32 v[8:9], v[12:13], v[154:155], v[6:7] op_sel:[0,0,1] op_sel_hi:[1,1,0] neg_lo:[0,0,1] neg_hi:[0,0,1]
	v_pk_fma_f32 v[6:7], v[12:13], v[154:155], v[6:7] op_sel:[0,0,1] op_sel_hi:[1,0,0]
	v_mov_b32_e32 v6, v153
	v_mov_b32_e32 v9, v7
	s_waitcnt lgkmcnt(0)
	v_pk_mul_f32 v[6:7], v[14:15], v[6:7] op_sel_hi:[1,0]
	v_pk_add_f32 v[4:5], v[4:5], v[8:9]
	v_pk_fma_f32 v[8:9], v[14:15], v[152:153], v[6:7] op_sel:[0,0,1] op_sel_hi:[1,1,0] neg_lo:[0,0,1] neg_hi:[0,0,1]
	v_pk_fma_f32 v[6:7], v[14:15], v[152:153], v[6:7] op_sel:[0,0,1] op_sel_hi:[1,0,0]
	v_mov_b32_e32 v6, v151
	v_mov_b32_e32 v9, v7
	v_pk_mul_f32 v[6:7], v[16:17], v[6:7] op_sel_hi:[1,0]
	v_pk_add_f32 v[4:5], v[4:5], v[8:9]
	v_pk_fma_f32 v[8:9], v[16:17], v[150:151], v[6:7] op_sel:[0,0,1] op_sel_hi:[1,1,0] neg_lo:[0,0,1] neg_hi:[0,0,1]
	v_pk_fma_f32 v[6:7], v[16:17], v[150:151], v[6:7] op_sel:[0,0,1] op_sel_hi:[1,0,0]
	v_mov_b32_e32 v9, v7
	v_pk_add_f32 v[4:5], v[4:5], v[8:9]
	v_pk_add_f32 v[2:3], v[2:3], v[4:5] neg_lo:[0,1] neg_hi:[0,1]
	buffer_store_dword v3, off, s[0:3], 0 offset:76
	buffer_store_dword v2, off, s[0:3], 0 offset:72
	s_and_saveexec_b64 s[4:5], vcc
	s_cbranch_execz .LBB103_237
; %bb.236:
	buffer_load_dword v2, off, s[0:3], 0 offset:64
	buffer_load_dword v3, off, s[0:3], 0 offset:68
	v_mov_b32_e32 v4, 0
	buffer_store_dword v4, off, s[0:3], 0 offset:64
	buffer_store_dword v4, off, s[0:3], 0 offset:68
	s_waitcnt vmcnt(2)
	ds_write_b64 v1, v[2:3]
.LBB103_237:
	s_or_b64 exec, exec, s[4:5]
	s_waitcnt lgkmcnt(0)
	; wave barrier
	s_waitcnt lgkmcnt(0)
	buffer_load_dword v5, off, s[0:3], 0 offset:76
	buffer_load_dword v134, off, s[0:3], 0 offset:84
	;; [unrolled: 1-line block ×48, first 2 shown]
	v_mov_b32_e32 v4, 0
	ds_read2_b64 v[6:9], v4 offset0:49 offset1:50
	ds_read2_b64 v[10:13], v4 offset0:51 offset1:52
	ds_read2_b64 v[14:17], v4 offset0:53 offset1:54
	ds_read2_b64 v[98:101], v4 offset0:55 offset1:56
	ds_read2_b64 v[102:105], v4 offset0:57 offset1:58
	ds_read2_b64 v[106:109], v4 offset0:59 offset1:60
	v_cmp_lt_u32_e32 vcc, 7, v0
	s_waitcnt vmcnt(47) lgkmcnt(5)
	v_mul_f32_e32 v110, v6, v5
	s_waitcnt vmcnt(46)
	v_mul_f32_e32 v111, v8, v134
	s_waitcnt vmcnt(45) lgkmcnt(4)
	v_mul_f32_e32 v112, v10, v136
	s_waitcnt vmcnt(44)
	v_mul_f32_e32 v113, v12, v138
	;; [unrolled: 4-line block ×6, first 2 shown]
	s_waitcnt vmcnt(35)
	v_fmac_f32_e32 v110, v7, v164
	s_waitcnt vmcnt(34)
	v_fmac_f32_e32 v111, v9, v165
	v_add_f32_e32 v110, 0, v110
	s_waitcnt vmcnt(33)
	v_fmac_f32_e32 v112, v11, v166
	v_add_f32_e32 v110, v110, v111
	;; [unrolled: 3-line block ×8, first 2 shown]
	v_add_f32_e32 v114, v110, v118
	ds_read2_b64 v[110:113], v4 offset0:61 offset1:62
	s_waitcnt vmcnt(26)
	v_fmac_f32_e32 v119, v105, v173
	s_waitcnt vmcnt(25)
	v_fmac_f32_e32 v120, v107, v174
	v_add_f32_e32 v114, v114, v119
	s_waitcnt vmcnt(24)
	v_fmac_f32_e32 v121, v109, v175
	v_add_f32_e32 v114, v114, v120
	v_add_f32_e32 v118, v114, v121
	ds_read2_b64 v[114:117], v4 offset0:63 offset1:64
	s_waitcnt vmcnt(23) lgkmcnt(1)
	v_mul_f32_e32 v119, v110, v176
	s_waitcnt vmcnt(22)
	v_fmac_f32_e32 v119, v111, v177
	v_add_f32_e32 v118, v118, v119
	s_waitcnt vmcnt(21)
	v_mul_f32_e32 v119, v112, v178
	s_waitcnt vmcnt(20)
	v_fmac_f32_e32 v119, v113, v179
	v_add_f32_e32 v118, v118, v119
	s_waitcnt vmcnt(19) lgkmcnt(0)
	v_mul_f32_e32 v119, v114, v180
	s_waitcnt vmcnt(18)
	v_fmac_f32_e32 v119, v115, v181
	v_add_f32_e32 v122, v118, v119
	ds_read2_b64 v[118:121], v4 offset0:65 offset1:66
	s_waitcnt vmcnt(17)
	v_mul_f32_e32 v123, v116, v182
	s_waitcnt vmcnt(16)
	v_fmac_f32_e32 v123, v117, v183
	v_add_f32_e32 v126, v122, v123
	ds_read2_b64 v[122:125], v4 offset0:67 offset1:68
	s_waitcnt vmcnt(15) lgkmcnt(1)
	v_mul_f32_e32 v127, v118, v184
	s_waitcnt vmcnt(14)
	v_fmac_f32_e32 v127, v119, v185
	v_add_f32_e32 v126, v126, v127
	s_waitcnt vmcnt(13)
	v_mul_f32_e32 v127, v120, v186
	s_waitcnt vmcnt(12)
	v_fmac_f32_e32 v127, v121, v187
	v_add_f32_e32 v126, v126, v127
	s_waitcnt vmcnt(11) lgkmcnt(0)
	v_mul_f32_e32 v127, v122, v188
	s_waitcnt vmcnt(10)
	v_fmac_f32_e32 v127, v123, v189
	s_waitcnt vmcnt(9)
	v_mul_f32_e32 v131, v124, v190
	v_add_f32_e32 v130, v126, v127
	s_waitcnt vmcnt(8)
	v_fmac_f32_e32 v131, v125, v191
	ds_read2_b64 v[126:129], v4 offset0:69 offset1:70
	v_add_f32_e32 v135, v130, v131
	ds_read2_b64 v[130:133], v4 offset0:71 offset1:72
	buffer_load_dword v141, off, s[0:3], 0 offset:284
	buffer_load_dword v140, off, s[0:3], 0 offset:280
	;; [unrolled: 1-line block ×16, first 2 shown]
	v_mul_f32_e32 v5, v7, v5
	v_fma_f32 v5, v6, v164, -v5
	v_mul_f32_e32 v6, v9, v134
	v_add_f32_e32 v5, 0, v5
	v_fma_f32 v6, v8, v165, -v6
	v_add_f32_e32 v5, v5, v6
	v_mul_f32_e32 v6, v11, v136
	v_fma_f32 v6, v10, v166, -v6
	v_add_f32_e32 v5, v5, v6
	v_mul_f32_e32 v6, v13, v138
	;; [unrolled: 3-line block ×18, first 2 shown]
	v_fma_f32 v6, v124, v191, -v6
	s_waitcnt vmcnt(22) lgkmcnt(1)
	v_mul_f32_e32 v137, v126, v193
	v_add_f32_e32 v5, v5, v6
	v_mul_f32_e32 v6, v127, v193
	v_fmac_f32_e32 v137, v127, v192
	v_fma_f32 v6, v126, v192, -v6
	v_add_f32_e32 v135, v135, v137
	s_waitcnt vmcnt(19)
	v_mul_f32_e32 v137, v128, v194
	v_add_f32_e32 v134, v5, v6
	v_mul_f32_e32 v5, v129, v194
	s_waitcnt vmcnt(18)
	v_fmac_f32_e32 v137, v129, v195
	s_waitcnt vmcnt(17) lgkmcnt(0)
	v_mul_f32_e32 v139, v130, v196
	s_waitcnt vmcnt(9)
	v_mov_b32_e32 v102, v147
	v_pk_mul_f32 v[102:103], v[132:133], v[102:103] op_sel_hi:[1,0]
	v_fma_f32 v136, v128, v195, -v5
	v_mul_f32_e32 v5, v131, v196
	ds_read2_b64 v[6:9], v4 offset0:73 offset1:74
	ds_read2_b64 v[10:13], v4 offset0:75 offset1:76
	;; [unrolled: 1-line block ×3, first 2 shown]
	ds_read_b64 v[98:99], v4 offset:632
	s_waitcnt vmcnt(8)
	v_pk_fma_f32 v[104:105], v[132:133], v[146:147], v[102:103] op_sel:[0,0,1] op_sel_hi:[1,1,0] neg_lo:[0,0,1] neg_hi:[0,0,1]
	v_pk_fma_f32 v[102:103], v[132:133], v[146:147], v[102:103] op_sel:[0,0,1] op_sel_hi:[1,0,0]
	v_fmac_f32_e32 v139, v131, v197
	v_fma_f32 v138, v130, v197, -v5
	v_pk_add_f32 v[100:101], v[134:135], v[136:137]
	v_mov_b32_e32 v102, v145
	v_pk_add_f32 v[100:101], v[100:101], v[138:139]
	v_mov_b32_e32 v105, v103
	s_waitcnt lgkmcnt(3)
	v_pk_mul_f32 v[102:103], v[6:7], v[102:103] op_sel_hi:[1,0]
	v_pk_add_f32 v[100:101], v[100:101], v[104:105]
	v_pk_fma_f32 v[104:105], v[6:7], v[144:145], v[102:103] op_sel:[0,0,1] op_sel_hi:[1,1,0] neg_lo:[0,0,1] neg_hi:[0,0,1]
	v_pk_fma_f32 v[6:7], v[6:7], v[144:145], v[102:103] op_sel:[0,0,1] op_sel_hi:[1,0,0]
	v_mov_b32_e32 v105, v7
	v_pk_add_f32 v[6:7], v[100:101], v[104:105]
	v_mov_b32_e32 v100, v143
	v_pk_mul_f32 v[100:101], v[8:9], v[100:101] op_sel_hi:[1,0]
	v_pk_fma_f32 v[102:103], v[8:9], v[142:143], v[100:101] op_sel:[0,0,1] op_sel_hi:[1,1,0] neg_lo:[0,0,1] neg_hi:[0,0,1]
	v_pk_fma_f32 v[8:9], v[8:9], v[142:143], v[100:101] op_sel:[0,0,1] op_sel_hi:[1,0,0]
	v_mov_b32_e32 v8, v141
	v_mov_b32_e32 v103, v9
	s_waitcnt lgkmcnt(2)
	v_pk_mul_f32 v[8:9], v[10:11], v[8:9] op_sel_hi:[1,0]
	v_pk_fma_f32 v[100:101], v[10:11], v[140:141], v[8:9] op_sel:[0,0,1] op_sel_hi:[1,1,0] neg_lo:[0,0,1] neg_hi:[0,0,1]
	v_pk_fma_f32 v[8:9], v[10:11], v[140:141], v[8:9] op_sel:[0,0,1] op_sel_hi:[1,0,0]
	s_waitcnt vmcnt(1)
	v_mov_b32_e32 v8, v155
	v_mov_b32_e32 v101, v9
	v_pk_mul_f32 v[8:9], v[12:13], v[8:9] op_sel_hi:[1,0]
	s_waitcnt vmcnt(0)
	v_pk_fma_f32 v[10:11], v[12:13], v[154:155], v[8:9] op_sel:[0,0,1] op_sel_hi:[1,1,0] neg_lo:[0,0,1] neg_hi:[0,0,1]
	v_pk_fma_f32 v[8:9], v[12:13], v[154:155], v[8:9] op_sel:[0,0,1] op_sel_hi:[1,0,0]
	v_pk_add_f32 v[6:7], v[6:7], v[102:103]
	v_mov_b32_e32 v8, v153
	v_pk_add_f32 v[6:7], v[6:7], v[100:101]
	v_mov_b32_e32 v11, v9
	s_waitcnt lgkmcnt(1)
	v_pk_mul_f32 v[8:9], v[14:15], v[8:9] op_sel_hi:[1,0]
	v_pk_add_f32 v[6:7], v[6:7], v[10:11]
	v_pk_fma_f32 v[10:11], v[14:15], v[152:153], v[8:9] op_sel:[0,0,1] op_sel_hi:[1,1,0] neg_lo:[0,0,1] neg_hi:[0,0,1]
	v_pk_fma_f32 v[8:9], v[14:15], v[152:153], v[8:9] op_sel:[0,0,1] op_sel_hi:[1,0,0]
	v_mov_b32_e32 v8, v151
	v_mov_b32_e32 v11, v9
	v_pk_mul_f32 v[8:9], v[16:17], v[8:9] op_sel_hi:[1,0]
	v_pk_add_f32 v[6:7], v[6:7], v[10:11]
	v_pk_fma_f32 v[10:11], v[16:17], v[150:151], v[8:9] op_sel:[0,0,1] op_sel_hi:[1,1,0] neg_lo:[0,0,1] neg_hi:[0,0,1]
	v_pk_fma_f32 v[8:9], v[16:17], v[150:151], v[8:9] op_sel:[0,0,1] op_sel_hi:[1,0,0]
	v_mov_b32_e32 v8, v149
	v_mov_b32_e32 v11, v9
	s_waitcnt lgkmcnt(0)
	v_pk_mul_f32 v[8:9], v[98:99], v[8:9] op_sel_hi:[1,0]
	v_pk_add_f32 v[6:7], v[6:7], v[10:11]
	v_pk_fma_f32 v[10:11], v[98:99], v[148:149], v[8:9] op_sel:[0,0,1] op_sel_hi:[1,1,0] neg_lo:[0,0,1] neg_hi:[0,0,1]
	v_pk_fma_f32 v[8:9], v[98:99], v[148:149], v[8:9] op_sel:[0,0,1] op_sel_hi:[1,0,0]
	v_mov_b32_e32 v11, v9
	v_pk_add_f32 v[6:7], v[6:7], v[10:11]
	v_pk_add_f32 v[2:3], v[2:3], v[6:7] neg_lo:[0,1] neg_hi:[0,1]
	buffer_store_dword v3, off, s[0:3], 0 offset:68
	buffer_store_dword v2, off, s[0:3], 0 offset:64
	s_and_saveexec_b64 s[4:5], vcc
	s_cbranch_execz .LBB103_239
; %bb.238:
	buffer_load_dword v2, off, s[0:3], 0 offset:56
	buffer_load_dword v3, off, s[0:3], 0 offset:60
	s_waitcnt vmcnt(0)
	ds_write_b64 v1, v[2:3]
	buffer_store_dword v4, off, s[0:3], 0 offset:56
	buffer_store_dword v4, off, s[0:3], 0 offset:60
.LBB103_239:
	s_or_b64 exec, exec, s[4:5]
	s_waitcnt lgkmcnt(0)
	; wave barrier
	s_waitcnt lgkmcnt(0)
	buffer_load_dword v5, off, s[0:3], 0 offset:68
	buffer_load_dword v134, off, s[0:3], 0 offset:76
	;; [unrolled: 1-line block ×48, first 2 shown]
	ds_read_b128 v[6:9], v4 offset:384
	ds_read_b128 v[10:13], v4 offset:400
	ds_read_b128 v[14:17], v4 offset:416
	ds_read_b128 v[98:101], v4 offset:432
	ds_read_b128 v[102:105], v4 offset:448
	ds_read_b128 v[106:109], v4 offset:464
	buffer_load_dword v198, off, s[0:3], 0 offset:248
	buffer_load_dword v199, off, s[0:3], 0 offset:252
	v_cmp_lt_u32_e32 vcc, 6, v0
	s_waitcnt vmcnt(49) lgkmcnt(5)
	v_mul_f32_e32 v110, v6, v5
	s_waitcnt vmcnt(48)
	v_mul_f32_e32 v111, v8, v134
	s_waitcnt vmcnt(47) lgkmcnt(4)
	v_mul_f32_e32 v112, v10, v136
	s_waitcnt vmcnt(46)
	v_mul_f32_e32 v113, v12, v144
	;; [unrolled: 4-line block ×6, first 2 shown]
	s_waitcnt vmcnt(37)
	v_fmac_f32_e32 v110, v7, v164
	s_waitcnt vmcnt(36)
	v_fmac_f32_e32 v111, v9, v165
	v_add_f32_e32 v110, 0, v110
	s_waitcnt vmcnt(35)
	v_fmac_f32_e32 v112, v11, v166
	v_add_f32_e32 v110, v110, v111
	;; [unrolled: 3-line block ×9, first 2 shown]
	v_add_f32_e32 v114, v110, v119
	ds_read_b128 v[110:113], v4 offset:480
	s_waitcnt vmcnt(27)
	v_fmac_f32_e32 v120, v107, v174
	v_add_f32_e32 v114, v114, v120
	s_waitcnt vmcnt(26)
	v_fmac_f32_e32 v121, v109, v175
	v_add_f32_e32 v118, v114, v121
	ds_read_b128 v[114:117], v4 offset:496
	s_waitcnt vmcnt(25) lgkmcnt(1)
	v_mul_f32_e32 v119, v110, v176
	s_waitcnt vmcnt(24)
	v_fmac_f32_e32 v119, v111, v177
	v_add_f32_e32 v118, v118, v119
	s_waitcnt vmcnt(23)
	v_mul_f32_e32 v119, v112, v178
	s_waitcnt vmcnt(22)
	v_fmac_f32_e32 v119, v113, v179
	v_add_f32_e32 v118, v118, v119
	s_waitcnt vmcnt(21) lgkmcnt(0)
	v_mul_f32_e32 v119, v114, v180
	s_waitcnt vmcnt(20)
	v_fmac_f32_e32 v119, v115, v181
	v_add_f32_e32 v122, v118, v119
	ds_read_b128 v[118:121], v4 offset:512
	s_waitcnt vmcnt(19)
	v_mul_f32_e32 v123, v116, v182
	s_waitcnt vmcnt(18)
	v_fmac_f32_e32 v123, v117, v183
	v_add_f32_e32 v126, v122, v123
	ds_read_b128 v[122:125], v4 offset:528
	s_waitcnt vmcnt(17) lgkmcnt(1)
	v_mul_f32_e32 v127, v118, v184
	s_waitcnt vmcnt(16)
	v_fmac_f32_e32 v127, v119, v185
	v_add_f32_e32 v126, v126, v127
	s_waitcnt vmcnt(15)
	v_mul_f32_e32 v127, v120, v186
	s_waitcnt vmcnt(14)
	v_fmac_f32_e32 v127, v121, v187
	v_add_f32_e32 v126, v126, v127
	s_waitcnt vmcnt(13) lgkmcnt(0)
	v_mul_f32_e32 v127, v122, v188
	s_waitcnt vmcnt(12)
	v_fmac_f32_e32 v127, v123, v189
	s_waitcnt vmcnt(11)
	v_mul_f32_e32 v131, v124, v190
	v_add_f32_e32 v130, v126, v127
	s_waitcnt vmcnt(10)
	v_fmac_f32_e32 v131, v125, v191
	ds_read_b128 v[126:129], v4 offset:544
	v_add_f32_e32 v135, v130, v131
	ds_read_b128 v[130:133], v4 offset:560
	buffer_load_dword v139, off, s[0:3], 0 offset:276
	buffer_load_dword v138, off, s[0:3], 0 offset:272
	;; [unrolled: 1-line block ×16, first 2 shown]
	v_mul_f32_e32 v5, v7, v5
	v_fma_f32 v5, v6, v164, -v5
	v_mul_f32_e32 v6, v9, v134
	v_add_f32_e32 v5, 0, v5
	v_fma_f32 v6, v8, v165, -v6
	v_add_f32_e32 v5, v5, v6
	v_mul_f32_e32 v6, v11, v136
	v_fma_f32 v6, v10, v166, -v6
	v_add_f32_e32 v5, v5, v6
	v_mul_f32_e32 v6, v13, v144
	;; [unrolled: 3-line block ×18, first 2 shown]
	v_fma_f32 v6, v124, v191, -v6
	v_add_f32_e32 v5, v5, v6
	s_waitcnt vmcnt(23) lgkmcnt(1)
	v_mul_f32_e32 v6, v127, v192
	s_waitcnt vmcnt(22)
	v_fma_f32 v6, v126, v193, -v6
	v_add_f32_e32 v5, v5, v6
	s_waitcnt vmcnt(20)
	v_mul_f32_e32 v6, v129, v195
	v_fma_f32 v6, v128, v194, -v6
	v_add_f32_e32 v134, v5, v6
	ds_read_b128 v[6:9], v4 offset:576
	ds_read_b128 v[10:13], v4 offset:592
	;; [unrolled: 1-line block ×4, first 2 shown]
	v_mul_f32_e32 v137, v126, v192
	v_fmac_f32_e32 v137, v127, v193
	v_add_f32_e32 v135, v135, v137
	v_mul_f32_e32 v137, v128, v195
	v_fmac_f32_e32 v137, v129, v194
	v_add_f32_e32 v135, v135, v137
	s_waitcnt vmcnt(18) lgkmcnt(4)
	v_mul_f32_e32 v137, v130, v197
	v_mul_f32_e32 v5, v131, v197
	v_fmac_f32_e32 v137, v131, v196
	s_waitcnt vmcnt(16)
	v_mul_f32_e32 v145, v132, v199
	s_waitcnt vmcnt(11)
	v_mov_b32_e32 v102, v143
	s_waitcnt lgkmcnt(3)
	v_pk_mul_f32 v[102:103], v[6:7], v[102:103] op_sel_hi:[1,0]
	s_waitcnt vmcnt(10)
	v_pk_fma_f32 v[104:105], v[6:7], v[142:143], v[102:103] op_sel:[0,0,1] op_sel_hi:[1,1,0] neg_lo:[0,0,1] neg_hi:[0,0,1]
	v_pk_fma_f32 v[6:7], v[6:7], v[142:143], v[102:103] op_sel:[0,0,1] op_sel_hi:[1,0,0]
	v_mov_b32_e32 v6, v141
	v_mov_b32_e32 v105, v7
	v_pk_mul_f32 v[6:7], v[8:9], v[6:7] op_sel_hi:[1,0]
	v_pk_fma_f32 v[102:103], v[8:9], v[140:141], v[6:7] op_sel:[0,0,1] op_sel_hi:[1,1,0] neg_lo:[0,0,1] neg_hi:[0,0,1]
	v_pk_fma_f32 v[6:7], v[8:9], v[140:141], v[6:7] op_sel:[0,0,1] op_sel_hi:[1,0,0]
	v_fma_f32 v136, v130, v196, -v5
	v_mul_f32_e32 v5, v133, v199
	v_mov_b32_e32 v6, v139
	v_fmac_f32_e32 v145, v133, v198
	v_fma_f32 v144, v132, v198, -v5
	v_pk_add_f32 v[4:5], v[134:135], v[136:137]
	v_mov_b32_e32 v103, v7
	s_waitcnt lgkmcnt(2)
	v_pk_mul_f32 v[6:7], v[10:11], v[6:7] op_sel_hi:[1,0]
	v_pk_add_f32 v[4:5], v[4:5], v[144:145]
	v_pk_fma_f32 v[8:9], v[10:11], v[138:139], v[6:7] op_sel:[0,0,1] op_sel_hi:[1,1,0] neg_lo:[0,0,1] neg_hi:[0,0,1]
	v_pk_fma_f32 v[6:7], v[10:11], v[138:139], v[6:7] op_sel:[0,0,1] op_sel_hi:[1,0,0]
	v_pk_add_f32 v[4:5], v[4:5], v[104:105]
	s_waitcnt vmcnt(3)
	v_mov_b32_e32 v6, v153
	v_pk_add_f32 v[4:5], v[4:5], v[102:103]
	v_mov_b32_e32 v9, v7
	v_pk_mul_f32 v[6:7], v[12:13], v[6:7] op_sel_hi:[1,0]
	v_pk_add_f32 v[4:5], v[4:5], v[8:9]
	s_waitcnt vmcnt(2)
	v_pk_fma_f32 v[8:9], v[12:13], v[152:153], v[6:7] op_sel:[0,0,1] op_sel_hi:[1,1,0] neg_lo:[0,0,1] neg_hi:[0,0,1]
	v_pk_fma_f32 v[6:7], v[12:13], v[152:153], v[6:7] op_sel:[0,0,1] op_sel_hi:[1,0,0]
	v_mov_b32_e32 v6, v151
	v_mov_b32_e32 v9, v7
	s_waitcnt lgkmcnt(1)
	v_pk_mul_f32 v[6:7], v[14:15], v[6:7] op_sel_hi:[1,0]
	v_pk_add_f32 v[4:5], v[4:5], v[8:9]
	v_pk_fma_f32 v[8:9], v[14:15], v[150:151], v[6:7] op_sel:[0,0,1] op_sel_hi:[1,1,0] neg_lo:[0,0,1] neg_hi:[0,0,1]
	v_pk_fma_f32 v[6:7], v[14:15], v[150:151], v[6:7] op_sel:[0,0,1] op_sel_hi:[1,0,0]
	v_mov_b32_e32 v6, v149
	v_mov_b32_e32 v9, v7
	v_pk_mul_f32 v[6:7], v[16:17], v[6:7] op_sel_hi:[1,0]
	v_pk_add_f32 v[4:5], v[4:5], v[8:9]
	v_pk_fma_f32 v[8:9], v[16:17], v[148:149], v[6:7] op_sel:[0,0,1] op_sel_hi:[1,1,0] neg_lo:[0,0,1] neg_hi:[0,0,1]
	v_pk_fma_f32 v[6:7], v[16:17], v[148:149], v[6:7] op_sel:[0,0,1] op_sel_hi:[1,0,0]
	v_mov_b32_e32 v6, v147
	v_mov_b32_e32 v9, v7
	s_waitcnt lgkmcnt(0)
	v_pk_mul_f32 v[6:7], v[98:99], v[6:7] op_sel_hi:[1,0]
	v_pk_add_f32 v[4:5], v[4:5], v[8:9]
	v_pk_fma_f32 v[8:9], v[98:99], v[146:147], v[6:7] op_sel:[0,0,1] op_sel_hi:[1,1,0] neg_lo:[0,0,1] neg_hi:[0,0,1]
	v_pk_fma_f32 v[6:7], v[98:99], v[146:147], v[6:7] op_sel:[0,0,1] op_sel_hi:[1,0,0]
	s_waitcnt vmcnt(1)
	v_mov_b32_e32 v6, v155
	v_mov_b32_e32 v9, v7
	v_pk_mul_f32 v[6:7], v[100:101], v[6:7] op_sel_hi:[1,0]
	v_pk_add_f32 v[4:5], v[4:5], v[8:9]
	s_waitcnt vmcnt(0)
	v_pk_fma_f32 v[8:9], v[100:101], v[154:155], v[6:7] op_sel:[0,0,1] op_sel_hi:[1,1,0] neg_lo:[0,0,1] neg_hi:[0,0,1]
	v_pk_fma_f32 v[6:7], v[100:101], v[154:155], v[6:7] op_sel:[0,0,1] op_sel_hi:[1,0,0]
	v_mov_b32_e32 v9, v7
	v_pk_add_f32 v[4:5], v[4:5], v[8:9]
	v_pk_add_f32 v[2:3], v[2:3], v[4:5] neg_lo:[0,1] neg_hi:[0,1]
	buffer_store_dword v3, off, s[0:3], 0 offset:60
	buffer_store_dword v2, off, s[0:3], 0 offset:56
	s_and_saveexec_b64 s[4:5], vcc
	s_cbranch_execz .LBB103_241
; %bb.240:
	buffer_load_dword v2, off, s[0:3], 0 offset:48
	buffer_load_dword v3, off, s[0:3], 0 offset:52
	v_mov_b32_e32 v4, 0
	buffer_store_dword v4, off, s[0:3], 0 offset:48
	buffer_store_dword v4, off, s[0:3], 0 offset:52
	s_waitcnt vmcnt(2)
	ds_write_b64 v1, v[2:3]
.LBB103_241:
	s_or_b64 exec, exec, s[4:5]
	s_waitcnt lgkmcnt(0)
	; wave barrier
	s_waitcnt lgkmcnt(0)
	buffer_load_dword v5, off, s[0:3], 0 offset:60
	buffer_load_dword v142, off, s[0:3], 0 offset:68
	;; [unrolled: 1-line block ×52, first 2 shown]
	v_mov_b32_e32 v4, 0
	ds_read2_b64 v[6:9], v4 offset0:47 offset1:48
	ds_read2_b64 v[10:13], v4 offset0:49 offset1:50
	ds_read2_b64 v[14:17], v4 offset0:51 offset1:52
	ds_read2_b64 v[98:101], v4 offset0:53 offset1:54
	ds_read2_b64 v[102:105], v4 offset0:55 offset1:56
	ds_read2_b64 v[106:109], v4 offset0:57 offset1:58
	v_cmp_lt_u32_e32 vcc, 5, v0
	s_waitcnt vmcnt(51) lgkmcnt(5)
	v_mul_f32_e32 v110, v6, v5
	s_waitcnt vmcnt(50)
	v_mul_f32_e32 v111, v8, v142
	s_waitcnt vmcnt(49) lgkmcnt(4)
	v_mul_f32_e32 v112, v10, v148
	s_waitcnt vmcnt(48)
	v_mul_f32_e32 v113, v12, v150
	s_waitcnt vmcnt(47) lgkmcnt(3)
	v_mul_f32_e32 v114, v14, v164
	s_waitcnt vmcnt(46)
	v_mul_f32_e32 v115, v16, v165
	s_waitcnt vmcnt(45) lgkmcnt(2)
	v_mul_f32_e32 v116, v98, v166
	s_waitcnt vmcnt(44)
	v_mul_f32_e32 v117, v100, v167
	s_waitcnt vmcnt(43) lgkmcnt(1)
	v_mul_f32_e32 v118, v102, v168
	s_waitcnt vmcnt(42)
	v_mul_f32_e32 v119, v104, v169
	s_waitcnt vmcnt(41) lgkmcnt(0)
	v_mul_f32_e32 v120, v106, v170
	s_waitcnt vmcnt(40)
	v_fmac_f32_e32 v110, v7, v171
	s_waitcnt vmcnt(39)
	v_fmac_f32_e32 v111, v9, v172
	v_add_f32_e32 v110, 0, v110
	s_waitcnt vmcnt(38)
	v_fmac_f32_e32 v112, v11, v173
	v_add_f32_e32 v110, v110, v111
	;; [unrolled: 3-line block ×9, first 2 shown]
	v_add_f32_e32 v110, v110, v119
	s_waitcnt vmcnt(30)
	v_fmac_f32_e32 v120, v107, v181
	v_add_f32_e32 v114, v110, v120
	ds_read2_b64 v[110:113], v4 offset0:59 offset1:60
	s_waitcnt vmcnt(29)
	v_mul_f32_e32 v115, v108, v182
	s_waitcnt vmcnt(28)
	v_fmac_f32_e32 v115, v109, v183
	v_add_f32_e32 v118, v114, v115
	ds_read2_b64 v[114:117], v4 offset0:61 offset1:62
	s_waitcnt vmcnt(27) lgkmcnt(1)
	v_mul_f32_e32 v119, v110, v184
	s_waitcnt vmcnt(26)
	v_fmac_f32_e32 v119, v111, v185
	v_add_f32_e32 v118, v118, v119
	s_waitcnt vmcnt(25)
	v_mul_f32_e32 v119, v112, v186
	s_waitcnt vmcnt(24)
	v_fmac_f32_e32 v119, v113, v187
	v_add_f32_e32 v118, v118, v119
	s_waitcnt vmcnt(23) lgkmcnt(0)
	v_mul_f32_e32 v119, v114, v188
	s_waitcnt vmcnt(22)
	v_fmac_f32_e32 v119, v115, v189
	v_add_f32_e32 v122, v118, v119
	ds_read2_b64 v[118:121], v4 offset0:63 offset1:64
	s_waitcnt vmcnt(21)
	v_mul_f32_e32 v123, v116, v190
	s_waitcnt vmcnt(20)
	v_fmac_f32_e32 v123, v117, v191
	v_add_f32_e32 v126, v122, v123
	ds_read2_b64 v[122:125], v4 offset0:65 offset1:66
	s_waitcnt vmcnt(19) lgkmcnt(1)
	v_mul_f32_e32 v127, v118, v192
	s_waitcnt vmcnt(18)
	v_fmac_f32_e32 v127, v119, v193
	v_add_f32_e32 v126, v126, v127
	s_waitcnt vmcnt(17)
	v_mul_f32_e32 v127, v120, v194
	s_waitcnt vmcnt(16)
	v_fmac_f32_e32 v127, v121, v195
	v_add_f32_e32 v126, v126, v127
	s_waitcnt vmcnt(14) lgkmcnt(0)
	v_mul_f32_e32 v127, v122, v197
	v_fmac_f32_e32 v127, v123, v196
	v_add_f32_e32 v130, v126, v127
	ds_read2_b64 v[126:129], v4 offset0:67 offset1:68
	s_waitcnt vmcnt(10)
	v_mul_f32_e32 v131, v124, v199
	v_fmac_f32_e32 v131, v125, v198
	v_add_f32_e32 v134, v130, v131
	ds_read2_b64 v[130:133], v4 offset0:69 offset1:70
	s_waitcnt vmcnt(8) lgkmcnt(1)
	v_mul_f32_e32 v135, v126, v201
	v_fmac_f32_e32 v135, v127, v200
	v_add_f32_e32 v134, v134, v135
	s_waitcnt vmcnt(6)
	v_mul_f32_e32 v135, v128, v203
	v_fmac_f32_e32 v135, v129, v202
	v_add_f32_e32 v134, v134, v135
	s_waitcnt vmcnt(4) lgkmcnt(0)
	v_mul_f32_e32 v135, v130, v205
	v_fmac_f32_e32 v135, v131, v204
	v_add_f32_e32 v143, v134, v135
	ds_read2_b64 v[134:137], v4 offset0:71 offset1:72
	buffer_load_dword v145, off, s[0:3], 0 offset:268
	buffer_load_dword v144, off, s[0:3], 0 offset:264
	;; [unrolled: 1-line block ×4, first 2 shown]
	ds_read2_b64 v[138:141], v4 offset0:73 offset1:74
	buffer_load_dword v153, off, s[0:3], 0 offset:300
	buffer_load_dword v152, off, s[0:3], 0 offset:296
	buffer_load_dword v155, off, s[0:3], 0 offset:292
	buffer_load_dword v154, off, s[0:3], 0 offset:288
	buffer_load_dword v157, off, s[0:3], 0 offset:284
	buffer_load_dword v156, off, s[0:3], 0 offset:280
	buffer_load_dword v159, off, s[0:3], 0 offset:276
	buffer_load_dword v158, off, s[0:3], 0 offset:272
	buffer_load_dword v161, off, s[0:3], 0 offset:316
	buffer_load_dword v160, off, s[0:3], 0 offset:312
	buffer_load_dword v163, off, s[0:3], 0 offset:308
	buffer_load_dword v162, off, s[0:3], 0 offset:304
	v_mul_f32_e32 v5, v7, v5
	v_fma_f32 v5, v6, v171, -v5
	v_mul_f32_e32 v6, v9, v142
	v_add_f32_e32 v5, 0, v5
	v_fma_f32 v6, v8, v172, -v6
	v_add_f32_e32 v5, v5, v6
	v_mul_f32_e32 v6, v11, v148
	v_fma_f32 v6, v10, v173, -v6
	v_add_f32_e32 v5, v5, v6
	v_mul_f32_e32 v6, v13, v150
	;; [unrolled: 3-line block ×21, first 2 shown]
	v_fma_f32 v6, v130, v204, -v6
	s_waitcnt vmcnt(18)
	v_mul_f32_e32 v149, v132, v207
	v_add_f32_e32 v142, v5, v6
	v_mul_f32_e32 v5, v133, v207
	v_fmac_f32_e32 v149, v133, v206
	s_waitcnt vmcnt(16) lgkmcnt(1)
	v_mul_f32_e32 v151, v134, v209
	v_fma_f32 v148, v132, v206, -v5
	v_mul_f32_e32 v5, v135, v209
	v_fmac_f32_e32 v151, v135, v208
	s_waitcnt vmcnt(13)
	v_mov_b32_e32 v98, v147
	v_pk_mul_f32 v[98:99], v[136:137], v[98:99] op_sel_hi:[1,0]
	s_waitcnt vmcnt(12)
	v_pk_fma_f32 v[100:101], v[136:137], v[146:147], v[98:99] op_sel:[0,0,1] op_sel_hi:[1,1,0] neg_lo:[0,0,1] neg_hi:[0,0,1]
	v_pk_fma_f32 v[98:99], v[136:137], v[146:147], v[98:99] op_sel:[0,0,1] op_sel_hi:[1,0,0]
	v_fma_f32 v150, v134, v208, -v5
	v_pk_add_f32 v[16:17], v[142:143], v[148:149]
	v_mov_b32_e32 v98, v145
	v_pk_add_f32 v[16:17], v[16:17], v[150:151]
	v_mov_b32_e32 v101, v99
	s_waitcnt lgkmcnt(0)
	v_pk_mul_f32 v[98:99], v[138:139], v[98:99] op_sel_hi:[1,0]
	v_pk_add_f32 v[16:17], v[16:17], v[100:101]
	v_pk_fma_f32 v[100:101], v[138:139], v[144:145], v[98:99] op_sel:[0,0,1] op_sel_hi:[1,1,0] neg_lo:[0,0,1] neg_hi:[0,0,1]
	v_pk_fma_f32 v[98:99], v[138:139], v[144:145], v[98:99] op_sel:[0,0,1] op_sel_hi:[1,0,0]
	s_waitcnt vmcnt(5)
	v_mov_b32_e32 v98, v159
	ds_read2_b64 v[6:9], v4 offset0:75 offset1:76
	ds_read2_b64 v[10:13], v4 offset0:77 offset1:78
	ds_read_b64 v[14:15], v4 offset:632
	v_mov_b32_e32 v101, v99
	v_pk_mul_f32 v[98:99], v[140:141], v[98:99] op_sel_hi:[1,0]
	v_pk_add_f32 v[16:17], v[16:17], v[100:101]
	s_waitcnt vmcnt(4)
	v_pk_fma_f32 v[100:101], v[140:141], v[158:159], v[98:99] op_sel:[0,0,1] op_sel_hi:[1,1,0] neg_lo:[0,0,1] neg_hi:[0,0,1]
	v_pk_fma_f32 v[98:99], v[140:141], v[158:159], v[98:99] op_sel:[0,0,1] op_sel_hi:[1,0,0]
	v_mov_b32_e32 v98, v157
	v_mov_b32_e32 v101, v99
	s_waitcnt lgkmcnt(2)
	v_pk_mul_f32 v[98:99], v[6:7], v[98:99] op_sel_hi:[1,0]
	v_pk_add_f32 v[16:17], v[16:17], v[100:101]
	v_pk_fma_f32 v[100:101], v[6:7], v[156:157], v[98:99] op_sel:[0,0,1] op_sel_hi:[1,1,0] neg_lo:[0,0,1] neg_hi:[0,0,1]
	v_pk_fma_f32 v[6:7], v[6:7], v[156:157], v[98:99] op_sel:[0,0,1] op_sel_hi:[1,0,0]
	v_mov_b32_e32 v101, v7
	v_pk_add_f32 v[6:7], v[16:17], v[100:101]
	v_mov_b32_e32 v16, v155
	v_pk_mul_f32 v[16:17], v[8:9], v[16:17] op_sel_hi:[1,0]
	v_pk_fma_f32 v[98:99], v[8:9], v[154:155], v[16:17] op_sel:[0,0,1] op_sel_hi:[1,1,0] neg_lo:[0,0,1] neg_hi:[0,0,1]
	v_pk_fma_f32 v[8:9], v[8:9], v[154:155], v[16:17] op_sel:[0,0,1] op_sel_hi:[1,0,0]
	v_mov_b32_e32 v8, v153
	v_mov_b32_e32 v99, v9
	s_waitcnt lgkmcnt(1)
	v_pk_mul_f32 v[8:9], v[10:11], v[8:9] op_sel_hi:[1,0]
	v_pk_fma_f32 v[16:17], v[10:11], v[152:153], v[8:9] op_sel:[0,0,1] op_sel_hi:[1,1,0] neg_lo:[0,0,1] neg_hi:[0,0,1]
	v_pk_fma_f32 v[8:9], v[10:11], v[152:153], v[8:9] op_sel:[0,0,1] op_sel_hi:[1,0,0]
	s_waitcnt vmcnt(1)
	v_mov_b32_e32 v8, v163
	v_mov_b32_e32 v17, v9
	v_pk_mul_f32 v[8:9], v[12:13], v[8:9] op_sel_hi:[1,0]
	s_waitcnt vmcnt(0)
	v_pk_fma_f32 v[10:11], v[12:13], v[162:163], v[8:9] op_sel:[0,0,1] op_sel_hi:[1,1,0] neg_lo:[0,0,1] neg_hi:[0,0,1]
	v_pk_fma_f32 v[8:9], v[12:13], v[162:163], v[8:9] op_sel:[0,0,1] op_sel_hi:[1,0,0]
	v_pk_add_f32 v[6:7], v[6:7], v[98:99]
	v_mov_b32_e32 v8, v161
	v_pk_add_f32 v[6:7], v[6:7], v[16:17]
	v_mov_b32_e32 v11, v9
	s_waitcnt lgkmcnt(0)
	v_pk_mul_f32 v[8:9], v[14:15], v[8:9] op_sel_hi:[1,0]
	v_pk_add_f32 v[6:7], v[6:7], v[10:11]
	v_pk_fma_f32 v[10:11], v[14:15], v[160:161], v[8:9] op_sel:[0,0,1] op_sel_hi:[1,1,0] neg_lo:[0,0,1] neg_hi:[0,0,1]
	v_pk_fma_f32 v[8:9], v[14:15], v[160:161], v[8:9] op_sel:[0,0,1] op_sel_hi:[1,0,0]
	v_mov_b32_e32 v11, v9
	v_pk_add_f32 v[6:7], v[6:7], v[10:11]
	v_pk_add_f32 v[2:3], v[2:3], v[6:7] neg_lo:[0,1] neg_hi:[0,1]
	buffer_store_dword v3, off, s[0:3], 0 offset:52
	buffer_store_dword v2, off, s[0:3], 0 offset:48
	s_and_saveexec_b64 s[4:5], vcc
	s_cbranch_execz .LBB103_243
; %bb.242:
	buffer_load_dword v2, off, s[0:3], 0 offset:40
	buffer_load_dword v3, off, s[0:3], 0 offset:44
	s_waitcnt vmcnt(0)
	ds_write_b64 v1, v[2:3]
	buffer_store_dword v4, off, s[0:3], 0 offset:40
	buffer_store_dword v4, off, s[0:3], 0 offset:44
.LBB103_243:
	s_or_b64 exec, exec, s[4:5]
	s_waitcnt lgkmcnt(0)
	; wave barrier
	s_waitcnt lgkmcnt(0)
	buffer_load_dword v5, off, s[0:3], 0 offset:52
	buffer_load_dword v144, off, s[0:3], 0 offset:60
	;; [unrolled: 1-line block ×42, first 2 shown]
	ds_read_b128 v[6:9], v4 offset:368
	ds_read_b128 v[10:13], v4 offset:384
	buffer_load_dword v200, off, s[0:3], 0 offset:208
	buffer_load_dword v201, off, s[0:3], 0 offset:212
	ds_read_b128 v[14:17], v4 offset:400
	ds_read_b128 v[98:101], v4 offset:416
	buffer_load_dword v202, off, s[0:3], 0 offset:216
	buffer_load_dword v203, off, s[0:3], 0 offset:220
	;; [unrolled: 1-line block ×4, first 2 shown]
	ds_read_b128 v[102:105], v4 offset:432
	ds_read_b128 v[106:109], v4 offset:448
	buffer_load_dword v206, off, s[0:3], 0 offset:232
	buffer_load_dword v207, off, s[0:3], 0 offset:236
	;; [unrolled: 1-line block ×6, first 2 shown]
	v_cmp_lt_u32_e32 vcc, 4, v0
	s_waitcnt vmcnt(53) lgkmcnt(5)
	v_mul_f32_e32 v110, v6, v5
	s_waitcnt vmcnt(52)
	v_mul_f32_e32 v111, v8, v144
	s_waitcnt vmcnt(51) lgkmcnt(4)
	v_mul_f32_e32 v112, v10, v146
	s_waitcnt vmcnt(50)
	v_mul_f32_e32 v113, v12, v148
	;; [unrolled: 4-line block ×5, first 2 shown]
	s_waitcnt vmcnt(43)
	v_fmac_f32_e32 v110, v7, v170
	s_waitcnt vmcnt(42)
	v_fmac_f32_e32 v111, v9, v171
	v_add_f32_e32 v110, 0, v110
	s_waitcnt vmcnt(41)
	v_fmac_f32_e32 v112, v11, v172
	v_add_f32_e32 v110, v110, v111
	;; [unrolled: 3-line block ×9, first 2 shown]
	s_waitcnt vmcnt(33) lgkmcnt(0)
	v_mul_f32_e32 v111, v106, v180
	v_add_f32_e32 v110, v110, v119
	s_waitcnt vmcnt(32)
	v_fmac_f32_e32 v111, v107, v181
	v_add_f32_e32 v114, v110, v111
	ds_read_b128 v[110:113], v4 offset:464
	s_waitcnt vmcnt(31)
	v_mul_f32_e32 v115, v108, v182
	s_waitcnt vmcnt(30)
	v_fmac_f32_e32 v115, v109, v183
	v_add_f32_e32 v118, v114, v115
	ds_read_b128 v[114:117], v4 offset:480
	s_waitcnt vmcnt(29) lgkmcnt(1)
	v_mul_f32_e32 v119, v110, v184
	s_waitcnt vmcnt(28)
	v_fmac_f32_e32 v119, v111, v185
	v_add_f32_e32 v118, v118, v119
	s_waitcnt vmcnt(27)
	v_mul_f32_e32 v119, v112, v186
	s_waitcnt vmcnt(26)
	v_fmac_f32_e32 v119, v113, v187
	v_add_f32_e32 v118, v118, v119
	s_waitcnt vmcnt(25) lgkmcnt(0)
	v_mul_f32_e32 v119, v114, v188
	s_waitcnt vmcnt(24)
	v_fmac_f32_e32 v119, v115, v189
	v_add_f32_e32 v122, v118, v119
	ds_read_b128 v[118:121], v4 offset:496
	s_waitcnt vmcnt(23)
	v_mul_f32_e32 v123, v116, v190
	s_waitcnt vmcnt(22)
	v_fmac_f32_e32 v123, v117, v191
	v_add_f32_e32 v126, v122, v123
	ds_read_b128 v[122:125], v4 offset:512
	s_waitcnt vmcnt(21) lgkmcnt(1)
	v_mul_f32_e32 v127, v118, v192
	s_waitcnt vmcnt(20)
	v_fmac_f32_e32 v127, v119, v193
	v_add_f32_e32 v126, v126, v127
	s_waitcnt vmcnt(18)
	v_mul_f32_e32 v127, v120, v195
	v_fmac_f32_e32 v127, v121, v194
	v_add_f32_e32 v126, v126, v127
	s_waitcnt vmcnt(15) lgkmcnt(0)
	v_mul_f32_e32 v127, v122, v196
	s_waitcnt vmcnt(14)
	v_fmac_f32_e32 v127, v123, v197
	v_add_f32_e32 v130, v126, v127
	ds_read_b128 v[126:129], v4 offset:528
	s_waitcnt vmcnt(12)
	v_mul_f32_e32 v131, v124, v199
	v_fmac_f32_e32 v131, v125, v198
	v_add_f32_e32 v134, v130, v131
	ds_read_b128 v[130:133], v4 offset:544
	buffer_load_dword v143, off, s[0:3], 0 offset:260
	buffer_load_dword v142, off, s[0:3], 0 offset:256
	s_waitcnt vmcnt(12) lgkmcnt(1)
	v_mul_f32_e32 v135, v126, v201
	v_fmac_f32_e32 v135, v127, v200
	v_add_f32_e32 v134, v134, v135
	s_waitcnt vmcnt(10)
	v_mul_f32_e32 v135, v128, v203
	v_fmac_f32_e32 v135, v129, v202
	v_add_f32_e32 v134, v134, v135
	s_waitcnt vmcnt(8) lgkmcnt(0)
	v_mul_f32_e32 v135, v130, v205
	v_fmac_f32_e32 v135, v131, v204
	s_waitcnt vmcnt(6)
	v_mul_f32_e32 v139, v132, v207
	v_add_f32_e32 v138, v134, v135
	v_fmac_f32_e32 v139, v133, v206
	ds_read_b128 v[134:137], v4 offset:560
	v_add_f32_e32 v145, v138, v139
	ds_read_b128 v[138:141], v4 offset:576
	buffer_load_dword v151, off, s[0:3], 0 offset:292
	buffer_load_dword v150, off, s[0:3], 0 offset:288
	;; [unrolled: 1-line block ×14, first 2 shown]
	v_mul_f32_e32 v5, v7, v5
	v_fma_f32 v5, v6, v170, -v5
	v_mul_f32_e32 v6, v9, v144
	v_add_f32_e32 v5, 0, v5
	v_fma_f32 v6, v8, v171, -v6
	v_add_f32_e32 v5, v5, v6
	v_mul_f32_e32 v6, v11, v146
	v_fma_f32 v6, v10, v172, -v6
	v_add_f32_e32 v5, v5, v6
	v_mul_f32_e32 v6, v13, v148
	;; [unrolled: 3-line block ×22, first 2 shown]
	v_fma_f32 v6, v132, v206, -v6
	s_waitcnt vmcnt(15)
	v_mov_b32_e32 v98, v143
	s_waitcnt lgkmcnt(1)
	v_mul_f32_e32 v147, v134, v209
	v_add_f32_e32 v144, v5, v6
	v_mul_f32_e32 v5, v135, v209
	s_waitcnt lgkmcnt(0)
	v_pk_mul_f32 v[98:99], v[138:139], v[98:99] op_sel_hi:[1,0]
	v_fmac_f32_e32 v147, v135, v208
	v_mul_f32_e32 v149, v136, v211
	v_fma_f32 v146, v134, v208, -v5
	v_mul_f32_e32 v5, v137, v211
	s_waitcnt vmcnt(14)
	v_pk_fma_f32 v[100:101], v[138:139], v[142:143], v[98:99] op_sel:[0,0,1] op_sel_hi:[1,1,0] neg_lo:[0,0,1] neg_hi:[0,0,1]
	v_pk_fma_f32 v[98:99], v[138:139], v[142:143], v[98:99] op_sel:[0,0,1] op_sel_hi:[1,0,0]
	v_fmac_f32_e32 v149, v137, v210
	v_fma_f32 v148, v136, v210, -v5
	ds_read_b128 v[6:9], v4 offset:592
	ds_read_b128 v[10:13], v4 offset:608
	;; [unrolled: 1-line block ×3, first 2 shown]
	v_pk_add_f32 v[4:5], v[144:145], v[146:147]
	s_waitcnt vmcnt(7)
	v_mov_b32_e32 v98, v157
	v_pk_add_f32 v[4:5], v[4:5], v[148:149]
	v_mov_b32_e32 v101, v99
	v_pk_mul_f32 v[98:99], v[140:141], v[98:99] op_sel_hi:[1,0]
	v_pk_add_f32 v[4:5], v[4:5], v[100:101]
	s_waitcnt vmcnt(6)
	v_pk_fma_f32 v[100:101], v[140:141], v[156:157], v[98:99] op_sel:[0,0,1] op_sel_hi:[1,1,0] neg_lo:[0,0,1] neg_hi:[0,0,1]
	v_pk_fma_f32 v[98:99], v[140:141], v[156:157], v[98:99] op_sel:[0,0,1] op_sel_hi:[1,0,0]
	v_mov_b32_e32 v98, v155
	v_mov_b32_e32 v101, v99
	s_waitcnt lgkmcnt(2)
	v_pk_mul_f32 v[98:99], v[6:7], v[98:99] op_sel_hi:[1,0]
	v_pk_add_f32 v[4:5], v[4:5], v[100:101]
	v_pk_fma_f32 v[100:101], v[6:7], v[154:155], v[98:99] op_sel:[0,0,1] op_sel_hi:[1,1,0] neg_lo:[0,0,1] neg_hi:[0,0,1]
	v_pk_fma_f32 v[6:7], v[6:7], v[154:155], v[98:99] op_sel:[0,0,1] op_sel_hi:[1,0,0]
	v_mov_b32_e32 v6, v153
	v_mov_b32_e32 v101, v7
	v_pk_mul_f32 v[6:7], v[8:9], v[6:7] op_sel_hi:[1,0]
	v_pk_fma_f32 v[98:99], v[8:9], v[152:153], v[6:7] op_sel:[0,0,1] op_sel_hi:[1,1,0] neg_lo:[0,0,1] neg_hi:[0,0,1]
	v_pk_fma_f32 v[6:7], v[8:9], v[152:153], v[6:7] op_sel:[0,0,1] op_sel_hi:[1,0,0]
	v_mov_b32_e32 v6, v151
	v_mov_b32_e32 v99, v7
	s_waitcnt lgkmcnt(1)
	v_pk_mul_f32 v[6:7], v[10:11], v[6:7] op_sel_hi:[1,0]
	v_pk_fma_f32 v[8:9], v[10:11], v[150:151], v[6:7] op_sel:[0,0,1] op_sel_hi:[1,1,0] neg_lo:[0,0,1] neg_hi:[0,0,1]
	v_pk_fma_f32 v[6:7], v[10:11], v[150:151], v[6:7] op_sel:[0,0,1] op_sel_hi:[1,0,0]
	v_pk_add_f32 v[4:5], v[4:5], v[100:101]
	s_waitcnt vmcnt(1)
	v_mov_b32_e32 v6, v163
	v_pk_add_f32 v[4:5], v[4:5], v[98:99]
	v_mov_b32_e32 v9, v7
	v_pk_mul_f32 v[6:7], v[12:13], v[6:7] op_sel_hi:[1,0]
	v_pk_add_f32 v[4:5], v[4:5], v[8:9]
	s_waitcnt vmcnt(0)
	v_pk_fma_f32 v[8:9], v[12:13], v[162:163], v[6:7] op_sel:[0,0,1] op_sel_hi:[1,1,0] neg_lo:[0,0,1] neg_hi:[0,0,1]
	v_pk_fma_f32 v[6:7], v[12:13], v[162:163], v[6:7] op_sel:[0,0,1] op_sel_hi:[1,0,0]
	v_mov_b32_e32 v6, v161
	v_mov_b32_e32 v9, v7
	s_waitcnt lgkmcnt(0)
	v_pk_mul_f32 v[6:7], v[14:15], v[6:7] op_sel_hi:[1,0]
	v_pk_add_f32 v[4:5], v[4:5], v[8:9]
	v_pk_fma_f32 v[8:9], v[14:15], v[160:161], v[6:7] op_sel:[0,0,1] op_sel_hi:[1,1,0] neg_lo:[0,0,1] neg_hi:[0,0,1]
	v_pk_fma_f32 v[6:7], v[14:15], v[160:161], v[6:7] op_sel:[0,0,1] op_sel_hi:[1,0,0]
	v_mov_b32_e32 v6, v159
	v_mov_b32_e32 v9, v7
	v_pk_mul_f32 v[6:7], v[16:17], v[6:7] op_sel_hi:[1,0]
	v_pk_add_f32 v[4:5], v[4:5], v[8:9]
	v_pk_fma_f32 v[8:9], v[16:17], v[158:159], v[6:7] op_sel:[0,0,1] op_sel_hi:[1,1,0] neg_lo:[0,0,1] neg_hi:[0,0,1]
	v_pk_fma_f32 v[6:7], v[16:17], v[158:159], v[6:7] op_sel:[0,0,1] op_sel_hi:[1,0,0]
	v_mov_b32_e32 v9, v7
	v_pk_add_f32 v[4:5], v[4:5], v[8:9]
	v_pk_add_f32 v[2:3], v[2:3], v[4:5] neg_lo:[0,1] neg_hi:[0,1]
	buffer_store_dword v3, off, s[0:3], 0 offset:44
	buffer_store_dword v2, off, s[0:3], 0 offset:40
	s_and_saveexec_b64 s[4:5], vcc
	s_cbranch_execz .LBB103_245
; %bb.244:
	buffer_load_dword v2, off, s[0:3], 0 offset:32
	buffer_load_dword v3, off, s[0:3], 0 offset:36
	v_mov_b32_e32 v4, 0
	buffer_store_dword v4, off, s[0:3], 0 offset:32
	buffer_store_dword v4, off, s[0:3], 0 offset:36
	s_waitcnt vmcnt(2)
	ds_write_b64 v1, v[2:3]
.LBB103_245:
	s_or_b64 exec, exec, s[4:5]
	s_waitcnt lgkmcnt(0)
	; wave barrier
	s_waitcnt lgkmcnt(0)
	buffer_load_dword v5, off, s[0:3], 0 offset:44
	buffer_load_dword v142, off, s[0:3], 0 offset:52
	;; [unrolled: 1-line block ×56, first 2 shown]
	v_mov_b32_e32 v4, 0
	ds_read2_b64 v[6:9], v4 offset0:45 offset1:46
	ds_read2_b64 v[10:13], v4 offset0:47 offset1:48
	;; [unrolled: 1-line block ×6, first 2 shown]
	v_cmp_lt_u32_e32 vcc, 3, v0
	s_waitcnt vmcnt(55) lgkmcnt(5)
	v_mul_f32_e32 v110, v6, v5
	s_waitcnt vmcnt(54)
	v_mul_f32_e32 v111, v8, v142
	s_waitcnt vmcnt(53) lgkmcnt(4)
	v_mul_f32_e32 v112, v10, v144
	s_waitcnt vmcnt(52)
	v_mul_f32_e32 v113, v12, v146
	;; [unrolled: 4-line block ×4, first 2 shown]
	s_waitcnt vmcnt(47) lgkmcnt(1)
	v_mul_f32_e32 v118, v102, v168
	s_waitcnt vmcnt(46)
	v_fmac_f32_e32 v110, v7, v169
	s_waitcnt vmcnt(45)
	v_fmac_f32_e32 v111, v9, v170
	v_add_f32_e32 v110, 0, v110
	s_waitcnt vmcnt(44)
	v_fmac_f32_e32 v112, v11, v171
	v_add_f32_e32 v110, v110, v111
	;; [unrolled: 3-line block ×7, first 2 shown]
	v_add_f32_e32 v110, v110, v117
	s_waitcnt vmcnt(38)
	v_fmac_f32_e32 v118, v103, v177
	s_waitcnt vmcnt(37)
	v_mul_f32_e32 v111, v104, v178
	v_add_f32_e32 v110, v110, v118
	s_waitcnt vmcnt(36)
	v_fmac_f32_e32 v111, v105, v179
	v_add_f32_e32 v110, v110, v111
	s_waitcnt vmcnt(35) lgkmcnt(0)
	v_mul_f32_e32 v111, v106, v180
	s_waitcnt vmcnt(34)
	v_fmac_f32_e32 v111, v107, v181
	v_add_f32_e32 v114, v110, v111
	ds_read2_b64 v[110:113], v4 offset0:57 offset1:58
	s_waitcnt vmcnt(33)
	v_mul_f32_e32 v115, v108, v182
	s_waitcnt vmcnt(32)
	v_fmac_f32_e32 v115, v109, v183
	v_add_f32_e32 v118, v114, v115
	ds_read2_b64 v[114:117], v4 offset0:59 offset1:60
	s_waitcnt vmcnt(31) lgkmcnt(1)
	v_mul_f32_e32 v119, v110, v184
	s_waitcnt vmcnt(30)
	v_fmac_f32_e32 v119, v111, v185
	v_add_f32_e32 v118, v118, v119
	s_waitcnt vmcnt(29)
	v_mul_f32_e32 v119, v112, v186
	s_waitcnt vmcnt(28)
	v_fmac_f32_e32 v119, v113, v187
	v_add_f32_e32 v118, v118, v119
	s_waitcnt vmcnt(27) lgkmcnt(0)
	v_mul_f32_e32 v119, v114, v188
	s_waitcnt vmcnt(26)
	v_fmac_f32_e32 v119, v115, v189
	v_add_f32_e32 v122, v118, v119
	ds_read2_b64 v[118:121], v4 offset0:61 offset1:62
	s_waitcnt vmcnt(24)
	v_mul_f32_e32 v123, v116, v191
	v_fmac_f32_e32 v123, v117, v190
	v_add_f32_e32 v126, v122, v123
	ds_read2_b64 v[122:125], v4 offset0:63 offset1:64
	s_waitcnt vmcnt(20) lgkmcnt(1)
	v_mul_f32_e32 v127, v118, v193
	v_fmac_f32_e32 v127, v119, v192
	v_add_f32_e32 v126, v126, v127
	s_waitcnt vmcnt(18)
	v_mul_f32_e32 v127, v120, v195
	v_fmac_f32_e32 v127, v121, v194
	v_add_f32_e32 v126, v126, v127
	s_waitcnt vmcnt(16) lgkmcnt(0)
	v_mul_f32_e32 v127, v122, v197
	v_fmac_f32_e32 v127, v123, v196
	v_add_f32_e32 v130, v126, v127
	ds_read2_b64 v[126:129], v4 offset0:65 offset1:66
	s_waitcnt vmcnt(14)
	v_mul_f32_e32 v131, v124, v199
	v_fmac_f32_e32 v131, v125, v198
	v_add_f32_e32 v134, v130, v131
	ds_read2_b64 v[130:133], v4 offset0:67 offset1:68
	s_waitcnt vmcnt(12) lgkmcnt(1)
	v_mul_f32_e32 v135, v126, v201
	v_fmac_f32_e32 v135, v127, v200
	v_add_f32_e32 v134, v134, v135
	s_waitcnt vmcnt(10)
	v_mul_f32_e32 v135, v128, v203
	v_fmac_f32_e32 v135, v129, v202
	v_add_f32_e32 v134, v134, v135
	s_waitcnt vmcnt(8) lgkmcnt(0)
	v_mul_f32_e32 v135, v130, v205
	v_fmac_f32_e32 v135, v131, v204
	s_waitcnt vmcnt(6)
	v_mul_f32_e32 v139, v132, v207
	v_add_f32_e32 v138, v134, v135
	v_fmac_f32_e32 v139, v133, v206
	ds_read2_b64 v[134:137], v4 offset0:69 offset1:70
	v_add_f32_e32 v143, v138, v139
	ds_read2_b64 v[138:141], v4 offset0:71 offset1:72
	buffer_load_dword v149, off, s[0:3], 0 offset:284
	buffer_load_dword v148, off, s[0:3], 0 offset:280
	;; [unrolled: 1-line block ×16, first 2 shown]
	v_mul_f32_e32 v5, v7, v5
	v_fma_f32 v5, v6, v169, -v5
	v_mul_f32_e32 v6, v9, v142
	v_add_f32_e32 v5, 0, v5
	v_fma_f32 v6, v8, v170, -v6
	v_add_f32_e32 v5, v5, v6
	v_mul_f32_e32 v6, v11, v144
	v_fma_f32 v6, v10, v171, -v6
	v_add_f32_e32 v5, v5, v6
	v_mul_f32_e32 v6, v13, v146
	;; [unrolled: 3-line block ×22, first 2 shown]
	v_fma_f32 v6, v132, v206, -v6
	s_waitcnt vmcnt(20) lgkmcnt(1)
	v_mul_f32_e32 v145, v134, v209
	v_add_f32_e32 v5, v5, v6
	v_mul_f32_e32 v6, v135, v209
	v_fmac_f32_e32 v145, v135, v208
	v_fma_f32 v6, v134, v208, -v6
	s_waitcnt vmcnt(9)
	v_mov_b32_e32 v102, v155
	v_add_f32_e32 v143, v143, v145
	v_mul_f32_e32 v145, v136, v211
	v_add_f32_e32 v142, v5, v6
	v_mul_f32_e32 v5, v137, v211
	s_waitcnt lgkmcnt(0)
	v_pk_mul_f32 v[102:103], v[140:141], v[102:103] op_sel_hi:[1,0]
	v_fmac_f32_e32 v145, v137, v210
	v_mul_f32_e32 v147, v138, v213
	v_fma_f32 v144, v136, v210, -v5
	v_mul_f32_e32 v5, v139, v213
	ds_read2_b64 v[6:9], v4 offset0:73 offset1:74
	ds_read2_b64 v[10:13], v4 offset0:75 offset1:76
	;; [unrolled: 1-line block ×3, first 2 shown]
	ds_read_b64 v[98:99], v4 offset:632
	s_waitcnt vmcnt(8)
	v_pk_fma_f32 v[104:105], v[140:141], v[154:155], v[102:103] op_sel:[0,0,1] op_sel_hi:[1,1,0] neg_lo:[0,0,1] neg_hi:[0,0,1]
	v_pk_fma_f32 v[102:103], v[140:141], v[154:155], v[102:103] op_sel:[0,0,1] op_sel_hi:[1,0,0]
	v_fmac_f32_e32 v147, v139, v212
	v_fma_f32 v146, v138, v212, -v5
	v_pk_add_f32 v[100:101], v[142:143], v[144:145]
	v_mov_b32_e32 v102, v153
	v_pk_add_f32 v[100:101], v[100:101], v[146:147]
	v_mov_b32_e32 v105, v103
	s_waitcnt lgkmcnt(3)
	v_pk_mul_f32 v[102:103], v[6:7], v[102:103] op_sel_hi:[1,0]
	v_pk_add_f32 v[100:101], v[100:101], v[104:105]
	v_pk_fma_f32 v[104:105], v[6:7], v[152:153], v[102:103] op_sel:[0,0,1] op_sel_hi:[1,1,0] neg_lo:[0,0,1] neg_hi:[0,0,1]
	v_pk_fma_f32 v[6:7], v[6:7], v[152:153], v[102:103] op_sel:[0,0,1] op_sel_hi:[1,0,0]
	v_mov_b32_e32 v105, v7
	v_pk_add_f32 v[6:7], v[100:101], v[104:105]
	v_mov_b32_e32 v100, v151
	v_pk_mul_f32 v[100:101], v[8:9], v[100:101] op_sel_hi:[1,0]
	v_pk_fma_f32 v[102:103], v[8:9], v[150:151], v[100:101] op_sel:[0,0,1] op_sel_hi:[1,1,0] neg_lo:[0,0,1] neg_hi:[0,0,1]
	v_pk_fma_f32 v[8:9], v[8:9], v[150:151], v[100:101] op_sel:[0,0,1] op_sel_hi:[1,0,0]
	v_mov_b32_e32 v8, v149
	v_mov_b32_e32 v103, v9
	s_waitcnt lgkmcnt(2)
	v_pk_mul_f32 v[8:9], v[10:11], v[8:9] op_sel_hi:[1,0]
	v_pk_fma_f32 v[100:101], v[10:11], v[148:149], v[8:9] op_sel:[0,0,1] op_sel_hi:[1,1,0] neg_lo:[0,0,1] neg_hi:[0,0,1]
	v_pk_fma_f32 v[8:9], v[10:11], v[148:149], v[8:9] op_sel:[0,0,1] op_sel_hi:[1,0,0]
	s_waitcnt vmcnt(1)
	v_mov_b32_e32 v8, v163
	v_mov_b32_e32 v101, v9
	v_pk_mul_f32 v[8:9], v[12:13], v[8:9] op_sel_hi:[1,0]
	s_waitcnt vmcnt(0)
	v_pk_fma_f32 v[10:11], v[12:13], v[162:163], v[8:9] op_sel:[0,0,1] op_sel_hi:[1,1,0] neg_lo:[0,0,1] neg_hi:[0,0,1]
	v_pk_fma_f32 v[8:9], v[12:13], v[162:163], v[8:9] op_sel:[0,0,1] op_sel_hi:[1,0,0]
	v_pk_add_f32 v[6:7], v[6:7], v[102:103]
	v_mov_b32_e32 v8, v161
	v_pk_add_f32 v[6:7], v[6:7], v[100:101]
	v_mov_b32_e32 v11, v9
	s_waitcnt lgkmcnt(1)
	v_pk_mul_f32 v[8:9], v[14:15], v[8:9] op_sel_hi:[1,0]
	v_pk_add_f32 v[6:7], v[6:7], v[10:11]
	v_pk_fma_f32 v[10:11], v[14:15], v[160:161], v[8:9] op_sel:[0,0,1] op_sel_hi:[1,1,0] neg_lo:[0,0,1] neg_hi:[0,0,1]
	v_pk_fma_f32 v[8:9], v[14:15], v[160:161], v[8:9] op_sel:[0,0,1] op_sel_hi:[1,0,0]
	v_mov_b32_e32 v8, v159
	v_mov_b32_e32 v11, v9
	v_pk_mul_f32 v[8:9], v[16:17], v[8:9] op_sel_hi:[1,0]
	v_pk_add_f32 v[6:7], v[6:7], v[10:11]
	v_pk_fma_f32 v[10:11], v[16:17], v[158:159], v[8:9] op_sel:[0,0,1] op_sel_hi:[1,1,0] neg_lo:[0,0,1] neg_hi:[0,0,1]
	v_pk_fma_f32 v[8:9], v[16:17], v[158:159], v[8:9] op_sel:[0,0,1] op_sel_hi:[1,0,0]
	v_mov_b32_e32 v8, v157
	v_mov_b32_e32 v11, v9
	s_waitcnt lgkmcnt(0)
	v_pk_mul_f32 v[8:9], v[98:99], v[8:9] op_sel_hi:[1,0]
	v_pk_add_f32 v[6:7], v[6:7], v[10:11]
	v_pk_fma_f32 v[10:11], v[98:99], v[156:157], v[8:9] op_sel:[0,0,1] op_sel_hi:[1,1,0] neg_lo:[0,0,1] neg_hi:[0,0,1]
	v_pk_fma_f32 v[8:9], v[98:99], v[156:157], v[8:9] op_sel:[0,0,1] op_sel_hi:[1,0,0]
	v_mov_b32_e32 v11, v9
	v_pk_add_f32 v[6:7], v[6:7], v[10:11]
	v_pk_add_f32 v[2:3], v[2:3], v[6:7] neg_lo:[0,1] neg_hi:[0,1]
	buffer_store_dword v3, off, s[0:3], 0 offset:36
	buffer_store_dword v2, off, s[0:3], 0 offset:32
	s_and_saveexec_b64 s[4:5], vcc
	s_cbranch_execz .LBB103_247
; %bb.246:
	buffer_load_dword v2, off, s[0:3], 0 offset:24
	buffer_load_dword v3, off, s[0:3], 0 offset:28
	s_waitcnt vmcnt(0)
	ds_write_b64 v1, v[2:3]
	buffer_store_dword v4, off, s[0:3], 0 offset:24
	buffer_store_dword v4, off, s[0:3], 0 offset:28
.LBB103_247:
	s_or_b64 exec, exec, s[4:5]
	s_waitcnt lgkmcnt(0)
	; wave barrier
	s_waitcnt lgkmcnt(0)
	buffer_load_dword v5, off, s[0:3], 0 offset:36
	buffer_load_dword v142, off, s[0:3], 0 offset:44
	;; [unrolled: 1-line block ×36, first 2 shown]
	ds_read_b128 v[6:9], v4 offset:352
	ds_read_b128 v[10:13], v4 offset:368
	buffer_load_dword v194, off, s[0:3], 0 offset:168
	buffer_load_dword v195, off, s[0:3], 0 offset:172
	;; [unrolled: 1-line block ×4, first 2 shown]
	ds_read_b128 v[14:17], v4 offset:384
	ds_read_b128 v[98:101], v4 offset:400
	buffer_load_dword v198, off, s[0:3], 0 offset:184
	buffer_load_dword v199, off, s[0:3], 0 offset:188
	ds_read_b128 v[102:105], v4 offset:416
	ds_read_b128 v[106:109], v4 offset:432
	buffer_load_dword v200, off, s[0:3], 0 offset:192
	buffer_load_dword v201, off, s[0:3], 0 offset:196
	;; [unrolled: 1-line block ×16, first 2 shown]
	v_cmp_lt_u32_e32 vcc, 2, v0
	s_waitcnt vmcnt(57) lgkmcnt(5)
	v_mul_f32_e32 v110, v6, v5
	s_waitcnt vmcnt(56)
	v_mul_f32_e32 v111, v8, v142
	s_waitcnt vmcnt(55) lgkmcnt(4)
	v_mul_f32_e32 v112, v10, v144
	s_waitcnt vmcnt(54)
	v_mul_f32_e32 v113, v12, v152
	s_waitcnt vmcnt(53) lgkmcnt(3)
	v_mul_f32_e32 v114, v14, v164
	s_waitcnt vmcnt(52)
	v_mul_f32_e32 v115, v16, v165
	s_waitcnt vmcnt(51) lgkmcnt(2)
	v_mul_f32_e32 v116, v98, v166
	s_waitcnt vmcnt(50)
	v_mul_f32_e32 v117, v100, v167
	s_waitcnt vmcnt(49)
	v_fmac_f32_e32 v110, v7, v168
	s_waitcnt vmcnt(48)
	v_fmac_f32_e32 v111, v9, v169
	v_add_f32_e32 v110, 0, v110
	s_waitcnt vmcnt(47)
	v_fmac_f32_e32 v112, v11, v170
	v_add_f32_e32 v110, v110, v111
	s_waitcnt vmcnt(46)
	v_fmac_f32_e32 v113, v13, v171
	v_add_f32_e32 v110, v110, v112
	s_waitcnt vmcnt(45)
	v_fmac_f32_e32 v114, v15, v172
	v_add_f32_e32 v110, v110, v113
	s_waitcnt vmcnt(44)
	v_fmac_f32_e32 v115, v17, v173
	v_add_f32_e32 v110, v110, v114
	s_waitcnt vmcnt(43)
	v_fmac_f32_e32 v116, v99, v174
	v_add_f32_e32 v110, v110, v115
	s_waitcnt vmcnt(42)
	v_fmac_f32_e32 v117, v101, v175
	v_add_f32_e32 v110, v110, v116
	s_waitcnt vmcnt(41) lgkmcnt(1)
	v_mul_f32_e32 v111, v102, v176
	v_add_f32_e32 v110, v110, v117
	s_waitcnt vmcnt(40)
	v_fmac_f32_e32 v111, v103, v177
	v_add_f32_e32 v110, v110, v111
	s_waitcnt vmcnt(39)
	v_mul_f32_e32 v111, v104, v178
	s_waitcnt vmcnt(38)
	v_fmac_f32_e32 v111, v105, v179
	v_add_f32_e32 v110, v110, v111
	s_waitcnt vmcnt(37) lgkmcnt(0)
	v_mul_f32_e32 v111, v106, v180
	s_waitcnt vmcnt(36)
	v_fmac_f32_e32 v111, v107, v181
	v_add_f32_e32 v114, v110, v111
	ds_read_b128 v[110:113], v4 offset:448
	s_waitcnt vmcnt(35)
	v_mul_f32_e32 v115, v108, v182
	s_waitcnt vmcnt(34)
	v_fmac_f32_e32 v115, v109, v183
	v_add_f32_e32 v118, v114, v115
	ds_read_b128 v[114:117], v4 offset:464
	s_waitcnt vmcnt(33) lgkmcnt(1)
	v_mul_f32_e32 v119, v110, v184
	s_waitcnt vmcnt(32)
	v_fmac_f32_e32 v119, v111, v185
	v_add_f32_e32 v118, v118, v119
	s_waitcnt vmcnt(31)
	v_mul_f32_e32 v119, v112, v186
	s_waitcnt vmcnt(30)
	v_fmac_f32_e32 v119, v113, v187
	v_add_f32_e32 v118, v118, v119
	s_waitcnt vmcnt(29) lgkmcnt(0)
	v_mul_f32_e32 v119, v114, v188
	s_waitcnt vmcnt(28)
	v_fmac_f32_e32 v119, v115, v189
	v_add_f32_e32 v122, v118, v119
	ds_read_b128 v[118:121], v4 offset:480
	s_waitcnt vmcnt(25)
	v_mul_f32_e32 v123, v116, v190
	s_waitcnt vmcnt(24)
	v_fmac_f32_e32 v123, v117, v191
	v_add_f32_e32 v126, v122, v123
	ds_read_b128 v[122:125], v4 offset:496
	s_waitcnt vmcnt(22) lgkmcnt(1)
	v_mul_f32_e32 v127, v118, v193
	v_fmac_f32_e32 v127, v119, v192
	v_add_f32_e32 v126, v126, v127
	s_waitcnt vmcnt(20)
	v_mul_f32_e32 v127, v120, v195
	v_fmac_f32_e32 v127, v121, v194
	v_add_f32_e32 v126, v126, v127
	s_waitcnt vmcnt(18) lgkmcnt(0)
	v_mul_f32_e32 v127, v122, v197
	v_fmac_f32_e32 v127, v123, v196
	v_add_f32_e32 v130, v126, v127
	ds_read_b128 v[126:129], v4 offset:512
	s_waitcnt vmcnt(16)
	v_mul_f32_e32 v131, v124, v199
	v_fmac_f32_e32 v131, v125, v198
	v_add_f32_e32 v134, v130, v131
	ds_read_b128 v[130:133], v4 offset:528
	s_waitcnt vmcnt(14) lgkmcnt(1)
	v_mul_f32_e32 v135, v126, v201
	v_fmac_f32_e32 v135, v127, v200
	v_add_f32_e32 v134, v134, v135
	s_waitcnt vmcnt(12)
	v_mul_f32_e32 v135, v128, v203
	v_fmac_f32_e32 v135, v129, v202
	v_add_f32_e32 v134, v134, v135
	s_waitcnt vmcnt(10) lgkmcnt(0)
	v_mul_f32_e32 v135, v130, v205
	v_fmac_f32_e32 v135, v131, v204
	s_waitcnt vmcnt(8)
	v_mul_f32_e32 v139, v132, v207
	v_add_f32_e32 v138, v134, v135
	v_fmac_f32_e32 v139, v133, v206
	ds_read_b128 v[134:137], v4 offset:544
	v_add_f32_e32 v143, v138, v139
	ds_read_b128 v[138:141], v4 offset:560
	buffer_load_dword v147, off, s[0:3], 0 offset:276
	buffer_load_dword v146, off, s[0:3], 0 offset:272
	;; [unrolled: 1-line block ×16, first 2 shown]
	v_mul_f32_e32 v5, v7, v5
	v_fma_f32 v5, v6, v168, -v5
	v_mul_f32_e32 v6, v9, v142
	v_add_f32_e32 v5, 0, v5
	v_fma_f32 v6, v8, v169, -v6
	v_add_f32_e32 v5, v5, v6
	v_mul_f32_e32 v6, v11, v144
	v_fma_f32 v6, v10, v170, -v6
	v_add_f32_e32 v5, v5, v6
	v_mul_f32_e32 v6, v13, v152
	;; [unrolled: 3-line block ×22, first 2 shown]
	v_fma_f32 v6, v132, v206, -v6
	v_add_f32_e32 v5, v5, v6
	s_waitcnt vmcnt(22) lgkmcnt(1)
	v_mul_f32_e32 v6, v135, v209
	v_fma_f32 v6, v134, v208, -v6
	v_add_f32_e32 v5, v5, v6
	s_waitcnt vmcnt(20)
	v_mul_f32_e32 v6, v137, v211
	v_fma_f32 v6, v136, v210, -v6
	v_add_f32_e32 v142, v5, v6
	ds_read_b128 v[6:9], v4 offset:576
	ds_read_b128 v[10:13], v4 offset:592
	;; [unrolled: 1-line block ×4, first 2 shown]
	s_waitcnt vmcnt(11)
	v_mov_b32_e32 v102, v151
	v_mul_f32_e32 v145, v134, v209
	s_waitcnt lgkmcnt(3)
	v_pk_mul_f32 v[102:103], v[6:7], v[102:103] op_sel_hi:[1,0]
	v_fmac_f32_e32 v145, v135, v208
	s_waitcnt vmcnt(10)
	v_pk_fma_f32 v[104:105], v[6:7], v[150:151], v[102:103] op_sel:[0,0,1] op_sel_hi:[1,1,0] neg_lo:[0,0,1] neg_hi:[0,0,1]
	v_pk_fma_f32 v[6:7], v[6:7], v[150:151], v[102:103] op_sel:[0,0,1] op_sel_hi:[1,0,0]
	v_add_f32_e32 v143, v143, v145
	v_mul_f32_e32 v145, v136, v211
	v_mov_b32_e32 v6, v149
	v_fmac_f32_e32 v145, v137, v210
	v_mov_b32_e32 v105, v7
	v_pk_mul_f32 v[6:7], v[8:9], v[6:7] op_sel_hi:[1,0]
	v_add_f32_e32 v143, v143, v145
	v_mul_f32_e32 v145, v138, v213
	v_mul_f32_e32 v5, v139, v213
	v_pk_fma_f32 v[102:103], v[8:9], v[148:149], v[6:7] op_sel:[0,0,1] op_sel_hi:[1,1,0] neg_lo:[0,0,1] neg_hi:[0,0,1]
	v_pk_fma_f32 v[6:7], v[8:9], v[148:149], v[6:7] op_sel:[0,0,1] op_sel_hi:[1,0,0]
	v_fmac_f32_e32 v145, v139, v212
	v_mul_f32_e32 v153, v140, v215
	v_fma_f32 v144, v138, v212, -v5
	v_mul_f32_e32 v5, v141, v215
	v_mov_b32_e32 v6, v147
	v_fmac_f32_e32 v153, v141, v214
	v_fma_f32 v152, v140, v214, -v5
	v_pk_add_f32 v[4:5], v[142:143], v[144:145]
	v_mov_b32_e32 v103, v7
	s_waitcnt lgkmcnt(2)
	v_pk_mul_f32 v[6:7], v[10:11], v[6:7] op_sel_hi:[1,0]
	v_pk_add_f32 v[4:5], v[4:5], v[152:153]
	v_pk_fma_f32 v[8:9], v[10:11], v[146:147], v[6:7] op_sel:[0,0,1] op_sel_hi:[1,1,0] neg_lo:[0,0,1] neg_hi:[0,0,1]
	v_pk_fma_f32 v[6:7], v[10:11], v[146:147], v[6:7] op_sel:[0,0,1] op_sel_hi:[1,0,0]
	v_pk_add_f32 v[4:5], v[4:5], v[104:105]
	s_waitcnt vmcnt(3)
	v_mov_b32_e32 v6, v161
	v_pk_add_f32 v[4:5], v[4:5], v[102:103]
	v_mov_b32_e32 v9, v7
	v_pk_mul_f32 v[6:7], v[12:13], v[6:7] op_sel_hi:[1,0]
	v_pk_add_f32 v[4:5], v[4:5], v[8:9]
	s_waitcnt vmcnt(2)
	v_pk_fma_f32 v[8:9], v[12:13], v[160:161], v[6:7] op_sel:[0,0,1] op_sel_hi:[1,1,0] neg_lo:[0,0,1] neg_hi:[0,0,1]
	v_pk_fma_f32 v[6:7], v[12:13], v[160:161], v[6:7] op_sel:[0,0,1] op_sel_hi:[1,0,0]
	v_mov_b32_e32 v6, v159
	v_mov_b32_e32 v9, v7
	s_waitcnt lgkmcnt(1)
	v_pk_mul_f32 v[6:7], v[14:15], v[6:7] op_sel_hi:[1,0]
	v_pk_add_f32 v[4:5], v[4:5], v[8:9]
	v_pk_fma_f32 v[8:9], v[14:15], v[158:159], v[6:7] op_sel:[0,0,1] op_sel_hi:[1,1,0] neg_lo:[0,0,1] neg_hi:[0,0,1]
	v_pk_fma_f32 v[6:7], v[14:15], v[158:159], v[6:7] op_sel:[0,0,1] op_sel_hi:[1,0,0]
	v_mov_b32_e32 v6, v157
	v_mov_b32_e32 v9, v7
	v_pk_mul_f32 v[6:7], v[16:17], v[6:7] op_sel_hi:[1,0]
	v_pk_add_f32 v[4:5], v[4:5], v[8:9]
	v_pk_fma_f32 v[8:9], v[16:17], v[156:157], v[6:7] op_sel:[0,0,1] op_sel_hi:[1,1,0] neg_lo:[0,0,1] neg_hi:[0,0,1]
	v_pk_fma_f32 v[6:7], v[16:17], v[156:157], v[6:7] op_sel:[0,0,1] op_sel_hi:[1,0,0]
	v_mov_b32_e32 v6, v155
	v_mov_b32_e32 v9, v7
	s_waitcnt lgkmcnt(0)
	v_pk_mul_f32 v[6:7], v[98:99], v[6:7] op_sel_hi:[1,0]
	v_pk_add_f32 v[4:5], v[4:5], v[8:9]
	v_pk_fma_f32 v[8:9], v[98:99], v[154:155], v[6:7] op_sel:[0,0,1] op_sel_hi:[1,1,0] neg_lo:[0,0,1] neg_hi:[0,0,1]
	v_pk_fma_f32 v[6:7], v[98:99], v[154:155], v[6:7] op_sel:[0,0,1] op_sel_hi:[1,0,0]
	s_waitcnt vmcnt(1)
	v_mov_b32_e32 v6, v163
	v_mov_b32_e32 v9, v7
	v_pk_mul_f32 v[6:7], v[100:101], v[6:7] op_sel_hi:[1,0]
	v_pk_add_f32 v[4:5], v[4:5], v[8:9]
	s_waitcnt vmcnt(0)
	v_pk_fma_f32 v[8:9], v[100:101], v[162:163], v[6:7] op_sel:[0,0,1] op_sel_hi:[1,1,0] neg_lo:[0,0,1] neg_hi:[0,0,1]
	v_pk_fma_f32 v[6:7], v[100:101], v[162:163], v[6:7] op_sel:[0,0,1] op_sel_hi:[1,0,0]
	v_mov_b32_e32 v9, v7
	v_pk_add_f32 v[4:5], v[4:5], v[8:9]
	v_pk_add_f32 v[2:3], v[2:3], v[4:5] neg_lo:[0,1] neg_hi:[0,1]
	buffer_store_dword v3, off, s[0:3], 0 offset:28
	buffer_store_dword v2, off, s[0:3], 0 offset:24
	s_and_saveexec_b64 s[4:5], vcc
	s_cbranch_execz .LBB103_249
; %bb.248:
	buffer_load_dword v2, off, s[0:3], 0 offset:16
	buffer_load_dword v3, off, s[0:3], 0 offset:20
	v_mov_b32_e32 v4, 0
	buffer_store_dword v4, off, s[0:3], 0 offset:16
	buffer_store_dword v4, off, s[0:3], 0 offset:20
	s_waitcnt vmcnt(2)
	ds_write_b64 v1, v[2:3]
.LBB103_249:
	s_or_b64 exec, exec, s[4:5]
	s_waitcnt lgkmcnt(0)
	; wave barrier
	s_waitcnt lgkmcnt(0)
	buffer_load_dword v17, off, s[0:3], 0 offset:28
	buffer_load_dword v150, off, s[0:3], 0 offset:36
	;; [unrolled: 1-line block ×56, first 2 shown]
	v_mov_b32_e32 v16, 0
	ds_read2_b64 v[2:5], v16 offset0:43 offset1:44
	buffer_load_dword v222, off, s[0:3], 0 offset:240
	buffer_load_dword v223, off, s[0:3], 0 offset:244
	;; [unrolled: 1-line block ×4, first 2 shown]
	ds_read2_b64 v[8:11], v16 offset0:45 offset1:46
	ds_read2_b64 v[12:15], v16 offset0:47 offset1:48
	;; [unrolled: 1-line block ×3, first 2 shown]
	v_cmp_lt_u32_e32 vcc, 1, v0
	s_waitcnt vmcnt(59) lgkmcnt(3)
	v_mul_f32_e32 v102, v2, v17
	s_waitcnt vmcnt(58)
	v_mul_f32_e32 v103, v4, v150
	s_waitcnt vmcnt(57) lgkmcnt(2)
	v_mul_f32_e32 v104, v8, v156
	s_waitcnt vmcnt(56)
	v_mul_f32_e32 v105, v10, v158
	;; [unrolled: 4-line block ×3, first 2 shown]
	s_waitcnt vmcnt(53) lgkmcnt(0)
	v_mul_f32_e32 v108, v98, v174
	s_waitcnt vmcnt(52)
	v_fmac_f32_e32 v102, v3, v175
	s_waitcnt vmcnt(51)
	v_fmac_f32_e32 v103, v5, v176
	v_add_f32_e32 v102, 0, v102
	s_waitcnt vmcnt(50)
	v_fmac_f32_e32 v104, v9, v177
	v_add_f32_e32 v102, v102, v103
	;; [unrolled: 3-line block ×6, first 2 shown]
	v_add_f32_e32 v106, v102, v108
	ds_read2_b64 v[102:105], v16 offset0:51 offset1:52
	s_waitcnt vmcnt(45)
	v_mul_f32_e32 v107, v100, v182
	s_waitcnt vmcnt(44)
	v_fmac_f32_e32 v107, v101, v183
	v_add_f32_e32 v110, v106, v107
	ds_read2_b64 v[106:109], v16 offset0:53 offset1:54
	s_waitcnt vmcnt(43) lgkmcnt(1)
	v_mul_f32_e32 v111, v102, v184
	s_waitcnt vmcnt(42)
	v_fmac_f32_e32 v111, v103, v185
	v_add_f32_e32 v110, v110, v111
	s_waitcnt vmcnt(41)
	v_mul_f32_e32 v111, v104, v186
	s_waitcnt vmcnt(40)
	v_fmac_f32_e32 v111, v105, v187
	v_add_f32_e32 v110, v110, v111
	s_waitcnt vmcnt(39) lgkmcnt(0)
	v_mul_f32_e32 v111, v106, v188
	s_waitcnt vmcnt(38)
	v_fmac_f32_e32 v111, v107, v189
	v_add_f32_e32 v114, v110, v111
	ds_read2_b64 v[110:113], v16 offset0:55 offset1:56
	s_waitcnt vmcnt(37)
	v_mul_f32_e32 v115, v108, v190
	s_waitcnt vmcnt(36)
	v_fmac_f32_e32 v115, v109, v191
	v_add_f32_e32 v118, v114, v115
	ds_read2_b64 v[114:117], v16 offset0:57 offset1:58
	s_waitcnt vmcnt(34) lgkmcnt(1)
	v_mul_f32_e32 v119, v110, v193
	v_fmac_f32_e32 v119, v111, v192
	v_add_f32_e32 v118, v118, v119
	s_waitcnt vmcnt(31)
	v_mul_f32_e32 v119, v112, v194
	s_waitcnt vmcnt(30)
	v_fmac_f32_e32 v119, v113, v195
	v_add_f32_e32 v118, v118, v119
	s_waitcnt vmcnt(28) lgkmcnt(0)
	v_mul_f32_e32 v119, v114, v197
	v_fmac_f32_e32 v119, v115, v196
	v_add_f32_e32 v122, v118, v119
	ds_read2_b64 v[118:121], v16 offset0:59 offset1:60
	s_waitcnt vmcnt(26)
	v_mul_f32_e32 v123, v116, v199
	v_fmac_f32_e32 v123, v117, v198
	v_add_f32_e32 v126, v122, v123
	ds_read2_b64 v[122:125], v16 offset0:61 offset1:62
	s_waitcnt vmcnt(24) lgkmcnt(1)
	v_mul_f32_e32 v127, v118, v201
	v_fmac_f32_e32 v127, v119, v200
	v_add_f32_e32 v126, v126, v127
	s_waitcnt vmcnt(22)
	v_mul_f32_e32 v127, v120, v203
	v_fmac_f32_e32 v127, v121, v202
	v_add_f32_e32 v126, v126, v127
	s_waitcnt vmcnt(20) lgkmcnt(0)
	v_mul_f32_e32 v127, v122, v205
	v_fmac_f32_e32 v127, v123, v204
	v_add_f32_e32 v130, v126, v127
	ds_read2_b64 v[126:129], v16 offset0:63 offset1:64
	s_waitcnt vmcnt(18)
	v_mul_f32_e32 v131, v124, v207
	v_fmac_f32_e32 v131, v125, v206
	v_add_f32_e32 v134, v130, v131
	ds_read2_b64 v[130:133], v16 offset0:65 offset1:66
	s_waitcnt vmcnt(16) lgkmcnt(1)
	v_mul_f32_e32 v135, v126, v209
	v_fmac_f32_e32 v135, v127, v208
	v_add_f32_e32 v134, v134, v135
	s_waitcnt vmcnt(14)
	v_mul_f32_e32 v135, v128, v211
	;; [unrolled: 18-line block ×3, first 2 shown]
	v_fmac_f32_e32 v143, v137, v218
	v_add_f32_e32 v142, v142, v143
	s_waitcnt vmcnt(4) lgkmcnt(0)
	v_mul_f32_e32 v143, v138, v221
	v_fmac_f32_e32 v143, v139, v220
	v_add_f32_e32 v151, v142, v143
	ds_read2_b64 v[142:145], v16 offset0:71 offset1:72
	buffer_load_dword v153, off, s[0:3], 0 offset:268
	buffer_load_dword v152, off, s[0:3], 0 offset:264
	;; [unrolled: 1-line block ×4, first 2 shown]
	ds_read2_b64 v[146:149], v16 offset0:73 offset1:74
	buffer_load_dword v161, off, s[0:3], 0 offset:300
	buffer_load_dword v160, off, s[0:3], 0 offset:296
	;; [unrolled: 1-line block ×12, first 2 shown]
	v_mul_f32_e32 v3, v3, v17
	v_fma_f32 v2, v2, v175, -v3
	v_mul_f32_e32 v3, v5, v150
	v_add_f32_e32 v2, 0, v2
	v_fma_f32 v3, v4, v176, -v3
	v_add_f32_e32 v2, v2, v3
	v_mul_f32_e32 v3, v9, v156
	v_fma_f32 v3, v8, v177, -v3
	v_add_f32_e32 v2, v2, v3
	v_mul_f32_e32 v3, v11, v158
	;; [unrolled: 3-line block ×25, first 2 shown]
	v_fma_f32 v3, v138, v220, -v3
	s_waitcnt vmcnt(13)
	v_mov_b32_e32 v98, v155
	v_mul_f32_e32 v157, v140, v223
	v_add_f32_e32 v150, v2, v3
	v_mul_f32_e32 v2, v141, v223
	s_waitcnt lgkmcnt(1)
	v_pk_mul_f32 v[98:99], v[144:145], v[98:99] op_sel_hi:[1,0]
	v_fmac_f32_e32 v157, v141, v222
	v_mul_f32_e32 v159, v142, v225
	v_fma_f32 v156, v140, v222, -v2
	v_mul_f32_e32 v2, v143, v225
	s_waitcnt vmcnt(12)
	v_pk_fma_f32 v[100:101], v[144:145], v[154:155], v[98:99] op_sel:[0,0,1] op_sel_hi:[1,1,0] neg_lo:[0,0,1] neg_hi:[0,0,1]
	v_pk_fma_f32 v[98:99], v[144:145], v[154:155], v[98:99] op_sel:[0,0,1] op_sel_hi:[1,0,0]
	v_fmac_f32_e32 v159, v143, v224
	v_fma_f32 v158, v142, v224, -v2
	v_pk_add_f32 v[14:15], v[150:151], v[156:157]
	v_mov_b32_e32 v98, v153
	v_pk_add_f32 v[14:15], v[14:15], v[158:159]
	v_mov_b32_e32 v101, v99
	s_waitcnt lgkmcnt(0)
	v_pk_mul_f32 v[98:99], v[146:147], v[98:99] op_sel_hi:[1,0]
	v_pk_add_f32 v[14:15], v[14:15], v[100:101]
	v_pk_fma_f32 v[100:101], v[146:147], v[152:153], v[98:99] op_sel:[0,0,1] op_sel_hi:[1,1,0] neg_lo:[0,0,1] neg_hi:[0,0,1]
	v_pk_fma_f32 v[98:99], v[146:147], v[152:153], v[98:99] op_sel:[0,0,1] op_sel_hi:[1,0,0]
	s_waitcnt vmcnt(5)
	v_mov_b32_e32 v98, v167
	ds_read2_b64 v[2:5], v16 offset0:75 offset1:76
	ds_read2_b64 v[8:11], v16 offset0:77 offset1:78
	ds_read_b64 v[12:13], v16 offset:632
	v_mov_b32_e32 v101, v99
	v_pk_mul_f32 v[98:99], v[148:149], v[98:99] op_sel_hi:[1,0]
	v_pk_add_f32 v[14:15], v[14:15], v[100:101]
	s_waitcnt vmcnt(4)
	v_pk_fma_f32 v[100:101], v[148:149], v[166:167], v[98:99] op_sel:[0,0,1] op_sel_hi:[1,1,0] neg_lo:[0,0,1] neg_hi:[0,0,1]
	v_pk_fma_f32 v[98:99], v[148:149], v[166:167], v[98:99] op_sel:[0,0,1] op_sel_hi:[1,0,0]
	v_mov_b32_e32 v98, v165
	v_mov_b32_e32 v101, v99
	s_waitcnt lgkmcnt(2)
	v_pk_mul_f32 v[98:99], v[2:3], v[98:99] op_sel_hi:[1,0]
	v_pk_add_f32 v[14:15], v[14:15], v[100:101]
	v_pk_fma_f32 v[100:101], v[2:3], v[164:165], v[98:99] op_sel:[0,0,1] op_sel_hi:[1,1,0] neg_lo:[0,0,1] neg_hi:[0,0,1]
	v_pk_fma_f32 v[2:3], v[2:3], v[164:165], v[98:99] op_sel:[0,0,1] op_sel_hi:[1,0,0]
	v_mov_b32_e32 v101, v3
	v_pk_add_f32 v[2:3], v[14:15], v[100:101]
	v_mov_b32_e32 v14, v163
	v_pk_mul_f32 v[14:15], v[4:5], v[14:15] op_sel_hi:[1,0]
	v_pk_fma_f32 v[98:99], v[4:5], v[162:163], v[14:15] op_sel:[0,0,1] op_sel_hi:[1,1,0] neg_lo:[0,0,1] neg_hi:[0,0,1]
	v_pk_fma_f32 v[4:5], v[4:5], v[162:163], v[14:15] op_sel:[0,0,1] op_sel_hi:[1,0,0]
	v_mov_b32_e32 v4, v161
	v_mov_b32_e32 v99, v5
	s_waitcnt lgkmcnt(1)
	v_pk_mul_f32 v[4:5], v[8:9], v[4:5] op_sel_hi:[1,0]
	v_pk_fma_f32 v[14:15], v[8:9], v[160:161], v[4:5] op_sel:[0,0,1] op_sel_hi:[1,1,0] neg_lo:[0,0,1] neg_hi:[0,0,1]
	v_pk_fma_f32 v[4:5], v[8:9], v[160:161], v[4:5] op_sel:[0,0,1] op_sel_hi:[1,0,0]
	s_waitcnt vmcnt(1)
	v_mov_b32_e32 v4, v171
	v_mov_b32_e32 v15, v5
	v_pk_mul_f32 v[4:5], v[10:11], v[4:5] op_sel_hi:[1,0]
	s_waitcnt vmcnt(0)
	v_pk_fma_f32 v[8:9], v[10:11], v[170:171], v[4:5] op_sel:[0,0,1] op_sel_hi:[1,1,0] neg_lo:[0,0,1] neg_hi:[0,0,1]
	v_pk_fma_f32 v[4:5], v[10:11], v[170:171], v[4:5] op_sel:[0,0,1] op_sel_hi:[1,0,0]
	v_pk_add_f32 v[2:3], v[2:3], v[98:99]
	v_mov_b32_e32 v4, v169
	v_pk_add_f32 v[2:3], v[2:3], v[14:15]
	v_mov_b32_e32 v9, v5
	s_waitcnt lgkmcnt(0)
	v_pk_mul_f32 v[4:5], v[12:13], v[4:5] op_sel_hi:[1,0]
	v_pk_add_f32 v[2:3], v[2:3], v[8:9]
	v_pk_fma_f32 v[8:9], v[12:13], v[168:169], v[4:5] op_sel:[0,0,1] op_sel_hi:[1,1,0] neg_lo:[0,0,1] neg_hi:[0,0,1]
	v_pk_fma_f32 v[4:5], v[12:13], v[168:169], v[4:5] op_sel:[0,0,1] op_sel_hi:[1,0,0]
	v_mov_b32_e32 v9, v5
	v_pk_add_f32 v[2:3], v[2:3], v[8:9]
	v_pk_add_f32 v[2:3], v[6:7], v[2:3] neg_lo:[0,1] neg_hi:[0,1]
	buffer_store_dword v3, off, s[0:3], 0 offset:20
	buffer_store_dword v2, off, s[0:3], 0 offset:16
	s_and_saveexec_b64 s[4:5], vcc
	s_cbranch_execz .LBB103_251
; %bb.250:
	buffer_load_dword v2, off, s[0:3], 0 offset:8
	buffer_load_dword v3, off, s[0:3], 0 offset:12
	s_waitcnt vmcnt(0)
	ds_write_b64 v1, v[2:3]
	buffer_store_dword v16, off, s[0:3], 0 offset:8
	buffer_store_dword v16, off, s[0:3], 0 offset:12
.LBB103_251:
	s_or_b64 exec, exec, s[4:5]
	s_waitcnt lgkmcnt(0)
	; wave barrier
	s_waitcnt lgkmcnt(0)
	buffer_load_dword v17, off, s[0:3], 0 offset:20
	buffer_load_dword v152, off, s[0:3], 0 offset:28
	;; [unrolled: 1-line block ×32, first 2 shown]
	ds_read_b128 v[98:101], v16 offset:336
	ds_read_b128 v[6:9], v16 offset:352
	buffer_load_dword v198, off, s[0:3], 0 offset:136
	buffer_load_dword v199, off, s[0:3], 0 offset:140
	ds_read_b128 v[10:13], v16 offset:368
	ds_read_b128 v[2:5], v16 offset:384
	buffer_load_dword v200, off, s[0:3], 0 offset:144
	buffer_load_dword v201, off, s[0:3], 0 offset:148
	;; [unrolled: 1-line block ×28, first 2 shown]
	v_cmp_ne_u32_e32 vcc, 0, v0
	s_waitcnt vmcnt(61) lgkmcnt(3)
	v_mul_f32_e32 v102, v98, v17
	s_waitcnt vmcnt(60)
	v_mul_f32_e32 v103, v100, v152
	s_waitcnt vmcnt(59) lgkmcnt(2)
	v_mul_f32_e32 v104, v6, v154
	s_waitcnt vmcnt(58)
	v_mul_f32_e32 v105, v8, v156
	;; [unrolled: 4-line block ×3, first 2 shown]
	s_waitcnt vmcnt(55) lgkmcnt(0)
	v_mul_f32_e32 v108, v2, v174
	s_waitcnt vmcnt(54)
	v_fmac_f32_e32 v102, v99, v175
	s_waitcnt vmcnt(53)
	v_fmac_f32_e32 v103, v101, v176
	v_add_f32_e32 v102, 0, v102
	s_waitcnt vmcnt(52)
	v_fmac_f32_e32 v104, v7, v177
	v_add_f32_e32 v102, v102, v103
	;; [unrolled: 3-line block ×6, first 2 shown]
	v_add_f32_e32 v106, v102, v108
	ds_read_b128 v[102:105], v16 offset:400
	s_waitcnt vmcnt(47)
	v_mul_f32_e32 v107, v4, v182
	s_waitcnt vmcnt(46)
	v_fmac_f32_e32 v107, v5, v183
	v_add_f32_e32 v110, v106, v107
	ds_read_b128 v[106:109], v16 offset:416
	s_waitcnt vmcnt(45) lgkmcnt(1)
	v_mul_f32_e32 v111, v102, v184
	s_waitcnt vmcnt(44)
	v_fmac_f32_e32 v111, v103, v185
	v_add_f32_e32 v110, v110, v111
	s_waitcnt vmcnt(43)
	v_mul_f32_e32 v111, v104, v186
	s_waitcnt vmcnt(42)
	v_fmac_f32_e32 v111, v105, v187
	v_add_f32_e32 v110, v110, v111
	s_waitcnt vmcnt(41) lgkmcnt(0)
	v_mul_f32_e32 v111, v106, v188
	s_waitcnt vmcnt(40)
	v_fmac_f32_e32 v111, v107, v189
	v_add_f32_e32 v114, v110, v111
	ds_read_b128 v[110:113], v16 offset:432
	s_waitcnt vmcnt(39)
	v_mul_f32_e32 v115, v108, v190
	s_waitcnt vmcnt(38)
	v_fmac_f32_e32 v115, v109, v191
	v_add_f32_e32 v118, v114, v115
	ds_read_b128 v[114:117], v16 offset:448
	s_waitcnt vmcnt(35) lgkmcnt(1)
	v_mul_f32_e32 v119, v110, v192
	s_waitcnt vmcnt(34)
	v_fmac_f32_e32 v119, v111, v193
	v_add_f32_e32 v118, v118, v119
	s_waitcnt vmcnt(32)
	v_mul_f32_e32 v119, v112, v195
	v_fmac_f32_e32 v119, v113, v194
	v_add_f32_e32 v118, v118, v119
	s_waitcnt vmcnt(30) lgkmcnt(0)
	v_mul_f32_e32 v119, v114, v197
	v_fmac_f32_e32 v119, v115, v196
	v_add_f32_e32 v122, v118, v119
	ds_read_b128 v[118:121], v16 offset:464
	s_waitcnt vmcnt(28)
	v_mul_f32_e32 v123, v116, v199
	v_fmac_f32_e32 v123, v117, v198
	v_add_f32_e32 v126, v122, v123
	ds_read_b128 v[122:125], v16 offset:480
	s_waitcnt vmcnt(26) lgkmcnt(1)
	v_mul_f32_e32 v127, v118, v201
	v_fmac_f32_e32 v127, v119, v200
	v_add_f32_e32 v126, v126, v127
	s_waitcnt vmcnt(24)
	v_mul_f32_e32 v127, v120, v203
	v_fmac_f32_e32 v127, v121, v202
	v_add_f32_e32 v126, v126, v127
	s_waitcnt vmcnt(22) lgkmcnt(0)
	v_mul_f32_e32 v127, v122, v205
	v_fmac_f32_e32 v127, v123, v204
	v_add_f32_e32 v130, v126, v127
	ds_read_b128 v[126:129], v16 offset:496
	s_waitcnt vmcnt(20)
	v_mul_f32_e32 v131, v124, v207
	v_fmac_f32_e32 v131, v125, v206
	v_add_f32_e32 v134, v130, v131
	ds_read_b128 v[130:133], v16 offset:512
	s_waitcnt vmcnt(18) lgkmcnt(1)
	v_mul_f32_e32 v135, v126, v209
	v_fmac_f32_e32 v135, v127, v208
	v_add_f32_e32 v134, v134, v135
	s_waitcnt vmcnt(16)
	v_mul_f32_e32 v135, v128, v211
	v_fmac_f32_e32 v135, v129, v210
	v_add_f32_e32 v134, v134, v135
	s_waitcnt vmcnt(14) lgkmcnt(0)
	v_mul_f32_e32 v135, v130, v213
	v_fmac_f32_e32 v135, v131, v212
	v_add_f32_e32 v138, v134, v135
	ds_read_b128 v[134:137], v16 offset:528
	s_waitcnt vmcnt(12)
	v_mul_f32_e32 v139, v132, v215
	v_fmac_f32_e32 v139, v133, v214
	v_add_f32_e32 v142, v138, v139
	ds_read_b128 v[138:141], v16 offset:544
	buffer_load_dword v151, off, s[0:3], 0 offset:260
	buffer_load_dword v150, off, s[0:3], 0 offset:256
	s_waitcnt vmcnt(12) lgkmcnt(1)
	v_mul_f32_e32 v143, v134, v217
	v_fmac_f32_e32 v143, v135, v216
	v_add_f32_e32 v142, v142, v143
	s_waitcnt vmcnt(10)
	v_mul_f32_e32 v143, v136, v219
	v_fmac_f32_e32 v143, v137, v218
	v_add_f32_e32 v142, v142, v143
	s_waitcnt vmcnt(8) lgkmcnt(0)
	v_mul_f32_e32 v143, v138, v221
	v_fmac_f32_e32 v143, v139, v220
	s_waitcnt vmcnt(6)
	v_mul_f32_e32 v147, v140, v223
	v_add_f32_e32 v146, v142, v143
	v_fmac_f32_e32 v147, v141, v222
	ds_read_b128 v[142:145], v16 offset:560
	v_add_f32_e32 v153, v146, v147
	ds_read_b128 v[146:149], v16 offset:576
	buffer_load_dword v159, off, s[0:3], 0 offset:292
	buffer_load_dword v158, off, s[0:3], 0 offset:288
	;; [unrolled: 1-line block ×14, first 2 shown]
	v_mul_f32_e32 v17, v99, v17
	v_fma_f32 v17, v98, v175, -v17
	v_mul_f32_e32 v98, v101, v152
	v_add_f32_e32 v17, 0, v17
	v_fma_f32 v98, v100, v176, -v98
	v_mul_f32_e32 v7, v7, v154
	v_add_f32_e32 v17, v17, v98
	;; [unrolled: 3-line block ×3, first 2 shown]
	v_fma_f32 v7, v8, v178, -v7
	v_add_f32_e32 v6, v6, v7
	v_mul_f32_e32 v7, v11, v172
	v_fma_f32 v7, v10, v179, -v7
	v_add_f32_e32 v6, v6, v7
	v_mul_f32_e32 v7, v13, v173
	v_fma_f32 v7, v12, v180, -v7
	v_mul_f32_e32 v3, v3, v174
	v_add_f32_e32 v6, v6, v7
	v_fma_f32 v2, v2, v181, -v3
	v_mul_f32_e32 v3, v5, v182
	v_add_f32_e32 v2, v6, v2
	v_fma_f32 v3, v4, v183, -v3
	v_add_f32_e32 v2, v2, v3
	v_mul_f32_e32 v3, v103, v184
	v_fma_f32 v3, v102, v185, -v3
	v_add_f32_e32 v2, v2, v3
	v_mul_f32_e32 v3, v105, v186
	;; [unrolled: 3-line block ×20, first 2 shown]
	v_fma_f32 v3, v140, v222, -v3
	s_waitcnt vmcnt(15)
	v_mov_b32_e32 v98, v151
	s_waitcnt lgkmcnt(1)
	v_mul_f32_e32 v155, v142, v225
	v_add_f32_e32 v152, v2, v3
	v_mul_f32_e32 v2, v143, v225
	s_waitcnt lgkmcnt(0)
	v_pk_mul_f32 v[98:99], v[146:147], v[98:99] op_sel_hi:[1,0]
	v_fmac_f32_e32 v155, v143, v224
	v_mul_f32_e32 v157, v144, v227
	v_fma_f32 v154, v142, v224, -v2
	v_mul_f32_e32 v2, v145, v227
	s_waitcnt vmcnt(14)
	v_pk_fma_f32 v[100:101], v[146:147], v[150:151], v[98:99] op_sel:[0,0,1] op_sel_hi:[1,1,0] neg_lo:[0,0,1] neg_hi:[0,0,1]
	v_pk_fma_f32 v[98:99], v[146:147], v[150:151], v[98:99] op_sel:[0,0,1] op_sel_hi:[1,0,0]
	v_fmac_f32_e32 v157, v145, v226
	v_fma_f32 v156, v144, v226, -v2
	ds_read_b128 v[2:5], v16 offset:592
	ds_read_b128 v[6:9], v16 offset:608
	;; [unrolled: 1-line block ×3, first 2 shown]
	v_pk_add_f32 v[16:17], v[152:153], v[154:155]
	s_waitcnt vmcnt(7)
	v_mov_b32_e32 v98, v165
	v_pk_add_f32 v[16:17], v[16:17], v[156:157]
	v_mov_b32_e32 v101, v99
	v_pk_mul_f32 v[98:99], v[148:149], v[98:99] op_sel_hi:[1,0]
	v_pk_add_f32 v[16:17], v[16:17], v[100:101]
	s_waitcnt vmcnt(6)
	v_pk_fma_f32 v[100:101], v[148:149], v[164:165], v[98:99] op_sel:[0,0,1] op_sel_hi:[1,1,0] neg_lo:[0,0,1] neg_hi:[0,0,1]
	v_pk_fma_f32 v[98:99], v[148:149], v[164:165], v[98:99] op_sel:[0,0,1] op_sel_hi:[1,0,0]
	v_mov_b32_e32 v98, v163
	v_mov_b32_e32 v101, v99
	s_waitcnt lgkmcnt(2)
	v_pk_mul_f32 v[98:99], v[2:3], v[98:99] op_sel_hi:[1,0]
	v_pk_add_f32 v[16:17], v[16:17], v[100:101]
	v_pk_fma_f32 v[100:101], v[2:3], v[162:163], v[98:99] op_sel:[0,0,1] op_sel_hi:[1,1,0] neg_lo:[0,0,1] neg_hi:[0,0,1]
	v_pk_fma_f32 v[2:3], v[2:3], v[162:163], v[98:99] op_sel:[0,0,1] op_sel_hi:[1,0,0]
	v_mov_b32_e32 v101, v3
	v_pk_add_f32 v[2:3], v[16:17], v[100:101]
	v_mov_b32_e32 v16, v161
	v_pk_mul_f32 v[16:17], v[4:5], v[16:17] op_sel_hi:[1,0]
	v_pk_fma_f32 v[98:99], v[4:5], v[160:161], v[16:17] op_sel:[0,0,1] op_sel_hi:[1,1,0] neg_lo:[0,0,1] neg_hi:[0,0,1]
	v_pk_fma_f32 v[4:5], v[4:5], v[160:161], v[16:17] op_sel:[0,0,1] op_sel_hi:[1,0,0]
	v_mov_b32_e32 v4, v159
	v_mov_b32_e32 v99, v5
	s_waitcnt lgkmcnt(1)
	v_pk_mul_f32 v[4:5], v[6:7], v[4:5] op_sel_hi:[1,0]
	v_pk_fma_f32 v[16:17], v[6:7], v[158:159], v[4:5] op_sel:[0,0,1] op_sel_hi:[1,1,0] neg_lo:[0,0,1] neg_hi:[0,0,1]
	v_pk_fma_f32 v[4:5], v[6:7], v[158:159], v[4:5] op_sel:[0,0,1] op_sel_hi:[1,0,0]
	s_waitcnt vmcnt(1)
	v_mov_b32_e32 v4, v171
	v_mov_b32_e32 v17, v5
	v_pk_mul_f32 v[4:5], v[8:9], v[4:5] op_sel_hi:[1,0]
	s_waitcnt vmcnt(0)
	v_pk_fma_f32 v[6:7], v[8:9], v[170:171], v[4:5] op_sel:[0,0,1] op_sel_hi:[1,1,0] neg_lo:[0,0,1] neg_hi:[0,0,1]
	v_pk_fma_f32 v[4:5], v[8:9], v[170:171], v[4:5] op_sel:[0,0,1] op_sel_hi:[1,0,0]
	v_pk_add_f32 v[2:3], v[2:3], v[98:99]
	v_mov_b32_e32 v4, v169
	v_pk_add_f32 v[2:3], v[2:3], v[16:17]
	v_mov_b32_e32 v7, v5
	s_waitcnt lgkmcnt(0)
	v_pk_mul_f32 v[4:5], v[10:11], v[4:5] op_sel_hi:[1,0]
	v_pk_add_f32 v[2:3], v[2:3], v[6:7]
	v_pk_fma_f32 v[6:7], v[10:11], v[168:169], v[4:5] op_sel:[0,0,1] op_sel_hi:[1,1,0] neg_lo:[0,0,1] neg_hi:[0,0,1]
	v_pk_fma_f32 v[4:5], v[10:11], v[168:169], v[4:5] op_sel:[0,0,1] op_sel_hi:[1,0,0]
	v_mov_b32_e32 v4, v167
	v_mov_b32_e32 v7, v5
	v_pk_mul_f32 v[4:5], v[12:13], v[4:5] op_sel_hi:[1,0]
	v_pk_add_f32 v[2:3], v[2:3], v[6:7]
	v_pk_fma_f32 v[6:7], v[12:13], v[166:167], v[4:5] op_sel:[0,0,1] op_sel_hi:[1,1,0] neg_lo:[0,0,1] neg_hi:[0,0,1]
	v_pk_fma_f32 v[4:5], v[12:13], v[166:167], v[4:5] op_sel:[0,0,1] op_sel_hi:[1,0,0]
	v_mov_b32_e32 v7, v5
	v_pk_add_f32 v[2:3], v[2:3], v[6:7]
	v_pk_add_f32 v[2:3], v[14:15], v[2:3] neg_lo:[0,1] neg_hi:[0,1]
	buffer_store_dword v3, off, s[0:3], 0 offset:12
	buffer_store_dword v2, off, s[0:3], 0 offset:8
	s_and_saveexec_b64 s[4:5], vcc
	s_cbranch_execz .LBB103_253
; %bb.252:
	buffer_load_dword v2, off, s[0:3], 0
	buffer_load_dword v3, off, s[0:3], 0 offset:4
	v_mov_b32_e32 v0, 0
	buffer_store_dword v0, off, s[0:3], 0
	buffer_store_dword v0, off, s[0:3], 0 offset:4
	s_waitcnt vmcnt(2)
	ds_write_b64 v1, v[2:3]
.LBB103_253:
	s_or_b64 exec, exec, s[4:5]
	s_waitcnt lgkmcnt(0)
	; wave barrier
	s_waitcnt lgkmcnt(0)
	buffer_load_dword v146, off, s[0:3], 0 offset:12
	buffer_load_dword v148, off, s[0:3], 0 offset:20
	;; [unrolled: 1-line block ×22, first 2 shown]
	buffer_load_dword v0, off, s[0:3], 0
	buffer_load_dword v1, off, s[0:3], 0 offset:4
	buffer_load_dword v187, off, s[0:3], 0 offset:96
	;; [unrolled: 1-line block ×25, first 2 shown]
	v_mov_b32_e32 v189, 0
	ds_read2_b64 v[2:5], v189 offset0:41 offset1:42
	buffer_load_dword v212, off, s[0:3], 0 offset:192
	buffer_load_dword v213, off, s[0:3], 0 offset:196
	;; [unrolled: 1-line block ×8, first 2 shown]
	ds_read2_b64 v[6:9], v189 offset0:43 offset1:44
	ds_read2_b64 v[10:13], v189 offset0:45 offset1:46
	ds_read2_b64 v[14:17], v189 offset0:47 offset1:48
	buffer_load_dword v220, off, s[0:3], 0 offset:224
	buffer_load_dword v221, off, s[0:3], 0 offset:228
	;; [unrolled: 1-line block ×8, first 2 shown]
	s_and_b64 vcc, exec, s[16:17]
	s_waitcnt vmcnt(62) lgkmcnt(3)
	v_mul_f32_e32 v98, v2, v146
	v_mul_f32_e32 v99, v4, v148
	s_waitcnt vmcnt(61) lgkmcnt(2)
	v_mul_f32_e32 v100, v6, v150
	s_waitcnt vmcnt(60)
	v_mul_f32_e32 v101, v8, v168
	s_waitcnt vmcnt(59) lgkmcnt(1)
	v_mul_f32_e32 v102, v10, v169
	s_waitcnt vmcnt(58)
	;; [unrolled: 4-line block ×3, first 2 shown]
	v_fmac_f32_e32 v98, v3, v172
	s_waitcnt vmcnt(55)
	v_fmac_f32_e32 v99, v5, v173
	v_add_f32_e32 v98, 0, v98
	s_waitcnt vmcnt(54)
	v_fmac_f32_e32 v100, v7, v174
	v_add_f32_e32 v98, v98, v99
	;; [unrolled: 3-line block ×6, first 2 shown]
	v_add_f32_e32 v102, v98, v104
	ds_read2_b64 v[98:101], v189 offset0:49 offset1:50
	s_waitcnt vmcnt(49)
	v_mul_f32_e32 v103, v16, v179
	s_waitcnt vmcnt(48)
	v_fmac_f32_e32 v103, v17, v180
	v_add_f32_e32 v106, v102, v103
	ds_read2_b64 v[102:105], v189 offset0:51 offset1:52
	s_waitcnt vmcnt(47) lgkmcnt(1)
	v_mul_f32_e32 v107, v98, v181
	s_waitcnt vmcnt(46)
	v_fmac_f32_e32 v107, v99, v182
	v_add_f32_e32 v106, v106, v107
	s_waitcnt vmcnt(45)
	v_mul_f32_e32 v107, v100, v183
	s_waitcnt vmcnt(44)
	v_fmac_f32_e32 v107, v101, v184
	v_add_f32_e32 v106, v106, v107
	s_waitcnt vmcnt(42) lgkmcnt(0)
	v_mul_f32_e32 v107, v102, v186
	v_fmac_f32_e32 v107, v103, v185
	v_add_f32_e32 v110, v106, v107
	ds_read2_b64 v[106:109], v189 offset0:53 offset1:54
	s_waitcnt vmcnt(38)
	v_mul_f32_e32 v111, v104, v188
	v_fmac_f32_e32 v111, v105, v187
	v_add_f32_e32 v114, v110, v111
	ds_read2_b64 v[110:113], v189 offset0:55 offset1:56
	s_waitcnt vmcnt(36) lgkmcnt(1)
	v_mul_f32_e32 v115, v106, v191
	v_fmac_f32_e32 v115, v107, v190
	v_add_f32_e32 v114, v114, v115
	s_waitcnt vmcnt(34)
	v_mul_f32_e32 v115, v108, v193
	v_fmac_f32_e32 v115, v109, v192
	v_add_f32_e32 v114, v114, v115
	s_waitcnt vmcnt(32) lgkmcnt(0)
	v_mul_f32_e32 v115, v110, v195
	v_fmac_f32_e32 v115, v111, v194
	v_add_f32_e32 v118, v114, v115
	ds_read2_b64 v[114:117], v189 offset0:57 offset1:58
	s_waitcnt vmcnt(30)
	v_mul_f32_e32 v119, v112, v197
	v_fmac_f32_e32 v119, v113, v196
	v_add_f32_e32 v122, v118, v119
	ds_read2_b64 v[118:121], v189 offset0:59 offset1:60
	s_waitcnt vmcnt(28) lgkmcnt(1)
	v_mul_f32_e32 v123, v114, v199
	v_fmac_f32_e32 v123, v115, v198
	v_add_f32_e32 v122, v122, v123
	s_waitcnt vmcnt(26)
	v_mul_f32_e32 v123, v116, v201
	;; [unrolled: 18-line block ×4, first 2 shown]
	v_fmac_f32_e32 v139, v133, v216
	v_add_f32_e32 v138, v138, v139
	s_waitcnt vmcnt(8) lgkmcnt(0)
	v_mul_f32_e32 v139, v134, v219
	v_fmac_f32_e32 v139, v135, v218
	s_waitcnt vmcnt(6)
	v_mul_f32_e32 v143, v136, v221
	v_add_f32_e32 v142, v138, v139
	v_fmac_f32_e32 v143, v137, v220
	ds_read2_b64 v[138:141], v189 offset0:69 offset1:70
	v_add_f32_e32 v147, v142, v143
	ds_read2_b64 v[142:145], v189 offset0:71 offset1:72
	buffer_load_dword v153, off, s[0:3], 0 offset:284
	buffer_load_dword v152, off, s[0:3], 0 offset:280
	;; [unrolled: 1-line block ×16, first 2 shown]
	v_mul_f32_e32 v3, v3, v146
	v_fma_f32 v2, v2, v172, -v3
	v_mul_f32_e32 v3, v5, v148
	v_add_f32_e32 v2, 0, v2
	v_fma_f32 v3, v4, v173, -v3
	v_add_f32_e32 v2, v2, v3
	v_mul_f32_e32 v3, v7, v150
	v_fma_f32 v3, v6, v174, -v3
	v_add_f32_e32 v2, v2, v3
	v_mul_f32_e32 v3, v9, v168
	;; [unrolled: 3-line block ×26, first 2 shown]
	v_fma_f32 v3, v136, v220, -v3
	v_add_f32_e32 v2, v2, v3
	s_waitcnt vmcnt(20) lgkmcnt(1)
	v_mul_f32_e32 v3, v139, v223
	v_mul_f32_e32 v149, v138, v223
	v_fma_f32 v3, v138, v222, -v3
	v_fmac_f32_e32 v149, v139, v222
	v_add_f32_e32 v146, v2, v3
	s_waitcnt vmcnt(18)
	v_mul_f32_e32 v2, v141, v225
	s_waitcnt vmcnt(9)
	v_mov_b32_e32 v98, v159
	v_add_f32_e32 v147, v147, v149
	v_mul_f32_e32 v149, v140, v225
	v_fma_f32 v148, v140, v224, -v2
	s_waitcnt lgkmcnt(0)
	v_mul_f32_e32 v2, v143, v227
	v_pk_mul_f32 v[98:99], v[144:145], v[98:99] op_sel_hi:[1,0]
	v_fmac_f32_e32 v149, v141, v224
	v_mul_f32_e32 v151, v142, v227
	v_fma_f32 v150, v142, v226, -v2
	ds_read2_b64 v[2:5], v189 offset0:73 offset1:74
	ds_read2_b64 v[6:9], v189 offset0:75 offset1:76
	;; [unrolled: 1-line block ×3, first 2 shown]
	ds_read_b64 v[14:15], v189 offset:632
	s_waitcnt vmcnt(8)
	v_pk_fma_f32 v[100:101], v[144:145], v[158:159], v[98:99] op_sel:[0,0,1] op_sel_hi:[1,1,0] neg_lo:[0,0,1] neg_hi:[0,0,1]
	v_pk_fma_f32 v[98:99], v[144:145], v[158:159], v[98:99] op_sel:[0,0,1] op_sel_hi:[1,0,0]
	v_fmac_f32_e32 v151, v143, v226
	v_pk_add_f32 v[16:17], v[146:147], v[148:149]
	v_mov_b32_e32 v98, v157
	v_pk_add_f32 v[16:17], v[16:17], v[150:151]
	v_mov_b32_e32 v101, v99
	s_waitcnt lgkmcnt(3)
	v_pk_mul_f32 v[98:99], v[2:3], v[98:99] op_sel_hi:[1,0]
	v_pk_add_f32 v[16:17], v[16:17], v[100:101]
	v_pk_fma_f32 v[100:101], v[2:3], v[156:157], v[98:99] op_sel:[0,0,1] op_sel_hi:[1,1,0] neg_lo:[0,0,1] neg_hi:[0,0,1]
	v_pk_fma_f32 v[2:3], v[2:3], v[156:157], v[98:99] op_sel:[0,0,1] op_sel_hi:[1,0,0]
	v_mov_b32_e32 v101, v3
	v_pk_add_f32 v[2:3], v[16:17], v[100:101]
	v_mov_b32_e32 v16, v155
	v_pk_mul_f32 v[16:17], v[4:5], v[16:17] op_sel_hi:[1,0]
	v_pk_fma_f32 v[98:99], v[4:5], v[154:155], v[16:17] op_sel:[0,0,1] op_sel_hi:[1,1,0] neg_lo:[0,0,1] neg_hi:[0,0,1]
	v_pk_fma_f32 v[4:5], v[4:5], v[154:155], v[16:17] op_sel:[0,0,1] op_sel_hi:[1,0,0]
	v_mov_b32_e32 v4, v153
	v_mov_b32_e32 v99, v5
	s_waitcnt lgkmcnt(2)
	v_pk_mul_f32 v[4:5], v[6:7], v[4:5] op_sel_hi:[1,0]
	v_pk_fma_f32 v[16:17], v[6:7], v[152:153], v[4:5] op_sel:[0,0,1] op_sel_hi:[1,1,0] neg_lo:[0,0,1] neg_hi:[0,0,1]
	v_pk_fma_f32 v[4:5], v[6:7], v[152:153], v[4:5] op_sel:[0,0,1] op_sel_hi:[1,0,0]
	s_waitcnt vmcnt(1)
	v_mov_b32_e32 v4, v167
	v_mov_b32_e32 v17, v5
	v_pk_mul_f32 v[4:5], v[8:9], v[4:5] op_sel_hi:[1,0]
	s_waitcnt vmcnt(0)
	v_pk_fma_f32 v[6:7], v[8:9], v[166:167], v[4:5] op_sel:[0,0,1] op_sel_hi:[1,1,0] neg_lo:[0,0,1] neg_hi:[0,0,1]
	v_pk_fma_f32 v[4:5], v[8:9], v[166:167], v[4:5] op_sel:[0,0,1] op_sel_hi:[1,0,0]
	v_pk_add_f32 v[2:3], v[2:3], v[98:99]
	v_mov_b32_e32 v4, v165
	v_pk_add_f32 v[2:3], v[2:3], v[16:17]
	v_mov_b32_e32 v7, v5
	s_waitcnt lgkmcnt(1)
	v_pk_mul_f32 v[4:5], v[10:11], v[4:5] op_sel_hi:[1,0]
	v_pk_add_f32 v[2:3], v[2:3], v[6:7]
	v_pk_fma_f32 v[6:7], v[10:11], v[164:165], v[4:5] op_sel:[0,0,1] op_sel_hi:[1,1,0] neg_lo:[0,0,1] neg_hi:[0,0,1]
	v_pk_fma_f32 v[4:5], v[10:11], v[164:165], v[4:5] op_sel:[0,0,1] op_sel_hi:[1,0,0]
	v_mov_b32_e32 v4, v163
	v_mov_b32_e32 v7, v5
	v_pk_mul_f32 v[4:5], v[12:13], v[4:5] op_sel_hi:[1,0]
	v_pk_add_f32 v[2:3], v[2:3], v[6:7]
	v_pk_fma_f32 v[6:7], v[12:13], v[162:163], v[4:5] op_sel:[0,0,1] op_sel_hi:[1,1,0] neg_lo:[0,0,1] neg_hi:[0,0,1]
	v_pk_fma_f32 v[4:5], v[12:13], v[162:163], v[4:5] op_sel:[0,0,1] op_sel_hi:[1,0,0]
	v_mov_b32_e32 v4, v161
	v_mov_b32_e32 v7, v5
	s_waitcnt lgkmcnt(0)
	v_pk_mul_f32 v[4:5], v[14:15], v[4:5] op_sel_hi:[1,0]
	v_pk_add_f32 v[2:3], v[2:3], v[6:7]
	v_pk_fma_f32 v[6:7], v[14:15], v[160:161], v[4:5] op_sel:[0,0,1] op_sel_hi:[1,1,0] neg_lo:[0,0,1] neg_hi:[0,0,1]
	v_pk_fma_f32 v[4:5], v[14:15], v[160:161], v[4:5] op_sel:[0,0,1] op_sel_hi:[1,0,0]
	v_mov_b32_e32 v7, v5
	v_pk_add_f32 v[2:3], v[2:3], v[6:7]
	v_pk_add_f32 v[0:1], v[0:1], v[2:3] neg_lo:[0,1] neg_hi:[0,1]
	buffer_store_dword v1, off, s[0:3], 0 offset:4
	buffer_store_dword v0, off, s[0:3], 0
	s_cbranch_vccz .LBB103_333
; %bb.254:
	v_pk_mov_b32 v[0:1], s[10:11], s[10:11] op_sel:[0,1]
	flat_load_dword v0, v[0:1] offset:152
	s_waitcnt vmcnt(0) lgkmcnt(0)
	v_add_u32_e32 v0, -1, v0
	v_cmp_ne_u32_e32 vcc, 38, v0
	s_and_saveexec_b64 s[4:5], vcc
	s_cbranch_execz .LBB103_256
; %bb.255:
	v_mov_b32_e32 v1, 0
	v_lshl_add_u32 v0, v0, 3, v1
	buffer_load_dword v1, v0, s[0:3], 0 offen
	buffer_load_dword v2, v0, s[0:3], 0 offen offset:4
	buffer_load_dword v3, off, s[0:3], 0 offset:308
	buffer_load_dword v4, off, s[0:3], 0 offset:304
	s_waitcnt vmcnt(3)
	buffer_store_dword v1, off, s[0:3], 0 offset:304
	s_waitcnt vmcnt(3)
	buffer_store_dword v2, off, s[0:3], 0 offset:308
	s_waitcnt vmcnt(3)
	buffer_store_dword v3, v0, s[0:3], 0 offen offset:4
	s_waitcnt vmcnt(3)
	buffer_store_dword v4, v0, s[0:3], 0 offen
.LBB103_256:
	s_or_b64 exec, exec, s[4:5]
	v_pk_mov_b32 v[0:1], s[10:11], s[10:11] op_sel:[0,1]
	flat_load_dword v0, v[0:1] offset:148
	s_waitcnt vmcnt(0) lgkmcnt(0)
	v_add_u32_e32 v0, -1, v0
	v_cmp_ne_u32_e32 vcc, 37, v0
	s_and_saveexec_b64 s[4:5], vcc
	s_cbranch_execz .LBB103_258
; %bb.257:
	v_mov_b32_e32 v1, 0
	v_lshl_add_u32 v0, v0, 3, v1
	buffer_load_dword v1, v0, s[0:3], 0 offen
	buffer_load_dword v2, v0, s[0:3], 0 offen offset:4
	buffer_load_dword v3, off, s[0:3], 0 offset:296
	buffer_load_dword v4, off, s[0:3], 0 offset:300
	s_waitcnt vmcnt(3)
	buffer_store_dword v1, off, s[0:3], 0 offset:296
	s_waitcnt vmcnt(3)
	buffer_store_dword v2, off, s[0:3], 0 offset:300
	s_waitcnt vmcnt(3)
	buffer_store_dword v3, v0, s[0:3], 0 offen
	s_waitcnt vmcnt(3)
	buffer_store_dword v4, v0, s[0:3], 0 offen offset:4
.LBB103_258:
	s_or_b64 exec, exec, s[4:5]
	v_pk_mov_b32 v[0:1], s[10:11], s[10:11] op_sel:[0,1]
	flat_load_dword v0, v[0:1] offset:144
	s_waitcnt vmcnt(0) lgkmcnt(0)
	v_add_u32_e32 v0, -1, v0
	v_cmp_ne_u32_e32 vcc, 36, v0
	s_and_saveexec_b64 s[4:5], vcc
	s_cbranch_execz .LBB103_260
; %bb.259:
	v_mov_b32_e32 v1, 0
	v_lshl_add_u32 v0, v0, 3, v1
	buffer_load_dword v1, v0, s[0:3], 0 offen
	buffer_load_dword v2, v0, s[0:3], 0 offen offset:4
	buffer_load_dword v3, off, s[0:3], 0 offset:292
	buffer_load_dword v4, off, s[0:3], 0 offset:288
	s_waitcnt vmcnt(3)
	buffer_store_dword v1, off, s[0:3], 0 offset:288
	s_waitcnt vmcnt(3)
	buffer_store_dword v2, off, s[0:3], 0 offset:292
	s_waitcnt vmcnt(3)
	buffer_store_dword v3, v0, s[0:3], 0 offen offset:4
	s_waitcnt vmcnt(3)
	buffer_store_dword v4, v0, s[0:3], 0 offen
.LBB103_260:
	s_or_b64 exec, exec, s[4:5]
	v_pk_mov_b32 v[0:1], s[10:11], s[10:11] op_sel:[0,1]
	flat_load_dword v0, v[0:1] offset:140
	s_waitcnt vmcnt(0) lgkmcnt(0)
	v_add_u32_e32 v0, -1, v0
	v_cmp_ne_u32_e32 vcc, 35, v0
	s_and_saveexec_b64 s[4:5], vcc
	s_cbranch_execz .LBB103_262
; %bb.261:
	v_mov_b32_e32 v1, 0
	v_lshl_add_u32 v0, v0, 3, v1
	buffer_load_dword v1, v0, s[0:3], 0 offen
	buffer_load_dword v2, v0, s[0:3], 0 offen offset:4
	buffer_load_dword v3, off, s[0:3], 0 offset:280
	buffer_load_dword v4, off, s[0:3], 0 offset:284
	s_waitcnt vmcnt(3)
	buffer_store_dword v1, off, s[0:3], 0 offset:280
	s_waitcnt vmcnt(3)
	buffer_store_dword v2, off, s[0:3], 0 offset:284
	s_waitcnt vmcnt(3)
	buffer_store_dword v3, v0, s[0:3], 0 offen
	s_waitcnt vmcnt(3)
	buffer_store_dword v4, v0, s[0:3], 0 offen offset:4
.LBB103_262:
	s_or_b64 exec, exec, s[4:5]
	;; [unrolled: 48-line block ×19, first 2 shown]
	v_pk_mov_b32 v[0:1], s[10:11], s[10:11] op_sel:[0,1]
	flat_load_dword v2, v[0:1]
	s_nop 0
	buffer_load_dword v0, off, s[0:3], 0
	buffer_load_dword v1, off, s[0:3], 0 offset:4
	s_waitcnt vmcnt(0) lgkmcnt(0)
	v_add_u32_e32 v2, -1, v2
	v_cmp_ne_u32_e32 vcc, 0, v2
	s_and_saveexec_b64 s[4:5], vcc
	s_cbranch_execz .LBB103_332
; %bb.331:
	v_mov_b32_e32 v3, 0
	v_lshl_add_u32 v2, v2, 3, v3
	buffer_load_dword v3, v2, s[0:3], 0 offen offset:4
	buffer_load_dword v4, v2, s[0:3], 0 offen
	s_waitcnt vmcnt(1)
	buffer_store_dword v3, off, s[0:3], 0 offset:4
	s_waitcnt vmcnt(1)
	buffer_store_dword v4, off, s[0:3], 0
	buffer_store_dword v1, v2, s[0:3], 0 offen offset:4
	buffer_store_dword v0, v2, s[0:3], 0 offen
	buffer_load_dword v0, off, s[0:3], 0
	s_nop 0
	buffer_load_dword v1, off, s[0:3], 0 offset:4
.LBB103_332:
	s_or_b64 exec, exec, s[4:5]
.LBB103_333:
	buffer_load_dword v2, off, s[0:3], 0 offset:8
	buffer_load_dword v3, off, s[0:3], 0 offset:12
	;; [unrolled: 1-line block ×78, first 2 shown]
	s_waitcnt vmcnt(62)
	global_store_dwordx2 v[86:87], v[0:1], off
	global_store_dwordx2 v[88:89], v[2:3], off
	global_store_dwordx2 v[18:19], v[4:5], off
	global_store_dwordx2 v[20:21], v[6:7], off
	global_store_dwordx2 v[22:23], v[8:9], off
	global_store_dwordx2 v[24:25], v[10:11], off
	global_store_dwordx2 v[26:27], v[12:13], off
	global_store_dwordx2 v[28:29], v[14:15], off
	global_store_dwordx2 v[30:31], v[16:17], off
	s_waitcnt vmcnt(62)
	global_store_dwordx2 v[32:33], v[98:99], off
	global_store_dwordx2 v[34:35], v[100:101], off
	;; [unrolled: 1-line block ×4, first 2 shown]
	s_waitcnt vmcnt(62)
	global_store_dwordx2 v[40:41], v[106:107], off
	global_store_dwordx2 v[42:43], v[108:109], off
	s_waitcnt vmcnt(62)
	global_store_dwordx2 v[44:45], v[110:111], off
	s_waitcnt vmcnt(62)
	global_store_dwordx2 v[46:47], v[112:113], off
	s_waitcnt vmcnt(61)
	global_store_dwordx2 v[48:49], v[114:115], off
	s_waitcnt vmcnt(60)
	global_store_dwordx2 v[50:51], v[116:117], off
	s_waitcnt vmcnt(59)
	global_store_dwordx2 v[52:53], v[118:119], off
	s_waitcnt vmcnt(58)
	global_store_dwordx2 v[54:55], v[120:121], off
	s_waitcnt vmcnt(57)
	global_store_dwordx2 v[56:57], v[122:123], off
	s_waitcnt vmcnt(56)
	global_store_dwordx2 v[58:59], v[124:125], off
	s_waitcnt vmcnt(55)
	global_store_dwordx2 v[60:61], v[126:127], off
	s_waitcnt vmcnt(54)
	global_store_dwordx2 v[62:63], v[128:129], off
	s_waitcnt vmcnt(53)
	global_store_dwordx2 v[64:65], v[130:131], off
	s_waitcnt vmcnt(52)
	global_store_dwordx2 v[66:67], v[132:133], off
	s_waitcnt vmcnt(51)
	global_store_dwordx2 v[68:69], v[134:135], off
	s_waitcnt vmcnt(50)
	global_store_dwordx2 v[70:71], v[136:137], off
	s_waitcnt vmcnt(49)
	global_store_dwordx2 v[72:73], v[138:139], off
	s_waitcnt vmcnt(48)
	global_store_dwordx2 v[74:75], v[140:141], off
	s_waitcnt vmcnt(47)
	global_store_dwordx2 v[76:77], v[142:143], off
	s_waitcnt vmcnt(46)
	global_store_dwordx2 v[78:79], v[144:145], off
	s_waitcnt vmcnt(45)
	global_store_dwordx2 v[80:81], v[146:147], off
	s_waitcnt vmcnt(44)
	global_store_dwordx2 v[82:83], v[148:149], off
	s_waitcnt vmcnt(43)
	global_store_dwordx2 v[84:85], v[150:151], off
	s_waitcnt vmcnt(42)
	global_store_dwordx2 v[90:91], v[152:153], off
	s_waitcnt vmcnt(41)
	global_store_dwordx2 v[92:93], v[154:155], off
	s_waitcnt vmcnt(40)
	global_store_dwordx2 v[94:95], v[156:157], off
	s_waitcnt vmcnt(39)
	global_store_dwordx2 v[96:97], v[158:159], off
	s_endpgm
	.section	.rodata,"a",@progbits
	.p2align	6, 0x0
	.amdhsa_kernel _ZN9rocsolver6v33100L18getri_kernel_smallILi40E19rocblas_complex_numIfEPKPS3_EEvT1_iilPiilS8_bb
		.amdhsa_group_segment_fixed_size 644
		.amdhsa_private_segment_fixed_size 336
		.amdhsa_kernarg_size 60
		.amdhsa_user_sgpr_count 8
		.amdhsa_user_sgpr_private_segment_buffer 1
		.amdhsa_user_sgpr_dispatch_ptr 0
		.amdhsa_user_sgpr_queue_ptr 0
		.amdhsa_user_sgpr_kernarg_segment_ptr 1
		.amdhsa_user_sgpr_dispatch_id 0
		.amdhsa_user_sgpr_flat_scratch_init 1
		.amdhsa_user_sgpr_kernarg_preload_length 0
		.amdhsa_user_sgpr_kernarg_preload_offset 0
		.amdhsa_user_sgpr_private_segment_size 0
		.amdhsa_uses_dynamic_stack 0
		.amdhsa_system_sgpr_private_segment_wavefront_offset 1
		.amdhsa_system_sgpr_workgroup_id_x 1
		.amdhsa_system_sgpr_workgroup_id_y 0
		.amdhsa_system_sgpr_workgroup_id_z 0
		.amdhsa_system_sgpr_workgroup_info 0
		.amdhsa_system_vgpr_workitem_id 0
		.amdhsa_next_free_vgpr 228
		.amdhsa_next_free_sgpr 22
		.amdhsa_accum_offset 228
		.amdhsa_reserve_vcc 1
		.amdhsa_reserve_flat_scratch 1
		.amdhsa_float_round_mode_32 0
		.amdhsa_float_round_mode_16_64 0
		.amdhsa_float_denorm_mode_32 3
		.amdhsa_float_denorm_mode_16_64 3
		.amdhsa_dx10_clamp 1
		.amdhsa_ieee_mode 1
		.amdhsa_fp16_overflow 0
		.amdhsa_tg_split 0
		.amdhsa_exception_fp_ieee_invalid_op 0
		.amdhsa_exception_fp_denorm_src 0
		.amdhsa_exception_fp_ieee_div_zero 0
		.amdhsa_exception_fp_ieee_overflow 0
		.amdhsa_exception_fp_ieee_underflow 0
		.amdhsa_exception_fp_ieee_inexact 0
		.amdhsa_exception_int_div_zero 0
	.end_amdhsa_kernel
	.section	.text._ZN9rocsolver6v33100L18getri_kernel_smallILi40E19rocblas_complex_numIfEPKPS3_EEvT1_iilPiilS8_bb,"axG",@progbits,_ZN9rocsolver6v33100L18getri_kernel_smallILi40E19rocblas_complex_numIfEPKPS3_EEvT1_iilPiilS8_bb,comdat
.Lfunc_end103:
	.size	_ZN9rocsolver6v33100L18getri_kernel_smallILi40E19rocblas_complex_numIfEPKPS3_EEvT1_iilPiilS8_bb, .Lfunc_end103-_ZN9rocsolver6v33100L18getri_kernel_smallILi40E19rocblas_complex_numIfEPKPS3_EEvT1_iilPiilS8_bb
                                        ; -- End function
	.section	.AMDGPU.csdata,"",@progbits
; Kernel info:
; codeLenInByte = 68368
; NumSgprs: 28
; NumVgprs: 228
; NumAgprs: 0
; TotalNumVgprs: 228
; ScratchSize: 336
; MemoryBound: 0
; FloatMode: 240
; IeeeMode: 1
; LDSByteSize: 644 bytes/workgroup (compile time only)
; SGPRBlocks: 3
; VGPRBlocks: 28
; NumSGPRsForWavesPerEU: 28
; NumVGPRsForWavesPerEU: 228
; AccumOffset: 228
; Occupancy: 2
; WaveLimiterHint : 1
; COMPUTE_PGM_RSRC2:SCRATCH_EN: 1
; COMPUTE_PGM_RSRC2:USER_SGPR: 8
; COMPUTE_PGM_RSRC2:TRAP_HANDLER: 0
; COMPUTE_PGM_RSRC2:TGID_X_EN: 1
; COMPUTE_PGM_RSRC2:TGID_Y_EN: 0
; COMPUTE_PGM_RSRC2:TGID_Z_EN: 0
; COMPUTE_PGM_RSRC2:TIDIG_COMP_CNT: 0
; COMPUTE_PGM_RSRC3_GFX90A:ACCUM_OFFSET: 56
; COMPUTE_PGM_RSRC3_GFX90A:TG_SPLIT: 0
	.section	.text._ZN9rocsolver6v33100L18getri_kernel_smallILi41E19rocblas_complex_numIfEPKPS3_EEvT1_iilPiilS8_bb,"axG",@progbits,_ZN9rocsolver6v33100L18getri_kernel_smallILi41E19rocblas_complex_numIfEPKPS3_EEvT1_iilPiilS8_bb,comdat
	.globl	_ZN9rocsolver6v33100L18getri_kernel_smallILi41E19rocblas_complex_numIfEPKPS3_EEvT1_iilPiilS8_bb ; -- Begin function _ZN9rocsolver6v33100L18getri_kernel_smallILi41E19rocblas_complex_numIfEPKPS3_EEvT1_iilPiilS8_bb
	.p2align	8
	.type	_ZN9rocsolver6v33100L18getri_kernel_smallILi41E19rocblas_complex_numIfEPKPS3_EEvT1_iilPiilS8_bb,@function
_ZN9rocsolver6v33100L18getri_kernel_smallILi41E19rocblas_complex_numIfEPKPS3_EEvT1_iilPiilS8_bb: ; @_ZN9rocsolver6v33100L18getri_kernel_smallILi41E19rocblas_complex_numIfEPKPS3_EEvT1_iilPiilS8_bb
; %bb.0:
	s_add_u32 flat_scratch_lo, s6, s9
	s_addc_u32 flat_scratch_hi, s7, 0
	s_add_u32 s0, s0, s9
	s_addc_u32 s1, s1, 0
	v_cmp_gt_u32_e32 vcc, 41, v0
	s_and_saveexec_b64 s[6:7], vcc
	s_cbranch_execz .LBB104_178
; %bb.1:
	s_load_dword s20, s[4:5], 0x38
	s_load_dwordx2 s[6:7], s[4:5], 0x0
	s_load_dwordx4 s[12:15], s[4:5], 0x28
	s_waitcnt lgkmcnt(0)
	s_bitcmp1_b32 s20, 8
	s_cselect_b64 s[16:17], -1, 0
	s_ashr_i32 s9, s8, 31
	s_lshl_b64 s[10:11], s[8:9], 3
	s_add_u32 s6, s6, s10
	s_addc_u32 s7, s7, s11
	s_load_dwordx2 s[18:19], s[6:7], 0x0
	s_bfe_u32 s6, s20, 0x10008
	s_cmp_eq_u32 s6, 0
                                        ; implicit-def: $sgpr10_sgpr11
	s_cbranch_scc1 .LBB104_3
; %bb.2:
	s_load_dword s6, s[4:5], 0x20
	s_load_dwordx2 s[10:11], s[4:5], 0x18
	s_mul_i32 s7, s8, s13
	s_mul_hi_u32 s13, s8, s12
	s_add_i32 s13, s13, s7
	s_mul_i32 s21, s9, s12
	s_add_i32 s13, s13, s21
	s_mul_i32 s12, s8, s12
	s_waitcnt lgkmcnt(0)
	s_ashr_i32 s7, s6, 31
	s_lshl_b64 s[12:13], s[12:13], 2
	s_add_u32 s10, s10, s12
	s_addc_u32 s11, s11, s13
	s_lshl_b64 s[6:7], s[6:7], 2
	s_add_u32 s10, s10, s6
	s_addc_u32 s11, s11, s7
.LBB104_3:
	s_load_dwordx2 s[6:7], s[4:5], 0x8
	v_lshlrev_b32_e32 v6, 3, v0
	s_waitcnt lgkmcnt(0)
	s_ashr_i32 s5, s6, 31
	s_mov_b32 s4, s6
	s_lshl_b64 s[4:5], s[4:5], 3
	s_add_u32 s4, s18, s4
	s_addc_u32 s5, s19, s5
	s_add_i32 s6, s7, s7
	v_add_u32_e32 v2, s6, v0
	v_ashrrev_i32_e32 v3, 31, v2
	v_lshlrev_b64 v[4:5], 3, v[2:3]
	v_add_u32_e32 v2, s7, v2
	v_mov_b32_e32 v1, s5
	v_add_co_u32_e32 v16, vcc, s4, v4
	v_ashrrev_i32_e32 v3, 31, v2
	v_addc_co_u32_e32 v17, vcc, v1, v5, vcc
	v_lshlrev_b64 v[4:5], 3, v[2:3]
	v_add_u32_e32 v2, s7, v2
	v_add_co_u32_e32 v18, vcc, s4, v4
	v_ashrrev_i32_e32 v3, 31, v2
	v_addc_co_u32_e32 v19, vcc, v1, v5, vcc
	v_lshlrev_b64 v[4:5], 3, v[2:3]
	v_add_u32_e32 v2, s7, v2
	v_add_co_u32_e32 v20, vcc, s4, v4
	v_ashrrev_i32_e32 v3, 31, v2
	v_addc_co_u32_e32 v21, vcc, v1, v5, vcc
	v_lshlrev_b64 v[4:5], 3, v[2:3]
	v_add_u32_e32 v2, s7, v2
	v_add_co_u32_e32 v22, vcc, s4, v4
	v_ashrrev_i32_e32 v3, 31, v2
	v_addc_co_u32_e32 v23, vcc, v1, v5, vcc
	v_lshlrev_b64 v[4:5], 3, v[2:3]
	v_add_u32_e32 v2, s7, v2
	v_add_co_u32_e32 v24, vcc, s4, v4
	v_ashrrev_i32_e32 v3, 31, v2
	v_addc_co_u32_e32 v25, vcc, v1, v5, vcc
	v_lshlrev_b64 v[4:5], 3, v[2:3]
	v_add_u32_e32 v2, s7, v2
	v_add_co_u32_e32 v26, vcc, s4, v4
	v_ashrrev_i32_e32 v3, 31, v2
	v_addc_co_u32_e32 v27, vcc, v1, v5, vcc
	v_lshlrev_b64 v[4:5], 3, v[2:3]
	v_add_u32_e32 v2, s7, v2
	v_add_co_u32_e32 v28, vcc, s4, v4
	v_ashrrev_i32_e32 v3, 31, v2
	v_addc_co_u32_e32 v29, vcc, v1, v5, vcc
	v_lshlrev_b64 v[4:5], 3, v[2:3]
	v_add_u32_e32 v2, s7, v2
	v_add_co_u32_e32 v30, vcc, s4, v4
	v_ashrrev_i32_e32 v3, 31, v2
	v_addc_co_u32_e32 v31, vcc, v1, v5, vcc
	v_lshlrev_b64 v[4:5], 3, v[2:3]
	v_add_u32_e32 v2, s7, v2
	v_add_co_u32_e32 v32, vcc, s4, v4
	v_ashrrev_i32_e32 v3, 31, v2
	v_addc_co_u32_e32 v33, vcc, v1, v5, vcc
	v_lshlrev_b64 v[4:5], 3, v[2:3]
	v_add_u32_e32 v2, s7, v2
	v_add_co_u32_e32 v34, vcc, s4, v4
	v_ashrrev_i32_e32 v3, 31, v2
	v_addc_co_u32_e32 v35, vcc, v1, v5, vcc
	v_lshlrev_b64 v[4:5], 3, v[2:3]
	v_add_u32_e32 v2, s7, v2
	v_add_co_u32_e32 v36, vcc, s4, v4
	v_ashrrev_i32_e32 v3, 31, v2
	v_addc_co_u32_e32 v37, vcc, v1, v5, vcc
	v_lshlrev_b64 v[4:5], 3, v[2:3]
	v_add_u32_e32 v2, s7, v2
	v_add_co_u32_e32 v38, vcc, s4, v4
	v_ashrrev_i32_e32 v3, 31, v2
	v_addc_co_u32_e32 v39, vcc, v1, v5, vcc
	v_lshlrev_b64 v[4:5], 3, v[2:3]
	v_add_u32_e32 v2, s7, v2
	v_add_co_u32_e32 v40, vcc, s4, v4
	v_ashrrev_i32_e32 v3, 31, v2
	v_addc_co_u32_e32 v41, vcc, v1, v5, vcc
	v_lshlrev_b64 v[4:5], 3, v[2:3]
	v_add_u32_e32 v2, s7, v2
	v_add_co_u32_e32 v42, vcc, s4, v4
	v_ashrrev_i32_e32 v3, 31, v2
	v_addc_co_u32_e32 v43, vcc, v1, v5, vcc
	v_lshlrev_b64 v[4:5], 3, v[2:3]
	v_add_u32_e32 v2, s7, v2
	v_add_co_u32_e32 v44, vcc, s4, v4
	v_ashrrev_i32_e32 v3, 31, v2
	v_addc_co_u32_e32 v45, vcc, v1, v5, vcc
	v_lshlrev_b64 v[4:5], 3, v[2:3]
	v_add_u32_e32 v2, s7, v2
	v_add_co_u32_e32 v46, vcc, s4, v4
	v_ashrrev_i32_e32 v3, 31, v2
	v_addc_co_u32_e32 v47, vcc, v1, v5, vcc
	v_lshlrev_b64 v[4:5], 3, v[2:3]
	v_add_u32_e32 v2, s7, v2
	v_add_co_u32_e32 v48, vcc, s4, v4
	v_ashrrev_i32_e32 v3, 31, v2
	v_addc_co_u32_e32 v49, vcc, v1, v5, vcc
	v_lshlrev_b64 v[4:5], 3, v[2:3]
	v_add_u32_e32 v2, s7, v2
	v_add_co_u32_e32 v50, vcc, s4, v4
	v_ashrrev_i32_e32 v3, 31, v2
	v_addc_co_u32_e32 v51, vcc, v1, v5, vcc
	v_lshlrev_b64 v[4:5], 3, v[2:3]
	v_add_u32_e32 v2, s7, v2
	v_add_co_u32_e32 v52, vcc, s4, v4
	v_ashrrev_i32_e32 v3, 31, v2
	v_addc_co_u32_e32 v53, vcc, v1, v5, vcc
	v_lshlrev_b64 v[4:5], 3, v[2:3]
	v_add_u32_e32 v2, s7, v2
	v_add_co_u32_e32 v54, vcc, s4, v4
	v_ashrrev_i32_e32 v3, 31, v2
	v_addc_co_u32_e32 v55, vcc, v1, v5, vcc
	v_lshlrev_b64 v[4:5], 3, v[2:3]
	v_add_u32_e32 v2, s7, v2
	v_add_co_u32_e32 v56, vcc, s4, v4
	v_ashrrev_i32_e32 v3, 31, v2
	v_addc_co_u32_e32 v57, vcc, v1, v5, vcc
	v_lshlrev_b64 v[4:5], 3, v[2:3]
	v_add_u32_e32 v2, s7, v2
	v_add_co_u32_e32 v58, vcc, s4, v4
	v_ashrrev_i32_e32 v3, 31, v2
	v_addc_co_u32_e32 v59, vcc, v1, v5, vcc
	v_lshlrev_b64 v[4:5], 3, v[2:3]
	v_add_u32_e32 v2, s7, v2
	v_add_co_u32_e32 v60, vcc, s4, v4
	v_ashrrev_i32_e32 v3, 31, v2
	v_addc_co_u32_e32 v61, vcc, v1, v5, vcc
	v_lshlrev_b64 v[4:5], 3, v[2:3]
	v_add_u32_e32 v2, s7, v2
	v_add_co_u32_e32 v62, vcc, s4, v4
	v_ashrrev_i32_e32 v3, 31, v2
	v_addc_co_u32_e32 v63, vcc, v1, v5, vcc
	v_lshlrev_b64 v[4:5], 3, v[2:3]
	v_add_u32_e32 v2, s7, v2
	v_add_co_u32_e32 v64, vcc, s4, v4
	v_ashrrev_i32_e32 v3, 31, v2
	v_addc_co_u32_e32 v65, vcc, v1, v5, vcc
	v_lshlrev_b64 v[4:5], 3, v[2:3]
	v_add_u32_e32 v2, s7, v2
	v_add_co_u32_e32 v66, vcc, s4, v4
	v_ashrrev_i32_e32 v3, 31, v2
	v_addc_co_u32_e32 v67, vcc, v1, v5, vcc
	v_lshlrev_b64 v[4:5], 3, v[2:3]
	v_add_u32_e32 v2, s7, v2
	v_add_co_u32_e32 v68, vcc, s4, v4
	v_ashrrev_i32_e32 v3, 31, v2
	v_addc_co_u32_e32 v69, vcc, v1, v5, vcc
	v_lshlrev_b64 v[4:5], 3, v[2:3]
	v_add_u32_e32 v2, s7, v2
	v_add_co_u32_e32 v70, vcc, s4, v4
	v_ashrrev_i32_e32 v3, 31, v2
	v_addc_co_u32_e32 v71, vcc, v1, v5, vcc
	v_lshlrev_b64 v[4:5], 3, v[2:3]
	v_add_u32_e32 v2, s7, v2
	v_add_co_u32_e32 v72, vcc, s4, v4
	v_ashrrev_i32_e32 v3, 31, v2
	v_addc_co_u32_e32 v73, vcc, v1, v5, vcc
	v_lshlrev_b64 v[4:5], 3, v[2:3]
	v_add_u32_e32 v2, s7, v2
	v_add_co_u32_e32 v74, vcc, s4, v4
	v_ashrrev_i32_e32 v3, 31, v2
	v_addc_co_u32_e32 v75, vcc, v1, v5, vcc
	v_lshlrev_b64 v[4:5], 3, v[2:3]
	v_add_u32_e32 v2, s7, v2
	v_add_co_u32_e32 v76, vcc, s4, v4
	v_ashrrev_i32_e32 v3, 31, v2
	v_addc_co_u32_e32 v77, vcc, v1, v5, vcc
	v_lshlrev_b64 v[4:5], 3, v[2:3]
	v_add_u32_e32 v2, s7, v2
	v_add_co_u32_e32 v78, vcc, s4, v4
	v_ashrrev_i32_e32 v3, 31, v2
	v_addc_co_u32_e32 v79, vcc, v1, v5, vcc
	v_lshlrev_b64 v[4:5], 3, v[2:3]
	v_add_u32_e32 v2, s7, v2
	v_add_co_u32_e32 v80, vcc, s4, v4
	v_ashrrev_i32_e32 v3, 31, v2
	v_addc_co_u32_e32 v81, vcc, v1, v5, vcc
	v_lshlrev_b64 v[4:5], 3, v[2:3]
	v_add_co_u32_e32 v82, vcc, s4, v4
	v_addc_co_u32_e32 v83, vcc, v1, v5, vcc
	v_add_co_u32_e32 v86, vcc, s4, v6
	s_ashr_i32 s13, s7, 31
	s_mov_b32 s12, s7
	v_add_u32_e32 v2, s7, v2
	v_addc_co_u32_e32 v87, vcc, 0, v1, vcc
	s_lshl_b64 s[12:13], s[12:13], 3
	v_ashrrev_i32_e32 v3, 31, v2
	v_mov_b32_e32 v1, s13
	v_add_co_u32_e32 v88, vcc, s12, v86
	v_addc_co_u32_e32 v89, vcc, v87, v1, vcc
	v_lshlrev_b64 v[12:13], 3, v[2:3]
	v_add_u32_e32 v2, s7, v2
	v_mov_b32_e32 v1, s5
	v_add_co_u32_e32 v84, vcc, s4, v12
	v_ashrrev_i32_e32 v3, 31, v2
	v_addc_co_u32_e32 v85, vcc, v1, v13, vcc
	v_lshlrev_b64 v[90:91], 3, v[2:3]
	v_add_u32_e32 v2, s7, v2
	v_add_co_u32_e32 v90, vcc, s4, v90
	v_ashrrev_i32_e32 v3, 31, v2
	v_addc_co_u32_e32 v91, vcc, v1, v91, vcc
	v_lshlrev_b64 v[92:93], 3, v[2:3]
	v_add_co_u32_e32 v92, vcc, s4, v92
	global_load_dwordx2 v[4:5], v6, s[4:5]
	global_load_dwordx2 v[10:11], v[16:17], off
	global_load_dwordx2 v[8:9], v[88:89], off
	;; [unrolled: 1-line block ×22, first 2 shown]
	v_addc_co_u32_e32 v93, vcc, v1, v93, vcc
	global_load_dwordx2 v[134:135], v[58:59], off
	global_load_dwordx2 v[136:137], v[60:61], off
	;; [unrolled: 1-line block ×16, first 2 shown]
	v_add_u32_e32 v2, s7, v2
	v_ashrrev_i32_e32 v3, 31, v2
	v_lshlrev_b64 v[94:95], 3, v[2:3]
	v_add_u32_e32 v2, s7, v2
	v_add_co_u32_e32 v94, vcc, s4, v94
	v_ashrrev_i32_e32 v3, 31, v2
	v_addc_co_u32_e32 v95, vcc, v1, v95, vcc
	v_lshlrev_b64 v[2:3], 3, v[2:3]
	v_add_co_u32_e32 v96, vcc, s4, v2
	v_addc_co_u32_e32 v97, vcc, v1, v3, vcc
	global_load_dwordx2 v[2:3], v[94:95], off
	global_load_dwordx2 v[166:167], v[96:97], off
	s_bitcmp0_b32 s20, 0
	s_mov_b64 s[6:7], -1
	s_waitcnt vmcnt(40)
	buffer_store_dword v5, off, s[0:3], 0 offset:4
	buffer_store_dword v4, off, s[0:3], 0
	s_waitcnt vmcnt(40)
	buffer_store_dword v9, off, s[0:3], 0 offset:12
	buffer_store_dword v8, off, s[0:3], 0 offset:8
	;; [unrolled: 1-line block ×4, first 2 shown]
	s_waitcnt vmcnt(43)
	buffer_store_dword v15, off, s[0:3], 0 offset:28
	buffer_store_dword v14, off, s[0:3], 0 offset:24
	s_waitcnt vmcnt(44)
	buffer_store_dword v99, off, s[0:3], 0 offset:36
	buffer_store_dword v98, off, s[0:3], 0 offset:32
	s_waitcnt vmcnt(45)
	buffer_store_dword v101, off, s[0:3], 0 offset:44
	buffer_store_dword v100, off, s[0:3], 0 offset:40
	s_waitcnt vmcnt(46)
	buffer_store_dword v103, off, s[0:3], 0 offset:52
	buffer_store_dword v102, off, s[0:3], 0 offset:48
	s_waitcnt vmcnt(47)
	buffer_store_dword v13, off, s[0:3], 0 offset:60
	buffer_store_dword v12, off, s[0:3], 0 offset:56
	s_waitcnt vmcnt(48)
	buffer_store_dword v105, off, s[0:3], 0 offset:68
	buffer_store_dword v104, off, s[0:3], 0 offset:64
	s_waitcnt vmcnt(49)
	buffer_store_dword v106, off, s[0:3], 0 offset:72
	buffer_store_dword v107, off, s[0:3], 0 offset:76
	s_waitcnt vmcnt(50)
	buffer_store_dword v108, off, s[0:3], 0 offset:80
	buffer_store_dword v109, off, s[0:3], 0 offset:84
	s_waitcnt vmcnt(51)
	buffer_store_dword v110, off, s[0:3], 0 offset:88
	buffer_store_dword v111, off, s[0:3], 0 offset:92
	s_waitcnt vmcnt(52)
	buffer_store_dword v112, off, s[0:3], 0 offset:96
	buffer_store_dword v113, off, s[0:3], 0 offset:100
	s_waitcnt vmcnt(53)
	buffer_store_dword v114, off, s[0:3], 0 offset:104
	buffer_store_dword v115, off, s[0:3], 0 offset:108
	s_waitcnt vmcnt(54)
	buffer_store_dword v117, off, s[0:3], 0 offset:116
	buffer_store_dword v116, off, s[0:3], 0 offset:112
	s_waitcnt vmcnt(55)
	buffer_store_dword v118, off, s[0:3], 0 offset:120
	buffer_store_dword v119, off, s[0:3], 0 offset:124
	s_waitcnt vmcnt(56)
	buffer_store_dword v120, off, s[0:3], 0 offset:128
	buffer_store_dword v121, off, s[0:3], 0 offset:132
	s_waitcnt vmcnt(57)
	buffer_store_dword v122, off, s[0:3], 0 offset:136
	buffer_store_dword v123, off, s[0:3], 0 offset:140
	s_waitcnt vmcnt(58)
	buffer_store_dword v124, off, s[0:3], 0 offset:144
	buffer_store_dword v125, off, s[0:3], 0 offset:148
	s_waitcnt vmcnt(59)
	buffer_store_dword v127, off, s[0:3], 0 offset:156
	buffer_store_dword v126, off, s[0:3], 0 offset:152
	s_waitcnt vmcnt(60)
	buffer_store_dword v129, off, s[0:3], 0 offset:164
	buffer_store_dword v128, off, s[0:3], 0 offset:160
	s_waitcnt vmcnt(61)
	buffer_store_dword v130, off, s[0:3], 0 offset:168
	buffer_store_dword v131, off, s[0:3], 0 offset:172
	s_waitcnt vmcnt(62)
	buffer_store_dword v132, off, s[0:3], 0 offset:176
	buffer_store_dword v133, off, s[0:3], 0 offset:180
	s_waitcnt vmcnt(62)
	buffer_store_dword v134, off, s[0:3], 0 offset:184
	buffer_store_dword v135, off, s[0:3], 0 offset:188
	buffer_store_dword v136, off, s[0:3], 0 offset:192
	buffer_store_dword v137, off, s[0:3], 0 offset:196
	s_waitcnt vmcnt(62)
	buffer_store_dword v139, off, s[0:3], 0 offset:204
	buffer_store_dword v138, off, s[0:3], 0 offset:200
	;; [unrolled: 1-line block ×8, first 2 shown]
	s_waitcnt vmcnt(62)
	buffer_store_dword v146, off, s[0:3], 0 offset:232
	buffer_store_dword v147, off, s[0:3], 0 offset:236
	;; [unrolled: 1-line block ×16, first 2 shown]
	s_waitcnt vmcnt(62)
	buffer_store_dword v163, off, s[0:3], 0 offset:300
	buffer_store_dword v162, off, s[0:3], 0 offset:296
	;; [unrolled: 1-line block ×8, first 2 shown]
	s_cbranch_scc1 .LBB104_176
; %bb.4:
	v_cmp_eq_u32_e64 s[4:5], 0, v0
	s_and_saveexec_b64 s[6:7], s[4:5]
	s_cbranch_execz .LBB104_6
; %bb.5:
	v_mov_b32_e32 v1, 0
	ds_write_b32 v1, v1 offset:328
.LBB104_6:
	s_or_b64 exec, exec, s[6:7]
	v_mov_b32_e32 v1, 0
	v_lshl_add_u32 v7, v0, 3, v1
	s_waitcnt lgkmcnt(0)
	; wave barrier
	s_waitcnt lgkmcnt(0)
	buffer_load_dword v1, v7, s[0:3], 0 offen
	buffer_load_dword v2, v7, s[0:3], 0 offen offset:4
	s_waitcnt vmcnt(1)
	v_cmp_eq_f32_e32 vcc, 0, v1
	s_waitcnt vmcnt(0)
	v_cmp_eq_f32_e64 s[6:7], 0, v2
	s_and_b64 s[6:7], vcc, s[6:7]
	s_and_saveexec_b64 s[12:13], s[6:7]
	s_cbranch_execz .LBB104_10
; %bb.7:
	v_mov_b32_e32 v1, 0
	ds_read_b32 v3, v1 offset:328
	v_add_u32_e32 v2, 1, v0
	s_waitcnt lgkmcnt(0)
	v_readfirstlane_b32 s6, v3
	s_cmp_eq_u32 s6, 0
	s_cselect_b64 s[18:19], -1, 0
	v_cmp_gt_i32_e32 vcc, s6, v2
	s_or_b64 s[18:19], s[18:19], vcc
	s_and_b64 exec, exec, s[18:19]
	s_cbranch_execz .LBB104_10
; %bb.8:
	s_mov_b64 s[18:19], 0
	v_mov_b32_e32 v3, s6
.LBB104_9:                              ; =>This Inner Loop Header: Depth=1
	ds_cmpst_rtn_b32 v3, v1, v3, v2 offset:328
	s_waitcnt lgkmcnt(0)
	v_cmp_ne_u32_e32 vcc, 0, v3
	v_cmp_le_i32_e64 s[6:7], v3, v2
	s_and_b64 s[6:7], vcc, s[6:7]
	s_and_b64 s[6:7], exec, s[6:7]
	s_or_b64 s[18:19], s[6:7], s[18:19]
	s_andn2_b64 exec, exec, s[18:19]
	s_cbranch_execnz .LBB104_9
.LBB104_10:
	s_or_b64 exec, exec, s[12:13]
	v_mov_b32_e32 v2, 0
	s_waitcnt lgkmcnt(0)
	; wave barrier
	ds_read_b32 v1, v2 offset:328
	s_and_saveexec_b64 s[6:7], s[4:5]
	s_cbranch_execz .LBB104_12
; %bb.11:
	s_lshl_b64 s[12:13], s[8:9], 2
	s_add_u32 s12, s14, s12
	s_addc_u32 s13, s15, s13
	s_waitcnt lgkmcnt(0)
	global_store_dword v2, v1, s[12:13]
.LBB104_12:
	s_or_b64 exec, exec, s[6:7]
	s_waitcnt lgkmcnt(0)
	v_cmp_ne_u32_e32 vcc, 0, v1
	s_mov_b64 s[6:7], 0
	s_cbranch_vccnz .LBB104_176
; %bb.13:
	buffer_load_dword v8, v7, s[0:3], 0 offen offset:4
	buffer_load_dword v3, v7, s[0:3], 0 offen
	s_waitcnt vmcnt(1)
	v_cmp_gt_f32_e32 vcc, 0, v8
	v_cndmask_b32_e64 v1, v8, -v8, vcc
	s_waitcnt vmcnt(0)
	v_cmp_gt_f32_e32 vcc, 0, v3
	v_cndmask_b32_e64 v2, v3, -v3, vcc
	v_cmp_ngt_f32_e32 vcc, v2, v1
                                        ; implicit-def: $vgpr1
                                        ; implicit-def: $vgpr2
	s_and_saveexec_b64 s[6:7], vcc
	s_xor_b64 s[6:7], exec, s[6:7]
                                        ; implicit-def: $vgpr4_vgpr5
	s_cbranch_execz .LBB104_15
; %bb.14:
	v_div_scale_f32 v1, s[12:13], v8, v8, v3
	v_rcp_f32_e32 v2, v1
	v_div_scale_f32 v4, vcc, v3, v8, v3
	v_fma_f32 v5, -v1, v2, 1.0
	v_fmac_f32_e32 v2, v5, v2
	v_mul_f32_e32 v5, v4, v2
	v_fma_f32 v9, -v1, v5, v4
	v_fmac_f32_e32 v5, v9, v2
	v_fma_f32 v1, -v1, v5, v4
	v_div_fmas_f32 v1, v1, v2, v5
	v_div_fixup_f32 v2, v1, v8, v3
	v_fmac_f32_e32 v8, v3, v2
	v_div_scale_f32 v1, s[12:13], v8, v8, -1.0
	v_rcp_f32_e32 v3, v1
	v_fma_f32 v4, -v1, v3, 1.0
	v_fmac_f32_e32 v3, v4, v3
	v_div_scale_f32 v4, vcc, -1.0, v8, -1.0
	v_mul_f32_e32 v5, v4, v3
	v_fma_f32 v9, -v1, v5, v4
	v_fmac_f32_e32 v5, v9, v3
	v_fma_f32 v1, -v1, v5, v4
	v_div_fmas_f32 v1, v1, v3, v5
	v_div_fixup_f32 v1, v1, v8, -1.0
	v_mul_f32_e32 v2, v2, v1
	v_xor_b32_e32 v4, 0x80000000, v2
                                        ; implicit-def: $vgpr3
                                        ; implicit-def: $vgpr8
.LBB104_15:
	s_andn2_saveexec_b64 s[6:7], s[6:7]
	s_cbranch_execz .LBB104_17
; %bb.16:
	v_div_scale_f32 v1, s[12:13], v3, v3, v8
	v_rcp_f32_e32 v2, v1
	v_div_scale_f32 v4, vcc, v8, v3, v8
	v_fma_f32 v5, -v1, v2, 1.0
	v_fmac_f32_e32 v2, v5, v2
	v_mul_f32_e32 v5, v4, v2
	v_fma_f32 v9, -v1, v5, v4
	v_fmac_f32_e32 v5, v9, v2
	v_fma_f32 v1, -v1, v5, v4
	v_div_fmas_f32 v1, v1, v2, v5
	v_div_fixup_f32 v1, v1, v3, v8
	v_fmac_f32_e32 v3, v8, v1
	v_div_scale_f32 v2, s[12:13], v3, v3, 1.0
	v_rcp_f32_e32 v4, v2
	v_fma_f32 v5, -v2, v4, 1.0
	v_fmac_f32_e32 v4, v5, v4
	v_div_scale_f32 v5, vcc, 1.0, v3, 1.0
	v_mul_f32_e32 v8, v5, v4
	v_fma_f32 v9, -v2, v8, v5
	v_fmac_f32_e32 v8, v9, v4
	v_fma_f32 v2, -v2, v8, v5
	v_div_fmas_f32 v2, v2, v4, v8
	v_div_fixup_f32 v4, v2, v3, 1.0
	v_xor_b32_e32 v2, 0x80000000, v4
	v_mul_f32_e64 v1, v1, -v4
.LBB104_17:
	s_or_b64 exec, exec, s[6:7]
	buffer_store_dword v1, v7, s[0:3], 0 offen offset:4
	buffer_store_dword v4, v7, s[0:3], 0 offen
	buffer_load_dword v5, off, s[0:3], 0 offset:12
	s_nop 0
	buffer_load_dword v4, off, s[0:3], 0 offset:8
	v_xor_b32_e32 v3, 0x80000000, v1
	v_add_u32_e32 v1, 0x150, v6
	s_waitcnt vmcnt(0)
	ds_write2_b64 v6, v[2:3], v[4:5] offset1:42
	s_waitcnt lgkmcnt(0)
	; wave barrier
	s_waitcnt lgkmcnt(0)
	s_and_saveexec_b64 s[6:7], s[4:5]
	s_cbranch_execz .LBB104_19
; %bb.18:
	buffer_load_dword v8, v7, s[0:3], 0 offen offset:4
	buffer_load_dword v9, v7, s[0:3], 0 offen
	ds_read_b64 v[2:3], v1
	v_mov_b32_e32 v4, 0
	ds_read_b64 v[4:5], v4 offset:8
	s_waitcnt vmcnt(1) lgkmcnt(1)
	v_mul_f32_e32 v10, v3, v8
	v_mul_f32_e32 v8, v2, v8
	s_waitcnt vmcnt(0)
	v_fmac_f32_e32 v8, v3, v9
	v_fma_f32 v2, v2, v9, -v10
	v_add_f32_e32 v3, 0, v8
	v_add_f32_e32 v2, 0, v2
	s_waitcnt lgkmcnt(0)
	v_mul_f32_e32 v8, v3, v5
	v_mul_f32_e32 v5, v2, v5
	v_fma_f32 v2, v2, v4, -v8
	v_fmac_f32_e32 v5, v3, v4
	buffer_store_dword v2, off, s[0:3], 0 offset:8
	buffer_store_dword v5, off, s[0:3], 0 offset:12
.LBB104_19:
	s_or_b64 exec, exec, s[6:7]
	s_waitcnt lgkmcnt(0)
	; wave barrier
	buffer_load_dword v2, off, s[0:3], 0 offset:16
	buffer_load_dword v3, off, s[0:3], 0 offset:20
	v_cmp_gt_u32_e32 vcc, 2, v0
	s_waitcnt vmcnt(0)
	ds_write_b64 v1, v[2:3]
	s_waitcnt lgkmcnt(0)
	; wave barrier
	s_waitcnt lgkmcnt(0)
	s_and_saveexec_b64 s[6:7], vcc
	s_cbranch_execz .LBB104_23
; %bb.20:
	buffer_load_dword v4, v7, s[0:3], 0 offen offset:4
	buffer_load_dword v5, v7, s[0:3], 0 offen
	ds_read_b64 v[2:3], v1
	s_waitcnt vmcnt(1) lgkmcnt(0)
	v_mul_f32_e32 v7, v3, v4
	v_mul_f32_e32 v4, v2, v4
	s_waitcnt vmcnt(0)
	v_fma_f32 v2, v2, v5, -v7
	v_fmac_f32_e32 v4, v3, v5
	v_add_f32_e32 v3, 0, v2
	v_add_f32_e32 v2, 0, v4
	s_and_saveexec_b64 s[12:13], s[4:5]
	s_cbranch_execz .LBB104_22
; %bb.21:
	buffer_load_dword v7, off, s[0:3], 0 offset:12
	buffer_load_dword v8, off, s[0:3], 0 offset:8
	v_mov_b32_e32 v4, 0
	ds_read_b64 v[4:5], v4 offset:344
	s_waitcnt vmcnt(1) lgkmcnt(0)
	v_mul_f32_e32 v9, v4, v7
	v_mul_f32_e32 v7, v5, v7
	s_waitcnt vmcnt(0)
	v_fmac_f32_e32 v9, v5, v8
	v_fma_f32 v4, v4, v8, -v7
	v_add_f32_e32 v2, v2, v9
	v_add_f32_e32 v3, v3, v4
.LBB104_22:
	s_or_b64 exec, exec, s[12:13]
	v_mov_b32_e32 v4, 0
	ds_read_b64 v[4:5], v4 offset:16
	s_waitcnt lgkmcnt(0)
	v_mul_f32_e32 v7, v2, v5
	v_mul_f32_e32 v5, v3, v5
	v_fma_f32 v3, v3, v4, -v7
	v_fmac_f32_e32 v5, v2, v4
	buffer_store_dword v3, off, s[0:3], 0 offset:16
	buffer_store_dword v5, off, s[0:3], 0 offset:20
.LBB104_23:
	s_or_b64 exec, exec, s[6:7]
	s_waitcnt lgkmcnt(0)
	; wave barrier
	buffer_load_dword v2, off, s[0:3], 0 offset:24
	buffer_load_dword v3, off, s[0:3], 0 offset:28
	v_cmp_gt_u32_e32 vcc, 3, v0
	s_waitcnt vmcnt(0)
	ds_write_b64 v1, v[2:3]
	v_add_u32_e32 v2, -1, v0
	s_waitcnt lgkmcnt(0)
	; wave barrier
	s_waitcnt lgkmcnt(0)
	s_and_saveexec_b64 s[4:5], vcc
	s_cbranch_execz .LBB104_27
; %bb.24:
	v_add_u32_e32 v4, -1, v0
	v_add_u32_e32 v5, 0x150, v6
	v_add_u32_e32 v7, 0, v6
	s_mov_b64 s[6:7], 0
	v_mov_b32_e32 v3, 0
	v_mov_b32_e32 v8, 0
.LBB104_25:                             ; =>This Inner Loop Header: Depth=1
	buffer_load_dword v9, v7, s[0:3], 0 offen offset:4
	buffer_load_dword v12, v7, s[0:3], 0 offen
	ds_read_b64 v[10:11], v5
	v_add_u32_e32 v4, 1, v4
	v_cmp_lt_u32_e32 vcc, 1, v4
	v_add_u32_e32 v5, 8, v5
	v_add_u32_e32 v7, 8, v7
	s_or_b64 s[6:7], vcc, s[6:7]
	s_waitcnt vmcnt(1) lgkmcnt(0)
	v_mul_f32_e32 v13, v11, v9
	v_mul_f32_e32 v9, v10, v9
	s_waitcnt vmcnt(0)
	v_fma_f32 v10, v10, v12, -v13
	v_fmac_f32_e32 v9, v11, v12
	v_add_f32_e32 v8, v8, v10
	v_add_f32_e32 v3, v3, v9
	s_andn2_b64 exec, exec, s[6:7]
	s_cbranch_execnz .LBB104_25
; %bb.26:
	s_or_b64 exec, exec, s[6:7]
	v_mov_b32_e32 v4, 0
	ds_read_b64 v[4:5], v4 offset:24
	s_waitcnt lgkmcnt(0)
	v_mul_f32_e32 v7, v3, v5
	v_mul_f32_e32 v5, v8, v5
	v_fma_f32 v7, v8, v4, -v7
	v_fmac_f32_e32 v5, v3, v4
	buffer_store_dword v7, off, s[0:3], 0 offset:24
	buffer_store_dword v5, off, s[0:3], 0 offset:28
.LBB104_27:
	s_or_b64 exec, exec, s[4:5]
	s_waitcnt lgkmcnt(0)
	; wave barrier
	buffer_load_dword v4, off, s[0:3], 0 offset:32
	buffer_load_dword v5, off, s[0:3], 0 offset:36
	v_cmp_gt_u32_e32 vcc, 4, v0
	s_waitcnt vmcnt(0)
	ds_write_b64 v1, v[4:5]
	s_waitcnt lgkmcnt(0)
	; wave barrier
	s_waitcnt lgkmcnt(0)
	s_and_saveexec_b64 s[4:5], vcc
	s_cbranch_execz .LBB104_31
; %bb.28:
	v_add_u32_e32 v4, -1, v0
	v_add_u32_e32 v5, 0x150, v6
	v_add_u32_e32 v7, 0, v6
	s_mov_b64 s[6:7], 0
	v_mov_b32_e32 v3, 0
	v_mov_b32_e32 v8, 0
.LBB104_29:                             ; =>This Inner Loop Header: Depth=1
	buffer_load_dword v9, v7, s[0:3], 0 offen offset:4
	buffer_load_dword v12, v7, s[0:3], 0 offen
	ds_read_b64 v[10:11], v5
	v_add_u32_e32 v4, 1, v4
	v_cmp_lt_u32_e32 vcc, 2, v4
	v_add_u32_e32 v5, 8, v5
	v_add_u32_e32 v7, 8, v7
	s_or_b64 s[6:7], vcc, s[6:7]
	s_waitcnt vmcnt(1) lgkmcnt(0)
	v_mul_f32_e32 v13, v11, v9
	v_mul_f32_e32 v9, v10, v9
	s_waitcnt vmcnt(0)
	v_fma_f32 v10, v10, v12, -v13
	v_fmac_f32_e32 v9, v11, v12
	v_add_f32_e32 v8, v8, v10
	v_add_f32_e32 v3, v3, v9
	s_andn2_b64 exec, exec, s[6:7]
	s_cbranch_execnz .LBB104_29
; %bb.30:
	s_or_b64 exec, exec, s[6:7]
	v_mov_b32_e32 v4, 0
	ds_read_b64 v[4:5], v4 offset:32
	s_waitcnt lgkmcnt(0)
	v_mul_f32_e32 v7, v3, v5
	v_mul_f32_e32 v5, v8, v5
	v_fma_f32 v7, v8, v4, -v7
	v_fmac_f32_e32 v5, v3, v4
	buffer_store_dword v7, off, s[0:3], 0 offset:32
	buffer_store_dword v5, off, s[0:3], 0 offset:36
.LBB104_31:
	s_or_b64 exec, exec, s[4:5]
	s_waitcnt lgkmcnt(0)
	; wave barrier
	buffer_load_dword v4, off, s[0:3], 0 offset:40
	buffer_load_dword v5, off, s[0:3], 0 offset:44
	v_cmp_gt_u32_e32 vcc, 5, v0
	s_waitcnt vmcnt(0)
	ds_write_b64 v1, v[4:5]
	s_waitcnt lgkmcnt(0)
	; wave barrier
	s_waitcnt lgkmcnt(0)
	s_and_saveexec_b64 s[4:5], vcc
	s_cbranch_execz .LBB104_35
; %bb.32:
	v_add_u32_e32 v4, -1, v0
	v_add_u32_e32 v5, 0x150, v6
	v_add_u32_e32 v7, 0, v6
	s_mov_b64 s[6:7], 0
	v_mov_b32_e32 v3, 0
	v_mov_b32_e32 v8, 0
.LBB104_33:                             ; =>This Inner Loop Header: Depth=1
	buffer_load_dword v9, v7, s[0:3], 0 offen offset:4
	buffer_load_dword v12, v7, s[0:3], 0 offen
	ds_read_b64 v[10:11], v5
	v_add_u32_e32 v4, 1, v4
	v_cmp_lt_u32_e32 vcc, 3, v4
	v_add_u32_e32 v5, 8, v5
	v_add_u32_e32 v7, 8, v7
	s_or_b64 s[6:7], vcc, s[6:7]
	s_waitcnt vmcnt(1) lgkmcnt(0)
	v_mul_f32_e32 v13, v11, v9
	v_mul_f32_e32 v9, v10, v9
	s_waitcnt vmcnt(0)
	v_fma_f32 v10, v10, v12, -v13
	v_fmac_f32_e32 v9, v11, v12
	v_add_f32_e32 v8, v8, v10
	v_add_f32_e32 v3, v3, v9
	s_andn2_b64 exec, exec, s[6:7]
	s_cbranch_execnz .LBB104_33
; %bb.34:
	s_or_b64 exec, exec, s[6:7]
	v_mov_b32_e32 v4, 0
	ds_read_b64 v[4:5], v4 offset:40
	s_waitcnt lgkmcnt(0)
	v_mul_f32_e32 v7, v3, v5
	v_mul_f32_e32 v5, v8, v5
	v_fma_f32 v7, v8, v4, -v7
	v_fmac_f32_e32 v5, v3, v4
	buffer_store_dword v7, off, s[0:3], 0 offset:40
	buffer_store_dword v5, off, s[0:3], 0 offset:44
.LBB104_35:
	s_or_b64 exec, exec, s[4:5]
	s_waitcnt lgkmcnt(0)
	; wave barrier
	buffer_load_dword v4, off, s[0:3], 0 offset:48
	buffer_load_dword v5, off, s[0:3], 0 offset:52
	v_cmp_gt_u32_e32 vcc, 6, v0
	s_waitcnt vmcnt(0)
	ds_write_b64 v1, v[4:5]
	s_waitcnt lgkmcnt(0)
	; wave barrier
	s_waitcnt lgkmcnt(0)
	s_and_saveexec_b64 s[4:5], vcc
	s_cbranch_execz .LBB104_39
; %bb.36:
	v_add_u32_e32 v4, -1, v0
	v_add_u32_e32 v5, 0x150, v6
	v_add_u32_e32 v7, 0, v6
	s_mov_b64 s[6:7], 0
	v_mov_b32_e32 v3, 0
	v_mov_b32_e32 v8, 0
.LBB104_37:                             ; =>This Inner Loop Header: Depth=1
	buffer_load_dword v9, v7, s[0:3], 0 offen offset:4
	buffer_load_dword v12, v7, s[0:3], 0 offen
	ds_read_b64 v[10:11], v5
	v_add_u32_e32 v4, 1, v4
	v_cmp_lt_u32_e32 vcc, 4, v4
	v_add_u32_e32 v5, 8, v5
	v_add_u32_e32 v7, 8, v7
	s_or_b64 s[6:7], vcc, s[6:7]
	s_waitcnt vmcnt(1) lgkmcnt(0)
	v_mul_f32_e32 v13, v11, v9
	v_mul_f32_e32 v9, v10, v9
	s_waitcnt vmcnt(0)
	v_fma_f32 v10, v10, v12, -v13
	v_fmac_f32_e32 v9, v11, v12
	v_add_f32_e32 v8, v8, v10
	v_add_f32_e32 v3, v3, v9
	s_andn2_b64 exec, exec, s[6:7]
	s_cbranch_execnz .LBB104_37
; %bb.38:
	s_or_b64 exec, exec, s[6:7]
	v_mov_b32_e32 v4, 0
	ds_read_b64 v[4:5], v4 offset:48
	s_waitcnt lgkmcnt(0)
	v_mul_f32_e32 v7, v3, v5
	v_mul_f32_e32 v5, v8, v5
	v_fma_f32 v7, v8, v4, -v7
	v_fmac_f32_e32 v5, v3, v4
	buffer_store_dword v7, off, s[0:3], 0 offset:48
	buffer_store_dword v5, off, s[0:3], 0 offset:52
.LBB104_39:
	s_or_b64 exec, exec, s[4:5]
	s_waitcnt lgkmcnt(0)
	; wave barrier
	buffer_load_dword v4, off, s[0:3], 0 offset:56
	buffer_load_dword v5, off, s[0:3], 0 offset:60
	v_cmp_gt_u32_e32 vcc, 7, v0
	s_waitcnt vmcnt(0)
	ds_write_b64 v1, v[4:5]
	s_waitcnt lgkmcnt(0)
	; wave barrier
	s_waitcnt lgkmcnt(0)
	s_and_saveexec_b64 s[4:5], vcc
	s_cbranch_execz .LBB104_43
; %bb.40:
	v_add_u32_e32 v4, -1, v0
	v_add_u32_e32 v5, 0x150, v6
	v_add_u32_e32 v7, 0, v6
	s_mov_b64 s[6:7], 0
	v_mov_b32_e32 v3, 0
	v_mov_b32_e32 v8, 0
.LBB104_41:                             ; =>This Inner Loop Header: Depth=1
	buffer_load_dword v9, v7, s[0:3], 0 offen offset:4
	buffer_load_dword v12, v7, s[0:3], 0 offen
	ds_read_b64 v[10:11], v5
	v_add_u32_e32 v4, 1, v4
	v_cmp_lt_u32_e32 vcc, 5, v4
	v_add_u32_e32 v5, 8, v5
	v_add_u32_e32 v7, 8, v7
	s_or_b64 s[6:7], vcc, s[6:7]
	s_waitcnt vmcnt(1) lgkmcnt(0)
	v_mul_f32_e32 v13, v11, v9
	v_mul_f32_e32 v9, v10, v9
	s_waitcnt vmcnt(0)
	v_fma_f32 v10, v10, v12, -v13
	v_fmac_f32_e32 v9, v11, v12
	v_add_f32_e32 v8, v8, v10
	v_add_f32_e32 v3, v3, v9
	s_andn2_b64 exec, exec, s[6:7]
	s_cbranch_execnz .LBB104_41
; %bb.42:
	s_or_b64 exec, exec, s[6:7]
	v_mov_b32_e32 v4, 0
	ds_read_b64 v[4:5], v4 offset:56
	s_waitcnt lgkmcnt(0)
	v_mul_f32_e32 v7, v3, v5
	v_mul_f32_e32 v5, v8, v5
	v_fma_f32 v7, v8, v4, -v7
	v_fmac_f32_e32 v5, v3, v4
	buffer_store_dword v7, off, s[0:3], 0 offset:56
	buffer_store_dword v5, off, s[0:3], 0 offset:60
.LBB104_43:
	s_or_b64 exec, exec, s[4:5]
	s_waitcnt lgkmcnt(0)
	; wave barrier
	buffer_load_dword v4, off, s[0:3], 0 offset:64
	buffer_load_dword v5, off, s[0:3], 0 offset:68
	v_cmp_gt_u32_e32 vcc, 8, v0
	s_waitcnt vmcnt(0)
	ds_write_b64 v1, v[4:5]
	s_waitcnt lgkmcnt(0)
	; wave barrier
	s_waitcnt lgkmcnt(0)
	s_and_saveexec_b64 s[4:5], vcc
	s_cbranch_execz .LBB104_47
; %bb.44:
	v_add_u32_e32 v4, -1, v0
	v_add_u32_e32 v5, 0x150, v6
	v_add_u32_e32 v7, 0, v6
	s_mov_b64 s[6:7], 0
	v_mov_b32_e32 v3, 0
	v_mov_b32_e32 v8, 0
.LBB104_45:                             ; =>This Inner Loop Header: Depth=1
	buffer_load_dword v9, v7, s[0:3], 0 offen offset:4
	buffer_load_dword v12, v7, s[0:3], 0 offen
	ds_read_b64 v[10:11], v5
	v_add_u32_e32 v4, 1, v4
	v_cmp_lt_u32_e32 vcc, 6, v4
	v_add_u32_e32 v5, 8, v5
	v_add_u32_e32 v7, 8, v7
	s_or_b64 s[6:7], vcc, s[6:7]
	s_waitcnt vmcnt(1) lgkmcnt(0)
	v_mul_f32_e32 v13, v11, v9
	v_mul_f32_e32 v9, v10, v9
	s_waitcnt vmcnt(0)
	v_fma_f32 v10, v10, v12, -v13
	v_fmac_f32_e32 v9, v11, v12
	v_add_f32_e32 v8, v8, v10
	v_add_f32_e32 v3, v3, v9
	s_andn2_b64 exec, exec, s[6:7]
	s_cbranch_execnz .LBB104_45
; %bb.46:
	s_or_b64 exec, exec, s[6:7]
	v_mov_b32_e32 v4, 0
	ds_read_b64 v[4:5], v4 offset:64
	s_waitcnt lgkmcnt(0)
	v_mul_f32_e32 v7, v3, v5
	v_mul_f32_e32 v5, v8, v5
	v_fma_f32 v7, v8, v4, -v7
	v_fmac_f32_e32 v5, v3, v4
	buffer_store_dword v7, off, s[0:3], 0 offset:64
	buffer_store_dword v5, off, s[0:3], 0 offset:68
.LBB104_47:
	s_or_b64 exec, exec, s[4:5]
	s_waitcnt lgkmcnt(0)
	; wave barrier
	buffer_load_dword v4, off, s[0:3], 0 offset:72
	buffer_load_dword v5, off, s[0:3], 0 offset:76
	v_cmp_gt_u32_e32 vcc, 9, v0
	s_waitcnt vmcnt(0)
	ds_write_b64 v1, v[4:5]
	s_waitcnt lgkmcnt(0)
	; wave barrier
	s_waitcnt lgkmcnt(0)
	s_and_saveexec_b64 s[4:5], vcc
	s_cbranch_execz .LBB104_51
; %bb.48:
	v_add_u32_e32 v4, -1, v0
	v_add_u32_e32 v5, 0x150, v6
	v_add_u32_e32 v7, 0, v6
	s_mov_b64 s[6:7], 0
	v_mov_b32_e32 v3, 0
	v_mov_b32_e32 v8, 0
.LBB104_49:                             ; =>This Inner Loop Header: Depth=1
	buffer_load_dword v9, v7, s[0:3], 0 offen offset:4
	buffer_load_dword v12, v7, s[0:3], 0 offen
	ds_read_b64 v[10:11], v5
	v_add_u32_e32 v4, 1, v4
	v_cmp_lt_u32_e32 vcc, 7, v4
	v_add_u32_e32 v5, 8, v5
	v_add_u32_e32 v7, 8, v7
	s_or_b64 s[6:7], vcc, s[6:7]
	s_waitcnt vmcnt(1) lgkmcnt(0)
	v_mul_f32_e32 v13, v11, v9
	v_mul_f32_e32 v9, v10, v9
	s_waitcnt vmcnt(0)
	v_fma_f32 v10, v10, v12, -v13
	v_fmac_f32_e32 v9, v11, v12
	v_add_f32_e32 v8, v8, v10
	v_add_f32_e32 v3, v3, v9
	s_andn2_b64 exec, exec, s[6:7]
	s_cbranch_execnz .LBB104_49
; %bb.50:
	s_or_b64 exec, exec, s[6:7]
	v_mov_b32_e32 v4, 0
	ds_read_b64 v[4:5], v4 offset:72
	s_waitcnt lgkmcnt(0)
	v_mul_f32_e32 v7, v3, v5
	v_mul_f32_e32 v5, v8, v5
	v_fma_f32 v7, v8, v4, -v7
	v_fmac_f32_e32 v5, v3, v4
	buffer_store_dword v7, off, s[0:3], 0 offset:72
	buffer_store_dword v5, off, s[0:3], 0 offset:76
.LBB104_51:
	s_or_b64 exec, exec, s[4:5]
	s_waitcnt lgkmcnt(0)
	; wave barrier
	buffer_load_dword v4, off, s[0:3], 0 offset:80
	buffer_load_dword v5, off, s[0:3], 0 offset:84
	v_cmp_gt_u32_e32 vcc, 10, v0
	s_waitcnt vmcnt(0)
	ds_write_b64 v1, v[4:5]
	s_waitcnt lgkmcnt(0)
	; wave barrier
	s_waitcnt lgkmcnt(0)
	s_and_saveexec_b64 s[4:5], vcc
	s_cbranch_execz .LBB104_55
; %bb.52:
	v_add_u32_e32 v4, -1, v0
	v_add_u32_e32 v5, 0x150, v6
	v_add_u32_e32 v7, 0, v6
	s_mov_b64 s[6:7], 0
	v_mov_b32_e32 v3, 0
	v_mov_b32_e32 v8, 0
.LBB104_53:                             ; =>This Inner Loop Header: Depth=1
	buffer_load_dword v9, v7, s[0:3], 0 offen offset:4
	buffer_load_dword v12, v7, s[0:3], 0 offen
	ds_read_b64 v[10:11], v5
	v_add_u32_e32 v4, 1, v4
	v_cmp_lt_u32_e32 vcc, 8, v4
	v_add_u32_e32 v5, 8, v5
	v_add_u32_e32 v7, 8, v7
	s_or_b64 s[6:7], vcc, s[6:7]
	s_waitcnt vmcnt(1) lgkmcnt(0)
	v_mul_f32_e32 v13, v11, v9
	v_mul_f32_e32 v9, v10, v9
	s_waitcnt vmcnt(0)
	v_fma_f32 v10, v10, v12, -v13
	v_fmac_f32_e32 v9, v11, v12
	v_add_f32_e32 v8, v8, v10
	v_add_f32_e32 v3, v3, v9
	s_andn2_b64 exec, exec, s[6:7]
	s_cbranch_execnz .LBB104_53
; %bb.54:
	s_or_b64 exec, exec, s[6:7]
	v_mov_b32_e32 v4, 0
	ds_read_b64 v[4:5], v4 offset:80
	s_waitcnt lgkmcnt(0)
	v_mul_f32_e32 v7, v3, v5
	v_mul_f32_e32 v5, v8, v5
	v_fma_f32 v7, v8, v4, -v7
	v_fmac_f32_e32 v5, v3, v4
	buffer_store_dword v7, off, s[0:3], 0 offset:80
	buffer_store_dword v5, off, s[0:3], 0 offset:84
.LBB104_55:
	s_or_b64 exec, exec, s[4:5]
	s_waitcnt lgkmcnt(0)
	; wave barrier
	buffer_load_dword v4, off, s[0:3], 0 offset:88
	buffer_load_dword v5, off, s[0:3], 0 offset:92
	v_cmp_gt_u32_e32 vcc, 11, v0
	s_waitcnt vmcnt(0)
	ds_write_b64 v1, v[4:5]
	s_waitcnt lgkmcnt(0)
	; wave barrier
	s_waitcnt lgkmcnt(0)
	s_and_saveexec_b64 s[4:5], vcc
	s_cbranch_execz .LBB104_59
; %bb.56:
	v_add_u32_e32 v4, -1, v0
	v_add_u32_e32 v5, 0x150, v6
	v_add_u32_e32 v7, 0, v6
	s_mov_b64 s[6:7], 0
	v_mov_b32_e32 v3, 0
	v_mov_b32_e32 v8, 0
.LBB104_57:                             ; =>This Inner Loop Header: Depth=1
	buffer_load_dword v9, v7, s[0:3], 0 offen offset:4
	buffer_load_dword v12, v7, s[0:3], 0 offen
	ds_read_b64 v[10:11], v5
	v_add_u32_e32 v4, 1, v4
	v_cmp_lt_u32_e32 vcc, 9, v4
	v_add_u32_e32 v5, 8, v5
	v_add_u32_e32 v7, 8, v7
	s_or_b64 s[6:7], vcc, s[6:7]
	s_waitcnt vmcnt(1) lgkmcnt(0)
	v_mul_f32_e32 v13, v11, v9
	v_mul_f32_e32 v9, v10, v9
	s_waitcnt vmcnt(0)
	v_fma_f32 v10, v10, v12, -v13
	v_fmac_f32_e32 v9, v11, v12
	v_add_f32_e32 v8, v8, v10
	v_add_f32_e32 v3, v3, v9
	s_andn2_b64 exec, exec, s[6:7]
	s_cbranch_execnz .LBB104_57
; %bb.58:
	s_or_b64 exec, exec, s[6:7]
	v_mov_b32_e32 v4, 0
	ds_read_b64 v[4:5], v4 offset:88
	s_waitcnt lgkmcnt(0)
	v_mul_f32_e32 v7, v3, v5
	v_mul_f32_e32 v5, v8, v5
	v_fma_f32 v7, v8, v4, -v7
	v_fmac_f32_e32 v5, v3, v4
	buffer_store_dword v7, off, s[0:3], 0 offset:88
	buffer_store_dword v5, off, s[0:3], 0 offset:92
.LBB104_59:
	s_or_b64 exec, exec, s[4:5]
	s_waitcnt lgkmcnt(0)
	; wave barrier
	buffer_load_dword v4, off, s[0:3], 0 offset:96
	buffer_load_dword v5, off, s[0:3], 0 offset:100
	v_cmp_gt_u32_e32 vcc, 12, v0
	s_waitcnt vmcnt(0)
	ds_write_b64 v1, v[4:5]
	s_waitcnt lgkmcnt(0)
	; wave barrier
	s_waitcnt lgkmcnt(0)
	s_and_saveexec_b64 s[4:5], vcc
	s_cbranch_execz .LBB104_63
; %bb.60:
	v_add_u32_e32 v4, -1, v0
	v_add_u32_e32 v5, 0x150, v6
	v_add_u32_e32 v7, 0, v6
	s_mov_b64 s[6:7], 0
	v_mov_b32_e32 v3, 0
	v_mov_b32_e32 v8, 0
.LBB104_61:                             ; =>This Inner Loop Header: Depth=1
	buffer_load_dword v9, v7, s[0:3], 0 offen offset:4
	buffer_load_dword v12, v7, s[0:3], 0 offen
	ds_read_b64 v[10:11], v5
	v_add_u32_e32 v4, 1, v4
	v_cmp_lt_u32_e32 vcc, 10, v4
	v_add_u32_e32 v5, 8, v5
	v_add_u32_e32 v7, 8, v7
	s_or_b64 s[6:7], vcc, s[6:7]
	s_waitcnt vmcnt(1) lgkmcnt(0)
	v_mul_f32_e32 v13, v11, v9
	v_mul_f32_e32 v9, v10, v9
	s_waitcnt vmcnt(0)
	v_fma_f32 v10, v10, v12, -v13
	v_fmac_f32_e32 v9, v11, v12
	v_add_f32_e32 v8, v8, v10
	v_add_f32_e32 v3, v3, v9
	s_andn2_b64 exec, exec, s[6:7]
	s_cbranch_execnz .LBB104_61
; %bb.62:
	s_or_b64 exec, exec, s[6:7]
	v_mov_b32_e32 v4, 0
	ds_read_b64 v[4:5], v4 offset:96
	s_waitcnt lgkmcnt(0)
	v_mul_f32_e32 v7, v3, v5
	v_mul_f32_e32 v5, v8, v5
	v_fma_f32 v7, v8, v4, -v7
	v_fmac_f32_e32 v5, v3, v4
	buffer_store_dword v7, off, s[0:3], 0 offset:96
	buffer_store_dword v5, off, s[0:3], 0 offset:100
.LBB104_63:
	s_or_b64 exec, exec, s[4:5]
	s_waitcnt lgkmcnt(0)
	; wave barrier
	buffer_load_dword v4, off, s[0:3], 0 offset:104
	buffer_load_dword v5, off, s[0:3], 0 offset:108
	v_cmp_gt_u32_e32 vcc, 13, v0
	s_waitcnt vmcnt(0)
	ds_write_b64 v1, v[4:5]
	s_waitcnt lgkmcnt(0)
	; wave barrier
	s_waitcnt lgkmcnt(0)
	s_and_saveexec_b64 s[4:5], vcc
	s_cbranch_execz .LBB104_67
; %bb.64:
	v_add_u32_e32 v4, -1, v0
	v_add_u32_e32 v5, 0x150, v6
	v_add_u32_e32 v7, 0, v6
	s_mov_b64 s[6:7], 0
	v_mov_b32_e32 v3, 0
	v_mov_b32_e32 v8, 0
.LBB104_65:                             ; =>This Inner Loop Header: Depth=1
	buffer_load_dword v9, v7, s[0:3], 0 offen offset:4
	buffer_load_dword v12, v7, s[0:3], 0 offen
	ds_read_b64 v[10:11], v5
	v_add_u32_e32 v4, 1, v4
	v_cmp_lt_u32_e32 vcc, 11, v4
	v_add_u32_e32 v5, 8, v5
	v_add_u32_e32 v7, 8, v7
	s_or_b64 s[6:7], vcc, s[6:7]
	s_waitcnt vmcnt(1) lgkmcnt(0)
	v_mul_f32_e32 v13, v11, v9
	v_mul_f32_e32 v9, v10, v9
	s_waitcnt vmcnt(0)
	v_fma_f32 v10, v10, v12, -v13
	v_fmac_f32_e32 v9, v11, v12
	v_add_f32_e32 v8, v8, v10
	v_add_f32_e32 v3, v3, v9
	s_andn2_b64 exec, exec, s[6:7]
	s_cbranch_execnz .LBB104_65
; %bb.66:
	s_or_b64 exec, exec, s[6:7]
	v_mov_b32_e32 v4, 0
	ds_read_b64 v[4:5], v4 offset:104
	s_waitcnt lgkmcnt(0)
	v_mul_f32_e32 v7, v3, v5
	v_mul_f32_e32 v5, v8, v5
	v_fma_f32 v7, v8, v4, -v7
	v_fmac_f32_e32 v5, v3, v4
	buffer_store_dword v7, off, s[0:3], 0 offset:104
	buffer_store_dword v5, off, s[0:3], 0 offset:108
.LBB104_67:
	s_or_b64 exec, exec, s[4:5]
	s_waitcnt lgkmcnt(0)
	; wave barrier
	buffer_load_dword v4, off, s[0:3], 0 offset:112
	buffer_load_dword v5, off, s[0:3], 0 offset:116
	v_cmp_gt_u32_e32 vcc, 14, v0
	s_waitcnt vmcnt(0)
	ds_write_b64 v1, v[4:5]
	s_waitcnt lgkmcnt(0)
	; wave barrier
	s_waitcnt lgkmcnt(0)
	s_and_saveexec_b64 s[4:5], vcc
	s_cbranch_execz .LBB104_71
; %bb.68:
	v_add_u32_e32 v4, -1, v0
	v_add_u32_e32 v5, 0x150, v6
	v_add_u32_e32 v7, 0, v6
	s_mov_b64 s[6:7], 0
	v_mov_b32_e32 v3, 0
	v_mov_b32_e32 v8, 0
.LBB104_69:                             ; =>This Inner Loop Header: Depth=1
	buffer_load_dword v9, v7, s[0:3], 0 offen offset:4
	buffer_load_dword v12, v7, s[0:3], 0 offen
	ds_read_b64 v[10:11], v5
	v_add_u32_e32 v4, 1, v4
	v_cmp_lt_u32_e32 vcc, 12, v4
	v_add_u32_e32 v5, 8, v5
	v_add_u32_e32 v7, 8, v7
	s_or_b64 s[6:7], vcc, s[6:7]
	s_waitcnt vmcnt(1) lgkmcnt(0)
	v_mul_f32_e32 v13, v11, v9
	v_mul_f32_e32 v9, v10, v9
	s_waitcnt vmcnt(0)
	v_fma_f32 v10, v10, v12, -v13
	v_fmac_f32_e32 v9, v11, v12
	v_add_f32_e32 v8, v8, v10
	v_add_f32_e32 v3, v3, v9
	s_andn2_b64 exec, exec, s[6:7]
	s_cbranch_execnz .LBB104_69
; %bb.70:
	s_or_b64 exec, exec, s[6:7]
	v_mov_b32_e32 v4, 0
	ds_read_b64 v[4:5], v4 offset:112
	s_waitcnt lgkmcnt(0)
	v_mul_f32_e32 v7, v3, v5
	v_mul_f32_e32 v5, v8, v5
	v_fma_f32 v7, v8, v4, -v7
	v_fmac_f32_e32 v5, v3, v4
	buffer_store_dword v7, off, s[0:3], 0 offset:112
	buffer_store_dword v5, off, s[0:3], 0 offset:116
.LBB104_71:
	s_or_b64 exec, exec, s[4:5]
	s_waitcnt lgkmcnt(0)
	; wave barrier
	buffer_load_dword v4, off, s[0:3], 0 offset:120
	buffer_load_dword v5, off, s[0:3], 0 offset:124
	v_cmp_gt_u32_e32 vcc, 15, v0
	s_waitcnt vmcnt(0)
	ds_write_b64 v1, v[4:5]
	s_waitcnt lgkmcnt(0)
	; wave barrier
	s_waitcnt lgkmcnt(0)
	s_and_saveexec_b64 s[4:5], vcc
	s_cbranch_execz .LBB104_75
; %bb.72:
	v_add_u32_e32 v4, -1, v0
	v_add_u32_e32 v5, 0x150, v6
	v_add_u32_e32 v7, 0, v6
	s_mov_b64 s[6:7], 0
	v_mov_b32_e32 v3, 0
	v_mov_b32_e32 v8, 0
.LBB104_73:                             ; =>This Inner Loop Header: Depth=1
	buffer_load_dword v9, v7, s[0:3], 0 offen offset:4
	buffer_load_dword v12, v7, s[0:3], 0 offen
	ds_read_b64 v[10:11], v5
	v_add_u32_e32 v4, 1, v4
	v_cmp_lt_u32_e32 vcc, 13, v4
	v_add_u32_e32 v5, 8, v5
	v_add_u32_e32 v7, 8, v7
	s_or_b64 s[6:7], vcc, s[6:7]
	s_waitcnt vmcnt(1) lgkmcnt(0)
	v_mul_f32_e32 v13, v11, v9
	v_mul_f32_e32 v9, v10, v9
	s_waitcnt vmcnt(0)
	v_fma_f32 v10, v10, v12, -v13
	v_fmac_f32_e32 v9, v11, v12
	v_add_f32_e32 v8, v8, v10
	v_add_f32_e32 v3, v3, v9
	s_andn2_b64 exec, exec, s[6:7]
	s_cbranch_execnz .LBB104_73
; %bb.74:
	s_or_b64 exec, exec, s[6:7]
	v_mov_b32_e32 v4, 0
	ds_read_b64 v[4:5], v4 offset:120
	s_waitcnt lgkmcnt(0)
	v_mul_f32_e32 v7, v3, v5
	v_mul_f32_e32 v5, v8, v5
	v_fma_f32 v7, v8, v4, -v7
	v_fmac_f32_e32 v5, v3, v4
	buffer_store_dword v7, off, s[0:3], 0 offset:120
	buffer_store_dword v5, off, s[0:3], 0 offset:124
.LBB104_75:
	s_or_b64 exec, exec, s[4:5]
	s_waitcnt lgkmcnt(0)
	; wave barrier
	buffer_load_dword v4, off, s[0:3], 0 offset:128
	buffer_load_dword v5, off, s[0:3], 0 offset:132
	v_cmp_gt_u32_e32 vcc, 16, v0
	s_waitcnt vmcnt(0)
	ds_write_b64 v1, v[4:5]
	s_waitcnt lgkmcnt(0)
	; wave barrier
	s_waitcnt lgkmcnt(0)
	s_and_saveexec_b64 s[4:5], vcc
	s_cbranch_execz .LBB104_79
; %bb.76:
	v_add_u32_e32 v4, -1, v0
	v_add_u32_e32 v5, 0x150, v6
	v_add_u32_e32 v7, 0, v6
	s_mov_b64 s[6:7], 0
	v_mov_b32_e32 v3, 0
	v_mov_b32_e32 v8, 0
.LBB104_77:                             ; =>This Inner Loop Header: Depth=1
	buffer_load_dword v9, v7, s[0:3], 0 offen offset:4
	buffer_load_dword v12, v7, s[0:3], 0 offen
	ds_read_b64 v[10:11], v5
	v_add_u32_e32 v4, 1, v4
	v_cmp_lt_u32_e32 vcc, 14, v4
	v_add_u32_e32 v5, 8, v5
	v_add_u32_e32 v7, 8, v7
	s_or_b64 s[6:7], vcc, s[6:7]
	s_waitcnt vmcnt(1) lgkmcnt(0)
	v_mul_f32_e32 v13, v11, v9
	v_mul_f32_e32 v9, v10, v9
	s_waitcnt vmcnt(0)
	v_fma_f32 v10, v10, v12, -v13
	v_fmac_f32_e32 v9, v11, v12
	v_add_f32_e32 v8, v8, v10
	v_add_f32_e32 v3, v3, v9
	s_andn2_b64 exec, exec, s[6:7]
	s_cbranch_execnz .LBB104_77
; %bb.78:
	s_or_b64 exec, exec, s[6:7]
	v_mov_b32_e32 v4, 0
	ds_read_b64 v[4:5], v4 offset:128
	s_waitcnt lgkmcnt(0)
	v_mul_f32_e32 v7, v3, v5
	v_mul_f32_e32 v5, v8, v5
	v_fma_f32 v7, v8, v4, -v7
	v_fmac_f32_e32 v5, v3, v4
	buffer_store_dword v7, off, s[0:3], 0 offset:128
	buffer_store_dword v5, off, s[0:3], 0 offset:132
.LBB104_79:
	s_or_b64 exec, exec, s[4:5]
	s_waitcnt lgkmcnt(0)
	; wave barrier
	buffer_load_dword v4, off, s[0:3], 0 offset:136
	buffer_load_dword v5, off, s[0:3], 0 offset:140
	v_cmp_gt_u32_e32 vcc, 17, v0
	s_waitcnt vmcnt(0)
	ds_write_b64 v1, v[4:5]
	s_waitcnt lgkmcnt(0)
	; wave barrier
	s_waitcnt lgkmcnt(0)
	s_and_saveexec_b64 s[4:5], vcc
	s_cbranch_execz .LBB104_83
; %bb.80:
	v_add_u32_e32 v4, -1, v0
	v_add_u32_e32 v5, 0x150, v6
	v_add_u32_e32 v7, 0, v6
	s_mov_b64 s[6:7], 0
	v_mov_b32_e32 v3, 0
	v_mov_b32_e32 v8, 0
.LBB104_81:                             ; =>This Inner Loop Header: Depth=1
	buffer_load_dword v9, v7, s[0:3], 0 offen offset:4
	buffer_load_dword v12, v7, s[0:3], 0 offen
	ds_read_b64 v[10:11], v5
	v_add_u32_e32 v4, 1, v4
	v_cmp_lt_u32_e32 vcc, 15, v4
	v_add_u32_e32 v5, 8, v5
	v_add_u32_e32 v7, 8, v7
	s_or_b64 s[6:7], vcc, s[6:7]
	s_waitcnt vmcnt(1) lgkmcnt(0)
	v_mul_f32_e32 v13, v11, v9
	v_mul_f32_e32 v9, v10, v9
	s_waitcnt vmcnt(0)
	v_fma_f32 v10, v10, v12, -v13
	v_fmac_f32_e32 v9, v11, v12
	v_add_f32_e32 v8, v8, v10
	v_add_f32_e32 v3, v3, v9
	s_andn2_b64 exec, exec, s[6:7]
	s_cbranch_execnz .LBB104_81
; %bb.82:
	s_or_b64 exec, exec, s[6:7]
	v_mov_b32_e32 v4, 0
	ds_read_b64 v[4:5], v4 offset:136
	s_waitcnt lgkmcnt(0)
	v_mul_f32_e32 v7, v3, v5
	v_mul_f32_e32 v5, v8, v5
	v_fma_f32 v7, v8, v4, -v7
	v_fmac_f32_e32 v5, v3, v4
	buffer_store_dword v7, off, s[0:3], 0 offset:136
	buffer_store_dword v5, off, s[0:3], 0 offset:140
.LBB104_83:
	s_or_b64 exec, exec, s[4:5]
	s_waitcnt lgkmcnt(0)
	; wave barrier
	buffer_load_dword v4, off, s[0:3], 0 offset:144
	buffer_load_dword v5, off, s[0:3], 0 offset:148
	v_cmp_gt_u32_e32 vcc, 18, v0
	s_waitcnt vmcnt(0)
	ds_write_b64 v1, v[4:5]
	s_waitcnt lgkmcnt(0)
	; wave barrier
	s_waitcnt lgkmcnt(0)
	s_and_saveexec_b64 s[4:5], vcc
	s_cbranch_execz .LBB104_87
; %bb.84:
	v_add_u32_e32 v4, -1, v0
	v_add_u32_e32 v5, 0x150, v6
	v_add_u32_e32 v7, 0, v6
	s_mov_b64 s[6:7], 0
	v_mov_b32_e32 v3, 0
	v_mov_b32_e32 v8, 0
.LBB104_85:                             ; =>This Inner Loop Header: Depth=1
	buffer_load_dword v9, v7, s[0:3], 0 offen offset:4
	buffer_load_dword v12, v7, s[0:3], 0 offen
	ds_read_b64 v[10:11], v5
	v_add_u32_e32 v4, 1, v4
	v_cmp_lt_u32_e32 vcc, 16, v4
	v_add_u32_e32 v5, 8, v5
	v_add_u32_e32 v7, 8, v7
	s_or_b64 s[6:7], vcc, s[6:7]
	s_waitcnt vmcnt(1) lgkmcnt(0)
	v_mul_f32_e32 v13, v11, v9
	v_mul_f32_e32 v9, v10, v9
	s_waitcnt vmcnt(0)
	v_fma_f32 v10, v10, v12, -v13
	v_fmac_f32_e32 v9, v11, v12
	v_add_f32_e32 v8, v8, v10
	v_add_f32_e32 v3, v3, v9
	s_andn2_b64 exec, exec, s[6:7]
	s_cbranch_execnz .LBB104_85
; %bb.86:
	s_or_b64 exec, exec, s[6:7]
	v_mov_b32_e32 v4, 0
	ds_read_b64 v[4:5], v4 offset:144
	s_waitcnt lgkmcnt(0)
	v_mul_f32_e32 v7, v3, v5
	v_mul_f32_e32 v5, v8, v5
	v_fma_f32 v7, v8, v4, -v7
	v_fmac_f32_e32 v5, v3, v4
	buffer_store_dword v7, off, s[0:3], 0 offset:144
	buffer_store_dword v5, off, s[0:3], 0 offset:148
.LBB104_87:
	s_or_b64 exec, exec, s[4:5]
	s_waitcnt lgkmcnt(0)
	; wave barrier
	buffer_load_dword v4, off, s[0:3], 0 offset:152
	buffer_load_dword v5, off, s[0:3], 0 offset:156
	v_cmp_gt_u32_e32 vcc, 19, v0
	s_waitcnt vmcnt(0)
	ds_write_b64 v1, v[4:5]
	s_waitcnt lgkmcnt(0)
	; wave barrier
	s_waitcnt lgkmcnt(0)
	s_and_saveexec_b64 s[4:5], vcc
	s_cbranch_execz .LBB104_91
; %bb.88:
	v_add_u32_e32 v4, -1, v0
	v_add_u32_e32 v5, 0x150, v6
	v_add_u32_e32 v7, 0, v6
	s_mov_b64 s[6:7], 0
	v_mov_b32_e32 v3, 0
	v_mov_b32_e32 v8, 0
.LBB104_89:                             ; =>This Inner Loop Header: Depth=1
	buffer_load_dword v9, v7, s[0:3], 0 offen offset:4
	buffer_load_dword v12, v7, s[0:3], 0 offen
	ds_read_b64 v[10:11], v5
	v_add_u32_e32 v4, 1, v4
	v_cmp_lt_u32_e32 vcc, 17, v4
	v_add_u32_e32 v5, 8, v5
	v_add_u32_e32 v7, 8, v7
	s_or_b64 s[6:7], vcc, s[6:7]
	s_waitcnt vmcnt(1) lgkmcnt(0)
	v_mul_f32_e32 v13, v11, v9
	v_mul_f32_e32 v9, v10, v9
	s_waitcnt vmcnt(0)
	v_fma_f32 v10, v10, v12, -v13
	v_fmac_f32_e32 v9, v11, v12
	v_add_f32_e32 v8, v8, v10
	v_add_f32_e32 v3, v3, v9
	s_andn2_b64 exec, exec, s[6:7]
	s_cbranch_execnz .LBB104_89
; %bb.90:
	s_or_b64 exec, exec, s[6:7]
	v_mov_b32_e32 v4, 0
	ds_read_b64 v[4:5], v4 offset:152
	s_waitcnt lgkmcnt(0)
	v_mul_f32_e32 v7, v3, v5
	v_mul_f32_e32 v5, v8, v5
	v_fma_f32 v7, v8, v4, -v7
	v_fmac_f32_e32 v5, v3, v4
	buffer_store_dword v7, off, s[0:3], 0 offset:152
	buffer_store_dword v5, off, s[0:3], 0 offset:156
.LBB104_91:
	s_or_b64 exec, exec, s[4:5]
	s_waitcnt lgkmcnt(0)
	; wave barrier
	buffer_load_dword v4, off, s[0:3], 0 offset:160
	buffer_load_dword v5, off, s[0:3], 0 offset:164
	v_cmp_gt_u32_e32 vcc, 20, v0
	s_waitcnt vmcnt(0)
	ds_write_b64 v1, v[4:5]
	s_waitcnt lgkmcnt(0)
	; wave barrier
	s_waitcnt lgkmcnt(0)
	s_and_saveexec_b64 s[4:5], vcc
	s_cbranch_execz .LBB104_95
; %bb.92:
	v_add_u32_e32 v4, -1, v0
	v_add_u32_e32 v5, 0x150, v6
	v_add_u32_e32 v7, 0, v6
	s_mov_b64 s[6:7], 0
	v_mov_b32_e32 v3, 0
	v_mov_b32_e32 v8, 0
.LBB104_93:                             ; =>This Inner Loop Header: Depth=1
	buffer_load_dword v9, v7, s[0:3], 0 offen offset:4
	buffer_load_dword v12, v7, s[0:3], 0 offen
	ds_read_b64 v[10:11], v5
	v_add_u32_e32 v4, 1, v4
	v_cmp_lt_u32_e32 vcc, 18, v4
	v_add_u32_e32 v5, 8, v5
	v_add_u32_e32 v7, 8, v7
	s_or_b64 s[6:7], vcc, s[6:7]
	s_waitcnt vmcnt(1) lgkmcnt(0)
	v_mul_f32_e32 v13, v11, v9
	v_mul_f32_e32 v9, v10, v9
	s_waitcnt vmcnt(0)
	v_fma_f32 v10, v10, v12, -v13
	v_fmac_f32_e32 v9, v11, v12
	v_add_f32_e32 v8, v8, v10
	v_add_f32_e32 v3, v3, v9
	s_andn2_b64 exec, exec, s[6:7]
	s_cbranch_execnz .LBB104_93
; %bb.94:
	s_or_b64 exec, exec, s[6:7]
	v_mov_b32_e32 v4, 0
	ds_read_b64 v[4:5], v4 offset:160
	s_waitcnt lgkmcnt(0)
	v_mul_f32_e32 v7, v3, v5
	v_mul_f32_e32 v5, v8, v5
	v_fma_f32 v7, v8, v4, -v7
	v_fmac_f32_e32 v5, v3, v4
	buffer_store_dword v7, off, s[0:3], 0 offset:160
	buffer_store_dword v5, off, s[0:3], 0 offset:164
.LBB104_95:
	s_or_b64 exec, exec, s[4:5]
	s_waitcnt lgkmcnt(0)
	; wave barrier
	buffer_load_dword v4, off, s[0:3], 0 offset:168
	buffer_load_dword v5, off, s[0:3], 0 offset:172
	v_cmp_gt_u32_e32 vcc, 21, v0
	s_waitcnt vmcnt(0)
	ds_write_b64 v1, v[4:5]
	s_waitcnt lgkmcnt(0)
	; wave barrier
	s_waitcnt lgkmcnt(0)
	s_and_saveexec_b64 s[4:5], vcc
	s_cbranch_execz .LBB104_99
; %bb.96:
	v_add_u32_e32 v4, -1, v0
	v_add_u32_e32 v5, 0x150, v6
	v_add_u32_e32 v7, 0, v6
	s_mov_b64 s[6:7], 0
	v_mov_b32_e32 v3, 0
	v_mov_b32_e32 v8, 0
.LBB104_97:                             ; =>This Inner Loop Header: Depth=1
	buffer_load_dword v9, v7, s[0:3], 0 offen offset:4
	buffer_load_dword v12, v7, s[0:3], 0 offen
	ds_read_b64 v[10:11], v5
	v_add_u32_e32 v4, 1, v4
	v_cmp_lt_u32_e32 vcc, 19, v4
	v_add_u32_e32 v5, 8, v5
	v_add_u32_e32 v7, 8, v7
	s_or_b64 s[6:7], vcc, s[6:7]
	s_waitcnt vmcnt(1) lgkmcnt(0)
	v_mul_f32_e32 v13, v11, v9
	v_mul_f32_e32 v9, v10, v9
	s_waitcnt vmcnt(0)
	v_fma_f32 v10, v10, v12, -v13
	v_fmac_f32_e32 v9, v11, v12
	v_add_f32_e32 v8, v8, v10
	v_add_f32_e32 v3, v3, v9
	s_andn2_b64 exec, exec, s[6:7]
	s_cbranch_execnz .LBB104_97
; %bb.98:
	s_or_b64 exec, exec, s[6:7]
	v_mov_b32_e32 v4, 0
	ds_read_b64 v[4:5], v4 offset:168
	s_waitcnt lgkmcnt(0)
	v_mul_f32_e32 v7, v3, v5
	v_mul_f32_e32 v5, v8, v5
	v_fma_f32 v7, v8, v4, -v7
	v_fmac_f32_e32 v5, v3, v4
	buffer_store_dword v7, off, s[0:3], 0 offset:168
	buffer_store_dword v5, off, s[0:3], 0 offset:172
.LBB104_99:
	s_or_b64 exec, exec, s[4:5]
	s_waitcnt lgkmcnt(0)
	; wave barrier
	buffer_load_dword v4, off, s[0:3], 0 offset:176
	buffer_load_dword v5, off, s[0:3], 0 offset:180
	v_cmp_gt_u32_e32 vcc, 22, v0
	s_waitcnt vmcnt(0)
	ds_write_b64 v1, v[4:5]
	s_waitcnt lgkmcnt(0)
	; wave barrier
	s_waitcnt lgkmcnt(0)
	s_and_saveexec_b64 s[4:5], vcc
	s_cbranch_execz .LBB104_103
; %bb.100:
	v_add_u32_e32 v4, -1, v0
	v_add_u32_e32 v5, 0x150, v6
	v_add_u32_e32 v7, 0, v6
	s_mov_b64 s[6:7], 0
	v_mov_b32_e32 v3, 0
	v_mov_b32_e32 v8, 0
.LBB104_101:                            ; =>This Inner Loop Header: Depth=1
	buffer_load_dword v9, v7, s[0:3], 0 offen offset:4
	buffer_load_dword v12, v7, s[0:3], 0 offen
	ds_read_b64 v[10:11], v5
	v_add_u32_e32 v4, 1, v4
	v_cmp_lt_u32_e32 vcc, 20, v4
	v_add_u32_e32 v5, 8, v5
	v_add_u32_e32 v7, 8, v7
	s_or_b64 s[6:7], vcc, s[6:7]
	s_waitcnt vmcnt(1) lgkmcnt(0)
	v_mul_f32_e32 v13, v11, v9
	v_mul_f32_e32 v9, v10, v9
	s_waitcnt vmcnt(0)
	v_fma_f32 v10, v10, v12, -v13
	v_fmac_f32_e32 v9, v11, v12
	v_add_f32_e32 v8, v8, v10
	v_add_f32_e32 v3, v3, v9
	s_andn2_b64 exec, exec, s[6:7]
	s_cbranch_execnz .LBB104_101
; %bb.102:
	s_or_b64 exec, exec, s[6:7]
	v_mov_b32_e32 v4, 0
	ds_read_b64 v[4:5], v4 offset:176
	s_waitcnt lgkmcnt(0)
	v_mul_f32_e32 v7, v3, v5
	v_mul_f32_e32 v5, v8, v5
	v_fma_f32 v7, v8, v4, -v7
	v_fmac_f32_e32 v5, v3, v4
	buffer_store_dword v7, off, s[0:3], 0 offset:176
	buffer_store_dword v5, off, s[0:3], 0 offset:180
.LBB104_103:
	s_or_b64 exec, exec, s[4:5]
	s_waitcnt lgkmcnt(0)
	; wave barrier
	buffer_load_dword v4, off, s[0:3], 0 offset:184
	buffer_load_dword v5, off, s[0:3], 0 offset:188
	v_cmp_gt_u32_e32 vcc, 23, v0
	s_waitcnt vmcnt(0)
	ds_write_b64 v1, v[4:5]
	s_waitcnt lgkmcnt(0)
	; wave barrier
	s_waitcnt lgkmcnt(0)
	s_and_saveexec_b64 s[4:5], vcc
	s_cbranch_execz .LBB104_107
; %bb.104:
	v_add_u32_e32 v4, -1, v0
	v_add_u32_e32 v5, 0x150, v6
	v_add_u32_e32 v7, 0, v6
	s_mov_b64 s[6:7], 0
	v_mov_b32_e32 v3, 0
	v_mov_b32_e32 v8, 0
.LBB104_105:                            ; =>This Inner Loop Header: Depth=1
	buffer_load_dword v9, v7, s[0:3], 0 offen offset:4
	buffer_load_dword v12, v7, s[0:3], 0 offen
	ds_read_b64 v[10:11], v5
	v_add_u32_e32 v4, 1, v4
	v_cmp_lt_u32_e32 vcc, 21, v4
	v_add_u32_e32 v5, 8, v5
	v_add_u32_e32 v7, 8, v7
	s_or_b64 s[6:7], vcc, s[6:7]
	s_waitcnt vmcnt(1) lgkmcnt(0)
	v_mul_f32_e32 v13, v11, v9
	v_mul_f32_e32 v9, v10, v9
	s_waitcnt vmcnt(0)
	v_fma_f32 v10, v10, v12, -v13
	v_fmac_f32_e32 v9, v11, v12
	v_add_f32_e32 v8, v8, v10
	v_add_f32_e32 v3, v3, v9
	s_andn2_b64 exec, exec, s[6:7]
	s_cbranch_execnz .LBB104_105
; %bb.106:
	s_or_b64 exec, exec, s[6:7]
	v_mov_b32_e32 v4, 0
	ds_read_b64 v[4:5], v4 offset:184
	s_waitcnt lgkmcnt(0)
	v_mul_f32_e32 v7, v3, v5
	v_mul_f32_e32 v5, v8, v5
	v_fma_f32 v7, v8, v4, -v7
	v_fmac_f32_e32 v5, v3, v4
	buffer_store_dword v7, off, s[0:3], 0 offset:184
	buffer_store_dword v5, off, s[0:3], 0 offset:188
.LBB104_107:
	s_or_b64 exec, exec, s[4:5]
	s_waitcnt lgkmcnt(0)
	; wave barrier
	buffer_load_dword v4, off, s[0:3], 0 offset:192
	buffer_load_dword v5, off, s[0:3], 0 offset:196
	v_cmp_gt_u32_e32 vcc, 24, v0
	s_waitcnt vmcnt(0)
	ds_write_b64 v1, v[4:5]
	;; [unrolled: 51-line block ×17, first 2 shown]
	s_waitcnt lgkmcnt(0)
	; wave barrier
	s_waitcnt lgkmcnt(0)
	s_and_saveexec_b64 s[4:5], vcc
	s_cbranch_execz .LBB104_171
; %bb.168:
	v_add_u32_e32 v4, -1, v0
	v_add_u32_e32 v5, 0x150, v6
	v_add_u32_e32 v7, 0, v6
	s_mov_b64 s[6:7], 0
	v_mov_b32_e32 v3, 0
	v_mov_b32_e32 v8, 0
.LBB104_169:                            ; =>This Inner Loop Header: Depth=1
	buffer_load_dword v9, v7, s[0:3], 0 offen offset:4
	buffer_load_dword v12, v7, s[0:3], 0 offen
	ds_read_b64 v[10:11], v5
	v_add_u32_e32 v4, 1, v4
	v_cmp_lt_u32_e32 vcc, 37, v4
	v_add_u32_e32 v5, 8, v5
	v_add_u32_e32 v7, 8, v7
	s_or_b64 s[6:7], vcc, s[6:7]
	s_waitcnt vmcnt(1) lgkmcnt(0)
	v_mul_f32_e32 v13, v11, v9
	v_mul_f32_e32 v9, v10, v9
	s_waitcnt vmcnt(0)
	v_fma_f32 v10, v10, v12, -v13
	v_fmac_f32_e32 v9, v11, v12
	v_add_f32_e32 v8, v8, v10
	v_add_f32_e32 v3, v3, v9
	s_andn2_b64 exec, exec, s[6:7]
	s_cbranch_execnz .LBB104_169
; %bb.170:
	s_or_b64 exec, exec, s[6:7]
	v_mov_b32_e32 v4, 0
	ds_read_b64 v[4:5], v4 offset:312
	s_waitcnt lgkmcnt(0)
	v_mul_f32_e32 v7, v3, v5
	v_mul_f32_e32 v5, v8, v5
	v_fma_f32 v7, v8, v4, -v7
	v_fmac_f32_e32 v5, v3, v4
	buffer_store_dword v7, off, s[0:3], 0 offset:312
	buffer_store_dword v5, off, s[0:3], 0 offset:316
.LBB104_171:
	s_or_b64 exec, exec, s[4:5]
	s_waitcnt lgkmcnt(0)
	; wave barrier
	buffer_load_dword v4, off, s[0:3], 0 offset:320
	buffer_load_dword v5, off, s[0:3], 0 offset:324
	v_cmp_ne_u32_e32 vcc, 40, v0
	s_waitcnt vmcnt(0)
	ds_write_b64 v1, v[4:5]
	s_waitcnt lgkmcnt(0)
	; wave barrier
	s_waitcnt lgkmcnt(0)
	s_and_saveexec_b64 s[4:5], vcc
	s_cbranch_execz .LBB104_175
; %bb.172:
	v_add_u32_e32 v3, 0x150, v6
	v_add_u32_e32 v4, 0, v6
	s_mov_b64 s[6:7], 0
	v_mov_b32_e32 v1, 0
	v_mov_b32_e32 v5, 0
.LBB104_173:                            ; =>This Inner Loop Header: Depth=1
	buffer_load_dword v8, v4, s[0:3], 0 offen offset:4
	buffer_load_dword v9, v4, s[0:3], 0 offen
	ds_read_b64 v[6:7], v3
	v_add_u32_e32 v2, 1, v2
	v_cmp_lt_u32_e32 vcc, 38, v2
	v_add_u32_e32 v3, 8, v3
	v_add_u32_e32 v4, 8, v4
	s_or_b64 s[6:7], vcc, s[6:7]
	s_waitcnt vmcnt(1) lgkmcnt(0)
	v_mul_f32_e32 v10, v7, v8
	v_mul_f32_e32 v8, v6, v8
	s_waitcnt vmcnt(0)
	v_fma_f32 v6, v6, v9, -v10
	v_fmac_f32_e32 v8, v7, v9
	v_add_f32_e32 v5, v5, v6
	v_add_f32_e32 v1, v1, v8
	s_andn2_b64 exec, exec, s[6:7]
	s_cbranch_execnz .LBB104_173
; %bb.174:
	s_or_b64 exec, exec, s[6:7]
	v_mov_b32_e32 v2, 0
	ds_read_b64 v[2:3], v2 offset:320
	s_waitcnt lgkmcnt(0)
	v_mul_f32_e32 v4, v1, v3
	v_mul_f32_e32 v3, v5, v3
	v_fma_f32 v4, v5, v2, -v4
	v_fmac_f32_e32 v3, v1, v2
	buffer_store_dword v4, off, s[0:3], 0 offset:320
	buffer_store_dword v3, off, s[0:3], 0 offset:324
.LBB104_175:
	s_or_b64 exec, exec, s[4:5]
	s_mov_b64 s[6:7], -1
	s_waitcnt lgkmcnt(0)
	; wave barrier
.LBB104_176:
	s_and_b64 vcc, exec, s[6:7]
	s_cbranch_vccz .LBB104_178
; %bb.177:
	s_lshl_b64 s[4:5], s[8:9], 2
	s_add_u32 s4, s14, s4
	s_addc_u32 s5, s15, s5
	v_mov_b32_e32 v1, 0
	global_load_dword v1, v1, s[4:5]
	s_waitcnt vmcnt(0)
	v_cmp_ne_u32_e32 vcc, 0, v1
	s_cbranch_vccz .LBB104_179
.LBB104_178:
	s_endpgm
.LBB104_179:
	v_mov_b32_e32 v1, 0x150
	v_lshl_add_u32 v1, v0, 3, v1
	v_cmp_eq_u32_e32 vcc, 40, v0
	s_and_saveexec_b64 s[4:5], vcc
	s_cbranch_execz .LBB104_181
; %bb.180:
	buffer_load_dword v2, off, s[0:3], 0 offset:312
	buffer_load_dword v3, off, s[0:3], 0 offset:316
	v_mov_b32_e32 v4, 0
	buffer_store_dword v4, off, s[0:3], 0 offset:312
	buffer_store_dword v4, off, s[0:3], 0 offset:316
	s_waitcnt vmcnt(2)
	ds_write_b64 v1, v[2:3]
.LBB104_181:
	s_or_b64 exec, exec, s[4:5]
	s_waitcnt lgkmcnt(0)
	; wave barrier
	s_waitcnt lgkmcnt(0)
	buffer_load_dword v5, off, s[0:3], 0 offset:324
	buffer_load_dword v4, off, s[0:3], 0 offset:320
	;; [unrolled: 1-line block ×4, first 2 shown]
	v_mov_b32_e32 v2, 0
	ds_read_b64 v[8:9], v2 offset:656
	v_cmp_lt_u32_e32 vcc, 38, v0
	s_waitcnt vmcnt(3)
	v_mov_b32_e32 v10, v5
	s_waitcnt lgkmcnt(0)
	v_pk_mul_f32 v[10:11], v[8:9], v[10:11] op_sel_hi:[1,0]
	s_waitcnt vmcnt(2)
	v_pk_fma_f32 v[12:13], v[8:9], v[4:5], v[10:11] op_sel:[0,0,1] op_sel_hi:[1,1,0] neg_lo:[0,0,1] neg_hi:[0,0,1]
	v_pk_fma_f32 v[4:5], v[8:9], v[4:5], v[10:11] op_sel:[0,0,1] op_sel_hi:[1,0,0]
	v_mov_b32_e32 v13, v5
	v_pk_add_f32 v[4:5], v[12:13], 0 op_sel_hi:[1,0]
	s_waitcnt vmcnt(0)
	v_pk_add_f32 v[4:5], v[6:7], v[4:5] neg_lo:[0,1] neg_hi:[0,1]
	buffer_store_dword v4, off, s[0:3], 0 offset:312
	buffer_store_dword v5, off, s[0:3], 0 offset:316
	s_and_saveexec_b64 s[4:5], vcc
	s_cbranch_execz .LBB104_183
; %bb.182:
	buffer_load_dword v4, off, s[0:3], 0 offset:304
	buffer_load_dword v5, off, s[0:3], 0 offset:308
	s_waitcnt vmcnt(0)
	ds_write_b64 v1, v[4:5]
	buffer_store_dword v2, off, s[0:3], 0 offset:304
	buffer_store_dword v2, off, s[0:3], 0 offset:308
.LBB104_183:
	s_or_b64 exec, exec, s[4:5]
	s_waitcnt lgkmcnt(0)
	; wave barrier
	s_waitcnt lgkmcnt(0)
	buffer_load_dword v7, off, s[0:3], 0 offset:316
	buffer_load_dword v9, off, s[0:3], 0 offset:324
	;; [unrolled: 1-line block ×6, first 2 shown]
	ds_read2_b64 v[2:5], v2 offset0:81 offset1:82
	v_cmp_lt_u32_e32 vcc, 37, v0
	s_waitcnt vmcnt(5)
	v_mov_b32_e32 v12, v7
	s_waitcnt vmcnt(4)
	v_mov_b32_e32 v14, v9
	s_waitcnt lgkmcnt(0)
	v_pk_mul_f32 v[12:13], v[2:3], v[12:13] op_sel_hi:[1,0]
	v_pk_mul_f32 v[14:15], v[4:5], v[14:15] op_sel_hi:[1,0]
	s_waitcnt vmcnt(3)
	v_pk_fma_f32 v[98:99], v[2:3], v[6:7], v[12:13] op_sel:[0,0,1] op_sel_hi:[1,1,0] neg_lo:[0,0,1] neg_hi:[0,0,1]
	v_pk_fma_f32 v[2:3], v[2:3], v[6:7], v[12:13] op_sel:[0,0,1] op_sel_hi:[1,0,0]
	s_waitcnt vmcnt(2)
	v_pk_fma_f32 v[6:7], v[4:5], v[8:9], v[14:15] op_sel:[0,0,1] op_sel_hi:[1,1,0] neg_lo:[0,0,1] neg_hi:[0,0,1]
	v_pk_fma_f32 v[4:5], v[4:5], v[8:9], v[14:15] op_sel:[0,0,1] op_sel_hi:[1,0,0]
	v_mov_b32_e32 v99, v3
	v_mov_b32_e32 v7, v5
	v_pk_add_f32 v[2:3], v[98:99], 0 op_sel_hi:[1,0]
	v_pk_add_f32 v[2:3], v[2:3], v[6:7]
	s_waitcnt vmcnt(0)
	v_pk_add_f32 v[2:3], v[10:11], v[2:3] neg_lo:[0,1] neg_hi:[0,1]
	buffer_store_dword v2, off, s[0:3], 0 offset:304
	buffer_store_dword v3, off, s[0:3], 0 offset:308
	s_and_saveexec_b64 s[4:5], vcc
	s_cbranch_execz .LBB104_185
; %bb.184:
	buffer_load_dword v2, off, s[0:3], 0 offset:296
	buffer_load_dword v3, off, s[0:3], 0 offset:300
	v_mov_b32_e32 v4, 0
	buffer_store_dword v4, off, s[0:3], 0 offset:296
	buffer_store_dword v4, off, s[0:3], 0 offset:300
	s_waitcnt vmcnt(2)
	ds_write_b64 v1, v[2:3]
.LBB104_185:
	s_or_b64 exec, exec, s[4:5]
	s_waitcnt lgkmcnt(0)
	; wave barrier
	s_waitcnt lgkmcnt(0)
	buffer_load_dword v9, off, s[0:3], 0 offset:308
	buffer_load_dword v11, off, s[0:3], 0 offset:316
	;; [unrolled: 1-line block ×8, first 2 shown]
	v_mov_b32_e32 v2, 0
	ds_read_b128 v[4:7], v2 offset:640
	ds_read_b64 v[98:99], v2 offset:656
	v_cmp_lt_u32_e32 vcc, 36, v0
	s_waitcnt vmcnt(7)
	v_mov_b32_e32 v100, v9
	s_waitcnt vmcnt(6)
	v_mov_b32_e32 v102, v11
	s_waitcnt lgkmcnt(1)
	v_pk_mul_f32 v[100:101], v[4:5], v[100:101] op_sel_hi:[1,0]
	s_waitcnt vmcnt(5)
	v_mov_b32_e32 v104, v13
	v_pk_mul_f32 v[102:103], v[6:7], v[102:103] op_sel_hi:[1,0]
	s_waitcnt vmcnt(4)
	v_pk_fma_f32 v[106:107], v[4:5], v[8:9], v[100:101] op_sel:[0,0,1] op_sel_hi:[1,1,0] neg_lo:[0,0,1] neg_hi:[0,0,1]
	v_pk_fma_f32 v[4:5], v[4:5], v[8:9], v[100:101] op_sel:[0,0,1] op_sel_hi:[1,0,0]
	s_waitcnt lgkmcnt(0)
	v_pk_mul_f32 v[104:105], v[98:99], v[104:105] op_sel_hi:[1,0]
	s_waitcnt vmcnt(3)
	v_pk_fma_f32 v[8:9], v[6:7], v[10:11], v[102:103] op_sel:[0,0,1] op_sel_hi:[1,1,0] neg_lo:[0,0,1] neg_hi:[0,0,1]
	v_pk_fma_f32 v[6:7], v[6:7], v[10:11], v[102:103] op_sel:[0,0,1] op_sel_hi:[1,0,0]
	v_mov_b32_e32 v107, v5
	s_waitcnt vmcnt(2)
	v_pk_fma_f32 v[10:11], v[98:99], v[12:13], v[104:105] op_sel:[0,0,1] op_sel_hi:[1,1,0] neg_lo:[0,0,1] neg_hi:[0,0,1]
	v_pk_fma_f32 v[12:13], v[98:99], v[12:13], v[104:105] op_sel:[0,0,1] op_sel_hi:[1,0,0]
	v_mov_b32_e32 v9, v7
	v_pk_add_f32 v[4:5], v[106:107], 0 op_sel_hi:[1,0]
	v_mov_b32_e32 v11, v13
	v_pk_add_f32 v[4:5], v[4:5], v[8:9]
	v_pk_add_f32 v[4:5], v[4:5], v[10:11]
	s_waitcnt vmcnt(0)
	v_pk_add_f32 v[4:5], v[14:15], v[4:5] neg_lo:[0,1] neg_hi:[0,1]
	buffer_store_dword v4, off, s[0:3], 0 offset:296
	buffer_store_dword v5, off, s[0:3], 0 offset:300
	s_and_saveexec_b64 s[4:5], vcc
	s_cbranch_execz .LBB104_187
; %bb.186:
	buffer_load_dword v4, off, s[0:3], 0 offset:288
	buffer_load_dword v5, off, s[0:3], 0 offset:292
	s_waitcnt vmcnt(0)
	ds_write_b64 v1, v[4:5]
	buffer_store_dword v2, off, s[0:3], 0 offset:288
	buffer_store_dword v2, off, s[0:3], 0 offset:292
.LBB104_187:
	s_or_b64 exec, exec, s[4:5]
	s_waitcnt lgkmcnt(0)
	; wave barrier
	s_waitcnt lgkmcnt(0)
	buffer_load_dword v13, off, s[0:3], 0 offset:300
	buffer_load_dword v15, off, s[0:3], 0 offset:308
	;; [unrolled: 1-line block ×10, first 2 shown]
	ds_read2_b64 v[4:7], v2 offset0:79 offset1:80
	ds_read2_b64 v[8:11], v2 offset0:81 offset1:82
	v_cmp_lt_u32_e32 vcc, 35, v0
	s_waitcnt vmcnt(9)
	v_mov_b32_e32 v2, v13
	s_waitcnt vmcnt(8)
	v_mov_b32_e32 v104, v15
	s_waitcnt lgkmcnt(1)
	v_pk_mul_f32 v[2:3], v[4:5], v[2:3] op_sel_hi:[1,0]
	s_waitcnt vmcnt(7)
	v_mov_b32_e32 v106, v99
	v_pk_mul_f32 v[104:105], v[6:7], v[104:105] op_sel_hi:[1,0]
	s_waitcnt vmcnt(5)
	v_pk_fma_f32 v[110:111], v[4:5], v[12:13], v[2:3] op_sel:[0,0,1] op_sel_hi:[1,1,0] neg_lo:[0,0,1] neg_hi:[0,0,1]
	v_pk_fma_f32 v[2:3], v[4:5], v[12:13], v[2:3] op_sel:[0,0,1] op_sel_hi:[1,0,0]
	v_mov_b32_e32 v108, v101
	s_waitcnt lgkmcnt(0)
	v_pk_mul_f32 v[106:107], v[8:9], v[106:107] op_sel_hi:[1,0]
	s_waitcnt vmcnt(4)
	v_pk_fma_f32 v[4:5], v[6:7], v[14:15], v[104:105] op_sel:[0,0,1] op_sel_hi:[1,1,0] neg_lo:[0,0,1] neg_hi:[0,0,1]
	v_pk_fma_f32 v[6:7], v[6:7], v[14:15], v[104:105] op_sel:[0,0,1] op_sel_hi:[1,0,0]
	v_mov_b32_e32 v111, v3
	v_pk_mul_f32 v[108:109], v[10:11], v[108:109] op_sel_hi:[1,0]
	s_waitcnt vmcnt(3)
	v_pk_fma_f32 v[12:13], v[8:9], v[98:99], v[106:107] op_sel:[0,0,1] op_sel_hi:[1,1,0] neg_lo:[0,0,1] neg_hi:[0,0,1]
	v_pk_fma_f32 v[8:9], v[8:9], v[98:99], v[106:107] op_sel:[0,0,1] op_sel_hi:[1,0,0]
	v_mov_b32_e32 v5, v7
	v_pk_add_f32 v[2:3], v[110:111], 0 op_sel_hi:[1,0]
	s_waitcnt vmcnt(2)
	v_pk_fma_f32 v[14:15], v[10:11], v[100:101], v[108:109] op_sel:[0,0,1] op_sel_hi:[1,1,0] neg_lo:[0,0,1] neg_hi:[0,0,1]
	v_pk_fma_f32 v[10:11], v[10:11], v[100:101], v[108:109] op_sel:[0,0,1] op_sel_hi:[1,0,0]
	v_mov_b32_e32 v13, v9
	v_pk_add_f32 v[2:3], v[2:3], v[4:5]
	v_mov_b32_e32 v15, v11
	v_pk_add_f32 v[2:3], v[2:3], v[12:13]
	v_pk_add_f32 v[2:3], v[2:3], v[14:15]
	s_waitcnt vmcnt(0)
	v_pk_add_f32 v[2:3], v[102:103], v[2:3] neg_lo:[0,1] neg_hi:[0,1]
	buffer_store_dword v2, off, s[0:3], 0 offset:288
	buffer_store_dword v3, off, s[0:3], 0 offset:292
	s_and_saveexec_b64 s[4:5], vcc
	s_cbranch_execz .LBB104_189
; %bb.188:
	buffer_load_dword v2, off, s[0:3], 0 offset:280
	buffer_load_dword v3, off, s[0:3], 0 offset:284
	v_mov_b32_e32 v4, 0
	buffer_store_dword v4, off, s[0:3], 0 offset:280
	buffer_store_dword v4, off, s[0:3], 0 offset:284
	s_waitcnt vmcnt(2)
	ds_write_b64 v1, v[2:3]
.LBB104_189:
	s_or_b64 exec, exec, s[4:5]
	s_waitcnt lgkmcnt(0)
	; wave barrier
	s_waitcnt lgkmcnt(0)
	buffer_load_dword v13, off, s[0:3], 0 offset:292
	buffer_load_dword v15, off, s[0:3], 0 offset:300
	;; [unrolled: 1-line block ×12, first 2 shown]
	v_mov_b32_e32 v2, 0
	ds_read_b128 v[4:7], v2 offset:624
	ds_read_b128 v[8:11], v2 offset:640
	ds_read_b64 v[106:107], v2 offset:656
	v_cmp_lt_u32_e32 vcc, 34, v0
	s_waitcnt vmcnt(11)
	v_mov_b32_e32 v108, v13
	s_waitcnt vmcnt(10)
	v_mov_b32_e32 v110, v15
	s_waitcnt lgkmcnt(2)
	v_pk_mul_f32 v[108:109], v[4:5], v[108:109] op_sel_hi:[1,0]
	s_waitcnt vmcnt(9)
	v_mov_b32_e32 v112, v99
	v_pk_mul_f32 v[110:111], v[6:7], v[110:111] op_sel_hi:[1,0]
	s_waitcnt vmcnt(6)
	v_pk_fma_f32 v[118:119], v[4:5], v[12:13], v[108:109] op_sel:[0,0,1] op_sel_hi:[1,1,0] neg_lo:[0,0,1] neg_hi:[0,0,1]
	v_pk_fma_f32 v[4:5], v[4:5], v[12:13], v[108:109] op_sel:[0,0,1] op_sel_hi:[1,0,0]
	v_mov_b32_e32 v114, v101
	s_waitcnt lgkmcnt(1)
	v_pk_mul_f32 v[112:113], v[8:9], v[112:113] op_sel_hi:[1,0]
	s_waitcnt vmcnt(5)
	v_pk_fma_f32 v[12:13], v[6:7], v[14:15], v[110:111] op_sel:[0,0,1] op_sel_hi:[1,1,0] neg_lo:[0,0,1] neg_hi:[0,0,1]
	v_pk_fma_f32 v[6:7], v[6:7], v[14:15], v[110:111] op_sel:[0,0,1] op_sel_hi:[1,0,0]
	v_mov_b32_e32 v119, v5
	v_mov_b32_e32 v116, v103
	v_pk_mul_f32 v[114:115], v[10:11], v[114:115] op_sel_hi:[1,0]
	s_waitcnt vmcnt(4)
	v_pk_fma_f32 v[14:15], v[8:9], v[98:99], v[112:113] op_sel:[0,0,1] op_sel_hi:[1,1,0] neg_lo:[0,0,1] neg_hi:[0,0,1]
	v_pk_fma_f32 v[8:9], v[8:9], v[98:99], v[112:113] op_sel:[0,0,1] op_sel_hi:[1,0,0]
	v_mov_b32_e32 v13, v7
	v_pk_add_f32 v[4:5], v[118:119], 0 op_sel_hi:[1,0]
	s_waitcnt lgkmcnt(0)
	v_pk_mul_f32 v[116:117], v[106:107], v[116:117] op_sel_hi:[1,0]
	s_waitcnt vmcnt(3)
	v_pk_fma_f32 v[98:99], v[10:11], v[100:101], v[114:115] op_sel:[0,0,1] op_sel_hi:[1,1,0] neg_lo:[0,0,1] neg_hi:[0,0,1]
	v_pk_fma_f32 v[10:11], v[10:11], v[100:101], v[114:115] op_sel:[0,0,1] op_sel_hi:[1,0,0]
	v_mov_b32_e32 v15, v9
	v_pk_add_f32 v[4:5], v[4:5], v[12:13]
	s_waitcnt vmcnt(2)
	v_pk_fma_f32 v[100:101], v[106:107], v[102:103], v[116:117] op_sel:[0,0,1] op_sel_hi:[1,1,0] neg_lo:[0,0,1] neg_hi:[0,0,1]
	v_pk_fma_f32 v[102:103], v[106:107], v[102:103], v[116:117] op_sel:[0,0,1] op_sel_hi:[1,0,0]
	v_mov_b32_e32 v99, v11
	v_pk_add_f32 v[4:5], v[4:5], v[14:15]
	v_mov_b32_e32 v101, v103
	v_pk_add_f32 v[4:5], v[4:5], v[98:99]
	v_pk_add_f32 v[4:5], v[4:5], v[100:101]
	s_waitcnt vmcnt(0)
	v_pk_add_f32 v[4:5], v[104:105], v[4:5] neg_lo:[0,1] neg_hi:[0,1]
	buffer_store_dword v4, off, s[0:3], 0 offset:280
	buffer_store_dword v5, off, s[0:3], 0 offset:284
	s_and_saveexec_b64 s[4:5], vcc
	s_cbranch_execz .LBB104_191
; %bb.190:
	buffer_load_dword v4, off, s[0:3], 0 offset:272
	buffer_load_dword v5, off, s[0:3], 0 offset:276
	s_waitcnt vmcnt(0)
	ds_write_b64 v1, v[4:5]
	buffer_store_dword v2, off, s[0:3], 0 offset:272
	buffer_store_dword v2, off, s[0:3], 0 offset:276
.LBB104_191:
	s_or_b64 exec, exec, s[4:5]
	s_waitcnt lgkmcnt(0)
	; wave barrier
	s_waitcnt lgkmcnt(0)
	buffer_load_dword v99, off, s[0:3], 0 offset:284
	buffer_load_dword v101, off, s[0:3], 0 offset:292
	;; [unrolled: 1-line block ×14, first 2 shown]
	ds_read2_b64 v[4:7], v2 offset0:77 offset1:78
	ds_read2_b64 v[8:11], v2 offset0:79 offset1:80
	;; [unrolled: 1-line block ×3, first 2 shown]
	v_cmp_lt_u32_e32 vcc, 33, v0
	s_waitcnt vmcnt(13)
	v_mov_b32_e32 v2, v99
	s_waitcnt vmcnt(12)
	v_mov_b32_e32 v112, v101
	s_waitcnt lgkmcnt(2)
	v_pk_mul_f32 v[2:3], v[4:5], v[2:3] op_sel_hi:[1,0]
	s_waitcnt vmcnt(11)
	v_mov_b32_e32 v114, v103
	v_pk_mul_f32 v[112:113], v[6:7], v[112:113] op_sel_hi:[1,0]
	s_waitcnt vmcnt(10)
	v_mov_b32_e32 v116, v105
	s_waitcnt vmcnt(7)
	v_pk_fma_f32 v[122:123], v[4:5], v[98:99], v[2:3] op_sel:[0,0,1] op_sel_hi:[1,1,0] neg_lo:[0,0,1] neg_hi:[0,0,1]
	v_pk_fma_f32 v[2:3], v[4:5], v[98:99], v[2:3] op_sel:[0,0,1] op_sel_hi:[1,0,0]
	s_waitcnt lgkmcnt(1)
	v_pk_mul_f32 v[114:115], v[8:9], v[114:115] op_sel_hi:[1,0]
	s_waitcnt vmcnt(6)
	v_pk_fma_f32 v[4:5], v[6:7], v[100:101], v[112:113] op_sel:[0,0,1] op_sel_hi:[1,1,0] neg_lo:[0,0,1] neg_hi:[0,0,1]
	v_pk_fma_f32 v[6:7], v[6:7], v[100:101], v[112:113] op_sel:[0,0,1] op_sel_hi:[1,0,0]
	v_mov_b32_e32 v123, v3
	v_mov_b32_e32 v118, v107
	v_pk_mul_f32 v[116:117], v[10:11], v[116:117] op_sel_hi:[1,0]
	s_waitcnt vmcnt(5)
	v_pk_fma_f32 v[98:99], v[8:9], v[102:103], v[114:115] op_sel:[0,0,1] op_sel_hi:[1,1,0] neg_lo:[0,0,1] neg_hi:[0,0,1]
	v_pk_fma_f32 v[8:9], v[8:9], v[102:103], v[114:115] op_sel:[0,0,1] op_sel_hi:[1,0,0]
	v_mov_b32_e32 v5, v7
	v_pk_add_f32 v[2:3], v[122:123], 0 op_sel_hi:[1,0]
	v_mov_b32_e32 v120, v109
	s_waitcnt lgkmcnt(0)
	v_pk_mul_f32 v[118:119], v[12:13], v[118:119] op_sel_hi:[1,0]
	s_waitcnt vmcnt(4)
	v_pk_fma_f32 v[100:101], v[10:11], v[104:105], v[116:117] op_sel:[0,0,1] op_sel_hi:[1,1,0] neg_lo:[0,0,1] neg_hi:[0,0,1]
	v_pk_fma_f32 v[10:11], v[10:11], v[104:105], v[116:117] op_sel:[0,0,1] op_sel_hi:[1,0,0]
	v_mov_b32_e32 v99, v9
	v_pk_add_f32 v[2:3], v[2:3], v[4:5]
	v_pk_mul_f32 v[120:121], v[14:15], v[120:121] op_sel_hi:[1,0]
	s_waitcnt vmcnt(3)
	v_pk_fma_f32 v[102:103], v[12:13], v[106:107], v[118:119] op_sel:[0,0,1] op_sel_hi:[1,1,0] neg_lo:[0,0,1] neg_hi:[0,0,1]
	v_pk_fma_f32 v[12:13], v[12:13], v[106:107], v[118:119] op_sel:[0,0,1] op_sel_hi:[1,0,0]
	v_mov_b32_e32 v101, v11
	v_pk_add_f32 v[2:3], v[2:3], v[98:99]
	s_waitcnt vmcnt(2)
	v_pk_fma_f32 v[104:105], v[14:15], v[108:109], v[120:121] op_sel:[0,0,1] op_sel_hi:[1,1,0] neg_lo:[0,0,1] neg_hi:[0,0,1]
	v_pk_fma_f32 v[14:15], v[14:15], v[108:109], v[120:121] op_sel:[0,0,1] op_sel_hi:[1,0,0]
	v_mov_b32_e32 v103, v13
	v_pk_add_f32 v[2:3], v[2:3], v[100:101]
	v_mov_b32_e32 v105, v15
	v_pk_add_f32 v[2:3], v[2:3], v[102:103]
	v_pk_add_f32 v[2:3], v[2:3], v[104:105]
	s_waitcnt vmcnt(0)
	v_pk_add_f32 v[2:3], v[110:111], v[2:3] neg_lo:[0,1] neg_hi:[0,1]
	buffer_store_dword v2, off, s[0:3], 0 offset:272
	buffer_store_dword v3, off, s[0:3], 0 offset:276
	s_and_saveexec_b64 s[4:5], vcc
	s_cbranch_execz .LBB104_193
; %bb.192:
	buffer_load_dword v2, off, s[0:3], 0 offset:264
	buffer_load_dword v3, off, s[0:3], 0 offset:268
	v_mov_b32_e32 v4, 0
	buffer_store_dword v4, off, s[0:3], 0 offset:264
	buffer_store_dword v4, off, s[0:3], 0 offset:268
	s_waitcnt vmcnt(2)
	ds_write_b64 v1, v[2:3]
.LBB104_193:
	s_or_b64 exec, exec, s[4:5]
	s_waitcnt lgkmcnt(0)
	; wave barrier
	s_waitcnt lgkmcnt(0)
	buffer_load_dword v98, off, s[0:3], 0 offset:264
	buffer_load_dword v99, off, s[0:3], 0 offset:268
	;; [unrolled: 1-line block ×16, first 2 shown]
	v_mov_b32_e32 v2, 0
	ds_read_b128 v[4:7], v2 offset:608
	ds_read_b128 v[8:11], v2 offset:624
	;; [unrolled: 1-line block ×3, first 2 shown]
	ds_read_b64 v[114:115], v2 offset:656
	v_cmp_lt_u32_e32 vcc, 32, v0
	s_waitcnt vmcnt(12)
	v_mov_b32_e32 v116, v101
	s_waitcnt lgkmcnt(3)
	v_pk_mul_f32 v[116:117], v[4:5], v[116:117] op_sel_hi:[1,0]
	v_pk_fma_f32 v[118:119], v[4:5], v[100:101], v[116:117] op_sel:[0,0,1] op_sel_hi:[1,1,0] neg_lo:[0,0,1] neg_hi:[0,0,1]
	v_pk_fma_f32 v[4:5], v[4:5], v[100:101], v[116:117] op_sel:[0,0,1] op_sel_hi:[1,0,0]
	s_waitcnt vmcnt(10)
	v_mov_b32_e32 v100, v103
	v_pk_mul_f32 v[100:101], v[6:7], v[100:101] op_sel_hi:[1,0]
	v_pk_fma_f32 v[116:117], v[6:7], v[102:103], v[100:101] op_sel:[0,0,1] op_sel_hi:[1,1,0] neg_lo:[0,0,1] neg_hi:[0,0,1]
	v_pk_fma_f32 v[6:7], v[6:7], v[102:103], v[100:101] op_sel:[0,0,1] op_sel_hi:[1,0,0]
	s_waitcnt vmcnt(8)
	v_mov_b32_e32 v6, v105
	v_mov_b32_e32 v117, v7
	s_waitcnt lgkmcnt(2)
	v_pk_mul_f32 v[6:7], v[8:9], v[6:7] op_sel_hi:[1,0]
	v_pk_fma_f32 v[100:101], v[8:9], v[104:105], v[6:7] op_sel:[0,0,1] op_sel_hi:[1,1,0] neg_lo:[0,0,1] neg_hi:[0,0,1]
	v_pk_fma_f32 v[6:7], v[8:9], v[104:105], v[6:7] op_sel:[0,0,1] op_sel_hi:[1,0,0]
	s_waitcnt vmcnt(6)
	v_mov_b32_e32 v6, v107
	v_mov_b32_e32 v119, v5
	;; [unrolled: 1-line block ×3, first 2 shown]
	v_pk_mul_f32 v[6:7], v[10:11], v[6:7] op_sel_hi:[1,0]
	v_pk_add_f32 v[4:5], v[118:119], 0 op_sel_hi:[1,0]
	v_pk_fma_f32 v[8:9], v[10:11], v[106:107], v[6:7] op_sel:[0,0,1] op_sel_hi:[1,1,0] neg_lo:[0,0,1] neg_hi:[0,0,1]
	v_pk_fma_f32 v[6:7], v[10:11], v[106:107], v[6:7] op_sel:[0,0,1] op_sel_hi:[1,0,0]
	v_pk_add_f32 v[4:5], v[4:5], v[116:117]
	s_waitcnt vmcnt(4)
	v_mov_b32_e32 v6, v109
	v_pk_add_f32 v[4:5], v[4:5], v[100:101]
	v_mov_b32_e32 v9, v7
	s_waitcnt lgkmcnt(1)
	v_pk_mul_f32 v[6:7], v[12:13], v[6:7] op_sel_hi:[1,0]
	v_pk_add_f32 v[4:5], v[4:5], v[8:9]
	v_pk_fma_f32 v[8:9], v[12:13], v[108:109], v[6:7] op_sel:[0,0,1] op_sel_hi:[1,1,0] neg_lo:[0,0,1] neg_hi:[0,0,1]
	v_pk_fma_f32 v[6:7], v[12:13], v[108:109], v[6:7] op_sel:[0,0,1] op_sel_hi:[1,0,0]
	s_waitcnt vmcnt(2)
	v_mov_b32_e32 v6, v111
	v_mov_b32_e32 v9, v7
	v_pk_mul_f32 v[6:7], v[14:15], v[6:7] op_sel_hi:[1,0]
	v_pk_add_f32 v[4:5], v[4:5], v[8:9]
	v_pk_fma_f32 v[8:9], v[14:15], v[110:111], v[6:7] op_sel:[0,0,1] op_sel_hi:[1,1,0] neg_lo:[0,0,1] neg_hi:[0,0,1]
	v_pk_fma_f32 v[6:7], v[14:15], v[110:111], v[6:7] op_sel:[0,0,1] op_sel_hi:[1,0,0]
	s_waitcnt vmcnt(0)
	v_mov_b32_e32 v6, v113
	v_mov_b32_e32 v9, v7
	s_waitcnt lgkmcnt(0)
	v_pk_mul_f32 v[6:7], v[114:115], v[6:7] op_sel_hi:[1,0]
	v_pk_add_f32 v[4:5], v[4:5], v[8:9]
	v_pk_fma_f32 v[8:9], v[114:115], v[112:113], v[6:7] op_sel:[0,0,1] op_sel_hi:[1,1,0] neg_lo:[0,0,1] neg_hi:[0,0,1]
	v_pk_fma_f32 v[6:7], v[114:115], v[112:113], v[6:7] op_sel:[0,0,1] op_sel_hi:[1,0,0]
	v_mov_b32_e32 v9, v7
	v_pk_add_f32 v[4:5], v[4:5], v[8:9]
	v_pk_add_f32 v[4:5], v[98:99], v[4:5] neg_lo:[0,1] neg_hi:[0,1]
	buffer_store_dword v4, off, s[0:3], 0 offset:264
	buffer_store_dword v5, off, s[0:3], 0 offset:268
	s_and_saveexec_b64 s[4:5], vcc
	s_cbranch_execz .LBB104_195
; %bb.194:
	buffer_load_dword v4, off, s[0:3], 0 offset:256
	buffer_load_dword v5, off, s[0:3], 0 offset:260
	s_waitcnt vmcnt(0)
	ds_write_b64 v1, v[4:5]
	buffer_store_dword v2, off, s[0:3], 0 offset:256
	buffer_store_dword v2, off, s[0:3], 0 offset:260
.LBB104_195:
	s_or_b64 exec, exec, s[4:5]
	s_waitcnt lgkmcnt(0)
	; wave barrier
	s_waitcnt lgkmcnt(0)
	buffer_load_dword v102, off, s[0:3], 0 offset:256
	buffer_load_dword v103, off, s[0:3], 0 offset:260
	;; [unrolled: 1-line block ×16, first 2 shown]
	ds_read2_b64 v[4:7], v2 offset0:75 offset1:76
	buffer_load_dword v119, off, s[0:3], 0 offset:324
	buffer_load_dword v118, off, s[0:3], 0 offset:320
	ds_read2_b64 v[8:11], v2 offset0:77 offset1:78
	ds_read2_b64 v[12:15], v2 offset0:79 offset1:80
	ds_read2_b64 v[98:101], v2 offset0:81 offset1:82
	v_cmp_lt_u32_e32 vcc, 31, v0
	s_waitcnt vmcnt(14)
	v_mov_b32_e32 v2, v105
	s_waitcnt lgkmcnt(3)
	v_pk_mul_f32 v[2:3], v[4:5], v[2:3] op_sel_hi:[1,0]
	v_pk_fma_f32 v[120:121], v[4:5], v[104:105], v[2:3] op_sel:[0,0,1] op_sel_hi:[1,1,0] neg_lo:[0,0,1] neg_hi:[0,0,1]
	v_pk_fma_f32 v[2:3], v[4:5], v[104:105], v[2:3] op_sel:[0,0,1] op_sel_hi:[1,0,0]
	s_waitcnt vmcnt(12)
	v_mov_b32_e32 v4, v107
	v_pk_mul_f32 v[4:5], v[6:7], v[4:5] op_sel_hi:[1,0]
	v_pk_fma_f32 v[104:105], v[6:7], v[106:107], v[4:5] op_sel:[0,0,1] op_sel_hi:[1,1,0] neg_lo:[0,0,1] neg_hi:[0,0,1]
	v_pk_fma_f32 v[4:5], v[6:7], v[106:107], v[4:5] op_sel:[0,0,1] op_sel_hi:[1,0,0]
	s_waitcnt vmcnt(10)
	v_mov_b32_e32 v4, v109
	v_mov_b32_e32 v105, v5
	s_waitcnt lgkmcnt(2)
	v_pk_mul_f32 v[4:5], v[8:9], v[4:5] op_sel_hi:[1,0]
	v_mov_b32_e32 v121, v3
	v_pk_fma_f32 v[6:7], v[8:9], v[108:109], v[4:5] op_sel:[0,0,1] op_sel_hi:[1,1,0] neg_lo:[0,0,1] neg_hi:[0,0,1]
	v_pk_fma_f32 v[4:5], v[8:9], v[108:109], v[4:5] op_sel:[0,0,1] op_sel_hi:[1,0,0]
	v_pk_add_f32 v[2:3], v[120:121], 0 op_sel_hi:[1,0]
	s_waitcnt vmcnt(8)
	v_mov_b32_e32 v4, v111
	v_pk_add_f32 v[2:3], v[2:3], v[104:105]
	v_mov_b32_e32 v7, v5
	v_pk_mul_f32 v[4:5], v[10:11], v[4:5] op_sel_hi:[1,0]
	v_pk_add_f32 v[2:3], v[2:3], v[6:7]
	v_pk_fma_f32 v[6:7], v[10:11], v[110:111], v[4:5] op_sel:[0,0,1] op_sel_hi:[1,1,0] neg_lo:[0,0,1] neg_hi:[0,0,1]
	v_pk_fma_f32 v[4:5], v[10:11], v[110:111], v[4:5] op_sel:[0,0,1] op_sel_hi:[1,0,0]
	s_waitcnt vmcnt(6)
	v_mov_b32_e32 v4, v113
	v_mov_b32_e32 v7, v5
	s_waitcnt lgkmcnt(1)
	v_pk_mul_f32 v[4:5], v[12:13], v[4:5] op_sel_hi:[1,0]
	v_pk_add_f32 v[2:3], v[2:3], v[6:7]
	v_pk_fma_f32 v[6:7], v[12:13], v[112:113], v[4:5] op_sel:[0,0,1] op_sel_hi:[1,1,0] neg_lo:[0,0,1] neg_hi:[0,0,1]
	v_pk_fma_f32 v[4:5], v[12:13], v[112:113], v[4:5] op_sel:[0,0,1] op_sel_hi:[1,0,0]
	s_waitcnt vmcnt(4)
	v_mov_b32_e32 v4, v115
	v_mov_b32_e32 v7, v5
	v_pk_mul_f32 v[4:5], v[14:15], v[4:5] op_sel_hi:[1,0]
	v_pk_add_f32 v[2:3], v[2:3], v[6:7]
	v_pk_fma_f32 v[6:7], v[14:15], v[114:115], v[4:5] op_sel:[0,0,1] op_sel_hi:[1,1,0] neg_lo:[0,0,1] neg_hi:[0,0,1]
	v_pk_fma_f32 v[4:5], v[14:15], v[114:115], v[4:5] op_sel:[0,0,1] op_sel_hi:[1,0,0]
	s_waitcnt vmcnt(2)
	v_mov_b32_e32 v4, v117
	v_mov_b32_e32 v7, v5
	s_waitcnt lgkmcnt(0)
	v_pk_mul_f32 v[4:5], v[98:99], v[4:5] op_sel_hi:[1,0]
	v_pk_add_f32 v[2:3], v[2:3], v[6:7]
	v_pk_fma_f32 v[6:7], v[98:99], v[116:117], v[4:5] op_sel:[0,0,1] op_sel_hi:[1,1,0] neg_lo:[0,0,1] neg_hi:[0,0,1]
	v_pk_fma_f32 v[4:5], v[98:99], v[116:117], v[4:5] op_sel:[0,0,1] op_sel_hi:[1,0,0]
	s_waitcnt vmcnt(1)
	v_mov_b32_e32 v4, v119
	v_mov_b32_e32 v7, v5
	v_pk_mul_f32 v[4:5], v[100:101], v[4:5] op_sel_hi:[1,0]
	v_pk_add_f32 v[2:3], v[2:3], v[6:7]
	s_waitcnt vmcnt(0)
	v_pk_fma_f32 v[6:7], v[100:101], v[118:119], v[4:5] op_sel:[0,0,1] op_sel_hi:[1,1,0] neg_lo:[0,0,1] neg_hi:[0,0,1]
	v_pk_fma_f32 v[4:5], v[100:101], v[118:119], v[4:5] op_sel:[0,0,1] op_sel_hi:[1,0,0]
	v_mov_b32_e32 v7, v5
	v_pk_add_f32 v[2:3], v[2:3], v[6:7]
	v_pk_add_f32 v[2:3], v[102:103], v[2:3] neg_lo:[0,1] neg_hi:[0,1]
	buffer_store_dword v2, off, s[0:3], 0 offset:256
	buffer_store_dword v3, off, s[0:3], 0 offset:260
	s_and_saveexec_b64 s[4:5], vcc
	s_cbranch_execz .LBB104_197
; %bb.196:
	buffer_load_dword v2, off, s[0:3], 0 offset:248
	buffer_load_dword v3, off, s[0:3], 0 offset:252
	v_mov_b32_e32 v4, 0
	buffer_store_dword v4, off, s[0:3], 0 offset:248
	buffer_store_dword v4, off, s[0:3], 0 offset:252
	s_waitcnt vmcnt(2)
	ds_write_b64 v1, v[2:3]
.LBB104_197:
	s_or_b64 exec, exec, s[4:5]
	v_mov_b32_e32 v2, 0
	s_waitcnt lgkmcnt(0)
	; wave barrier
	s_waitcnt lgkmcnt(0)
	ds_read_b128 v[4:7], v2 offset:592
	ds_read_b128 v[8:11], v2 offset:608
	;; [unrolled: 1-line block ×4, first 2 shown]
	buffer_load_dword v102, off, s[0:3], 0 offset:248
	buffer_load_dword v103, off, s[0:3], 0 offset:252
	;; [unrolled: 1-line block ×20, first 2 shown]
	v_cmp_lt_u32_e32 vcc, 30, v0
	s_waitcnt vmcnt(16) lgkmcnt(3)
	v_mul_f32_e32 v117, v4, v116
	v_fmac_f32_e32 v117, v5, v3
	s_waitcnt vmcnt(14)
	v_mov_b32_e32 v122, v105
	v_mul_f32_e32 v5, v5, v116
	v_pk_mul_f32 v[122:123], v[6:7], v[122:123] op_sel_hi:[1,0]
	v_fma_f32 v116, v4, v3, -v5
	v_pk_fma_f32 v[124:125], v[6:7], v[104:105], v[122:123] op_sel:[0,0,1] op_sel_hi:[1,1,0] neg_lo:[0,0,1] neg_hi:[0,0,1]
	v_pk_fma_f32 v[6:7], v[6:7], v[104:105], v[122:123] op_sel:[0,0,1] op_sel_hi:[1,0,0]
	s_waitcnt vmcnt(12)
	v_mov_b32_e32 v104, v107
	v_pk_add_f32 v[116:117], v[116:117], 0 op_sel_hi:[1,0]
	v_mov_b32_e32 v125, v7
	s_waitcnt lgkmcnt(2)
	v_pk_mul_f32 v[104:105], v[8:9], v[104:105] op_sel_hi:[1,0]
	v_pk_add_f32 v[6:7], v[116:117], v[124:125]
	v_pk_fma_f32 v[116:117], v[8:9], v[106:107], v[104:105] op_sel:[0,0,1] op_sel_hi:[1,1,0] neg_lo:[0,0,1] neg_hi:[0,0,1]
	v_pk_fma_f32 v[8:9], v[8:9], v[106:107], v[104:105] op_sel:[0,0,1] op_sel_hi:[1,0,0]
	s_waitcnt vmcnt(10)
	v_mov_b32_e32 v8, v109
	v_mov_b32_e32 v117, v9
	v_pk_mul_f32 v[8:9], v[10:11], v[8:9] op_sel_hi:[1,0]
	v_pk_fma_f32 v[104:105], v[10:11], v[108:109], v[8:9] op_sel:[0,0,1] op_sel_hi:[1,1,0] neg_lo:[0,0,1] neg_hi:[0,0,1]
	v_pk_fma_f32 v[8:9], v[10:11], v[108:109], v[8:9] op_sel:[0,0,1] op_sel_hi:[1,0,0]
	s_waitcnt vmcnt(8)
	v_mov_b32_e32 v8, v111
	v_mov_b32_e32 v105, v9
	s_waitcnt lgkmcnt(1)
	v_pk_mul_f32 v[8:9], v[12:13], v[8:9] op_sel_hi:[1,0]
	v_pk_fma_f32 v[10:11], v[12:13], v[110:111], v[8:9] op_sel:[0,0,1] op_sel_hi:[1,1,0] neg_lo:[0,0,1] neg_hi:[0,0,1]
	v_pk_fma_f32 v[8:9], v[12:13], v[110:111], v[8:9] op_sel:[0,0,1] op_sel_hi:[1,0,0]
	v_pk_add_f32 v[6:7], v[6:7], v[116:117]
	s_waitcnt vmcnt(6)
	v_mov_b32_e32 v8, v113
	v_pk_add_f32 v[6:7], v[6:7], v[104:105]
	v_mov_b32_e32 v11, v9
	v_pk_mul_f32 v[8:9], v[14:15], v[8:9] op_sel_hi:[1,0]
	v_pk_add_f32 v[6:7], v[6:7], v[10:11]
	v_pk_fma_f32 v[10:11], v[14:15], v[112:113], v[8:9] op_sel:[0,0,1] op_sel_hi:[1,1,0] neg_lo:[0,0,1] neg_hi:[0,0,1]
	v_pk_fma_f32 v[8:9], v[14:15], v[112:113], v[8:9] op_sel:[0,0,1] op_sel_hi:[1,0,0]
	s_waitcnt vmcnt(4)
	v_mov_b32_e32 v8, v115
	v_mov_b32_e32 v11, v9
	s_waitcnt lgkmcnt(0)
	v_pk_mul_f32 v[8:9], v[98:99], v[8:9] op_sel_hi:[1,0]
	ds_read_b64 v[4:5], v2 offset:656
	v_pk_add_f32 v[6:7], v[6:7], v[10:11]
	v_pk_fma_f32 v[10:11], v[98:99], v[114:115], v[8:9] op_sel:[0,0,1] op_sel_hi:[1,1,0] neg_lo:[0,0,1] neg_hi:[0,0,1]
	v_pk_fma_f32 v[8:9], v[98:99], v[114:115], v[8:9] op_sel:[0,0,1] op_sel_hi:[1,0,0]
	s_waitcnt vmcnt(3)
	v_mov_b32_e32 v8, v119
	v_mov_b32_e32 v11, v9
	v_pk_mul_f32 v[8:9], v[100:101], v[8:9] op_sel_hi:[1,0]
	v_pk_add_f32 v[6:7], v[6:7], v[10:11]
	s_waitcnt vmcnt(2)
	v_pk_fma_f32 v[10:11], v[100:101], v[118:119], v[8:9] op_sel:[0,0,1] op_sel_hi:[1,1,0] neg_lo:[0,0,1] neg_hi:[0,0,1]
	v_pk_fma_f32 v[8:9], v[100:101], v[118:119], v[8:9] op_sel:[0,0,1] op_sel_hi:[1,0,0]
	s_waitcnt vmcnt(1)
	v_mov_b32_e32 v8, v121
	v_mov_b32_e32 v11, v9
	s_waitcnt lgkmcnt(0)
	v_pk_mul_f32 v[8:9], v[4:5], v[8:9] op_sel_hi:[1,0]
	v_pk_add_f32 v[6:7], v[6:7], v[10:11]
	s_waitcnt vmcnt(0)
	v_pk_fma_f32 v[10:11], v[4:5], v[120:121], v[8:9] op_sel:[0,0,1] op_sel_hi:[1,1,0] neg_lo:[0,0,1] neg_hi:[0,0,1]
	v_pk_fma_f32 v[4:5], v[4:5], v[120:121], v[8:9] op_sel:[0,0,1] op_sel_hi:[1,0,0]
	v_mov_b32_e32 v11, v5
	v_pk_add_f32 v[4:5], v[6:7], v[10:11]
	v_pk_add_f32 v[4:5], v[102:103], v[4:5] neg_lo:[0,1] neg_hi:[0,1]
	buffer_store_dword v4, off, s[0:3], 0 offset:248
	buffer_store_dword v5, off, s[0:3], 0 offset:252
	s_and_saveexec_b64 s[4:5], vcc
	s_cbranch_execz .LBB104_199
; %bb.198:
	buffer_load_dword v4, off, s[0:3], 0 offset:240
	buffer_load_dword v5, off, s[0:3], 0 offset:244
	s_waitcnt vmcnt(0)
	ds_write_b64 v1, v[4:5]
	buffer_store_dword v2, off, s[0:3], 0 offset:240
	buffer_store_dword v2, off, s[0:3], 0 offset:244
.LBB104_199:
	s_or_b64 exec, exec, s[4:5]
	s_waitcnt lgkmcnt(0)
	; wave barrier
	s_waitcnt lgkmcnt(0)
	ds_read2_b64 v[4:7], v2 offset0:73 offset1:74
	buffer_load_dword v102, off, s[0:3], 0 offset:240
	buffer_load_dword v103, off, s[0:3], 0 offset:244
	;; [unrolled: 1-line block ×16, first 2 shown]
	ds_read2_b64 v[8:11], v2 offset0:75 offset1:76
	buffer_load_dword v119, off, s[0:3], 0 offset:308
	buffer_load_dword v118, off, s[0:3], 0 offset:304
	;; [unrolled: 1-line block ×6, first 2 shown]
	v_cmp_lt_u32_e32 vcc, 29, v0
	s_waitcnt vmcnt(18) lgkmcnt(1)
	v_mul_f32_e32 v115, v4, v12
	v_fmac_f32_e32 v115, v5, v3
	v_mul_f32_e32 v5, v5, v12
	s_waitcnt vmcnt(16)
	v_mul_f32_e32 v117, v6, v14
	v_fma_f32 v114, v4, v3, -v5
	v_mul_f32_e32 v3, v7, v14
	v_fmac_f32_e32 v117, v7, v13
	v_fma_f32 v116, v6, v13, -v3
	ds_read2_b64 v[4:7], v2 offset0:77 offset1:78
	ds_read2_b64 v[12:15], v2 offset0:79 offset1:80
	;; [unrolled: 1-line block ×3, first 2 shown]
	v_pk_add_f32 v[2:3], v[114:115], 0 op_sel_hi:[1,0]
	s_waitcnt vmcnt(14)
	v_mov_b32_e32 v114, v105
	s_waitcnt lgkmcnt(3)
	v_pk_mul_f32 v[114:115], v[8:9], v[114:115] op_sel_hi:[1,0]
	v_pk_add_f32 v[2:3], v[2:3], v[116:117]
	v_pk_fma_f32 v[116:117], v[8:9], v[104:105], v[114:115] op_sel:[0,0,1] op_sel_hi:[1,1,0] neg_lo:[0,0,1] neg_hi:[0,0,1]
	v_pk_fma_f32 v[8:9], v[8:9], v[104:105], v[114:115] op_sel:[0,0,1] op_sel_hi:[1,0,0]
	s_waitcnt vmcnt(12)
	v_mov_b32_e32 v8, v107
	v_mov_b32_e32 v117, v9
	v_pk_mul_f32 v[8:9], v[10:11], v[8:9] op_sel_hi:[1,0]
	v_pk_fma_f32 v[104:105], v[10:11], v[106:107], v[8:9] op_sel:[0,0,1] op_sel_hi:[1,1,0] neg_lo:[0,0,1] neg_hi:[0,0,1]
	v_pk_fma_f32 v[8:9], v[10:11], v[106:107], v[8:9] op_sel:[0,0,1] op_sel_hi:[1,0,0]
	s_waitcnt vmcnt(10)
	v_mov_b32_e32 v8, v109
	v_mov_b32_e32 v105, v9
	s_waitcnt lgkmcnt(2)
	v_pk_mul_f32 v[8:9], v[4:5], v[8:9] op_sel_hi:[1,0]
	v_pk_fma_f32 v[10:11], v[4:5], v[108:109], v[8:9] op_sel:[0,0,1] op_sel_hi:[1,1,0] neg_lo:[0,0,1] neg_hi:[0,0,1]
	v_pk_fma_f32 v[4:5], v[4:5], v[108:109], v[8:9] op_sel:[0,0,1] op_sel_hi:[1,0,0]
	s_waitcnt vmcnt(8)
	v_mov_b32_e32 v4, v111
	v_mov_b32_e32 v11, v5
	v_pk_mul_f32 v[4:5], v[6:7], v[4:5] op_sel_hi:[1,0]
	v_pk_fma_f32 v[8:9], v[6:7], v[110:111], v[4:5] op_sel:[0,0,1] op_sel_hi:[1,1,0] neg_lo:[0,0,1] neg_hi:[0,0,1]
	v_pk_fma_f32 v[4:5], v[6:7], v[110:111], v[4:5] op_sel:[0,0,1] op_sel_hi:[1,0,0]
	s_waitcnt vmcnt(6)
	v_mov_b32_e32 v4, v113
	v_pk_add_f32 v[2:3], v[2:3], v[116:117]
	v_mov_b32_e32 v9, v5
	s_waitcnt lgkmcnt(1)
	v_pk_mul_f32 v[4:5], v[12:13], v[4:5] op_sel_hi:[1,0]
	v_pk_add_f32 v[2:3], v[2:3], v[104:105]
	v_pk_fma_f32 v[6:7], v[12:13], v[112:113], v[4:5] op_sel:[0,0,1] op_sel_hi:[1,1,0] neg_lo:[0,0,1] neg_hi:[0,0,1]
	v_pk_fma_f32 v[4:5], v[12:13], v[112:113], v[4:5] op_sel:[0,0,1] op_sel_hi:[1,0,0]
	v_pk_add_f32 v[2:3], v[2:3], v[10:11]
	s_waitcnt vmcnt(5)
	v_mov_b32_e32 v4, v119
	v_pk_add_f32 v[2:3], v[2:3], v[8:9]
	v_mov_b32_e32 v7, v5
	v_pk_mul_f32 v[4:5], v[14:15], v[4:5] op_sel_hi:[1,0]
	v_pk_add_f32 v[2:3], v[2:3], v[6:7]
	s_waitcnt vmcnt(4)
	v_pk_fma_f32 v[6:7], v[14:15], v[118:119], v[4:5] op_sel:[0,0,1] op_sel_hi:[1,1,0] neg_lo:[0,0,1] neg_hi:[0,0,1]
	v_pk_fma_f32 v[4:5], v[14:15], v[118:119], v[4:5] op_sel:[0,0,1] op_sel_hi:[1,0,0]
	s_waitcnt vmcnt(3)
	v_mov_b32_e32 v4, v121
	v_mov_b32_e32 v7, v5
	s_waitcnt lgkmcnt(0)
	v_pk_mul_f32 v[4:5], v[98:99], v[4:5] op_sel_hi:[1,0]
	v_pk_add_f32 v[2:3], v[2:3], v[6:7]
	s_waitcnt vmcnt(2)
	v_pk_fma_f32 v[6:7], v[98:99], v[120:121], v[4:5] op_sel:[0,0,1] op_sel_hi:[1,1,0] neg_lo:[0,0,1] neg_hi:[0,0,1]
	v_pk_fma_f32 v[4:5], v[98:99], v[120:121], v[4:5] op_sel:[0,0,1] op_sel_hi:[1,0,0]
	s_waitcnt vmcnt(1)
	v_mov_b32_e32 v4, v123
	v_mov_b32_e32 v7, v5
	v_pk_mul_f32 v[4:5], v[100:101], v[4:5] op_sel_hi:[1,0]
	v_pk_add_f32 v[2:3], v[2:3], v[6:7]
	s_waitcnt vmcnt(0)
	v_pk_fma_f32 v[6:7], v[100:101], v[122:123], v[4:5] op_sel:[0,0,1] op_sel_hi:[1,1,0] neg_lo:[0,0,1] neg_hi:[0,0,1]
	v_pk_fma_f32 v[4:5], v[100:101], v[122:123], v[4:5] op_sel:[0,0,1] op_sel_hi:[1,0,0]
	v_mov_b32_e32 v7, v5
	v_pk_add_f32 v[2:3], v[2:3], v[6:7]
	v_pk_add_f32 v[2:3], v[102:103], v[2:3] neg_lo:[0,1] neg_hi:[0,1]
	buffer_store_dword v2, off, s[0:3], 0 offset:240
	buffer_store_dword v3, off, s[0:3], 0 offset:244
	s_and_saveexec_b64 s[4:5], vcc
	s_cbranch_execz .LBB104_201
; %bb.200:
	buffer_load_dword v2, off, s[0:3], 0 offset:232
	buffer_load_dword v3, off, s[0:3], 0 offset:236
	v_mov_b32_e32 v4, 0
	buffer_store_dword v4, off, s[0:3], 0 offset:232
	buffer_store_dword v4, off, s[0:3], 0 offset:236
	s_waitcnt vmcnt(2)
	ds_write_b64 v1, v[2:3]
.LBB104_201:
	s_or_b64 exec, exec, s[4:5]
	s_waitcnt lgkmcnt(0)
	; wave barrier
	s_waitcnt lgkmcnt(0)
	buffer_load_dword v3, off, s[0:3], 0 offset:244
	buffer_load_dword v126, off, s[0:3], 0 offset:252
	buffer_load_dword v128, off, s[0:3], 0 offset:260
	buffer_load_dword v107, off, s[0:3], 0 offset:268
	buffer_load_dword v109, off, s[0:3], 0 offset:276
	buffer_load_dword v111, off, s[0:3], 0 offset:284
	buffer_load_dword v113, off, s[0:3], 0 offset:292
	buffer_load_dword v115, off, s[0:3], 0 offset:300
	buffer_load_dword v117, off, s[0:3], 0 offset:308
	buffer_load_dword v119, off, s[0:3], 0 offset:316
	buffer_load_dword v121, off, s[0:3], 0 offset:324
	buffer_load_dword v131, off, s[0:3], 0 offset:240
	buffer_load_dword v133, off, s[0:3], 0 offset:248
	buffer_load_dword v135, off, s[0:3], 0 offset:256
	buffer_load_dword v106, off, s[0:3], 0 offset:264
	buffer_load_dword v108, off, s[0:3], 0 offset:272
	buffer_load_dword v110, off, s[0:3], 0 offset:280
	buffer_load_dword v112, off, s[0:3], 0 offset:288
	buffer_load_dword v120, off, s[0:3], 0 offset:320
	buffer_load_dword v118, off, s[0:3], 0 offset:312
	buffer_load_dword v116, off, s[0:3], 0 offset:304
	buffer_load_dword v114, off, s[0:3], 0 offset:296
	buffer_load_dword v122, off, s[0:3], 0 offset:232
	buffer_load_dword v123, off, s[0:3], 0 offset:236
	v_mov_b32_e32 v2, 0
	ds_read_b128 v[4:7], v2 offset:576
	ds_read_b128 v[8:11], v2 offset:592
	;; [unrolled: 1-line block ×5, first 2 shown]
	ds_read_b64 v[124:125], v2 offset:656
	v_cmp_lt_u32_e32 vcc, 28, v0
	s_waitcnt vmcnt(23) lgkmcnt(5)
	v_mul_f32_e32 v139, v4, v3
	v_mul_f32_e32 v3, v5, v3
	s_waitcnt vmcnt(22)
	v_mul_f32_e32 v127, v6, v126
	s_waitcnt vmcnt(21) lgkmcnt(4)
	v_mul_f32_e32 v129, v8, v128
	v_mul_f32_e32 v126, v7, v126
	;; [unrolled: 1-line block ×3, first 2 shown]
	s_waitcnt vmcnt(20)
	v_mov_b32_e32 v130, v107
	s_waitcnt vmcnt(19)
	v_mov_b32_e32 v132, v109
	;; [unrolled: 2-line block ×5, first 2 shown]
	s_waitcnt vmcnt(12)
	v_fmac_f32_e32 v139, v5, v131
	v_fma_f32 v3, v4, v131, -v3
	v_mov_b32_e32 v140, v117
	s_waitcnt vmcnt(11)
	v_fmac_f32_e32 v127, v7, v133
	s_waitcnt vmcnt(10)
	v_fmac_f32_e32 v129, v9, v135
	v_fma_f32 v126, v6, v133, -v126
	v_fma_f32 v128, v8, v135, -v128
	v_pk_mul_f32 v[4:5], v[10:11], v[130:131] op_sel_hi:[1,0]
	s_waitcnt lgkmcnt(3)
	v_pk_mul_f32 v[6:7], v[12:13], v[132:133] op_sel_hi:[1,0]
	v_pk_mul_f32 v[8:9], v[14:15], v[134:135] op_sel_hi:[1,0]
	s_waitcnt lgkmcnt(2)
	v_pk_mul_f32 v[130:131], v[98:99], v[136:137] op_sel_hi:[1,0]
	v_pk_mul_f32 v[132:133], v[100:101], v[138:139] op_sel_hi:[1,0]
	v_add_f32_e32 v139, 0, v139
	v_add_f32_e32 v138, 0, v3
	s_waitcnt lgkmcnt(1)
	v_pk_mul_f32 v[134:135], v[102:103], v[140:141] op_sel_hi:[1,0]
	s_waitcnt vmcnt(9)
	v_pk_fma_f32 v[140:141], v[10:11], v[106:107], v[4:5] op_sel:[0,0,1] op_sel_hi:[1,1,0] neg_lo:[0,0,1] neg_hi:[0,0,1]
	v_pk_fma_f32 v[4:5], v[10:11], v[106:107], v[4:5] op_sel:[0,0,1] op_sel_hi:[1,0,0]
	s_waitcnt vmcnt(8)
	v_pk_fma_f32 v[10:11], v[12:13], v[108:109], v[6:7] op_sel:[0,0,1] op_sel_hi:[1,1,0] neg_lo:[0,0,1] neg_hi:[0,0,1]
	v_pk_fma_f32 v[6:7], v[12:13], v[108:109], v[6:7] op_sel:[0,0,1] op_sel_hi:[1,0,0]
	;; [unrolled: 3-line block ×4, first 2 shown]
	v_pk_add_f32 v[112:113], v[138:139], v[126:127]
	v_mov_b32_e32 v141, v5
	v_pk_add_f32 v[4:5], v[112:113], v[128:129]
	v_mov_b32_e32 v11, v7
	;; [unrolled: 2-line block ×4, first 2 shown]
	s_waitcnt vmcnt(2)
	v_pk_fma_f32 v[106:107], v[100:101], v[114:115], v[132:133] op_sel:[0,0,1] op_sel_hi:[1,1,0] neg_lo:[0,0,1] neg_hi:[0,0,1]
	v_pk_fma_f32 v[100:101], v[100:101], v[114:115], v[132:133] op_sel:[0,0,1] op_sel_hi:[1,0,0]
	v_mov_b32_e32 v15, v99
	v_pk_add_f32 v[4:5], v[4:5], v[12:13]
	v_mov_b32_e32 v144, v121
	v_pk_mul_f32 v[136:137], v[104:105], v[142:143] op_sel_hi:[1,0]
	v_pk_fma_f32 v[108:109], v[102:103], v[116:117], v[134:135] op_sel:[0,0,1] op_sel_hi:[1,1,0] neg_lo:[0,0,1] neg_hi:[0,0,1]
	v_pk_fma_f32 v[102:103], v[102:103], v[116:117], v[134:135] op_sel:[0,0,1] op_sel_hi:[1,0,0]
	v_mov_b32_e32 v107, v101
	v_pk_add_f32 v[4:5], v[4:5], v[14:15]
	v_pk_fma_f32 v[110:111], v[104:105], v[118:119], v[136:137] op_sel:[0,0,1] op_sel_hi:[1,1,0] neg_lo:[0,0,1] neg_hi:[0,0,1]
	v_pk_fma_f32 v[104:105], v[104:105], v[118:119], v[136:137] op_sel:[0,0,1] op_sel_hi:[1,0,0]
	v_mov_b32_e32 v109, v103
	v_pk_add_f32 v[4:5], v[4:5], v[106:107]
	s_waitcnt lgkmcnt(0)
	v_pk_mul_f32 v[6:7], v[124:125], v[144:145] op_sel_hi:[1,0]
	v_mov_b32_e32 v111, v105
	v_pk_add_f32 v[4:5], v[4:5], v[108:109]
	v_pk_fma_f32 v[8:9], v[124:125], v[120:121], v[6:7] op_sel:[0,0,1] op_sel_hi:[1,1,0] neg_lo:[0,0,1] neg_hi:[0,0,1]
	v_pk_fma_f32 v[6:7], v[124:125], v[120:121], v[6:7] op_sel:[0,0,1] op_sel_hi:[1,0,0]
	v_pk_add_f32 v[4:5], v[4:5], v[110:111]
	v_mov_b32_e32 v9, v7
	v_pk_add_f32 v[4:5], v[4:5], v[8:9]
	s_waitcnt vmcnt(0)
	v_pk_add_f32 v[4:5], v[122:123], v[4:5] neg_lo:[0,1] neg_hi:[0,1]
	buffer_store_dword v5, off, s[0:3], 0 offset:236
	buffer_store_dword v4, off, s[0:3], 0 offset:232
	s_and_saveexec_b64 s[4:5], vcc
	s_cbranch_execz .LBB104_203
; %bb.202:
	buffer_load_dword v4, off, s[0:3], 0 offset:224
	buffer_load_dword v5, off, s[0:3], 0 offset:228
	s_waitcnt vmcnt(0)
	ds_write_b64 v1, v[4:5]
	buffer_store_dword v2, off, s[0:3], 0 offset:224
	buffer_store_dword v2, off, s[0:3], 0 offset:228
.LBB104_203:
	s_or_b64 exec, exec, s[4:5]
	s_waitcnt lgkmcnt(0)
	; wave barrier
	s_waitcnt lgkmcnt(0)
	buffer_load_dword v128, off, s[0:3], 0 offset:236
	buffer_load_dword v130, off, s[0:3], 0 offset:244
	;; [unrolled: 1-line block ×26, first 2 shown]
	ds_read2_b64 v[4:7], v2 offset0:71 offset1:72
	ds_read2_b64 v[8:11], v2 offset0:73 offset1:74
	;; [unrolled: 1-line block ×6, first 2 shown]
	v_cmp_lt_u32_e32 vcc, 27, v0
	s_waitcnt vmcnt(25) lgkmcnt(5)
	v_mul_f32_e32 v141, v4, v128
	v_mul_f32_e32 v2, v5, v128
	s_waitcnt vmcnt(24)
	v_mul_f32_e32 v142, v6, v130
	s_waitcnt vmcnt(23) lgkmcnt(4)
	v_mul_f32_e32 v3, v8, v131
	s_waitcnt vmcnt(22)
	v_mul_f32_e32 v129, v10, v132
	v_mul_f32_e32 v128, v7, v130
	;; [unrolled: 1-line block ×4, first 2 shown]
	s_waitcnt vmcnt(21)
	v_mov_b32_e32 v130, v111
	s_waitcnt vmcnt(20)
	v_mov_b32_e32 v132, v113
	;; [unrolled: 2-line block ×3, first 2 shown]
	s_waitcnt vmcnt(15)
	v_fmac_f32_e32 v141, v5, v133
	v_fma_f32 v144, v4, v133, -v2
	v_mov_b32_e32 v134, v115
	s_waitcnt vmcnt(14)
	v_fmac_f32_e32 v142, v7, v135
	s_waitcnt vmcnt(13)
	v_fmac_f32_e32 v3, v9, v137
	;; [unrolled: 2-line block ×3, first 2 shown]
	v_fma_f32 v145, v6, v135, -v128
	v_fma_f32 v2, v8, v137, -v131
	;; [unrolled: 1-line block ×3, first 2 shown]
	s_waitcnt lgkmcnt(3)
	v_pk_mul_f32 v[4:5], v[12:13], v[130:131] op_sel_hi:[1,0]
	v_pk_mul_f32 v[6:7], v[14:15], v[132:133] op_sel_hi:[1,0]
	s_waitcnt lgkmcnt(2)
	v_pk_mul_f32 v[10:11], v[100:101], v[136:137] op_sel_hi:[1,0]
	v_add_f32_e32 v136, 0, v141
	v_add_f32_e32 v137, 0, v144
	v_pk_mul_f32 v[8:9], v[98:99], v[134:135] op_sel_hi:[1,0]
	s_waitcnt vmcnt(11)
	v_pk_fma_f32 v[134:135], v[12:13], v[110:111], v[4:5] op_sel:[0,0,1] op_sel_hi:[1,1,0] neg_lo:[0,0,1] neg_hi:[0,0,1]
	v_pk_fma_f32 v[4:5], v[12:13], v[110:111], v[4:5] op_sel:[0,0,1] op_sel_hi:[1,0,0]
	s_waitcnt vmcnt(10)
	v_pk_fma_f32 v[12:13], v[14:15], v[112:113], v[6:7] op_sel:[0,0,1] op_sel_hi:[1,1,0] neg_lo:[0,0,1] neg_hi:[0,0,1]
	v_pk_fma_f32 v[6:7], v[14:15], v[112:113], v[6:7] op_sel:[0,0,1] op_sel_hi:[1,0,0]
	v_add_f32_e32 v113, v136, v142
	v_add_f32_e32 v112, v137, v145
	v_pk_add_f32 v[2:3], v[112:113], v[2:3]
	v_mov_b32_e32 v135, v5
	v_pk_add_f32 v[2:3], v[2:3], v[128:129]
	v_mov_b32_e32 v138, v119
	s_waitcnt vmcnt(9)
	v_pk_fma_f32 v[14:15], v[98:99], v[114:115], v[8:9] op_sel:[0,0,1] op_sel_hi:[1,1,0] neg_lo:[0,0,1] neg_hi:[0,0,1]
	v_pk_fma_f32 v[8:9], v[98:99], v[114:115], v[8:9] op_sel:[0,0,1] op_sel_hi:[1,0,0]
	v_mov_b32_e32 v13, v7
	v_pk_add_f32 v[2:3], v[2:3], v[134:135]
	v_mov_b32_e32 v140, v121
	s_waitcnt lgkmcnt(1)
	v_pk_mul_f32 v[130:131], v[102:103], v[138:139] op_sel_hi:[1,0]
	s_waitcnt vmcnt(5)
	v_pk_fma_f32 v[98:99], v[100:101], v[116:117], v[10:11] op_sel:[0,0,1] op_sel_hi:[1,1,0] neg_lo:[0,0,1] neg_hi:[0,0,1]
	v_pk_fma_f32 v[10:11], v[100:101], v[116:117], v[10:11] op_sel:[0,0,1] op_sel_hi:[1,0,0]
	v_mov_b32_e32 v15, v9
	v_pk_add_f32 v[2:3], v[2:3], v[12:13]
	s_waitcnt vmcnt(4)
	v_mov_b32_e32 v4, v123
	v_pk_mul_f32 v[132:133], v[104:105], v[140:141] op_sel_hi:[1,0]
	v_pk_fma_f32 v[100:101], v[102:103], v[118:119], v[130:131] op_sel:[0,0,1] op_sel_hi:[1,1,0] neg_lo:[0,0,1] neg_hi:[0,0,1]
	v_pk_fma_f32 v[102:103], v[102:103], v[118:119], v[130:131] op_sel:[0,0,1] op_sel_hi:[1,0,0]
	v_mov_b32_e32 v99, v11
	v_pk_add_f32 v[2:3], v[2:3], v[14:15]
	s_waitcnt lgkmcnt(0)
	v_pk_mul_f32 v[4:5], v[106:107], v[4:5] op_sel_hi:[1,0]
	v_pk_fma_f32 v[110:111], v[104:105], v[120:121], v[132:133] op_sel:[0,0,1] op_sel_hi:[1,1,0] neg_lo:[0,0,1] neg_hi:[0,0,1]
	v_pk_fma_f32 v[104:105], v[104:105], v[120:121], v[132:133] op_sel:[0,0,1] op_sel_hi:[1,0,0]
	v_mov_b32_e32 v101, v103
	v_pk_add_f32 v[2:3], v[2:3], v[98:99]
	v_pk_fma_f32 v[6:7], v[106:107], v[122:123], v[4:5] op_sel:[0,0,1] op_sel_hi:[1,1,0] neg_lo:[0,0,1] neg_hi:[0,0,1]
	v_pk_fma_f32 v[4:5], v[106:107], v[122:123], v[4:5] op_sel:[0,0,1] op_sel_hi:[1,0,0]
	v_mov_b32_e32 v111, v105
	v_pk_add_f32 v[2:3], v[2:3], v[100:101]
	s_waitcnt vmcnt(3)
	v_mov_b32_e32 v4, v125
	v_pk_add_f32 v[2:3], v[2:3], v[110:111]
	v_mov_b32_e32 v7, v5
	v_pk_mul_f32 v[4:5], v[108:109], v[4:5] op_sel_hi:[1,0]
	v_pk_add_f32 v[2:3], v[2:3], v[6:7]
	s_waitcnt vmcnt(2)
	v_pk_fma_f32 v[6:7], v[108:109], v[124:125], v[4:5] op_sel:[0,0,1] op_sel_hi:[1,1,0] neg_lo:[0,0,1] neg_hi:[0,0,1]
	v_pk_fma_f32 v[4:5], v[108:109], v[124:125], v[4:5] op_sel:[0,0,1] op_sel_hi:[1,0,0]
	v_mov_b32_e32 v7, v5
	v_pk_add_f32 v[2:3], v[2:3], v[6:7]
	s_waitcnt vmcnt(0)
	v_pk_add_f32 v[2:3], v[126:127], v[2:3] neg_lo:[0,1] neg_hi:[0,1]
	buffer_store_dword v3, off, s[0:3], 0 offset:228
	buffer_store_dword v2, off, s[0:3], 0 offset:224
	s_and_saveexec_b64 s[4:5], vcc
	s_cbranch_execz .LBB104_205
; %bb.204:
	buffer_load_dword v2, off, s[0:3], 0 offset:216
	buffer_load_dword v3, off, s[0:3], 0 offset:220
	v_mov_b32_e32 v4, 0
	buffer_store_dword v4, off, s[0:3], 0 offset:216
	buffer_store_dword v4, off, s[0:3], 0 offset:220
	s_waitcnt vmcnt(2)
	ds_write_b64 v1, v[2:3]
.LBB104_205:
	s_or_b64 exec, exec, s[4:5]
	s_waitcnt lgkmcnt(0)
	; wave barrier
	s_waitcnt lgkmcnt(0)
	buffer_load_dword v3, off, s[0:3], 0 offset:228
	buffer_load_dword v130, off, s[0:3], 0 offset:236
	;; [unrolled: 1-line block ×28, first 2 shown]
	v_mov_b32_e32 v2, 0
	ds_read_b128 v[4:7], v2 offset:560
	ds_read_b128 v[8:11], v2 offset:576
	;; [unrolled: 1-line block ×6, first 2 shown]
	ds_read_b64 v[128:129], v2 offset:656
	v_cmp_lt_u32_e32 vcc, 26, v0
	s_waitcnt vmcnt(27) lgkmcnt(6)
	v_mul_f32_e32 v145, v4, v3
	v_mul_f32_e32 v3, v5, v3
	s_waitcnt vmcnt(26)
	v_mul_f32_e32 v146, v6, v130
	s_waitcnt vmcnt(24) lgkmcnt(5)
	v_mul_f32_e32 v131, v10, v134
	s_waitcnt vmcnt(23) lgkmcnt(4)
	v_mul_f32_e32 v133, v12, v135
	v_mul_f32_e32 v148, v11, v134
	v_mul_f32_e32 v135, v13, v135
	s_waitcnt vmcnt(22)
	v_mov_b32_e32 v134, v111
	v_mul_f32_e32 v147, v8, v132
	v_mul_f32_e32 v130, v7, v130
	;; [unrolled: 1-line block ×3, first 2 shown]
	s_waitcnt vmcnt(17)
	v_fmac_f32_e32 v145, v5, v137
	v_fma_f32 v3, v4, v137, -v3
	v_pk_mul_f32 v[4:5], v[14:15], v[134:135] op_sel_hi:[1,0]
	s_waitcnt vmcnt(16)
	v_fmac_f32_e32 v146, v7, v139
	s_waitcnt vmcnt(13)
	v_fmac_f32_e32 v133, v13, v144
	v_fma_f32 v137, v6, v139, -v130
	v_fma_f32 v139, v8, v141, -v132
	;; [unrolled: 1-line block ×3, first 2 shown]
	v_add_f32_e32 v134, 0, v145
	v_add_f32_e32 v3, 0, v3
	s_waitcnt vmcnt(12)
	v_pk_fma_f32 v[12:13], v[14:15], v[110:111], v[4:5] op_sel:[0,0,1] op_sel_hi:[1,1,0] neg_lo:[0,0,1] neg_hi:[0,0,1]
	v_pk_fma_f32 v[4:5], v[14:15], v[110:111], v[4:5] op_sel:[0,0,1] op_sel_hi:[1,0,0]
	v_fmac_f32_e32 v147, v9, v141
	v_add_f32_e32 v4, v134, v146
	v_add_f32_e32 v3, v3, v137
	v_mov_b32_e32 v136, v113
	v_fmac_f32_e32 v131, v11, v143
	v_fma_f32 v130, v10, v143, -v148
	v_mov_b32_e32 v13, v5
	v_add_f32_e32 v5, v4, v147
	v_add_f32_e32 v4, v3, v139
	v_mov_b32_e32 v138, v115
	s_waitcnt lgkmcnt(3)
	v_pk_mul_f32 v[6:7], v[98:99], v[136:137] op_sel_hi:[1,0]
	v_pk_add_f32 v[4:5], v[4:5], v[130:131]
	v_mov_b32_e32 v140, v117
	v_mov_b32_e32 v142, v119
	v_pk_mul_f32 v[8:9], v[100:101], v[138:139] op_sel_hi:[1,0]
	s_waitcnt vmcnt(11)
	v_pk_fma_f32 v[14:15], v[98:99], v[112:113], v[6:7] op_sel:[0,0,1] op_sel_hi:[1,1,0] neg_lo:[0,0,1] neg_hi:[0,0,1]
	v_pk_fma_f32 v[6:7], v[98:99], v[112:113], v[6:7] op_sel:[0,0,1] op_sel_hi:[1,0,0]
	v_pk_add_f32 v[4:5], v[4:5], v[132:133]
	s_waitcnt lgkmcnt(2)
	v_pk_mul_f32 v[10:11], v[102:103], v[140:141] op_sel_hi:[1,0]
	s_waitcnt vmcnt(7)
	v_pk_fma_f32 v[98:99], v[100:101], v[114:115], v[8:9] op_sel:[0,0,1] op_sel_hi:[1,1,0] neg_lo:[0,0,1] neg_hi:[0,0,1]
	v_pk_fma_f32 v[8:9], v[100:101], v[114:115], v[8:9] op_sel:[0,0,1] op_sel_hi:[1,0,0]
	v_mov_b32_e32 v15, v7
	v_pk_add_f32 v[4:5], v[4:5], v[12:13]
	v_pk_mul_f32 v[6:7], v[104:105], v[142:143] op_sel_hi:[1,0]
	v_pk_fma_f32 v[100:101], v[102:103], v[116:117], v[10:11] op_sel:[0,0,1] op_sel_hi:[1,1,0] neg_lo:[0,0,1] neg_hi:[0,0,1]
	v_pk_fma_f32 v[10:11], v[102:103], v[116:117], v[10:11] op_sel:[0,0,1] op_sel_hi:[1,0,0]
	v_mov_b32_e32 v99, v9
	v_pk_add_f32 v[4:5], v[4:5], v[14:15]
	v_pk_fma_f32 v[8:9], v[104:105], v[118:119], v[6:7] op_sel:[0,0,1] op_sel_hi:[1,1,0] neg_lo:[0,0,1] neg_hi:[0,0,1]
	v_pk_fma_f32 v[6:7], v[104:105], v[118:119], v[6:7] op_sel:[0,0,1] op_sel_hi:[1,0,0]
	v_mov_b32_e32 v101, v11
	v_pk_add_f32 v[4:5], v[4:5], v[98:99]
	s_waitcnt vmcnt(6)
	v_mov_b32_e32 v6, v121
	v_pk_add_f32 v[4:5], v[4:5], v[100:101]
	v_mov_b32_e32 v9, v7
	s_waitcnt lgkmcnt(1)
	v_pk_mul_f32 v[6:7], v[106:107], v[6:7] op_sel_hi:[1,0]
	v_pk_add_f32 v[4:5], v[4:5], v[8:9]
	v_pk_fma_f32 v[8:9], v[106:107], v[120:121], v[6:7] op_sel:[0,0,1] op_sel_hi:[1,1,0] neg_lo:[0,0,1] neg_hi:[0,0,1]
	v_pk_fma_f32 v[6:7], v[106:107], v[120:121], v[6:7] op_sel:[0,0,1] op_sel_hi:[1,0,0]
	s_waitcnt vmcnt(5)
	v_mov_b32_e32 v6, v123
	v_mov_b32_e32 v9, v7
	v_pk_mul_f32 v[6:7], v[108:109], v[6:7] op_sel_hi:[1,0]
	v_pk_add_f32 v[4:5], v[4:5], v[8:9]
	s_waitcnt vmcnt(3)
	v_pk_fma_f32 v[8:9], v[108:109], v[122:123], v[6:7] op_sel:[0,0,1] op_sel_hi:[1,1,0] neg_lo:[0,0,1] neg_hi:[0,0,1]
	v_pk_fma_f32 v[6:7], v[108:109], v[122:123], v[6:7] op_sel:[0,0,1] op_sel_hi:[1,0,0]
	s_waitcnt vmcnt(2)
	v_mov_b32_e32 v6, v125
	v_mov_b32_e32 v9, v7
	s_waitcnt lgkmcnt(0)
	v_pk_mul_f32 v[6:7], v[128:129], v[6:7] op_sel_hi:[1,0]
	v_pk_add_f32 v[4:5], v[4:5], v[8:9]
	v_pk_fma_f32 v[8:9], v[128:129], v[124:125], v[6:7] op_sel:[0,0,1] op_sel_hi:[1,1,0] neg_lo:[0,0,1] neg_hi:[0,0,1]
	v_pk_fma_f32 v[6:7], v[128:129], v[124:125], v[6:7] op_sel:[0,0,1] op_sel_hi:[1,0,0]
	v_mov_b32_e32 v9, v7
	v_pk_add_f32 v[4:5], v[4:5], v[8:9]
	s_waitcnt vmcnt(0)
	v_pk_add_f32 v[4:5], v[126:127], v[4:5] neg_lo:[0,1] neg_hi:[0,1]
	buffer_store_dword v5, off, s[0:3], 0 offset:220
	buffer_store_dword v4, off, s[0:3], 0 offset:216
	s_and_saveexec_b64 s[4:5], vcc
	s_cbranch_execz .LBB104_207
; %bb.206:
	buffer_load_dword v4, off, s[0:3], 0 offset:208
	buffer_load_dword v5, off, s[0:3], 0 offset:212
	s_waitcnt vmcnt(0)
	ds_write_b64 v1, v[4:5]
	buffer_store_dword v2, off, s[0:3], 0 offset:208
	buffer_store_dword v2, off, s[0:3], 0 offset:212
.LBB104_207:
	s_or_b64 exec, exec, s[4:5]
	s_waitcnt lgkmcnt(0)
	; wave barrier
	s_waitcnt lgkmcnt(0)
	buffer_load_dword v132, off, s[0:3], 0 offset:220
	buffer_load_dword v134, off, s[0:3], 0 offset:228
	;; [unrolled: 1-line block ×30, first 2 shown]
	ds_read2_b64 v[4:7], v2 offset0:69 offset1:70
	ds_read2_b64 v[8:11], v2 offset0:71 offset1:72
	;; [unrolled: 1-line block ×7, first 2 shown]
	v_cmp_lt_u32_e32 vcc, 25, v0
	s_waitcnt vmcnt(29) lgkmcnt(6)
	v_mul_f32_e32 v145, v4, v132
	s_waitcnt vmcnt(28)
	v_mul_f32_e32 v146, v6, v134
	s_waitcnt vmcnt(27) lgkmcnt(5)
	v_mul_f32_e32 v147, v8, v135
	v_mul_f32_e32 v135, v9, v135
	s_waitcnt vmcnt(26)
	v_mul_f32_e32 v148, v10, v136
	s_waitcnt vmcnt(25) lgkmcnt(4)
	v_mul_f32_e32 v3, v12, v137
	v_mul_f32_e32 v2, v5, v132
	v_mul_f32_e32 v132, v7, v134
	v_mul_f32_e32 v149, v11, v136
	v_mul_f32_e32 v137, v13, v137
	s_waitcnt vmcnt(23)
	v_mov_b32_e32 v134, v115
	s_waitcnt vmcnt(22)
	v_mov_b32_e32 v136, v117
	s_waitcnt vmcnt(18)
	v_fma_f32 v135, v8, v141, -v135
	v_fmac_f32_e32 v145, v5, v139
	v_fmac_f32_e32 v146, v7, v140
	s_waitcnt vmcnt(17)
	v_fmac_f32_e32 v148, v11, v142
	v_fma_f32 v11, v4, v139, -v2
	v_fma_f32 v139, v6, v140, -v132
	s_waitcnt lgkmcnt(3)
	v_pk_mul_f32 v[4:5], v[98:99], v[134:135] op_sel_hi:[1,0]
	v_pk_mul_f32 v[6:7], v[100:101], v[136:137] op_sel_hi:[1,0]
	s_waitcnt vmcnt(16)
	v_fmac_f32_e32 v3, v13, v143
	v_fma_f32 v140, v10, v142, -v149
	v_fma_f32 v2, v12, v143, -v137
	v_add_f32_e32 v134, 0, v145
	v_add_f32_e32 v136, 0, v11
	s_waitcnt vmcnt(14)
	v_pk_fma_f32 v[10:11], v[98:99], v[114:115], v[4:5] op_sel:[0,0,1] op_sel_hi:[1,1,0] neg_lo:[0,0,1] neg_hi:[0,0,1]
	v_pk_fma_f32 v[4:5], v[98:99], v[114:115], v[4:5] op_sel:[0,0,1] op_sel_hi:[1,0,0]
	s_waitcnt vmcnt(10)
	v_pk_fma_f32 v[12:13], v[100:101], v[116:117], v[6:7] op_sel:[0,0,1] op_sel_hi:[1,1,0] neg_lo:[0,0,1] neg_hi:[0,0,1]
	v_pk_fma_f32 v[6:7], v[100:101], v[116:117], v[6:7] op_sel:[0,0,1] op_sel_hi:[1,0,0]
	v_fmac_f32_e32 v147, v9, v141
	v_add_f32_e32 v4, v134, v146
	v_add_f32_e32 v6, v136, v139
	;; [unrolled: 1-line block ×4, first 2 shown]
	v_mul_f32_e32 v133, v14, v138
	v_mul_f32_e32 v150, v15, v138
	v_mov_b32_e32 v11, v5
	v_add_f32_e32 v5, v4, v148
	v_add_f32_e32 v4, v6, v140
	v_mov_b32_e32 v138, v119
	v_fmac_f32_e32 v133, v15, v144
	v_fma_f32 v132, v14, v144, -v150
	v_pk_add_f32 v[2:3], v[4:5], v[2:3]
	s_waitcnt vmcnt(9)
	v_mov_b32_e32 v4, v123
	s_waitcnt lgkmcnt(2)
	v_pk_mul_f32 v[8:9], v[102:103], v[138:139] op_sel_hi:[1,0]
	v_pk_add_f32 v[2:3], v[2:3], v[132:133]
	v_pk_mul_f32 v[4:5], v[104:105], v[4:5] op_sel_hi:[1,0]
	v_pk_fma_f32 v[14:15], v[102:103], v[118:119], v[8:9] op_sel:[0,0,1] op_sel_hi:[1,1,0] neg_lo:[0,0,1] neg_hi:[0,0,1]
	v_pk_fma_f32 v[8:9], v[102:103], v[118:119], v[8:9] op_sel:[0,0,1] op_sel_hi:[1,0,0]
	v_mov_b32_e32 v13, v7
	v_pk_add_f32 v[2:3], v[2:3], v[10:11]
	v_pk_fma_f32 v[6:7], v[104:105], v[122:123], v[4:5] op_sel:[0,0,1] op_sel_hi:[1,1,0] neg_lo:[0,0,1] neg_hi:[0,0,1]
	v_pk_fma_f32 v[4:5], v[104:105], v[122:123], v[4:5] op_sel:[0,0,1] op_sel_hi:[1,0,0]
	v_mov_b32_e32 v15, v9
	v_pk_add_f32 v[2:3], v[2:3], v[12:13]
	s_waitcnt vmcnt(8)
	v_mov_b32_e32 v4, v121
	v_pk_add_f32 v[2:3], v[2:3], v[14:15]
	v_mov_b32_e32 v7, v5
	s_waitcnt lgkmcnt(1)
	v_pk_mul_f32 v[4:5], v[106:107], v[4:5] op_sel_hi:[1,0]
	v_pk_add_f32 v[2:3], v[2:3], v[6:7]
	v_pk_fma_f32 v[6:7], v[106:107], v[120:121], v[4:5] op_sel:[0,0,1] op_sel_hi:[1,1,0] neg_lo:[0,0,1] neg_hi:[0,0,1]
	v_pk_fma_f32 v[4:5], v[106:107], v[120:121], v[4:5] op_sel:[0,0,1] op_sel_hi:[1,0,0]
	s_waitcnt vmcnt(7)
	v_mov_b32_e32 v4, v125
	v_mov_b32_e32 v7, v5
	v_pk_mul_f32 v[4:5], v[108:109], v[4:5] op_sel_hi:[1,0]
	v_pk_add_f32 v[2:3], v[2:3], v[6:7]
	s_waitcnt vmcnt(4)
	v_pk_fma_f32 v[6:7], v[108:109], v[124:125], v[4:5] op_sel:[0,0,1] op_sel_hi:[1,1,0] neg_lo:[0,0,1] neg_hi:[0,0,1]
	v_pk_fma_f32 v[4:5], v[108:109], v[124:125], v[4:5] op_sel:[0,0,1] op_sel_hi:[1,0,0]
	s_waitcnt vmcnt(3)
	v_mov_b32_e32 v4, v129
	v_mov_b32_e32 v7, v5
	s_waitcnt lgkmcnt(0)
	v_pk_mul_f32 v[4:5], v[110:111], v[4:5] op_sel_hi:[1,0]
	v_pk_add_f32 v[2:3], v[2:3], v[6:7]
	v_pk_fma_f32 v[6:7], v[110:111], v[128:129], v[4:5] op_sel:[0,0,1] op_sel_hi:[1,1,0] neg_lo:[0,0,1] neg_hi:[0,0,1]
	v_pk_fma_f32 v[4:5], v[110:111], v[128:129], v[4:5] op_sel:[0,0,1] op_sel_hi:[1,0,0]
	s_waitcnt vmcnt(0)
	v_mov_b32_e32 v4, v127
	v_mov_b32_e32 v7, v5
	v_pk_mul_f32 v[4:5], v[112:113], v[4:5] op_sel_hi:[1,0]
	v_pk_add_f32 v[2:3], v[2:3], v[6:7]
	v_pk_fma_f32 v[6:7], v[112:113], v[126:127], v[4:5] op_sel:[0,0,1] op_sel_hi:[1,1,0] neg_lo:[0,0,1] neg_hi:[0,0,1]
	v_pk_fma_f32 v[4:5], v[112:113], v[126:127], v[4:5] op_sel:[0,0,1] op_sel_hi:[1,0,0]
	v_mov_b32_e32 v7, v5
	v_pk_add_f32 v[2:3], v[2:3], v[6:7]
	v_pk_add_f32 v[2:3], v[130:131], v[2:3] neg_lo:[0,1] neg_hi:[0,1]
	buffer_store_dword v3, off, s[0:3], 0 offset:212
	buffer_store_dword v2, off, s[0:3], 0 offset:208
	s_and_saveexec_b64 s[4:5], vcc
	s_cbranch_execz .LBB104_209
; %bb.208:
	buffer_load_dword v2, off, s[0:3], 0 offset:200
	buffer_load_dword v3, off, s[0:3], 0 offset:204
	v_mov_b32_e32 v4, 0
	buffer_store_dword v4, off, s[0:3], 0 offset:200
	buffer_store_dword v4, off, s[0:3], 0 offset:204
	s_waitcnt vmcnt(2)
	ds_write_b64 v1, v[2:3]
.LBB104_209:
	s_or_b64 exec, exec, s[4:5]
	s_waitcnt lgkmcnt(0)
	; wave barrier
	s_waitcnt lgkmcnt(0)
	buffer_load_dword v3, off, s[0:3], 0 offset:212
	buffer_load_dword v134, off, s[0:3], 0 offset:220
	;; [unrolled: 1-line block ×32, first 2 shown]
	v_mov_b32_e32 v2, 0
	ds_read_b128 v[4:7], v2 offset:544
	ds_read_b128 v[8:11], v2 offset:560
	;; [unrolled: 1-line block ×7, first 2 shown]
	ds_read_b64 v[132:133], v2 offset:656
	v_cmp_lt_u32_e32 vcc, 24, v0
	s_waitcnt vmcnt(31) lgkmcnt(7)
	v_mul_f32_e32 v149, v4, v3
	v_mul_f32_e32 v3, v5, v3
	s_waitcnt vmcnt(30)
	v_mul_f32_e32 v150, v6, v134
	s_waitcnt vmcnt(28) lgkmcnt(6)
	v_mul_f32_e32 v152, v10, v138
	s_waitcnt vmcnt(27) lgkmcnt(5)
	v_mul_f32_e32 v153, v12, v139
	v_mul_f32_e32 v154, v11, v138
	;; [unrolled: 1-line block ×3, first 2 shown]
	s_waitcnt vmcnt(24)
	v_mov_b32_e32 v138, v115
	v_mul_f32_e32 v151, v8, v136
	v_mul_f32_e32 v134, v7, v134
	s_waitcnt vmcnt(22)
	v_fmac_f32_e32 v149, v5, v142
	v_fma_f32 v3, v4, v142, -v3
	s_waitcnt lgkmcnt(4)
	v_pk_mul_f32 v[4:5], v[100:101], v[138:139] op_sel_hi:[1,0]
	v_mul_f32_e32 v136, v9, v136
	s_waitcnt vmcnt(21)
	v_fmac_f32_e32 v150, v7, v143
	s_waitcnt vmcnt(20)
	v_fmac_f32_e32 v151, v9, v144
	;; [unrolled: 2-line block ×3, first 2 shown]
	v_fma_f32 v9, v6, v143, -v134
	s_waitcnt vmcnt(18)
	v_fma_f32 v11, v12, v146, -v139
	v_add_f32_e32 v12, 0, v149
	v_add_f32_e32 v3, 0, v3
	s_waitcnt vmcnt(12)
	v_pk_fma_f32 v[6:7], v[100:101], v[114:115], v[4:5] op_sel:[0,0,1] op_sel_hi:[1,1,0] neg_lo:[0,0,1] neg_hi:[0,0,1]
	v_pk_fma_f32 v[4:5], v[100:101], v[114:115], v[4:5] op_sel:[0,0,1] op_sel_hi:[1,0,0]
	v_fma_f32 v8, v8, v144, -v136
	v_add_f32_e32 v4, v12, v150
	v_add_f32_e32 v3, v3, v9
	v_fma_f32 v10, v10, v145, -v154
	v_add_f32_e32 v4, v4, v151
	v_add_f32_e32 v3, v3, v8
	v_mul_f32_e32 v135, v14, v140
	v_mul_f32_e32 v155, v15, v140
	v_fmac_f32_e32 v153, v13, v146
	v_add_f32_e32 v4, v4, v152
	v_add_f32_e32 v3, v3, v10
	v_mul_f32_e32 v137, v98, v141
	v_mul_f32_e32 v141, v99, v141
	v_fmac_f32_e32 v135, v15, v147
	v_fma_f32 v134, v14, v147, -v155
	v_mov_b32_e32 v7, v5
	v_add_f32_e32 v5, v4, v153
	v_add_f32_e32 v4, v3, v11
	v_fmac_f32_e32 v137, v99, v148
	v_fma_f32 v136, v98, v148, -v141
	v_pk_add_f32 v[4:5], v[4:5], v[134:135]
	v_mov_b32_e32 v140, v117
	v_pk_add_f32 v[4:5], v[4:5], v[136:137]
	v_pk_add_f32 v[4:5], v[4:5], v[6:7]
	s_waitcnt lgkmcnt(3)
	v_pk_mul_f32 v[6:7], v[102:103], v[140:141] op_sel_hi:[1,0]
	v_pk_fma_f32 v[8:9], v[102:103], v[116:117], v[6:7] op_sel:[0,0,1] op_sel_hi:[1,1,0] neg_lo:[0,0,1] neg_hi:[0,0,1]
	v_pk_fma_f32 v[6:7], v[102:103], v[116:117], v[6:7] op_sel:[0,0,1] op_sel_hi:[1,0,0]
	s_waitcnt vmcnt(11)
	v_mov_b32_e32 v6, v121
	v_mov_b32_e32 v9, v7
	v_pk_mul_f32 v[6:7], v[104:105], v[6:7] op_sel_hi:[1,0]
	v_pk_add_f32 v[4:5], v[4:5], v[8:9]
	v_pk_fma_f32 v[8:9], v[104:105], v[120:121], v[6:7] op_sel:[0,0,1] op_sel_hi:[1,1,0] neg_lo:[0,0,1] neg_hi:[0,0,1]
	v_pk_fma_f32 v[6:7], v[104:105], v[120:121], v[6:7] op_sel:[0,0,1] op_sel_hi:[1,0,0]
	s_waitcnt vmcnt(10)
	v_mov_b32_e32 v6, v119
	v_mov_b32_e32 v9, v7
	s_waitcnt lgkmcnt(2)
	v_pk_mul_f32 v[6:7], v[106:107], v[6:7] op_sel_hi:[1,0]
	v_pk_add_f32 v[4:5], v[4:5], v[8:9]
	v_pk_fma_f32 v[8:9], v[106:107], v[118:119], v[6:7] op_sel:[0,0,1] op_sel_hi:[1,1,0] neg_lo:[0,0,1] neg_hi:[0,0,1]
	v_pk_fma_f32 v[6:7], v[106:107], v[118:119], v[6:7] op_sel:[0,0,1] op_sel_hi:[1,0,0]
	s_waitcnt vmcnt(9)
	v_mov_b32_e32 v6, v123
	v_mov_b32_e32 v9, v7
	v_pk_mul_f32 v[6:7], v[108:109], v[6:7] op_sel_hi:[1,0]
	v_pk_add_f32 v[4:5], v[4:5], v[8:9]
	s_waitcnt vmcnt(4)
	v_pk_fma_f32 v[8:9], v[108:109], v[122:123], v[6:7] op_sel:[0,0,1] op_sel_hi:[1,1,0] neg_lo:[0,0,1] neg_hi:[0,0,1]
	v_pk_fma_f32 v[6:7], v[108:109], v[122:123], v[6:7] op_sel:[0,0,1] op_sel_hi:[1,0,0]
	v_mov_b32_e32 v6, v129
	v_mov_b32_e32 v9, v7
	s_waitcnt lgkmcnt(1)
	v_pk_mul_f32 v[6:7], v[110:111], v[6:7] op_sel_hi:[1,0]
	v_pk_add_f32 v[4:5], v[4:5], v[8:9]
	v_pk_fma_f32 v[8:9], v[110:111], v[128:129], v[6:7] op_sel:[0,0,1] op_sel_hi:[1,1,0] neg_lo:[0,0,1] neg_hi:[0,0,1]
	v_pk_fma_f32 v[6:7], v[110:111], v[128:129], v[6:7] op_sel:[0,0,1] op_sel_hi:[1,0,0]
	s_waitcnt vmcnt(3)
	v_mov_b32_e32 v6, v127
	v_mov_b32_e32 v9, v7
	v_pk_mul_f32 v[6:7], v[112:113], v[6:7] op_sel_hi:[1,0]
	v_pk_add_f32 v[4:5], v[4:5], v[8:9]
	v_pk_fma_f32 v[8:9], v[112:113], v[126:127], v[6:7] op_sel:[0,0,1] op_sel_hi:[1,1,0] neg_lo:[0,0,1] neg_hi:[0,0,1]
	v_pk_fma_f32 v[6:7], v[112:113], v[126:127], v[6:7] op_sel:[0,0,1] op_sel_hi:[1,0,0]
	s_waitcnt vmcnt(0)
	v_mov_b32_e32 v6, v125
	v_mov_b32_e32 v9, v7
	s_waitcnt lgkmcnt(0)
	v_pk_mul_f32 v[6:7], v[132:133], v[6:7] op_sel_hi:[1,0]
	v_pk_add_f32 v[4:5], v[4:5], v[8:9]
	v_pk_fma_f32 v[8:9], v[132:133], v[124:125], v[6:7] op_sel:[0,0,1] op_sel_hi:[1,1,0] neg_lo:[0,0,1] neg_hi:[0,0,1]
	v_pk_fma_f32 v[6:7], v[132:133], v[124:125], v[6:7] op_sel:[0,0,1] op_sel_hi:[1,0,0]
	v_mov_b32_e32 v9, v7
	v_pk_add_f32 v[4:5], v[4:5], v[8:9]
	v_pk_add_f32 v[4:5], v[130:131], v[4:5] neg_lo:[0,1] neg_hi:[0,1]
	buffer_store_dword v5, off, s[0:3], 0 offset:204
	buffer_store_dword v4, off, s[0:3], 0 offset:200
	s_and_saveexec_b64 s[4:5], vcc
	s_cbranch_execz .LBB104_211
; %bb.210:
	buffer_load_dword v4, off, s[0:3], 0 offset:192
	buffer_load_dword v5, off, s[0:3], 0 offset:196
	s_waitcnt vmcnt(0)
	ds_write_b64 v1, v[4:5]
	buffer_store_dword v2, off, s[0:3], 0 offset:192
	buffer_store_dword v2, off, s[0:3], 0 offset:196
.LBB104_211:
	s_or_b64 exec, exec, s[4:5]
	s_waitcnt lgkmcnt(0)
	; wave barrier
	s_waitcnt lgkmcnt(0)
	buffer_load_dword v136, off, s[0:3], 0 offset:204
	buffer_load_dword v138, off, s[0:3], 0 offset:212
	;; [unrolled: 1-line block ×32, first 2 shown]
	ds_read2_b64 v[4:7], v2 offset0:67 offset1:68
	ds_read2_b64 v[8:11], v2 offset0:69 offset1:70
	;; [unrolled: 1-line block ×4, first 2 shown]
	buffer_load_dword v135, off, s[0:3], 0 offset:324
	buffer_load_dword v134, off, s[0:3], 0 offset:320
	ds_read2_b64 v[102:105], v2 offset0:75 offset1:76
	ds_read2_b64 v[106:109], v2 offset0:77 offset1:78
	;; [unrolled: 1-line block ×4, first 2 shown]
	v_cmp_lt_u32_e32 vcc, 23, v0
	s_waitcnt vmcnt(33) lgkmcnt(7)
	v_mul_f32_e32 v153, v4, v136
	v_mul_f32_e32 v2, v5, v136
	s_waitcnt vmcnt(32)
	v_mul_f32_e32 v154, v6, v138
	s_waitcnt vmcnt(31) lgkmcnt(6)
	v_mul_f32_e32 v155, v8, v139
	v_mul_f32_e32 v136, v7, v138
	;; [unrolled: 1-line block ×3, first 2 shown]
	s_waitcnt vmcnt(30)
	v_mul_f32_e32 v139, v11, v140
	v_mul_f32_e32 v156, v10, v140
	s_waitcnt vmcnt(25)
	v_fmac_f32_e32 v153, v5, v145
	v_fma_f32 v4, v4, v145, -v2
	s_waitcnt vmcnt(24)
	v_fmac_f32_e32 v154, v7, v146
	v_fma_f32 v5, v6, v146, -v136
	s_waitcnt vmcnt(22)
	v_fma_f32 v7, v10, v148, -v139
	v_add_f32_e32 v10, 0, v153
	v_add_f32_e32 v4, 0, v4
	v_fmac_f32_e32 v155, v9, v147
	v_fma_f32 v6, v8, v147, -v138
	v_add_f32_e32 v10, v10, v154
	v_add_f32_e32 v4, v4, v5
	s_waitcnt lgkmcnt(5)
	v_mul_f32_e32 v157, v12, v141
	v_mul_f32_e32 v140, v13, v141
	v_fmac_f32_e32 v156, v11, v148
	v_add_f32_e32 v5, v10, v155
	v_add_f32_e32 v4, v4, v6
	v_mul_f32_e32 v158, v14, v142
	v_mul_f32_e32 v141, v15, v142
	s_waitcnt vmcnt(21)
	v_fmac_f32_e32 v157, v13, v149
	v_fma_f32 v8, v12, v149, -v140
	v_add_f32_e32 v5, v5, v156
	v_add_f32_e32 v4, v4, v7
	s_waitcnt lgkmcnt(4)
	v_mul_f32_e32 v3, v98, v143
	v_mul_f32_e32 v142, v99, v143
	s_waitcnt vmcnt(20)
	v_fmac_f32_e32 v158, v15, v150
	v_fma_f32 v9, v14, v150, -v141
	v_add_f32_e32 v5, v5, v157
	v_add_f32_e32 v4, v4, v8
	s_waitcnt vmcnt(19)
	v_fmac_f32_e32 v3, v99, v151
	v_fma_f32 v2, v98, v151, -v142
	v_add_f32_e32 v5, v5, v158
	v_add_f32_e32 v4, v4, v9
	v_pk_add_f32 v[2:3], v[4:5], v[2:3]
	s_waitcnt vmcnt(17)
	v_mov_b32_e32 v4, v119
	s_waitcnt lgkmcnt(3)
	v_pk_mul_f32 v[4:5], v[102:103], v[4:5] op_sel_hi:[1,0]
	v_mul_f32_e32 v137, v100, v144
	v_mul_f32_e32 v143, v101, v144
	s_waitcnt vmcnt(14)
	v_pk_fma_f32 v[6:7], v[102:103], v[118:119], v[4:5] op_sel:[0,0,1] op_sel_hi:[1,1,0] neg_lo:[0,0,1] neg_hi:[0,0,1]
	v_pk_fma_f32 v[4:5], v[102:103], v[118:119], v[4:5] op_sel:[0,0,1] op_sel_hi:[1,0,0]
	v_fmac_f32_e32 v137, v101, v152
	v_fma_f32 v136, v100, v152, -v143
	s_waitcnt vmcnt(13)
	v_mov_b32_e32 v4, v123
	v_pk_add_f32 v[2:3], v[2:3], v[136:137]
	v_mov_b32_e32 v7, v5
	v_pk_mul_f32 v[4:5], v[104:105], v[4:5] op_sel_hi:[1,0]
	v_pk_add_f32 v[2:3], v[2:3], v[6:7]
	v_pk_fma_f32 v[6:7], v[104:105], v[122:123], v[4:5] op_sel:[0,0,1] op_sel_hi:[1,1,0] neg_lo:[0,0,1] neg_hi:[0,0,1]
	v_pk_fma_f32 v[4:5], v[104:105], v[122:123], v[4:5] op_sel:[0,0,1] op_sel_hi:[1,0,0]
	s_waitcnt vmcnt(12)
	v_mov_b32_e32 v4, v121
	v_mov_b32_e32 v7, v5
	s_waitcnt lgkmcnt(2)
	v_pk_mul_f32 v[4:5], v[106:107], v[4:5] op_sel_hi:[1,0]
	v_pk_add_f32 v[2:3], v[2:3], v[6:7]
	v_pk_fma_f32 v[6:7], v[106:107], v[120:121], v[4:5] op_sel:[0,0,1] op_sel_hi:[1,1,0] neg_lo:[0,0,1] neg_hi:[0,0,1]
	v_pk_fma_f32 v[4:5], v[106:107], v[120:121], v[4:5] op_sel:[0,0,1] op_sel_hi:[1,0,0]
	s_waitcnt vmcnt(11)
	v_mov_b32_e32 v4, v125
	v_mov_b32_e32 v7, v5
	v_pk_mul_f32 v[4:5], v[108:109], v[4:5] op_sel_hi:[1,0]
	v_pk_add_f32 v[2:3], v[2:3], v[6:7]
	s_waitcnt vmcnt(5)
	v_pk_fma_f32 v[6:7], v[108:109], v[124:125], v[4:5] op_sel:[0,0,1] op_sel_hi:[1,1,0] neg_lo:[0,0,1] neg_hi:[0,0,1]
	v_pk_fma_f32 v[4:5], v[108:109], v[124:125], v[4:5] op_sel:[0,0,1] op_sel_hi:[1,0,0]
	v_mov_b32_e32 v4, v131
	v_mov_b32_e32 v7, v5
	s_waitcnt lgkmcnt(1)
	v_pk_mul_f32 v[4:5], v[110:111], v[4:5] op_sel_hi:[1,0]
	v_pk_add_f32 v[2:3], v[2:3], v[6:7]
	v_pk_fma_f32 v[6:7], v[110:111], v[130:131], v[4:5] op_sel:[0,0,1] op_sel_hi:[1,1,0] neg_lo:[0,0,1] neg_hi:[0,0,1]
	v_pk_fma_f32 v[4:5], v[110:111], v[130:131], v[4:5] op_sel:[0,0,1] op_sel_hi:[1,0,0]
	v_mov_b32_e32 v4, v129
	v_mov_b32_e32 v7, v5
	v_pk_mul_f32 v[4:5], v[112:113], v[4:5] op_sel_hi:[1,0]
	v_pk_add_f32 v[2:3], v[2:3], v[6:7]
	v_pk_fma_f32 v[6:7], v[112:113], v[128:129], v[4:5] op_sel:[0,0,1] op_sel_hi:[1,1,0] neg_lo:[0,0,1] neg_hi:[0,0,1]
	v_pk_fma_f32 v[4:5], v[112:113], v[128:129], v[4:5] op_sel:[0,0,1] op_sel_hi:[1,0,0]
	s_waitcnt vmcnt(2)
	v_mov_b32_e32 v4, v127
	v_mov_b32_e32 v7, v5
	s_waitcnt lgkmcnt(0)
	v_pk_mul_f32 v[4:5], v[114:115], v[4:5] op_sel_hi:[1,0]
	v_pk_add_f32 v[2:3], v[2:3], v[6:7]
	v_pk_fma_f32 v[6:7], v[114:115], v[126:127], v[4:5] op_sel:[0,0,1] op_sel_hi:[1,1,0] neg_lo:[0,0,1] neg_hi:[0,0,1]
	v_pk_fma_f32 v[4:5], v[114:115], v[126:127], v[4:5] op_sel:[0,0,1] op_sel_hi:[1,0,0]
	s_waitcnt vmcnt(1)
	v_mov_b32_e32 v4, v135
	v_mov_b32_e32 v7, v5
	v_pk_mul_f32 v[4:5], v[116:117], v[4:5] op_sel_hi:[1,0]
	v_pk_add_f32 v[2:3], v[2:3], v[6:7]
	s_waitcnt vmcnt(0)
	v_pk_fma_f32 v[6:7], v[116:117], v[134:135], v[4:5] op_sel:[0,0,1] op_sel_hi:[1,1,0] neg_lo:[0,0,1] neg_hi:[0,0,1]
	v_pk_fma_f32 v[4:5], v[116:117], v[134:135], v[4:5] op_sel:[0,0,1] op_sel_hi:[1,0,0]
	v_mov_b32_e32 v7, v5
	v_pk_add_f32 v[2:3], v[2:3], v[6:7]
	v_pk_add_f32 v[2:3], v[132:133], v[2:3] neg_lo:[0,1] neg_hi:[0,1]
	buffer_store_dword v3, off, s[0:3], 0 offset:196
	buffer_store_dword v2, off, s[0:3], 0 offset:192
	s_and_saveexec_b64 s[4:5], vcc
	s_cbranch_execz .LBB104_213
; %bb.212:
	buffer_load_dword v2, off, s[0:3], 0 offset:184
	buffer_load_dword v3, off, s[0:3], 0 offset:188
	v_mov_b32_e32 v4, 0
	buffer_store_dword v4, off, s[0:3], 0 offset:184
	buffer_store_dword v4, off, s[0:3], 0 offset:188
	s_waitcnt vmcnt(2)
	ds_write_b64 v1, v[2:3]
.LBB104_213:
	s_or_b64 exec, exec, s[4:5]
	s_waitcnt lgkmcnt(0)
	; wave barrier
	s_waitcnt lgkmcnt(0)
	buffer_load_dword v3, off, s[0:3], 0 offset:196
	buffer_load_dword v128, off, s[0:3], 0 offset:204
	;; [unrolled: 1-line block ×36, first 2 shown]
	v_mov_b32_e32 v2, 0
	ds_read_b128 v[4:7], v2 offset:528
	ds_read_b128 v[8:11], v2 offset:544
	;; [unrolled: 1-line block ×6, first 2 shown]
	v_cmp_lt_u32_e32 vcc, 22, v0
	s_waitcnt vmcnt(35) lgkmcnt(5)
	v_mul_f32_e32 v147, v4, v3
	s_waitcnt vmcnt(34)
	v_mul_f32_e32 v148, v6, v128
	s_waitcnt vmcnt(33) lgkmcnt(4)
	v_mul_f32_e32 v149, v8, v130
	v_mul_f32_e32 v3, v5, v3
	;; [unrolled: 1-line block ×4, first 2 shown]
	s_waitcnt vmcnt(32)
	v_mul_f32_e32 v150, v10, v132
	s_waitcnt vmcnt(31) lgkmcnt(3)
	v_mul_f32_e32 v151, v12, v133
	v_mul_f32_e32 v132, v11, v132
	s_waitcnt vmcnt(26)
	v_fmac_f32_e32 v147, v5, v138
	s_waitcnt vmcnt(25)
	v_fmac_f32_e32 v148, v7, v139
	;; [unrolled: 2-line block ×3, first 2 shown]
	v_fma_f32 v3, v4, v138, -v3
	v_add_f32_e32 v9, 0, v147
	v_fma_f32 v4, v6, v139, -v128
	v_add_f32_e32 v3, 0, v3
	v_add_f32_e32 v9, v9, v148
	s_waitcnt vmcnt(23)
	v_fmac_f32_e32 v150, v11, v141
	v_fma_f32 v5, v8, v140, -v130
	v_add_f32_e32 v3, v3, v4
	v_add_f32_e32 v4, v9, v149
	v_mul_f32_e32 v152, v14, v134
	v_mul_f32_e32 v133, v13, v133
	s_waitcnt vmcnt(22)
	v_fmac_f32_e32 v151, v13, v142
	v_fma_f32 v6, v10, v141, -v132
	v_add_f32_e32 v3, v3, v5
	v_add_f32_e32 v4, v4, v150
	s_waitcnt lgkmcnt(2)
	v_mul_f32_e32 v153, v98, v135
	v_mul_f32_e32 v134, v15, v134
	s_waitcnt vmcnt(21)
	v_fmac_f32_e32 v152, v15, v143
	v_fma_f32 v7, v12, v142, -v133
	v_add_f32_e32 v3, v3, v6
	v_add_f32_e32 v4, v4, v151
	v_mul_f32_e32 v135, v99, v135
	s_waitcnt vmcnt(20)
	v_fmac_f32_e32 v153, v99, v144
	v_fma_f32 v8, v14, v143, -v134
	v_add_f32_e32 v3, v3, v7
	v_add_f32_e32 v4, v4, v152
	;; [unrolled: 1-line block ×4, first 2 shown]
	v_fma_f32 v4, v98, v144, -v135
	s_waitcnt vmcnt(17)
	v_mov_b32_e32 v98, v111
	v_mul_f32_e32 v129, v100, v136
	v_add_f32_e32 v12, v3, v4
	v_mul_f32_e32 v3, v101, v136
	s_waitcnt lgkmcnt(1)
	v_pk_mul_f32 v[98:99], v[104:105], v[98:99] op_sel_hi:[1,0]
	v_mul_f32_e32 v131, v102, v137
	v_fmac_f32_e32 v129, v101, v145
	v_fma_f32 v128, v100, v145, -v3
	v_mul_f32_e32 v3, v103, v137
	s_waitcnt vmcnt(15)
	v_pk_fma_f32 v[100:101], v[104:105], v[110:111], v[98:99] op_sel:[0,0,1] op_sel_hi:[1,1,0] neg_lo:[0,0,1] neg_hi:[0,0,1]
	v_pk_fma_f32 v[98:99], v[104:105], v[110:111], v[98:99] op_sel:[0,0,1] op_sel_hi:[1,0,0]
	v_fmac_f32_e32 v131, v103, v146
	v_fma_f32 v130, v102, v146, -v3
	v_pk_add_f32 v[12:13], v[12:13], v[128:129]
	s_waitcnt vmcnt(12)
	v_mov_b32_e32 v98, v113
	v_pk_add_f32 v[12:13], v[12:13], v[130:131]
	v_mov_b32_e32 v101, v99
	s_waitcnt lgkmcnt(0)
	v_pk_mul_f32 v[98:99], v[106:107], v[98:99] op_sel_hi:[1,0]
	v_pk_add_f32 v[12:13], v[12:13], v[100:101]
	v_pk_fma_f32 v[100:101], v[106:107], v[112:113], v[98:99] op_sel:[0,0,1] op_sel_hi:[1,1,0] neg_lo:[0,0,1] neg_hi:[0,0,1]
	v_pk_fma_f32 v[98:99], v[106:107], v[112:113], v[98:99] op_sel:[0,0,1] op_sel_hi:[1,0,0]
	s_waitcnt vmcnt(11)
	v_mov_b32_e32 v98, v117
	ds_read_b128 v[4:7], v2 offset:624
	ds_read_b128 v[8:11], v2 offset:640
	ds_read_b64 v[14:15], v2 offset:656
	v_mov_b32_e32 v101, v99
	v_pk_mul_f32 v[98:99], v[108:109], v[98:99] op_sel_hi:[1,0]
	v_pk_add_f32 v[12:13], v[12:13], v[100:101]
	s_waitcnt vmcnt(4)
	v_pk_fma_f32 v[100:101], v[108:109], v[116:117], v[98:99] op_sel:[0,0,1] op_sel_hi:[1,1,0] neg_lo:[0,0,1] neg_hi:[0,0,1]
	v_pk_fma_f32 v[98:99], v[108:109], v[116:117], v[98:99] op_sel:[0,0,1] op_sel_hi:[1,0,0]
	v_mov_b32_e32 v98, v123
	v_mov_b32_e32 v101, v99
	s_waitcnt lgkmcnt(2)
	v_pk_mul_f32 v[98:99], v[4:5], v[98:99] op_sel_hi:[1,0]
	v_pk_add_f32 v[12:13], v[12:13], v[100:101]
	v_pk_fma_f32 v[100:101], v[4:5], v[122:123], v[98:99] op_sel:[0,0,1] op_sel_hi:[1,1,0] neg_lo:[0,0,1] neg_hi:[0,0,1]
	v_pk_fma_f32 v[4:5], v[4:5], v[122:123], v[98:99] op_sel:[0,0,1] op_sel_hi:[1,0,0]
	v_mov_b32_e32 v101, v5
	v_pk_add_f32 v[4:5], v[12:13], v[100:101]
	v_mov_b32_e32 v12, v121
	v_pk_mul_f32 v[12:13], v[6:7], v[12:13] op_sel_hi:[1,0]
	v_pk_fma_f32 v[98:99], v[6:7], v[120:121], v[12:13] op_sel:[0,0,1] op_sel_hi:[1,1,0] neg_lo:[0,0,1] neg_hi:[0,0,1]
	v_pk_fma_f32 v[6:7], v[6:7], v[120:121], v[12:13] op_sel:[0,0,1] op_sel_hi:[1,0,0]
	v_mov_b32_e32 v6, v119
	v_mov_b32_e32 v99, v7
	s_waitcnt lgkmcnt(1)
	v_pk_mul_f32 v[6:7], v[8:9], v[6:7] op_sel_hi:[1,0]
	v_pk_fma_f32 v[12:13], v[8:9], v[118:119], v[6:7] op_sel:[0,0,1] op_sel_hi:[1,1,0] neg_lo:[0,0,1] neg_hi:[0,0,1]
	v_pk_fma_f32 v[6:7], v[8:9], v[118:119], v[6:7] op_sel:[0,0,1] op_sel_hi:[1,0,0]
	s_waitcnt vmcnt(1)
	v_mov_b32_e32 v6, v127
	v_mov_b32_e32 v13, v7
	v_pk_mul_f32 v[6:7], v[10:11], v[6:7] op_sel_hi:[1,0]
	s_waitcnt vmcnt(0)
	v_pk_fma_f32 v[8:9], v[10:11], v[126:127], v[6:7] op_sel:[0,0,1] op_sel_hi:[1,1,0] neg_lo:[0,0,1] neg_hi:[0,0,1]
	v_pk_fma_f32 v[6:7], v[10:11], v[126:127], v[6:7] op_sel:[0,0,1] op_sel_hi:[1,0,0]
	v_pk_add_f32 v[4:5], v[4:5], v[98:99]
	v_mov_b32_e32 v6, v125
	v_pk_add_f32 v[4:5], v[4:5], v[12:13]
	v_mov_b32_e32 v9, v7
	s_waitcnt lgkmcnt(0)
	v_pk_mul_f32 v[6:7], v[14:15], v[6:7] op_sel_hi:[1,0]
	v_pk_add_f32 v[4:5], v[4:5], v[8:9]
	v_pk_fma_f32 v[8:9], v[14:15], v[124:125], v[6:7] op_sel:[0,0,1] op_sel_hi:[1,1,0] neg_lo:[0,0,1] neg_hi:[0,0,1]
	v_pk_fma_f32 v[6:7], v[14:15], v[124:125], v[6:7] op_sel:[0,0,1] op_sel_hi:[1,0,0]
	v_mov_b32_e32 v9, v7
	v_pk_add_f32 v[4:5], v[4:5], v[8:9]
	v_pk_add_f32 v[4:5], v[114:115], v[4:5] neg_lo:[0,1] neg_hi:[0,1]
	buffer_store_dword v5, off, s[0:3], 0 offset:188
	buffer_store_dword v4, off, s[0:3], 0 offset:184
	s_and_saveexec_b64 s[4:5], vcc
	s_cbranch_execz .LBB104_215
; %bb.214:
	buffer_load_dword v4, off, s[0:3], 0 offset:176
	buffer_load_dword v5, off, s[0:3], 0 offset:180
	s_waitcnt vmcnt(0)
	ds_write_b64 v1, v[4:5]
	buffer_store_dword v2, off, s[0:3], 0 offset:176
	buffer_store_dword v2, off, s[0:3], 0 offset:180
.LBB104_215:
	s_or_b64 exec, exec, s[4:5]
	s_waitcnt lgkmcnt(0)
	; wave barrier
	s_waitcnt lgkmcnt(0)
	buffer_load_dword v3, off, s[0:3], 0 offset:188
	buffer_load_dword v128, off, s[0:3], 0 offset:196
	;; [unrolled: 1-line block ×22, first 2 shown]
	ds_read2_b64 v[4:7], v2 offset0:65 offset1:66
	ds_read2_b64 v[8:11], v2 offset0:67 offset1:68
	buffer_load_dword v113, off, s[0:3], 0 offset:268
	buffer_load_dword v112, off, s[0:3], 0 offset:264
	;; [unrolled: 1-line block ×10, first 2 shown]
	ds_read2_b64 v[12:15], v2 offset0:69 offset1:70
	ds_read2_b64 v[98:101], v2 offset0:71 offset1:72
	;; [unrolled: 1-line block ×4, first 2 shown]
	buffer_load_dword v123, off, s[0:3], 0 offset:324
	buffer_load_dword v122, off, s[0:3], 0 offset:320
	;; [unrolled: 1-line block ×6, first 2 shown]
	v_cmp_lt_u32_e32 vcc, 21, v0
	s_waitcnt vmcnt(37) lgkmcnt(5)
	v_mul_f32_e32 v149, v4, v3
	s_waitcnt vmcnt(36)
	v_mul_f32_e32 v150, v6, v128
	s_waitcnt vmcnt(35) lgkmcnt(4)
	v_mul_f32_e32 v151, v8, v130
	v_mul_f32_e32 v3, v5, v3
	;; [unrolled: 1-line block ×4, first 2 shown]
	s_waitcnt vmcnt(34)
	v_mul_f32_e32 v152, v10, v132
	s_waitcnt vmcnt(33) lgkmcnt(3)
	v_mul_f32_e32 v153, v12, v133
	s_waitcnt vmcnt(32)
	v_mul_f32_e32 v154, v14, v134
	s_waitcnt vmcnt(31) lgkmcnt(2)
	v_mul_f32_e32 v155, v98, v135
	s_waitcnt vmcnt(27)
	v_fmac_f32_e32 v149, v5, v139
	s_waitcnt vmcnt(26)
	v_fmac_f32_e32 v150, v7, v140
	v_fma_f32 v3, v4, v139, -v3
	s_waitcnt vmcnt(25)
	v_fma_f32 v5, v8, v141, -v130
	v_add_f32_e32 v8, 0, v149
	v_fmac_f32_e32 v151, v9, v141
	v_fma_f32 v4, v6, v140, -v128
	v_add_f32_e32 v3, 0, v3
	v_add_f32_e32 v8, v8, v150
	s_waitcnt vmcnt(24)
	v_fmac_f32_e32 v152, v11, v142
	v_add_f32_e32 v3, v3, v4
	v_add_f32_e32 v4, v8, v151
	s_waitcnt vmcnt(23)
	v_fmac_f32_e32 v153, v13, v143
	v_add_f32_e32 v4, v4, v152
	v_mul_f32_e32 v132, v11, v132
	s_waitcnt vmcnt(22)
	v_fmac_f32_e32 v154, v15, v144
	v_add_f32_e32 v4, v4, v153
	v_mul_f32_e32 v156, v100, v136
	v_mul_f32_e32 v133, v13, v133
	s_waitcnt vmcnt(21)
	v_fmac_f32_e32 v155, v99, v145
	v_fma_f32 v6, v10, v142, -v132
	v_add_f32_e32 v3, v3, v5
	v_add_f32_e32 v4, v4, v154
	v_mul_f32_e32 v134, v15, v134
	s_waitcnt vmcnt(20)
	v_fmac_f32_e32 v156, v101, v146
	v_fma_f32 v7, v12, v143, -v133
	v_add_f32_e32 v3, v3, v6
	v_add_f32_e32 v4, v4, v155
	v_add_f32_e32 v3, v3, v7
	v_add_f32_e32 v133, v4, v156
	v_fma_f32 v4, v14, v144, -v134
	v_add_f32_e32 v3, v3, v4
	v_mul_f32_e32 v4, v99, v135
	v_fma_f32 v4, v98, v145, -v4
	v_add_f32_e32 v3, v3, v4
	v_mul_f32_e32 v4, v101, v136
	v_fma_f32 v4, v100, v146, -v4
	s_waitcnt vmcnt(15)
	v_mov_b32_e32 v98, v113
	s_waitcnt lgkmcnt(1)
	v_mul_f32_e32 v129, v102, v137
	v_add_f32_e32 v132, v3, v4
	v_mul_f32_e32 v3, v103, v137
	s_waitcnt lgkmcnt(0)
	v_pk_mul_f32 v[98:99], v[106:107], v[98:99] op_sel_hi:[1,0]
	v_mul_f32_e32 v131, v104, v138
	v_fmac_f32_e32 v129, v103, v147
	v_fma_f32 v128, v102, v147, -v3
	v_mul_f32_e32 v3, v105, v138
	s_waitcnt vmcnt(14)
	v_pk_fma_f32 v[100:101], v[106:107], v[112:113], v[98:99] op_sel:[0,0,1] op_sel_hi:[1,1,0] neg_lo:[0,0,1] neg_hi:[0,0,1]
	v_pk_fma_f32 v[98:99], v[106:107], v[112:113], v[98:99] op_sel:[0,0,1] op_sel_hi:[1,0,0]
	v_fmac_f32_e32 v131, v105, v148
	v_fma_f32 v130, v104, v148, -v3
	ds_read2_b64 v[4:7], v2 offset0:77 offset1:78
	ds_read2_b64 v[8:11], v2 offset0:79 offset1:80
	;; [unrolled: 1-line block ×3, first 2 shown]
	v_pk_add_f32 v[2:3], v[132:133], v[128:129]
	s_waitcnt vmcnt(13)
	v_mov_b32_e32 v98, v115
	v_pk_add_f32 v[2:3], v[2:3], v[130:131]
	v_mov_b32_e32 v101, v99
	v_pk_mul_f32 v[98:99], v[108:109], v[98:99] op_sel_hi:[1,0]
	v_pk_add_f32 v[2:3], v[2:3], v[100:101]
	s_waitcnt vmcnt(6)
	v_pk_fma_f32 v[100:101], v[108:109], v[114:115], v[98:99] op_sel:[0,0,1] op_sel_hi:[1,1,0] neg_lo:[0,0,1] neg_hi:[0,0,1]
	v_pk_fma_f32 v[98:99], v[108:109], v[114:115], v[98:99] op_sel:[0,0,1] op_sel_hi:[1,0,0]
	v_mov_b32_e32 v98, v121
	v_mov_b32_e32 v101, v99
	s_waitcnt lgkmcnt(2)
	v_pk_mul_f32 v[98:99], v[4:5], v[98:99] op_sel_hi:[1,0]
	v_pk_add_f32 v[2:3], v[2:3], v[100:101]
	v_pk_fma_f32 v[100:101], v[4:5], v[120:121], v[98:99] op_sel:[0,0,1] op_sel_hi:[1,1,0] neg_lo:[0,0,1] neg_hi:[0,0,1]
	v_pk_fma_f32 v[4:5], v[4:5], v[120:121], v[98:99] op_sel:[0,0,1] op_sel_hi:[1,0,0]
	v_mov_b32_e32 v4, v119
	v_mov_b32_e32 v101, v5
	v_pk_mul_f32 v[4:5], v[6:7], v[4:5] op_sel_hi:[1,0]
	v_pk_fma_f32 v[98:99], v[6:7], v[118:119], v[4:5] op_sel:[0,0,1] op_sel_hi:[1,1,0] neg_lo:[0,0,1] neg_hi:[0,0,1]
	v_pk_fma_f32 v[4:5], v[6:7], v[118:119], v[4:5] op_sel:[0,0,1] op_sel_hi:[1,0,0]
	v_mov_b32_e32 v4, v117
	v_mov_b32_e32 v99, v5
	s_waitcnt lgkmcnt(1)
	v_pk_mul_f32 v[4:5], v[8:9], v[4:5] op_sel_hi:[1,0]
	v_pk_fma_f32 v[6:7], v[8:9], v[116:117], v[4:5] op_sel:[0,0,1] op_sel_hi:[1,1,0] neg_lo:[0,0,1] neg_hi:[0,0,1]
	v_pk_fma_f32 v[4:5], v[8:9], v[116:117], v[4:5] op_sel:[0,0,1] op_sel_hi:[1,0,0]
	v_pk_add_f32 v[2:3], v[2:3], v[100:101]
	s_waitcnt vmcnt(1)
	v_mov_b32_e32 v4, v127
	v_pk_add_f32 v[2:3], v[2:3], v[98:99]
	v_mov_b32_e32 v7, v5
	v_pk_mul_f32 v[4:5], v[10:11], v[4:5] op_sel_hi:[1,0]
	v_pk_add_f32 v[2:3], v[2:3], v[6:7]
	s_waitcnt vmcnt(0)
	v_pk_fma_f32 v[6:7], v[10:11], v[126:127], v[4:5] op_sel:[0,0,1] op_sel_hi:[1,1,0] neg_lo:[0,0,1] neg_hi:[0,0,1]
	v_pk_fma_f32 v[4:5], v[10:11], v[126:127], v[4:5] op_sel:[0,0,1] op_sel_hi:[1,0,0]
	v_mov_b32_e32 v4, v125
	v_mov_b32_e32 v7, v5
	s_waitcnt lgkmcnt(0)
	v_pk_mul_f32 v[4:5], v[12:13], v[4:5] op_sel_hi:[1,0]
	v_pk_add_f32 v[2:3], v[2:3], v[6:7]
	v_pk_fma_f32 v[6:7], v[12:13], v[124:125], v[4:5] op_sel:[0,0,1] op_sel_hi:[1,1,0] neg_lo:[0,0,1] neg_hi:[0,0,1]
	v_pk_fma_f32 v[4:5], v[12:13], v[124:125], v[4:5] op_sel:[0,0,1] op_sel_hi:[1,0,0]
	v_mov_b32_e32 v4, v123
	v_mov_b32_e32 v7, v5
	v_pk_mul_f32 v[4:5], v[14:15], v[4:5] op_sel_hi:[1,0]
	v_pk_add_f32 v[2:3], v[2:3], v[6:7]
	v_pk_fma_f32 v[6:7], v[14:15], v[122:123], v[4:5] op_sel:[0,0,1] op_sel_hi:[1,1,0] neg_lo:[0,0,1] neg_hi:[0,0,1]
	v_pk_fma_f32 v[4:5], v[14:15], v[122:123], v[4:5] op_sel:[0,0,1] op_sel_hi:[1,0,0]
	v_mov_b32_e32 v7, v5
	v_pk_add_f32 v[2:3], v[2:3], v[6:7]
	v_pk_add_f32 v[2:3], v[110:111], v[2:3] neg_lo:[0,1] neg_hi:[0,1]
	buffer_store_dword v3, off, s[0:3], 0 offset:180
	buffer_store_dword v2, off, s[0:3], 0 offset:176
	s_and_saveexec_b64 s[4:5], vcc
	s_cbranch_execz .LBB104_217
; %bb.216:
	buffer_load_dword v2, off, s[0:3], 0 offset:168
	buffer_load_dword v3, off, s[0:3], 0 offset:172
	v_mov_b32_e32 v4, 0
	buffer_store_dword v4, off, s[0:3], 0 offset:168
	buffer_store_dword v4, off, s[0:3], 0 offset:172
	s_waitcnt vmcnt(2)
	ds_write_b64 v1, v[2:3]
.LBB104_217:
	s_or_b64 exec, exec, s[4:5]
	s_waitcnt lgkmcnt(0)
	; wave barrier
	s_waitcnt lgkmcnt(0)
	buffer_load_dword v3, off, s[0:3], 0 offset:180
	buffer_load_dword v128, off, s[0:3], 0 offset:188
	;; [unrolled: 1-line block ×40, first 2 shown]
	v_mov_b32_e32 v2, 0
	ds_read_b128 v[4:7], v2 offset:512
	ds_read_b128 v[8:11], v2 offset:528
	;; [unrolled: 1-line block ×6, first 2 shown]
	v_cmp_lt_u32_e32 vcc, 20, v0
	s_waitcnt vmcnt(39) lgkmcnt(5)
	v_mul_f32_e32 v151, v4, v3
	s_waitcnt vmcnt(38)
	v_mul_f32_e32 v152, v6, v128
	v_mul_f32_e32 v3, v5, v3
	s_waitcnt vmcnt(37) lgkmcnt(4)
	v_mul_f32_e32 v153, v8, v130
	v_mul_f32_e32 v128, v7, v128
	s_waitcnt vmcnt(36)
	v_mul_f32_e32 v154, v10, v132
	s_waitcnt vmcnt(35) lgkmcnt(3)
	v_mul_f32_e32 v155, v12, v134
	s_waitcnt vmcnt(34)
	v_mul_f32_e32 v156, v14, v135
	s_waitcnt vmcnt(33) lgkmcnt(2)
	;; [unrolled: 4-line block ×3, first 2 shown]
	v_mul_f32_e32 v159, v102, v138
	s_waitcnt vmcnt(28)
	v_fmac_f32_e32 v151, v5, v133
	s_waitcnt vmcnt(27)
	v_fmac_f32_e32 v152, v7, v141
	v_fma_f32 v3, v4, v133, -v3
	v_add_f32_e32 v7, 0, v151
	s_waitcnt vmcnt(26)
	v_fmac_f32_e32 v153, v9, v142
	v_fma_f32 v4, v6, v141, -v128
	v_add_f32_e32 v3, 0, v3
	v_add_f32_e32 v7, v7, v152
	s_waitcnt vmcnt(25)
	v_fmac_f32_e32 v154, v11, v143
	v_add_f32_e32 v3, v3, v4
	v_add_f32_e32 v4, v7, v153
	s_waitcnt vmcnt(24)
	v_fmac_f32_e32 v155, v13, v144
	v_add_f32_e32 v4, v4, v154
	s_waitcnt vmcnt(23)
	v_fmac_f32_e32 v156, v15, v145
	;; [unrolled: 3-line block ×3, first 2 shown]
	v_add_f32_e32 v4, v4, v156
	v_mul_f32_e32 v130, v9, v130
	s_waitcnt vmcnt(21)
	v_fmac_f32_e32 v158, v101, v147
	v_add_f32_e32 v4, v4, v157
	v_mul_f32_e32 v132, v11, v132
	s_waitcnt vmcnt(20)
	v_fmac_f32_e32 v159, v103, v148
	v_fma_f32 v5, v8, v142, -v130
	v_add_f32_e32 v4, v4, v158
	v_fma_f32 v6, v10, v143, -v132
	v_add_f32_e32 v3, v3, v5
	v_add_f32_e32 v133, v4, v159
	v_mul_f32_e32 v4, v13, v134
	v_add_f32_e32 v3, v3, v6
	v_fma_f32 v4, v12, v144, -v4
	v_add_f32_e32 v3, v3, v4
	v_mul_f32_e32 v4, v15, v135
	v_fma_f32 v4, v14, v145, -v4
	v_add_f32_e32 v3, v3, v4
	v_mul_f32_e32 v4, v99, v136
	v_fma_f32 v4, v98, v146, -v4
	v_add_f32_e32 v3, v3, v4
	v_mul_f32_e32 v4, v101, v137
	v_fma_f32 v4, v100, v147, -v4
	v_add_f32_e32 v3, v3, v4
	v_mul_f32_e32 v4, v103, v138
	v_fma_f32 v4, v102, v148, -v4
	s_waitcnt vmcnt(9)
	v_mov_b32_e32 v102, v119
	v_mul_f32_e32 v129, v104, v139
	v_add_f32_e32 v132, v3, v4
	v_mul_f32_e32 v3, v105, v139
	s_waitcnt lgkmcnt(0)
	v_pk_mul_f32 v[102:103], v[108:109], v[102:103] op_sel_hi:[1,0]
	v_mul_f32_e32 v131, v106, v140
	v_fmac_f32_e32 v129, v105, v149
	v_fma_f32 v128, v104, v149, -v3
	v_mul_f32_e32 v3, v107, v140
	ds_read_b128 v[4:7], v2 offset:608
	ds_read_b128 v[8:11], v2 offset:624
	;; [unrolled: 1-line block ×3, first 2 shown]
	ds_read_b64 v[98:99], v2 offset:656
	s_waitcnt vmcnt(8)
	v_pk_fma_f32 v[104:105], v[108:109], v[118:119], v[102:103] op_sel:[0,0,1] op_sel_hi:[1,1,0] neg_lo:[0,0,1] neg_hi:[0,0,1]
	v_pk_fma_f32 v[102:103], v[108:109], v[118:119], v[102:103] op_sel:[0,0,1] op_sel_hi:[1,0,0]
	v_fmac_f32_e32 v131, v107, v150
	v_fma_f32 v130, v106, v150, -v3
	v_pk_add_f32 v[100:101], v[132:133], v[128:129]
	v_mov_b32_e32 v102, v117
	v_pk_add_f32 v[100:101], v[100:101], v[130:131]
	v_mov_b32_e32 v105, v103
	s_waitcnt lgkmcnt(3)
	v_pk_mul_f32 v[102:103], v[4:5], v[102:103] op_sel_hi:[1,0]
	v_pk_add_f32 v[100:101], v[100:101], v[104:105]
	v_pk_fma_f32 v[104:105], v[4:5], v[116:117], v[102:103] op_sel:[0,0,1] op_sel_hi:[1,1,0] neg_lo:[0,0,1] neg_hi:[0,0,1]
	v_pk_fma_f32 v[4:5], v[4:5], v[116:117], v[102:103] op_sel:[0,0,1] op_sel_hi:[1,0,0]
	v_mov_b32_e32 v105, v5
	v_pk_add_f32 v[4:5], v[100:101], v[104:105]
	v_mov_b32_e32 v100, v115
	v_pk_mul_f32 v[100:101], v[6:7], v[100:101] op_sel_hi:[1,0]
	v_pk_fma_f32 v[102:103], v[6:7], v[114:115], v[100:101] op_sel:[0,0,1] op_sel_hi:[1,1,0] neg_lo:[0,0,1] neg_hi:[0,0,1]
	v_pk_fma_f32 v[6:7], v[6:7], v[114:115], v[100:101] op_sel:[0,0,1] op_sel_hi:[1,0,0]
	v_mov_b32_e32 v6, v113
	v_mov_b32_e32 v103, v7
	s_waitcnt lgkmcnt(2)
	v_pk_mul_f32 v[6:7], v[8:9], v[6:7] op_sel_hi:[1,0]
	v_pk_fma_f32 v[100:101], v[8:9], v[112:113], v[6:7] op_sel:[0,0,1] op_sel_hi:[1,1,0] neg_lo:[0,0,1] neg_hi:[0,0,1]
	v_pk_fma_f32 v[6:7], v[8:9], v[112:113], v[6:7] op_sel:[0,0,1] op_sel_hi:[1,0,0]
	s_waitcnt vmcnt(1)
	v_mov_b32_e32 v6, v127
	v_mov_b32_e32 v101, v7
	v_pk_mul_f32 v[6:7], v[10:11], v[6:7] op_sel_hi:[1,0]
	s_waitcnt vmcnt(0)
	v_pk_fma_f32 v[8:9], v[10:11], v[126:127], v[6:7] op_sel:[0,0,1] op_sel_hi:[1,1,0] neg_lo:[0,0,1] neg_hi:[0,0,1]
	v_pk_fma_f32 v[6:7], v[10:11], v[126:127], v[6:7] op_sel:[0,0,1] op_sel_hi:[1,0,0]
	v_pk_add_f32 v[4:5], v[4:5], v[102:103]
	v_mov_b32_e32 v6, v125
	v_pk_add_f32 v[4:5], v[4:5], v[100:101]
	v_mov_b32_e32 v9, v7
	s_waitcnt lgkmcnt(1)
	v_pk_mul_f32 v[6:7], v[12:13], v[6:7] op_sel_hi:[1,0]
	v_pk_add_f32 v[4:5], v[4:5], v[8:9]
	v_pk_fma_f32 v[8:9], v[12:13], v[124:125], v[6:7] op_sel:[0,0,1] op_sel_hi:[1,1,0] neg_lo:[0,0,1] neg_hi:[0,0,1]
	v_pk_fma_f32 v[6:7], v[12:13], v[124:125], v[6:7] op_sel:[0,0,1] op_sel_hi:[1,0,0]
	v_mov_b32_e32 v6, v123
	v_mov_b32_e32 v9, v7
	v_pk_mul_f32 v[6:7], v[14:15], v[6:7] op_sel_hi:[1,0]
	v_pk_add_f32 v[4:5], v[4:5], v[8:9]
	v_pk_fma_f32 v[8:9], v[14:15], v[122:123], v[6:7] op_sel:[0,0,1] op_sel_hi:[1,1,0] neg_lo:[0,0,1] neg_hi:[0,0,1]
	v_pk_fma_f32 v[6:7], v[14:15], v[122:123], v[6:7] op_sel:[0,0,1] op_sel_hi:[1,0,0]
	v_mov_b32_e32 v6, v121
	v_mov_b32_e32 v9, v7
	s_waitcnt lgkmcnt(0)
	v_pk_mul_f32 v[6:7], v[98:99], v[6:7] op_sel_hi:[1,0]
	v_pk_add_f32 v[4:5], v[4:5], v[8:9]
	v_pk_fma_f32 v[8:9], v[98:99], v[120:121], v[6:7] op_sel:[0,0,1] op_sel_hi:[1,1,0] neg_lo:[0,0,1] neg_hi:[0,0,1]
	v_pk_fma_f32 v[6:7], v[98:99], v[120:121], v[6:7] op_sel:[0,0,1] op_sel_hi:[1,0,0]
	v_mov_b32_e32 v9, v7
	v_pk_add_f32 v[4:5], v[4:5], v[8:9]
	v_pk_add_f32 v[4:5], v[110:111], v[4:5] neg_lo:[0,1] neg_hi:[0,1]
	buffer_store_dword v5, off, s[0:3], 0 offset:172
	buffer_store_dword v4, off, s[0:3], 0 offset:168
	s_and_saveexec_b64 s[4:5], vcc
	s_cbranch_execz .LBB104_219
; %bb.218:
	buffer_load_dword v4, off, s[0:3], 0 offset:160
	buffer_load_dword v5, off, s[0:3], 0 offset:164
	s_waitcnt vmcnt(0)
	ds_write_b64 v1, v[4:5]
	buffer_store_dword v2, off, s[0:3], 0 offset:160
	buffer_store_dword v2, off, s[0:3], 0 offset:164
.LBB104_219:
	s_or_b64 exec, exec, s[4:5]
	s_waitcnt lgkmcnt(0)
	; wave barrier
	s_waitcnt lgkmcnt(0)
	buffer_load_dword v3, off, s[0:3], 0 offset:172
	buffer_load_dword v128, off, s[0:3], 0 offset:180
	;; [unrolled: 1-line block ×26, first 2 shown]
	ds_read2_b64 v[4:7], v2 offset0:63 offset1:64
	ds_read2_b64 v[8:11], v2 offset0:65 offset1:66
	;; [unrolled: 1-line block ×6, first 2 shown]
	buffer_load_dword v113, off, s[0:3], 0 offset:284
	buffer_load_dword v112, off, s[0:3], 0 offset:280
	;; [unrolled: 1-line block ×16, first 2 shown]
	v_cmp_lt_u32_e32 vcc, 19, v0
	s_waitcnt vmcnt(41) lgkmcnt(5)
	v_mul_f32_e32 v153, v4, v3
	s_waitcnt vmcnt(40)
	v_mul_f32_e32 v154, v6, v128
	v_mul_f32_e32 v3, v5, v3
	;; [unrolled: 1-line block ×3, first 2 shown]
	s_waitcnt vmcnt(39) lgkmcnt(4)
	v_mul_f32_e32 v155, v8, v130
	s_waitcnt vmcnt(38)
	v_mul_f32_e32 v156, v10, v132
	s_waitcnt vmcnt(37) lgkmcnt(3)
	v_mul_f32_e32 v157, v12, v134
	s_waitcnt vmcnt(36)
	v_mul_f32_e32 v158, v14, v135
	;; [unrolled: 4-line block ×4, first 2 shown]
	s_waitcnt vmcnt(29)
	v_fmac_f32_e32 v153, v5, v133
	s_waitcnt vmcnt(28)
	v_fmac_f32_e32 v154, v7, v142
	v_fma_f32 v3, v4, v133, -v3
	v_fma_f32 v4, v6, v142, -v128
	v_add_f32_e32 v6, 0, v153
	s_waitcnt vmcnt(27)
	v_fmac_f32_e32 v155, v9, v143
	v_add_f32_e32 v3, 0, v3
	v_add_f32_e32 v6, v6, v154
	s_waitcnt vmcnt(26)
	v_fmac_f32_e32 v156, v11, v144
	v_add_f32_e32 v3, v3, v4
	;; [unrolled: 4-line block ×3, first 2 shown]
	s_waitcnt vmcnt(24)
	v_fmac_f32_e32 v158, v15, v146
	v_add_f32_e32 v4, v4, v157
	s_waitcnt vmcnt(23)
	v_fmac_f32_e32 v159, v99, v147
	v_add_f32_e32 v4, v4, v158
	;; [unrolled: 3-line block ×4, first 2 shown]
	v_mul_f32_e32 v130, v9, v130
	s_waitcnt vmcnt(20)
	v_fmac_f32_e32 v162, v105, v150
	v_add_f32_e32 v4, v4, v161
	v_fma_f32 v5, v8, v143, -v130
	v_add_f32_e32 v133, v4, v162
	v_mul_f32_e32 v4, v11, v132
	v_add_f32_e32 v3, v3, v5
	v_fma_f32 v4, v10, v144, -v4
	v_add_f32_e32 v3, v3, v4
	v_mul_f32_e32 v4, v13, v134
	v_fma_f32 v4, v12, v145, -v4
	v_add_f32_e32 v3, v3, v4
	v_mul_f32_e32 v4, v15, v135
	;; [unrolled: 3-line block ×6, first 2 shown]
	v_fma_f32 v4, v104, v150, -v4
	v_add_f32_e32 v132, v3, v4
	ds_read2_b64 v[4:7], v2 offset0:75 offset1:76
	ds_read2_b64 v[8:11], v2 offset0:77 offset1:78
	;; [unrolled: 1-line block ×4, first 2 shown]
	s_waitcnt vmcnt(11)
	v_mov_b32_e32 v102, v117
	s_waitcnt lgkmcnt(3)
	v_pk_mul_f32 v[102:103], v[4:5], v[102:103] op_sel_hi:[1,0]
	s_waitcnt vmcnt(10)
	v_pk_fma_f32 v[104:105], v[4:5], v[116:117], v[102:103] op_sel:[0,0,1] op_sel_hi:[1,1,0] neg_lo:[0,0,1] neg_hi:[0,0,1]
	v_pk_fma_f32 v[4:5], v[4:5], v[116:117], v[102:103] op_sel:[0,0,1] op_sel_hi:[1,0,0]
	v_mov_b32_e32 v4, v115
	v_mov_b32_e32 v105, v5
	v_pk_mul_f32 v[4:5], v[6:7], v[4:5] op_sel_hi:[1,0]
	v_mul_f32_e32 v129, v106, v140
	v_mul_f32_e32 v3, v107, v140
	v_pk_fma_f32 v[102:103], v[6:7], v[114:115], v[4:5] op_sel:[0,0,1] op_sel_hi:[1,1,0] neg_lo:[0,0,1] neg_hi:[0,0,1]
	v_pk_fma_f32 v[4:5], v[6:7], v[114:115], v[4:5] op_sel:[0,0,1] op_sel_hi:[1,0,0]
	v_mul_f32_e32 v131, v108, v141
	v_fmac_f32_e32 v129, v107, v151
	v_fma_f32 v128, v106, v151, -v3
	v_mul_f32_e32 v3, v109, v141
	v_mov_b32_e32 v4, v113
	v_fmac_f32_e32 v131, v109, v152
	v_fma_f32 v130, v108, v152, -v3
	v_pk_add_f32 v[2:3], v[132:133], v[128:129]
	v_mov_b32_e32 v103, v5
	s_waitcnt lgkmcnt(2)
	v_pk_mul_f32 v[4:5], v[8:9], v[4:5] op_sel_hi:[1,0]
	v_pk_add_f32 v[2:3], v[2:3], v[130:131]
	v_pk_fma_f32 v[6:7], v[8:9], v[112:113], v[4:5] op_sel:[0,0,1] op_sel_hi:[1,1,0] neg_lo:[0,0,1] neg_hi:[0,0,1]
	v_pk_fma_f32 v[4:5], v[8:9], v[112:113], v[4:5] op_sel:[0,0,1] op_sel_hi:[1,0,0]
	v_pk_add_f32 v[2:3], v[2:3], v[104:105]
	s_waitcnt vmcnt(3)
	v_mov_b32_e32 v4, v125
	v_pk_add_f32 v[2:3], v[2:3], v[102:103]
	v_mov_b32_e32 v7, v5
	v_pk_mul_f32 v[4:5], v[10:11], v[4:5] op_sel_hi:[1,0]
	v_pk_add_f32 v[2:3], v[2:3], v[6:7]
	s_waitcnt vmcnt(2)
	v_pk_fma_f32 v[6:7], v[10:11], v[124:125], v[4:5] op_sel:[0,0,1] op_sel_hi:[1,1,0] neg_lo:[0,0,1] neg_hi:[0,0,1]
	v_pk_fma_f32 v[4:5], v[10:11], v[124:125], v[4:5] op_sel:[0,0,1] op_sel_hi:[1,0,0]
	v_mov_b32_e32 v4, v123
	v_mov_b32_e32 v7, v5
	s_waitcnt lgkmcnt(1)
	v_pk_mul_f32 v[4:5], v[12:13], v[4:5] op_sel_hi:[1,0]
	v_pk_add_f32 v[2:3], v[2:3], v[6:7]
	v_pk_fma_f32 v[6:7], v[12:13], v[122:123], v[4:5] op_sel:[0,0,1] op_sel_hi:[1,1,0] neg_lo:[0,0,1] neg_hi:[0,0,1]
	v_pk_fma_f32 v[4:5], v[12:13], v[122:123], v[4:5] op_sel:[0,0,1] op_sel_hi:[1,0,0]
	v_mov_b32_e32 v4, v121
	v_mov_b32_e32 v7, v5
	v_pk_mul_f32 v[4:5], v[14:15], v[4:5] op_sel_hi:[1,0]
	v_pk_add_f32 v[2:3], v[2:3], v[6:7]
	v_pk_fma_f32 v[6:7], v[14:15], v[120:121], v[4:5] op_sel:[0,0,1] op_sel_hi:[1,1,0] neg_lo:[0,0,1] neg_hi:[0,0,1]
	v_pk_fma_f32 v[4:5], v[14:15], v[120:121], v[4:5] op_sel:[0,0,1] op_sel_hi:[1,0,0]
	v_mov_b32_e32 v4, v119
	v_mov_b32_e32 v7, v5
	s_waitcnt lgkmcnt(0)
	v_pk_mul_f32 v[4:5], v[98:99], v[4:5] op_sel_hi:[1,0]
	v_pk_add_f32 v[2:3], v[2:3], v[6:7]
	v_pk_fma_f32 v[6:7], v[98:99], v[118:119], v[4:5] op_sel:[0,0,1] op_sel_hi:[1,1,0] neg_lo:[0,0,1] neg_hi:[0,0,1]
	v_pk_fma_f32 v[4:5], v[98:99], v[118:119], v[4:5] op_sel:[0,0,1] op_sel_hi:[1,0,0]
	s_waitcnt vmcnt(1)
	v_mov_b32_e32 v4, v127
	v_mov_b32_e32 v7, v5
	v_pk_mul_f32 v[4:5], v[100:101], v[4:5] op_sel_hi:[1,0]
	v_pk_add_f32 v[2:3], v[2:3], v[6:7]
	s_waitcnt vmcnt(0)
	v_pk_fma_f32 v[6:7], v[100:101], v[126:127], v[4:5] op_sel:[0,0,1] op_sel_hi:[1,1,0] neg_lo:[0,0,1] neg_hi:[0,0,1]
	v_pk_fma_f32 v[4:5], v[100:101], v[126:127], v[4:5] op_sel:[0,0,1] op_sel_hi:[1,0,0]
	v_mov_b32_e32 v7, v5
	v_pk_add_f32 v[2:3], v[2:3], v[6:7]
	v_pk_add_f32 v[2:3], v[110:111], v[2:3] neg_lo:[0,1] neg_hi:[0,1]
	buffer_store_dword v3, off, s[0:3], 0 offset:164
	buffer_store_dword v2, off, s[0:3], 0 offset:160
	s_and_saveexec_b64 s[4:5], vcc
	s_cbranch_execz .LBB104_221
; %bb.220:
	buffer_load_dword v2, off, s[0:3], 0 offset:152
	buffer_load_dword v3, off, s[0:3], 0 offset:156
	v_mov_b32_e32 v4, 0
	buffer_store_dword v4, off, s[0:3], 0 offset:152
	buffer_store_dword v4, off, s[0:3], 0 offset:156
	s_waitcnt vmcnt(2)
	ds_write_b64 v1, v[2:3]
.LBB104_221:
	s_or_b64 exec, exec, s[4:5]
	v_mov_b32_e32 v12, 0
	s_waitcnt lgkmcnt(0)
	; wave barrier
	s_waitcnt lgkmcnt(0)
	ds_read_b128 v[98:101], v12 offset:496
	ds_read_b128 v[102:105], v12 offset:512
	ds_read_b128 v[106:109], v12 offset:528
	ds_read_b128 v[110:113], v12 offset:544
	buffer_load_dword v6, off, s[0:3], 0 offset:152
	buffer_load_dword v7, off, s[0:3], 0 offset:156
	;; [unrolled: 1-line block ×18, first 2 shown]
	ds_read_b128 v[114:117], v12 offset:560
	buffer_load_dword v150, off, s[0:3], 0 offset:224
	buffer_load_dword v151, off, s[0:3], 0 offset:228
	;; [unrolled: 1-line block ×4, first 2 shown]
	ds_read_b128 v[118:121], v12 offset:576
	buffer_load_dword v154, off, s[0:3], 0 offset:240
	buffer_load_dword v155, off, s[0:3], 0 offset:244
	;; [unrolled: 1-line block ×4, first 2 shown]
	v_cmp_lt_u32_e32 vcc, 18, v0
	s_waitcnt vmcnt(22) lgkmcnt(5)
	v_mul_f32_e32 v2, v98, v10
	v_fmac_f32_e32 v2, v99, v8
	s_waitcnt vmcnt(20)
	v_mul_f32_e32 v3, v100, v14
	v_add_f32_e32 v2, 0, v2
	v_fmac_f32_e32 v3, v101, v13
	v_add_f32_e32 v2, v2, v3
	s_waitcnt vmcnt(18) lgkmcnt(4)
	v_mul_f32_e32 v3, v102, v139
	v_fmac_f32_e32 v3, v103, v138
	v_add_f32_e32 v2, v2, v3
	s_waitcnt vmcnt(16)
	v_mul_f32_e32 v3, v104, v141
	v_fmac_f32_e32 v3, v105, v140
	v_add_f32_e32 v2, v2, v3
	s_waitcnt vmcnt(14) lgkmcnt(3)
	v_mul_f32_e32 v3, v106, v143
	v_fmac_f32_e32 v3, v107, v142
	v_add_f32_e32 v2, v2, v3
	s_waitcnt vmcnt(12)
	v_mul_f32_e32 v3, v108, v145
	;; [unrolled: 8-line block ×4, first 2 shown]
	v_fmac_f32_e32 v3, v117, v152
	v_add_f32_e32 v2, v2, v3
	s_waitcnt vmcnt(2) lgkmcnt(0)
	v_mul_f32_e32 v3, v118, v155
	v_fmac_f32_e32 v3, v119, v154
	v_add_f32_e32 v9, v2, v3
	ds_read_b128 v[2:5], v12 offset:592
	buffer_load_dword v158, off, s[0:3], 0 offset:256
	buffer_load_dword v159, off, s[0:3], 0 offset:260
	;; [unrolled: 1-line block ×18, first 2 shown]
	v_mul_f32_e32 v10, v99, v10
	v_fma_f32 v8, v98, v8, -v10
	v_mul_f32_e32 v10, v101, v14
	v_add_f32_e32 v8, 0, v8
	v_fma_f32 v10, v100, v13, -v10
	v_add_f32_e32 v8, v8, v10
	v_mul_f32_e32 v10, v103, v139
	v_fma_f32 v10, v102, v138, -v10
	v_add_f32_e32 v8, v8, v10
	v_mul_f32_e32 v10, v105, v141
	;; [unrolled: 3-line block ×9, first 2 shown]
	v_fma_f32 v10, v118, v154, -v10
	s_waitcnt vmcnt(18)
	v_mul_f32_e32 v11, v120, v157
	v_add_f32_e32 v8, v8, v10
	v_mul_f32_e32 v10, v121, v157
	v_fmac_f32_e32 v11, v121, v156
	v_fma_f32 v10, v120, v156, -v10
	v_pk_add_f32 v[8:9], v[8:9], v[10:11]
	s_waitcnt vmcnt(15)
	v_mov_b32_e32 v10, v123
	s_waitcnt lgkmcnt(0)
	v_pk_mul_f32 v[10:11], v[4:5], v[10:11] op_sel_hi:[1,0]
	v_mul_f32_e32 v15, v2, v159
	v_fmac_f32_e32 v15, v3, v158
	v_mul_f32_e32 v3, v3, v159
	v_fma_f32 v14, v2, v158, -v3
	v_pk_add_f32 v[8:9], v[8:9], v[14:15]
	s_waitcnt vmcnt(14)
	v_pk_fma_f32 v[14:15], v[4:5], v[122:123], v[10:11] op_sel:[0,0,1] op_sel_hi:[1,1,0] neg_lo:[0,0,1] neg_hi:[0,0,1]
	v_pk_fma_f32 v[4:5], v[4:5], v[122:123], v[10:11] op_sel:[0,0,1] op_sel_hi:[1,0,0]
	ds_read_b128 v[98:101], v12 offset:608
	ds_read_b128 v[102:105], v12 offset:624
	;; [unrolled: 1-line block ×3, first 2 shown]
	ds_read_b64 v[2:3], v12 offset:656
	v_mov_b32_e32 v15, v5
	v_pk_add_f32 v[4:5], v[8:9], v[14:15]
	s_waitcnt vmcnt(13)
	v_mov_b32_e32 v8, v125
	s_waitcnt lgkmcnt(3)
	v_pk_mul_f32 v[8:9], v[98:99], v[8:9] op_sel_hi:[1,0]
	s_waitcnt vmcnt(12)
	v_pk_fma_f32 v[10:11], v[98:99], v[124:125], v[8:9] op_sel:[0,0,1] op_sel_hi:[1,1,0] neg_lo:[0,0,1] neg_hi:[0,0,1]
	v_pk_fma_f32 v[8:9], v[98:99], v[124:125], v[8:9] op_sel:[0,0,1] op_sel_hi:[1,0,0]
	s_waitcnt vmcnt(11)
	v_mov_b32_e32 v8, v127
	v_mov_b32_e32 v11, v9
	v_pk_mul_f32 v[8:9], v[100:101], v[8:9] op_sel_hi:[1,0]
	v_pk_add_f32 v[4:5], v[4:5], v[10:11]
	s_waitcnt vmcnt(10)
	v_pk_fma_f32 v[10:11], v[100:101], v[126:127], v[8:9] op_sel:[0,0,1] op_sel_hi:[1,1,0] neg_lo:[0,0,1] neg_hi:[0,0,1]
	v_pk_fma_f32 v[8:9], v[100:101], v[126:127], v[8:9] op_sel:[0,0,1] op_sel_hi:[1,0,0]
	s_waitcnt vmcnt(9)
	v_mov_b32_e32 v8, v129
	v_mov_b32_e32 v11, v9
	s_waitcnt lgkmcnt(2)
	v_pk_mul_f32 v[8:9], v[102:103], v[8:9] op_sel_hi:[1,0]
	v_pk_add_f32 v[4:5], v[4:5], v[10:11]
	s_waitcnt vmcnt(8)
	v_pk_fma_f32 v[10:11], v[102:103], v[128:129], v[8:9] op_sel:[0,0,1] op_sel_hi:[1,1,0] neg_lo:[0,0,1] neg_hi:[0,0,1]
	v_pk_fma_f32 v[8:9], v[102:103], v[128:129], v[8:9] op_sel:[0,0,1] op_sel_hi:[1,0,0]
	s_waitcnt vmcnt(7)
	v_mov_b32_e32 v8, v131
	v_mov_b32_e32 v11, v9
	v_pk_mul_f32 v[8:9], v[104:105], v[8:9] op_sel_hi:[1,0]
	v_pk_add_f32 v[4:5], v[4:5], v[10:11]
	s_waitcnt vmcnt(6)
	v_pk_fma_f32 v[10:11], v[104:105], v[130:131], v[8:9] op_sel:[0,0,1] op_sel_hi:[1,1,0] neg_lo:[0,0,1] neg_hi:[0,0,1]
	v_pk_fma_f32 v[8:9], v[104:105], v[130:131], v[8:9] op_sel:[0,0,1] op_sel_hi:[1,0,0]
	s_waitcnt vmcnt(5)
	v_mov_b32_e32 v8, v133
	v_mov_b32_e32 v11, v9
	s_waitcnt lgkmcnt(1)
	v_pk_mul_f32 v[8:9], v[106:107], v[8:9] op_sel_hi:[1,0]
	v_pk_add_f32 v[4:5], v[4:5], v[10:11]
	;; [unrolled: 17-line block ×3, first 2 shown]
	s_waitcnt vmcnt(0)
	v_pk_fma_f32 v[10:11], v[2:3], v[136:137], v[8:9] op_sel:[0,0,1] op_sel_hi:[1,1,0] neg_lo:[0,0,1] neg_hi:[0,0,1]
	v_pk_fma_f32 v[2:3], v[2:3], v[136:137], v[8:9] op_sel:[0,0,1] op_sel_hi:[1,0,0]
	v_mov_b32_e32 v11, v3
	v_pk_add_f32 v[2:3], v[4:5], v[10:11]
	v_pk_add_f32 v[2:3], v[6:7], v[2:3] neg_lo:[0,1] neg_hi:[0,1]
	buffer_store_dword v3, off, s[0:3], 0 offset:156
	buffer_store_dword v2, off, s[0:3], 0 offset:152
	s_and_saveexec_b64 s[4:5], vcc
	s_cbranch_execz .LBB104_223
; %bb.222:
	buffer_load_dword v2, off, s[0:3], 0 offset:144
	buffer_load_dword v3, off, s[0:3], 0 offset:148
	s_waitcnt vmcnt(0)
	ds_write_b64 v1, v[2:3]
	buffer_store_dword v12, off, s[0:3], 0 offset:144
	buffer_store_dword v12, off, s[0:3], 0 offset:148
.LBB104_223:
	s_or_b64 exec, exec, s[4:5]
	s_waitcnt lgkmcnt(0)
	; wave barrier
	s_waitcnt lgkmcnt(0)
	ds_read2_b64 v[2:5], v12 offset0:61 offset1:62
	buffer_load_dword v6, off, s[0:3], 0 offset:144
	buffer_load_dword v7, off, s[0:3], 0 offset:148
	;; [unrolled: 1-line block ×16, first 2 shown]
	v_cmp_lt_u32_e32 vcc, 17, v0
	s_waitcnt vmcnt(12) lgkmcnt(0)
	v_mul_f32_e32 v8, v2, v14
	v_fmac_f32_e32 v8, v3, v13
	s_waitcnt vmcnt(10)
	v_mul_f32_e32 v9, v4, v122
	v_add_f32_e32 v8, 0, v8
	v_fmac_f32_e32 v9, v5, v15
	v_add_f32_e32 v98, v8, v9
	ds_read2_b64 v[8:11], v12 offset0:63 offset1:64
	v_mul_f32_e32 v3, v3, v14
	v_fma_f32 v2, v2, v13, -v3
	v_mul_f32_e32 v3, v5, v122
	v_add_f32_e32 v2, 0, v2
	s_waitcnt vmcnt(8) lgkmcnt(0)
	v_mul_f32_e32 v99, v8, v126
	v_fmac_f32_e32 v99, v9, v124
	v_add_f32_e32 v98, v98, v99
	s_waitcnt vmcnt(6)
	v_mul_f32_e32 v99, v10, v145
	v_fmac_f32_e32 v99, v11, v144
	v_add_f32_e32 v102, v98, v99
	ds_read2_b64 v[98:101], v12 offset0:65 offset1:66
	v_fma_f32 v3, v4, v15, -v3
	v_add_f32_e32 v2, v2, v3
	v_mul_f32_e32 v3, v9, v126
	v_fma_f32 v3, v8, v124, -v3
	s_waitcnt vmcnt(4) lgkmcnt(0)
	v_mul_f32_e32 v103, v98, v147
	v_fmac_f32_e32 v103, v99, v146
	v_add_f32_e32 v102, v102, v103
	s_waitcnt vmcnt(2)
	v_mul_f32_e32 v103, v100, v149
	v_fmac_f32_e32 v103, v101, v148
	v_add_f32_e32 v106, v102, v103
	ds_read2_b64 v[102:105], v12 offset0:67 offset1:68
	buffer_load_dword v152, off, s[0:3], 0 offset:208
	buffer_load_dword v153, off, s[0:3], 0 offset:212
	v_add_f32_e32 v2, v2, v3
	v_mul_f32_e32 v3, v11, v145
	v_fma_f32 v3, v10, v144, -v3
	s_waitcnt vmcnt(2) lgkmcnt(0)
	v_mul_f32_e32 v107, v102, v151
	v_fmac_f32_e32 v107, v103, v150
	v_add_f32_e32 v106, v106, v107
	v_add_f32_e32 v2, v2, v3
	v_mul_f32_e32 v3, v99, v147
	v_fma_f32 v3, v98, v146, -v3
	v_add_f32_e32 v2, v2, v3
	v_mul_f32_e32 v3, v101, v149
	v_fma_f32 v3, v100, v148, -v3
	;; [unrolled: 3-line block ×3, first 2 shown]
	v_add_f32_e32 v2, v2, v3
	s_waitcnt vmcnt(0)
	v_mul_f32_e32 v107, v104, v153
	v_fmac_f32_e32 v107, v105, v152
	v_add_f32_e32 v110, v106, v107
	ds_read2_b64 v[106:109], v12 offset0:69 offset1:70
	buffer_load_dword v154, off, s[0:3], 0 offset:216
	buffer_load_dword v155, off, s[0:3], 0 offset:220
	;; [unrolled: 1-line block ×4, first 2 shown]
	v_mul_f32_e32 v3, v105, v153
	v_fma_f32 v3, v104, v152, -v3
	v_add_f32_e32 v2, v2, v3
	s_waitcnt vmcnt(2) lgkmcnt(0)
	v_mul_f32_e32 v111, v106, v155
	v_fmac_f32_e32 v111, v107, v154
	v_add_f32_e32 v110, v110, v111
	s_waitcnt vmcnt(0)
	v_mul_f32_e32 v111, v108, v157
	v_fmac_f32_e32 v111, v109, v156
	v_add_f32_e32 v114, v110, v111
	ds_read2_b64 v[110:113], v12 offset0:71 offset1:72
	buffer_load_dword v158, off, s[0:3], 0 offset:232
	buffer_load_dword v159, off, s[0:3], 0 offset:236
	;; [unrolled: 1-line block ×4, first 2 shown]
	v_mul_f32_e32 v3, v107, v155
	v_fma_f32 v3, v106, v154, -v3
	v_add_f32_e32 v2, v2, v3
	v_mul_f32_e32 v3, v109, v157
	v_fma_f32 v3, v108, v156, -v3
	v_add_f32_e32 v2, v2, v3
	s_waitcnt vmcnt(2) lgkmcnt(0)
	v_mul_f32_e32 v115, v110, v159
	v_fmac_f32_e32 v115, v111, v158
	v_add_f32_e32 v114, v114, v115
	s_waitcnt vmcnt(0)
	v_mul_f32_e32 v115, v112, v161
	v_fmac_f32_e32 v115, v113, v160
	v_add_f32_e32 v123, v114, v115
	ds_read2_b64 v[114:117], v12 offset0:73 offset1:74
	buffer_load_dword v162, off, s[0:3], 0 offset:248
	buffer_load_dword v163, off, s[0:3], 0 offset:252
	;; [unrolled: 1-line block ×6, first 2 shown]
	ds_read2_b64 v[118:121], v12 offset0:75 offset1:76
	buffer_load_dword v131, off, s[0:3], 0 offset:276
	buffer_load_dword v130, off, s[0:3], 0 offset:272
	;; [unrolled: 1-line block ×14, first 2 shown]
	v_mul_f32_e32 v3, v111, v159
	v_fma_f32 v3, v110, v158, -v3
	v_add_f32_e32 v2, v2, v3
	v_mul_f32_e32 v3, v113, v161
	v_fma_f32 v3, v112, v160, -v3
	v_add_f32_e32 v122, v2, v3
	s_waitcnt vmcnt(18) lgkmcnt(1)
	v_mul_f32_e32 v125, v114, v163
	s_waitcnt vmcnt(15)
	v_mov_b32_e32 v100, v129
	v_mul_f32_e32 v2, v115, v163
	s_waitcnt lgkmcnt(0)
	v_pk_mul_f32 v[100:101], v[118:119], v[100:101] op_sel_hi:[1,0]
	v_fmac_f32_e32 v125, v115, v162
	v_mul_f32_e32 v127, v116, v165
	v_fma_f32 v124, v114, v162, -v2
	v_mul_f32_e32 v2, v117, v165
	s_waitcnt vmcnt(14)
	v_pk_fma_f32 v[102:103], v[118:119], v[128:129], v[100:101] op_sel:[0,0,1] op_sel_hi:[1,1,0] neg_lo:[0,0,1] neg_hi:[0,0,1]
	v_pk_fma_f32 v[100:101], v[118:119], v[128:129], v[100:101] op_sel:[0,0,1] op_sel_hi:[1,0,0]
	v_fmac_f32_e32 v127, v117, v164
	v_fma_f32 v126, v116, v164, -v2
	v_pk_add_f32 v[98:99], v[122:123], v[124:125]
	s_waitcnt vmcnt(13)
	v_mov_b32_e32 v100, v131
	ds_read2_b64 v[2:5], v12 offset0:77 offset1:78
	ds_read2_b64 v[8:11], v12 offset0:79 offset1:80
	;; [unrolled: 1-line block ×3, first 2 shown]
	v_pk_add_f32 v[98:99], v[98:99], v[126:127]
	v_mov_b32_e32 v103, v101
	v_pk_mul_f32 v[100:101], v[120:121], v[100:101] op_sel_hi:[1,0]
	v_pk_add_f32 v[98:99], v[98:99], v[102:103]
	s_waitcnt vmcnt(12)
	v_pk_fma_f32 v[102:103], v[120:121], v[130:131], v[100:101] op_sel:[0,0,1] op_sel_hi:[1,1,0] neg_lo:[0,0,1] neg_hi:[0,0,1]
	v_pk_fma_f32 v[100:101], v[120:121], v[130:131], v[100:101] op_sel:[0,0,1] op_sel_hi:[1,0,0]
	s_waitcnt vmcnt(11)
	v_mov_b32_e32 v100, v133
	v_mov_b32_e32 v103, v101
	s_waitcnt lgkmcnt(2)
	v_pk_mul_f32 v[100:101], v[2:3], v[100:101] op_sel_hi:[1,0]
	v_pk_add_f32 v[98:99], v[98:99], v[102:103]
	s_waitcnt vmcnt(10)
	v_pk_fma_f32 v[102:103], v[2:3], v[132:133], v[100:101] op_sel:[0,0,1] op_sel_hi:[1,1,0] neg_lo:[0,0,1] neg_hi:[0,0,1]
	v_pk_fma_f32 v[2:3], v[2:3], v[132:133], v[100:101] op_sel:[0,0,1] op_sel_hi:[1,0,0]
	v_mov_b32_e32 v103, v3
	v_pk_add_f32 v[2:3], v[98:99], v[102:103]
	s_waitcnt vmcnt(9)
	v_mov_b32_e32 v98, v135
	v_pk_mul_f32 v[98:99], v[4:5], v[98:99] op_sel_hi:[1,0]
	s_waitcnt vmcnt(8)
	v_pk_fma_f32 v[100:101], v[4:5], v[134:135], v[98:99] op_sel:[0,0,1] op_sel_hi:[1,1,0] neg_lo:[0,0,1] neg_hi:[0,0,1]
	v_pk_fma_f32 v[4:5], v[4:5], v[134:135], v[98:99] op_sel:[0,0,1] op_sel_hi:[1,0,0]
	s_waitcnt vmcnt(7)
	v_mov_b32_e32 v4, v137
	v_mov_b32_e32 v101, v5
	s_waitcnt lgkmcnt(1)
	v_pk_mul_f32 v[4:5], v[8:9], v[4:5] op_sel_hi:[1,0]
	s_waitcnt vmcnt(6)
	v_pk_fma_f32 v[98:99], v[8:9], v[136:137], v[4:5] op_sel:[0,0,1] op_sel_hi:[1,1,0] neg_lo:[0,0,1] neg_hi:[0,0,1]
	v_pk_fma_f32 v[4:5], v[8:9], v[136:137], v[4:5] op_sel:[0,0,1] op_sel_hi:[1,0,0]
	s_waitcnt vmcnt(5)
	v_mov_b32_e32 v4, v139
	v_mov_b32_e32 v99, v5
	v_pk_mul_f32 v[4:5], v[10:11], v[4:5] op_sel_hi:[1,0]
	s_waitcnt vmcnt(4)
	v_pk_fma_f32 v[8:9], v[10:11], v[138:139], v[4:5] op_sel:[0,0,1] op_sel_hi:[1,1,0] neg_lo:[0,0,1] neg_hi:[0,0,1]
	v_pk_fma_f32 v[4:5], v[10:11], v[138:139], v[4:5] op_sel:[0,0,1] op_sel_hi:[1,0,0]
	v_pk_add_f32 v[2:3], v[2:3], v[100:101]
	s_waitcnt vmcnt(3)
	v_mov_b32_e32 v4, v141
	v_pk_add_f32 v[2:3], v[2:3], v[98:99]
	v_mov_b32_e32 v9, v5
	s_waitcnt lgkmcnt(0)
	v_pk_mul_f32 v[4:5], v[12:13], v[4:5] op_sel_hi:[1,0]
	v_pk_add_f32 v[2:3], v[2:3], v[8:9]
	s_waitcnt vmcnt(2)
	v_pk_fma_f32 v[8:9], v[12:13], v[140:141], v[4:5] op_sel:[0,0,1] op_sel_hi:[1,1,0] neg_lo:[0,0,1] neg_hi:[0,0,1]
	v_pk_fma_f32 v[4:5], v[12:13], v[140:141], v[4:5] op_sel:[0,0,1] op_sel_hi:[1,0,0]
	s_waitcnt vmcnt(1)
	v_mov_b32_e32 v4, v143
	v_mov_b32_e32 v9, v5
	v_pk_mul_f32 v[4:5], v[14:15], v[4:5] op_sel_hi:[1,0]
	v_pk_add_f32 v[2:3], v[2:3], v[8:9]
	s_waitcnt vmcnt(0)
	v_pk_fma_f32 v[8:9], v[14:15], v[142:143], v[4:5] op_sel:[0,0,1] op_sel_hi:[1,1,0] neg_lo:[0,0,1] neg_hi:[0,0,1]
	v_pk_fma_f32 v[4:5], v[14:15], v[142:143], v[4:5] op_sel:[0,0,1] op_sel_hi:[1,0,0]
	v_mov_b32_e32 v9, v5
	v_pk_add_f32 v[2:3], v[2:3], v[8:9]
	v_pk_add_f32 v[2:3], v[6:7], v[2:3] neg_lo:[0,1] neg_hi:[0,1]
	buffer_store_dword v3, off, s[0:3], 0 offset:148
	buffer_store_dword v2, off, s[0:3], 0 offset:144
	s_and_saveexec_b64 s[4:5], vcc
	s_cbranch_execz .LBB104_225
; %bb.224:
	buffer_load_dword v2, off, s[0:3], 0 offset:136
	buffer_load_dword v3, off, s[0:3], 0 offset:140
	v_mov_b32_e32 v4, 0
	buffer_store_dword v4, off, s[0:3], 0 offset:136
	buffer_store_dword v4, off, s[0:3], 0 offset:140
	s_waitcnt vmcnt(2)
	ds_write_b64 v1, v[2:3]
.LBB104_225:
	s_or_b64 exec, exec, s[4:5]
	s_waitcnt lgkmcnt(0)
	; wave barrier
	s_waitcnt lgkmcnt(0)
	buffer_load_dword v3, off, s[0:3], 0 offset:148
	buffer_load_dword v134, off, s[0:3], 0 offset:156
	;; [unrolled: 1-line block ×32, first 2 shown]
	v_mov_b32_e32 v2, 0
	buffer_load_dword v121, off, s[0:3], 0 offset:292
	buffer_load_dword v120, off, s[0:3], 0 offset:288
	;; [unrolled: 1-line block ×13, first 2 shown]
	ds_read_b128 v[4:7], v2 offset:480
	ds_read_b128 v[8:11], v2 offset:496
	;; [unrolled: 1-line block ×8, first 2 shown]
	v_cmp_lt_u32_e32 vcc, 16, v0
	s_waitcnt vmcnt(44) lgkmcnt(7)
	v_mul_f32_e32 v128, v4, v3
	s_waitcnt vmcnt(43)
	v_mul_f32_e32 v135, v6, v134
	s_waitcnt vmcnt(42) lgkmcnt(6)
	v_mul_f32_e32 v136, v8, v138
	s_waitcnt vmcnt(41)
	v_mul_f32_e32 v137, v10, v140
	;; [unrolled: 4-line block ×6, first 2 shown]
	s_waitcnt vmcnt(32) lgkmcnt(1)
	v_mul_f32_e32 v174, v110, v150
	s_waitcnt vmcnt(31)
	v_fmac_f32_e32 v128, v5, v151
	s_waitcnt vmcnt(30)
	v_fmac_f32_e32 v135, v7, v152
	v_add_f32_e32 v128, 0, v128
	s_waitcnt vmcnt(29)
	v_fmac_f32_e32 v136, v9, v153
	v_add_f32_e32 v128, v128, v135
	;; [unrolled: 3-line block ×12, first 2 shown]
	v_add_f32_e32 v135, v128, v174
	buffer_load_dword v137, off, s[0:3], 0 offset:308
	buffer_load_dword v136, off, s[0:3], 0 offset:304
	;; [unrolled: 1-line block ×3, first 2 shown]
	v_mul_f32_e32 v3, v5, v3
	v_fma_f32 v3, v4, v151, -v3
	v_mul_f32_e32 v4, v7, v134
	v_add_f32_e32 v3, 0, v3
	v_fma_f32 v4, v6, v152, -v4
	v_add_f32_e32 v3, v3, v4
	v_mul_f32_e32 v4, v9, v138
	v_fma_f32 v4, v8, v153, -v4
	v_add_f32_e32 v3, v3, v4
	v_mul_f32_e32 v4, v11, v140
	;; [unrolled: 3-line block ×11, first 2 shown]
	v_fma_f32 v4, v110, v163, -v4
	s_waitcnt vmcnt(9)
	v_mov_b32_e32 v102, v127
	v_mul_f32_e32 v139, v112, v164
	v_add_f32_e32 v134, v3, v4
	v_mul_f32_e32 v3, v113, v164
	s_waitcnt lgkmcnt(0)
	v_pk_mul_f32 v[102:103], v[116:117], v[102:103] op_sel_hi:[1,0]
	v_fmac_f32_e32 v139, v113, v165
	v_mul_f32_e32 v141, v114, v166
	v_fma_f32 v138, v112, v165, -v3
	v_mul_f32_e32 v3, v115, v166
	ds_read_b128 v[4:7], v2 offset:608
	ds_read_b128 v[8:11], v2 offset:624
	;; [unrolled: 1-line block ×3, first 2 shown]
	ds_read_b64 v[98:99], v2 offset:656
	s_waitcnt vmcnt(8)
	v_pk_fma_f32 v[104:105], v[116:117], v[126:127], v[102:103] op_sel:[0,0,1] op_sel_hi:[1,1,0] neg_lo:[0,0,1] neg_hi:[0,0,1]
	v_pk_fma_f32 v[102:103], v[116:117], v[126:127], v[102:103] op_sel:[0,0,1] op_sel_hi:[1,0,0]
	v_fmac_f32_e32 v141, v115, v167
	v_fma_f32 v140, v114, v167, -v3
	v_pk_add_f32 v[100:101], v[134:135], v[138:139]
	v_mov_b32_e32 v102, v125
	v_pk_add_f32 v[100:101], v[100:101], v[140:141]
	v_mov_b32_e32 v105, v103
	s_waitcnt lgkmcnt(3)
	v_pk_mul_f32 v[102:103], v[4:5], v[102:103] op_sel_hi:[1,0]
	v_pk_add_f32 v[100:101], v[100:101], v[104:105]
	v_pk_fma_f32 v[104:105], v[4:5], v[124:125], v[102:103] op_sel:[0,0,1] op_sel_hi:[1,1,0] neg_lo:[0,0,1] neg_hi:[0,0,1]
	v_pk_fma_f32 v[4:5], v[4:5], v[124:125], v[102:103] op_sel:[0,0,1] op_sel_hi:[1,0,0]
	v_mov_b32_e32 v105, v5
	v_pk_add_f32 v[4:5], v[100:101], v[104:105]
	v_mov_b32_e32 v100, v123
	v_pk_mul_f32 v[100:101], v[6:7], v[100:101] op_sel_hi:[1,0]
	v_pk_fma_f32 v[102:103], v[6:7], v[122:123], v[100:101] op_sel:[0,0,1] op_sel_hi:[1,1,0] neg_lo:[0,0,1] neg_hi:[0,0,1]
	v_pk_fma_f32 v[6:7], v[6:7], v[122:123], v[100:101] op_sel:[0,0,1] op_sel_hi:[1,0,0]
	v_mov_b32_e32 v6, v121
	v_mov_b32_e32 v103, v7
	s_waitcnt lgkmcnt(2)
	v_pk_mul_f32 v[6:7], v[8:9], v[6:7] op_sel_hi:[1,0]
	v_pk_fma_f32 v[100:101], v[8:9], v[120:121], v[6:7] op_sel:[0,0,1] op_sel_hi:[1,1,0] neg_lo:[0,0,1] neg_hi:[0,0,1]
	v_pk_fma_f32 v[6:7], v[8:9], v[120:121], v[6:7] op_sel:[0,0,1] op_sel_hi:[1,0,0]
	s_waitcnt vmcnt(7)
	v_mov_b32_e32 v6, v129
	v_mov_b32_e32 v101, v7
	v_pk_mul_f32 v[6:7], v[10:11], v[6:7] op_sel_hi:[1,0]
	v_pk_add_f32 v[4:5], v[4:5], v[102:103]
	v_pk_add_f32 v[4:5], v[4:5], v[100:101]
	s_waitcnt vmcnt(0)
	v_pk_fma_f32 v[8:9], v[10:11], v[128:129], v[6:7] op_sel:[0,0,1] op_sel_hi:[1,1,0] neg_lo:[0,0,1] neg_hi:[0,0,1]
	v_pk_fma_f32 v[6:7], v[10:11], v[128:129], v[6:7] op_sel:[0,0,1] op_sel_hi:[1,0,0]
	v_mov_b32_e32 v6, v137
	v_mov_b32_e32 v9, v7
	s_waitcnt lgkmcnt(1)
	v_pk_mul_f32 v[6:7], v[12:13], v[6:7] op_sel_hi:[1,0]
	v_pk_add_f32 v[4:5], v[4:5], v[8:9]
	v_pk_fma_f32 v[8:9], v[12:13], v[136:137], v[6:7] op_sel:[0,0,1] op_sel_hi:[1,1,0] neg_lo:[0,0,1] neg_hi:[0,0,1]
	v_pk_fma_f32 v[6:7], v[12:13], v[136:137], v[6:7] op_sel:[0,0,1] op_sel_hi:[1,0,0]
	v_mov_b32_e32 v6, v133
	v_mov_b32_e32 v9, v7
	v_pk_mul_f32 v[6:7], v[14:15], v[6:7] op_sel_hi:[1,0]
	v_pk_add_f32 v[4:5], v[4:5], v[8:9]
	v_pk_fma_f32 v[8:9], v[14:15], v[132:133], v[6:7] op_sel:[0,0,1] op_sel_hi:[1,1,0] neg_lo:[0,0,1] neg_hi:[0,0,1]
	v_pk_fma_f32 v[6:7], v[14:15], v[132:133], v[6:7] op_sel:[0,0,1] op_sel_hi:[1,0,0]
	v_mov_b32_e32 v6, v131
	v_mov_b32_e32 v9, v7
	s_waitcnt lgkmcnt(0)
	v_pk_mul_f32 v[6:7], v[98:99], v[6:7] op_sel_hi:[1,0]
	v_pk_add_f32 v[4:5], v[4:5], v[8:9]
	v_pk_fma_f32 v[8:9], v[98:99], v[130:131], v[6:7] op_sel:[0,0,1] op_sel_hi:[1,1,0] neg_lo:[0,0,1] neg_hi:[0,0,1]
	v_pk_fma_f32 v[6:7], v[98:99], v[130:131], v[6:7] op_sel:[0,0,1] op_sel_hi:[1,0,0]
	v_mov_b32_e32 v9, v7
	v_pk_add_f32 v[4:5], v[4:5], v[8:9]
	v_pk_add_f32 v[4:5], v[118:119], v[4:5] neg_lo:[0,1] neg_hi:[0,1]
	buffer_store_dword v5, off, s[0:3], 0 offset:140
	buffer_store_dword v4, off, s[0:3], 0 offset:136
	s_and_saveexec_b64 s[4:5], vcc
	s_cbranch_execz .LBB104_227
; %bb.226:
	buffer_load_dword v4, off, s[0:3], 0 offset:128
	buffer_load_dword v5, off, s[0:3], 0 offset:132
	s_waitcnt vmcnt(0)
	ds_write_b64 v1, v[4:5]
	buffer_store_dword v2, off, s[0:3], 0 offset:128
	buffer_store_dword v2, off, s[0:3], 0 offset:132
.LBB104_227:
	s_or_b64 exec, exec, s[4:5]
	s_waitcnt lgkmcnt(0)
	; wave barrier
	s_waitcnt lgkmcnt(0)
	buffer_load_dword v3, off, s[0:3], 0 offset:140
	buffer_load_dword v134, off, s[0:3], 0 offset:148
	;; [unrolled: 1-line block ×34, first 2 shown]
	ds_read2_b64 v[4:7], v2 offset0:59 offset1:60
	ds_read2_b64 v[8:11], v2 offset0:61 offset1:62
	;; [unrolled: 1-line block ×8, first 2 shown]
	buffer_load_dword v121, off, s[0:3], 0 offset:284
	buffer_load_dword v120, off, s[0:3], 0 offset:280
	;; [unrolled: 1-line block ×9, first 2 shown]
	v_cmp_lt_u32_e32 vcc, 15, v0
	s_waitcnt vmcnt(42) lgkmcnt(7)
	v_mul_f32_e32 v126, v4, v3
	s_waitcnt vmcnt(41)
	v_mul_f32_e32 v130, v6, v134
	s_waitcnt vmcnt(40) lgkmcnt(6)
	v_mul_f32_e32 v131, v8, v136
	s_waitcnt vmcnt(39)
	v_mul_f32_e32 v132, v10, v138
	;; [unrolled: 4-line block ×6, first 2 shown]
	s_waitcnt vmcnt(30) lgkmcnt(1)
	v_mul_f32_e32 v172, v110, v150
	v_mul_f32_e32 v3, v5, v3
	s_waitcnt vmcnt(28)
	v_fmac_f32_e32 v126, v5, v152
	s_waitcnt vmcnt(27)
	v_fmac_f32_e32 v130, v7, v153
	v_add_f32_e32 v126, 0, v126
	s_waitcnt vmcnt(26)
	v_fmac_f32_e32 v131, v9, v154
	v_add_f32_e32 v126, v126, v130
	;; [unrolled: 3-line block ×12, first 2 shown]
	v_add_f32_e32 v135, v126, v172
	buffer_load_dword v131, off, s[0:3], 0 offset:308
	buffer_load_dword v130, off, s[0:3], 0 offset:304
	;; [unrolled: 1-line block ×7, first 2 shown]
	v_fma_f32 v3, v4, v152, -v3
	v_mul_f32_e32 v4, v7, v134
	v_add_f32_e32 v3, 0, v3
	v_fma_f32 v4, v6, v153, -v4
	v_add_f32_e32 v3, v3, v4
	v_mul_f32_e32 v4, v9, v136
	v_fma_f32 v4, v8, v154, -v4
	v_add_f32_e32 v3, v3, v4
	v_mul_f32_e32 v4, v11, v138
	;; [unrolled: 3-line block ×12, first 2 shown]
	s_waitcnt vmcnt(22)
	v_fma_f32 v4, v112, v165, -v4
	v_add_f32_e32 v134, v3, v4
	ds_read2_b64 v[4:7], v2 offset0:75 offset1:76
	ds_read2_b64 v[8:11], v2 offset0:77 offset1:78
	;; [unrolled: 1-line block ×4, first 2 shown]
	s_waitcnt vmcnt(11)
	v_mov_b32_e32 v102, v125
	s_waitcnt lgkmcnt(3)
	v_pk_mul_f32 v[102:103], v[4:5], v[102:103] op_sel_hi:[1,0]
	s_waitcnt vmcnt(10)
	v_pk_fma_f32 v[104:105], v[4:5], v[124:125], v[102:103] op_sel:[0,0,1] op_sel_hi:[1,1,0] neg_lo:[0,0,1] neg_hi:[0,0,1]
	v_pk_fma_f32 v[4:5], v[4:5], v[124:125], v[102:103] op_sel:[0,0,1] op_sel_hi:[1,0,0]
	v_mov_b32_e32 v4, v123
	v_mul_f32_e32 v173, v112, v151
	v_mov_b32_e32 v105, v5
	v_pk_mul_f32 v[4:5], v[6:7], v[4:5] op_sel_hi:[1,0]
	v_fmac_f32_e32 v173, v113, v165
	v_mul_f32_e32 v137, v114, v166
	v_mul_f32_e32 v3, v115, v166
	v_pk_fma_f32 v[102:103], v[6:7], v[122:123], v[4:5] op_sel:[0,0,1] op_sel_hi:[1,1,0] neg_lo:[0,0,1] neg_hi:[0,0,1]
	v_pk_fma_f32 v[4:5], v[6:7], v[122:123], v[4:5] op_sel:[0,0,1] op_sel_hi:[1,0,0]
	v_add_f32_e32 v135, v135, v173
	v_fmac_f32_e32 v137, v115, v167
	v_mul_f32_e32 v139, v116, v168
	v_fma_f32 v136, v114, v167, -v3
	v_mul_f32_e32 v3, v117, v168
	v_mov_b32_e32 v4, v121
	v_fmac_f32_e32 v139, v117, v169
	v_fma_f32 v138, v116, v169, -v3
	v_pk_add_f32 v[2:3], v[134:135], v[136:137]
	v_mov_b32_e32 v103, v5
	s_waitcnt lgkmcnt(2)
	v_pk_mul_f32 v[4:5], v[8:9], v[4:5] op_sel_hi:[1,0]
	v_pk_add_f32 v[2:3], v[2:3], v[138:139]
	v_pk_fma_f32 v[6:7], v[8:9], v[120:121], v[4:5] op_sel:[0,0,1] op_sel_hi:[1,1,0] neg_lo:[0,0,1] neg_hi:[0,0,1]
	v_pk_fma_f32 v[4:5], v[8:9], v[120:121], v[4:5] op_sel:[0,0,1] op_sel_hi:[1,0,0]
	v_pk_add_f32 v[2:3], v[2:3], v[104:105]
	s_waitcnt vmcnt(9)
	v_mov_b32_e32 v4, v127
	v_pk_add_f32 v[2:3], v[2:3], v[102:103]
	v_mov_b32_e32 v7, v5
	v_pk_mul_f32 v[4:5], v[10:11], v[4:5] op_sel_hi:[1,0]
	v_pk_add_f32 v[2:3], v[2:3], v[6:7]
	s_waitcnt vmcnt(2)
	v_pk_fma_f32 v[6:7], v[10:11], v[126:127], v[4:5] op_sel:[0,0,1] op_sel_hi:[1,1,0] neg_lo:[0,0,1] neg_hi:[0,0,1]
	v_pk_fma_f32 v[4:5], v[10:11], v[126:127], v[4:5] op_sel:[0,0,1] op_sel_hi:[1,0,0]
	v_mov_b32_e32 v4, v133
	v_mov_b32_e32 v7, v5
	s_waitcnt lgkmcnt(1)
	v_pk_mul_f32 v[4:5], v[12:13], v[4:5] op_sel_hi:[1,0]
	v_pk_add_f32 v[2:3], v[2:3], v[6:7]
	v_pk_fma_f32 v[6:7], v[12:13], v[132:133], v[4:5] op_sel:[0,0,1] op_sel_hi:[1,1,0] neg_lo:[0,0,1] neg_hi:[0,0,1]
	v_pk_fma_f32 v[4:5], v[12:13], v[132:133], v[4:5] op_sel:[0,0,1] op_sel_hi:[1,0,0]
	v_mov_b32_e32 v4, v131
	v_mov_b32_e32 v7, v5
	v_pk_mul_f32 v[4:5], v[14:15], v[4:5] op_sel_hi:[1,0]
	v_pk_add_f32 v[2:3], v[2:3], v[6:7]
	v_pk_fma_f32 v[6:7], v[14:15], v[130:131], v[4:5] op_sel:[0,0,1] op_sel_hi:[1,1,0] neg_lo:[0,0,1] neg_hi:[0,0,1]
	v_pk_fma_f32 v[4:5], v[14:15], v[130:131], v[4:5] op_sel:[0,0,1] op_sel_hi:[1,0,0]
	v_mov_b32_e32 v4, v129
	v_mov_b32_e32 v7, v5
	s_waitcnt lgkmcnt(0)
	v_pk_mul_f32 v[4:5], v[98:99], v[4:5] op_sel_hi:[1,0]
	v_pk_add_f32 v[2:3], v[2:3], v[6:7]
	v_pk_fma_f32 v[6:7], v[98:99], v[128:129], v[4:5] op_sel:[0,0,1] op_sel_hi:[1,1,0] neg_lo:[0,0,1] neg_hi:[0,0,1]
	v_pk_fma_f32 v[4:5], v[98:99], v[128:129], v[4:5] op_sel:[0,0,1] op_sel_hi:[1,0,0]
	s_waitcnt vmcnt(1)
	v_mov_b32_e32 v4, v141
	v_mov_b32_e32 v7, v5
	v_pk_mul_f32 v[4:5], v[100:101], v[4:5] op_sel_hi:[1,0]
	v_pk_add_f32 v[2:3], v[2:3], v[6:7]
	s_waitcnt vmcnt(0)
	v_pk_fma_f32 v[6:7], v[100:101], v[140:141], v[4:5] op_sel:[0,0,1] op_sel_hi:[1,1,0] neg_lo:[0,0,1] neg_hi:[0,0,1]
	v_pk_fma_f32 v[4:5], v[100:101], v[140:141], v[4:5] op_sel:[0,0,1] op_sel_hi:[1,0,0]
	v_mov_b32_e32 v7, v5
	v_pk_add_f32 v[2:3], v[2:3], v[6:7]
	v_pk_add_f32 v[2:3], v[118:119], v[2:3] neg_lo:[0,1] neg_hi:[0,1]
	buffer_store_dword v3, off, s[0:3], 0 offset:132
	buffer_store_dword v2, off, s[0:3], 0 offset:128
	s_and_saveexec_b64 s[4:5], vcc
	s_cbranch_execz .LBB104_229
; %bb.228:
	buffer_load_dword v2, off, s[0:3], 0 offset:120
	buffer_load_dword v3, off, s[0:3], 0 offset:124
	v_mov_b32_e32 v4, 0
	buffer_store_dword v4, off, s[0:3], 0 offset:120
	buffer_store_dword v4, off, s[0:3], 0 offset:124
	s_waitcnt vmcnt(2)
	ds_write_b64 v1, v[2:3]
.LBB104_229:
	s_or_b64 exec, exec, s[4:5]
	s_waitcnt lgkmcnt(0)
	; wave barrier
	s_waitcnt lgkmcnt(0)
	buffer_load_dword v5, off, s[0:3], 0 offset:132
	buffer_load_dword v140, off, s[0:3], 0 offset:140
	;; [unrolled: 1-line block ×36, first 2 shown]
	v_mov_b32_e32 v4, 0
	buffer_load_dword v15, off, s[0:3], 0 offset:276
	buffer_load_dword v14, off, s[0:3], 0 offset:272
	;; [unrolled: 1-line block ×5, first 2 shown]
	ds_read_b128 v[6:9], v4 offset:464
	ds_read_b128 v[10:13], v4 offset:480
	;; [unrolled: 1-line block ×8, first 2 shown]
	v_cmp_lt_u32_e32 vcc, 14, v0
	s_waitcnt vmcnt(40) lgkmcnt(7)
	v_mul_f32_e32 v122, v6, v5
	s_waitcnt vmcnt(39)
	v_mul_f32_e32 v123, v8, v140
	s_waitcnt vmcnt(38) lgkmcnt(6)
	v_mul_f32_e32 v124, v10, v142
	s_waitcnt vmcnt(37)
	v_mul_f32_e32 v125, v12, v144
	s_waitcnt vmcnt(36) lgkmcnt(5)
	v_mul_f32_e32 v126, v98, v150
	s_waitcnt vmcnt(35)
	v_mul_f32_e32 v127, v100, v151
	s_waitcnt vmcnt(34) lgkmcnt(4)
	v_mul_f32_e32 v128, v102, v152
	s_waitcnt vmcnt(33)
	v_mul_f32_e32 v129, v104, v153
	s_waitcnt vmcnt(32) lgkmcnt(3)
	v_mul_f32_e32 v132, v106, v154
	s_waitcnt vmcnt(31)
	v_mul_f32_e32 v134, v108, v155
	s_waitcnt vmcnt(30) lgkmcnt(2)
	v_mul_f32_e32 v135, v110, v156
	s_waitcnt vmcnt(29)
	v_mul_f32_e32 v136, v112, v157
	s_waitcnt vmcnt(28) lgkmcnt(1)
	v_mul_f32_e32 v137, v114, v158
	s_waitcnt vmcnt(27)
	v_mul_f32_e32 v138, v116, v159
	s_waitcnt vmcnt(26) lgkmcnt(0)
	v_mul_f32_e32 v141, v118, v160
	s_waitcnt vmcnt(25)
	v_fmac_f32_e32 v122, v7, v161
	s_waitcnt vmcnt(24)
	v_fmac_f32_e32 v123, v9, v162
	v_add_f32_e32 v122, 0, v122
	s_waitcnt vmcnt(23)
	v_fmac_f32_e32 v124, v11, v163
	v_add_f32_e32 v122, v122, v123
	;; [unrolled: 3-line block ×13, first 2 shown]
	v_add_f32_e32 v126, v122, v138
	buffer_load_dword v135, off, s[0:3], 0 offset:308
	buffer_load_dword v134, off, s[0:3], 0 offset:304
	;; [unrolled: 1-line block ×7, first 2 shown]
	s_waitcnt vmcnt(18)
	v_fmac_f32_e32 v141, v119, v175
	ds_read_b128 v[122:125], v4 offset:592
	v_add_f32_e32 v141, v126, v141
	ds_read_b128 v[126:129], v4 offset:608
	buffer_load_dword v147, off, s[0:3], 0 offset:324
	buffer_load_dword v146, off, s[0:3], 0 offset:320
	;; [unrolled: 1-line block ×4, first 2 shown]
	v_mul_f32_e32 v5, v7, v5
	v_fma_f32 v5, v6, v161, -v5
	v_mul_f32_e32 v6, v9, v140
	v_add_f32_e32 v5, 0, v5
	v_fma_f32 v6, v8, v162, -v6
	v_add_f32_e32 v5, v5, v6
	v_mul_f32_e32 v6, v11, v142
	v_fma_f32 v6, v10, v163, -v6
	v_add_f32_e32 v5, v5, v6
	v_mul_f32_e32 v6, v13, v144
	;; [unrolled: 3-line block ×13, first 2 shown]
	v_fma_f32 v6, v118, v175, -v6
	s_waitcnt vmcnt(13)
	v_mov_b32_e32 v102, v131
	v_mul_f32_e32 v143, v120, v176
	v_add_f32_e32 v140, v5, v6
	v_mul_f32_e32 v5, v121, v176
	s_waitcnt lgkmcnt(1)
	v_pk_mul_f32 v[102:103], v[124:125], v[102:103] op_sel_hi:[1,0]
	v_fmac_f32_e32 v143, v121, v177
	v_mul_f32_e32 v145, v122, v178
	v_fma_f32 v142, v120, v177, -v5
	v_mul_f32_e32 v5, v123, v178
	s_waitcnt vmcnt(12)
	v_pk_fma_f32 v[104:105], v[124:125], v[130:131], v[102:103] op_sel:[0,0,1] op_sel_hi:[1,1,0] neg_lo:[0,0,1] neg_hi:[0,0,1]
	v_pk_fma_f32 v[102:103], v[124:125], v[130:131], v[102:103] op_sel:[0,0,1] op_sel_hi:[1,0,0]
	v_fmac_f32_e32 v145, v123, v179
	v_fma_f32 v144, v122, v179, -v5
	v_pk_add_f32 v[100:101], v[140:141], v[142:143]
	v_mov_b32_e32 v102, v15
	v_pk_add_f32 v[100:101], v[100:101], v[144:145]
	v_mov_b32_e32 v105, v103
	s_waitcnt lgkmcnt(0)
	v_pk_mul_f32 v[102:103], v[126:127], v[102:103] op_sel_hi:[1,0]
	v_pk_add_f32 v[100:101], v[100:101], v[104:105]
	v_pk_fma_f32 v[104:105], v[126:127], v[14:15], v[102:103] op_sel:[0,0,1] op_sel_hi:[1,1,0] neg_lo:[0,0,1] neg_hi:[0,0,1]
	v_pk_fma_f32 v[14:15], v[126:127], v[14:15], v[102:103] op_sel:[0,0,1] op_sel_hi:[1,0,0]
	v_mov_b32_e32 v105, v15
	v_pk_add_f32 v[14:15], v[100:101], v[104:105]
	s_waitcnt vmcnt(11)
	v_mov_b32_e32 v100, v133
	ds_read_b128 v[6:9], v4 offset:624
	ds_read_b128 v[10:13], v4 offset:640
	ds_read_b64 v[98:99], v4 offset:656
	v_pk_mul_f32 v[100:101], v[128:129], v[100:101] op_sel_hi:[1,0]
	s_waitcnt vmcnt(4)
	v_pk_fma_f32 v[102:103], v[128:129], v[132:133], v[100:101] op_sel:[0,0,1] op_sel_hi:[1,1,0] neg_lo:[0,0,1] neg_hi:[0,0,1]
	v_pk_fma_f32 v[100:101], v[128:129], v[132:133], v[100:101] op_sel:[0,0,1] op_sel_hi:[1,0,0]
	v_mov_b32_e32 v100, v139
	v_mov_b32_e32 v103, v101
	s_waitcnt lgkmcnt(2)
	v_pk_mul_f32 v[100:101], v[6:7], v[100:101] op_sel_hi:[1,0]
	v_pk_add_f32 v[14:15], v[14:15], v[102:103]
	v_pk_fma_f32 v[102:103], v[6:7], v[138:139], v[100:101] op_sel:[0,0,1] op_sel_hi:[1,1,0] neg_lo:[0,0,1] neg_hi:[0,0,1]
	v_pk_fma_f32 v[6:7], v[6:7], v[138:139], v[100:101] op_sel:[0,0,1] op_sel_hi:[1,0,0]
	v_mov_b32_e32 v103, v7
	v_pk_add_f32 v[6:7], v[14:15], v[102:103]
	v_mov_b32_e32 v14, v137
	v_pk_mul_f32 v[14:15], v[8:9], v[14:15] op_sel_hi:[1,0]
	v_pk_fma_f32 v[100:101], v[8:9], v[136:137], v[14:15] op_sel:[0,0,1] op_sel_hi:[1,1,0] neg_lo:[0,0,1] neg_hi:[0,0,1]
	v_pk_fma_f32 v[8:9], v[8:9], v[136:137], v[14:15] op_sel:[0,0,1] op_sel_hi:[1,0,0]
	v_mov_b32_e32 v8, v135
	v_mov_b32_e32 v101, v9
	s_waitcnt lgkmcnt(1)
	v_pk_mul_f32 v[8:9], v[10:11], v[8:9] op_sel_hi:[1,0]
	v_pk_fma_f32 v[14:15], v[10:11], v[134:135], v[8:9] op_sel:[0,0,1] op_sel_hi:[1,1,0] neg_lo:[0,0,1] neg_hi:[0,0,1]
	v_pk_fma_f32 v[8:9], v[10:11], v[134:135], v[8:9] op_sel:[0,0,1] op_sel_hi:[1,0,0]
	s_waitcnt vmcnt(1)
	v_mov_b32_e32 v8, v149
	v_mov_b32_e32 v15, v9
	v_pk_mul_f32 v[8:9], v[12:13], v[8:9] op_sel_hi:[1,0]
	s_waitcnt vmcnt(0)
	v_pk_fma_f32 v[10:11], v[12:13], v[148:149], v[8:9] op_sel:[0,0,1] op_sel_hi:[1,1,0] neg_lo:[0,0,1] neg_hi:[0,0,1]
	v_pk_fma_f32 v[8:9], v[12:13], v[148:149], v[8:9] op_sel:[0,0,1] op_sel_hi:[1,0,0]
	v_pk_add_f32 v[6:7], v[6:7], v[100:101]
	v_mov_b32_e32 v8, v147
	v_pk_add_f32 v[6:7], v[6:7], v[14:15]
	v_mov_b32_e32 v11, v9
	s_waitcnt lgkmcnt(0)
	v_pk_mul_f32 v[8:9], v[98:99], v[8:9] op_sel_hi:[1,0]
	v_pk_add_f32 v[6:7], v[6:7], v[10:11]
	v_pk_fma_f32 v[10:11], v[98:99], v[146:147], v[8:9] op_sel:[0,0,1] op_sel_hi:[1,1,0] neg_lo:[0,0,1] neg_hi:[0,0,1]
	v_pk_fma_f32 v[8:9], v[98:99], v[146:147], v[8:9] op_sel:[0,0,1] op_sel_hi:[1,0,0]
	v_mov_b32_e32 v11, v9
	v_pk_add_f32 v[6:7], v[6:7], v[10:11]
	v_pk_add_f32 v[2:3], v[2:3], v[6:7] neg_lo:[0,1] neg_hi:[0,1]
	buffer_store_dword v3, off, s[0:3], 0 offset:124
	buffer_store_dword v2, off, s[0:3], 0 offset:120
	s_and_saveexec_b64 s[4:5], vcc
	s_cbranch_execz .LBB104_231
; %bb.230:
	buffer_load_dword v2, off, s[0:3], 0 offset:112
	buffer_load_dword v3, off, s[0:3], 0 offset:116
	s_waitcnt vmcnt(0)
	ds_write_b64 v1, v[2:3]
	buffer_store_dword v4, off, s[0:3], 0 offset:112
	buffer_store_dword v4, off, s[0:3], 0 offset:116
.LBB104_231:
	s_or_b64 exec, exec, s[4:5]
	s_waitcnt lgkmcnt(0)
	; wave barrier
	s_waitcnt lgkmcnt(0)
	buffer_load_dword v2, off, s[0:3], 0 offset:124
	buffer_load_dword v3, off, s[0:3], 0 offset:132
	buffer_load_dword v5, off, s[0:3], 0 offset:140
	buffer_load_dword v140, off, s[0:3], 0 offset:148
	buffer_load_dword v142, off, s[0:3], 0 offset:156
	buffer_load_dword v144, off, s[0:3], 0 offset:164
	buffer_load_dword v152, off, s[0:3], 0 offset:172
	buffer_load_dword v153, off, s[0:3], 0 offset:180
	buffer_load_dword v154, off, s[0:3], 0 offset:188
	buffer_load_dword v155, off, s[0:3], 0 offset:196
	buffer_load_dword v156, off, s[0:3], 0 offset:204
	buffer_load_dword v157, off, s[0:3], 0 offset:212
	buffer_load_dword v158, off, s[0:3], 0 offset:220
	buffer_load_dword v159, off, s[0:3], 0 offset:228
	buffer_load_dword v160, off, s[0:3], 0 offset:236
	buffer_load_dword v161, off, s[0:3], 0 offset:120
	buffer_load_dword v162, off, s[0:3], 0 offset:128
	buffer_load_dword v163, off, s[0:3], 0 offset:136
	buffer_load_dword v164, off, s[0:3], 0 offset:144
	buffer_load_dword v165, off, s[0:3], 0 offset:152
	buffer_load_dword v166, off, s[0:3], 0 offset:160
	buffer_load_dword v167, off, s[0:3], 0 offset:168
	buffer_load_dword v168, off, s[0:3], 0 offset:176
	buffer_load_dword v169, off, s[0:3], 0 offset:184
	buffer_load_dword v170, off, s[0:3], 0 offset:192
	buffer_load_dword v171, off, s[0:3], 0 offset:200
	buffer_load_dword v172, off, s[0:3], 0 offset:208
	buffer_load_dword v173, off, s[0:3], 0 offset:216
	buffer_load_dword v174, off, s[0:3], 0 offset:224
	buffer_load_dword v175, off, s[0:3], 0 offset:232
	buffer_load_dword v176, off, s[0:3], 0 offset:244
	buffer_load_dword v177, off, s[0:3], 0 offset:240
	buffer_load_dword v178, off, s[0:3], 0 offset:252
	buffer_load_dword v179, off, s[0:3], 0 offset:248
	buffer_load_dword v180, off, s[0:3], 0 offset:260
	buffer_load_dword v181, off, s[0:3], 0 offset:256
	buffer_load_dword v14, off, s[0:3], 0 offset:112
	buffer_load_dword v15, off, s[0:3], 0 offset:116
	ds_read2_b64 v[6:9], v4 offset0:57 offset1:58
	ds_read2_b64 v[10:13], v4 offset0:59 offset1:60
	;; [unrolled: 1-line block ×8, first 2 shown]
	buffer_load_dword v131, off, s[0:3], 0 offset:268
	buffer_load_dword v130, off, s[0:3], 0 offset:264
	;; [unrolled: 1-line block ×4, first 2 shown]
	v_cmp_lt_u32_e32 vcc, 13, v0
	s_waitcnt vmcnt(41) lgkmcnt(7)
	v_mul_f32_e32 v122, v6, v2
	s_waitcnt vmcnt(40)
	v_mul_f32_e32 v123, v8, v3
	s_waitcnt vmcnt(39) lgkmcnt(6)
	v_mul_f32_e32 v124, v10, v5
	s_waitcnt vmcnt(38)
	v_mul_f32_e32 v125, v12, v140
	;; [unrolled: 4-line block ×7, first 2 shown]
	s_waitcnt vmcnt(27) lgkmcnt(0)
	v_mul_f32_e32 v141, v118, v160
	s_waitcnt vmcnt(26)
	v_fmac_f32_e32 v122, v7, v161
	s_waitcnt vmcnt(25)
	v_fmac_f32_e32 v123, v9, v162
	v_add_f32_e32 v122, 0, v122
	s_waitcnt vmcnt(24)
	v_fmac_f32_e32 v124, v11, v163
	v_add_f32_e32 v122, v122, v123
	;; [unrolled: 3-line block ×13, first 2 shown]
	v_add_f32_e32 v122, v122, v139
	buffer_load_dword v135, off, s[0:3], 0 offset:292
	buffer_load_dword v134, off, s[0:3], 0 offset:288
	;; [unrolled: 1-line block ×6, first 2 shown]
	s_waitcnt vmcnt(18)
	v_fmac_f32_e32 v141, v119, v175
	s_waitcnt vmcnt(17)
	v_mul_f32_e32 v127, v120, v176
	v_add_f32_e32 v126, v122, v141
	s_waitcnt vmcnt(16)
	v_fmac_f32_e32 v127, v121, v177
	ds_read2_b64 v[122:125], v4 offset0:73 offset1:74
	v_add_f32_e32 v141, v126, v127
	ds_read2_b64 v[126:129], v4 offset0:75 offset1:76
	buffer_load_dword v147, off, s[0:3], 0 offset:324
	buffer_load_dword v146, off, s[0:3], 0 offset:320
	;; [unrolled: 1-line block ×6, first 2 shown]
	v_mul_f32_e32 v2, v7, v2
	v_fma_f32 v2, v6, v161, -v2
	v_mul_f32_e32 v3, v9, v3
	v_add_f32_e32 v2, 0, v2
	v_fma_f32 v3, v8, v162, -v3
	v_add_f32_e32 v2, v2, v3
	v_mul_f32_e32 v3, v11, v5
	v_fma_f32 v3, v10, v163, -v3
	v_add_f32_e32 v2, v2, v3
	v_mul_f32_e32 v3, v13, v140
	;; [unrolled: 3-line block ×14, first 2 shown]
	v_fma_f32 v3, v120, v177, -v3
	s_waitcnt vmcnt(15)
	v_mov_b32_e32 v100, v131
	s_waitcnt lgkmcnt(1)
	v_mul_f32_e32 v143, v122, v178
	v_add_f32_e32 v140, v2, v3
	v_mul_f32_e32 v2, v123, v178
	s_waitcnt lgkmcnt(0)
	v_pk_mul_f32 v[100:101], v[126:127], v[100:101] op_sel_hi:[1,0]
	v_fmac_f32_e32 v143, v123, v179
	v_mul_f32_e32 v145, v124, v180
	v_fma_f32 v142, v122, v179, -v2
	v_mul_f32_e32 v2, v125, v180
	s_waitcnt vmcnt(14)
	v_pk_fma_f32 v[102:103], v[126:127], v[130:131], v[100:101] op_sel:[0,0,1] op_sel_hi:[1,1,0] neg_lo:[0,0,1] neg_hi:[0,0,1]
	v_pk_fma_f32 v[100:101], v[126:127], v[130:131], v[100:101] op_sel:[0,0,1] op_sel_hi:[1,0,0]
	v_fmac_f32_e32 v145, v125, v181
	v_fma_f32 v144, v124, v181, -v2
	v_pk_add_f32 v[98:99], v[140:141], v[142:143]
	ds_read2_b64 v[6:9], v4 offset0:77 offset1:78
	ds_read2_b64 v[10:13], v4 offset0:79 offset1:80
	;; [unrolled: 1-line block ×3, first 2 shown]
	v_pk_add_f32 v[98:99], v[98:99], v[144:145]
	v_mov_b32_e32 v103, v101
	v_pk_add_f32 v[98:99], v[98:99], v[102:103]
	s_waitcnt vmcnt(7)
	v_mov_b32_e32 v100, v139
	v_pk_mul_f32 v[100:101], v[128:129], v[100:101] op_sel_hi:[1,0]
	s_waitcnt vmcnt(6)
	v_pk_fma_f32 v[102:103], v[128:129], v[138:139], v[100:101] op_sel:[0,0,1] op_sel_hi:[1,1,0] neg_lo:[0,0,1] neg_hi:[0,0,1]
	v_pk_fma_f32 v[100:101], v[128:129], v[138:139], v[100:101] op_sel:[0,0,1] op_sel_hi:[1,0,0]
	v_mov_b32_e32 v100, v137
	v_mov_b32_e32 v103, v101
	s_waitcnt lgkmcnt(2)
	v_pk_mul_f32 v[100:101], v[6:7], v[100:101] op_sel_hi:[1,0]
	v_pk_add_f32 v[98:99], v[98:99], v[102:103]
	v_pk_fma_f32 v[102:103], v[6:7], v[136:137], v[100:101] op_sel:[0,0,1] op_sel_hi:[1,1,0] neg_lo:[0,0,1] neg_hi:[0,0,1]
	v_pk_fma_f32 v[6:7], v[6:7], v[136:137], v[100:101] op_sel:[0,0,1] op_sel_hi:[1,0,0]
	v_mov_b32_e32 v103, v7
	v_pk_add_f32 v[6:7], v[98:99], v[102:103]
	v_mov_b32_e32 v98, v135
	v_pk_mul_f32 v[98:99], v[8:9], v[98:99] op_sel_hi:[1,0]
	v_pk_fma_f32 v[100:101], v[8:9], v[134:135], v[98:99] op_sel:[0,0,1] op_sel_hi:[1,1,0] neg_lo:[0,0,1] neg_hi:[0,0,1]
	v_pk_fma_f32 v[8:9], v[8:9], v[134:135], v[98:99] op_sel:[0,0,1] op_sel_hi:[1,0,0]
	v_mov_b32_e32 v8, v133
	v_mov_b32_e32 v101, v9
	s_waitcnt lgkmcnt(1)
	v_pk_mul_f32 v[8:9], v[10:11], v[8:9] op_sel_hi:[1,0]
	v_pk_fma_f32 v[98:99], v[10:11], v[132:133], v[8:9] op_sel:[0,0,1] op_sel_hi:[1,1,0] neg_lo:[0,0,1] neg_hi:[0,0,1]
	v_pk_fma_f32 v[8:9], v[10:11], v[132:133], v[8:9] op_sel:[0,0,1] op_sel_hi:[1,0,0]
	s_waitcnt vmcnt(1)
	v_mov_b32_e32 v8, v151
	v_mov_b32_e32 v99, v9
	v_pk_mul_f32 v[8:9], v[12:13], v[8:9] op_sel_hi:[1,0]
	s_waitcnt vmcnt(0)
	v_pk_fma_f32 v[10:11], v[12:13], v[150:151], v[8:9] op_sel:[0,0,1] op_sel_hi:[1,1,0] neg_lo:[0,0,1] neg_hi:[0,0,1]
	v_pk_fma_f32 v[8:9], v[12:13], v[150:151], v[8:9] op_sel:[0,0,1] op_sel_hi:[1,0,0]
	v_pk_add_f32 v[6:7], v[6:7], v[100:101]
	v_mov_b32_e32 v8, v149
	v_pk_add_f32 v[6:7], v[6:7], v[98:99]
	v_mov_b32_e32 v11, v9
	s_waitcnt lgkmcnt(0)
	v_pk_mul_f32 v[8:9], v[2:3], v[8:9] op_sel_hi:[1,0]
	v_pk_add_f32 v[6:7], v[6:7], v[10:11]
	v_pk_fma_f32 v[10:11], v[2:3], v[148:149], v[8:9] op_sel:[0,0,1] op_sel_hi:[1,1,0] neg_lo:[0,0,1] neg_hi:[0,0,1]
	v_pk_fma_f32 v[2:3], v[2:3], v[148:149], v[8:9] op_sel:[0,0,1] op_sel_hi:[1,0,0]
	v_mov_b32_e32 v11, v3
	v_pk_add_f32 v[2:3], v[6:7], v[10:11]
	v_mov_b32_e32 v6, v147
	v_pk_mul_f32 v[6:7], v[4:5], v[6:7] op_sel_hi:[1,0]
	v_pk_fma_f32 v[8:9], v[4:5], v[146:147], v[6:7] op_sel:[0,0,1] op_sel_hi:[1,1,0] neg_lo:[0,0,1] neg_hi:[0,0,1]
	v_pk_fma_f32 v[4:5], v[4:5], v[146:147], v[6:7] op_sel:[0,0,1] op_sel_hi:[1,0,0]
	v_mov_b32_e32 v9, v5
	v_pk_add_f32 v[2:3], v[2:3], v[8:9]
	v_pk_add_f32 v[2:3], v[14:15], v[2:3] neg_lo:[0,1] neg_hi:[0,1]
	buffer_store_dword v3, off, s[0:3], 0 offset:116
	buffer_store_dword v2, off, s[0:3], 0 offset:112
	s_and_saveexec_b64 s[4:5], vcc
	s_cbranch_execz .LBB104_233
; %bb.232:
	buffer_load_dword v2, off, s[0:3], 0 offset:104
	buffer_load_dword v3, off, s[0:3], 0 offset:108
	v_mov_b32_e32 v4, 0
	buffer_store_dword v4, off, s[0:3], 0 offset:104
	buffer_store_dword v4, off, s[0:3], 0 offset:108
	s_waitcnt vmcnt(2)
	ds_write_b64 v1, v[2:3]
.LBB104_233:
	s_or_b64 exec, exec, s[4:5]
	s_waitcnt lgkmcnt(0)
	; wave barrier
	s_waitcnt lgkmcnt(0)
	buffer_load_dword v5, off, s[0:3], 0 offset:116
	buffer_load_dword v136, off, s[0:3], 0 offset:124
	;; [unrolled: 1-line block ×40, first 2 shown]
	v_mov_b32_e32 v4, 0
	ds_read_b128 v[6:9], v4 offset:448
	ds_read_b128 v[10:13], v4 offset:464
	;; [unrolled: 1-line block ×8, first 2 shown]
	v_cmp_lt_u32_e32 vcc, 12, v0
	s_waitcnt vmcnt(39) lgkmcnt(7)
	v_mul_f32_e32 v14, v6, v5
	s_waitcnt vmcnt(38)
	v_mul_f32_e32 v15, v8, v136
	s_waitcnt vmcnt(37) lgkmcnt(6)
	v_mul_f32_e32 v122, v10, v138
	s_waitcnt vmcnt(36)
	v_mul_f32_e32 v123, v12, v140
	;; [unrolled: 4-line block ×8, first 2 shown]
	s_waitcnt vmcnt(23)
	v_fmac_f32_e32 v14, v7, v162
	s_waitcnt vmcnt(22)
	v_fmac_f32_e32 v15, v9, v163
	v_add_f32_e32 v14, 0, v14
	s_waitcnt vmcnt(21)
	v_fmac_f32_e32 v122, v11, v164
	v_add_f32_e32 v14, v14, v15
	s_waitcnt vmcnt(20)
	v_fmac_f32_e32 v123, v13, v165
	v_add_f32_e32 v14, v14, v122
	s_waitcnt vmcnt(19)
	v_fmac_f32_e32 v124, v99, v166
	v_add_f32_e32 v14, v14, v123
	s_waitcnt vmcnt(18)
	v_fmac_f32_e32 v125, v101, v167
	v_add_f32_e32 v14, v14, v124
	s_waitcnt vmcnt(17)
	v_fmac_f32_e32 v126, v103, v168
	v_add_f32_e32 v14, v14, v125
	s_waitcnt vmcnt(16)
	v_fmac_f32_e32 v127, v105, v169
	v_add_f32_e32 v14, v14, v126
	s_waitcnt vmcnt(15)
	v_fmac_f32_e32 v128, v107, v170
	v_add_f32_e32 v14, v14, v127
	s_waitcnt vmcnt(14)
	v_fmac_f32_e32 v129, v109, v171
	v_add_f32_e32 v14, v14, v128
	s_waitcnt vmcnt(13)
	v_fmac_f32_e32 v130, v111, v172
	v_add_f32_e32 v14, v14, v129
	s_waitcnt vmcnt(12)
	v_fmac_f32_e32 v131, v113, v173
	v_add_f32_e32 v14, v14, v130
	s_waitcnt vmcnt(11)
	v_fmac_f32_e32 v132, v115, v174
	v_add_f32_e32 v14, v14, v131
	s_waitcnt vmcnt(10)
	v_fmac_f32_e32 v133, v117, v175
	v_add_f32_e32 v14, v14, v132
	s_waitcnt vmcnt(9)
	v_fmac_f32_e32 v134, v119, v176
	v_add_f32_e32 v14, v14, v133
	v_add_f32_e32 v14, v14, v134
	s_waitcnt vmcnt(8)
	v_fmac_f32_e32 v135, v121, v177
	v_add_f32_e32 v137, v14, v135
	ds_read_b128 v[122:125], v4 offset:576
	buffer_load_dword v15, off, s[0:3], 0 offset:268
	buffer_load_dword v131, off, s[0:3], 0 offset:292
	;; [unrolled: 1-line block ×8, first 2 shown]
	ds_read_b128 v[126:129], v4 offset:592
	buffer_load_dword v143, off, s[0:3], 0 offset:324
	buffer_load_dword v142, off, s[0:3], 0 offset:320
	;; [unrolled: 1-line block ×8, first 2 shown]
	v_mul_f32_e32 v5, v7, v5
	v_fma_f32 v5, v6, v162, -v5
	v_mul_f32_e32 v6, v9, v136
	v_add_f32_e32 v5, 0, v5
	v_fma_f32 v6, v8, v163, -v6
	v_add_f32_e32 v5, v5, v6
	v_mul_f32_e32 v6, v11, v138
	v_fma_f32 v6, v10, v164, -v6
	v_add_f32_e32 v5, v5, v6
	v_mul_f32_e32 v6, v13, v140
	;; [unrolled: 3-line block ×14, first 2 shown]
	v_fma_f32 v6, v120, v177, -v6
	s_waitcnt vmcnt(23) lgkmcnt(1)
	v_mul_f32_e32 v139, v122, v178
	v_add_f32_e32 v5, v5, v6
	v_mul_f32_e32 v6, v123, v178
	s_waitcnt vmcnt(22)
	v_fmac_f32_e32 v139, v123, v179
	v_fma_f32 v6, v122, v179, -v6
	v_add_f32_e32 v137, v137, v139
	s_waitcnt vmcnt(21)
	v_mul_f32_e32 v139, v124, v180
	v_add_f32_e32 v136, v5, v6
	v_mul_f32_e32 v5, v125, v180
	s_waitcnt vmcnt(20)
	v_fmac_f32_e32 v139, v125, v181
	s_waitcnt vmcnt(19) lgkmcnt(0)
	v_mul_f32_e32 v141, v126, v182
	v_fma_f32 v138, v124, v181, -v5
	v_mul_f32_e32 v5, v127, v182
	s_waitcnt vmcnt(18)
	v_fmac_f32_e32 v141, v127, v183
	v_fma_f32 v140, v126, v183, -v5
	v_pk_add_f32 v[104:105], v[136:137], v[138:139]
	ds_read_b128 v[6:9], v4 offset:608
	ds_read_b128 v[10:13], v4 offset:624
	;; [unrolled: 1-line block ×3, first 2 shown]
	ds_read_b64 v[102:103], v4 offset:656
	v_pk_add_f32 v[104:105], v[104:105], v[140:141]
	s_waitcnt vmcnt(15)
	v_mov_b32_e32 v106, v15
	v_pk_mul_f32 v[106:107], v[128:129], v[106:107] op_sel_hi:[1,0]
	s_waitcnt vmcnt(8)
	v_pk_fma_f32 v[108:109], v[128:129], v[14:15], v[106:107] op_sel:[0,0,1] op_sel_hi:[1,1,0] neg_lo:[0,0,1] neg_hi:[0,0,1]
	v_pk_fma_f32 v[14:15], v[128:129], v[14:15], v[106:107] op_sel:[0,0,1] op_sel_hi:[1,0,0]
	v_mov_b32_e32 v109, v15
	v_pk_add_f32 v[14:15], v[104:105], v[108:109]
	v_mov_b32_e32 v104, v135
	s_waitcnt lgkmcnt(3)
	v_pk_mul_f32 v[104:105], v[6:7], v[104:105] op_sel_hi:[1,0]
	v_pk_fma_f32 v[106:107], v[6:7], v[134:135], v[104:105] op_sel:[0,0,1] op_sel_hi:[1,1,0] neg_lo:[0,0,1] neg_hi:[0,0,1]
	v_pk_fma_f32 v[6:7], v[6:7], v[134:135], v[104:105] op_sel:[0,0,1] op_sel_hi:[1,0,0]
	v_mov_b32_e32 v107, v7
	v_pk_add_f32 v[6:7], v[14:15], v[106:107]
	v_mov_b32_e32 v14, v133
	v_pk_mul_f32 v[14:15], v[8:9], v[14:15] op_sel_hi:[1,0]
	v_pk_fma_f32 v[104:105], v[8:9], v[132:133], v[14:15] op_sel:[0,0,1] op_sel_hi:[1,1,0] neg_lo:[0,0,1] neg_hi:[0,0,1]
	v_pk_fma_f32 v[8:9], v[8:9], v[132:133], v[14:15] op_sel:[0,0,1] op_sel_hi:[1,0,0]
	v_mov_b32_e32 v8, v131
	v_mov_b32_e32 v105, v9
	s_waitcnt lgkmcnt(2)
	v_pk_mul_f32 v[8:9], v[10:11], v[8:9] op_sel_hi:[1,0]
	v_pk_fma_f32 v[14:15], v[10:11], v[130:131], v[8:9] op_sel:[0,0,1] op_sel_hi:[1,1,0] neg_lo:[0,0,1] neg_hi:[0,0,1]
	v_pk_fma_f32 v[8:9], v[10:11], v[130:131], v[8:9] op_sel:[0,0,1] op_sel_hi:[1,0,0]
	s_waitcnt vmcnt(1)
	v_mov_b32_e32 v8, v149
	v_mov_b32_e32 v15, v9
	v_pk_mul_f32 v[8:9], v[12:13], v[8:9] op_sel_hi:[1,0]
	s_waitcnt vmcnt(0)
	v_pk_fma_f32 v[10:11], v[12:13], v[148:149], v[8:9] op_sel:[0,0,1] op_sel_hi:[1,1,0] neg_lo:[0,0,1] neg_hi:[0,0,1]
	v_pk_fma_f32 v[8:9], v[12:13], v[148:149], v[8:9] op_sel:[0,0,1] op_sel_hi:[1,0,0]
	v_pk_add_f32 v[6:7], v[6:7], v[104:105]
	v_mov_b32_e32 v8, v147
	v_pk_add_f32 v[6:7], v[6:7], v[14:15]
	v_mov_b32_e32 v11, v9
	s_waitcnt lgkmcnt(1)
	v_pk_mul_f32 v[8:9], v[98:99], v[8:9] op_sel_hi:[1,0]
	v_pk_add_f32 v[6:7], v[6:7], v[10:11]
	v_pk_fma_f32 v[10:11], v[98:99], v[146:147], v[8:9] op_sel:[0,0,1] op_sel_hi:[1,1,0] neg_lo:[0,0,1] neg_hi:[0,0,1]
	v_pk_fma_f32 v[8:9], v[98:99], v[146:147], v[8:9] op_sel:[0,0,1] op_sel_hi:[1,0,0]
	v_mov_b32_e32 v8, v145
	v_mov_b32_e32 v11, v9
	v_pk_mul_f32 v[8:9], v[100:101], v[8:9] op_sel_hi:[1,0]
	v_pk_add_f32 v[6:7], v[6:7], v[10:11]
	v_pk_fma_f32 v[10:11], v[100:101], v[144:145], v[8:9] op_sel:[0,0,1] op_sel_hi:[1,1,0] neg_lo:[0,0,1] neg_hi:[0,0,1]
	v_pk_fma_f32 v[8:9], v[100:101], v[144:145], v[8:9] op_sel:[0,0,1] op_sel_hi:[1,0,0]
	v_mov_b32_e32 v8, v143
	v_mov_b32_e32 v11, v9
	s_waitcnt lgkmcnt(0)
	v_pk_mul_f32 v[8:9], v[102:103], v[8:9] op_sel_hi:[1,0]
	v_pk_add_f32 v[6:7], v[6:7], v[10:11]
	v_pk_fma_f32 v[10:11], v[102:103], v[142:143], v[8:9] op_sel:[0,0,1] op_sel_hi:[1,1,0] neg_lo:[0,0,1] neg_hi:[0,0,1]
	v_pk_fma_f32 v[8:9], v[102:103], v[142:143], v[8:9] op_sel:[0,0,1] op_sel_hi:[1,0,0]
	v_mov_b32_e32 v11, v9
	v_pk_add_f32 v[6:7], v[6:7], v[10:11]
	v_pk_add_f32 v[2:3], v[2:3], v[6:7] neg_lo:[0,1] neg_hi:[0,1]
	buffer_store_dword v3, off, s[0:3], 0 offset:108
	buffer_store_dword v2, off, s[0:3], 0 offset:104
	s_and_saveexec_b64 s[4:5], vcc
	s_cbranch_execz .LBB104_235
; %bb.234:
	buffer_load_dword v2, off, s[0:3], 0 offset:96
	buffer_load_dword v3, off, s[0:3], 0 offset:100
	s_waitcnt vmcnt(0)
	ds_write_b64 v1, v[2:3]
	buffer_store_dword v4, off, s[0:3], 0 offset:96
	buffer_store_dword v4, off, s[0:3], 0 offset:100
.LBB104_235:
	s_or_b64 exec, exec, s[4:5]
	s_waitcnt lgkmcnt(0)
	; wave barrier
	s_waitcnt lgkmcnt(0)
	buffer_load_dword v5, off, s[0:3], 0 offset:108
	buffer_load_dword v14, off, s[0:3], 0 offset:116
	;; [unrolled: 1-line block ×42, first 2 shown]
	ds_read2_b64 v[6:9], v4 offset0:55 offset1:56
	ds_read2_b64 v[10:13], v4 offset0:57 offset1:58
	;; [unrolled: 1-line block ×8, first 2 shown]
	v_cmp_lt_u32_e32 vcc, 11, v0
	s_waitcnt vmcnt(41) lgkmcnt(7)
	v_mul_f32_e32 v15, v6, v5
	s_waitcnt vmcnt(40)
	v_mul_f32_e32 v122, v8, v14
	s_waitcnt vmcnt(39) lgkmcnt(6)
	v_mul_f32_e32 v123, v10, v130
	s_waitcnt vmcnt(38)
	v_mul_f32_e32 v124, v12, v138
	;; [unrolled: 4-line block ×7, first 2 shown]
	s_waitcnt vmcnt(27) lgkmcnt(0)
	v_mul_f32_e32 v136, v118, v160
	s_waitcnt vmcnt(26)
	v_fmac_f32_e32 v15, v7, v161
	s_waitcnt vmcnt(25)
	v_fmac_f32_e32 v122, v9, v162
	v_add_f32_e32 v15, 0, v15
	s_waitcnt vmcnt(24)
	v_fmac_f32_e32 v123, v11, v163
	v_add_f32_e32 v15, v15, v122
	s_waitcnt vmcnt(23)
	v_fmac_f32_e32 v124, v13, v164
	v_add_f32_e32 v15, v15, v123
	s_waitcnt vmcnt(22)
	v_fmac_f32_e32 v125, v99, v165
	v_add_f32_e32 v15, v15, v124
	s_waitcnt vmcnt(21)
	v_fmac_f32_e32 v126, v101, v166
	v_add_f32_e32 v15, v15, v125
	s_waitcnt vmcnt(20)
	v_fmac_f32_e32 v127, v103, v167
	v_add_f32_e32 v15, v15, v126
	s_waitcnt vmcnt(19)
	v_fmac_f32_e32 v128, v105, v168
	v_add_f32_e32 v15, v15, v127
	s_waitcnt vmcnt(18)
	v_fmac_f32_e32 v129, v107, v169
	v_add_f32_e32 v15, v15, v128
	s_waitcnt vmcnt(17)
	v_fmac_f32_e32 v131, v109, v170
	v_add_f32_e32 v15, v15, v129
	s_waitcnt vmcnt(16)
	v_fmac_f32_e32 v132, v111, v171
	v_add_f32_e32 v15, v15, v131
	s_waitcnt vmcnt(15)
	v_fmac_f32_e32 v133, v113, v172
	v_add_f32_e32 v15, v15, v132
	s_waitcnt vmcnt(14)
	v_fmac_f32_e32 v134, v115, v173
	v_add_f32_e32 v15, v15, v133
	s_waitcnt vmcnt(13)
	v_fmac_f32_e32 v135, v117, v174
	v_add_f32_e32 v15, v15, v134
	s_waitcnt vmcnt(12)
	v_fmac_f32_e32 v136, v119, v175
	v_add_f32_e32 v15, v15, v135
	s_waitcnt vmcnt(11)
	v_mul_f32_e32 v126, v120, v176
	v_add_f32_e32 v15, v15, v136
	s_waitcnt vmcnt(10)
	v_fmac_f32_e32 v126, v121, v177
	ds_read2_b64 v[122:125], v4 offset0:71 offset1:72
	v_add_f32_e32 v15, v15, v126
	ds_read2_b64 v[126:129], v4 offset0:73 offset1:74
	buffer_load_dword v133, off, s[0:3], 0 offset:268
	buffer_load_dword v135, off, s[0:3], 0 offset:284
	;; [unrolled: 1-line block ×16, first 2 shown]
	v_mul_f32_e32 v5, v7, v5
	v_fma_f32 v5, v6, v161, -v5
	v_mul_f32_e32 v6, v9, v14
	v_add_f32_e32 v5, 0, v5
	v_fma_f32 v6, v8, v162, -v6
	v_add_f32_e32 v5, v5, v6
	v_mul_f32_e32 v6, v11, v130
	v_fma_f32 v6, v10, v163, -v6
	v_add_f32_e32 v5, v5, v6
	v_mul_f32_e32 v6, v13, v138
	;; [unrolled: 3-line block ×14, first 2 shown]
	v_fma_f32 v6, v120, v177, -v6
	s_waitcnt vmcnt(25) lgkmcnt(1)
	v_mul_f32_e32 v131, v122, v178
	v_add_f32_e32 v5, v5, v6
	v_mul_f32_e32 v6, v123, v178
	s_waitcnt vmcnt(24)
	v_fmac_f32_e32 v131, v123, v179
	v_fma_f32 v6, v122, v179, -v6
	v_add_f32_e32 v15, v15, v131
	s_waitcnt vmcnt(23)
	v_mul_f32_e32 v131, v124, v180
	v_add_f32_e32 v5, v5, v6
	v_mul_f32_e32 v6, v125, v180
	s_waitcnt vmcnt(22)
	v_fmac_f32_e32 v131, v125, v181
	v_fma_f32 v6, v124, v181, -v6
	v_add_f32_e32 v15, v15, v131
	s_waitcnt vmcnt(21) lgkmcnt(0)
	v_mul_f32_e32 v131, v126, v182
	v_add_f32_e32 v14, v5, v6
	v_mul_f32_e32 v5, v127, v182
	s_waitcnt vmcnt(20)
	v_fmac_f32_e32 v131, v127, v183
	v_fma_f32 v130, v126, v183, -v5
	s_waitcnt vmcnt(19)
	v_mul_f32_e32 v5, v129, v184
	ds_read2_b64 v[6:9], v4 offset0:75 offset1:76
	ds_read2_b64 v[10:13], v4 offset0:77 offset1:78
	;; [unrolled: 1-line block ×4, first 2 shown]
	s_waitcnt vmcnt(18)
	v_fma_f32 v138, v128, v185, -v5
	v_pk_add_f32 v[4:5], v[14:15], v[130:131]
	v_mul_f32_e32 v139, v128, v184
	v_fmac_f32_e32 v139, v129, v185
	v_pk_add_f32 v[4:5], v[4:5], v[138:139]
	s_waitcnt vmcnt(15)
	v_mov_b32_e32 v14, v133
	s_waitcnt lgkmcnt(3)
	v_pk_mul_f32 v[14:15], v[6:7], v[14:15] op_sel_hi:[1,0]
	s_waitcnt vmcnt(10)
	v_pk_fma_f32 v[106:107], v[6:7], v[132:133], v[14:15] op_sel:[0,0,1] op_sel_hi:[1,1,0] neg_lo:[0,0,1] neg_hi:[0,0,1]
	v_pk_fma_f32 v[6:7], v[6:7], v[132:133], v[14:15] op_sel:[0,0,1] op_sel_hi:[1,0,0]
	v_mov_b32_e32 v6, v137
	v_mov_b32_e32 v107, v7
	v_pk_mul_f32 v[6:7], v[8:9], v[6:7] op_sel_hi:[1,0]
	v_pk_fma_f32 v[14:15], v[8:9], v[136:137], v[6:7] op_sel:[0,0,1] op_sel_hi:[1,1,0] neg_lo:[0,0,1] neg_hi:[0,0,1]
	v_pk_fma_f32 v[6:7], v[8:9], v[136:137], v[6:7] op_sel:[0,0,1] op_sel_hi:[1,0,0]
	v_mov_b32_e32 v6, v135
	v_mov_b32_e32 v15, v7
	s_waitcnt lgkmcnt(2)
	v_pk_mul_f32 v[6:7], v[10:11], v[6:7] op_sel_hi:[1,0]
	v_pk_fma_f32 v[8:9], v[10:11], v[134:135], v[6:7] op_sel:[0,0,1] op_sel_hi:[1,1,0] neg_lo:[0,0,1] neg_hi:[0,0,1]
	v_pk_fma_f32 v[6:7], v[10:11], v[134:135], v[6:7] op_sel:[0,0,1] op_sel_hi:[1,0,0]
	v_pk_add_f32 v[4:5], v[4:5], v[106:107]
	s_waitcnt vmcnt(3)
	v_mov_b32_e32 v6, v147
	v_pk_add_f32 v[4:5], v[4:5], v[14:15]
	v_mov_b32_e32 v9, v7
	v_pk_mul_f32 v[6:7], v[12:13], v[6:7] op_sel_hi:[1,0]
	v_pk_add_f32 v[4:5], v[4:5], v[8:9]
	s_waitcnt vmcnt(2)
	v_pk_fma_f32 v[8:9], v[12:13], v[146:147], v[6:7] op_sel:[0,0,1] op_sel_hi:[1,1,0] neg_lo:[0,0,1] neg_hi:[0,0,1]
	v_pk_fma_f32 v[6:7], v[12:13], v[146:147], v[6:7] op_sel:[0,0,1] op_sel_hi:[1,0,0]
	v_mov_b32_e32 v6, v145
	v_mov_b32_e32 v9, v7
	s_waitcnt lgkmcnt(1)
	v_pk_mul_f32 v[6:7], v[98:99], v[6:7] op_sel_hi:[1,0]
	v_pk_add_f32 v[4:5], v[4:5], v[8:9]
	v_pk_fma_f32 v[8:9], v[98:99], v[144:145], v[6:7] op_sel:[0,0,1] op_sel_hi:[1,1,0] neg_lo:[0,0,1] neg_hi:[0,0,1]
	v_pk_fma_f32 v[6:7], v[98:99], v[144:145], v[6:7] op_sel:[0,0,1] op_sel_hi:[1,0,0]
	v_mov_b32_e32 v6, v143
	v_mov_b32_e32 v9, v7
	v_pk_mul_f32 v[6:7], v[100:101], v[6:7] op_sel_hi:[1,0]
	v_pk_add_f32 v[4:5], v[4:5], v[8:9]
	v_pk_fma_f32 v[8:9], v[100:101], v[142:143], v[6:7] op_sel:[0,0,1] op_sel_hi:[1,1,0] neg_lo:[0,0,1] neg_hi:[0,0,1]
	v_pk_fma_f32 v[6:7], v[100:101], v[142:143], v[6:7] op_sel:[0,0,1] op_sel_hi:[1,0,0]
	v_mov_b32_e32 v6, v141
	v_mov_b32_e32 v9, v7
	s_waitcnt lgkmcnt(0)
	v_pk_mul_f32 v[6:7], v[102:103], v[6:7] op_sel_hi:[1,0]
	v_pk_add_f32 v[4:5], v[4:5], v[8:9]
	v_pk_fma_f32 v[8:9], v[102:103], v[140:141], v[6:7] op_sel:[0,0,1] op_sel_hi:[1,1,0] neg_lo:[0,0,1] neg_hi:[0,0,1]
	v_pk_fma_f32 v[6:7], v[102:103], v[140:141], v[6:7] op_sel:[0,0,1] op_sel_hi:[1,0,0]
	s_waitcnt vmcnt(1)
	v_mov_b32_e32 v6, v149
	v_mov_b32_e32 v9, v7
	v_pk_mul_f32 v[6:7], v[104:105], v[6:7] op_sel_hi:[1,0]
	v_pk_add_f32 v[4:5], v[4:5], v[8:9]
	s_waitcnt vmcnt(0)
	v_pk_fma_f32 v[8:9], v[104:105], v[148:149], v[6:7] op_sel:[0,0,1] op_sel_hi:[1,1,0] neg_lo:[0,0,1] neg_hi:[0,0,1]
	v_pk_fma_f32 v[6:7], v[104:105], v[148:149], v[6:7] op_sel:[0,0,1] op_sel_hi:[1,0,0]
	v_mov_b32_e32 v9, v7
	v_pk_add_f32 v[4:5], v[4:5], v[8:9]
	v_pk_add_f32 v[2:3], v[2:3], v[4:5] neg_lo:[0,1] neg_hi:[0,1]
	buffer_store_dword v3, off, s[0:3], 0 offset:100
	buffer_store_dword v2, off, s[0:3], 0 offset:96
	s_and_saveexec_b64 s[4:5], vcc
	s_cbranch_execz .LBB104_237
; %bb.236:
	buffer_load_dword v2, off, s[0:3], 0 offset:88
	buffer_load_dword v3, off, s[0:3], 0 offset:92
	v_mov_b32_e32 v4, 0
	buffer_store_dword v4, off, s[0:3], 0 offset:88
	buffer_store_dword v4, off, s[0:3], 0 offset:92
	s_waitcnt vmcnt(2)
	ds_write_b64 v1, v[2:3]
.LBB104_237:
	s_or_b64 exec, exec, s[4:5]
	s_waitcnt lgkmcnt(0)
	; wave barrier
	s_waitcnt lgkmcnt(0)
	buffer_load_dword v5, off, s[0:3], 0 offset:100
	buffer_load_dword v14, off, s[0:3], 0 offset:108
	buffer_load_dword v142, off, s[0:3], 0 offset:116
	buffer_load_dword v144, off, s[0:3], 0 offset:124
	buffer_load_dword v158, off, s[0:3], 0 offset:132
	buffer_load_dword v159, off, s[0:3], 0 offset:140
	buffer_load_dword v160, off, s[0:3], 0 offset:148
	buffer_load_dword v161, off, s[0:3], 0 offset:156
	buffer_load_dword v162, off, s[0:3], 0 offset:164
	buffer_load_dword v163, off, s[0:3], 0 offset:172
	buffer_load_dword v164, off, s[0:3], 0 offset:180
	buffer_load_dword v165, off, s[0:3], 0 offset:188
	buffer_load_dword v166, off, s[0:3], 0 offset:196
	buffer_load_dword v167, off, s[0:3], 0 offset:204
	buffer_load_dword v168, off, s[0:3], 0 offset:96
	buffer_load_dword v169, off, s[0:3], 0 offset:104
	buffer_load_dword v170, off, s[0:3], 0 offset:112
	buffer_load_dword v171, off, s[0:3], 0 offset:120
	buffer_load_dword v172, off, s[0:3], 0 offset:128
	buffer_load_dword v173, off, s[0:3], 0 offset:136
	buffer_load_dword v174, off, s[0:3], 0 offset:144
	buffer_load_dword v175, off, s[0:3], 0 offset:152
	buffer_load_dword v176, off, s[0:3], 0 offset:160
	buffer_load_dword v177, off, s[0:3], 0 offset:168
	buffer_load_dword v178, off, s[0:3], 0 offset:176
	buffer_load_dword v179, off, s[0:3], 0 offset:184
	buffer_load_dword v180, off, s[0:3], 0 offset:192
	buffer_load_dword v181, off, s[0:3], 0 offset:200
	buffer_load_dword v182, off, s[0:3], 0 offset:212
	buffer_load_dword v183, off, s[0:3], 0 offset:208
	buffer_load_dword v184, off, s[0:3], 0 offset:220
	buffer_load_dword v185, off, s[0:3], 0 offset:216
	buffer_load_dword v186, off, s[0:3], 0 offset:228
	buffer_load_dword v187, off, s[0:3], 0 offset:224
	buffer_load_dword v188, off, s[0:3], 0 offset:236
	buffer_load_dword v189, off, s[0:3], 0 offset:232
	buffer_load_dword v190, off, s[0:3], 0 offset:244
	buffer_load_dword v191, off, s[0:3], 0 offset:240
	buffer_load_dword v192, off, s[0:3], 0 offset:252
	buffer_load_dword v193, off, s[0:3], 0 offset:248
	buffer_load_dword v194, off, s[0:3], 0 offset:260
	buffer_load_dword v195, off, s[0:3], 0 offset:256
	buffer_load_dword v2, off, s[0:3], 0 offset:88
	buffer_load_dword v3, off, s[0:3], 0 offset:92
	v_mov_b32_e32 v4, 0
	ds_read_b128 v[6:9], v4 offset:432
	ds_read_b128 v[10:13], v4 offset:448
	;; [unrolled: 1-line block ×8, first 2 shown]
	v_cmp_lt_u32_e32 vcc, 10, v0
	s_waitcnt vmcnt(43) lgkmcnt(7)
	v_mul_f32_e32 v15, v6, v5
	s_waitcnt vmcnt(42)
	v_mul_f32_e32 v122, v8, v14
	s_waitcnt vmcnt(41) lgkmcnt(6)
	v_mul_f32_e32 v123, v10, v142
	s_waitcnt vmcnt(40)
	v_mul_f32_e32 v124, v12, v144
	;; [unrolled: 4-line block ×7, first 2 shown]
	s_waitcnt vmcnt(29)
	v_fmac_f32_e32 v15, v7, v168
	s_waitcnt vmcnt(28)
	v_fmac_f32_e32 v122, v9, v169
	v_add_f32_e32 v15, 0, v15
	s_waitcnt vmcnt(27)
	v_fmac_f32_e32 v123, v11, v170
	v_add_f32_e32 v15, v15, v122
	s_waitcnt vmcnt(26)
	v_fmac_f32_e32 v124, v13, v171
	v_add_f32_e32 v15, v15, v123
	s_waitcnt vmcnt(25)
	v_fmac_f32_e32 v125, v99, v172
	v_add_f32_e32 v15, v15, v124
	s_waitcnt vmcnt(24)
	v_fmac_f32_e32 v126, v101, v173
	v_add_f32_e32 v15, v15, v125
	s_waitcnt vmcnt(23)
	v_fmac_f32_e32 v127, v103, v174
	v_add_f32_e32 v15, v15, v126
	s_waitcnt vmcnt(22)
	v_fmac_f32_e32 v128, v105, v175
	v_add_f32_e32 v15, v15, v127
	s_waitcnt vmcnt(21)
	v_fmac_f32_e32 v129, v107, v176
	v_add_f32_e32 v15, v15, v128
	s_waitcnt vmcnt(20)
	v_fmac_f32_e32 v130, v109, v177
	v_add_f32_e32 v15, v15, v129
	s_waitcnt vmcnt(19)
	v_fmac_f32_e32 v131, v111, v178
	v_add_f32_e32 v15, v15, v130
	s_waitcnt vmcnt(18)
	v_fmac_f32_e32 v132, v113, v179
	v_add_f32_e32 v15, v15, v131
	s_waitcnt vmcnt(17)
	v_fmac_f32_e32 v133, v115, v180
	v_add_f32_e32 v15, v15, v132
	v_add_f32_e32 v15, v15, v133
	s_waitcnt vmcnt(16)
	v_fmac_f32_e32 v134, v117, v181
	s_waitcnt vmcnt(15) lgkmcnt(0)
	v_mul_f32_e32 v122, v118, v182
	v_add_f32_e32 v15, v15, v134
	s_waitcnt vmcnt(14)
	v_fmac_f32_e32 v122, v119, v183
	v_add_f32_e32 v15, v15, v122
	ds_read_b128 v[122:125], v4 offset:560
	s_waitcnt vmcnt(13)
	v_mul_f32_e32 v126, v120, v184
	s_waitcnt vmcnt(12)
	v_fmac_f32_e32 v126, v121, v185
	v_add_f32_e32 v15, v15, v126
	ds_read_b128 v[126:129], v4 offset:576
	s_waitcnt vmcnt(11) lgkmcnt(1)
	v_mul_f32_e32 v130, v122, v186
	s_waitcnt vmcnt(10)
	v_fmac_f32_e32 v130, v123, v187
	v_add_f32_e32 v15, v15, v130
	s_waitcnt vmcnt(9)
	v_mul_f32_e32 v130, v124, v188
	s_waitcnt vmcnt(8)
	v_fmac_f32_e32 v130, v125, v189
	v_add_f32_e32 v15, v15, v130
	s_waitcnt vmcnt(7) lgkmcnt(0)
	v_mul_f32_e32 v130, v126, v190
	s_waitcnt vmcnt(6)
	v_fmac_f32_e32 v130, v127, v191
	v_add_f32_e32 v15, v15, v130
	ds_read_b128 v[130:133], v4 offset:592
	buffer_load_dword v139, off, s[0:3], 0 offset:276
	buffer_load_dword v138, off, s[0:3], 0 offset:272
	;; [unrolled: 1-line block ×4, first 2 shown]
	ds_read_b128 v[134:137], v4 offset:608
	buffer_load_dword v147, off, s[0:3], 0 offset:308
	buffer_load_dword v146, off, s[0:3], 0 offset:304
	;; [unrolled: 1-line block ×12, first 2 shown]
	v_mul_f32_e32 v5, v7, v5
	v_fma_f32 v5, v6, v168, -v5
	v_mul_f32_e32 v6, v9, v14
	v_add_f32_e32 v5, 0, v5
	v_fma_f32 v6, v8, v169, -v6
	v_add_f32_e32 v5, v5, v6
	v_mul_f32_e32 v6, v11, v142
	v_fma_f32 v6, v10, v170, -v6
	v_add_f32_e32 v5, v5, v6
	v_mul_f32_e32 v6, v13, v144
	;; [unrolled: 3-line block ×17, first 2 shown]
	v_fma_f32 v6, v126, v191, -v6
	s_waitcnt vmcnt(21)
	v_mul_f32_e32 v143, v128, v192
	v_add_f32_e32 v14, v5, v6
	v_mul_f32_e32 v5, v129, v192
	s_waitcnt vmcnt(20)
	v_fmac_f32_e32 v143, v129, v193
	s_waitcnt vmcnt(19) lgkmcnt(1)
	v_mul_f32_e32 v145, v130, v194
	v_fma_f32 v142, v128, v193, -v5
	v_mul_f32_e32 v5, v131, v194
	s_waitcnt vmcnt(18)
	v_fmac_f32_e32 v145, v131, v195
	v_fma_f32 v144, v130, v195, -v5
	v_pk_add_f32 v[14:15], v[14:15], v[142:143]
	v_pk_add_f32 v[14:15], v[14:15], v[144:145]
	ds_read_b128 v[6:9], v4 offset:624
	ds_read_b128 v[10:13], v4 offset:640
	ds_read_b64 v[98:99], v4 offset:656
	s_waitcnt vmcnt(13)
	v_mov_b32_e32 v100, v141
	v_pk_mul_f32 v[100:101], v[132:133], v[100:101] op_sel_hi:[1,0]
	s_waitcnt vmcnt(12)
	v_pk_fma_f32 v[102:103], v[132:133], v[140:141], v[100:101] op_sel:[0,0,1] op_sel_hi:[1,1,0] neg_lo:[0,0,1] neg_hi:[0,0,1]
	v_pk_fma_f32 v[100:101], v[132:133], v[140:141], v[100:101] op_sel:[0,0,1] op_sel_hi:[1,0,0]
	v_mov_b32_e32 v100, v139
	v_mov_b32_e32 v103, v101
	s_waitcnt lgkmcnt(3)
	v_pk_mul_f32 v[100:101], v[134:135], v[100:101] op_sel_hi:[1,0]
	v_pk_add_f32 v[14:15], v[14:15], v[102:103]
	v_pk_fma_f32 v[102:103], v[134:135], v[138:139], v[100:101] op_sel:[0,0,1] op_sel_hi:[1,1,0] neg_lo:[0,0,1] neg_hi:[0,0,1]
	v_pk_fma_f32 v[100:101], v[134:135], v[138:139], v[100:101] op_sel:[0,0,1] op_sel_hi:[1,0,0]
	s_waitcnt vmcnt(5)
	v_mov_b32_e32 v100, v153
	v_mov_b32_e32 v103, v101
	v_pk_mul_f32 v[100:101], v[136:137], v[100:101] op_sel_hi:[1,0]
	v_pk_add_f32 v[14:15], v[14:15], v[102:103]
	s_waitcnt vmcnt(4)
	v_pk_fma_f32 v[102:103], v[136:137], v[152:153], v[100:101] op_sel:[0,0,1] op_sel_hi:[1,1,0] neg_lo:[0,0,1] neg_hi:[0,0,1]
	v_pk_fma_f32 v[100:101], v[136:137], v[152:153], v[100:101] op_sel:[0,0,1] op_sel_hi:[1,0,0]
	v_mov_b32_e32 v100, v151
	v_mov_b32_e32 v103, v101
	s_waitcnt lgkmcnt(2)
	v_pk_mul_f32 v[100:101], v[6:7], v[100:101] op_sel_hi:[1,0]
	v_pk_add_f32 v[14:15], v[14:15], v[102:103]
	v_pk_fma_f32 v[102:103], v[6:7], v[150:151], v[100:101] op_sel:[0,0,1] op_sel_hi:[1,1,0] neg_lo:[0,0,1] neg_hi:[0,0,1]
	v_pk_fma_f32 v[6:7], v[6:7], v[150:151], v[100:101] op_sel:[0,0,1] op_sel_hi:[1,0,0]
	v_mov_b32_e32 v103, v7
	v_pk_add_f32 v[6:7], v[14:15], v[102:103]
	v_mov_b32_e32 v14, v149
	v_pk_mul_f32 v[14:15], v[8:9], v[14:15] op_sel_hi:[1,0]
	v_pk_fma_f32 v[100:101], v[8:9], v[148:149], v[14:15] op_sel:[0,0,1] op_sel_hi:[1,1,0] neg_lo:[0,0,1] neg_hi:[0,0,1]
	v_pk_fma_f32 v[8:9], v[8:9], v[148:149], v[14:15] op_sel:[0,0,1] op_sel_hi:[1,0,0]
	v_mov_b32_e32 v8, v147
	v_mov_b32_e32 v101, v9
	s_waitcnt lgkmcnt(1)
	v_pk_mul_f32 v[8:9], v[10:11], v[8:9] op_sel_hi:[1,0]
	v_pk_fma_f32 v[14:15], v[10:11], v[146:147], v[8:9] op_sel:[0,0,1] op_sel_hi:[1,1,0] neg_lo:[0,0,1] neg_hi:[0,0,1]
	v_pk_fma_f32 v[8:9], v[10:11], v[146:147], v[8:9] op_sel:[0,0,1] op_sel_hi:[1,0,0]
	s_waitcnt vmcnt(1)
	v_mov_b32_e32 v8, v157
	v_mov_b32_e32 v15, v9
	v_pk_mul_f32 v[8:9], v[12:13], v[8:9] op_sel_hi:[1,0]
	s_waitcnt vmcnt(0)
	v_pk_fma_f32 v[10:11], v[12:13], v[156:157], v[8:9] op_sel:[0,0,1] op_sel_hi:[1,1,0] neg_lo:[0,0,1] neg_hi:[0,0,1]
	v_pk_fma_f32 v[8:9], v[12:13], v[156:157], v[8:9] op_sel:[0,0,1] op_sel_hi:[1,0,0]
	v_pk_add_f32 v[6:7], v[6:7], v[100:101]
	v_mov_b32_e32 v8, v155
	v_pk_add_f32 v[6:7], v[6:7], v[14:15]
	v_mov_b32_e32 v11, v9
	s_waitcnt lgkmcnt(0)
	v_pk_mul_f32 v[8:9], v[98:99], v[8:9] op_sel_hi:[1,0]
	v_pk_add_f32 v[6:7], v[6:7], v[10:11]
	v_pk_fma_f32 v[10:11], v[98:99], v[154:155], v[8:9] op_sel:[0,0,1] op_sel_hi:[1,1,0] neg_lo:[0,0,1] neg_hi:[0,0,1]
	v_pk_fma_f32 v[8:9], v[98:99], v[154:155], v[8:9] op_sel:[0,0,1] op_sel_hi:[1,0,0]
	v_mov_b32_e32 v11, v9
	v_pk_add_f32 v[6:7], v[6:7], v[10:11]
	v_pk_add_f32 v[2:3], v[2:3], v[6:7] neg_lo:[0,1] neg_hi:[0,1]
	buffer_store_dword v3, off, s[0:3], 0 offset:92
	buffer_store_dword v2, off, s[0:3], 0 offset:88
	s_and_saveexec_b64 s[4:5], vcc
	s_cbranch_execz .LBB104_239
; %bb.238:
	buffer_load_dword v2, off, s[0:3], 0 offset:80
	buffer_load_dword v3, off, s[0:3], 0 offset:84
	s_waitcnt vmcnt(0)
	ds_write_b64 v1, v[2:3]
	buffer_store_dword v4, off, s[0:3], 0 offset:80
	buffer_store_dword v4, off, s[0:3], 0 offset:84
.LBB104_239:
	s_or_b64 exec, exec, s[4:5]
	s_waitcnt lgkmcnt(0)
	; wave barrier
	s_waitcnt lgkmcnt(0)
	buffer_load_dword v5, off, s[0:3], 0 offset:92
	buffer_load_dword v138, off, s[0:3], 0 offset:100
	;; [unrolled: 1-line block ×46, first 2 shown]
	ds_read2_b64 v[6:9], v4 offset0:53 offset1:54
	ds_read2_b64 v[10:13], v4 offset0:55 offset1:56
	;; [unrolled: 1-line block ×8, first 2 shown]
	v_cmp_lt_u32_e32 vcc, 9, v0
	s_waitcnt vmcnt(45) lgkmcnt(7)
	v_mul_f32_e32 v14, v6, v5
	s_waitcnt vmcnt(44)
	v_mul_f32_e32 v15, v8, v138
	s_waitcnt vmcnt(43) lgkmcnt(6)
	v_mul_f32_e32 v122, v10, v140
	s_waitcnt vmcnt(42)
	v_mul_f32_e32 v123, v12, v142
	;; [unrolled: 4-line block ×6, first 2 shown]
	s_waitcnt vmcnt(33) lgkmcnt(1)
	v_mul_f32_e32 v132, v114, v166
	s_waitcnt vmcnt(32)
	v_fmac_f32_e32 v14, v7, v167
	s_waitcnt vmcnt(31)
	v_fmac_f32_e32 v15, v9, v168
	v_add_f32_e32 v14, 0, v14
	s_waitcnt vmcnt(30)
	v_fmac_f32_e32 v122, v11, v169
	v_add_f32_e32 v14, v14, v15
	;; [unrolled: 3-line block ×12, first 2 shown]
	s_waitcnt vmcnt(19)
	v_mul_f32_e32 v15, v116, v180
	v_add_f32_e32 v14, v14, v132
	s_waitcnt vmcnt(18)
	v_fmac_f32_e32 v15, v117, v181
	ds_read2_b64 v[122:125], v4 offset0:69 offset1:70
	ds_read2_b64 v[126:129], v4 offset0:71 offset1:72
	v_add_f32_e32 v14, v14, v15
	s_waitcnt vmcnt(17) lgkmcnt(2)
	v_mul_f32_e32 v15, v118, v182
	s_waitcnt vmcnt(16)
	v_fmac_f32_e32 v15, v119, v183
	v_add_f32_e32 v14, v14, v15
	s_waitcnt vmcnt(15)
	v_mul_f32_e32 v15, v120, v184
	s_waitcnt vmcnt(14)
	v_fmac_f32_e32 v15, v121, v185
	v_add_f32_e32 v14, v14, v15
	s_waitcnt vmcnt(13) lgkmcnt(1)
	v_mul_f32_e32 v15, v122, v186
	s_waitcnt vmcnt(12)
	v_fmac_f32_e32 v15, v123, v187
	v_add_f32_e32 v14, v14, v15
	s_waitcnt vmcnt(11)
	v_mul_f32_e32 v15, v124, v188
	s_waitcnt vmcnt(10)
	v_fmac_f32_e32 v15, v125, v189
	v_add_f32_e32 v14, v14, v15
	s_waitcnt vmcnt(9) lgkmcnt(0)
	v_mul_f32_e32 v15, v126, v190
	s_waitcnt vmcnt(8)
	v_fmac_f32_e32 v15, v127, v191
	v_add_f32_e32 v134, v14, v15
	buffer_load_dword v15, off, s[0:3], 0 offset:268
	buffer_load_dword v14, off, s[0:3], 0 offset:264
	s_waitcnt vmcnt(9)
	v_mul_f32_e32 v135, v128, v192
	s_waitcnt vmcnt(8)
	v_fmac_f32_e32 v135, v129, v193
	ds_read2_b64 v[130:133], v4 offset0:73 offset1:74
	v_add_f32_e32 v139, v134, v135
	ds_read2_b64 v[134:137], v4 offset0:75 offset1:76
	buffer_load_dword v145, off, s[0:3], 0 offset:300
	buffer_load_dword v144, off, s[0:3], 0 offset:296
	;; [unrolled: 1-line block ×14, first 2 shown]
	v_mul_f32_e32 v5, v7, v5
	v_fma_f32 v5, v6, v167, -v5
	v_mul_f32_e32 v6, v9, v138
	v_add_f32_e32 v5, 0, v5
	v_fma_f32 v6, v8, v168, -v6
	v_add_f32_e32 v5, v5, v6
	v_mul_f32_e32 v6, v11, v140
	v_fma_f32 v6, v10, v169, -v6
	v_add_f32_e32 v5, v5, v6
	v_mul_f32_e32 v6, v13, v142
	;; [unrolled: 3-line block ×18, first 2 shown]
	v_fma_f32 v6, v128, v193, -v6
	s_waitcnt vmcnt(21) lgkmcnt(1)
	v_mul_f32_e32 v141, v130, v194
	v_add_f32_e32 v138, v5, v6
	v_mul_f32_e32 v5, v131, v194
	s_waitcnt vmcnt(20)
	v_fmac_f32_e32 v141, v131, v195
	s_waitcnt vmcnt(19)
	v_mul_f32_e32 v143, v132, v196
	v_fma_f32 v140, v130, v195, -v5
	v_mul_f32_e32 v5, v133, v196
	ds_read2_b64 v[6:9], v4 offset0:77 offset1:78
	ds_read2_b64 v[10:13], v4 offset0:79 offset1:80
	ds_read2_b64 v[98:101], v4 offset0:81 offset1:82
	s_waitcnt vmcnt(18)
	v_fmac_f32_e32 v143, v133, v197
	v_fma_f32 v142, v132, v197, -v5
	v_pk_add_f32 v[4:5], v[138:139], v[140:141]
	v_pk_add_f32 v[4:5], v[4:5], v[142:143]
	s_waitcnt vmcnt(15)
	v_mov_b32_e32 v102, v15
	s_waitcnt lgkmcnt(3)
	v_pk_mul_f32 v[102:103], v[134:135], v[102:103] op_sel_hi:[1,0]
	s_waitcnt vmcnt(14)
	v_pk_fma_f32 v[104:105], v[134:135], v[14:15], v[102:103] op_sel:[0,0,1] op_sel_hi:[1,1,0] neg_lo:[0,0,1] neg_hi:[0,0,1]
	v_pk_fma_f32 v[14:15], v[134:135], v[14:15], v[102:103] op_sel:[0,0,1] op_sel_hi:[1,0,0]
	s_waitcnt vmcnt(7)
	v_mov_b32_e32 v14, v151
	v_mov_b32_e32 v105, v15
	v_pk_mul_f32 v[14:15], v[136:137], v[14:15] op_sel_hi:[1,0]
	s_waitcnt vmcnt(6)
	v_pk_fma_f32 v[102:103], v[136:137], v[150:151], v[14:15] op_sel:[0,0,1] op_sel_hi:[1,1,0] neg_lo:[0,0,1] neg_hi:[0,0,1]
	v_pk_fma_f32 v[14:15], v[136:137], v[150:151], v[14:15] op_sel:[0,0,1] op_sel_hi:[1,0,0]
	v_mov_b32_e32 v14, v149
	v_pk_add_f32 v[4:5], v[4:5], v[104:105]
	v_mov_b32_e32 v103, v15
	s_waitcnt lgkmcnt(2)
	v_pk_mul_f32 v[14:15], v[6:7], v[14:15] op_sel_hi:[1,0]
	v_pk_add_f32 v[4:5], v[4:5], v[102:103]
	v_pk_fma_f32 v[102:103], v[6:7], v[148:149], v[14:15] op_sel:[0,0,1] op_sel_hi:[1,1,0] neg_lo:[0,0,1] neg_hi:[0,0,1]
	v_pk_fma_f32 v[6:7], v[6:7], v[148:149], v[14:15] op_sel:[0,0,1] op_sel_hi:[1,0,0]
	v_mov_b32_e32 v6, v147
	v_mov_b32_e32 v103, v7
	v_pk_mul_f32 v[6:7], v[8:9], v[6:7] op_sel_hi:[1,0]
	v_pk_fma_f32 v[14:15], v[8:9], v[146:147], v[6:7] op_sel:[0,0,1] op_sel_hi:[1,1,0] neg_lo:[0,0,1] neg_hi:[0,0,1]
	v_pk_fma_f32 v[6:7], v[8:9], v[146:147], v[6:7] op_sel:[0,0,1] op_sel_hi:[1,0,0]
	v_mov_b32_e32 v6, v145
	v_mov_b32_e32 v15, v7
	s_waitcnt lgkmcnt(1)
	v_pk_mul_f32 v[6:7], v[10:11], v[6:7] op_sel_hi:[1,0]
	v_pk_fma_f32 v[8:9], v[10:11], v[144:145], v[6:7] op_sel:[0,0,1] op_sel_hi:[1,1,0] neg_lo:[0,0,1] neg_hi:[0,0,1]
	v_pk_fma_f32 v[6:7], v[10:11], v[144:145], v[6:7] op_sel:[0,0,1] op_sel_hi:[1,0,0]
	v_pk_add_f32 v[4:5], v[4:5], v[102:103]
	s_waitcnt vmcnt(1)
	v_mov_b32_e32 v6, v157
	v_pk_add_f32 v[4:5], v[4:5], v[14:15]
	v_mov_b32_e32 v9, v7
	v_pk_mul_f32 v[6:7], v[12:13], v[6:7] op_sel_hi:[1,0]
	v_pk_add_f32 v[4:5], v[4:5], v[8:9]
	s_waitcnt vmcnt(0)
	v_pk_fma_f32 v[8:9], v[12:13], v[156:157], v[6:7] op_sel:[0,0,1] op_sel_hi:[1,1,0] neg_lo:[0,0,1] neg_hi:[0,0,1]
	v_pk_fma_f32 v[6:7], v[12:13], v[156:157], v[6:7] op_sel:[0,0,1] op_sel_hi:[1,0,0]
	v_mov_b32_e32 v6, v155
	v_mov_b32_e32 v9, v7
	s_waitcnt lgkmcnt(0)
	v_pk_mul_f32 v[6:7], v[98:99], v[6:7] op_sel_hi:[1,0]
	v_pk_add_f32 v[4:5], v[4:5], v[8:9]
	v_pk_fma_f32 v[8:9], v[98:99], v[154:155], v[6:7] op_sel:[0,0,1] op_sel_hi:[1,1,0] neg_lo:[0,0,1] neg_hi:[0,0,1]
	v_pk_fma_f32 v[6:7], v[98:99], v[154:155], v[6:7] op_sel:[0,0,1] op_sel_hi:[1,0,0]
	v_mov_b32_e32 v6, v153
	v_mov_b32_e32 v9, v7
	v_pk_mul_f32 v[6:7], v[100:101], v[6:7] op_sel_hi:[1,0]
	v_pk_add_f32 v[4:5], v[4:5], v[8:9]
	v_pk_fma_f32 v[8:9], v[100:101], v[152:153], v[6:7] op_sel:[0,0,1] op_sel_hi:[1,1,0] neg_lo:[0,0,1] neg_hi:[0,0,1]
	v_pk_fma_f32 v[6:7], v[100:101], v[152:153], v[6:7] op_sel:[0,0,1] op_sel_hi:[1,0,0]
	v_mov_b32_e32 v9, v7
	v_pk_add_f32 v[4:5], v[4:5], v[8:9]
	v_pk_add_f32 v[2:3], v[2:3], v[4:5] neg_lo:[0,1] neg_hi:[0,1]
	buffer_store_dword v3, off, s[0:3], 0 offset:84
	buffer_store_dword v2, off, s[0:3], 0 offset:80
	s_and_saveexec_b64 s[4:5], vcc
	s_cbranch_execz .LBB104_241
; %bb.240:
	buffer_load_dword v2, off, s[0:3], 0 offset:72
	buffer_load_dword v3, off, s[0:3], 0 offset:76
	v_mov_b32_e32 v4, 0
	buffer_store_dword v4, off, s[0:3], 0 offset:72
	buffer_store_dword v4, off, s[0:3], 0 offset:76
	s_waitcnt vmcnt(2)
	ds_write_b64 v1, v[2:3]
.LBB104_241:
	s_or_b64 exec, exec, s[4:5]
	s_waitcnt lgkmcnt(0)
	; wave barrier
	s_waitcnt lgkmcnt(0)
	buffer_load_dword v5, off, s[0:3], 0 offset:84
	buffer_load_dword v14, off, s[0:3], 0 offset:92
	;; [unrolled: 1-line block ×48, first 2 shown]
	v_mov_b32_e32 v4, 0
	ds_read_b128 v[6:9], v4 offset:416
	ds_read_b128 v[10:13], v4 offset:432
	;; [unrolled: 1-line block ×6, first 2 shown]
	v_cmp_lt_u32_e32 vcc, 8, v0
	s_waitcnt vmcnt(47) lgkmcnt(5)
	v_mul_f32_e32 v15, v6, v5
	s_waitcnt vmcnt(46)
	v_mul_f32_e32 v114, v8, v14
	s_waitcnt vmcnt(45) lgkmcnt(4)
	v_mul_f32_e32 v115, v10, v138
	s_waitcnt vmcnt(44)
	v_mul_f32_e32 v116, v12, v140
	;; [unrolled: 4-line block ×6, first 2 shown]
	s_waitcnt vmcnt(35)
	v_fmac_f32_e32 v15, v7, v166
	s_waitcnt vmcnt(34)
	v_fmac_f32_e32 v114, v9, v167
	v_add_f32_e32 v15, 0, v15
	s_waitcnt vmcnt(33)
	v_fmac_f32_e32 v115, v11, v168
	v_add_f32_e32 v15, v15, v114
	s_waitcnt vmcnt(32)
	v_fmac_f32_e32 v116, v13, v169
	v_add_f32_e32 v15, v15, v115
	s_waitcnt vmcnt(31)
	v_fmac_f32_e32 v117, v99, v170
	v_add_f32_e32 v15, v15, v116
	s_waitcnt vmcnt(30)
	v_fmac_f32_e32 v118, v101, v171
	v_add_f32_e32 v15, v15, v117
	s_waitcnt vmcnt(29)
	v_fmac_f32_e32 v119, v103, v172
	v_add_f32_e32 v15, v15, v118
	ds_read_b128 v[114:117], v4 offset:512
	s_waitcnt vmcnt(28)
	v_fmac_f32_e32 v120, v105, v173
	v_add_f32_e32 v15, v15, v119
	s_waitcnt vmcnt(27)
	v_fmac_f32_e32 v121, v107, v174
	v_add_f32_e32 v15, v15, v120
	;; [unrolled: 3-line block ×3, first 2 shown]
	ds_read_b128 v[118:121], v4 offset:528
	s_waitcnt vmcnt(25)
	v_fmac_f32_e32 v123, v111, v176
	v_add_f32_e32 v15, v15, v122
	s_waitcnt vmcnt(24)
	v_fmac_f32_e32 v124, v113, v177
	v_add_f32_e32 v15, v15, v123
	s_waitcnt vmcnt(23) lgkmcnt(1)
	v_mul_f32_e32 v122, v114, v178
	v_add_f32_e32 v15, v15, v124
	s_waitcnt vmcnt(22)
	v_fmac_f32_e32 v122, v115, v179
	v_add_f32_e32 v15, v15, v122
	s_waitcnt vmcnt(21)
	v_mul_f32_e32 v122, v116, v180
	s_waitcnt vmcnt(20)
	v_fmac_f32_e32 v122, v117, v181
	v_add_f32_e32 v15, v15, v122
	s_waitcnt vmcnt(19) lgkmcnt(0)
	v_mul_f32_e32 v122, v118, v182
	s_waitcnt vmcnt(18)
	v_fmac_f32_e32 v122, v119, v183
	v_add_f32_e32 v15, v15, v122
	ds_read_b128 v[122:125], v4 offset:544
	s_waitcnt vmcnt(17)
	v_mul_f32_e32 v126, v120, v184
	s_waitcnt vmcnt(16)
	v_fmac_f32_e32 v126, v121, v185
	v_add_f32_e32 v15, v15, v126
	ds_read_b128 v[126:129], v4 offset:560
	s_waitcnt vmcnt(15) lgkmcnt(1)
	v_mul_f32_e32 v130, v122, v186
	s_waitcnt vmcnt(14)
	v_fmac_f32_e32 v130, v123, v187
	v_add_f32_e32 v15, v15, v130
	s_waitcnt vmcnt(13)
	v_mul_f32_e32 v130, v124, v188
	s_waitcnt vmcnt(12)
	v_fmac_f32_e32 v130, v125, v189
	v_add_f32_e32 v15, v15, v130
	s_waitcnt vmcnt(11) lgkmcnt(0)
	v_mul_f32_e32 v130, v126, v190
	s_waitcnt vmcnt(10)
	v_fmac_f32_e32 v130, v127, v191
	s_waitcnt vmcnt(9)
	v_mul_f32_e32 v134, v128, v192
	v_add_f32_e32 v15, v15, v130
	s_waitcnt vmcnt(8)
	v_fmac_f32_e32 v134, v129, v193
	ds_read_b128 v[130:133], v4 offset:576
	v_add_f32_e32 v15, v15, v134
	ds_read_b128 v[134:137], v4 offset:592
	buffer_load_dword v143, off, s[0:3], 0 offset:292
	buffer_load_dword v142, off, s[0:3], 0 offset:288
	;; [unrolled: 1-line block ×16, first 2 shown]
	v_mul_f32_e32 v5, v7, v5
	v_fma_f32 v5, v6, v166, -v5
	v_mul_f32_e32 v6, v9, v14
	v_add_f32_e32 v5, 0, v5
	v_fma_f32 v6, v8, v167, -v6
	v_add_f32_e32 v5, v5, v6
	v_mul_f32_e32 v6, v11, v138
	v_fma_f32 v6, v10, v168, -v6
	v_add_f32_e32 v5, v5, v6
	v_mul_f32_e32 v6, v13, v140
	;; [unrolled: 3-line block ×18, first 2 shown]
	v_fma_f32 v6, v128, v193, -v6
	s_waitcnt vmcnt(22) lgkmcnt(1)
	v_mul_f32_e32 v139, v130, v195
	v_add_f32_e32 v5, v5, v6
	v_mul_f32_e32 v6, v131, v195
	v_fmac_f32_e32 v139, v131, v194
	v_fma_f32 v6, v130, v194, -v6
	v_add_f32_e32 v15, v15, v139
	s_waitcnt vmcnt(19)
	v_mul_f32_e32 v139, v132, v196
	v_add_f32_e32 v14, v5, v6
	v_mul_f32_e32 v5, v133, v196
	s_waitcnt vmcnt(18)
	v_fmac_f32_e32 v139, v133, v197
	s_waitcnt vmcnt(17) lgkmcnt(0)
	v_mul_f32_e32 v141, v134, v198
	s_waitcnt vmcnt(9)
	v_mov_b32_e32 v104, v149
	v_pk_mul_f32 v[104:105], v[136:137], v[104:105] op_sel_hi:[1,0]
	v_fma_f32 v138, v132, v197, -v5
	v_mul_f32_e32 v5, v135, v198
	ds_read_b128 v[6:9], v4 offset:608
	ds_read_b128 v[10:13], v4 offset:624
	;; [unrolled: 1-line block ×3, first 2 shown]
	ds_read_b64 v[102:103], v4 offset:656
	s_waitcnt vmcnt(8)
	v_pk_fma_f32 v[106:107], v[136:137], v[148:149], v[104:105] op_sel:[0,0,1] op_sel_hi:[1,1,0] neg_lo:[0,0,1] neg_hi:[0,0,1]
	v_pk_fma_f32 v[104:105], v[136:137], v[148:149], v[104:105] op_sel:[0,0,1] op_sel_hi:[1,0,0]
	v_fmac_f32_e32 v141, v135, v199
	v_fma_f32 v140, v134, v199, -v5
	v_pk_add_f32 v[14:15], v[14:15], v[138:139]
	v_mov_b32_e32 v104, v147
	v_pk_add_f32 v[14:15], v[14:15], v[140:141]
	v_mov_b32_e32 v107, v105
	s_waitcnt lgkmcnt(3)
	v_pk_mul_f32 v[104:105], v[6:7], v[104:105] op_sel_hi:[1,0]
	v_pk_add_f32 v[14:15], v[14:15], v[106:107]
	v_pk_fma_f32 v[106:107], v[6:7], v[146:147], v[104:105] op_sel:[0,0,1] op_sel_hi:[1,1,0] neg_lo:[0,0,1] neg_hi:[0,0,1]
	v_pk_fma_f32 v[6:7], v[6:7], v[146:147], v[104:105] op_sel:[0,0,1] op_sel_hi:[1,0,0]
	v_mov_b32_e32 v107, v7
	v_pk_add_f32 v[6:7], v[14:15], v[106:107]
	v_mov_b32_e32 v14, v145
	v_pk_mul_f32 v[14:15], v[8:9], v[14:15] op_sel_hi:[1,0]
	v_pk_fma_f32 v[104:105], v[8:9], v[144:145], v[14:15] op_sel:[0,0,1] op_sel_hi:[1,1,0] neg_lo:[0,0,1] neg_hi:[0,0,1]
	v_pk_fma_f32 v[8:9], v[8:9], v[144:145], v[14:15] op_sel:[0,0,1] op_sel_hi:[1,0,0]
	v_mov_b32_e32 v8, v143
	v_mov_b32_e32 v105, v9
	s_waitcnt lgkmcnt(2)
	v_pk_mul_f32 v[8:9], v[10:11], v[8:9] op_sel_hi:[1,0]
	v_pk_fma_f32 v[14:15], v[10:11], v[142:143], v[8:9] op_sel:[0,0,1] op_sel_hi:[1,1,0] neg_lo:[0,0,1] neg_hi:[0,0,1]
	v_pk_fma_f32 v[8:9], v[10:11], v[142:143], v[8:9] op_sel:[0,0,1] op_sel_hi:[1,0,0]
	s_waitcnt vmcnt(1)
	v_mov_b32_e32 v8, v157
	v_mov_b32_e32 v15, v9
	v_pk_mul_f32 v[8:9], v[12:13], v[8:9] op_sel_hi:[1,0]
	s_waitcnt vmcnt(0)
	v_pk_fma_f32 v[10:11], v[12:13], v[156:157], v[8:9] op_sel:[0,0,1] op_sel_hi:[1,1,0] neg_lo:[0,0,1] neg_hi:[0,0,1]
	v_pk_fma_f32 v[8:9], v[12:13], v[156:157], v[8:9] op_sel:[0,0,1] op_sel_hi:[1,0,0]
	v_pk_add_f32 v[6:7], v[6:7], v[104:105]
	v_mov_b32_e32 v8, v155
	v_pk_add_f32 v[6:7], v[6:7], v[14:15]
	v_mov_b32_e32 v11, v9
	s_waitcnt lgkmcnt(1)
	v_pk_mul_f32 v[8:9], v[98:99], v[8:9] op_sel_hi:[1,0]
	v_pk_add_f32 v[6:7], v[6:7], v[10:11]
	v_pk_fma_f32 v[10:11], v[98:99], v[154:155], v[8:9] op_sel:[0,0,1] op_sel_hi:[1,1,0] neg_lo:[0,0,1] neg_hi:[0,0,1]
	v_pk_fma_f32 v[8:9], v[98:99], v[154:155], v[8:9] op_sel:[0,0,1] op_sel_hi:[1,0,0]
	v_mov_b32_e32 v8, v153
	v_mov_b32_e32 v11, v9
	v_pk_mul_f32 v[8:9], v[100:101], v[8:9] op_sel_hi:[1,0]
	v_pk_add_f32 v[6:7], v[6:7], v[10:11]
	v_pk_fma_f32 v[10:11], v[100:101], v[152:153], v[8:9] op_sel:[0,0,1] op_sel_hi:[1,1,0] neg_lo:[0,0,1] neg_hi:[0,0,1]
	v_pk_fma_f32 v[8:9], v[100:101], v[152:153], v[8:9] op_sel:[0,0,1] op_sel_hi:[1,0,0]
	v_mov_b32_e32 v8, v151
	v_mov_b32_e32 v11, v9
	s_waitcnt lgkmcnt(0)
	v_pk_mul_f32 v[8:9], v[102:103], v[8:9] op_sel_hi:[1,0]
	v_pk_add_f32 v[6:7], v[6:7], v[10:11]
	v_pk_fma_f32 v[10:11], v[102:103], v[150:151], v[8:9] op_sel:[0,0,1] op_sel_hi:[1,1,0] neg_lo:[0,0,1] neg_hi:[0,0,1]
	v_pk_fma_f32 v[8:9], v[102:103], v[150:151], v[8:9] op_sel:[0,0,1] op_sel_hi:[1,0,0]
	v_mov_b32_e32 v11, v9
	v_pk_add_f32 v[6:7], v[6:7], v[10:11]
	v_pk_add_f32 v[2:3], v[2:3], v[6:7] neg_lo:[0,1] neg_hi:[0,1]
	buffer_store_dword v3, off, s[0:3], 0 offset:76
	buffer_store_dword v2, off, s[0:3], 0 offset:72
	s_and_saveexec_b64 s[4:5], vcc
	s_cbranch_execz .LBB104_243
; %bb.242:
	buffer_load_dword v2, off, s[0:3], 0 offset:64
	buffer_load_dword v3, off, s[0:3], 0 offset:68
	s_waitcnt vmcnt(0)
	ds_write_b64 v1, v[2:3]
	buffer_store_dword v4, off, s[0:3], 0 offset:64
	buffer_store_dword v4, off, s[0:3], 0 offset:68
.LBB104_243:
	s_or_b64 exec, exec, s[4:5]
	s_waitcnt lgkmcnt(0)
	; wave barrier
	s_waitcnt lgkmcnt(0)
	buffer_load_dword v5, off, s[0:3], 0 offset:76
	buffer_load_dword v14, off, s[0:3], 0 offset:84
	;; [unrolled: 1-line block ×48, first 2 shown]
	ds_read2_b64 v[6:9], v4 offset0:51 offset1:52
	ds_read2_b64 v[10:13], v4 offset0:53 offset1:54
	;; [unrolled: 1-line block ×6, first 2 shown]
	buffer_load_dword v200, off, s[0:3], 0 offset:256
	buffer_load_dword v201, off, s[0:3], 0 offset:260
	v_cmp_lt_u32_e32 vcc, 7, v0
	s_waitcnt vmcnt(49) lgkmcnt(5)
	v_mul_f32_e32 v15, v6, v5
	s_waitcnt vmcnt(48)
	v_mul_f32_e32 v114, v8, v14
	s_waitcnt vmcnt(47) lgkmcnt(4)
	v_mul_f32_e32 v115, v10, v138
	s_waitcnt vmcnt(46)
	v_mul_f32_e32 v116, v12, v146
	;; [unrolled: 4-line block ×6, first 2 shown]
	s_waitcnt vmcnt(37)
	v_fmac_f32_e32 v15, v7, v166
	s_waitcnt vmcnt(36)
	v_fmac_f32_e32 v114, v9, v167
	v_add_f32_e32 v15, 0, v15
	s_waitcnt vmcnt(35)
	v_fmac_f32_e32 v115, v11, v168
	v_add_f32_e32 v15, v15, v114
	;; [unrolled: 3-line block ×6, first 2 shown]
	ds_read2_b64 v[114:117], v4 offset0:63 offset1:64
	s_waitcnt vmcnt(30)
	v_fmac_f32_e32 v120, v105, v173
	v_add_f32_e32 v15, v15, v119
	s_waitcnt vmcnt(29)
	v_fmac_f32_e32 v121, v107, v174
	v_add_f32_e32 v15, v15, v120
	;; [unrolled: 3-line block ×3, first 2 shown]
	ds_read2_b64 v[118:121], v4 offset0:65 offset1:66
	s_waitcnt vmcnt(27)
	v_fmac_f32_e32 v123, v111, v176
	v_add_f32_e32 v15, v15, v122
	v_add_f32_e32 v15, v15, v123
	s_waitcnt vmcnt(26)
	v_fmac_f32_e32 v124, v113, v177
	s_waitcnt vmcnt(25) lgkmcnt(1)
	v_mul_f32_e32 v122, v114, v178
	v_add_f32_e32 v15, v15, v124
	s_waitcnt vmcnt(24)
	v_fmac_f32_e32 v122, v115, v179
	v_add_f32_e32 v15, v15, v122
	s_waitcnt vmcnt(23)
	v_mul_f32_e32 v122, v116, v180
	s_waitcnt vmcnt(22)
	v_fmac_f32_e32 v122, v117, v181
	v_add_f32_e32 v15, v15, v122
	s_waitcnt vmcnt(21) lgkmcnt(0)
	v_mul_f32_e32 v122, v118, v182
	s_waitcnt vmcnt(20)
	v_fmac_f32_e32 v122, v119, v183
	v_add_f32_e32 v15, v15, v122
	ds_read2_b64 v[122:125], v4 offset0:67 offset1:68
	s_waitcnt vmcnt(19)
	v_mul_f32_e32 v126, v120, v184
	s_waitcnt vmcnt(18)
	v_fmac_f32_e32 v126, v121, v185
	v_add_f32_e32 v15, v15, v126
	ds_read2_b64 v[126:129], v4 offset0:69 offset1:70
	s_waitcnt vmcnt(17) lgkmcnt(1)
	v_mul_f32_e32 v130, v122, v186
	s_waitcnt vmcnt(16)
	v_fmac_f32_e32 v130, v123, v187
	v_add_f32_e32 v15, v15, v130
	s_waitcnt vmcnt(15)
	v_mul_f32_e32 v130, v124, v188
	s_waitcnt vmcnt(14)
	v_fmac_f32_e32 v130, v125, v189
	v_add_f32_e32 v15, v15, v130
	s_waitcnt vmcnt(13) lgkmcnt(0)
	v_mul_f32_e32 v130, v126, v190
	s_waitcnt vmcnt(12)
	v_fmac_f32_e32 v130, v127, v191
	s_waitcnt vmcnt(11)
	v_mul_f32_e32 v134, v128, v192
	v_add_f32_e32 v15, v15, v130
	s_waitcnt vmcnt(10)
	v_fmac_f32_e32 v134, v129, v193
	ds_read2_b64 v[130:133], v4 offset0:71 offset1:72
	v_add_f32_e32 v15, v15, v134
	ds_read2_b64 v[134:137], v4 offset0:73 offset1:74
	buffer_load_dword v141, off, s[0:3], 0 offset:284
	buffer_load_dword v140, off, s[0:3], 0 offset:280
	;; [unrolled: 1-line block ×16, first 2 shown]
	v_mul_f32_e32 v5, v7, v5
	v_fma_f32 v5, v6, v166, -v5
	v_mul_f32_e32 v6, v9, v14
	v_add_f32_e32 v5, 0, v5
	v_fma_f32 v6, v8, v167, -v6
	v_add_f32_e32 v5, v5, v6
	v_mul_f32_e32 v6, v11, v138
	v_fma_f32 v6, v10, v168, -v6
	v_add_f32_e32 v5, v5, v6
	v_mul_f32_e32 v6, v13, v146
	v_fma_f32 v6, v12, v169, -v6
	v_add_f32_e32 v5, v5, v6
	v_mul_f32_e32 v6, v99, v158
	v_fma_f32 v6, v98, v170, -v6
	v_add_f32_e32 v5, v5, v6
	v_mul_f32_e32 v6, v101, v159
	v_fma_f32 v6, v100, v171, -v6
	v_add_f32_e32 v5, v5, v6
	v_mul_f32_e32 v6, v103, v160
	v_fma_f32 v6, v102, v172, -v6
	v_add_f32_e32 v5, v5, v6
	v_mul_f32_e32 v6, v105, v161
	v_fma_f32 v6, v104, v173, -v6
	v_add_f32_e32 v5, v5, v6
	v_mul_f32_e32 v6, v107, v162
	v_fma_f32 v6, v106, v174, -v6
	v_add_f32_e32 v5, v5, v6
	v_mul_f32_e32 v6, v109, v163
	v_fma_f32 v6, v108, v175, -v6
	v_add_f32_e32 v5, v5, v6
	v_mul_f32_e32 v6, v111, v164
	v_fma_f32 v6, v110, v176, -v6
	v_add_f32_e32 v5, v5, v6
	v_mul_f32_e32 v6, v113, v165
	v_fma_f32 v6, v112, v177, -v6
	v_add_f32_e32 v5, v5, v6
	v_mul_f32_e32 v6, v115, v178
	v_fma_f32 v6, v114, v179, -v6
	v_add_f32_e32 v5, v5, v6
	v_mul_f32_e32 v6, v117, v180
	v_fma_f32 v6, v116, v181, -v6
	v_add_f32_e32 v5, v5, v6
	v_mul_f32_e32 v6, v119, v182
	v_fma_f32 v6, v118, v183, -v6
	v_add_f32_e32 v5, v5, v6
	v_mul_f32_e32 v6, v121, v184
	v_fma_f32 v6, v120, v185, -v6
	v_add_f32_e32 v5, v5, v6
	v_mul_f32_e32 v6, v123, v186
	v_fma_f32 v6, v122, v187, -v6
	v_add_f32_e32 v5, v5, v6
	v_mul_f32_e32 v6, v125, v188
	v_fma_f32 v6, v124, v189, -v6
	v_add_f32_e32 v5, v5, v6
	v_mul_f32_e32 v6, v127, v190
	v_fma_f32 v6, v126, v191, -v6
	v_add_f32_e32 v5, v5, v6
	v_mul_f32_e32 v6, v129, v192
	v_fma_f32 v6, v128, v193, -v6
	s_waitcnt vmcnt(23) lgkmcnt(1)
	v_mul_f32_e32 v139, v130, v194
	v_add_f32_e32 v5, v5, v6
	v_mul_f32_e32 v6, v131, v194
	s_waitcnt vmcnt(22)
	v_fmac_f32_e32 v139, v131, v195
	v_fma_f32 v6, v130, v195, -v6
	v_add_f32_e32 v15, v15, v139
	s_waitcnt vmcnt(20)
	v_mul_f32_e32 v139, v132, v197
	v_add_f32_e32 v5, v5, v6
	v_mul_f32_e32 v6, v133, v197
	v_fmac_f32_e32 v139, v133, v196
	v_fma_f32 v6, v132, v196, -v6
	v_add_f32_e32 v15, v15, v139
	s_waitcnt vmcnt(18) lgkmcnt(0)
	v_mul_f32_e32 v139, v134, v199
	v_add_f32_e32 v14, v5, v6
	v_mul_f32_e32 v5, v135, v199
	v_fmac_f32_e32 v139, v135, v198
	v_fma_f32 v138, v134, v198, -v5
	s_waitcnt vmcnt(16)
	v_mul_f32_e32 v5, v137, v201
	ds_read2_b64 v[6:9], v4 offset0:75 offset1:76
	ds_read2_b64 v[10:13], v4 offset0:77 offset1:78
	;; [unrolled: 1-line block ×4, first 2 shown]
	v_fma_f32 v146, v136, v200, -v5
	v_pk_add_f32 v[4:5], v[14:15], v[138:139]
	s_waitcnt vmcnt(11)
	v_mov_b32_e32 v14, v145
	s_waitcnt lgkmcnt(3)
	v_pk_mul_f32 v[14:15], v[6:7], v[14:15] op_sel_hi:[1,0]
	s_waitcnt vmcnt(10)
	v_pk_fma_f32 v[106:107], v[6:7], v[144:145], v[14:15] op_sel:[0,0,1] op_sel_hi:[1,1,0] neg_lo:[0,0,1] neg_hi:[0,0,1]
	v_pk_fma_f32 v[6:7], v[6:7], v[144:145], v[14:15] op_sel:[0,0,1] op_sel_hi:[1,0,0]
	v_mov_b32_e32 v6, v143
	v_mov_b32_e32 v107, v7
	v_pk_mul_f32 v[6:7], v[8:9], v[6:7] op_sel_hi:[1,0]
	v_pk_fma_f32 v[14:15], v[8:9], v[142:143], v[6:7] op_sel:[0,0,1] op_sel_hi:[1,1,0] neg_lo:[0,0,1] neg_hi:[0,0,1]
	v_pk_fma_f32 v[6:7], v[8:9], v[142:143], v[6:7] op_sel:[0,0,1] op_sel_hi:[1,0,0]
	v_mul_f32_e32 v147, v136, v201
	v_mov_b32_e32 v6, v141
	v_fmac_f32_e32 v147, v137, v200
	v_mov_b32_e32 v15, v7
	s_waitcnt lgkmcnt(2)
	v_pk_mul_f32 v[6:7], v[10:11], v[6:7] op_sel_hi:[1,0]
	v_pk_add_f32 v[4:5], v[4:5], v[146:147]
	v_pk_fma_f32 v[8:9], v[10:11], v[140:141], v[6:7] op_sel:[0,0,1] op_sel_hi:[1,1,0] neg_lo:[0,0,1] neg_hi:[0,0,1]
	v_pk_fma_f32 v[6:7], v[10:11], v[140:141], v[6:7] op_sel:[0,0,1] op_sel_hi:[1,0,0]
	v_pk_add_f32 v[4:5], v[4:5], v[106:107]
	s_waitcnt vmcnt(3)
	v_mov_b32_e32 v6, v155
	v_pk_add_f32 v[4:5], v[4:5], v[14:15]
	v_mov_b32_e32 v9, v7
	v_pk_mul_f32 v[6:7], v[12:13], v[6:7] op_sel_hi:[1,0]
	v_pk_add_f32 v[4:5], v[4:5], v[8:9]
	s_waitcnt vmcnt(2)
	v_pk_fma_f32 v[8:9], v[12:13], v[154:155], v[6:7] op_sel:[0,0,1] op_sel_hi:[1,1,0] neg_lo:[0,0,1] neg_hi:[0,0,1]
	v_pk_fma_f32 v[6:7], v[12:13], v[154:155], v[6:7] op_sel:[0,0,1] op_sel_hi:[1,0,0]
	v_mov_b32_e32 v6, v153
	v_mov_b32_e32 v9, v7
	s_waitcnt lgkmcnt(1)
	v_pk_mul_f32 v[6:7], v[98:99], v[6:7] op_sel_hi:[1,0]
	v_pk_add_f32 v[4:5], v[4:5], v[8:9]
	v_pk_fma_f32 v[8:9], v[98:99], v[152:153], v[6:7] op_sel:[0,0,1] op_sel_hi:[1,1,0] neg_lo:[0,0,1] neg_hi:[0,0,1]
	v_pk_fma_f32 v[6:7], v[98:99], v[152:153], v[6:7] op_sel:[0,0,1] op_sel_hi:[1,0,0]
	v_mov_b32_e32 v6, v151
	v_mov_b32_e32 v9, v7
	v_pk_mul_f32 v[6:7], v[100:101], v[6:7] op_sel_hi:[1,0]
	v_pk_add_f32 v[4:5], v[4:5], v[8:9]
	v_pk_fma_f32 v[8:9], v[100:101], v[150:151], v[6:7] op_sel:[0,0,1] op_sel_hi:[1,1,0] neg_lo:[0,0,1] neg_hi:[0,0,1]
	v_pk_fma_f32 v[6:7], v[100:101], v[150:151], v[6:7] op_sel:[0,0,1] op_sel_hi:[1,0,0]
	v_mov_b32_e32 v6, v149
	v_mov_b32_e32 v9, v7
	s_waitcnt lgkmcnt(0)
	v_pk_mul_f32 v[6:7], v[102:103], v[6:7] op_sel_hi:[1,0]
	v_pk_add_f32 v[4:5], v[4:5], v[8:9]
	v_pk_fma_f32 v[8:9], v[102:103], v[148:149], v[6:7] op_sel:[0,0,1] op_sel_hi:[1,1,0] neg_lo:[0,0,1] neg_hi:[0,0,1]
	v_pk_fma_f32 v[6:7], v[102:103], v[148:149], v[6:7] op_sel:[0,0,1] op_sel_hi:[1,0,0]
	s_waitcnt vmcnt(1)
	v_mov_b32_e32 v6, v157
	v_mov_b32_e32 v9, v7
	v_pk_mul_f32 v[6:7], v[104:105], v[6:7] op_sel_hi:[1,0]
	v_pk_add_f32 v[4:5], v[4:5], v[8:9]
	s_waitcnt vmcnt(0)
	v_pk_fma_f32 v[8:9], v[104:105], v[156:157], v[6:7] op_sel:[0,0,1] op_sel_hi:[1,1,0] neg_lo:[0,0,1] neg_hi:[0,0,1]
	v_pk_fma_f32 v[6:7], v[104:105], v[156:157], v[6:7] op_sel:[0,0,1] op_sel_hi:[1,0,0]
	v_mov_b32_e32 v9, v7
	v_pk_add_f32 v[4:5], v[4:5], v[8:9]
	v_pk_add_f32 v[2:3], v[2:3], v[4:5] neg_lo:[0,1] neg_hi:[0,1]
	buffer_store_dword v3, off, s[0:3], 0 offset:68
	buffer_store_dword v2, off, s[0:3], 0 offset:64
	s_and_saveexec_b64 s[4:5], vcc
	s_cbranch_execz .LBB104_245
; %bb.244:
	buffer_load_dword v2, off, s[0:3], 0 offset:56
	buffer_load_dword v3, off, s[0:3], 0 offset:60
	v_mov_b32_e32 v4, 0
	buffer_store_dword v4, off, s[0:3], 0 offset:56
	buffer_store_dword v4, off, s[0:3], 0 offset:60
	s_waitcnt vmcnt(2)
	ds_write_b64 v1, v[2:3]
.LBB104_245:
	s_or_b64 exec, exec, s[4:5]
	s_waitcnt lgkmcnt(0)
	; wave barrier
	s_waitcnt lgkmcnt(0)
	buffer_load_dword v5, off, s[0:3], 0 offset:68
	buffer_load_dword v14, off, s[0:3], 0 offset:76
	buffer_load_dword v150, off, s[0:3], 0 offset:84
	buffer_load_dword v152, off, s[0:3], 0 offset:92
	buffer_load_dword v166, off, s[0:3], 0 offset:100
	buffer_load_dword v167, off, s[0:3], 0 offset:108
	buffer_load_dword v168, off, s[0:3], 0 offset:116
	buffer_load_dword v169, off, s[0:3], 0 offset:124
	buffer_load_dword v170, off, s[0:3], 0 offset:132
	buffer_load_dword v171, off, s[0:3], 0 offset:140
	buffer_load_dword v172, off, s[0:3], 0 offset:148
	buffer_load_dword v173, off, s[0:3], 0 offset:64
	buffer_load_dword v174, off, s[0:3], 0 offset:72
	buffer_load_dword v175, off, s[0:3], 0 offset:80
	buffer_load_dword v176, off, s[0:3], 0 offset:88
	buffer_load_dword v177, off, s[0:3], 0 offset:96
	buffer_load_dword v178, off, s[0:3], 0 offset:104
	buffer_load_dword v179, off, s[0:3], 0 offset:112
	buffer_load_dword v180, off, s[0:3], 0 offset:120
	buffer_load_dword v181, off, s[0:3], 0 offset:128
	buffer_load_dword v182, off, s[0:3], 0 offset:136
	buffer_load_dword v183, off, s[0:3], 0 offset:144
	buffer_load_dword v184, off, s[0:3], 0 offset:156
	buffer_load_dword v185, off, s[0:3], 0 offset:152
	buffer_load_dword v186, off, s[0:3], 0 offset:164
	buffer_load_dword v187, off, s[0:3], 0 offset:160
	buffer_load_dword v188, off, s[0:3], 0 offset:172
	buffer_load_dword v189, off, s[0:3], 0 offset:168
	buffer_load_dword v190, off, s[0:3], 0 offset:180
	buffer_load_dword v191, off, s[0:3], 0 offset:176
	buffer_load_dword v192, off, s[0:3], 0 offset:188
	buffer_load_dword v193, off, s[0:3], 0 offset:184
	buffer_load_dword v194, off, s[0:3], 0 offset:196
	buffer_load_dword v195, off, s[0:3], 0 offset:192
	buffer_load_dword v196, off, s[0:3], 0 offset:204
	buffer_load_dword v197, off, s[0:3], 0 offset:200
	buffer_load_dword v198, off, s[0:3], 0 offset:208
	buffer_load_dword v199, off, s[0:3], 0 offset:212
	buffer_load_dword v2, off, s[0:3], 0 offset:56
	buffer_load_dword v3, off, s[0:3], 0 offset:60
	buffer_load_dword v200, off, s[0:3], 0 offset:216
	buffer_load_dword v201, off, s[0:3], 0 offset:220
	buffer_load_dword v202, off, s[0:3], 0 offset:224
	buffer_load_dword v203, off, s[0:3], 0 offset:228
	buffer_load_dword v204, off, s[0:3], 0 offset:232
	buffer_load_dword v205, off, s[0:3], 0 offset:236
	buffer_load_dword v206, off, s[0:3], 0 offset:240
	buffer_load_dword v207, off, s[0:3], 0 offset:244
	buffer_load_dword v208, off, s[0:3], 0 offset:248
	buffer_load_dword v209, off, s[0:3], 0 offset:252
	buffer_load_dword v210, off, s[0:3], 0 offset:256
	buffer_load_dword v211, off, s[0:3], 0 offset:260
	v_mov_b32_e32 v4, 0
	ds_read_b128 v[6:9], v4 offset:400
	ds_read_b128 v[10:13], v4 offset:416
	;; [unrolled: 1-line block ×6, first 2 shown]
	v_cmp_lt_u32_e32 vcc, 6, v0
	s_waitcnt vmcnt(51) lgkmcnt(5)
	v_mul_f32_e32 v15, v6, v5
	s_waitcnt vmcnt(50)
	v_mul_f32_e32 v114, v8, v14
	s_waitcnt vmcnt(49) lgkmcnt(4)
	v_mul_f32_e32 v115, v10, v150
	s_waitcnt vmcnt(48)
	v_mul_f32_e32 v116, v12, v152
	;; [unrolled: 4-line block ×5, first 2 shown]
	s_waitcnt vmcnt(41) lgkmcnt(0)
	v_mul_f32_e32 v123, v110, v172
	s_waitcnt vmcnt(40)
	v_fmac_f32_e32 v15, v7, v173
	s_waitcnt vmcnt(39)
	v_fmac_f32_e32 v114, v9, v174
	v_add_f32_e32 v15, 0, v15
	s_waitcnt vmcnt(38)
	v_fmac_f32_e32 v115, v11, v175
	v_add_f32_e32 v15, v15, v114
	;; [unrolled: 3-line block ×8, first 2 shown]
	ds_read_b128 v[114:117], v4 offset:496
	s_waitcnt vmcnt(31)
	v_fmac_f32_e32 v122, v109, v182
	v_add_f32_e32 v15, v15, v121
	v_add_f32_e32 v15, v15, v122
	s_waitcnt vmcnt(30)
	v_fmac_f32_e32 v123, v111, v183
	s_waitcnt vmcnt(29)
	v_mul_f32_e32 v118, v112, v184
	v_add_f32_e32 v15, v15, v123
	s_waitcnt vmcnt(28)
	v_fmac_f32_e32 v118, v113, v185
	v_add_f32_e32 v15, v15, v118
	ds_read_b128 v[118:121], v4 offset:512
	s_waitcnt vmcnt(27) lgkmcnt(1)
	v_mul_f32_e32 v122, v114, v186
	s_waitcnt vmcnt(26)
	v_fmac_f32_e32 v122, v115, v187
	v_add_f32_e32 v15, v15, v122
	s_waitcnt vmcnt(25)
	v_mul_f32_e32 v122, v116, v188
	s_waitcnt vmcnt(24)
	v_fmac_f32_e32 v122, v117, v189
	v_add_f32_e32 v15, v15, v122
	s_waitcnt vmcnt(23) lgkmcnt(0)
	v_mul_f32_e32 v122, v118, v190
	s_waitcnt vmcnt(22)
	v_fmac_f32_e32 v122, v119, v191
	v_add_f32_e32 v15, v15, v122
	ds_read_b128 v[122:125], v4 offset:528
	s_waitcnt vmcnt(21)
	v_mul_f32_e32 v126, v120, v192
	s_waitcnt vmcnt(20)
	v_fmac_f32_e32 v126, v121, v193
	v_add_f32_e32 v15, v15, v126
	ds_read_b128 v[126:129], v4 offset:544
	s_waitcnt vmcnt(19) lgkmcnt(1)
	v_mul_f32_e32 v130, v122, v194
	s_waitcnt vmcnt(18)
	v_fmac_f32_e32 v130, v123, v195
	v_add_f32_e32 v15, v15, v130
	s_waitcnt vmcnt(17)
	v_mul_f32_e32 v130, v124, v196
	s_waitcnt vmcnt(16)
	v_fmac_f32_e32 v130, v125, v197
	v_add_f32_e32 v15, v15, v130
	s_waitcnt vmcnt(14) lgkmcnt(0)
	v_mul_f32_e32 v130, v126, v199
	v_fmac_f32_e32 v130, v127, v198
	v_add_f32_e32 v15, v15, v130
	ds_read_b128 v[130:133], v4 offset:560
	s_waitcnt vmcnt(10)
	v_mul_f32_e32 v134, v128, v201
	v_fmac_f32_e32 v134, v129, v200
	v_add_f32_e32 v15, v15, v134
	ds_read_b128 v[134:137], v4 offset:576
	s_waitcnt vmcnt(8) lgkmcnt(1)
	v_mul_f32_e32 v138, v130, v203
	v_fmac_f32_e32 v138, v131, v202
	v_add_f32_e32 v15, v15, v138
	s_waitcnt vmcnt(6)
	v_mul_f32_e32 v138, v132, v205
	v_fmac_f32_e32 v138, v133, v204
	v_add_f32_e32 v15, v15, v138
	s_waitcnt vmcnt(4) lgkmcnt(0)
	v_mul_f32_e32 v138, v134, v207
	v_fmac_f32_e32 v138, v135, v206
	v_add_f32_e32 v15, v15, v138
	ds_read_b128 v[138:141], v4 offset:592
	buffer_load_dword v147, off, s[0:3], 0 offset:276
	buffer_load_dword v146, off, s[0:3], 0 offset:272
	;; [unrolled: 1-line block ×4, first 2 shown]
	ds_read_b128 v[142:145], v4 offset:608
	buffer_load_dword v155, off, s[0:3], 0 offset:308
	buffer_load_dword v154, off, s[0:3], 0 offset:304
	;; [unrolled: 1-line block ×12, first 2 shown]
	v_mul_f32_e32 v5, v7, v5
	v_fma_f32 v5, v6, v173, -v5
	v_mul_f32_e32 v6, v9, v14
	v_add_f32_e32 v5, 0, v5
	v_fma_f32 v6, v8, v174, -v6
	v_add_f32_e32 v5, v5, v6
	v_mul_f32_e32 v6, v11, v150
	v_fma_f32 v6, v10, v175, -v6
	v_add_f32_e32 v5, v5, v6
	v_mul_f32_e32 v6, v13, v152
	v_fma_f32 v6, v12, v176, -v6
	v_add_f32_e32 v5, v5, v6
	v_mul_f32_e32 v6, v99, v166
	v_fma_f32 v6, v98, v177, -v6
	v_add_f32_e32 v5, v5, v6
	v_mul_f32_e32 v6, v101, v167
	v_fma_f32 v6, v100, v178, -v6
	v_add_f32_e32 v5, v5, v6
	v_mul_f32_e32 v6, v103, v168
	v_fma_f32 v6, v102, v179, -v6
	v_add_f32_e32 v5, v5, v6
	v_mul_f32_e32 v6, v105, v169
	v_fma_f32 v6, v104, v180, -v6
	v_add_f32_e32 v5, v5, v6
	v_mul_f32_e32 v6, v107, v170
	v_fma_f32 v6, v106, v181, -v6
	v_add_f32_e32 v5, v5, v6
	v_mul_f32_e32 v6, v109, v171
	v_fma_f32 v6, v108, v182, -v6
	v_add_f32_e32 v5, v5, v6
	v_mul_f32_e32 v6, v111, v172
	v_fma_f32 v6, v110, v183, -v6
	v_add_f32_e32 v5, v5, v6
	v_mul_f32_e32 v6, v113, v184
	v_fma_f32 v6, v112, v185, -v6
	v_add_f32_e32 v5, v5, v6
	v_mul_f32_e32 v6, v115, v186
	v_fma_f32 v6, v114, v187, -v6
	v_add_f32_e32 v5, v5, v6
	v_mul_f32_e32 v6, v117, v188
	v_fma_f32 v6, v116, v189, -v6
	v_add_f32_e32 v5, v5, v6
	v_mul_f32_e32 v6, v119, v190
	v_fma_f32 v6, v118, v191, -v6
	v_add_f32_e32 v5, v5, v6
	v_mul_f32_e32 v6, v121, v192
	v_fma_f32 v6, v120, v193, -v6
	v_add_f32_e32 v5, v5, v6
	v_mul_f32_e32 v6, v123, v194
	v_fma_f32 v6, v122, v195, -v6
	v_add_f32_e32 v5, v5, v6
	v_mul_f32_e32 v6, v125, v196
	v_fma_f32 v6, v124, v197, -v6
	v_add_f32_e32 v5, v5, v6
	v_mul_f32_e32 v6, v127, v199
	v_fma_f32 v6, v126, v198, -v6
	v_add_f32_e32 v5, v5, v6
	v_mul_f32_e32 v6, v129, v201
	v_fma_f32 v6, v128, v200, -v6
	v_add_f32_e32 v5, v5, v6
	v_mul_f32_e32 v6, v131, v203
	v_fma_f32 v6, v130, v202, -v6
	v_add_f32_e32 v5, v5, v6
	v_mul_f32_e32 v6, v133, v205
	v_fma_f32 v6, v132, v204, -v6
	v_add_f32_e32 v5, v5, v6
	v_mul_f32_e32 v6, v135, v207
	v_fma_f32 v6, v134, v206, -v6
	s_waitcnt vmcnt(18)
	v_mul_f32_e32 v151, v136, v209
	v_add_f32_e32 v14, v5, v6
	v_mul_f32_e32 v5, v137, v209
	v_fmac_f32_e32 v151, v137, v208
	s_waitcnt vmcnt(16) lgkmcnt(1)
	v_mul_f32_e32 v153, v138, v211
	v_fma_f32 v150, v136, v208, -v5
	v_mul_f32_e32 v5, v139, v211
	v_fmac_f32_e32 v153, v139, v210
	s_waitcnt vmcnt(13)
	v_mov_b32_e32 v100, v149
	v_pk_mul_f32 v[100:101], v[140:141], v[100:101] op_sel_hi:[1,0]
	s_waitcnt vmcnt(12)
	v_pk_fma_f32 v[102:103], v[140:141], v[148:149], v[100:101] op_sel:[0,0,1] op_sel_hi:[1,1,0] neg_lo:[0,0,1] neg_hi:[0,0,1]
	v_pk_fma_f32 v[100:101], v[140:141], v[148:149], v[100:101] op_sel:[0,0,1] op_sel_hi:[1,0,0]
	v_fma_f32 v152, v138, v210, -v5
	v_pk_add_f32 v[14:15], v[14:15], v[150:151]
	v_mov_b32_e32 v100, v147
	v_pk_add_f32 v[14:15], v[14:15], v[152:153]
	v_mov_b32_e32 v103, v101
	s_waitcnt lgkmcnt(0)
	v_pk_mul_f32 v[100:101], v[142:143], v[100:101] op_sel_hi:[1,0]
	v_pk_add_f32 v[14:15], v[14:15], v[102:103]
	v_pk_fma_f32 v[102:103], v[142:143], v[146:147], v[100:101] op_sel:[0,0,1] op_sel_hi:[1,1,0] neg_lo:[0,0,1] neg_hi:[0,0,1]
	v_pk_fma_f32 v[100:101], v[142:143], v[146:147], v[100:101] op_sel:[0,0,1] op_sel_hi:[1,0,0]
	s_waitcnt vmcnt(5)
	v_mov_b32_e32 v100, v161
	ds_read_b128 v[6:9], v4 offset:624
	ds_read_b128 v[10:13], v4 offset:640
	ds_read_b64 v[98:99], v4 offset:656
	v_mov_b32_e32 v103, v101
	v_pk_mul_f32 v[100:101], v[144:145], v[100:101] op_sel_hi:[1,0]
	v_pk_add_f32 v[14:15], v[14:15], v[102:103]
	s_waitcnt vmcnt(4)
	v_pk_fma_f32 v[102:103], v[144:145], v[160:161], v[100:101] op_sel:[0,0,1] op_sel_hi:[1,1,0] neg_lo:[0,0,1] neg_hi:[0,0,1]
	v_pk_fma_f32 v[100:101], v[144:145], v[160:161], v[100:101] op_sel:[0,0,1] op_sel_hi:[1,0,0]
	v_mov_b32_e32 v100, v159
	v_mov_b32_e32 v103, v101
	s_waitcnt lgkmcnt(2)
	v_pk_mul_f32 v[100:101], v[6:7], v[100:101] op_sel_hi:[1,0]
	v_pk_add_f32 v[14:15], v[14:15], v[102:103]
	v_pk_fma_f32 v[102:103], v[6:7], v[158:159], v[100:101] op_sel:[0,0,1] op_sel_hi:[1,1,0] neg_lo:[0,0,1] neg_hi:[0,0,1]
	v_pk_fma_f32 v[6:7], v[6:7], v[158:159], v[100:101] op_sel:[0,0,1] op_sel_hi:[1,0,0]
	v_mov_b32_e32 v103, v7
	v_pk_add_f32 v[6:7], v[14:15], v[102:103]
	v_mov_b32_e32 v14, v157
	v_pk_mul_f32 v[14:15], v[8:9], v[14:15] op_sel_hi:[1,0]
	v_pk_fma_f32 v[100:101], v[8:9], v[156:157], v[14:15] op_sel:[0,0,1] op_sel_hi:[1,1,0] neg_lo:[0,0,1] neg_hi:[0,0,1]
	v_pk_fma_f32 v[8:9], v[8:9], v[156:157], v[14:15] op_sel:[0,0,1] op_sel_hi:[1,0,0]
	v_mov_b32_e32 v8, v155
	v_mov_b32_e32 v101, v9
	s_waitcnt lgkmcnt(1)
	v_pk_mul_f32 v[8:9], v[10:11], v[8:9] op_sel_hi:[1,0]
	v_pk_fma_f32 v[14:15], v[10:11], v[154:155], v[8:9] op_sel:[0,0,1] op_sel_hi:[1,1,0] neg_lo:[0,0,1] neg_hi:[0,0,1]
	v_pk_fma_f32 v[8:9], v[10:11], v[154:155], v[8:9] op_sel:[0,0,1] op_sel_hi:[1,0,0]
	s_waitcnt vmcnt(1)
	v_mov_b32_e32 v8, v165
	v_mov_b32_e32 v15, v9
	v_pk_mul_f32 v[8:9], v[12:13], v[8:9] op_sel_hi:[1,0]
	s_waitcnt vmcnt(0)
	v_pk_fma_f32 v[10:11], v[12:13], v[164:165], v[8:9] op_sel:[0,0,1] op_sel_hi:[1,1,0] neg_lo:[0,0,1] neg_hi:[0,0,1]
	v_pk_fma_f32 v[8:9], v[12:13], v[164:165], v[8:9] op_sel:[0,0,1] op_sel_hi:[1,0,0]
	v_pk_add_f32 v[6:7], v[6:7], v[100:101]
	v_mov_b32_e32 v8, v163
	v_pk_add_f32 v[6:7], v[6:7], v[14:15]
	v_mov_b32_e32 v11, v9
	s_waitcnt lgkmcnt(0)
	v_pk_mul_f32 v[8:9], v[98:99], v[8:9] op_sel_hi:[1,0]
	v_pk_add_f32 v[6:7], v[6:7], v[10:11]
	v_pk_fma_f32 v[10:11], v[98:99], v[162:163], v[8:9] op_sel:[0,0,1] op_sel_hi:[1,1,0] neg_lo:[0,0,1] neg_hi:[0,0,1]
	v_pk_fma_f32 v[8:9], v[98:99], v[162:163], v[8:9] op_sel:[0,0,1] op_sel_hi:[1,0,0]
	v_mov_b32_e32 v11, v9
	v_pk_add_f32 v[6:7], v[6:7], v[10:11]
	v_pk_add_f32 v[2:3], v[2:3], v[6:7] neg_lo:[0,1] neg_hi:[0,1]
	buffer_store_dword v3, off, s[0:3], 0 offset:60
	buffer_store_dword v2, off, s[0:3], 0 offset:56
	s_and_saveexec_b64 s[4:5], vcc
	s_cbranch_execz .LBB104_247
; %bb.246:
	buffer_load_dword v2, off, s[0:3], 0 offset:48
	buffer_load_dword v3, off, s[0:3], 0 offset:52
	s_waitcnt vmcnt(0)
	ds_write_b64 v1, v[2:3]
	buffer_store_dword v4, off, s[0:3], 0 offset:48
	buffer_store_dword v4, off, s[0:3], 0 offset:52
.LBB104_247:
	s_or_b64 exec, exec, s[4:5]
	s_waitcnt lgkmcnt(0)
	; wave barrier
	s_waitcnt lgkmcnt(0)
	buffer_load_dword v5, off, s[0:3], 0 offset:60
	buffer_load_dword v146, off, s[0:3], 0 offset:68
	buffer_load_dword v148, off, s[0:3], 0 offset:76
	buffer_load_dword v150, off, s[0:3], 0 offset:84
	buffer_load_dword v166, off, s[0:3], 0 offset:92
	buffer_load_dword v167, off, s[0:3], 0 offset:100
	buffer_load_dword v168, off, s[0:3], 0 offset:108
	buffer_load_dword v169, off, s[0:3], 0 offset:116
	buffer_load_dword v170, off, s[0:3], 0 offset:124
	buffer_load_dword v171, off, s[0:3], 0 offset:132
	buffer_load_dword v172, off, s[0:3], 0 offset:56
	buffer_load_dword v173, off, s[0:3], 0 offset:64
	buffer_load_dword v174, off, s[0:3], 0 offset:72
	buffer_load_dword v175, off, s[0:3], 0 offset:80
	buffer_load_dword v176, off, s[0:3], 0 offset:88
	buffer_load_dword v177, off, s[0:3], 0 offset:96
	buffer_load_dword v178, off, s[0:3], 0 offset:104
	buffer_load_dword v179, off, s[0:3], 0 offset:112
	buffer_load_dword v180, off, s[0:3], 0 offset:120
	buffer_load_dword v181, off, s[0:3], 0 offset:128
	buffer_load_dword v182, off, s[0:3], 0 offset:140
	buffer_load_dword v183, off, s[0:3], 0 offset:136
	buffer_load_dword v184, off, s[0:3], 0 offset:148
	buffer_load_dword v185, off, s[0:3], 0 offset:144
	buffer_load_dword v186, off, s[0:3], 0 offset:156
	buffer_load_dword v187, off, s[0:3], 0 offset:152
	buffer_load_dword v188, off, s[0:3], 0 offset:164
	buffer_load_dword v189, off, s[0:3], 0 offset:160
	buffer_load_dword v190, off, s[0:3], 0 offset:172
	buffer_load_dword v191, off, s[0:3], 0 offset:168
	buffer_load_dword v192, off, s[0:3], 0 offset:180
	buffer_load_dword v193, off, s[0:3], 0 offset:176
	buffer_load_dword v194, off, s[0:3], 0 offset:188
	buffer_load_dword v195, off, s[0:3], 0 offset:184
	buffer_load_dword v196, off, s[0:3], 0 offset:192
	buffer_load_dword v197, off, s[0:3], 0 offset:196
	buffer_load_dword v2, off, s[0:3], 0 offset:48
	buffer_load_dword v3, off, s[0:3], 0 offset:52
	buffer_load_dword v198, off, s[0:3], 0 offset:204
	buffer_load_dword v199, off, s[0:3], 0 offset:200
	buffer_load_dword v200, off, s[0:3], 0 offset:208
	buffer_load_dword v201, off, s[0:3], 0 offset:212
	ds_read2_b64 v[6:9], v4 offset0:49 offset1:50
	ds_read2_b64 v[10:13], v4 offset0:51 offset1:52
	buffer_load_dword v202, off, s[0:3], 0 offset:216
	buffer_load_dword v203, off, s[0:3], 0 offset:220
	ds_read2_b64 v[98:101], v4 offset0:53 offset1:54
	ds_read2_b64 v[102:105], v4 offset0:55 offset1:56
	buffer_load_dword v204, off, s[0:3], 0 offset:224
	buffer_load_dword v205, off, s[0:3], 0 offset:228
	;; [unrolled: 1-line block ×4, first 2 shown]
	ds_read2_b64 v[106:109], v4 offset0:57 offset1:58
	ds_read2_b64 v[110:113], v4 offset0:59 offset1:60
	buffer_load_dword v208, off, s[0:3], 0 offset:240
	buffer_load_dword v209, off, s[0:3], 0 offset:244
	buffer_load_dword v210, off, s[0:3], 0 offset:248
	buffer_load_dword v211, off, s[0:3], 0 offset:252
	buffer_load_dword v212, off, s[0:3], 0 offset:256
	buffer_load_dword v213, off, s[0:3], 0 offset:260
	ds_read2_b64 v[122:125], v4 offset0:65 offset1:66
	ds_read2_b64 v[126:129], v4 offset0:67 offset1:68
	;; [unrolled: 1-line block ×4, first 2 shown]
	v_cmp_lt_u32_e32 vcc, 5, v0
	s_waitcnt vmcnt(53) lgkmcnt(9)
	v_mul_f32_e32 v14, v6, v5
	s_waitcnt vmcnt(52)
	v_mul_f32_e32 v15, v8, v146
	s_waitcnt vmcnt(51) lgkmcnt(8)
	v_mul_f32_e32 v114, v10, v148
	s_waitcnt vmcnt(50)
	v_mul_f32_e32 v115, v12, v150
	;; [unrolled: 4-line block ×5, first 2 shown]
	s_waitcnt vmcnt(43)
	v_fmac_f32_e32 v14, v7, v172
	s_waitcnt vmcnt(42)
	v_fmac_f32_e32 v15, v9, v173
	v_add_f32_e32 v14, 0, v14
	s_waitcnt vmcnt(41)
	v_fmac_f32_e32 v114, v11, v174
	v_add_f32_e32 v14, v14, v15
	;; [unrolled: 3-line block ×8, first 2 shown]
	ds_read2_b64 v[114:117], v4 offset0:61 offset1:62
	s_waitcnt vmcnt(34)
	v_fmac_f32_e32 v121, v109, v181
	v_add_f32_e32 v14, v14, v120
	s_waitcnt vmcnt(33) lgkmcnt(5)
	v_mul_f32_e32 v15, v110, v182
	v_add_f32_e32 v14, v14, v121
	ds_read2_b64 v[118:121], v4 offset0:63 offset1:64
	s_waitcnt vmcnt(32)
	v_fmac_f32_e32 v15, v111, v183
	v_add_f32_e32 v14, v14, v15
	s_waitcnt vmcnt(31)
	v_mul_f32_e32 v15, v112, v184
	s_waitcnt vmcnt(30)
	v_fmac_f32_e32 v15, v113, v185
	v_add_f32_e32 v14, v14, v15
	s_waitcnt vmcnt(29) lgkmcnt(1)
	v_mul_f32_e32 v15, v114, v186
	s_waitcnt vmcnt(28)
	v_fmac_f32_e32 v15, v115, v187
	v_add_f32_e32 v14, v14, v15
	s_waitcnt vmcnt(27)
	v_mul_f32_e32 v15, v116, v188
	s_waitcnt vmcnt(26)
	v_fmac_f32_e32 v15, v117, v189
	v_add_f32_e32 v14, v14, v15
	s_waitcnt vmcnt(25) lgkmcnt(0)
	v_mul_f32_e32 v15, v118, v190
	s_waitcnt vmcnt(24)
	v_fmac_f32_e32 v15, v119, v191
	v_add_f32_e32 v14, v14, v15
	s_waitcnt vmcnt(23)
	v_mul_f32_e32 v15, v120, v192
	s_waitcnt vmcnt(22)
	v_fmac_f32_e32 v15, v121, v193
	v_add_f32_e32 v14, v14, v15
	s_waitcnt vmcnt(21)
	;; [unrolled: 5-line block ×3, first 2 shown]
	v_mul_f32_e32 v15, v124, v197
	v_fmac_f32_e32 v15, v125, v196
	v_add_f32_e32 v14, v14, v15
	s_waitcnt vmcnt(15)
	v_mul_f32_e32 v15, v126, v198
	s_waitcnt vmcnt(14)
	v_fmac_f32_e32 v15, v127, v199
	v_add_f32_e32 v14, v14, v15
	s_waitcnt vmcnt(12)
	v_mul_f32_e32 v15, v128, v201
	v_fmac_f32_e32 v15, v129, v200
	v_add_f32_e32 v14, v14, v15
	s_waitcnt vmcnt(10)
	v_mul_f32_e32 v15, v130, v203
	;; [unrolled: 4-line block ×4, first 2 shown]
	v_fmac_f32_e32 v15, v135, v206
	v_add_f32_e32 v142, v14, v15
	buffer_load_dword v15, off, s[0:3], 0 offset:268
	buffer_load_dword v14, off, s[0:3], 0 offset:264
	s_waitcnt vmcnt(6)
	v_mul_f32_e32 v143, v136, v209
	v_fmac_f32_e32 v143, v137, v208
	ds_read2_b64 v[138:141], v4 offset0:73 offset1:74
	v_add_f32_e32 v147, v142, v143
	ds_read2_b64 v[142:145], v4 offset0:75 offset1:76
	buffer_load_dword v153, off, s[0:3], 0 offset:300
	buffer_load_dword v152, off, s[0:3], 0 offset:296
	;; [unrolled: 1-line block ×14, first 2 shown]
	v_mul_f32_e32 v5, v7, v5
	v_fma_f32 v5, v6, v172, -v5
	v_mul_f32_e32 v6, v9, v146
	v_add_f32_e32 v5, 0, v5
	v_fma_f32 v6, v8, v173, -v6
	v_add_f32_e32 v5, v5, v6
	v_mul_f32_e32 v6, v11, v148
	v_fma_f32 v6, v10, v174, -v6
	v_add_f32_e32 v5, v5, v6
	v_mul_f32_e32 v6, v13, v150
	;; [unrolled: 3-line block ×22, first 2 shown]
	v_fma_f32 v6, v136, v208, -v6
	s_waitcnt vmcnt(18) lgkmcnt(1)
	v_mul_f32_e32 v149, v138, v211
	s_waitcnt vmcnt(15)
	v_mov_b32_e32 v102, v15
	s_waitcnt lgkmcnt(0)
	v_pk_mul_f32 v[102:103], v[142:143], v[102:103] op_sel_hi:[1,0]
	s_waitcnt vmcnt(14)
	v_pk_fma_f32 v[104:105], v[142:143], v[14:15], v[102:103] op_sel:[0,0,1] op_sel_hi:[1,1,0] neg_lo:[0,0,1] neg_hi:[0,0,1]
	v_pk_fma_f32 v[14:15], v[142:143], v[14:15], v[102:103] op_sel:[0,0,1] op_sel_hi:[1,0,0]
	v_add_f32_e32 v146, v5, v6
	v_mul_f32_e32 v5, v139, v211
	s_waitcnt vmcnt(7)
	v_mov_b32_e32 v14, v159
	v_fmac_f32_e32 v149, v139, v210
	v_mul_f32_e32 v151, v140, v213
	v_fma_f32 v148, v138, v210, -v5
	v_mul_f32_e32 v5, v141, v213
	ds_read2_b64 v[6:9], v4 offset0:77 offset1:78
	ds_read2_b64 v[10:13], v4 offset0:79 offset1:80
	;; [unrolled: 1-line block ×3, first 2 shown]
	v_mov_b32_e32 v105, v15
	v_pk_mul_f32 v[14:15], v[144:145], v[14:15] op_sel_hi:[1,0]
	v_fmac_f32_e32 v151, v141, v212
	v_fma_f32 v150, v140, v212, -v5
	v_pk_add_f32 v[4:5], v[146:147], v[148:149]
	s_waitcnt vmcnt(6)
	v_pk_fma_f32 v[102:103], v[144:145], v[158:159], v[14:15] op_sel:[0,0,1] op_sel_hi:[1,1,0] neg_lo:[0,0,1] neg_hi:[0,0,1]
	v_pk_fma_f32 v[14:15], v[144:145], v[158:159], v[14:15] op_sel:[0,0,1] op_sel_hi:[1,0,0]
	v_pk_add_f32 v[4:5], v[4:5], v[150:151]
	v_mov_b32_e32 v14, v157
	v_pk_add_f32 v[4:5], v[4:5], v[104:105]
	v_mov_b32_e32 v103, v15
	s_waitcnt lgkmcnt(2)
	v_pk_mul_f32 v[14:15], v[6:7], v[14:15] op_sel_hi:[1,0]
	v_pk_add_f32 v[4:5], v[4:5], v[102:103]
	v_pk_fma_f32 v[102:103], v[6:7], v[156:157], v[14:15] op_sel:[0,0,1] op_sel_hi:[1,1,0] neg_lo:[0,0,1] neg_hi:[0,0,1]
	v_pk_fma_f32 v[6:7], v[6:7], v[156:157], v[14:15] op_sel:[0,0,1] op_sel_hi:[1,0,0]
	v_mov_b32_e32 v6, v155
	v_mov_b32_e32 v103, v7
	v_pk_mul_f32 v[6:7], v[8:9], v[6:7] op_sel_hi:[1,0]
	v_pk_fma_f32 v[14:15], v[8:9], v[154:155], v[6:7] op_sel:[0,0,1] op_sel_hi:[1,1,0] neg_lo:[0,0,1] neg_hi:[0,0,1]
	v_pk_fma_f32 v[6:7], v[8:9], v[154:155], v[6:7] op_sel:[0,0,1] op_sel_hi:[1,0,0]
	v_mov_b32_e32 v6, v153
	v_mov_b32_e32 v15, v7
	s_waitcnt lgkmcnt(1)
	v_pk_mul_f32 v[6:7], v[10:11], v[6:7] op_sel_hi:[1,0]
	v_pk_fma_f32 v[8:9], v[10:11], v[152:153], v[6:7] op_sel:[0,0,1] op_sel_hi:[1,1,0] neg_lo:[0,0,1] neg_hi:[0,0,1]
	v_pk_fma_f32 v[6:7], v[10:11], v[152:153], v[6:7] op_sel:[0,0,1] op_sel_hi:[1,0,0]
	v_pk_add_f32 v[4:5], v[4:5], v[102:103]
	s_waitcnt vmcnt(1)
	v_mov_b32_e32 v6, v165
	v_pk_add_f32 v[4:5], v[4:5], v[14:15]
	v_mov_b32_e32 v9, v7
	v_pk_mul_f32 v[6:7], v[12:13], v[6:7] op_sel_hi:[1,0]
	v_pk_add_f32 v[4:5], v[4:5], v[8:9]
	s_waitcnt vmcnt(0)
	v_pk_fma_f32 v[8:9], v[12:13], v[164:165], v[6:7] op_sel:[0,0,1] op_sel_hi:[1,1,0] neg_lo:[0,0,1] neg_hi:[0,0,1]
	v_pk_fma_f32 v[6:7], v[12:13], v[164:165], v[6:7] op_sel:[0,0,1] op_sel_hi:[1,0,0]
	v_mov_b32_e32 v6, v163
	v_mov_b32_e32 v9, v7
	s_waitcnt lgkmcnt(0)
	v_pk_mul_f32 v[6:7], v[98:99], v[6:7] op_sel_hi:[1,0]
	v_pk_add_f32 v[4:5], v[4:5], v[8:9]
	v_pk_fma_f32 v[8:9], v[98:99], v[162:163], v[6:7] op_sel:[0,0,1] op_sel_hi:[1,1,0] neg_lo:[0,0,1] neg_hi:[0,0,1]
	v_pk_fma_f32 v[6:7], v[98:99], v[162:163], v[6:7] op_sel:[0,0,1] op_sel_hi:[1,0,0]
	v_mov_b32_e32 v6, v161
	v_mov_b32_e32 v9, v7
	v_pk_mul_f32 v[6:7], v[100:101], v[6:7] op_sel_hi:[1,0]
	v_pk_add_f32 v[4:5], v[4:5], v[8:9]
	v_pk_fma_f32 v[8:9], v[100:101], v[160:161], v[6:7] op_sel:[0,0,1] op_sel_hi:[1,1,0] neg_lo:[0,0,1] neg_hi:[0,0,1]
	v_pk_fma_f32 v[6:7], v[100:101], v[160:161], v[6:7] op_sel:[0,0,1] op_sel_hi:[1,0,0]
	v_mov_b32_e32 v9, v7
	v_pk_add_f32 v[4:5], v[4:5], v[8:9]
	v_pk_add_f32 v[2:3], v[2:3], v[4:5] neg_lo:[0,1] neg_hi:[0,1]
	buffer_store_dword v3, off, s[0:3], 0 offset:52
	buffer_store_dword v2, off, s[0:3], 0 offset:48
	s_and_saveexec_b64 s[4:5], vcc
	s_cbranch_execz .LBB104_249
; %bb.248:
	buffer_load_dword v2, off, s[0:3], 0 offset:40
	buffer_load_dword v3, off, s[0:3], 0 offset:44
	v_mov_b32_e32 v4, 0
	buffer_store_dword v4, off, s[0:3], 0 offset:40
	buffer_store_dword v4, off, s[0:3], 0 offset:44
	s_waitcnt vmcnt(2)
	ds_write_b64 v1, v[2:3]
.LBB104_249:
	s_or_b64 exec, exec, s[4:5]
	s_waitcnt lgkmcnt(0)
	; wave barrier
	s_waitcnt lgkmcnt(0)
	buffer_load_dword v5, off, s[0:3], 0 offset:52
	buffer_load_dword v14, off, s[0:3], 0 offset:60
	;; [unrolled: 1-line block ×56, first 2 shown]
	v_mov_b32_e32 v4, 0
	ds_read_b128 v[6:9], v4 offset:384
	ds_read_b128 v[10:13], v4 offset:400
	;; [unrolled: 1-line block ×6, first 2 shown]
	v_cmp_lt_u32_e32 vcc, 4, v0
	s_waitcnt vmcnt(55) lgkmcnt(5)
	v_mul_f32_e32 v15, v6, v5
	s_waitcnt vmcnt(54)
	v_mul_f32_e32 v114, v8, v14
	s_waitcnt vmcnt(53) lgkmcnt(4)
	v_mul_f32_e32 v115, v10, v146
	s_waitcnt vmcnt(52)
	v_mul_f32_e32 v116, v12, v148
	;; [unrolled: 4-line block ×4, first 2 shown]
	s_waitcnt vmcnt(47) lgkmcnt(1)
	v_mul_f32_e32 v121, v106, v170
	s_waitcnt vmcnt(46)
	v_fmac_f32_e32 v15, v7, v171
	s_waitcnt vmcnt(45)
	v_fmac_f32_e32 v114, v9, v172
	v_add_f32_e32 v15, 0, v15
	s_waitcnt vmcnt(44)
	v_fmac_f32_e32 v115, v11, v173
	v_add_f32_e32 v15, v15, v114
	;; [unrolled: 3-line block ×7, first 2 shown]
	v_add_f32_e32 v15, v15, v120
	s_waitcnt vmcnt(38)
	v_fmac_f32_e32 v121, v107, v179
	s_waitcnt vmcnt(37)
	v_mul_f32_e32 v114, v108, v180
	v_add_f32_e32 v15, v15, v121
	s_waitcnt vmcnt(36)
	v_fmac_f32_e32 v114, v109, v181
	v_add_f32_e32 v15, v15, v114
	s_waitcnt vmcnt(35) lgkmcnt(0)
	v_mul_f32_e32 v114, v110, v182
	s_waitcnt vmcnt(34)
	v_fmac_f32_e32 v114, v111, v183
	v_add_f32_e32 v15, v15, v114
	ds_read_b128 v[114:117], v4 offset:480
	s_waitcnt vmcnt(33)
	v_mul_f32_e32 v118, v112, v184
	s_waitcnt vmcnt(32)
	v_fmac_f32_e32 v118, v113, v185
	v_add_f32_e32 v15, v15, v118
	ds_read_b128 v[118:121], v4 offset:496
	s_waitcnt vmcnt(31) lgkmcnt(1)
	v_mul_f32_e32 v122, v114, v186
	s_waitcnt vmcnt(30)
	v_fmac_f32_e32 v122, v115, v187
	v_add_f32_e32 v15, v15, v122
	s_waitcnt vmcnt(29)
	v_mul_f32_e32 v122, v116, v188
	s_waitcnt vmcnt(28)
	v_fmac_f32_e32 v122, v117, v189
	v_add_f32_e32 v15, v15, v122
	s_waitcnt vmcnt(27) lgkmcnt(0)
	v_mul_f32_e32 v122, v118, v190
	s_waitcnt vmcnt(26)
	v_fmac_f32_e32 v122, v119, v191
	v_add_f32_e32 v15, v15, v122
	ds_read_b128 v[122:125], v4 offset:512
	s_waitcnt vmcnt(24)
	v_mul_f32_e32 v126, v120, v193
	v_fmac_f32_e32 v126, v121, v192
	v_add_f32_e32 v15, v15, v126
	ds_read_b128 v[126:129], v4 offset:528
	s_waitcnt vmcnt(20) lgkmcnt(1)
	v_mul_f32_e32 v130, v122, v195
	v_fmac_f32_e32 v130, v123, v194
	v_add_f32_e32 v15, v15, v130
	s_waitcnt vmcnt(18)
	v_mul_f32_e32 v130, v124, v197
	v_fmac_f32_e32 v130, v125, v196
	v_add_f32_e32 v15, v15, v130
	s_waitcnt vmcnt(16) lgkmcnt(0)
	v_mul_f32_e32 v130, v126, v199
	v_fmac_f32_e32 v130, v127, v198
	v_add_f32_e32 v15, v15, v130
	ds_read_b128 v[130:133], v4 offset:544
	s_waitcnt vmcnt(14)
	v_mul_f32_e32 v134, v128, v201
	v_fmac_f32_e32 v134, v129, v200
	v_add_f32_e32 v15, v15, v134
	ds_read_b128 v[134:137], v4 offset:560
	s_waitcnt vmcnt(12) lgkmcnt(1)
	v_mul_f32_e32 v138, v130, v203
	v_fmac_f32_e32 v138, v131, v202
	v_add_f32_e32 v15, v15, v138
	s_waitcnt vmcnt(10)
	v_mul_f32_e32 v138, v132, v205
	v_fmac_f32_e32 v138, v133, v204
	v_add_f32_e32 v15, v15, v138
	s_waitcnt vmcnt(8) lgkmcnt(0)
	v_mul_f32_e32 v138, v134, v207
	v_fmac_f32_e32 v138, v135, v206
	s_waitcnt vmcnt(6)
	v_mul_f32_e32 v142, v136, v209
	v_add_f32_e32 v15, v15, v138
	v_fmac_f32_e32 v142, v137, v208
	ds_read_b128 v[138:141], v4 offset:576
	v_add_f32_e32 v15, v15, v142
	ds_read_b128 v[142:145], v4 offset:592
	buffer_load_dword v151, off, s[0:3], 0 offset:292
	buffer_load_dword v150, off, s[0:3], 0 offset:288
	;; [unrolled: 1-line block ×16, first 2 shown]
	v_mul_f32_e32 v5, v7, v5
	v_fma_f32 v5, v6, v171, -v5
	v_mul_f32_e32 v6, v9, v14
	v_add_f32_e32 v5, 0, v5
	v_fma_f32 v6, v8, v172, -v6
	v_add_f32_e32 v5, v5, v6
	v_mul_f32_e32 v6, v11, v146
	v_fma_f32 v6, v10, v173, -v6
	v_add_f32_e32 v5, v5, v6
	v_mul_f32_e32 v6, v13, v148
	;; [unrolled: 3-line block ×22, first 2 shown]
	v_fma_f32 v6, v136, v208, -v6
	s_waitcnt vmcnt(20) lgkmcnt(1)
	v_mul_f32_e32 v147, v138, v211
	v_add_f32_e32 v5, v5, v6
	v_mul_f32_e32 v6, v139, v211
	v_fmac_f32_e32 v147, v139, v210
	v_fma_f32 v6, v138, v210, -v6
	s_waitcnt vmcnt(9)
	v_mov_b32_e32 v104, v157
	v_add_f32_e32 v15, v15, v147
	v_mul_f32_e32 v147, v140, v213
	v_add_f32_e32 v14, v5, v6
	v_mul_f32_e32 v5, v141, v213
	s_waitcnt lgkmcnt(0)
	v_pk_mul_f32 v[104:105], v[144:145], v[104:105] op_sel_hi:[1,0]
	v_fmac_f32_e32 v147, v141, v212
	v_mul_f32_e32 v149, v142, v215
	v_fma_f32 v146, v140, v212, -v5
	v_mul_f32_e32 v5, v143, v215
	ds_read_b128 v[6:9], v4 offset:608
	ds_read_b128 v[10:13], v4 offset:624
	;; [unrolled: 1-line block ×3, first 2 shown]
	ds_read_b64 v[102:103], v4 offset:656
	s_waitcnt vmcnt(8)
	v_pk_fma_f32 v[106:107], v[144:145], v[156:157], v[104:105] op_sel:[0,0,1] op_sel_hi:[1,1,0] neg_lo:[0,0,1] neg_hi:[0,0,1]
	v_pk_fma_f32 v[104:105], v[144:145], v[156:157], v[104:105] op_sel:[0,0,1] op_sel_hi:[1,0,0]
	v_fmac_f32_e32 v149, v143, v214
	v_fma_f32 v148, v142, v214, -v5
	v_pk_add_f32 v[14:15], v[14:15], v[146:147]
	v_mov_b32_e32 v104, v155
	v_pk_add_f32 v[14:15], v[14:15], v[148:149]
	v_mov_b32_e32 v107, v105
	s_waitcnt lgkmcnt(3)
	v_pk_mul_f32 v[104:105], v[6:7], v[104:105] op_sel_hi:[1,0]
	v_pk_add_f32 v[14:15], v[14:15], v[106:107]
	v_pk_fma_f32 v[106:107], v[6:7], v[154:155], v[104:105] op_sel:[0,0,1] op_sel_hi:[1,1,0] neg_lo:[0,0,1] neg_hi:[0,0,1]
	v_pk_fma_f32 v[6:7], v[6:7], v[154:155], v[104:105] op_sel:[0,0,1] op_sel_hi:[1,0,0]
	v_mov_b32_e32 v107, v7
	v_pk_add_f32 v[6:7], v[14:15], v[106:107]
	v_mov_b32_e32 v14, v153
	v_pk_mul_f32 v[14:15], v[8:9], v[14:15] op_sel_hi:[1,0]
	v_pk_fma_f32 v[104:105], v[8:9], v[152:153], v[14:15] op_sel:[0,0,1] op_sel_hi:[1,1,0] neg_lo:[0,0,1] neg_hi:[0,0,1]
	v_pk_fma_f32 v[8:9], v[8:9], v[152:153], v[14:15] op_sel:[0,0,1] op_sel_hi:[1,0,0]
	v_mov_b32_e32 v8, v151
	v_mov_b32_e32 v105, v9
	s_waitcnt lgkmcnt(2)
	v_pk_mul_f32 v[8:9], v[10:11], v[8:9] op_sel_hi:[1,0]
	v_pk_fma_f32 v[14:15], v[10:11], v[150:151], v[8:9] op_sel:[0,0,1] op_sel_hi:[1,1,0] neg_lo:[0,0,1] neg_hi:[0,0,1]
	v_pk_fma_f32 v[8:9], v[10:11], v[150:151], v[8:9] op_sel:[0,0,1] op_sel_hi:[1,0,0]
	s_waitcnt vmcnt(1)
	v_mov_b32_e32 v8, v165
	v_mov_b32_e32 v15, v9
	v_pk_mul_f32 v[8:9], v[12:13], v[8:9] op_sel_hi:[1,0]
	s_waitcnt vmcnt(0)
	v_pk_fma_f32 v[10:11], v[12:13], v[164:165], v[8:9] op_sel:[0,0,1] op_sel_hi:[1,1,0] neg_lo:[0,0,1] neg_hi:[0,0,1]
	v_pk_fma_f32 v[8:9], v[12:13], v[164:165], v[8:9] op_sel:[0,0,1] op_sel_hi:[1,0,0]
	v_pk_add_f32 v[6:7], v[6:7], v[104:105]
	v_mov_b32_e32 v8, v163
	v_pk_add_f32 v[6:7], v[6:7], v[14:15]
	v_mov_b32_e32 v11, v9
	s_waitcnt lgkmcnt(1)
	v_pk_mul_f32 v[8:9], v[98:99], v[8:9] op_sel_hi:[1,0]
	v_pk_add_f32 v[6:7], v[6:7], v[10:11]
	v_pk_fma_f32 v[10:11], v[98:99], v[162:163], v[8:9] op_sel:[0,0,1] op_sel_hi:[1,1,0] neg_lo:[0,0,1] neg_hi:[0,0,1]
	v_pk_fma_f32 v[8:9], v[98:99], v[162:163], v[8:9] op_sel:[0,0,1] op_sel_hi:[1,0,0]
	v_mov_b32_e32 v8, v161
	v_mov_b32_e32 v11, v9
	v_pk_mul_f32 v[8:9], v[100:101], v[8:9] op_sel_hi:[1,0]
	v_pk_add_f32 v[6:7], v[6:7], v[10:11]
	v_pk_fma_f32 v[10:11], v[100:101], v[160:161], v[8:9] op_sel:[0,0,1] op_sel_hi:[1,1,0] neg_lo:[0,0,1] neg_hi:[0,0,1]
	v_pk_fma_f32 v[8:9], v[100:101], v[160:161], v[8:9] op_sel:[0,0,1] op_sel_hi:[1,0,0]
	v_mov_b32_e32 v8, v159
	v_mov_b32_e32 v11, v9
	s_waitcnt lgkmcnt(0)
	v_pk_mul_f32 v[8:9], v[102:103], v[8:9] op_sel_hi:[1,0]
	v_pk_add_f32 v[6:7], v[6:7], v[10:11]
	v_pk_fma_f32 v[10:11], v[102:103], v[158:159], v[8:9] op_sel:[0,0,1] op_sel_hi:[1,1,0] neg_lo:[0,0,1] neg_hi:[0,0,1]
	v_pk_fma_f32 v[8:9], v[102:103], v[158:159], v[8:9] op_sel:[0,0,1] op_sel_hi:[1,0,0]
	v_mov_b32_e32 v11, v9
	v_pk_add_f32 v[6:7], v[6:7], v[10:11]
	v_pk_add_f32 v[2:3], v[2:3], v[6:7] neg_lo:[0,1] neg_hi:[0,1]
	buffer_store_dword v3, off, s[0:3], 0 offset:44
	buffer_store_dword v2, off, s[0:3], 0 offset:40
	s_and_saveexec_b64 s[4:5], vcc
	s_cbranch_execz .LBB104_251
; %bb.250:
	buffer_load_dword v2, off, s[0:3], 0 offset:32
	buffer_load_dword v3, off, s[0:3], 0 offset:36
	s_waitcnt vmcnt(0)
	ds_write_b64 v1, v[2:3]
	buffer_store_dword v4, off, s[0:3], 0 offset:32
	buffer_store_dword v4, off, s[0:3], 0 offset:36
.LBB104_251:
	s_or_b64 exec, exec, s[4:5]
	s_waitcnt lgkmcnt(0)
	; wave barrier
	s_waitcnt lgkmcnt(0)
	buffer_load_dword v5, off, s[0:3], 0 offset:44
	buffer_load_dword v14, off, s[0:3], 0 offset:52
	;; [unrolled: 1-line block ×36, first 2 shown]
	ds_read2_b64 v[6:9], v4 offset0:47 offset1:48
	ds_read2_b64 v[10:13], v4 offset0:49 offset1:50
	buffer_load_dword v196, off, s[0:3], 0 offset:176
	buffer_load_dword v197, off, s[0:3], 0 offset:180
	;; [unrolled: 1-line block ×4, first 2 shown]
	ds_read2_b64 v[98:101], v4 offset0:51 offset1:52
	ds_read2_b64 v[102:105], v4 offset0:53 offset1:54
	buffer_load_dword v200, off, s[0:3], 0 offset:192
	buffer_load_dword v201, off, s[0:3], 0 offset:196
	ds_read2_b64 v[106:109], v4 offset0:55 offset1:56
	ds_read2_b64 v[110:113], v4 offset0:57 offset1:58
	buffer_load_dword v202, off, s[0:3], 0 offset:200
	buffer_load_dword v203, off, s[0:3], 0 offset:204
	;; [unrolled: 1-line block ×16, first 2 shown]
	v_cmp_lt_u32_e32 vcc, 3, v0
	s_waitcnt vmcnt(57) lgkmcnt(5)
	v_mul_f32_e32 v15, v6, v5
	s_waitcnt vmcnt(56)
	v_mul_f32_e32 v114, v8, v14
	s_waitcnt vmcnt(55) lgkmcnt(4)
	v_mul_f32_e32 v115, v10, v146
	s_waitcnt vmcnt(54)
	v_mul_f32_e32 v116, v12, v154
	;; [unrolled: 4-line block ×4, first 2 shown]
	s_waitcnt vmcnt(49)
	v_fmac_f32_e32 v15, v7, v170
	s_waitcnt vmcnt(48)
	v_fmac_f32_e32 v114, v9, v171
	v_add_f32_e32 v15, 0, v15
	s_waitcnt vmcnt(47)
	v_fmac_f32_e32 v115, v11, v172
	v_add_f32_e32 v15, v15, v114
	s_waitcnt vmcnt(46)
	v_fmac_f32_e32 v116, v13, v173
	v_add_f32_e32 v15, v15, v115
	s_waitcnt vmcnt(45)
	v_fmac_f32_e32 v117, v99, v174
	v_add_f32_e32 v15, v15, v116
	s_waitcnt vmcnt(44)
	v_fmac_f32_e32 v118, v101, v175
	v_add_f32_e32 v15, v15, v117
	s_waitcnt vmcnt(43)
	v_fmac_f32_e32 v119, v103, v176
	v_add_f32_e32 v15, v15, v118
	s_waitcnt vmcnt(42)
	v_fmac_f32_e32 v120, v105, v177
	v_add_f32_e32 v15, v15, v119
	s_waitcnt vmcnt(41) lgkmcnt(1)
	v_mul_f32_e32 v114, v106, v178
	v_add_f32_e32 v15, v15, v120
	s_waitcnt vmcnt(40)
	v_fmac_f32_e32 v114, v107, v179
	v_add_f32_e32 v15, v15, v114
	s_waitcnt vmcnt(39)
	v_mul_f32_e32 v114, v108, v180
	s_waitcnt vmcnt(38)
	v_fmac_f32_e32 v114, v109, v181
	v_add_f32_e32 v15, v15, v114
	s_waitcnt vmcnt(37) lgkmcnt(0)
	v_mul_f32_e32 v114, v110, v182
	s_waitcnt vmcnt(36)
	v_fmac_f32_e32 v114, v111, v183
	v_add_f32_e32 v15, v15, v114
	ds_read2_b64 v[114:117], v4 offset0:59 offset1:60
	s_waitcnt vmcnt(35)
	v_mul_f32_e32 v118, v112, v184
	s_waitcnt vmcnt(34)
	v_fmac_f32_e32 v118, v113, v185
	v_add_f32_e32 v15, v15, v118
	ds_read2_b64 v[118:121], v4 offset0:61 offset1:62
	s_waitcnt vmcnt(33) lgkmcnt(1)
	v_mul_f32_e32 v122, v114, v186
	s_waitcnt vmcnt(32)
	v_fmac_f32_e32 v122, v115, v187
	v_add_f32_e32 v15, v15, v122
	s_waitcnt vmcnt(31)
	v_mul_f32_e32 v122, v116, v188
	s_waitcnt vmcnt(30)
	v_fmac_f32_e32 v122, v117, v189
	v_add_f32_e32 v15, v15, v122
	s_waitcnt vmcnt(29) lgkmcnt(0)
	v_mul_f32_e32 v122, v118, v190
	s_waitcnt vmcnt(28)
	v_fmac_f32_e32 v122, v119, v191
	v_add_f32_e32 v15, v15, v122
	ds_read2_b64 v[122:125], v4 offset0:63 offset1:64
	s_waitcnt vmcnt(25)
	v_mul_f32_e32 v126, v120, v192
	s_waitcnt vmcnt(24)
	v_fmac_f32_e32 v126, v121, v193
	v_add_f32_e32 v15, v15, v126
	ds_read2_b64 v[126:129], v4 offset0:65 offset1:66
	s_waitcnt vmcnt(22) lgkmcnt(1)
	v_mul_f32_e32 v130, v122, v195
	v_fmac_f32_e32 v130, v123, v194
	v_add_f32_e32 v15, v15, v130
	s_waitcnt vmcnt(20)
	v_mul_f32_e32 v130, v124, v197
	v_fmac_f32_e32 v130, v125, v196
	v_add_f32_e32 v15, v15, v130
	s_waitcnt vmcnt(18) lgkmcnt(0)
	v_mul_f32_e32 v130, v126, v199
	v_fmac_f32_e32 v130, v127, v198
	v_add_f32_e32 v15, v15, v130
	ds_read2_b64 v[130:133], v4 offset0:67 offset1:68
	s_waitcnt vmcnt(16)
	v_mul_f32_e32 v134, v128, v201
	v_fmac_f32_e32 v134, v129, v200
	v_add_f32_e32 v15, v15, v134
	ds_read2_b64 v[134:137], v4 offset0:69 offset1:70
	s_waitcnt vmcnt(14) lgkmcnt(1)
	v_mul_f32_e32 v138, v130, v203
	v_fmac_f32_e32 v138, v131, v202
	v_add_f32_e32 v15, v15, v138
	s_waitcnt vmcnt(12)
	v_mul_f32_e32 v138, v132, v205
	v_fmac_f32_e32 v138, v133, v204
	v_add_f32_e32 v15, v15, v138
	s_waitcnt vmcnt(10) lgkmcnt(0)
	v_mul_f32_e32 v138, v134, v207
	v_fmac_f32_e32 v138, v135, v206
	s_waitcnt vmcnt(8)
	v_mul_f32_e32 v142, v136, v209
	v_add_f32_e32 v15, v15, v138
	v_fmac_f32_e32 v142, v137, v208
	ds_read2_b64 v[138:141], v4 offset0:71 offset1:72
	v_add_f32_e32 v15, v15, v142
	ds_read2_b64 v[142:145], v4 offset0:73 offset1:74
	buffer_load_dword v149, off, s[0:3], 0 offset:284
	buffer_load_dword v148, off, s[0:3], 0 offset:280
	;; [unrolled: 1-line block ×16, first 2 shown]
	v_mul_f32_e32 v5, v7, v5
	v_fma_f32 v5, v6, v170, -v5
	v_mul_f32_e32 v6, v9, v14
	v_add_f32_e32 v5, 0, v5
	v_fma_f32 v6, v8, v171, -v6
	v_add_f32_e32 v5, v5, v6
	v_mul_f32_e32 v6, v11, v146
	v_fma_f32 v6, v10, v172, -v6
	v_add_f32_e32 v5, v5, v6
	v_mul_f32_e32 v6, v13, v154
	;; [unrolled: 3-line block ×22, first 2 shown]
	v_fma_f32 v6, v136, v208, -v6
	s_waitcnt vmcnt(22) lgkmcnt(1)
	v_mul_f32_e32 v147, v138, v211
	v_add_f32_e32 v5, v5, v6
	v_mul_f32_e32 v6, v139, v211
	v_fmac_f32_e32 v147, v139, v210
	v_fma_f32 v6, v138, v210, -v6
	v_add_f32_e32 v15, v15, v147
	s_waitcnt vmcnt(20)
	v_mul_f32_e32 v147, v140, v213
	v_add_f32_e32 v5, v5, v6
	v_mul_f32_e32 v6, v141, v213
	v_fmac_f32_e32 v147, v141, v212
	v_fma_f32 v6, v140, v212, -v6
	v_add_f32_e32 v15, v15, v147
	s_waitcnt vmcnt(18) lgkmcnt(0)
	v_mul_f32_e32 v147, v142, v215
	v_add_f32_e32 v14, v5, v6
	v_mul_f32_e32 v5, v143, v215
	v_fmac_f32_e32 v147, v143, v214
	v_fma_f32 v146, v142, v214, -v5
	s_waitcnt vmcnt(16)
	v_mul_f32_e32 v5, v145, v217
	ds_read2_b64 v[6:9], v4 offset0:75 offset1:76
	ds_read2_b64 v[10:13], v4 offset0:77 offset1:78
	;; [unrolled: 1-line block ×4, first 2 shown]
	v_fma_f32 v154, v144, v216, -v5
	v_pk_add_f32 v[4:5], v[14:15], v[146:147]
	s_waitcnt vmcnt(11)
	v_mov_b32_e32 v14, v153
	s_waitcnt lgkmcnt(3)
	v_pk_mul_f32 v[14:15], v[6:7], v[14:15] op_sel_hi:[1,0]
	s_waitcnt vmcnt(10)
	v_pk_fma_f32 v[106:107], v[6:7], v[152:153], v[14:15] op_sel:[0,0,1] op_sel_hi:[1,1,0] neg_lo:[0,0,1] neg_hi:[0,0,1]
	v_pk_fma_f32 v[6:7], v[6:7], v[152:153], v[14:15] op_sel:[0,0,1] op_sel_hi:[1,0,0]
	v_mov_b32_e32 v6, v151
	v_mov_b32_e32 v107, v7
	v_pk_mul_f32 v[6:7], v[8:9], v[6:7] op_sel_hi:[1,0]
	v_pk_fma_f32 v[14:15], v[8:9], v[150:151], v[6:7] op_sel:[0,0,1] op_sel_hi:[1,1,0] neg_lo:[0,0,1] neg_hi:[0,0,1]
	v_pk_fma_f32 v[6:7], v[8:9], v[150:151], v[6:7] op_sel:[0,0,1] op_sel_hi:[1,0,0]
	v_mul_f32_e32 v155, v144, v217
	v_mov_b32_e32 v6, v149
	v_fmac_f32_e32 v155, v145, v216
	v_mov_b32_e32 v15, v7
	s_waitcnt lgkmcnt(2)
	v_pk_mul_f32 v[6:7], v[10:11], v[6:7] op_sel_hi:[1,0]
	v_pk_add_f32 v[4:5], v[4:5], v[154:155]
	v_pk_fma_f32 v[8:9], v[10:11], v[148:149], v[6:7] op_sel:[0,0,1] op_sel_hi:[1,1,0] neg_lo:[0,0,1] neg_hi:[0,0,1]
	v_pk_fma_f32 v[6:7], v[10:11], v[148:149], v[6:7] op_sel:[0,0,1] op_sel_hi:[1,0,0]
	v_pk_add_f32 v[4:5], v[4:5], v[106:107]
	s_waitcnt vmcnt(3)
	v_mov_b32_e32 v6, v163
	v_pk_add_f32 v[4:5], v[4:5], v[14:15]
	v_mov_b32_e32 v9, v7
	v_pk_mul_f32 v[6:7], v[12:13], v[6:7] op_sel_hi:[1,0]
	v_pk_add_f32 v[4:5], v[4:5], v[8:9]
	s_waitcnt vmcnt(2)
	v_pk_fma_f32 v[8:9], v[12:13], v[162:163], v[6:7] op_sel:[0,0,1] op_sel_hi:[1,1,0] neg_lo:[0,0,1] neg_hi:[0,0,1]
	v_pk_fma_f32 v[6:7], v[12:13], v[162:163], v[6:7] op_sel:[0,0,1] op_sel_hi:[1,0,0]
	v_mov_b32_e32 v6, v161
	v_mov_b32_e32 v9, v7
	s_waitcnt lgkmcnt(1)
	v_pk_mul_f32 v[6:7], v[98:99], v[6:7] op_sel_hi:[1,0]
	v_pk_add_f32 v[4:5], v[4:5], v[8:9]
	v_pk_fma_f32 v[8:9], v[98:99], v[160:161], v[6:7] op_sel:[0,0,1] op_sel_hi:[1,1,0] neg_lo:[0,0,1] neg_hi:[0,0,1]
	v_pk_fma_f32 v[6:7], v[98:99], v[160:161], v[6:7] op_sel:[0,0,1] op_sel_hi:[1,0,0]
	v_mov_b32_e32 v6, v159
	v_mov_b32_e32 v9, v7
	v_pk_mul_f32 v[6:7], v[100:101], v[6:7] op_sel_hi:[1,0]
	v_pk_add_f32 v[4:5], v[4:5], v[8:9]
	v_pk_fma_f32 v[8:9], v[100:101], v[158:159], v[6:7] op_sel:[0,0,1] op_sel_hi:[1,1,0] neg_lo:[0,0,1] neg_hi:[0,0,1]
	v_pk_fma_f32 v[6:7], v[100:101], v[158:159], v[6:7] op_sel:[0,0,1] op_sel_hi:[1,0,0]
	v_mov_b32_e32 v6, v157
	v_mov_b32_e32 v9, v7
	s_waitcnt lgkmcnt(0)
	v_pk_mul_f32 v[6:7], v[102:103], v[6:7] op_sel_hi:[1,0]
	v_pk_add_f32 v[4:5], v[4:5], v[8:9]
	v_pk_fma_f32 v[8:9], v[102:103], v[156:157], v[6:7] op_sel:[0,0,1] op_sel_hi:[1,1,0] neg_lo:[0,0,1] neg_hi:[0,0,1]
	v_pk_fma_f32 v[6:7], v[102:103], v[156:157], v[6:7] op_sel:[0,0,1] op_sel_hi:[1,0,0]
	s_waitcnt vmcnt(1)
	v_mov_b32_e32 v6, v165
	v_mov_b32_e32 v9, v7
	v_pk_mul_f32 v[6:7], v[104:105], v[6:7] op_sel_hi:[1,0]
	v_pk_add_f32 v[4:5], v[4:5], v[8:9]
	s_waitcnt vmcnt(0)
	v_pk_fma_f32 v[8:9], v[104:105], v[164:165], v[6:7] op_sel:[0,0,1] op_sel_hi:[1,1,0] neg_lo:[0,0,1] neg_hi:[0,0,1]
	v_pk_fma_f32 v[6:7], v[104:105], v[164:165], v[6:7] op_sel:[0,0,1] op_sel_hi:[1,0,0]
	v_mov_b32_e32 v9, v7
	v_pk_add_f32 v[4:5], v[4:5], v[8:9]
	v_pk_add_f32 v[2:3], v[2:3], v[4:5] neg_lo:[0,1] neg_hi:[0,1]
	buffer_store_dword v3, off, s[0:3], 0 offset:36
	buffer_store_dword v2, off, s[0:3], 0 offset:32
	s_and_saveexec_b64 s[4:5], vcc
	s_cbranch_execz .LBB104_253
; %bb.252:
	buffer_load_dword v2, off, s[0:3], 0 offset:24
	buffer_load_dword v3, off, s[0:3], 0 offset:28
	v_mov_b32_e32 v4, 0
	buffer_store_dword v4, off, s[0:3], 0 offset:24
	buffer_store_dword v4, off, s[0:3], 0 offset:28
	s_waitcnt vmcnt(2)
	ds_write_b64 v1, v[2:3]
.LBB104_253:
	s_or_b64 exec, exec, s[4:5]
	s_waitcnt lgkmcnt(0)
	; wave barrier
	s_waitcnt lgkmcnt(0)
	buffer_load_dword v99, off, s[0:3], 0 offset:36
	buffer_load_dword v152, off, s[0:3], 0 offset:44
	buffer_load_dword v158, off, s[0:3], 0 offset:52
	buffer_load_dword v160, off, s[0:3], 0 offset:60
	buffer_load_dword v174, off, s[0:3], 0 offset:68
	buffer_load_dword v175, off, s[0:3], 0 offset:76
	buffer_load_dword v176, off, s[0:3], 0 offset:84
	buffer_load_dword v177, off, s[0:3], 0 offset:32
	buffer_load_dword v178, off, s[0:3], 0 offset:40
	buffer_load_dword v179, off, s[0:3], 0 offset:48
	buffer_load_dword v180, off, s[0:3], 0 offset:56
	buffer_load_dword v181, off, s[0:3], 0 offset:64
	buffer_load_dword v182, off, s[0:3], 0 offset:72
	buffer_load_dword v183, off, s[0:3], 0 offset:80
	buffer_load_dword v184, off, s[0:3], 0 offset:92
	buffer_load_dword v185, off, s[0:3], 0 offset:88
	buffer_load_dword v186, off, s[0:3], 0 offset:100
	buffer_load_dword v187, off, s[0:3], 0 offset:96
	buffer_load_dword v188, off, s[0:3], 0 offset:108
	buffer_load_dword v189, off, s[0:3], 0 offset:104
	buffer_load_dword v190, off, s[0:3], 0 offset:116
	buffer_load_dword v191, off, s[0:3], 0 offset:112
	buffer_load_dword v192, off, s[0:3], 0 offset:124
	buffer_load_dword v193, off, s[0:3], 0 offset:120
	buffer_load_dword v194, off, s[0:3], 0 offset:128
	buffer_load_dword v195, off, s[0:3], 0 offset:132
	buffer_load_dword v6, off, s[0:3], 0 offset:24
	buffer_load_dword v7, off, s[0:3], 0 offset:28
	buffer_load_dword v196, off, s[0:3], 0 offset:140
	buffer_load_dword v197, off, s[0:3], 0 offset:136
	buffer_load_dword v198, off, s[0:3], 0 offset:144
	buffer_load_dword v199, off, s[0:3], 0 offset:148
	buffer_load_dword v200, off, s[0:3], 0 offset:152
	buffer_load_dword v201, off, s[0:3], 0 offset:156
	buffer_load_dword v202, off, s[0:3], 0 offset:160
	buffer_load_dword v203, off, s[0:3], 0 offset:164
	buffer_load_dword v204, off, s[0:3], 0 offset:168
	buffer_load_dword v205, off, s[0:3], 0 offset:172
	buffer_load_dword v206, off, s[0:3], 0 offset:176
	buffer_load_dword v207, off, s[0:3], 0 offset:180
	buffer_load_dword v208, off, s[0:3], 0 offset:184
	buffer_load_dword v209, off, s[0:3], 0 offset:188
	buffer_load_dword v210, off, s[0:3], 0 offset:192
	buffer_load_dword v211, off, s[0:3], 0 offset:196
	buffer_load_dword v212, off, s[0:3], 0 offset:200
	buffer_load_dword v213, off, s[0:3], 0 offset:204
	buffer_load_dword v214, off, s[0:3], 0 offset:208
	buffer_load_dword v215, off, s[0:3], 0 offset:212
	buffer_load_dword v216, off, s[0:3], 0 offset:216
	buffer_load_dword v217, off, s[0:3], 0 offset:220
	buffer_load_dword v218, off, s[0:3], 0 offset:224
	buffer_load_dword v219, off, s[0:3], 0 offset:228
	buffer_load_dword v220, off, s[0:3], 0 offset:232
	buffer_load_dword v221, off, s[0:3], 0 offset:236
	buffer_load_dword v222, off, s[0:3], 0 offset:240
	buffer_load_dword v223, off, s[0:3], 0 offset:244
	v_mov_b32_e32 v98, 0
	ds_read_b128 v[2:5], v98 offset:368
	buffer_load_dword v224, off, s[0:3], 0 offset:248
	buffer_load_dword v225, off, s[0:3], 0 offset:252
	;; [unrolled: 1-line block ×4, first 2 shown]
	ds_read_b128 v[8:11], v98 offset:384
	ds_read_b128 v[12:15], v98 offset:400
	;; [unrolled: 1-line block ×3, first 2 shown]
	v_cmp_lt_u32_e32 vcc, 2, v0
	s_waitcnt vmcnt(59) lgkmcnt(3)
	v_mul_f32_e32 v104, v2, v99
	s_waitcnt vmcnt(58)
	v_mul_f32_e32 v105, v4, v152
	s_waitcnt vmcnt(57) lgkmcnt(2)
	v_mul_f32_e32 v106, v8, v158
	s_waitcnt vmcnt(56)
	v_mul_f32_e32 v107, v10, v160
	;; [unrolled: 4-line block ×3, first 2 shown]
	s_waitcnt vmcnt(53) lgkmcnt(0)
	v_mul_f32_e32 v110, v100, v176
	s_waitcnt vmcnt(52)
	v_fmac_f32_e32 v104, v3, v177
	s_waitcnt vmcnt(51)
	v_fmac_f32_e32 v105, v5, v178
	v_add_f32_e32 v104, 0, v104
	s_waitcnt vmcnt(50)
	v_fmac_f32_e32 v106, v9, v179
	v_add_f32_e32 v104, v104, v105
	;; [unrolled: 3-line block ×6, first 2 shown]
	v_add_f32_e32 v108, v104, v110
	ds_read_b128 v[104:107], v98 offset:432
	s_waitcnt vmcnt(45)
	v_mul_f32_e32 v109, v102, v184
	s_waitcnt vmcnt(44)
	v_fmac_f32_e32 v109, v103, v185
	v_add_f32_e32 v112, v108, v109
	ds_read_b128 v[108:111], v98 offset:448
	s_waitcnt vmcnt(43) lgkmcnt(1)
	v_mul_f32_e32 v113, v104, v186
	s_waitcnt vmcnt(42)
	v_fmac_f32_e32 v113, v105, v187
	v_add_f32_e32 v112, v112, v113
	s_waitcnt vmcnt(41)
	v_mul_f32_e32 v113, v106, v188
	s_waitcnt vmcnt(40)
	v_fmac_f32_e32 v113, v107, v189
	v_add_f32_e32 v112, v112, v113
	s_waitcnt vmcnt(39) lgkmcnt(0)
	v_mul_f32_e32 v113, v108, v190
	s_waitcnt vmcnt(38)
	v_fmac_f32_e32 v113, v109, v191
	v_add_f32_e32 v116, v112, v113
	ds_read_b128 v[112:115], v98 offset:464
	s_waitcnt vmcnt(37)
	v_mul_f32_e32 v117, v110, v192
	s_waitcnt vmcnt(36)
	v_fmac_f32_e32 v117, v111, v193
	v_add_f32_e32 v120, v116, v117
	ds_read_b128 v[116:119], v98 offset:480
	s_waitcnt vmcnt(34) lgkmcnt(1)
	v_mul_f32_e32 v121, v112, v195
	v_fmac_f32_e32 v121, v113, v194
	v_add_f32_e32 v120, v120, v121
	s_waitcnt vmcnt(31)
	v_mul_f32_e32 v121, v114, v196
	s_waitcnt vmcnt(30)
	v_fmac_f32_e32 v121, v115, v197
	v_add_f32_e32 v120, v120, v121
	s_waitcnt vmcnt(28) lgkmcnt(0)
	v_mul_f32_e32 v121, v116, v199
	v_fmac_f32_e32 v121, v117, v198
	v_add_f32_e32 v124, v120, v121
	ds_read_b128 v[120:123], v98 offset:496
	s_waitcnt vmcnt(26)
	v_mul_f32_e32 v125, v118, v201
	v_fmac_f32_e32 v125, v119, v200
	v_add_f32_e32 v128, v124, v125
	ds_read_b128 v[124:127], v98 offset:512
	s_waitcnt vmcnt(24) lgkmcnt(1)
	v_mul_f32_e32 v129, v120, v203
	v_fmac_f32_e32 v129, v121, v202
	v_add_f32_e32 v128, v128, v129
	s_waitcnt vmcnt(22)
	v_mul_f32_e32 v129, v122, v205
	v_fmac_f32_e32 v129, v123, v204
	v_add_f32_e32 v128, v128, v129
	s_waitcnt vmcnt(20) lgkmcnt(0)
	v_mul_f32_e32 v129, v124, v207
	v_fmac_f32_e32 v129, v125, v206
	v_add_f32_e32 v132, v128, v129
	ds_read_b128 v[128:131], v98 offset:528
	s_waitcnt vmcnt(18)
	v_mul_f32_e32 v133, v126, v209
	v_fmac_f32_e32 v133, v127, v208
	v_add_f32_e32 v136, v132, v133
	ds_read_b128 v[132:135], v98 offset:544
	s_waitcnt vmcnt(16) lgkmcnt(1)
	v_mul_f32_e32 v137, v128, v211
	v_fmac_f32_e32 v137, v129, v210
	v_add_f32_e32 v136, v136, v137
	s_waitcnt vmcnt(14)
	v_mul_f32_e32 v137, v130, v213
	v_fmac_f32_e32 v137, v131, v212
	v_add_f32_e32 v136, v136, v137
	s_waitcnt vmcnt(12) lgkmcnt(0)
	v_mul_f32_e32 v137, v132, v215
	v_fmac_f32_e32 v137, v133, v214
	v_add_f32_e32 v140, v136, v137
	ds_read_b128 v[136:139], v98 offset:560
	s_waitcnt vmcnt(10)
	v_mul_f32_e32 v141, v134, v217
	v_fmac_f32_e32 v141, v135, v216
	v_add_f32_e32 v144, v140, v141
	ds_read_b128 v[140:143], v98 offset:576
	s_waitcnt vmcnt(8) lgkmcnt(1)
	v_mul_f32_e32 v145, v136, v219
	v_fmac_f32_e32 v145, v137, v218
	v_add_f32_e32 v144, v144, v145
	s_waitcnt vmcnt(6)
	v_mul_f32_e32 v145, v138, v221
	v_fmac_f32_e32 v145, v139, v220
	v_add_f32_e32 v144, v144, v145
	s_waitcnt vmcnt(4) lgkmcnt(0)
	v_mul_f32_e32 v145, v140, v223
	v_fmac_f32_e32 v145, v141, v222
	v_add_f32_e32 v153, v144, v145
	ds_read_b128 v[144:147], v98 offset:592
	buffer_load_dword v155, off, s[0:3], 0 offset:276
	buffer_load_dword v154, off, s[0:3], 0 offset:272
	;; [unrolled: 1-line block ×4, first 2 shown]
	ds_read_b128 v[148:151], v98 offset:608
	buffer_load_dword v163, off, s[0:3], 0 offset:308
	buffer_load_dword v162, off, s[0:3], 0 offset:304
	;; [unrolled: 1-line block ×12, first 2 shown]
	v_mul_f32_e32 v3, v3, v99
	v_fma_f32 v2, v2, v177, -v3
	v_mul_f32_e32 v3, v5, v152
	v_add_f32_e32 v2, 0, v2
	v_fma_f32 v3, v4, v178, -v3
	v_add_f32_e32 v2, v2, v3
	v_mul_f32_e32 v3, v9, v158
	v_fma_f32 v3, v8, v179, -v3
	v_add_f32_e32 v2, v2, v3
	v_mul_f32_e32 v3, v11, v160
	;; [unrolled: 3-line block ×25, first 2 shown]
	v_fma_f32 v3, v140, v222, -v3
	s_waitcnt vmcnt(13)
	v_mov_b32_e32 v100, v157
	v_mul_f32_e32 v159, v142, v225
	v_add_f32_e32 v152, v2, v3
	v_mul_f32_e32 v2, v143, v225
	s_waitcnt lgkmcnt(1)
	v_pk_mul_f32 v[100:101], v[146:147], v[100:101] op_sel_hi:[1,0]
	v_fmac_f32_e32 v159, v143, v224
	v_mul_f32_e32 v161, v144, v227
	v_fma_f32 v158, v142, v224, -v2
	v_mul_f32_e32 v2, v145, v227
	s_waitcnt vmcnt(12)
	v_pk_fma_f32 v[102:103], v[146:147], v[156:157], v[100:101] op_sel:[0,0,1] op_sel_hi:[1,1,0] neg_lo:[0,0,1] neg_hi:[0,0,1]
	v_pk_fma_f32 v[100:101], v[146:147], v[156:157], v[100:101] op_sel:[0,0,1] op_sel_hi:[1,0,0]
	v_fmac_f32_e32 v161, v145, v226
	v_fma_f32 v160, v144, v226, -v2
	v_pk_add_f32 v[14:15], v[152:153], v[158:159]
	v_mov_b32_e32 v100, v155
	v_pk_add_f32 v[14:15], v[14:15], v[160:161]
	v_mov_b32_e32 v103, v101
	s_waitcnt lgkmcnt(0)
	v_pk_mul_f32 v[100:101], v[148:149], v[100:101] op_sel_hi:[1,0]
	v_pk_add_f32 v[14:15], v[14:15], v[102:103]
	v_pk_fma_f32 v[102:103], v[148:149], v[154:155], v[100:101] op_sel:[0,0,1] op_sel_hi:[1,1,0] neg_lo:[0,0,1] neg_hi:[0,0,1]
	v_pk_fma_f32 v[100:101], v[148:149], v[154:155], v[100:101] op_sel:[0,0,1] op_sel_hi:[1,0,0]
	s_waitcnt vmcnt(5)
	v_mov_b32_e32 v100, v169
	ds_read_b128 v[2:5], v98 offset:624
	ds_read_b128 v[8:11], v98 offset:640
	ds_read_b64 v[12:13], v98 offset:656
	v_mov_b32_e32 v103, v101
	v_pk_mul_f32 v[100:101], v[150:151], v[100:101] op_sel_hi:[1,0]
	v_pk_add_f32 v[14:15], v[14:15], v[102:103]
	s_waitcnt vmcnt(4)
	v_pk_fma_f32 v[102:103], v[150:151], v[168:169], v[100:101] op_sel:[0,0,1] op_sel_hi:[1,1,0] neg_lo:[0,0,1] neg_hi:[0,0,1]
	v_pk_fma_f32 v[100:101], v[150:151], v[168:169], v[100:101] op_sel:[0,0,1] op_sel_hi:[1,0,0]
	v_mov_b32_e32 v100, v167
	v_mov_b32_e32 v103, v101
	s_waitcnt lgkmcnt(2)
	v_pk_mul_f32 v[100:101], v[2:3], v[100:101] op_sel_hi:[1,0]
	v_pk_add_f32 v[14:15], v[14:15], v[102:103]
	v_pk_fma_f32 v[102:103], v[2:3], v[166:167], v[100:101] op_sel:[0,0,1] op_sel_hi:[1,1,0] neg_lo:[0,0,1] neg_hi:[0,0,1]
	v_pk_fma_f32 v[2:3], v[2:3], v[166:167], v[100:101] op_sel:[0,0,1] op_sel_hi:[1,0,0]
	v_mov_b32_e32 v103, v3
	v_pk_add_f32 v[2:3], v[14:15], v[102:103]
	v_mov_b32_e32 v14, v165
	v_pk_mul_f32 v[14:15], v[4:5], v[14:15] op_sel_hi:[1,0]
	v_pk_fma_f32 v[100:101], v[4:5], v[164:165], v[14:15] op_sel:[0,0,1] op_sel_hi:[1,1,0] neg_lo:[0,0,1] neg_hi:[0,0,1]
	v_pk_fma_f32 v[4:5], v[4:5], v[164:165], v[14:15] op_sel:[0,0,1] op_sel_hi:[1,0,0]
	v_mov_b32_e32 v4, v163
	v_mov_b32_e32 v101, v5
	s_waitcnt lgkmcnt(1)
	v_pk_mul_f32 v[4:5], v[8:9], v[4:5] op_sel_hi:[1,0]
	v_pk_fma_f32 v[14:15], v[8:9], v[162:163], v[4:5] op_sel:[0,0,1] op_sel_hi:[1,1,0] neg_lo:[0,0,1] neg_hi:[0,0,1]
	v_pk_fma_f32 v[4:5], v[8:9], v[162:163], v[4:5] op_sel:[0,0,1] op_sel_hi:[1,0,0]
	s_waitcnt vmcnt(1)
	v_mov_b32_e32 v4, v173
	v_mov_b32_e32 v15, v5
	v_pk_mul_f32 v[4:5], v[10:11], v[4:5] op_sel_hi:[1,0]
	s_waitcnt vmcnt(0)
	v_pk_fma_f32 v[8:9], v[10:11], v[172:173], v[4:5] op_sel:[0,0,1] op_sel_hi:[1,1,0] neg_lo:[0,0,1] neg_hi:[0,0,1]
	v_pk_fma_f32 v[4:5], v[10:11], v[172:173], v[4:5] op_sel:[0,0,1] op_sel_hi:[1,0,0]
	v_pk_add_f32 v[2:3], v[2:3], v[100:101]
	v_mov_b32_e32 v4, v171
	v_pk_add_f32 v[2:3], v[2:3], v[14:15]
	v_mov_b32_e32 v9, v5
	s_waitcnt lgkmcnt(0)
	v_pk_mul_f32 v[4:5], v[12:13], v[4:5] op_sel_hi:[1,0]
	v_pk_add_f32 v[2:3], v[2:3], v[8:9]
	v_pk_fma_f32 v[8:9], v[12:13], v[170:171], v[4:5] op_sel:[0,0,1] op_sel_hi:[1,1,0] neg_lo:[0,0,1] neg_hi:[0,0,1]
	v_pk_fma_f32 v[4:5], v[12:13], v[170:171], v[4:5] op_sel:[0,0,1] op_sel_hi:[1,0,0]
	v_mov_b32_e32 v9, v5
	v_pk_add_f32 v[2:3], v[2:3], v[8:9]
	v_pk_add_f32 v[2:3], v[6:7], v[2:3] neg_lo:[0,1] neg_hi:[0,1]
	buffer_store_dword v3, off, s[0:3], 0 offset:28
	buffer_store_dword v2, off, s[0:3], 0 offset:24
	s_and_saveexec_b64 s[4:5], vcc
	s_cbranch_execz .LBB104_255
; %bb.254:
	buffer_load_dword v2, off, s[0:3], 0 offset:16
	buffer_load_dword v3, off, s[0:3], 0 offset:20
	s_waitcnt vmcnt(0)
	ds_write_b64 v1, v[2:3]
	buffer_store_dword v98, off, s[0:3], 0 offset:16
	buffer_store_dword v98, off, s[0:3], 0 offset:20
.LBB104_255:
	s_or_b64 exec, exec, s[4:5]
	s_waitcnt lgkmcnt(0)
	; wave barrier
	s_waitcnt lgkmcnt(0)
	buffer_load_dword v99, off, s[0:3], 0 offset:28
	buffer_load_dword v154, off, s[0:3], 0 offset:36
	;; [unrolled: 1-line block ×32, first 2 shown]
	ds_read2_b64 v[100:103], v98 offset0:45 offset1:46
	ds_read2_b64 v[6:9], v98 offset0:47 offset1:48
	buffer_load_dword v200, off, s[0:3], 0 offset:144
	buffer_load_dword v201, off, s[0:3], 0 offset:148
	ds_read2_b64 v[10:13], v98 offset0:49 offset1:50
	ds_read2_b64 v[2:5], v98 offset0:51 offset1:52
	buffer_load_dword v202, off, s[0:3], 0 offset:152
	buffer_load_dword v203, off, s[0:3], 0 offset:156
	;; [unrolled: 1-line block ×28, first 2 shown]
	v_cmp_lt_u32_e32 vcc, 1, v0
	s_waitcnt vmcnt(61) lgkmcnt(3)
	v_mul_f32_e32 v104, v100, v99
	s_waitcnt vmcnt(60)
	v_mul_f32_e32 v105, v102, v154
	s_waitcnt vmcnt(59) lgkmcnt(2)
	v_mul_f32_e32 v106, v6, v156
	s_waitcnt vmcnt(58)
	v_mul_f32_e32 v107, v8, v158
	;; [unrolled: 4-line block ×3, first 2 shown]
	s_waitcnt vmcnt(55) lgkmcnt(0)
	v_mul_f32_e32 v110, v2, v176
	s_waitcnt vmcnt(54)
	v_fmac_f32_e32 v104, v101, v177
	s_waitcnt vmcnt(53)
	v_fmac_f32_e32 v105, v103, v178
	v_add_f32_e32 v104, 0, v104
	s_waitcnt vmcnt(52)
	v_fmac_f32_e32 v106, v7, v179
	v_add_f32_e32 v104, v104, v105
	;; [unrolled: 3-line block ×6, first 2 shown]
	v_add_f32_e32 v108, v104, v110
	ds_read2_b64 v[104:107], v98 offset0:53 offset1:54
	s_waitcnt vmcnt(47)
	v_mul_f32_e32 v109, v4, v184
	s_waitcnt vmcnt(46)
	v_fmac_f32_e32 v109, v5, v185
	v_add_f32_e32 v112, v108, v109
	ds_read2_b64 v[108:111], v98 offset0:55 offset1:56
	s_waitcnt vmcnt(45) lgkmcnt(1)
	v_mul_f32_e32 v113, v104, v186
	s_waitcnt vmcnt(44)
	v_fmac_f32_e32 v113, v105, v187
	v_add_f32_e32 v112, v112, v113
	s_waitcnt vmcnt(43)
	v_mul_f32_e32 v113, v106, v188
	s_waitcnt vmcnt(42)
	v_fmac_f32_e32 v113, v107, v189
	v_add_f32_e32 v112, v112, v113
	s_waitcnt vmcnt(41) lgkmcnt(0)
	v_mul_f32_e32 v113, v108, v190
	s_waitcnt vmcnt(40)
	v_fmac_f32_e32 v113, v109, v191
	v_add_f32_e32 v116, v112, v113
	ds_read2_b64 v[112:115], v98 offset0:57 offset1:58
	s_waitcnt vmcnt(39)
	v_mul_f32_e32 v117, v110, v192
	s_waitcnt vmcnt(38)
	v_fmac_f32_e32 v117, v111, v193
	v_add_f32_e32 v120, v116, v117
	ds_read2_b64 v[116:119], v98 offset0:59 offset1:60
	s_waitcnt vmcnt(35) lgkmcnt(1)
	v_mul_f32_e32 v121, v112, v194
	s_waitcnt vmcnt(34)
	v_fmac_f32_e32 v121, v113, v195
	v_add_f32_e32 v120, v120, v121
	s_waitcnt vmcnt(32)
	v_mul_f32_e32 v121, v114, v197
	v_fmac_f32_e32 v121, v115, v196
	v_add_f32_e32 v120, v120, v121
	s_waitcnt vmcnt(30) lgkmcnt(0)
	v_mul_f32_e32 v121, v116, v199
	v_fmac_f32_e32 v121, v117, v198
	v_add_f32_e32 v124, v120, v121
	ds_read2_b64 v[120:123], v98 offset0:61 offset1:62
	s_waitcnt vmcnt(28)
	v_mul_f32_e32 v125, v118, v201
	v_fmac_f32_e32 v125, v119, v200
	v_add_f32_e32 v128, v124, v125
	ds_read2_b64 v[124:127], v98 offset0:63 offset1:64
	s_waitcnt vmcnt(26) lgkmcnt(1)
	v_mul_f32_e32 v129, v120, v203
	v_fmac_f32_e32 v129, v121, v202
	v_add_f32_e32 v128, v128, v129
	s_waitcnt vmcnt(24)
	v_mul_f32_e32 v129, v122, v205
	v_fmac_f32_e32 v129, v123, v204
	v_add_f32_e32 v128, v128, v129
	s_waitcnt vmcnt(22) lgkmcnt(0)
	v_mul_f32_e32 v129, v124, v207
	v_fmac_f32_e32 v129, v125, v206
	v_add_f32_e32 v132, v128, v129
	ds_read2_b64 v[128:131], v98 offset0:65 offset1:66
	s_waitcnt vmcnt(20)
	v_mul_f32_e32 v133, v126, v209
	v_fmac_f32_e32 v133, v127, v208
	v_add_f32_e32 v136, v132, v133
	ds_read2_b64 v[132:135], v98 offset0:67 offset1:68
	s_waitcnt vmcnt(18) lgkmcnt(1)
	v_mul_f32_e32 v137, v128, v211
	v_fmac_f32_e32 v137, v129, v210
	v_add_f32_e32 v136, v136, v137
	s_waitcnt vmcnt(16)
	v_mul_f32_e32 v137, v130, v213
	v_fmac_f32_e32 v137, v131, v212
	v_add_f32_e32 v136, v136, v137
	s_waitcnt vmcnt(14) lgkmcnt(0)
	v_mul_f32_e32 v137, v132, v215
	v_fmac_f32_e32 v137, v133, v214
	v_add_f32_e32 v140, v136, v137
	ds_read2_b64 v[136:139], v98 offset0:69 offset1:70
	s_waitcnt vmcnt(12)
	v_mul_f32_e32 v141, v134, v217
	v_fmac_f32_e32 v141, v135, v216
	v_add_f32_e32 v144, v140, v141
	ds_read2_b64 v[140:143], v98 offset0:71 offset1:72
	buffer_load_dword v153, off, s[0:3], 0 offset:268
	buffer_load_dword v152, off, s[0:3], 0 offset:264
	s_waitcnt vmcnt(12) lgkmcnt(1)
	v_mul_f32_e32 v145, v136, v219
	v_fmac_f32_e32 v145, v137, v218
	v_add_f32_e32 v144, v144, v145
	s_waitcnt vmcnt(10)
	v_mul_f32_e32 v145, v138, v221
	v_fmac_f32_e32 v145, v139, v220
	v_add_f32_e32 v144, v144, v145
	s_waitcnt vmcnt(8) lgkmcnt(0)
	v_mul_f32_e32 v145, v140, v223
	v_fmac_f32_e32 v145, v141, v222
	s_waitcnt vmcnt(6)
	v_mul_f32_e32 v149, v142, v225
	v_add_f32_e32 v148, v144, v145
	v_fmac_f32_e32 v149, v143, v224
	ds_read2_b64 v[144:147], v98 offset0:73 offset1:74
	v_add_f32_e32 v155, v148, v149
	ds_read2_b64 v[148:151], v98 offset0:75 offset1:76
	buffer_load_dword v161, off, s[0:3], 0 offset:300
	buffer_load_dword v160, off, s[0:3], 0 offset:296
	;; [unrolled: 1-line block ×14, first 2 shown]
	v_mul_f32_e32 v99, v101, v99
	v_fma_f32 v99, v100, v177, -v99
	v_mul_f32_e32 v100, v103, v154
	v_add_f32_e32 v99, 0, v99
	v_fma_f32 v100, v102, v178, -v100
	v_mul_f32_e32 v7, v7, v156
	v_add_f32_e32 v99, v99, v100
	;; [unrolled: 3-line block ×3, first 2 shown]
	v_fma_f32 v7, v8, v180, -v7
	v_add_f32_e32 v6, v6, v7
	v_mul_f32_e32 v7, v11, v174
	v_fma_f32 v7, v10, v181, -v7
	v_add_f32_e32 v6, v6, v7
	v_mul_f32_e32 v7, v13, v175
	v_fma_f32 v7, v12, v182, -v7
	v_mul_f32_e32 v3, v3, v176
	v_add_f32_e32 v6, v6, v7
	v_fma_f32 v2, v2, v183, -v3
	v_mul_f32_e32 v3, v5, v184
	v_add_f32_e32 v2, v6, v2
	v_fma_f32 v3, v4, v185, -v3
	v_add_f32_e32 v2, v2, v3
	v_mul_f32_e32 v3, v105, v186
	v_fma_f32 v3, v104, v187, -v3
	v_add_f32_e32 v2, v2, v3
	v_mul_f32_e32 v3, v107, v188
	;; [unrolled: 3-line block ×20, first 2 shown]
	v_fma_f32 v3, v142, v224, -v3
	s_waitcnt vmcnt(15)
	v_mov_b32_e32 v100, v153
	s_waitcnt lgkmcnt(1)
	v_mul_f32_e32 v157, v144, v227
	v_add_f32_e32 v154, v2, v3
	v_mul_f32_e32 v2, v145, v227
	s_waitcnt lgkmcnt(0)
	v_pk_mul_f32 v[100:101], v[148:149], v[100:101] op_sel_hi:[1,0]
	v_fmac_f32_e32 v157, v145, v226
	v_mul_f32_e32 v159, v146, v229
	v_fma_f32 v156, v144, v226, -v2
	v_mul_f32_e32 v2, v147, v229
	s_waitcnt vmcnt(14)
	v_pk_fma_f32 v[102:103], v[148:149], v[152:153], v[100:101] op_sel:[0,0,1] op_sel_hi:[1,1,0] neg_lo:[0,0,1] neg_hi:[0,0,1]
	v_pk_fma_f32 v[100:101], v[148:149], v[152:153], v[100:101] op_sel:[0,0,1] op_sel_hi:[1,0,0]
	v_fmac_f32_e32 v159, v147, v228
	v_fma_f32 v158, v146, v228, -v2
	ds_read2_b64 v[2:5], v98 offset0:77 offset1:78
	ds_read2_b64 v[6:9], v98 offset0:79 offset1:80
	;; [unrolled: 1-line block ×3, first 2 shown]
	v_pk_add_f32 v[98:99], v[154:155], v[156:157]
	s_waitcnt vmcnt(7)
	v_mov_b32_e32 v100, v167
	v_pk_add_f32 v[98:99], v[98:99], v[158:159]
	v_mov_b32_e32 v103, v101
	v_pk_mul_f32 v[100:101], v[150:151], v[100:101] op_sel_hi:[1,0]
	v_pk_add_f32 v[98:99], v[98:99], v[102:103]
	s_waitcnt vmcnt(6)
	v_pk_fma_f32 v[102:103], v[150:151], v[166:167], v[100:101] op_sel:[0,0,1] op_sel_hi:[1,1,0] neg_lo:[0,0,1] neg_hi:[0,0,1]
	v_pk_fma_f32 v[100:101], v[150:151], v[166:167], v[100:101] op_sel:[0,0,1] op_sel_hi:[1,0,0]
	v_mov_b32_e32 v100, v165
	v_mov_b32_e32 v103, v101
	s_waitcnt lgkmcnt(2)
	v_pk_mul_f32 v[100:101], v[2:3], v[100:101] op_sel_hi:[1,0]
	v_pk_add_f32 v[98:99], v[98:99], v[102:103]
	v_pk_fma_f32 v[102:103], v[2:3], v[164:165], v[100:101] op_sel:[0,0,1] op_sel_hi:[1,1,0] neg_lo:[0,0,1] neg_hi:[0,0,1]
	v_pk_fma_f32 v[2:3], v[2:3], v[164:165], v[100:101] op_sel:[0,0,1] op_sel_hi:[1,0,0]
	v_mov_b32_e32 v103, v3
	v_pk_add_f32 v[2:3], v[98:99], v[102:103]
	v_mov_b32_e32 v98, v163
	v_pk_mul_f32 v[98:99], v[4:5], v[98:99] op_sel_hi:[1,0]
	v_pk_fma_f32 v[100:101], v[4:5], v[162:163], v[98:99] op_sel:[0,0,1] op_sel_hi:[1,1,0] neg_lo:[0,0,1] neg_hi:[0,0,1]
	v_pk_fma_f32 v[4:5], v[4:5], v[162:163], v[98:99] op_sel:[0,0,1] op_sel_hi:[1,0,0]
	v_mov_b32_e32 v4, v161
	v_mov_b32_e32 v101, v5
	s_waitcnt lgkmcnt(1)
	v_pk_mul_f32 v[4:5], v[6:7], v[4:5] op_sel_hi:[1,0]
	v_pk_fma_f32 v[98:99], v[6:7], v[160:161], v[4:5] op_sel:[0,0,1] op_sel_hi:[1,1,0] neg_lo:[0,0,1] neg_hi:[0,0,1]
	v_pk_fma_f32 v[4:5], v[6:7], v[160:161], v[4:5] op_sel:[0,0,1] op_sel_hi:[1,0,0]
	s_waitcnt vmcnt(1)
	v_mov_b32_e32 v4, v173
	v_mov_b32_e32 v99, v5
	v_pk_mul_f32 v[4:5], v[8:9], v[4:5] op_sel_hi:[1,0]
	s_waitcnt vmcnt(0)
	v_pk_fma_f32 v[6:7], v[8:9], v[172:173], v[4:5] op_sel:[0,0,1] op_sel_hi:[1,1,0] neg_lo:[0,0,1] neg_hi:[0,0,1]
	v_pk_fma_f32 v[4:5], v[8:9], v[172:173], v[4:5] op_sel:[0,0,1] op_sel_hi:[1,0,0]
	v_pk_add_f32 v[2:3], v[2:3], v[100:101]
	v_mov_b32_e32 v4, v171
	v_pk_add_f32 v[2:3], v[2:3], v[98:99]
	v_mov_b32_e32 v7, v5
	s_waitcnt lgkmcnt(0)
	v_pk_mul_f32 v[4:5], v[10:11], v[4:5] op_sel_hi:[1,0]
	v_pk_add_f32 v[2:3], v[2:3], v[6:7]
	v_pk_fma_f32 v[6:7], v[10:11], v[170:171], v[4:5] op_sel:[0,0,1] op_sel_hi:[1,1,0] neg_lo:[0,0,1] neg_hi:[0,0,1]
	v_pk_fma_f32 v[4:5], v[10:11], v[170:171], v[4:5] op_sel:[0,0,1] op_sel_hi:[1,0,0]
	v_mov_b32_e32 v4, v169
	v_mov_b32_e32 v7, v5
	v_pk_mul_f32 v[4:5], v[12:13], v[4:5] op_sel_hi:[1,0]
	v_pk_add_f32 v[2:3], v[2:3], v[6:7]
	v_pk_fma_f32 v[6:7], v[12:13], v[168:169], v[4:5] op_sel:[0,0,1] op_sel_hi:[1,1,0] neg_lo:[0,0,1] neg_hi:[0,0,1]
	v_pk_fma_f32 v[4:5], v[12:13], v[168:169], v[4:5] op_sel:[0,0,1] op_sel_hi:[1,0,0]
	v_mov_b32_e32 v7, v5
	v_pk_add_f32 v[2:3], v[2:3], v[6:7]
	v_pk_add_f32 v[2:3], v[14:15], v[2:3] neg_lo:[0,1] neg_hi:[0,1]
	buffer_store_dword v3, off, s[0:3], 0 offset:20
	buffer_store_dword v2, off, s[0:3], 0 offset:16
	s_and_saveexec_b64 s[4:5], vcc
	s_cbranch_execz .LBB104_257
; %bb.256:
	buffer_load_dword v2, off, s[0:3], 0 offset:8
	buffer_load_dword v3, off, s[0:3], 0 offset:12
	v_mov_b32_e32 v4, 0
	buffer_store_dword v4, off, s[0:3], 0 offset:8
	buffer_store_dword v4, off, s[0:3], 0 offset:12
	s_waitcnt vmcnt(2)
	ds_write_b64 v1, v[2:3]
.LBB104_257:
	s_or_b64 exec, exec, s[4:5]
	s_waitcnt lgkmcnt(0)
	; wave barrier
	s_waitcnt lgkmcnt(0)
	buffer_load_dword v98, off, s[0:3], 0 offset:20
	buffer_load_dword v101, off, s[0:3], 0 offset:28
	;; [unrolled: 1-line block ×48, first 2 shown]
	v_mov_b32_e32 v100, 0
	ds_read_b128 v[4:7], v100 offset:352
	buffer_load_dword v216, off, s[0:3], 0 offset:200
	buffer_load_dword v217, off, s[0:3], 0 offset:204
	;; [unrolled: 1-line block ×8, first 2 shown]
	ds_read_b128 v[8:11], v100 offset:368
	ds_read_b128 v[12:15], v100 offset:384
	;; [unrolled: 1-line block ×3, first 2 shown]
	buffer_load_dword v224, off, s[0:3], 0 offset:232
	buffer_load_dword v225, off, s[0:3], 0 offset:236
	;; [unrolled: 1-line block ×8, first 2 shown]
	v_cmp_ne_u32_e32 vcc, 0, v0
	s_waitcnt vmcnt(62) lgkmcnt(3)
	v_mul_f32_e32 v99, v4, v98
	v_mul_f32_e32 v106, v6, v101
	s_waitcnt vmcnt(61) lgkmcnt(2)
	v_mul_f32_e32 v107, v8, v154
	s_waitcnt vmcnt(60)
	v_mul_f32_e32 v108, v10, v156
	s_waitcnt vmcnt(59) lgkmcnt(1)
	v_mul_f32_e32 v109, v12, v174
	s_waitcnt vmcnt(58)
	;; [unrolled: 4-line block ×3, first 2 shown]
	v_fmac_f32_e32 v99, v5, v177
	s_waitcnt vmcnt(55)
	v_fmac_f32_e32 v106, v7, v178
	v_add_f32_e32 v99, 0, v99
	s_waitcnt vmcnt(54)
	v_fmac_f32_e32 v107, v9, v179
	v_add_f32_e32 v99, v99, v106
	s_waitcnt vmcnt(53)
	v_fmac_f32_e32 v108, v11, v180
	v_add_f32_e32 v99, v99, v107
	s_waitcnt vmcnt(52)
	v_fmac_f32_e32 v109, v13, v181
	v_add_f32_e32 v99, v99, v108
	v_add_f32_e32 v99, v99, v109
	ds_read_b128 v[106:109], v100 offset:416
	s_waitcnt vmcnt(51)
	v_fmac_f32_e32 v110, v15, v182
	s_waitcnt vmcnt(50)
	v_fmac_f32_e32 v111, v103, v183
	v_add_f32_e32 v99, v99, v110
	s_waitcnt vmcnt(49)
	v_mul_f32_e32 v110, v104, v184
	v_add_f32_e32 v99, v99, v111
	s_waitcnt vmcnt(48)
	v_fmac_f32_e32 v110, v105, v185
	v_add_f32_e32 v99, v99, v110
	ds_read_b128 v[110:113], v100 offset:432
	s_waitcnt vmcnt(47) lgkmcnt(1)
	v_mul_f32_e32 v114, v106, v186
	s_waitcnt vmcnt(46)
	v_fmac_f32_e32 v114, v107, v187
	v_add_f32_e32 v99, v99, v114
	s_waitcnt vmcnt(45)
	v_mul_f32_e32 v114, v108, v188
	s_waitcnt vmcnt(44)
	v_fmac_f32_e32 v114, v109, v189
	v_add_f32_e32 v99, v99, v114
	s_waitcnt vmcnt(42) lgkmcnt(0)
	v_mul_f32_e32 v114, v110, v191
	v_fmac_f32_e32 v114, v111, v190
	v_add_f32_e32 v99, v99, v114
	ds_read_b128 v[114:117], v100 offset:448
	s_waitcnt vmcnt(38)
	v_mul_f32_e32 v118, v112, v193
	v_fmac_f32_e32 v118, v113, v192
	v_add_f32_e32 v99, v99, v118
	ds_read_b128 v[118:121], v100 offset:464
	s_waitcnt vmcnt(36) lgkmcnt(1)
	v_mul_f32_e32 v122, v114, v195
	v_fmac_f32_e32 v122, v115, v194
	v_add_f32_e32 v99, v99, v122
	s_waitcnt vmcnt(34)
	v_mul_f32_e32 v122, v116, v197
	v_fmac_f32_e32 v122, v117, v196
	v_add_f32_e32 v99, v99, v122
	s_waitcnt vmcnt(32) lgkmcnt(0)
	v_mul_f32_e32 v122, v118, v199
	v_fmac_f32_e32 v122, v119, v198
	v_add_f32_e32 v99, v99, v122
	ds_read_b128 v[122:125], v100 offset:480
	s_waitcnt vmcnt(30)
	v_mul_f32_e32 v126, v120, v201
	v_fmac_f32_e32 v126, v121, v200
	v_add_f32_e32 v99, v99, v126
	ds_read_b128 v[126:129], v100 offset:496
	s_waitcnt vmcnt(28) lgkmcnt(1)
	v_mul_f32_e32 v130, v122, v203
	v_fmac_f32_e32 v130, v123, v202
	v_add_f32_e32 v99, v99, v130
	s_waitcnt vmcnt(26)
	v_mul_f32_e32 v130, v124, v205
	;; [unrolled: 18-line block ×4, first 2 shown]
	v_fmac_f32_e32 v146, v141, v220
	v_add_f32_e32 v99, v99, v146
	s_waitcnt vmcnt(8) lgkmcnt(0)
	v_mul_f32_e32 v146, v142, v223
	v_fmac_f32_e32 v146, v143, v222
	s_waitcnt vmcnt(6)
	v_mul_f32_e32 v150, v144, v225
	v_add_f32_e32 v99, v99, v146
	v_fmac_f32_e32 v150, v145, v224
	ds_read_b128 v[146:149], v100 offset:576
	v_add_f32_e32 v99, v99, v150
	ds_read_b128 v[150:153], v100 offset:592
	buffer_load_dword v159, off, s[0:3], 0 offset:292
	buffer_load_dword v158, off, s[0:3], 0 offset:288
	;; [unrolled: 1-line block ×16, first 2 shown]
	v_mul_f32_e32 v5, v5, v98
	v_fma_f32 v4, v4, v177, -v5
	v_mul_f32_e32 v5, v7, v101
	v_add_f32_e32 v4, 0, v4
	v_fma_f32 v5, v6, v178, -v5
	v_add_f32_e32 v4, v4, v5
	v_mul_f32_e32 v5, v9, v154
	v_fma_f32 v5, v8, v179, -v5
	v_add_f32_e32 v4, v4, v5
	v_mul_f32_e32 v5, v11, v156
	v_fma_f32 v5, v10, v180, -v5
	v_add_f32_e32 v4, v4, v5
	v_mul_f32_e32 v5, v13, v174
	v_fma_f32 v5, v12, v181, -v5
	v_add_f32_e32 v4, v4, v5
	v_mul_f32_e32 v5, v15, v175
	v_fma_f32 v5, v14, v182, -v5
	v_add_f32_e32 v4, v4, v5
	v_mul_f32_e32 v5, v103, v176
	v_fma_f32 v5, v102, v183, -v5
	v_add_f32_e32 v4, v4, v5
	v_mul_f32_e32 v5, v105, v184
	v_fma_f32 v5, v104, v185, -v5
	v_add_f32_e32 v4, v4, v5
	v_mul_f32_e32 v5, v107, v186
	v_fma_f32 v5, v106, v187, -v5
	v_add_f32_e32 v4, v4, v5
	v_mul_f32_e32 v5, v109, v188
	v_fma_f32 v5, v108, v189, -v5
	v_add_f32_e32 v4, v4, v5
	v_mul_f32_e32 v5, v111, v191
	v_fma_f32 v5, v110, v190, -v5
	v_add_f32_e32 v4, v4, v5
	v_mul_f32_e32 v5, v113, v193
	v_fma_f32 v5, v112, v192, -v5
	v_add_f32_e32 v4, v4, v5
	v_mul_f32_e32 v5, v115, v195
	v_fma_f32 v5, v114, v194, -v5
	v_add_f32_e32 v4, v4, v5
	v_mul_f32_e32 v5, v117, v197
	v_fma_f32 v5, v116, v196, -v5
	v_add_f32_e32 v4, v4, v5
	v_mul_f32_e32 v5, v119, v199
	v_fma_f32 v5, v118, v198, -v5
	v_add_f32_e32 v4, v4, v5
	v_mul_f32_e32 v5, v121, v201
	v_fma_f32 v5, v120, v200, -v5
	v_add_f32_e32 v4, v4, v5
	v_mul_f32_e32 v5, v123, v203
	v_fma_f32 v5, v122, v202, -v5
	v_add_f32_e32 v4, v4, v5
	v_mul_f32_e32 v5, v125, v205
	v_fma_f32 v5, v124, v204, -v5
	v_add_f32_e32 v4, v4, v5
	v_mul_f32_e32 v5, v127, v207
	v_fma_f32 v5, v126, v206, -v5
	v_add_f32_e32 v4, v4, v5
	v_mul_f32_e32 v5, v129, v209
	v_fma_f32 v5, v128, v208, -v5
	v_add_f32_e32 v4, v4, v5
	v_mul_f32_e32 v5, v131, v211
	v_fma_f32 v5, v130, v210, -v5
	v_add_f32_e32 v4, v4, v5
	v_mul_f32_e32 v5, v133, v213
	v_fma_f32 v5, v132, v212, -v5
	v_add_f32_e32 v4, v4, v5
	v_mul_f32_e32 v5, v135, v215
	v_fma_f32 v5, v134, v214, -v5
	v_add_f32_e32 v4, v4, v5
	v_mul_f32_e32 v5, v137, v217
	v_fma_f32 v5, v136, v216, -v5
	v_add_f32_e32 v4, v4, v5
	v_mul_f32_e32 v5, v139, v219
	v_fma_f32 v5, v138, v218, -v5
	v_add_f32_e32 v4, v4, v5
	v_mul_f32_e32 v5, v141, v221
	v_fma_f32 v5, v140, v220, -v5
	v_add_f32_e32 v4, v4, v5
	v_mul_f32_e32 v5, v143, v223
	v_fma_f32 v5, v142, v222, -v5
	v_add_f32_e32 v4, v4, v5
	v_mul_f32_e32 v5, v145, v225
	v_fma_f32 v5, v144, v224, -v5
	v_add_f32_e32 v4, v4, v5
	s_waitcnt vmcnt(20) lgkmcnt(1)
	v_mul_f32_e32 v5, v147, v227
	v_mul_f32_e32 v155, v146, v227
	v_fma_f32 v5, v146, v226, -v5
	v_fmac_f32_e32 v155, v147, v226
	v_add_f32_e32 v98, v4, v5
	s_waitcnt vmcnt(18)
	v_mul_f32_e32 v4, v149, v229
	s_waitcnt vmcnt(9)
	v_mov_b32_e32 v104, v165
	v_add_f32_e32 v99, v99, v155
	v_mul_f32_e32 v155, v148, v229
	v_fma_f32 v154, v148, v228, -v4
	s_waitcnt lgkmcnt(0)
	v_mul_f32_e32 v4, v151, v231
	v_pk_mul_f32 v[104:105], v[152:153], v[104:105] op_sel_hi:[1,0]
	v_fmac_f32_e32 v155, v149, v228
	v_mul_f32_e32 v157, v150, v231
	v_fma_f32 v156, v150, v230, -v4
	ds_read_b128 v[4:7], v100 offset:608
	ds_read_b128 v[8:11], v100 offset:624
	;; [unrolled: 1-line block ×3, first 2 shown]
	ds_read_b64 v[102:103], v100 offset:656
	s_waitcnt vmcnt(8)
	v_pk_fma_f32 v[106:107], v[152:153], v[164:165], v[104:105] op_sel:[0,0,1] op_sel_hi:[1,1,0] neg_lo:[0,0,1] neg_hi:[0,0,1]
	v_pk_fma_f32 v[104:105], v[152:153], v[164:165], v[104:105] op_sel:[0,0,1] op_sel_hi:[1,0,0]
	v_fmac_f32_e32 v157, v151, v230
	v_pk_add_f32 v[98:99], v[98:99], v[154:155]
	v_mov_b32_e32 v104, v163
	v_pk_add_f32 v[98:99], v[98:99], v[156:157]
	v_mov_b32_e32 v107, v105
	s_waitcnt lgkmcnt(3)
	v_pk_mul_f32 v[104:105], v[4:5], v[104:105] op_sel_hi:[1,0]
	v_pk_add_f32 v[98:99], v[98:99], v[106:107]
	v_pk_fma_f32 v[106:107], v[4:5], v[162:163], v[104:105] op_sel:[0,0,1] op_sel_hi:[1,1,0] neg_lo:[0,0,1] neg_hi:[0,0,1]
	v_pk_fma_f32 v[4:5], v[4:5], v[162:163], v[104:105] op_sel:[0,0,1] op_sel_hi:[1,0,0]
	v_mov_b32_e32 v107, v5
	v_pk_add_f32 v[4:5], v[98:99], v[106:107]
	v_mov_b32_e32 v98, v161
	v_pk_mul_f32 v[98:99], v[6:7], v[98:99] op_sel_hi:[1,0]
	v_pk_fma_f32 v[104:105], v[6:7], v[160:161], v[98:99] op_sel:[0,0,1] op_sel_hi:[1,1,0] neg_lo:[0,0,1] neg_hi:[0,0,1]
	v_pk_fma_f32 v[6:7], v[6:7], v[160:161], v[98:99] op_sel:[0,0,1] op_sel_hi:[1,0,0]
	v_mov_b32_e32 v6, v159
	v_mov_b32_e32 v105, v7
	s_waitcnt lgkmcnt(2)
	v_pk_mul_f32 v[6:7], v[8:9], v[6:7] op_sel_hi:[1,0]
	v_pk_fma_f32 v[98:99], v[8:9], v[158:159], v[6:7] op_sel:[0,0,1] op_sel_hi:[1,1,0] neg_lo:[0,0,1] neg_hi:[0,0,1]
	v_pk_fma_f32 v[6:7], v[8:9], v[158:159], v[6:7] op_sel:[0,0,1] op_sel_hi:[1,0,0]
	s_waitcnt vmcnt(1)
	v_mov_b32_e32 v6, v173
	v_mov_b32_e32 v99, v7
	v_pk_mul_f32 v[6:7], v[10:11], v[6:7] op_sel_hi:[1,0]
	s_waitcnt vmcnt(0)
	v_pk_fma_f32 v[8:9], v[10:11], v[172:173], v[6:7] op_sel:[0,0,1] op_sel_hi:[1,1,0] neg_lo:[0,0,1] neg_hi:[0,0,1]
	v_pk_fma_f32 v[6:7], v[10:11], v[172:173], v[6:7] op_sel:[0,0,1] op_sel_hi:[1,0,0]
	v_pk_add_f32 v[4:5], v[4:5], v[104:105]
	v_mov_b32_e32 v6, v171
	v_pk_add_f32 v[4:5], v[4:5], v[98:99]
	v_mov_b32_e32 v9, v7
	s_waitcnt lgkmcnt(1)
	v_pk_mul_f32 v[6:7], v[12:13], v[6:7] op_sel_hi:[1,0]
	v_pk_add_f32 v[4:5], v[4:5], v[8:9]
	v_pk_fma_f32 v[8:9], v[12:13], v[170:171], v[6:7] op_sel:[0,0,1] op_sel_hi:[1,1,0] neg_lo:[0,0,1] neg_hi:[0,0,1]
	v_pk_fma_f32 v[6:7], v[12:13], v[170:171], v[6:7] op_sel:[0,0,1] op_sel_hi:[1,0,0]
	v_mov_b32_e32 v6, v169
	v_mov_b32_e32 v9, v7
	v_pk_mul_f32 v[6:7], v[14:15], v[6:7] op_sel_hi:[1,0]
	v_pk_add_f32 v[4:5], v[4:5], v[8:9]
	v_pk_fma_f32 v[8:9], v[14:15], v[168:169], v[6:7] op_sel:[0,0,1] op_sel_hi:[1,1,0] neg_lo:[0,0,1] neg_hi:[0,0,1]
	v_pk_fma_f32 v[6:7], v[14:15], v[168:169], v[6:7] op_sel:[0,0,1] op_sel_hi:[1,0,0]
	v_mov_b32_e32 v6, v167
	v_mov_b32_e32 v9, v7
	s_waitcnt lgkmcnt(0)
	v_pk_mul_f32 v[6:7], v[102:103], v[6:7] op_sel_hi:[1,0]
	v_pk_add_f32 v[4:5], v[4:5], v[8:9]
	v_pk_fma_f32 v[8:9], v[102:103], v[166:167], v[6:7] op_sel:[0,0,1] op_sel_hi:[1,1,0] neg_lo:[0,0,1] neg_hi:[0,0,1]
	v_pk_fma_f32 v[6:7], v[102:103], v[166:167], v[6:7] op_sel:[0,0,1] op_sel_hi:[1,0,0]
	v_mov_b32_e32 v9, v7
	v_pk_add_f32 v[4:5], v[4:5], v[8:9]
	v_pk_add_f32 v[2:3], v[2:3], v[4:5] neg_lo:[0,1] neg_hi:[0,1]
	buffer_store_dword v3, off, s[0:3], 0 offset:12
	buffer_store_dword v2, off, s[0:3], 0 offset:8
	s_and_saveexec_b64 s[4:5], vcc
	s_cbranch_execz .LBB104_259
; %bb.258:
	buffer_load_dword v2, off, s[0:3], 0
	buffer_load_dword v3, off, s[0:3], 0 offset:4
	s_waitcnt vmcnt(0)
	ds_write_b64 v1, v[2:3]
	buffer_store_dword v100, off, s[0:3], 0
	buffer_store_dword v100, off, s[0:3], 0 offset:4
.LBB104_259:
	s_or_b64 exec, exec, s[4:5]
	s_waitcnt lgkmcnt(0)
	; wave barrier
	s_waitcnt lgkmcnt(0)
	buffer_load_dword v101, off, s[0:3], 0 offset:12
	buffer_load_dword v150, off, s[0:3], 0 offset:20
	;; [unrolled: 1-line block ×20, first 2 shown]
	buffer_load_dword v98, off, s[0:3], 0
	buffer_load_dword v99, off, s[0:3], 0 offset:4
	buffer_load_dword v188, off, s[0:3], 0 offset:92
	;; [unrolled: 1-line block ×5, first 2 shown]
	ds_read2_b64 v[12:15], v100 offset0:43 offset1:44
	ds_read2_b64 v[4:7], v100 offset0:45 offset1:46
	buffer_load_dword v192, off, s[0:3], 0 offset:104
	buffer_load_dword v193, off, s[0:3], 0 offset:108
	ds_read2_b64 v[8:11], v100 offset0:47 offset1:48
	ds_read2_b64 v[0:3], v100 offset0:49 offset1:50
	buffer_load_dword v194, off, s[0:3], 0 offset:112
	buffer_load_dword v195, off, s[0:3], 0 offset:116
	;; [unrolled: 1-line block ×32, first 2 shown]
	s_and_b64 vcc, exec, s[16:17]
	s_waitcnt vmcnt(59) lgkmcnt(3)
	v_mul_f32_e32 v102, v12, v101
	s_waitcnt vmcnt(58)
	v_mul_f32_e32 v103, v14, v150
	s_waitcnt vmcnt(57) lgkmcnt(2)
	v_mul_f32_e32 v104, v4, v152
	s_waitcnt vmcnt(56)
	v_mul_f32_e32 v105, v6, v160
	;; [unrolled: 4-line block ×4, first 2 shown]
	s_waitcnt vmcnt(51)
	v_fmac_f32_e32 v102, v13, v176
	s_waitcnt vmcnt(50)
	v_fmac_f32_e32 v103, v15, v177
	v_add_f32_e32 v102, 0, v102
	s_waitcnt vmcnt(49)
	v_fmac_f32_e32 v104, v5, v178
	v_add_f32_e32 v102, v102, v103
	;; [unrolled: 3-line block ×6, first 2 shown]
	v_add_f32_e32 v106, v102, v108
	ds_read2_b64 v[102:105], v100 offset0:51 offset1:52
	s_waitcnt vmcnt(44)
	v_fmac_f32_e32 v109, v3, v183
	buffer_load_dword v226, off, s[0:3], 0 offset:240
	buffer_load_dword v227, off, s[0:3], 0 offset:244
	v_add_f32_e32 v110, v106, v109
	buffer_load_dword v228, off, s[0:3], 0 offset:248
	buffer_load_dword v229, off, s[0:3], 0 offset:252
	ds_read2_b64 v[106:109], v100 offset0:53 offset1:54
	s_waitcnt vmcnt(47) lgkmcnt(1)
	v_mul_f32_e32 v111, v102, v184
	s_waitcnt vmcnt(46)
	v_fmac_f32_e32 v111, v103, v185
	v_add_f32_e32 v110, v110, v111
	s_waitcnt vmcnt(45)
	v_mul_f32_e32 v111, v104, v186
	s_waitcnt vmcnt(44)
	v_fmac_f32_e32 v111, v105, v187
	v_add_f32_e32 v110, v110, v111
	s_waitcnt vmcnt(41) lgkmcnt(0)
	v_mul_f32_e32 v111, v106, v188
	s_waitcnt vmcnt(40)
	v_fmac_f32_e32 v111, v107, v189
	buffer_load_dword v230, off, s[0:3], 0 offset:256
	buffer_load_dword v231, off, s[0:3], 0 offset:260
	v_add_f32_e32 v114, v110, v111
	ds_read2_b64 v[110:113], v100 offset0:55 offset1:56
	s_waitcnt vmcnt(40)
	v_mul_f32_e32 v115, v108, v191
	v_fmac_f32_e32 v115, v109, v190
	v_add_f32_e32 v118, v114, v115
	ds_read2_b64 v[114:117], v100 offset0:57 offset1:58
	s_waitcnt vmcnt(38) lgkmcnt(1)
	v_mul_f32_e32 v119, v110, v193
	v_fmac_f32_e32 v119, v111, v192
	v_add_f32_e32 v118, v118, v119
	s_waitcnt vmcnt(36)
	v_mul_f32_e32 v119, v112, v195
	v_fmac_f32_e32 v119, v113, v194
	v_add_f32_e32 v118, v118, v119
	s_waitcnt vmcnt(34) lgkmcnt(0)
	v_mul_f32_e32 v119, v114, v197
	v_fmac_f32_e32 v119, v115, v196
	v_add_f32_e32 v122, v118, v119
	ds_read2_b64 v[118:121], v100 offset0:59 offset1:60
	s_waitcnt vmcnt(32)
	v_mul_f32_e32 v123, v116, v199
	v_fmac_f32_e32 v123, v117, v198
	v_add_f32_e32 v126, v122, v123
	ds_read2_b64 v[122:125], v100 offset0:61 offset1:62
	s_waitcnt vmcnt(30) lgkmcnt(1)
	v_mul_f32_e32 v127, v118, v201
	v_fmac_f32_e32 v127, v119, v200
	v_add_f32_e32 v126, v126, v127
	s_waitcnt vmcnt(28)
	v_mul_f32_e32 v127, v120, v203
	v_fmac_f32_e32 v127, v121, v202
	v_add_f32_e32 v126, v126, v127
	s_waitcnt vmcnt(26) lgkmcnt(0)
	v_mul_f32_e32 v127, v122, v205
	v_fmac_f32_e32 v127, v123, v204
	;; [unrolled: 18-line block ×4, first 2 shown]
	s_waitcnt vmcnt(8)
	v_mul_f32_e32 v147, v140, v223
	v_add_f32_e32 v146, v142, v143
	v_fmac_f32_e32 v147, v141, v222
	ds_read2_b64 v[142:145], v100 offset0:71 offset1:72
	v_add_f32_e32 v151, v146, v147
	ds_read2_b64 v[146:149], v100 offset0:73 offset1:74
	buffer_load_dword v155, off, s[0:3], 0 offset:284
	buffer_load_dword v154, off, s[0:3], 0 offset:280
	;; [unrolled: 1-line block ×16, first 2 shown]
	v_mul_f32_e32 v13, v13, v101
	v_fma_f32 v12, v12, v176, -v13
	v_mul_f32_e32 v13, v15, v150
	v_add_f32_e32 v12, 0, v12
	v_fma_f32 v13, v14, v177, -v13
	v_mul_f32_e32 v5, v5, v152
	v_add_f32_e32 v12, v12, v13
	;; [unrolled: 3-line block ×3, first 2 shown]
	v_fma_f32 v5, v6, v179, -v5
	v_add_f32_e32 v4, v4, v5
	v_mul_f32_e32 v5, v9, v172
	v_fma_f32 v5, v8, v180, -v5
	v_add_f32_e32 v4, v4, v5
	v_mul_f32_e32 v5, v11, v173
	v_fma_f32 v5, v10, v181, -v5
	v_mul_f32_e32 v1, v1, v174
	v_add_f32_e32 v4, v4, v5
	v_fma_f32 v0, v0, v182, -v1
	v_mul_f32_e32 v1, v3, v175
	v_add_f32_e32 v0, v4, v0
	v_fma_f32 v1, v2, v183, -v1
	v_add_f32_e32 v0, v0, v1
	v_mul_f32_e32 v1, v103, v184
	v_fma_f32 v1, v102, v185, -v1
	v_add_f32_e32 v0, v0, v1
	v_mul_f32_e32 v1, v105, v186
	;; [unrolled: 3-line block ×20, first 2 shown]
	v_fma_f32 v1, v140, v222, -v1
	v_add_f32_e32 v0, v0, v1
	s_waitcnt vmcnt(22) lgkmcnt(1)
	v_mul_f32_e32 v1, v143, v225
	v_fma_f32 v1, v142, v224, -v1
	v_add_f32_e32 v0, v0, v1
	s_waitcnt vmcnt(20)
	v_mul_f32_e32 v1, v145, v227
	v_mul_f32_e32 v153, v142, v225
	v_fma_f32 v1, v144, v226, -v1
	v_fmac_f32_e32 v153, v143, v224
	v_add_f32_e32 v150, v0, v1
	s_waitcnt vmcnt(18) lgkmcnt(0)
	v_mul_f32_e32 v0, v147, v229
	v_add_f32_e32 v151, v151, v153
	v_mul_f32_e32 v153, v144, v227
	v_fma_f32 v152, v146, v228, -v0
	s_waitcnt vmcnt(16)
	v_mul_f32_e32 v0, v149, v231
	v_fmac_f32_e32 v153, v145, v226
	v_fma_f32 v160, v148, v230, -v0
	ds_read2_b64 v[0:3], v100 offset0:75 offset1:76
	ds_read2_b64 v[4:7], v100 offset0:77 offset1:78
	;; [unrolled: 1-line block ×4, first 2 shown]
	v_add_f32_e32 v151, v151, v153
	v_mul_f32_e32 v153, v146, v229
	s_waitcnt vmcnt(11)
	v_mov_b32_e32 v102, v159
	v_fmac_f32_e32 v153, v147, v228
	v_mul_f32_e32 v161, v148, v231
	s_waitcnt lgkmcnt(3)
	v_pk_mul_f32 v[102:103], v[0:1], v[102:103] op_sel_hi:[1,0]
	v_fmac_f32_e32 v161, v149, v230
	v_pk_add_f32 v[100:101], v[150:151], v[152:153]
	s_waitcnt vmcnt(10)
	v_pk_fma_f32 v[104:105], v[0:1], v[158:159], v[102:103] op_sel:[0,0,1] op_sel_hi:[1,1,0] neg_lo:[0,0,1] neg_hi:[0,0,1]
	v_pk_fma_f32 v[0:1], v[0:1], v[158:159], v[102:103] op_sel:[0,0,1] op_sel_hi:[1,0,0]
	v_pk_add_f32 v[100:101], v[100:101], v[160:161]
	v_mov_b32_e32 v105, v1
	v_pk_add_f32 v[0:1], v[100:101], v[104:105]
	v_mov_b32_e32 v100, v157
	v_pk_mul_f32 v[100:101], v[2:3], v[100:101] op_sel_hi:[1,0]
	v_pk_fma_f32 v[102:103], v[2:3], v[156:157], v[100:101] op_sel:[0,0,1] op_sel_hi:[1,1,0] neg_lo:[0,0,1] neg_hi:[0,0,1]
	v_pk_fma_f32 v[2:3], v[2:3], v[156:157], v[100:101] op_sel:[0,0,1] op_sel_hi:[1,0,0]
	v_mov_b32_e32 v2, v155
	v_mov_b32_e32 v103, v3
	s_waitcnt lgkmcnt(2)
	v_pk_mul_f32 v[2:3], v[4:5], v[2:3] op_sel_hi:[1,0]
	v_pk_fma_f32 v[100:101], v[4:5], v[154:155], v[2:3] op_sel:[0,0,1] op_sel_hi:[1,1,0] neg_lo:[0,0,1] neg_hi:[0,0,1]
	v_pk_fma_f32 v[2:3], v[4:5], v[154:155], v[2:3] op_sel:[0,0,1] op_sel_hi:[1,0,0]
	s_waitcnt vmcnt(3)
	v_mov_b32_e32 v2, v169
	v_mov_b32_e32 v101, v3
	v_pk_mul_f32 v[2:3], v[6:7], v[2:3] op_sel_hi:[1,0]
	s_waitcnt vmcnt(2)
	v_pk_fma_f32 v[4:5], v[6:7], v[168:169], v[2:3] op_sel:[0,0,1] op_sel_hi:[1,1,0] neg_lo:[0,0,1] neg_hi:[0,0,1]
	v_pk_fma_f32 v[2:3], v[6:7], v[168:169], v[2:3] op_sel:[0,0,1] op_sel_hi:[1,0,0]
	v_pk_add_f32 v[0:1], v[0:1], v[102:103]
	v_mov_b32_e32 v2, v167
	v_pk_add_f32 v[0:1], v[0:1], v[100:101]
	v_mov_b32_e32 v5, v3
	s_waitcnt lgkmcnt(1)
	v_pk_mul_f32 v[2:3], v[8:9], v[2:3] op_sel_hi:[1,0]
	v_pk_add_f32 v[0:1], v[0:1], v[4:5]
	v_pk_fma_f32 v[4:5], v[8:9], v[166:167], v[2:3] op_sel:[0,0,1] op_sel_hi:[1,1,0] neg_lo:[0,0,1] neg_hi:[0,0,1]
	v_pk_fma_f32 v[2:3], v[8:9], v[166:167], v[2:3] op_sel:[0,0,1] op_sel_hi:[1,0,0]
	v_mov_b32_e32 v2, v165
	v_mov_b32_e32 v5, v3
	v_pk_mul_f32 v[2:3], v[10:11], v[2:3] op_sel_hi:[1,0]
	v_pk_add_f32 v[0:1], v[0:1], v[4:5]
	v_pk_fma_f32 v[4:5], v[10:11], v[164:165], v[2:3] op_sel:[0,0,1] op_sel_hi:[1,1,0] neg_lo:[0,0,1] neg_hi:[0,0,1]
	v_pk_fma_f32 v[2:3], v[10:11], v[164:165], v[2:3] op_sel:[0,0,1] op_sel_hi:[1,0,0]
	v_mov_b32_e32 v2, v163
	v_mov_b32_e32 v5, v3
	s_waitcnt lgkmcnt(0)
	v_pk_mul_f32 v[2:3], v[12:13], v[2:3] op_sel_hi:[1,0]
	v_pk_add_f32 v[0:1], v[0:1], v[4:5]
	v_pk_fma_f32 v[4:5], v[12:13], v[162:163], v[2:3] op_sel:[0,0,1] op_sel_hi:[1,1,0] neg_lo:[0,0,1] neg_hi:[0,0,1]
	v_pk_fma_f32 v[2:3], v[12:13], v[162:163], v[2:3] op_sel:[0,0,1] op_sel_hi:[1,0,0]
	s_waitcnt vmcnt(1)
	v_mov_b32_e32 v2, v171
	v_mov_b32_e32 v5, v3
	v_pk_mul_f32 v[2:3], v[14:15], v[2:3] op_sel_hi:[1,0]
	v_pk_add_f32 v[0:1], v[0:1], v[4:5]
	s_waitcnt vmcnt(0)
	v_pk_fma_f32 v[4:5], v[14:15], v[170:171], v[2:3] op_sel:[0,0,1] op_sel_hi:[1,1,0] neg_lo:[0,0,1] neg_hi:[0,0,1]
	v_pk_fma_f32 v[2:3], v[14:15], v[170:171], v[2:3] op_sel:[0,0,1] op_sel_hi:[1,0,0]
	v_mov_b32_e32 v5, v3
	v_pk_add_f32 v[0:1], v[0:1], v[4:5]
	v_pk_add_f32 v[0:1], v[98:99], v[0:1] neg_lo:[0,1] neg_hi:[0,1]
	buffer_store_dword v1, off, s[0:3], 0 offset:4
	buffer_store_dword v0, off, s[0:3], 0
	s_cbranch_vccz .LBB104_341
; %bb.260:
	v_pk_mov_b32 v[0:1], s[10:11], s[10:11] op_sel:[0,1]
	flat_load_dword v0, v[0:1] offset:156
	s_waitcnt vmcnt(0) lgkmcnt(0)
	v_add_u32_e32 v0, -1, v0
	v_cmp_ne_u32_e32 vcc, 39, v0
	s_and_saveexec_b64 s[4:5], vcc
	s_cbranch_execz .LBB104_262
; %bb.261:
	v_mov_b32_e32 v1, 0
	v_lshl_add_u32 v0, v0, 3, v1
	buffer_load_dword v1, v0, s[0:3], 0 offen
	buffer_load_dword v2, v0, s[0:3], 0 offen offset:4
	buffer_load_dword v3, off, s[0:3], 0 offset:312
	buffer_load_dword v4, off, s[0:3], 0 offset:316
	s_waitcnt vmcnt(3)
	buffer_store_dword v1, off, s[0:3], 0 offset:312
	s_waitcnt vmcnt(3)
	buffer_store_dword v2, off, s[0:3], 0 offset:316
	s_waitcnt vmcnt(3)
	buffer_store_dword v3, v0, s[0:3], 0 offen
	s_waitcnt vmcnt(3)
	buffer_store_dword v4, v0, s[0:3], 0 offen offset:4
.LBB104_262:
	s_or_b64 exec, exec, s[4:5]
	v_pk_mov_b32 v[0:1], s[10:11], s[10:11] op_sel:[0,1]
	flat_load_dword v0, v[0:1] offset:152
	s_waitcnt vmcnt(0) lgkmcnt(0)
	v_add_u32_e32 v0, -1, v0
	v_cmp_ne_u32_e32 vcc, 38, v0
	s_and_saveexec_b64 s[4:5], vcc
	s_cbranch_execz .LBB104_264
; %bb.263:
	v_mov_b32_e32 v1, 0
	v_lshl_add_u32 v0, v0, 3, v1
	buffer_load_dword v1, v0, s[0:3], 0 offen
	buffer_load_dword v2, v0, s[0:3], 0 offen offset:4
	buffer_load_dword v3, off, s[0:3], 0 offset:308
	buffer_load_dword v4, off, s[0:3], 0 offset:304
	s_waitcnt vmcnt(3)
	buffer_store_dword v1, off, s[0:3], 0 offset:304
	s_waitcnt vmcnt(3)
	buffer_store_dword v2, off, s[0:3], 0 offset:308
	s_waitcnt vmcnt(3)
	buffer_store_dword v3, v0, s[0:3], 0 offen offset:4
	s_waitcnt vmcnt(3)
	buffer_store_dword v4, v0, s[0:3], 0 offen
.LBB104_264:
	s_or_b64 exec, exec, s[4:5]
	v_pk_mov_b32 v[0:1], s[10:11], s[10:11] op_sel:[0,1]
	flat_load_dword v0, v[0:1] offset:148
	s_waitcnt vmcnt(0) lgkmcnt(0)
	v_add_u32_e32 v0, -1, v0
	v_cmp_ne_u32_e32 vcc, 37, v0
	s_and_saveexec_b64 s[4:5], vcc
	s_cbranch_execz .LBB104_266
; %bb.265:
	v_mov_b32_e32 v1, 0
	v_lshl_add_u32 v0, v0, 3, v1
	buffer_load_dword v1, v0, s[0:3], 0 offen
	buffer_load_dword v2, v0, s[0:3], 0 offen offset:4
	buffer_load_dword v3, off, s[0:3], 0 offset:296
	buffer_load_dword v4, off, s[0:3], 0 offset:300
	s_waitcnt vmcnt(3)
	buffer_store_dword v1, off, s[0:3], 0 offset:296
	s_waitcnt vmcnt(3)
	buffer_store_dword v2, off, s[0:3], 0 offset:300
	s_waitcnt vmcnt(3)
	buffer_store_dword v3, v0, s[0:3], 0 offen
	s_waitcnt vmcnt(3)
	buffer_store_dword v4, v0, s[0:3], 0 offen offset:4
.LBB104_266:
	s_or_b64 exec, exec, s[4:5]
	v_pk_mov_b32 v[0:1], s[10:11], s[10:11] op_sel:[0,1]
	flat_load_dword v0, v[0:1] offset:144
	s_waitcnt vmcnt(0) lgkmcnt(0)
	v_add_u32_e32 v0, -1, v0
	v_cmp_ne_u32_e32 vcc, 36, v0
	s_and_saveexec_b64 s[4:5], vcc
	s_cbranch_execz .LBB104_268
; %bb.267:
	v_mov_b32_e32 v1, 0
	v_lshl_add_u32 v0, v0, 3, v1
	buffer_load_dword v1, v0, s[0:3], 0 offen
	buffer_load_dword v2, v0, s[0:3], 0 offen offset:4
	buffer_load_dword v3, off, s[0:3], 0 offset:292
	buffer_load_dword v4, off, s[0:3], 0 offset:288
	s_waitcnt vmcnt(3)
	buffer_store_dword v1, off, s[0:3], 0 offset:288
	s_waitcnt vmcnt(3)
	buffer_store_dword v2, off, s[0:3], 0 offset:292
	s_waitcnt vmcnt(3)
	buffer_store_dword v3, v0, s[0:3], 0 offen offset:4
	s_waitcnt vmcnt(3)
	buffer_store_dword v4, v0, s[0:3], 0 offen
.LBB104_268:
	s_or_b64 exec, exec, s[4:5]
	;; [unrolled: 48-line block ×19, first 2 shown]
	v_pk_mov_b32 v[0:1], s[10:11], s[10:11] op_sel:[0,1]
	flat_load_dword v0, v[0:1] offset:4
	s_waitcnt vmcnt(0) lgkmcnt(0)
	v_add_u32_e32 v0, -1, v0
	v_cmp_ne_u32_e32 vcc, 1, v0
	s_and_saveexec_b64 s[4:5], vcc
	s_cbranch_execz .LBB104_338
; %bb.337:
	v_mov_b32_e32 v1, 0
	v_lshl_add_u32 v0, v0, 3, v1
	buffer_load_dword v1, v0, s[0:3], 0 offen
	buffer_load_dword v2, v0, s[0:3], 0 offen offset:4
	buffer_load_dword v3, off, s[0:3], 0 offset:8
	buffer_load_dword v4, off, s[0:3], 0 offset:12
	s_waitcnt vmcnt(3)
	buffer_store_dword v1, off, s[0:3], 0 offset:8
	s_waitcnt vmcnt(3)
	buffer_store_dword v2, off, s[0:3], 0 offset:12
	s_waitcnt vmcnt(3)
	buffer_store_dword v3, v0, s[0:3], 0 offen
	s_waitcnt vmcnt(3)
	buffer_store_dword v4, v0, s[0:3], 0 offen offset:4
.LBB104_338:
	s_or_b64 exec, exec, s[4:5]
	v_pk_mov_b32 v[0:1], s[10:11], s[10:11] op_sel:[0,1]
	flat_load_dword v2, v[0:1]
	s_nop 0
	buffer_load_dword v0, off, s[0:3], 0
	buffer_load_dword v1, off, s[0:3], 0 offset:4
	s_waitcnt vmcnt(0) lgkmcnt(0)
	v_add_u32_e32 v2, -1, v2
	v_cmp_ne_u32_e32 vcc, 0, v2
	s_and_saveexec_b64 s[4:5], vcc
	s_cbranch_execz .LBB104_340
; %bb.339:
	v_mov_b32_e32 v3, 0
	v_lshl_add_u32 v2, v2, 3, v3
	buffer_load_dword v3, v2, s[0:3], 0 offen offset:4
	buffer_load_dword v4, v2, s[0:3], 0 offen
	s_waitcnt vmcnt(1)
	buffer_store_dword v3, off, s[0:3], 0 offset:4
	s_waitcnt vmcnt(1)
	buffer_store_dword v4, off, s[0:3], 0
	buffer_store_dword v1, v2, s[0:3], 0 offen offset:4
	buffer_store_dword v0, v2, s[0:3], 0 offen
	buffer_load_dword v0, off, s[0:3], 0
	s_nop 0
	buffer_load_dword v1, off, s[0:3], 0 offset:4
.LBB104_340:
	s_or_b64 exec, exec, s[4:5]
.LBB104_341:
	buffer_load_dword v2, off, s[0:3], 0 offset:8
	buffer_load_dword v3, off, s[0:3], 0 offset:12
	;; [unrolled: 1-line block ×80, first 2 shown]
	s_waitcnt vmcnt(62)
	global_store_dwordx2 v[86:87], v[0:1], off
	global_store_dwordx2 v[88:89], v[2:3], off
	;; [unrolled: 1-line block ×10, first 2 shown]
	s_waitcnt vmcnt(62)
	global_store_dwordx2 v[32:33], v[102:103], off
	global_store_dwordx2 v[34:35], v[104:105], off
	;; [unrolled: 1-line block ×5, first 2 shown]
	s_waitcnt vmcnt(62)
	global_store_dwordx2 v[42:43], v[112:113], off
	global_store_dwordx2 v[44:45], v[114:115], off
	s_waitcnt vmcnt(62)
	global_store_dwordx2 v[46:47], v[116:117], off
	s_waitcnt vmcnt(62)
	;; [unrolled: 2-line block ×24, first 2 shown]
	global_store_dwordx2 v[96:97], v[162:163], off
	s_endpgm
	.section	.rodata,"a",@progbits
	.p2align	6, 0x0
	.amdhsa_kernel _ZN9rocsolver6v33100L18getri_kernel_smallILi41E19rocblas_complex_numIfEPKPS3_EEvT1_iilPiilS8_bb
		.amdhsa_group_segment_fixed_size 664
		.amdhsa_private_segment_fixed_size 336
		.amdhsa_kernarg_size 60
		.amdhsa_user_sgpr_count 8
		.amdhsa_user_sgpr_private_segment_buffer 1
		.amdhsa_user_sgpr_dispatch_ptr 0
		.amdhsa_user_sgpr_queue_ptr 0
		.amdhsa_user_sgpr_kernarg_segment_ptr 1
		.amdhsa_user_sgpr_dispatch_id 0
		.amdhsa_user_sgpr_flat_scratch_init 1
		.amdhsa_user_sgpr_kernarg_preload_length 0
		.amdhsa_user_sgpr_kernarg_preload_offset 0
		.amdhsa_user_sgpr_private_segment_size 0
		.amdhsa_uses_dynamic_stack 0
		.amdhsa_system_sgpr_private_segment_wavefront_offset 1
		.amdhsa_system_sgpr_workgroup_id_x 1
		.amdhsa_system_sgpr_workgroup_id_y 0
		.amdhsa_system_sgpr_workgroup_id_z 0
		.amdhsa_system_sgpr_workgroup_info 0
		.amdhsa_system_vgpr_workitem_id 0
		.amdhsa_next_free_vgpr 232
		.amdhsa_next_free_sgpr 22
		.amdhsa_accum_offset 232
		.amdhsa_reserve_vcc 1
		.amdhsa_reserve_flat_scratch 1
		.amdhsa_float_round_mode_32 0
		.amdhsa_float_round_mode_16_64 0
		.amdhsa_float_denorm_mode_32 3
		.amdhsa_float_denorm_mode_16_64 3
		.amdhsa_dx10_clamp 1
		.amdhsa_ieee_mode 1
		.amdhsa_fp16_overflow 0
		.amdhsa_tg_split 0
		.amdhsa_exception_fp_ieee_invalid_op 0
		.amdhsa_exception_fp_denorm_src 0
		.amdhsa_exception_fp_ieee_div_zero 0
		.amdhsa_exception_fp_ieee_overflow 0
		.amdhsa_exception_fp_ieee_underflow 0
		.amdhsa_exception_fp_ieee_inexact 0
		.amdhsa_exception_int_div_zero 0
	.end_amdhsa_kernel
	.section	.text._ZN9rocsolver6v33100L18getri_kernel_smallILi41E19rocblas_complex_numIfEPKPS3_EEvT1_iilPiilS8_bb,"axG",@progbits,_ZN9rocsolver6v33100L18getri_kernel_smallILi41E19rocblas_complex_numIfEPKPS3_EEvT1_iilPiilS8_bb,comdat
.Lfunc_end104:
	.size	_ZN9rocsolver6v33100L18getri_kernel_smallILi41E19rocblas_complex_numIfEPKPS3_EEvT1_iilPiilS8_bb, .Lfunc_end104-_ZN9rocsolver6v33100L18getri_kernel_smallILi41E19rocblas_complex_numIfEPKPS3_EEvT1_iilPiilS8_bb
                                        ; -- End function
	.section	.AMDGPU.csdata,"",@progbits
; Kernel info:
; codeLenInByte = 71132
; NumSgprs: 28
; NumVgprs: 232
; NumAgprs: 0
; TotalNumVgprs: 232
; ScratchSize: 336
; MemoryBound: 0
; FloatMode: 240
; IeeeMode: 1
; LDSByteSize: 664 bytes/workgroup (compile time only)
; SGPRBlocks: 3
; VGPRBlocks: 28
; NumSGPRsForWavesPerEU: 28
; NumVGPRsForWavesPerEU: 232
; AccumOffset: 232
; Occupancy: 2
; WaveLimiterHint : 1
; COMPUTE_PGM_RSRC2:SCRATCH_EN: 1
; COMPUTE_PGM_RSRC2:USER_SGPR: 8
; COMPUTE_PGM_RSRC2:TRAP_HANDLER: 0
; COMPUTE_PGM_RSRC2:TGID_X_EN: 1
; COMPUTE_PGM_RSRC2:TGID_Y_EN: 0
; COMPUTE_PGM_RSRC2:TGID_Z_EN: 0
; COMPUTE_PGM_RSRC2:TIDIG_COMP_CNT: 0
; COMPUTE_PGM_RSRC3_GFX90A:ACCUM_OFFSET: 57
; COMPUTE_PGM_RSRC3_GFX90A:TG_SPLIT: 0
	.section	.text._ZN9rocsolver6v33100L18getri_kernel_smallILi42E19rocblas_complex_numIfEPKPS3_EEvT1_iilPiilS8_bb,"axG",@progbits,_ZN9rocsolver6v33100L18getri_kernel_smallILi42E19rocblas_complex_numIfEPKPS3_EEvT1_iilPiilS8_bb,comdat
	.globl	_ZN9rocsolver6v33100L18getri_kernel_smallILi42E19rocblas_complex_numIfEPKPS3_EEvT1_iilPiilS8_bb ; -- Begin function _ZN9rocsolver6v33100L18getri_kernel_smallILi42E19rocblas_complex_numIfEPKPS3_EEvT1_iilPiilS8_bb
	.p2align	8
	.type	_ZN9rocsolver6v33100L18getri_kernel_smallILi42E19rocblas_complex_numIfEPKPS3_EEvT1_iilPiilS8_bb,@function
_ZN9rocsolver6v33100L18getri_kernel_smallILi42E19rocblas_complex_numIfEPKPS3_EEvT1_iilPiilS8_bb: ; @_ZN9rocsolver6v33100L18getri_kernel_smallILi42E19rocblas_complex_numIfEPKPS3_EEvT1_iilPiilS8_bb
; %bb.0:
	s_add_u32 flat_scratch_lo, s6, s9
	s_addc_u32 flat_scratch_hi, s7, 0
	s_add_u32 s0, s0, s9
	s_addc_u32 s1, s1, 0
	v_cmp_gt_u32_e32 vcc, 42, v0
	s_and_saveexec_b64 s[6:7], vcc
	s_cbranch_execz .LBB105_182
; %bb.1:
	s_load_dword s20, s[4:5], 0x38
	s_load_dwordx2 s[6:7], s[4:5], 0x0
	s_load_dwordx4 s[12:15], s[4:5], 0x28
	s_waitcnt lgkmcnt(0)
	s_bitcmp1_b32 s20, 8
	s_cselect_b64 s[16:17], -1, 0
	s_ashr_i32 s9, s8, 31
	s_lshl_b64 s[10:11], s[8:9], 3
	s_add_u32 s6, s6, s10
	s_addc_u32 s7, s7, s11
	s_load_dwordx2 s[18:19], s[6:7], 0x0
	s_bfe_u32 s6, s20, 0x10008
	s_cmp_eq_u32 s6, 0
                                        ; implicit-def: $sgpr10_sgpr11
	s_cbranch_scc1 .LBB105_3
; %bb.2:
	s_load_dword s6, s[4:5], 0x20
	s_load_dwordx2 s[10:11], s[4:5], 0x18
	s_mul_i32 s7, s8, s13
	s_mul_hi_u32 s13, s8, s12
	s_add_i32 s13, s13, s7
	s_mul_i32 s21, s9, s12
	s_add_i32 s13, s13, s21
	s_mul_i32 s12, s8, s12
	s_waitcnt lgkmcnt(0)
	s_ashr_i32 s7, s6, 31
	s_lshl_b64 s[12:13], s[12:13], 2
	s_add_u32 s10, s10, s12
	s_addc_u32 s11, s11, s13
	s_lshl_b64 s[6:7], s[6:7], 2
	s_add_u32 s10, s10, s6
	s_addc_u32 s11, s11, s7
.LBB105_3:
	s_load_dwordx2 s[6:7], s[4:5], 0x8
	v_lshlrev_b32_e32 v6, 3, v0
	s_waitcnt lgkmcnt(0)
	s_ashr_i32 s5, s6, 31
	s_mov_b32 s4, s6
	s_lshl_b64 s[4:5], s[4:5], 3
	s_add_u32 s4, s18, s4
	s_addc_u32 s5, s19, s5
	s_add_i32 s6, s7, s7
	v_add_u32_e32 v2, s6, v0
	v_ashrrev_i32_e32 v3, 31, v2
	v_lshlrev_b64 v[4:5], 3, v[2:3]
	v_add_u32_e32 v2, s7, v2
	v_mov_b32_e32 v1, s5
	v_add_co_u32_e32 v64, vcc, s4, v4
	v_ashrrev_i32_e32 v3, 31, v2
	v_addc_co_u32_e32 v65, vcc, v1, v5, vcc
	v_lshlrev_b64 v[4:5], 3, v[2:3]
	v_add_u32_e32 v2, s7, v2
	v_add_co_u32_e32 v66, vcc, s4, v4
	v_ashrrev_i32_e32 v3, 31, v2
	v_addc_co_u32_e32 v67, vcc, v1, v5, vcc
	v_lshlrev_b64 v[4:5], 3, v[2:3]
	v_add_u32_e32 v2, s7, v2
	;; [unrolled: 5-line block ×33, first 2 shown]
	v_add_co_u32_e32 v130, vcc, s4, v4
	v_ashrrev_i32_e32 v3, 31, v2
	v_addc_co_u32_e32 v131, vcc, v1, v5, vcc
	v_lshlrev_b64 v[4:5], 3, v[2:3]
	v_add_co_u32_e32 v132, vcc, s4, v4
	v_addc_co_u32_e32 v133, vcc, v1, v5, vcc
	v_mov_b32_e32 v7, s5
	v_add_co_u32_e32 v136, vcc, s4, v6
	s_ashr_i32 s13, s7, 31
	s_mov_b32 s12, s7
	v_add_u32_e32 v2, s7, v2
	v_addc_co_u32_e32 v137, vcc, 0, v7, vcc
	s_lshl_b64 s[12:13], s[12:13], 3
	v_ashrrev_i32_e32 v3, 31, v2
	v_mov_b32_e32 v7, s13
	v_add_co_u32_e32 v138, vcc, s12, v136
	v_addc_co_u32_e32 v139, vcc, v137, v7, vcc
	v_lshlrev_b64 v[10:11], 3, v[2:3]
	v_add_u32_e32 v2, s7, v2
	v_add_co_u32_e32 v134, vcc, s4, v10
	v_ashrrev_i32_e32 v3, 31, v2
	v_addc_co_u32_e32 v135, vcc, v1, v11, vcc
	v_lshlrev_b64 v[26:27], 3, v[2:3]
	v_add_u32_e32 v2, s7, v2
	v_add_co_u32_e32 v140, vcc, s4, v26
	v_ashrrev_i32_e32 v3, 31, v2
	;; [unrolled: 5-line block ×4, first 2 shown]
	v_addc_co_u32_e32 v145, vcc, v1, v59, vcc
	v_lshlrev_b64 v[2:3], 3, v[2:3]
	v_add_co_u32_e32 v146, vcc, s4, v2
	global_load_dwordx2 v[4:5], v6, s[4:5]
	global_load_dwordx2 v[8:9], v[138:139], off
	global_load_dwordx2 v[12:13], v[64:65], off
	;; [unrolled: 1-line block ×37, first 2 shown]
	v_addc_co_u32_e32 v147, vcc, v1, v3, vcc
	global_load_dwordx2 v[2:3], v[140:141], off
	global_load_dwordx2 v[166:167], v[146:147], off
	;; [unrolled: 1-line block ×4, first 2 shown]
	s_bitcmp0_b32 s20, 0
	s_mov_b64 s[6:7], -1
	s_waitcnt vmcnt(41)
	buffer_store_dword v5, off, s[0:3], 0 offset:4
	buffer_store_dword v4, off, s[0:3], 0
	s_waitcnt vmcnt(42)
	buffer_store_dword v9, off, s[0:3], 0 offset:12
	buffer_store_dword v8, off, s[0:3], 0 offset:8
	s_waitcnt vmcnt(43)
	buffer_store_dword v13, off, s[0:3], 0 offset:20
	buffer_store_dword v12, off, s[0:3], 0 offset:16
	;; [unrolled: 3-line block ×22, first 2 shown]
	buffer_store_dword v52, off, s[0:3], 0 offset:184
	buffer_store_dword v53, off, s[0:3], 0 offset:188
	s_waitcnt vmcnt(62)
	buffer_store_dword v54, off, s[0:3], 0 offset:192
	buffer_store_dword v55, off, s[0:3], 0 offset:196
	;; [unrolled: 1-line block ×8, first 2 shown]
	s_waitcnt vmcnt(62)
	buffer_store_dword v148, off, s[0:3], 0 offset:224
	buffer_store_dword v149, off, s[0:3], 0 offset:228
	;; [unrolled: 1-line block ×16, first 2 shown]
	s_waitcnt vmcnt(62)
	buffer_store_dword v162, off, s[0:3], 0 offset:288
	buffer_store_dword v163, off, s[0:3], 0 offset:292
	;; [unrolled: 1-line block ×12, first 2 shown]
	s_cbranch_scc1 .LBB105_180
; %bb.4:
	v_cmp_eq_u32_e64 s[4:5], 0, v0
	s_and_saveexec_b64 s[6:7], s[4:5]
	s_cbranch_execz .LBB105_6
; %bb.5:
	v_mov_b32_e32 v1, 0
	ds_write_b32 v1, v1 offset:672
.LBB105_6:
	s_or_b64 exec, exec, s[6:7]
	v_mov_b32_e32 v1, 0
	v_lshl_add_u32 v7, v0, 3, v1
	s_waitcnt lgkmcnt(0)
	; wave barrier
	s_waitcnt lgkmcnt(0)
	buffer_load_dword v1, v7, s[0:3], 0 offen
	buffer_load_dword v2, v7, s[0:3], 0 offen offset:4
	s_waitcnt vmcnt(1)
	v_cmp_eq_f32_e32 vcc, 0, v1
	s_waitcnt vmcnt(0)
	v_cmp_eq_f32_e64 s[6:7], 0, v2
	s_and_b64 s[6:7], vcc, s[6:7]
	s_and_saveexec_b64 s[12:13], s[6:7]
	s_cbranch_execz .LBB105_10
; %bb.7:
	v_mov_b32_e32 v1, 0
	ds_read_b32 v3, v1 offset:672
	v_add_u32_e32 v2, 1, v0
	s_waitcnt lgkmcnt(0)
	v_readfirstlane_b32 s6, v3
	s_cmp_eq_u32 s6, 0
	s_cselect_b64 s[18:19], -1, 0
	v_cmp_gt_i32_e32 vcc, s6, v2
	s_or_b64 s[18:19], s[18:19], vcc
	s_and_b64 exec, exec, s[18:19]
	s_cbranch_execz .LBB105_10
; %bb.8:
	s_mov_b64 s[18:19], 0
	v_mov_b32_e32 v3, s6
.LBB105_9:                              ; =>This Inner Loop Header: Depth=1
	ds_cmpst_rtn_b32 v3, v1, v3, v2 offset:672
	s_waitcnt lgkmcnt(0)
	v_cmp_ne_u32_e32 vcc, 0, v3
	v_cmp_le_i32_e64 s[6:7], v3, v2
	s_and_b64 s[6:7], vcc, s[6:7]
	s_and_b64 s[6:7], exec, s[6:7]
	s_or_b64 s[18:19], s[6:7], s[18:19]
	s_andn2_b64 exec, exec, s[18:19]
	s_cbranch_execnz .LBB105_9
.LBB105_10:
	s_or_b64 exec, exec, s[12:13]
	v_mov_b32_e32 v2, 0
	s_waitcnt lgkmcnt(0)
	; wave barrier
	ds_read_b32 v1, v2 offset:672
	s_and_saveexec_b64 s[6:7], s[4:5]
	s_cbranch_execz .LBB105_12
; %bb.11:
	s_lshl_b64 s[12:13], s[8:9], 2
	s_add_u32 s12, s14, s12
	s_addc_u32 s13, s15, s13
	s_waitcnt lgkmcnt(0)
	global_store_dword v2, v1, s[12:13]
.LBB105_12:
	s_or_b64 exec, exec, s[6:7]
	s_waitcnt lgkmcnt(0)
	v_cmp_ne_u32_e32 vcc, 0, v1
	s_mov_b64 s[6:7], 0
	s_cbranch_vccnz .LBB105_180
; %bb.13:
	buffer_load_dword v8, v7, s[0:3], 0 offen offset:4
	buffer_load_dword v3, v7, s[0:3], 0 offen
	s_waitcnt vmcnt(1)
	v_cmp_gt_f32_e32 vcc, 0, v8
	v_cndmask_b32_e64 v1, v8, -v8, vcc
	s_waitcnt vmcnt(0)
	v_cmp_gt_f32_e32 vcc, 0, v3
	v_cndmask_b32_e64 v2, v3, -v3, vcc
	v_cmp_ngt_f32_e32 vcc, v2, v1
                                        ; implicit-def: $vgpr1
                                        ; implicit-def: $vgpr2
	s_and_saveexec_b64 s[6:7], vcc
	s_xor_b64 s[6:7], exec, s[6:7]
                                        ; implicit-def: $vgpr4_vgpr5
	s_cbranch_execz .LBB105_15
; %bb.14:
	v_div_scale_f32 v1, s[12:13], v8, v8, v3
	v_rcp_f32_e32 v2, v1
	v_div_scale_f32 v4, vcc, v3, v8, v3
	v_fma_f32 v5, -v1, v2, 1.0
	v_fmac_f32_e32 v2, v5, v2
	v_mul_f32_e32 v5, v4, v2
	v_fma_f32 v9, -v1, v5, v4
	v_fmac_f32_e32 v5, v9, v2
	v_fma_f32 v1, -v1, v5, v4
	v_div_fmas_f32 v1, v1, v2, v5
	v_div_fixup_f32 v2, v1, v8, v3
	v_fmac_f32_e32 v8, v3, v2
	v_div_scale_f32 v1, s[12:13], v8, v8, -1.0
	v_rcp_f32_e32 v3, v1
	v_fma_f32 v4, -v1, v3, 1.0
	v_fmac_f32_e32 v3, v4, v3
	v_div_scale_f32 v4, vcc, -1.0, v8, -1.0
	v_mul_f32_e32 v5, v4, v3
	v_fma_f32 v9, -v1, v5, v4
	v_fmac_f32_e32 v5, v9, v3
	v_fma_f32 v1, -v1, v5, v4
	v_div_fmas_f32 v1, v1, v3, v5
	v_div_fixup_f32 v1, v1, v8, -1.0
	v_mul_f32_e32 v2, v2, v1
	v_xor_b32_e32 v4, 0x80000000, v2
                                        ; implicit-def: $vgpr3
                                        ; implicit-def: $vgpr8
.LBB105_15:
	s_andn2_saveexec_b64 s[6:7], s[6:7]
	s_cbranch_execz .LBB105_17
; %bb.16:
	v_div_scale_f32 v1, s[12:13], v3, v3, v8
	v_rcp_f32_e32 v2, v1
	v_div_scale_f32 v4, vcc, v8, v3, v8
	v_fma_f32 v5, -v1, v2, 1.0
	v_fmac_f32_e32 v2, v5, v2
	v_mul_f32_e32 v5, v4, v2
	v_fma_f32 v9, -v1, v5, v4
	v_fmac_f32_e32 v5, v9, v2
	v_fma_f32 v1, -v1, v5, v4
	v_div_fmas_f32 v1, v1, v2, v5
	v_div_fixup_f32 v1, v1, v3, v8
	v_fmac_f32_e32 v3, v8, v1
	v_div_scale_f32 v2, s[12:13], v3, v3, 1.0
	v_rcp_f32_e32 v4, v2
	v_fma_f32 v5, -v2, v4, 1.0
	v_fmac_f32_e32 v4, v5, v4
	v_div_scale_f32 v5, vcc, 1.0, v3, 1.0
	v_mul_f32_e32 v8, v5, v4
	v_fma_f32 v9, -v2, v8, v5
	v_fmac_f32_e32 v8, v9, v4
	v_fma_f32 v2, -v2, v8, v5
	v_div_fmas_f32 v2, v2, v4, v8
	v_div_fixup_f32 v4, v2, v3, 1.0
	v_xor_b32_e32 v2, 0x80000000, v4
	v_mul_f32_e64 v1, v1, -v4
.LBB105_17:
	s_or_b64 exec, exec, s[6:7]
	buffer_store_dword v1, v7, s[0:3], 0 offen offset:4
	buffer_store_dword v4, v7, s[0:3], 0 offen
	buffer_load_dword v5, off, s[0:3], 0 offset:12
	s_nop 0
	buffer_load_dword v4, off, s[0:3], 0 offset:8
	v_xor_b32_e32 v3, 0x80000000, v1
	v_add_u32_e32 v1, 0x150, v6
	s_waitcnt vmcnt(0)
	ds_write2_b64 v6, v[2:3], v[4:5] offset1:42
	s_waitcnt lgkmcnt(0)
	; wave barrier
	s_waitcnt lgkmcnt(0)
	s_and_saveexec_b64 s[6:7], s[4:5]
	s_cbranch_execz .LBB105_19
; %bb.18:
	buffer_load_dword v8, v7, s[0:3], 0 offen offset:4
	buffer_load_dword v9, v7, s[0:3], 0 offen
	ds_read_b64 v[2:3], v1
	v_mov_b32_e32 v4, 0
	ds_read_b64 v[4:5], v4 offset:8
	s_waitcnt vmcnt(1) lgkmcnt(1)
	v_mul_f32_e32 v10, v3, v8
	v_mul_f32_e32 v8, v2, v8
	s_waitcnt vmcnt(0)
	v_fmac_f32_e32 v8, v3, v9
	v_fma_f32 v2, v2, v9, -v10
	v_add_f32_e32 v3, 0, v8
	v_add_f32_e32 v2, 0, v2
	s_waitcnt lgkmcnt(0)
	v_mul_f32_e32 v8, v3, v5
	v_mul_f32_e32 v5, v2, v5
	v_fma_f32 v2, v2, v4, -v8
	v_fmac_f32_e32 v5, v3, v4
	buffer_store_dword v2, off, s[0:3], 0 offset:8
	buffer_store_dword v5, off, s[0:3], 0 offset:12
.LBB105_19:
	s_or_b64 exec, exec, s[6:7]
	s_waitcnt lgkmcnt(0)
	; wave barrier
	buffer_load_dword v2, off, s[0:3], 0 offset:16
	buffer_load_dword v3, off, s[0:3], 0 offset:20
	v_cmp_gt_u32_e32 vcc, 2, v0
	s_waitcnt vmcnt(0)
	ds_write_b64 v1, v[2:3]
	s_waitcnt lgkmcnt(0)
	; wave barrier
	s_waitcnt lgkmcnt(0)
	s_and_saveexec_b64 s[6:7], vcc
	s_cbranch_execz .LBB105_23
; %bb.20:
	buffer_load_dword v4, v7, s[0:3], 0 offen offset:4
	buffer_load_dword v5, v7, s[0:3], 0 offen
	ds_read_b64 v[2:3], v1
	s_waitcnt vmcnt(1) lgkmcnt(0)
	v_mul_f32_e32 v7, v3, v4
	v_mul_f32_e32 v4, v2, v4
	s_waitcnt vmcnt(0)
	v_fma_f32 v2, v2, v5, -v7
	v_fmac_f32_e32 v4, v3, v5
	v_add_f32_e32 v3, 0, v2
	v_add_f32_e32 v2, 0, v4
	s_and_saveexec_b64 s[12:13], s[4:5]
	s_cbranch_execz .LBB105_22
; %bb.21:
	buffer_load_dword v7, off, s[0:3], 0 offset:12
	buffer_load_dword v8, off, s[0:3], 0 offset:8
	v_mov_b32_e32 v4, 0
	ds_read_b64 v[4:5], v4 offset:344
	s_waitcnt vmcnt(1) lgkmcnt(0)
	v_mul_f32_e32 v9, v4, v7
	v_mul_f32_e32 v7, v5, v7
	s_waitcnt vmcnt(0)
	v_fmac_f32_e32 v9, v5, v8
	v_fma_f32 v4, v4, v8, -v7
	v_add_f32_e32 v2, v2, v9
	v_add_f32_e32 v3, v3, v4
.LBB105_22:
	s_or_b64 exec, exec, s[12:13]
	v_mov_b32_e32 v4, 0
	ds_read_b64 v[4:5], v4 offset:16
	s_waitcnt lgkmcnt(0)
	v_mul_f32_e32 v7, v2, v5
	v_mul_f32_e32 v5, v3, v5
	v_fma_f32 v3, v3, v4, -v7
	v_fmac_f32_e32 v5, v2, v4
	buffer_store_dword v3, off, s[0:3], 0 offset:16
	buffer_store_dword v5, off, s[0:3], 0 offset:20
.LBB105_23:
	s_or_b64 exec, exec, s[6:7]
	s_waitcnt lgkmcnt(0)
	; wave barrier
	buffer_load_dword v2, off, s[0:3], 0 offset:24
	buffer_load_dword v3, off, s[0:3], 0 offset:28
	v_cmp_gt_u32_e32 vcc, 3, v0
	s_waitcnt vmcnt(0)
	ds_write_b64 v1, v[2:3]
	v_add_u32_e32 v2, -1, v0
	s_waitcnt lgkmcnt(0)
	; wave barrier
	s_waitcnt lgkmcnt(0)
	s_and_saveexec_b64 s[4:5], vcc
	s_cbranch_execz .LBB105_27
; %bb.24:
	v_add_u32_e32 v4, -1, v0
	v_add_u32_e32 v5, 0x150, v6
	v_add_u32_e32 v7, 0, v6
	s_mov_b64 s[6:7], 0
	v_mov_b32_e32 v3, 0
	v_mov_b32_e32 v8, 0
.LBB105_25:                             ; =>This Inner Loop Header: Depth=1
	buffer_load_dword v9, v7, s[0:3], 0 offen offset:4
	buffer_load_dword v12, v7, s[0:3], 0 offen
	ds_read_b64 v[10:11], v5
	v_add_u32_e32 v4, 1, v4
	v_cmp_lt_u32_e32 vcc, 1, v4
	v_add_u32_e32 v5, 8, v5
	v_add_u32_e32 v7, 8, v7
	s_or_b64 s[6:7], vcc, s[6:7]
	s_waitcnt vmcnt(1) lgkmcnt(0)
	v_mul_f32_e32 v13, v11, v9
	v_mul_f32_e32 v9, v10, v9
	s_waitcnt vmcnt(0)
	v_fma_f32 v10, v10, v12, -v13
	v_fmac_f32_e32 v9, v11, v12
	v_add_f32_e32 v8, v8, v10
	v_add_f32_e32 v3, v3, v9
	s_andn2_b64 exec, exec, s[6:7]
	s_cbranch_execnz .LBB105_25
; %bb.26:
	s_or_b64 exec, exec, s[6:7]
	v_mov_b32_e32 v4, 0
	ds_read_b64 v[4:5], v4 offset:24
	s_waitcnt lgkmcnt(0)
	v_mul_f32_e32 v7, v3, v5
	v_mul_f32_e32 v5, v8, v5
	v_fma_f32 v7, v8, v4, -v7
	v_fmac_f32_e32 v5, v3, v4
	buffer_store_dword v7, off, s[0:3], 0 offset:24
	buffer_store_dword v5, off, s[0:3], 0 offset:28
.LBB105_27:
	s_or_b64 exec, exec, s[4:5]
	s_waitcnt lgkmcnt(0)
	; wave barrier
	buffer_load_dword v4, off, s[0:3], 0 offset:32
	buffer_load_dword v5, off, s[0:3], 0 offset:36
	v_cmp_gt_u32_e32 vcc, 4, v0
	s_waitcnt vmcnt(0)
	ds_write_b64 v1, v[4:5]
	s_waitcnt lgkmcnt(0)
	; wave barrier
	s_waitcnt lgkmcnt(0)
	s_and_saveexec_b64 s[4:5], vcc
	s_cbranch_execz .LBB105_31
; %bb.28:
	v_add_u32_e32 v4, -1, v0
	v_add_u32_e32 v5, 0x150, v6
	v_add_u32_e32 v7, 0, v6
	s_mov_b64 s[6:7], 0
	v_mov_b32_e32 v3, 0
	v_mov_b32_e32 v8, 0
.LBB105_29:                             ; =>This Inner Loop Header: Depth=1
	buffer_load_dword v9, v7, s[0:3], 0 offen offset:4
	buffer_load_dword v12, v7, s[0:3], 0 offen
	ds_read_b64 v[10:11], v5
	v_add_u32_e32 v4, 1, v4
	v_cmp_lt_u32_e32 vcc, 2, v4
	v_add_u32_e32 v5, 8, v5
	v_add_u32_e32 v7, 8, v7
	s_or_b64 s[6:7], vcc, s[6:7]
	s_waitcnt vmcnt(1) lgkmcnt(0)
	v_mul_f32_e32 v13, v11, v9
	v_mul_f32_e32 v9, v10, v9
	s_waitcnt vmcnt(0)
	v_fma_f32 v10, v10, v12, -v13
	v_fmac_f32_e32 v9, v11, v12
	v_add_f32_e32 v8, v8, v10
	v_add_f32_e32 v3, v3, v9
	s_andn2_b64 exec, exec, s[6:7]
	s_cbranch_execnz .LBB105_29
; %bb.30:
	s_or_b64 exec, exec, s[6:7]
	v_mov_b32_e32 v4, 0
	ds_read_b64 v[4:5], v4 offset:32
	s_waitcnt lgkmcnt(0)
	v_mul_f32_e32 v7, v3, v5
	v_mul_f32_e32 v5, v8, v5
	v_fma_f32 v7, v8, v4, -v7
	v_fmac_f32_e32 v5, v3, v4
	buffer_store_dword v7, off, s[0:3], 0 offset:32
	buffer_store_dword v5, off, s[0:3], 0 offset:36
.LBB105_31:
	s_or_b64 exec, exec, s[4:5]
	s_waitcnt lgkmcnt(0)
	; wave barrier
	buffer_load_dword v4, off, s[0:3], 0 offset:40
	buffer_load_dword v5, off, s[0:3], 0 offset:44
	v_cmp_gt_u32_e32 vcc, 5, v0
	s_waitcnt vmcnt(0)
	ds_write_b64 v1, v[4:5]
	;; [unrolled: 51-line block ×19, first 2 shown]
	s_waitcnt lgkmcnt(0)
	; wave barrier
	s_waitcnt lgkmcnt(0)
	s_and_saveexec_b64 s[4:5], vcc
	s_cbranch_execz .LBB105_103
; %bb.100:
	v_add_u32_e32 v4, -1, v0
	v_add_u32_e32 v5, 0x150, v6
	v_add_u32_e32 v7, 0, v6
	s_mov_b64 s[6:7], 0
	v_mov_b32_e32 v3, 0
	v_mov_b32_e32 v8, 0
.LBB105_101:                            ; =>This Inner Loop Header: Depth=1
	buffer_load_dword v9, v7, s[0:3], 0 offen offset:4
	buffer_load_dword v12, v7, s[0:3], 0 offen
	ds_read_b64 v[10:11], v5
	v_add_u32_e32 v4, 1, v4
	v_cmp_lt_u32_e32 vcc, 20, v4
	v_add_u32_e32 v5, 8, v5
	v_add_u32_e32 v7, 8, v7
	s_or_b64 s[6:7], vcc, s[6:7]
	s_waitcnt vmcnt(1) lgkmcnt(0)
	v_mul_f32_e32 v13, v11, v9
	v_mul_f32_e32 v9, v10, v9
	s_waitcnt vmcnt(0)
	v_fma_f32 v10, v10, v12, -v13
	v_fmac_f32_e32 v9, v11, v12
	v_add_f32_e32 v8, v8, v10
	v_add_f32_e32 v3, v3, v9
	s_andn2_b64 exec, exec, s[6:7]
	s_cbranch_execnz .LBB105_101
; %bb.102:
	s_or_b64 exec, exec, s[6:7]
	v_mov_b32_e32 v4, 0
	ds_read_b64 v[4:5], v4 offset:176
	s_waitcnt lgkmcnt(0)
	v_mul_f32_e32 v7, v3, v5
	v_mul_f32_e32 v5, v8, v5
	v_fma_f32 v7, v8, v4, -v7
	v_fmac_f32_e32 v5, v3, v4
	buffer_store_dword v7, off, s[0:3], 0 offset:176
	buffer_store_dword v5, off, s[0:3], 0 offset:180
.LBB105_103:
	s_or_b64 exec, exec, s[4:5]
	s_waitcnt lgkmcnt(0)
	; wave barrier
	buffer_load_dword v4, off, s[0:3], 0 offset:184
	buffer_load_dword v5, off, s[0:3], 0 offset:188
	v_cmp_gt_u32_e32 vcc, 23, v0
	s_waitcnt vmcnt(0)
	ds_write_b64 v1, v[4:5]
	s_waitcnt lgkmcnt(0)
	; wave barrier
	s_waitcnt lgkmcnt(0)
	s_and_saveexec_b64 s[4:5], vcc
	s_cbranch_execz .LBB105_107
; %bb.104:
	v_add_u32_e32 v4, -1, v0
	v_add_u32_e32 v5, 0x150, v6
	v_add_u32_e32 v7, 0, v6
	s_mov_b64 s[6:7], 0
	v_mov_b32_e32 v3, 0
	v_mov_b32_e32 v8, 0
.LBB105_105:                            ; =>This Inner Loop Header: Depth=1
	buffer_load_dword v9, v7, s[0:3], 0 offen offset:4
	buffer_load_dword v12, v7, s[0:3], 0 offen
	ds_read_b64 v[10:11], v5
	v_add_u32_e32 v4, 1, v4
	v_cmp_lt_u32_e32 vcc, 21, v4
	v_add_u32_e32 v5, 8, v5
	v_add_u32_e32 v7, 8, v7
	s_or_b64 s[6:7], vcc, s[6:7]
	s_waitcnt vmcnt(1) lgkmcnt(0)
	v_mul_f32_e32 v13, v11, v9
	v_mul_f32_e32 v9, v10, v9
	s_waitcnt vmcnt(0)
	v_fma_f32 v10, v10, v12, -v13
	v_fmac_f32_e32 v9, v11, v12
	v_add_f32_e32 v8, v8, v10
	v_add_f32_e32 v3, v3, v9
	s_andn2_b64 exec, exec, s[6:7]
	s_cbranch_execnz .LBB105_105
; %bb.106:
	s_or_b64 exec, exec, s[6:7]
	v_mov_b32_e32 v4, 0
	ds_read_b64 v[4:5], v4 offset:184
	s_waitcnt lgkmcnt(0)
	v_mul_f32_e32 v7, v3, v5
	v_mul_f32_e32 v5, v8, v5
	v_fma_f32 v7, v8, v4, -v7
	v_fmac_f32_e32 v5, v3, v4
	buffer_store_dword v7, off, s[0:3], 0 offset:184
	buffer_store_dword v5, off, s[0:3], 0 offset:188
.LBB105_107:
	s_or_b64 exec, exec, s[4:5]
	s_waitcnt lgkmcnt(0)
	; wave barrier
	buffer_load_dword v4, off, s[0:3], 0 offset:192
	buffer_load_dword v5, off, s[0:3], 0 offset:196
	v_cmp_gt_u32_e32 vcc, 24, v0
	s_waitcnt vmcnt(0)
	ds_write_b64 v1, v[4:5]
	;; [unrolled: 51-line block ×18, first 2 shown]
	s_waitcnt lgkmcnt(0)
	; wave barrier
	s_waitcnt lgkmcnt(0)
	s_and_saveexec_b64 s[4:5], vcc
	s_cbranch_execz .LBB105_175
; %bb.172:
	v_add_u32_e32 v4, -1, v0
	v_add_u32_e32 v5, 0x150, v6
	v_add_u32_e32 v7, 0, v6
	s_mov_b64 s[6:7], 0
	v_mov_b32_e32 v3, 0
	v_mov_b32_e32 v8, 0
.LBB105_173:                            ; =>This Inner Loop Header: Depth=1
	buffer_load_dword v9, v7, s[0:3], 0 offen offset:4
	buffer_load_dword v12, v7, s[0:3], 0 offen
	ds_read_b64 v[10:11], v5
	v_add_u32_e32 v4, 1, v4
	v_cmp_lt_u32_e32 vcc, 38, v4
	v_add_u32_e32 v5, 8, v5
	v_add_u32_e32 v7, 8, v7
	s_or_b64 s[6:7], vcc, s[6:7]
	s_waitcnt vmcnt(1) lgkmcnt(0)
	v_mul_f32_e32 v13, v11, v9
	v_mul_f32_e32 v9, v10, v9
	s_waitcnt vmcnt(0)
	v_fma_f32 v10, v10, v12, -v13
	v_fmac_f32_e32 v9, v11, v12
	v_add_f32_e32 v8, v8, v10
	v_add_f32_e32 v3, v3, v9
	s_andn2_b64 exec, exec, s[6:7]
	s_cbranch_execnz .LBB105_173
; %bb.174:
	s_or_b64 exec, exec, s[6:7]
	v_mov_b32_e32 v4, 0
	ds_read_b64 v[4:5], v4 offset:320
	s_waitcnt lgkmcnt(0)
	v_mul_f32_e32 v7, v3, v5
	v_mul_f32_e32 v5, v8, v5
	v_fma_f32 v7, v8, v4, -v7
	v_fmac_f32_e32 v5, v3, v4
	buffer_store_dword v7, off, s[0:3], 0 offset:320
	buffer_store_dword v5, off, s[0:3], 0 offset:324
.LBB105_175:
	s_or_b64 exec, exec, s[4:5]
	s_waitcnt lgkmcnt(0)
	; wave barrier
	buffer_load_dword v4, off, s[0:3], 0 offset:328
	buffer_load_dword v5, off, s[0:3], 0 offset:332
	v_cmp_ne_u32_e32 vcc, 41, v0
	s_waitcnt vmcnt(0)
	ds_write_b64 v1, v[4:5]
	s_waitcnt lgkmcnt(0)
	; wave barrier
	s_waitcnt lgkmcnt(0)
	s_and_saveexec_b64 s[4:5], vcc
	s_cbranch_execz .LBB105_179
; %bb.176:
	v_add_u32_e32 v3, 0x150, v6
	v_add_u32_e32 v4, 0, v6
	s_mov_b64 s[6:7], 0
	v_mov_b32_e32 v1, 0
	v_mov_b32_e32 v5, 0
.LBB105_177:                            ; =>This Inner Loop Header: Depth=1
	buffer_load_dword v8, v4, s[0:3], 0 offen offset:4
	buffer_load_dword v9, v4, s[0:3], 0 offen
	ds_read_b64 v[6:7], v3
	v_add_u32_e32 v2, 1, v2
	v_cmp_lt_u32_e32 vcc, 39, v2
	v_add_u32_e32 v3, 8, v3
	v_add_u32_e32 v4, 8, v4
	s_or_b64 s[6:7], vcc, s[6:7]
	s_waitcnt vmcnt(1) lgkmcnt(0)
	v_mul_f32_e32 v10, v7, v8
	v_mul_f32_e32 v8, v6, v8
	s_waitcnt vmcnt(0)
	v_fma_f32 v6, v6, v9, -v10
	v_fmac_f32_e32 v8, v7, v9
	v_add_f32_e32 v5, v5, v6
	v_add_f32_e32 v1, v1, v8
	s_andn2_b64 exec, exec, s[6:7]
	s_cbranch_execnz .LBB105_177
; %bb.178:
	s_or_b64 exec, exec, s[6:7]
	v_mov_b32_e32 v2, 0
	ds_read_b64 v[2:3], v2 offset:328
	s_waitcnt lgkmcnt(0)
	v_mul_f32_e32 v4, v1, v3
	v_mul_f32_e32 v3, v5, v3
	v_fma_f32 v4, v5, v2, -v4
	v_fmac_f32_e32 v3, v1, v2
	buffer_store_dword v4, off, s[0:3], 0 offset:328
	buffer_store_dword v3, off, s[0:3], 0 offset:332
.LBB105_179:
	s_or_b64 exec, exec, s[4:5]
	s_mov_b64 s[6:7], -1
	s_waitcnt lgkmcnt(0)
	; wave barrier
.LBB105_180:
	s_and_b64 vcc, exec, s[6:7]
	s_cbranch_vccz .LBB105_182
; %bb.181:
	s_lshl_b64 s[4:5], s[8:9], 2
	s_add_u32 s4, s14, s4
	s_addc_u32 s5, s15, s5
	v_mov_b32_e32 v1, 0
	global_load_dword v1, v1, s[4:5]
	s_waitcnt vmcnt(0)
	v_cmp_ne_u32_e32 vcc, 0, v1
	s_cbranch_vccz .LBB105_183
.LBB105_182:
	s_endpgm
.LBB105_183:
	v_mov_b32_e32 v1, 0x150
	v_lshl_add_u32 v1, v0, 3, v1
	v_cmp_eq_u32_e32 vcc, 41, v0
	s_and_saveexec_b64 s[4:5], vcc
	s_cbranch_execz .LBB105_185
; %bb.184:
	buffer_load_dword v2, off, s[0:3], 0 offset:320
	buffer_load_dword v3, off, s[0:3], 0 offset:324
	v_mov_b32_e32 v4, 0
	buffer_store_dword v4, off, s[0:3], 0 offset:320
	buffer_store_dword v4, off, s[0:3], 0 offset:324
	s_waitcnt vmcnt(2)
	ds_write_b64 v1, v[2:3]
.LBB105_185:
	s_or_b64 exec, exec, s[4:5]
	s_waitcnt lgkmcnt(0)
	; wave barrier
	s_waitcnt lgkmcnt(0)
	buffer_load_dword v5, off, s[0:3], 0 offset:332
	buffer_load_dword v4, off, s[0:3], 0 offset:328
	;; [unrolled: 1-line block ×4, first 2 shown]
	v_mov_b32_e32 v2, 0
	ds_read_b64 v[8:9], v2 offset:664
	v_cmp_lt_u32_e32 vcc, 39, v0
	s_waitcnt vmcnt(3)
	v_mov_b32_e32 v10, v5
	s_waitcnt lgkmcnt(0)
	v_pk_mul_f32 v[10:11], v[8:9], v[10:11] op_sel_hi:[1,0]
	s_waitcnt vmcnt(2)
	v_pk_fma_f32 v[12:13], v[8:9], v[4:5], v[10:11] op_sel:[0,0,1] op_sel_hi:[1,1,0] neg_lo:[0,0,1] neg_hi:[0,0,1]
	v_pk_fma_f32 v[4:5], v[8:9], v[4:5], v[10:11] op_sel:[0,0,1] op_sel_hi:[1,0,0]
	v_mov_b32_e32 v13, v5
	v_pk_add_f32 v[4:5], v[12:13], 0 op_sel_hi:[1,0]
	s_waitcnt vmcnt(0)
	v_pk_add_f32 v[4:5], v[6:7], v[4:5] neg_lo:[0,1] neg_hi:[0,1]
	buffer_store_dword v4, off, s[0:3], 0 offset:320
	buffer_store_dword v5, off, s[0:3], 0 offset:324
	s_and_saveexec_b64 s[4:5], vcc
	s_cbranch_execz .LBB105_187
; %bb.186:
	buffer_load_dword v4, off, s[0:3], 0 offset:312
	buffer_load_dword v5, off, s[0:3], 0 offset:316
	s_waitcnt vmcnt(0)
	ds_write_b64 v1, v[4:5]
	buffer_store_dword v2, off, s[0:3], 0 offset:312
	buffer_store_dword v2, off, s[0:3], 0 offset:316
.LBB105_187:
	s_or_b64 exec, exec, s[4:5]
	s_waitcnt lgkmcnt(0)
	; wave barrier
	s_waitcnt lgkmcnt(0)
	buffer_load_dword v7, off, s[0:3], 0 offset:324
	buffer_load_dword v9, off, s[0:3], 0 offset:332
	;; [unrolled: 1-line block ×6, first 2 shown]
	ds_read_b128 v[2:5], v2 offset:656
	v_cmp_lt_u32_e32 vcc, 38, v0
	s_waitcnt vmcnt(5)
	v_mov_b32_e32 v12, v7
	s_waitcnt vmcnt(4)
	v_mov_b32_e32 v14, v9
	s_waitcnt lgkmcnt(0)
	v_pk_mul_f32 v[12:13], v[2:3], v[12:13] op_sel_hi:[1,0]
	v_pk_mul_f32 v[14:15], v[4:5], v[14:15] op_sel_hi:[1,0]
	s_waitcnt vmcnt(3)
	v_pk_fma_f32 v[16:17], v[2:3], v[6:7], v[12:13] op_sel:[0,0,1] op_sel_hi:[1,1,0] neg_lo:[0,0,1] neg_hi:[0,0,1]
	v_pk_fma_f32 v[2:3], v[2:3], v[6:7], v[12:13] op_sel:[0,0,1] op_sel_hi:[1,0,0]
	s_waitcnt vmcnt(2)
	v_pk_fma_f32 v[6:7], v[4:5], v[8:9], v[14:15] op_sel:[0,0,1] op_sel_hi:[1,1,0] neg_lo:[0,0,1] neg_hi:[0,0,1]
	v_pk_fma_f32 v[4:5], v[4:5], v[8:9], v[14:15] op_sel:[0,0,1] op_sel_hi:[1,0,0]
	v_mov_b32_e32 v17, v3
	v_mov_b32_e32 v7, v5
	v_pk_add_f32 v[2:3], v[16:17], 0 op_sel_hi:[1,0]
	v_pk_add_f32 v[2:3], v[2:3], v[6:7]
	s_waitcnt vmcnt(0)
	v_pk_add_f32 v[2:3], v[10:11], v[2:3] neg_lo:[0,1] neg_hi:[0,1]
	buffer_store_dword v2, off, s[0:3], 0 offset:312
	buffer_store_dword v3, off, s[0:3], 0 offset:316
	s_and_saveexec_b64 s[4:5], vcc
	s_cbranch_execz .LBB105_189
; %bb.188:
	buffer_load_dword v2, off, s[0:3], 0 offset:304
	buffer_load_dword v3, off, s[0:3], 0 offset:308
	v_mov_b32_e32 v4, 0
	buffer_store_dword v4, off, s[0:3], 0 offset:304
	buffer_store_dword v4, off, s[0:3], 0 offset:308
	s_waitcnt vmcnt(2)
	ds_write_b64 v1, v[2:3]
.LBB105_189:
	s_or_b64 exec, exec, s[4:5]
	s_waitcnt lgkmcnt(0)
	; wave barrier
	s_waitcnt lgkmcnt(0)
	buffer_load_dword v9, off, s[0:3], 0 offset:316
	buffer_load_dword v11, off, s[0:3], 0 offset:324
	;; [unrolled: 1-line block ×8, first 2 shown]
	v_mov_b32_e32 v2, 0
	ds_read2_b64 v[4:7], v2 offset0:81 offset1:82
	ds_read_b64 v[16:17], v2 offset:664
	v_cmp_lt_u32_e32 vcc, 37, v0
	s_waitcnt vmcnt(7)
	v_mov_b32_e32 v18, v9
	s_waitcnt vmcnt(6)
	v_mov_b32_e32 v20, v11
	s_waitcnt lgkmcnt(1)
	v_pk_mul_f32 v[18:19], v[4:5], v[18:19] op_sel_hi:[1,0]
	s_waitcnt vmcnt(5)
	v_mov_b32_e32 v22, v13
	v_pk_mul_f32 v[20:21], v[6:7], v[20:21] op_sel_hi:[1,0]
	s_waitcnt vmcnt(4)
	v_pk_fma_f32 v[24:25], v[4:5], v[8:9], v[18:19] op_sel:[0,0,1] op_sel_hi:[1,1,0] neg_lo:[0,0,1] neg_hi:[0,0,1]
	v_pk_fma_f32 v[4:5], v[4:5], v[8:9], v[18:19] op_sel:[0,0,1] op_sel_hi:[1,0,0]
	s_waitcnt lgkmcnt(0)
	v_pk_mul_f32 v[22:23], v[16:17], v[22:23] op_sel_hi:[1,0]
	s_waitcnt vmcnt(3)
	v_pk_fma_f32 v[8:9], v[6:7], v[10:11], v[20:21] op_sel:[0,0,1] op_sel_hi:[1,1,0] neg_lo:[0,0,1] neg_hi:[0,0,1]
	v_pk_fma_f32 v[6:7], v[6:7], v[10:11], v[20:21] op_sel:[0,0,1] op_sel_hi:[1,0,0]
	v_mov_b32_e32 v25, v5
	s_waitcnt vmcnt(2)
	v_pk_fma_f32 v[10:11], v[16:17], v[12:13], v[22:23] op_sel:[0,0,1] op_sel_hi:[1,1,0] neg_lo:[0,0,1] neg_hi:[0,0,1]
	v_pk_fma_f32 v[12:13], v[16:17], v[12:13], v[22:23] op_sel:[0,0,1] op_sel_hi:[1,0,0]
	v_mov_b32_e32 v9, v7
	v_pk_add_f32 v[4:5], v[24:25], 0 op_sel_hi:[1,0]
	v_mov_b32_e32 v11, v13
	v_pk_add_f32 v[4:5], v[4:5], v[8:9]
	v_pk_add_f32 v[4:5], v[4:5], v[10:11]
	s_waitcnt vmcnt(0)
	v_pk_add_f32 v[4:5], v[14:15], v[4:5] neg_lo:[0,1] neg_hi:[0,1]
	buffer_store_dword v4, off, s[0:3], 0 offset:304
	buffer_store_dword v5, off, s[0:3], 0 offset:308
	s_and_saveexec_b64 s[4:5], vcc
	s_cbranch_execz .LBB105_191
; %bb.190:
	buffer_load_dword v4, off, s[0:3], 0 offset:296
	buffer_load_dword v5, off, s[0:3], 0 offset:300
	s_waitcnt vmcnt(0)
	ds_write_b64 v1, v[4:5]
	buffer_store_dword v2, off, s[0:3], 0 offset:296
	buffer_store_dword v2, off, s[0:3], 0 offset:300
.LBB105_191:
	s_or_b64 exec, exec, s[4:5]
	s_waitcnt lgkmcnt(0)
	; wave barrier
	s_waitcnt lgkmcnt(0)
	buffer_load_dword v13, off, s[0:3], 0 offset:308
	buffer_load_dword v15, off, s[0:3], 0 offset:316
	;; [unrolled: 1-line block ×10, first 2 shown]
	ds_read_b128 v[4:7], v2 offset:640
	ds_read_b128 v[8:11], v2 offset:656
	v_cmp_lt_u32_e32 vcc, 36, v0
	s_waitcnt vmcnt(9)
	v_mov_b32_e32 v2, v13
	s_waitcnt vmcnt(8)
	v_mov_b32_e32 v22, v15
	s_waitcnt lgkmcnt(1)
	v_pk_mul_f32 v[2:3], v[4:5], v[2:3] op_sel_hi:[1,0]
	s_waitcnt vmcnt(7)
	v_mov_b32_e32 v24, v17
	v_pk_mul_f32 v[22:23], v[6:7], v[22:23] op_sel_hi:[1,0]
	s_waitcnt vmcnt(5)
	v_pk_fma_f32 v[28:29], v[4:5], v[12:13], v[2:3] op_sel:[0,0,1] op_sel_hi:[1,1,0] neg_lo:[0,0,1] neg_hi:[0,0,1]
	v_pk_fma_f32 v[2:3], v[4:5], v[12:13], v[2:3] op_sel:[0,0,1] op_sel_hi:[1,0,0]
	v_mov_b32_e32 v26, v19
	s_waitcnt lgkmcnt(0)
	v_pk_mul_f32 v[24:25], v[8:9], v[24:25] op_sel_hi:[1,0]
	s_waitcnt vmcnt(4)
	v_pk_fma_f32 v[4:5], v[6:7], v[14:15], v[22:23] op_sel:[0,0,1] op_sel_hi:[1,1,0] neg_lo:[0,0,1] neg_hi:[0,0,1]
	v_pk_fma_f32 v[6:7], v[6:7], v[14:15], v[22:23] op_sel:[0,0,1] op_sel_hi:[1,0,0]
	v_mov_b32_e32 v29, v3
	v_pk_mul_f32 v[26:27], v[10:11], v[26:27] op_sel_hi:[1,0]
	s_waitcnt vmcnt(3)
	v_pk_fma_f32 v[12:13], v[8:9], v[16:17], v[24:25] op_sel:[0,0,1] op_sel_hi:[1,1,0] neg_lo:[0,0,1] neg_hi:[0,0,1]
	v_pk_fma_f32 v[8:9], v[8:9], v[16:17], v[24:25] op_sel:[0,0,1] op_sel_hi:[1,0,0]
	v_mov_b32_e32 v5, v7
	v_pk_add_f32 v[2:3], v[28:29], 0 op_sel_hi:[1,0]
	s_waitcnt vmcnt(2)
	v_pk_fma_f32 v[14:15], v[10:11], v[18:19], v[26:27] op_sel:[0,0,1] op_sel_hi:[1,1,0] neg_lo:[0,0,1] neg_hi:[0,0,1]
	v_pk_fma_f32 v[10:11], v[10:11], v[18:19], v[26:27] op_sel:[0,0,1] op_sel_hi:[1,0,0]
	v_mov_b32_e32 v13, v9
	v_pk_add_f32 v[2:3], v[2:3], v[4:5]
	v_mov_b32_e32 v15, v11
	v_pk_add_f32 v[2:3], v[2:3], v[12:13]
	v_pk_add_f32 v[2:3], v[2:3], v[14:15]
	s_waitcnt vmcnt(0)
	v_pk_add_f32 v[2:3], v[20:21], v[2:3] neg_lo:[0,1] neg_hi:[0,1]
	buffer_store_dword v2, off, s[0:3], 0 offset:296
	buffer_store_dword v3, off, s[0:3], 0 offset:300
	s_and_saveexec_b64 s[4:5], vcc
	s_cbranch_execz .LBB105_193
; %bb.192:
	buffer_load_dword v2, off, s[0:3], 0 offset:288
	buffer_load_dword v3, off, s[0:3], 0 offset:292
	v_mov_b32_e32 v4, 0
	buffer_store_dword v4, off, s[0:3], 0 offset:288
	buffer_store_dword v4, off, s[0:3], 0 offset:292
	s_waitcnt vmcnt(2)
	ds_write_b64 v1, v[2:3]
.LBB105_193:
	s_or_b64 exec, exec, s[4:5]
	s_waitcnt lgkmcnt(0)
	; wave barrier
	s_waitcnt lgkmcnt(0)
	buffer_load_dword v13, off, s[0:3], 0 offset:300
	buffer_load_dword v15, off, s[0:3], 0 offset:308
	;; [unrolled: 1-line block ×12, first 2 shown]
	v_mov_b32_e32 v2, 0
	ds_read2_b64 v[4:7], v2 offset0:79 offset1:80
	ds_read2_b64 v[8:11], v2 offset0:81 offset1:82
	ds_read_b64 v[24:25], v2 offset:664
	v_cmp_lt_u32_e32 vcc, 35, v0
	s_waitcnt vmcnt(11)
	v_mov_b32_e32 v26, v13
	s_waitcnt vmcnt(10)
	v_mov_b32_e32 v28, v15
	s_waitcnt lgkmcnt(2)
	v_pk_mul_f32 v[26:27], v[4:5], v[26:27] op_sel_hi:[1,0]
	s_waitcnt vmcnt(9)
	v_mov_b32_e32 v30, v17
	v_pk_mul_f32 v[28:29], v[6:7], v[28:29] op_sel_hi:[1,0]
	s_waitcnt vmcnt(6)
	v_pk_fma_f32 v[36:37], v[4:5], v[12:13], v[26:27] op_sel:[0,0,1] op_sel_hi:[1,1,0] neg_lo:[0,0,1] neg_hi:[0,0,1]
	v_pk_fma_f32 v[4:5], v[4:5], v[12:13], v[26:27] op_sel:[0,0,1] op_sel_hi:[1,0,0]
	v_mov_b32_e32 v32, v19
	s_waitcnt lgkmcnt(1)
	v_pk_mul_f32 v[30:31], v[8:9], v[30:31] op_sel_hi:[1,0]
	s_waitcnt vmcnt(5)
	v_pk_fma_f32 v[12:13], v[6:7], v[14:15], v[28:29] op_sel:[0,0,1] op_sel_hi:[1,1,0] neg_lo:[0,0,1] neg_hi:[0,0,1]
	v_pk_fma_f32 v[6:7], v[6:7], v[14:15], v[28:29] op_sel:[0,0,1] op_sel_hi:[1,0,0]
	v_mov_b32_e32 v37, v5
	v_mov_b32_e32 v34, v21
	v_pk_mul_f32 v[32:33], v[10:11], v[32:33] op_sel_hi:[1,0]
	s_waitcnt vmcnt(4)
	v_pk_fma_f32 v[14:15], v[8:9], v[16:17], v[30:31] op_sel:[0,0,1] op_sel_hi:[1,1,0] neg_lo:[0,0,1] neg_hi:[0,0,1]
	v_pk_fma_f32 v[8:9], v[8:9], v[16:17], v[30:31] op_sel:[0,0,1] op_sel_hi:[1,0,0]
	v_mov_b32_e32 v13, v7
	v_pk_add_f32 v[4:5], v[36:37], 0 op_sel_hi:[1,0]
	s_waitcnt lgkmcnt(0)
	v_pk_mul_f32 v[34:35], v[24:25], v[34:35] op_sel_hi:[1,0]
	s_waitcnt vmcnt(3)
	v_pk_fma_f32 v[16:17], v[10:11], v[18:19], v[32:33] op_sel:[0,0,1] op_sel_hi:[1,1,0] neg_lo:[0,0,1] neg_hi:[0,0,1]
	v_pk_fma_f32 v[10:11], v[10:11], v[18:19], v[32:33] op_sel:[0,0,1] op_sel_hi:[1,0,0]
	v_mov_b32_e32 v15, v9
	v_pk_add_f32 v[4:5], v[4:5], v[12:13]
	s_waitcnt vmcnt(2)
	v_pk_fma_f32 v[18:19], v[24:25], v[20:21], v[34:35] op_sel:[0,0,1] op_sel_hi:[1,1,0] neg_lo:[0,0,1] neg_hi:[0,0,1]
	v_pk_fma_f32 v[20:21], v[24:25], v[20:21], v[34:35] op_sel:[0,0,1] op_sel_hi:[1,0,0]
	v_mov_b32_e32 v17, v11
	v_pk_add_f32 v[4:5], v[4:5], v[14:15]
	v_mov_b32_e32 v19, v21
	v_pk_add_f32 v[4:5], v[4:5], v[16:17]
	v_pk_add_f32 v[4:5], v[4:5], v[18:19]
	s_waitcnt vmcnt(0)
	v_pk_add_f32 v[4:5], v[22:23], v[4:5] neg_lo:[0,1] neg_hi:[0,1]
	buffer_store_dword v4, off, s[0:3], 0 offset:288
	buffer_store_dword v5, off, s[0:3], 0 offset:292
	s_and_saveexec_b64 s[4:5], vcc
	s_cbranch_execz .LBB105_195
; %bb.194:
	buffer_load_dword v4, off, s[0:3], 0 offset:280
	buffer_load_dword v5, off, s[0:3], 0 offset:284
	s_waitcnt vmcnt(0)
	ds_write_b64 v1, v[4:5]
	buffer_store_dword v2, off, s[0:3], 0 offset:280
	buffer_store_dword v2, off, s[0:3], 0 offset:284
.LBB105_195:
	s_or_b64 exec, exec, s[4:5]
	s_waitcnt lgkmcnt(0)
	; wave barrier
	s_waitcnt lgkmcnt(0)
	buffer_load_dword v17, off, s[0:3], 0 offset:292
	buffer_load_dword v19, off, s[0:3], 0 offset:300
	;; [unrolled: 1-line block ×14, first 2 shown]
	ds_read_b128 v[4:7], v2 offset:624
	ds_read_b128 v[8:11], v2 offset:640
	;; [unrolled: 1-line block ×3, first 2 shown]
	v_cmp_lt_u32_e32 vcc, 34, v0
	s_waitcnt vmcnt(13)
	v_mov_b32_e32 v2, v17
	s_waitcnt vmcnt(12)
	v_mov_b32_e32 v30, v19
	s_waitcnt lgkmcnt(2)
	v_pk_mul_f32 v[2:3], v[4:5], v[2:3] op_sel_hi:[1,0]
	s_waitcnt vmcnt(11)
	v_mov_b32_e32 v32, v21
	v_pk_mul_f32 v[30:31], v[6:7], v[30:31] op_sel_hi:[1,0]
	s_waitcnt vmcnt(10)
	v_mov_b32_e32 v34, v23
	s_waitcnt vmcnt(7)
	v_pk_fma_f32 v[40:41], v[4:5], v[16:17], v[2:3] op_sel:[0,0,1] op_sel_hi:[1,1,0] neg_lo:[0,0,1] neg_hi:[0,0,1]
	v_pk_fma_f32 v[2:3], v[4:5], v[16:17], v[2:3] op_sel:[0,0,1] op_sel_hi:[1,0,0]
	s_waitcnt lgkmcnt(1)
	v_pk_mul_f32 v[32:33], v[8:9], v[32:33] op_sel_hi:[1,0]
	s_waitcnt vmcnt(6)
	v_pk_fma_f32 v[4:5], v[6:7], v[18:19], v[30:31] op_sel:[0,0,1] op_sel_hi:[1,1,0] neg_lo:[0,0,1] neg_hi:[0,0,1]
	v_pk_fma_f32 v[6:7], v[6:7], v[18:19], v[30:31] op_sel:[0,0,1] op_sel_hi:[1,0,0]
	v_mov_b32_e32 v41, v3
	v_mov_b32_e32 v36, v25
	v_pk_mul_f32 v[34:35], v[10:11], v[34:35] op_sel_hi:[1,0]
	s_waitcnt vmcnt(5)
	v_pk_fma_f32 v[16:17], v[8:9], v[20:21], v[32:33] op_sel:[0,0,1] op_sel_hi:[1,1,0] neg_lo:[0,0,1] neg_hi:[0,0,1]
	v_pk_fma_f32 v[8:9], v[8:9], v[20:21], v[32:33] op_sel:[0,0,1] op_sel_hi:[1,0,0]
	v_mov_b32_e32 v5, v7
	v_pk_add_f32 v[2:3], v[40:41], 0 op_sel_hi:[1,0]
	v_mov_b32_e32 v38, v27
	s_waitcnt lgkmcnt(0)
	v_pk_mul_f32 v[36:37], v[12:13], v[36:37] op_sel_hi:[1,0]
	s_waitcnt vmcnt(4)
	v_pk_fma_f32 v[18:19], v[10:11], v[22:23], v[34:35] op_sel:[0,0,1] op_sel_hi:[1,1,0] neg_lo:[0,0,1] neg_hi:[0,0,1]
	v_pk_fma_f32 v[10:11], v[10:11], v[22:23], v[34:35] op_sel:[0,0,1] op_sel_hi:[1,0,0]
	v_mov_b32_e32 v17, v9
	v_pk_add_f32 v[2:3], v[2:3], v[4:5]
	v_pk_mul_f32 v[38:39], v[14:15], v[38:39] op_sel_hi:[1,0]
	s_waitcnt vmcnt(3)
	v_pk_fma_f32 v[20:21], v[12:13], v[24:25], v[36:37] op_sel:[0,0,1] op_sel_hi:[1,1,0] neg_lo:[0,0,1] neg_hi:[0,0,1]
	v_pk_fma_f32 v[12:13], v[12:13], v[24:25], v[36:37] op_sel:[0,0,1] op_sel_hi:[1,0,0]
	v_mov_b32_e32 v19, v11
	v_pk_add_f32 v[2:3], v[2:3], v[16:17]
	s_waitcnt vmcnt(2)
	v_pk_fma_f32 v[22:23], v[14:15], v[26:27], v[38:39] op_sel:[0,0,1] op_sel_hi:[1,1,0] neg_lo:[0,0,1] neg_hi:[0,0,1]
	v_pk_fma_f32 v[14:15], v[14:15], v[26:27], v[38:39] op_sel:[0,0,1] op_sel_hi:[1,0,0]
	v_mov_b32_e32 v21, v13
	v_pk_add_f32 v[2:3], v[2:3], v[18:19]
	v_mov_b32_e32 v23, v15
	v_pk_add_f32 v[2:3], v[2:3], v[20:21]
	v_pk_add_f32 v[2:3], v[2:3], v[22:23]
	s_waitcnt vmcnt(0)
	v_pk_add_f32 v[2:3], v[28:29], v[2:3] neg_lo:[0,1] neg_hi:[0,1]
	buffer_store_dword v2, off, s[0:3], 0 offset:280
	buffer_store_dword v3, off, s[0:3], 0 offset:284
	s_and_saveexec_b64 s[4:5], vcc
	s_cbranch_execz .LBB105_197
; %bb.196:
	buffer_load_dword v2, off, s[0:3], 0 offset:272
	buffer_load_dword v3, off, s[0:3], 0 offset:276
	v_mov_b32_e32 v4, 0
	buffer_store_dword v4, off, s[0:3], 0 offset:272
	buffer_store_dword v4, off, s[0:3], 0 offset:276
	s_waitcnt vmcnt(2)
	ds_write_b64 v1, v[2:3]
.LBB105_197:
	s_or_b64 exec, exec, s[4:5]
	s_waitcnt lgkmcnt(0)
	; wave barrier
	s_waitcnt lgkmcnt(0)
	buffer_load_dword v16, off, s[0:3], 0 offset:272
	buffer_load_dword v17, off, s[0:3], 0 offset:276
	buffer_load_dword v18, off, s[0:3], 0 offset:280
	buffer_load_dword v19, off, s[0:3], 0 offset:284
	buffer_load_dword v20, off, s[0:3], 0 offset:288
	buffer_load_dword v21, off, s[0:3], 0 offset:292
	buffer_load_dword v22, off, s[0:3], 0 offset:296
	buffer_load_dword v23, off, s[0:3], 0 offset:300
	buffer_load_dword v24, off, s[0:3], 0 offset:304
	buffer_load_dword v25, off, s[0:3], 0 offset:308
	buffer_load_dword v26, off, s[0:3], 0 offset:312
	buffer_load_dword v27, off, s[0:3], 0 offset:316
	buffer_load_dword v28, off, s[0:3], 0 offset:320
	buffer_load_dword v29, off, s[0:3], 0 offset:324
	buffer_load_dword v30, off, s[0:3], 0 offset:328
	buffer_load_dword v31, off, s[0:3], 0 offset:332
	v_mov_b32_e32 v2, 0
	ds_read2_b64 v[4:7], v2 offset0:77 offset1:78
	ds_read2_b64 v[8:11], v2 offset0:79 offset1:80
	;; [unrolled: 1-line block ×3, first 2 shown]
	ds_read_b64 v[32:33], v2 offset:664
	v_cmp_lt_u32_e32 vcc, 33, v0
	s_waitcnt vmcnt(12)
	v_mov_b32_e32 v34, v19
	s_waitcnt lgkmcnt(3)
	v_pk_mul_f32 v[34:35], v[4:5], v[34:35] op_sel_hi:[1,0]
	v_pk_fma_f32 v[36:37], v[4:5], v[18:19], v[34:35] op_sel:[0,0,1] op_sel_hi:[1,1,0] neg_lo:[0,0,1] neg_hi:[0,0,1]
	v_pk_fma_f32 v[4:5], v[4:5], v[18:19], v[34:35] op_sel:[0,0,1] op_sel_hi:[1,0,0]
	s_waitcnt vmcnt(10)
	v_mov_b32_e32 v18, v21
	v_pk_mul_f32 v[18:19], v[6:7], v[18:19] op_sel_hi:[1,0]
	v_pk_fma_f32 v[34:35], v[6:7], v[20:21], v[18:19] op_sel:[0,0,1] op_sel_hi:[1,1,0] neg_lo:[0,0,1] neg_hi:[0,0,1]
	v_pk_fma_f32 v[6:7], v[6:7], v[20:21], v[18:19] op_sel:[0,0,1] op_sel_hi:[1,0,0]
	s_waitcnt vmcnt(8)
	v_mov_b32_e32 v6, v23
	v_mov_b32_e32 v35, v7
	s_waitcnt lgkmcnt(2)
	v_pk_mul_f32 v[6:7], v[8:9], v[6:7] op_sel_hi:[1,0]
	v_pk_fma_f32 v[18:19], v[8:9], v[22:23], v[6:7] op_sel:[0,0,1] op_sel_hi:[1,1,0] neg_lo:[0,0,1] neg_hi:[0,0,1]
	v_pk_fma_f32 v[6:7], v[8:9], v[22:23], v[6:7] op_sel:[0,0,1] op_sel_hi:[1,0,0]
	s_waitcnt vmcnt(6)
	v_mov_b32_e32 v6, v25
	v_mov_b32_e32 v37, v5
	;; [unrolled: 1-line block ×3, first 2 shown]
	v_pk_mul_f32 v[6:7], v[10:11], v[6:7] op_sel_hi:[1,0]
	v_pk_add_f32 v[4:5], v[36:37], 0 op_sel_hi:[1,0]
	v_pk_fma_f32 v[8:9], v[10:11], v[24:25], v[6:7] op_sel:[0,0,1] op_sel_hi:[1,1,0] neg_lo:[0,0,1] neg_hi:[0,0,1]
	v_pk_fma_f32 v[6:7], v[10:11], v[24:25], v[6:7] op_sel:[0,0,1] op_sel_hi:[1,0,0]
	v_pk_add_f32 v[4:5], v[4:5], v[34:35]
	s_waitcnt vmcnt(4)
	v_mov_b32_e32 v6, v27
	v_pk_add_f32 v[4:5], v[4:5], v[18:19]
	v_mov_b32_e32 v9, v7
	s_waitcnt lgkmcnt(1)
	v_pk_mul_f32 v[6:7], v[12:13], v[6:7] op_sel_hi:[1,0]
	v_pk_add_f32 v[4:5], v[4:5], v[8:9]
	v_pk_fma_f32 v[8:9], v[12:13], v[26:27], v[6:7] op_sel:[0,0,1] op_sel_hi:[1,1,0] neg_lo:[0,0,1] neg_hi:[0,0,1]
	v_pk_fma_f32 v[6:7], v[12:13], v[26:27], v[6:7] op_sel:[0,0,1] op_sel_hi:[1,0,0]
	s_waitcnt vmcnt(2)
	v_mov_b32_e32 v6, v29
	v_mov_b32_e32 v9, v7
	v_pk_mul_f32 v[6:7], v[14:15], v[6:7] op_sel_hi:[1,0]
	v_pk_add_f32 v[4:5], v[4:5], v[8:9]
	v_pk_fma_f32 v[8:9], v[14:15], v[28:29], v[6:7] op_sel:[0,0,1] op_sel_hi:[1,1,0] neg_lo:[0,0,1] neg_hi:[0,0,1]
	v_pk_fma_f32 v[6:7], v[14:15], v[28:29], v[6:7] op_sel:[0,0,1] op_sel_hi:[1,0,0]
	s_waitcnt vmcnt(0)
	v_mov_b32_e32 v6, v31
	v_mov_b32_e32 v9, v7
	s_waitcnt lgkmcnt(0)
	v_pk_mul_f32 v[6:7], v[32:33], v[6:7] op_sel_hi:[1,0]
	v_pk_add_f32 v[4:5], v[4:5], v[8:9]
	v_pk_fma_f32 v[8:9], v[32:33], v[30:31], v[6:7] op_sel:[0,0,1] op_sel_hi:[1,1,0] neg_lo:[0,0,1] neg_hi:[0,0,1]
	v_pk_fma_f32 v[6:7], v[32:33], v[30:31], v[6:7] op_sel:[0,0,1] op_sel_hi:[1,0,0]
	v_mov_b32_e32 v9, v7
	v_pk_add_f32 v[4:5], v[4:5], v[8:9]
	v_pk_add_f32 v[4:5], v[16:17], v[4:5] neg_lo:[0,1] neg_hi:[0,1]
	buffer_store_dword v4, off, s[0:3], 0 offset:272
	buffer_store_dword v5, off, s[0:3], 0 offset:276
	s_and_saveexec_b64 s[4:5], vcc
	s_cbranch_execz .LBB105_199
; %bb.198:
	buffer_load_dword v4, off, s[0:3], 0 offset:264
	buffer_load_dword v5, off, s[0:3], 0 offset:268
	s_waitcnt vmcnt(0)
	ds_write_b64 v1, v[4:5]
	buffer_store_dword v2, off, s[0:3], 0 offset:264
	buffer_store_dword v2, off, s[0:3], 0 offset:268
.LBB105_199:
	s_or_b64 exec, exec, s[4:5]
	s_waitcnt lgkmcnt(0)
	; wave barrier
	s_waitcnt lgkmcnt(0)
	buffer_load_dword v20, off, s[0:3], 0 offset:264
	buffer_load_dword v21, off, s[0:3], 0 offset:268
	;; [unrolled: 1-line block ×16, first 2 shown]
	ds_read_b128 v[4:7], v2 offset:608
	ds_read_b128 v[8:11], v2 offset:624
	;; [unrolled: 1-line block ×4, first 2 shown]
	buffer_load_dword v3, off, s[0:3], 0 offset:332
	buffer_load_dword v2, off, s[0:3], 0 offset:328
	v_cmp_lt_u32_e32 vcc, 32, v0
	s_waitcnt vmcnt(14)
	v_mov_b32_e32 v36, v23
	s_waitcnt lgkmcnt(3)
	v_pk_mul_f32 v[36:37], v[4:5], v[36:37] op_sel_hi:[1,0]
	v_pk_fma_f32 v[38:39], v[4:5], v[22:23], v[36:37] op_sel:[0,0,1] op_sel_hi:[1,1,0] neg_lo:[0,0,1] neg_hi:[0,0,1]
	v_pk_fma_f32 v[4:5], v[4:5], v[22:23], v[36:37] op_sel:[0,0,1] op_sel_hi:[1,0,0]
	s_waitcnt vmcnt(12)
	v_mov_b32_e32 v22, v25
	v_pk_mul_f32 v[22:23], v[6:7], v[22:23] op_sel_hi:[1,0]
	v_pk_fma_f32 v[36:37], v[6:7], v[24:25], v[22:23] op_sel:[0,0,1] op_sel_hi:[1,1,0] neg_lo:[0,0,1] neg_hi:[0,0,1]
	v_pk_fma_f32 v[6:7], v[6:7], v[24:25], v[22:23] op_sel:[0,0,1] op_sel_hi:[1,0,0]
	s_waitcnt vmcnt(10)
	v_mov_b32_e32 v6, v27
	v_mov_b32_e32 v37, v7
	s_waitcnt lgkmcnt(2)
	v_pk_mul_f32 v[6:7], v[8:9], v[6:7] op_sel_hi:[1,0]
	v_pk_fma_f32 v[22:23], v[8:9], v[26:27], v[6:7] op_sel:[0,0,1] op_sel_hi:[1,1,0] neg_lo:[0,0,1] neg_hi:[0,0,1]
	v_pk_fma_f32 v[6:7], v[8:9], v[26:27], v[6:7] op_sel:[0,0,1] op_sel_hi:[1,0,0]
	s_waitcnt vmcnt(8)
	v_mov_b32_e32 v6, v29
	v_mov_b32_e32 v39, v5
	;; [unrolled: 1-line block ×3, first 2 shown]
	v_pk_mul_f32 v[6:7], v[10:11], v[6:7] op_sel_hi:[1,0]
	v_pk_add_f32 v[4:5], v[38:39], 0 op_sel_hi:[1,0]
	v_pk_fma_f32 v[8:9], v[10:11], v[28:29], v[6:7] op_sel:[0,0,1] op_sel_hi:[1,1,0] neg_lo:[0,0,1] neg_hi:[0,0,1]
	v_pk_fma_f32 v[6:7], v[10:11], v[28:29], v[6:7] op_sel:[0,0,1] op_sel_hi:[1,0,0]
	v_pk_add_f32 v[4:5], v[4:5], v[36:37]
	s_waitcnt vmcnt(6)
	v_mov_b32_e32 v6, v31
	v_pk_add_f32 v[4:5], v[4:5], v[22:23]
	v_mov_b32_e32 v9, v7
	s_waitcnt lgkmcnt(1)
	v_pk_mul_f32 v[6:7], v[12:13], v[6:7] op_sel_hi:[1,0]
	v_pk_add_f32 v[4:5], v[4:5], v[8:9]
	v_pk_fma_f32 v[8:9], v[12:13], v[30:31], v[6:7] op_sel:[0,0,1] op_sel_hi:[1,1,0] neg_lo:[0,0,1] neg_hi:[0,0,1]
	v_pk_fma_f32 v[6:7], v[12:13], v[30:31], v[6:7] op_sel:[0,0,1] op_sel_hi:[1,0,0]
	s_waitcnt vmcnt(4)
	v_mov_b32_e32 v6, v33
	v_mov_b32_e32 v9, v7
	v_pk_mul_f32 v[6:7], v[14:15], v[6:7] op_sel_hi:[1,0]
	v_pk_add_f32 v[4:5], v[4:5], v[8:9]
	v_pk_fma_f32 v[8:9], v[14:15], v[32:33], v[6:7] op_sel:[0,0,1] op_sel_hi:[1,1,0] neg_lo:[0,0,1] neg_hi:[0,0,1]
	v_pk_fma_f32 v[6:7], v[14:15], v[32:33], v[6:7] op_sel:[0,0,1] op_sel_hi:[1,0,0]
	s_waitcnt vmcnt(2)
	v_mov_b32_e32 v6, v35
	v_mov_b32_e32 v9, v7
	s_waitcnt lgkmcnt(0)
	v_pk_mul_f32 v[6:7], v[16:17], v[6:7] op_sel_hi:[1,0]
	v_pk_add_f32 v[4:5], v[4:5], v[8:9]
	v_pk_fma_f32 v[8:9], v[16:17], v[34:35], v[6:7] op_sel:[0,0,1] op_sel_hi:[1,1,0] neg_lo:[0,0,1] neg_hi:[0,0,1]
	v_pk_fma_f32 v[6:7], v[16:17], v[34:35], v[6:7] op_sel:[0,0,1] op_sel_hi:[1,0,0]
	s_waitcnt vmcnt(1)
	v_mov_b32_e32 v6, v3
	v_mov_b32_e32 v9, v7
	v_pk_mul_f32 v[6:7], v[18:19], v[6:7] op_sel_hi:[1,0]
	v_pk_add_f32 v[4:5], v[4:5], v[8:9]
	s_waitcnt vmcnt(0)
	v_pk_fma_f32 v[8:9], v[18:19], v[2:3], v[6:7] op_sel:[0,0,1] op_sel_hi:[1,1,0] neg_lo:[0,0,1] neg_hi:[0,0,1]
	v_pk_fma_f32 v[2:3], v[18:19], v[2:3], v[6:7] op_sel:[0,0,1] op_sel_hi:[1,0,0]
	v_mov_b32_e32 v9, v3
	v_pk_add_f32 v[2:3], v[4:5], v[8:9]
	v_pk_add_f32 v[2:3], v[20:21], v[2:3] neg_lo:[0,1] neg_hi:[0,1]
	buffer_store_dword v2, off, s[0:3], 0 offset:264
	buffer_store_dword v3, off, s[0:3], 0 offset:268
	s_and_saveexec_b64 s[4:5], vcc
	s_cbranch_execz .LBB105_201
; %bb.200:
	buffer_load_dword v2, off, s[0:3], 0 offset:256
	buffer_load_dword v3, off, s[0:3], 0 offset:260
	v_mov_b32_e32 v4, 0
	buffer_store_dword v4, off, s[0:3], 0 offset:256
	buffer_store_dword v4, off, s[0:3], 0 offset:260
	s_waitcnt vmcnt(2)
	ds_write_b64 v1, v[2:3]
.LBB105_201:
	s_or_b64 exec, exec, s[4:5]
	v_mov_b32_e32 v4, 0
	s_waitcnt lgkmcnt(0)
	; wave barrier
	s_waitcnt lgkmcnt(0)
	ds_read2_b64 v[6:9], v4 offset0:75 offset1:76
	buffer_load_dword v2, off, s[0:3], 0 offset:256
	buffer_load_dword v3, off, s[0:3], 0 offset:260
	;; [unrolled: 1-line block ×20, first 2 shown]
	v_cmp_lt_u32_e32 vcc, 31, v0
	s_waitcnt vmcnt(16) lgkmcnt(0)
	v_mul_f32_e32 v35, v6, v10
	v_fmac_f32_e32 v35, v7, v5
	v_mul_f32_e32 v7, v7, v10
	s_waitcnt vmcnt(14)
	v_mov_b32_e32 v40, v23
	v_fma_f32 v34, v6, v5, -v7
	ds_read2_b64 v[10:13], v4 offset0:77 offset1:78
	ds_read2_b64 v[14:17], v4 offset0:79 offset1:80
	;; [unrolled: 1-line block ×3, first 2 shown]
	ds_read_b64 v[6:7], v4 offset:664
	v_pk_mul_f32 v[40:41], v[8:9], v[40:41] op_sel_hi:[1,0]
	v_pk_fma_f32 v[42:43], v[8:9], v[22:23], v[40:41] op_sel:[0,0,1] op_sel_hi:[1,1,0] neg_lo:[0,0,1] neg_hi:[0,0,1]
	v_pk_fma_f32 v[8:9], v[8:9], v[22:23], v[40:41] op_sel:[0,0,1] op_sel_hi:[1,0,0]
	s_waitcnt vmcnt(12)
	v_mov_b32_e32 v22, v25
	v_pk_add_f32 v[34:35], v[34:35], 0 op_sel_hi:[1,0]
	v_mov_b32_e32 v43, v9
	s_waitcnt lgkmcnt(3)
	v_pk_mul_f32 v[22:23], v[10:11], v[22:23] op_sel_hi:[1,0]
	v_pk_add_f32 v[8:9], v[34:35], v[42:43]
	v_pk_fma_f32 v[34:35], v[10:11], v[24:25], v[22:23] op_sel:[0,0,1] op_sel_hi:[1,1,0] neg_lo:[0,0,1] neg_hi:[0,0,1]
	v_pk_fma_f32 v[10:11], v[10:11], v[24:25], v[22:23] op_sel:[0,0,1] op_sel_hi:[1,0,0]
	s_waitcnt vmcnt(10)
	v_mov_b32_e32 v10, v27
	v_mov_b32_e32 v35, v11
	v_pk_mul_f32 v[10:11], v[12:13], v[10:11] op_sel_hi:[1,0]
	v_pk_fma_f32 v[22:23], v[12:13], v[26:27], v[10:11] op_sel:[0,0,1] op_sel_hi:[1,1,0] neg_lo:[0,0,1] neg_hi:[0,0,1]
	v_pk_fma_f32 v[10:11], v[12:13], v[26:27], v[10:11] op_sel:[0,0,1] op_sel_hi:[1,0,0]
	s_waitcnt vmcnt(8)
	v_mov_b32_e32 v10, v29
	v_mov_b32_e32 v23, v11
	s_waitcnt lgkmcnt(2)
	v_pk_mul_f32 v[10:11], v[14:15], v[10:11] op_sel_hi:[1,0]
	v_pk_fma_f32 v[12:13], v[14:15], v[28:29], v[10:11] op_sel:[0,0,1] op_sel_hi:[1,1,0] neg_lo:[0,0,1] neg_hi:[0,0,1]
	v_pk_fma_f32 v[10:11], v[14:15], v[28:29], v[10:11] op_sel:[0,0,1] op_sel_hi:[1,0,0]
	v_pk_add_f32 v[8:9], v[8:9], v[34:35]
	s_waitcnt vmcnt(6)
	v_mov_b32_e32 v10, v31
	v_pk_add_f32 v[8:9], v[8:9], v[22:23]
	v_mov_b32_e32 v13, v11
	v_pk_mul_f32 v[10:11], v[16:17], v[10:11] op_sel_hi:[1,0]
	v_pk_add_f32 v[8:9], v[8:9], v[12:13]
	v_pk_fma_f32 v[12:13], v[16:17], v[30:31], v[10:11] op_sel:[0,0,1] op_sel_hi:[1,1,0] neg_lo:[0,0,1] neg_hi:[0,0,1]
	v_pk_fma_f32 v[10:11], v[16:17], v[30:31], v[10:11] op_sel:[0,0,1] op_sel_hi:[1,0,0]
	s_waitcnt vmcnt(4)
	v_mov_b32_e32 v10, v33
	v_mov_b32_e32 v13, v11
	s_waitcnt lgkmcnt(1)
	v_pk_mul_f32 v[10:11], v[18:19], v[10:11] op_sel_hi:[1,0]
	v_pk_add_f32 v[8:9], v[8:9], v[12:13]
	v_pk_fma_f32 v[12:13], v[18:19], v[32:33], v[10:11] op_sel:[0,0,1] op_sel_hi:[1,1,0] neg_lo:[0,0,1] neg_hi:[0,0,1]
	v_pk_fma_f32 v[10:11], v[18:19], v[32:33], v[10:11] op_sel:[0,0,1] op_sel_hi:[1,0,0]
	s_waitcnt vmcnt(3)
	v_mov_b32_e32 v10, v37
	v_mov_b32_e32 v13, v11
	v_pk_mul_f32 v[10:11], v[20:21], v[10:11] op_sel_hi:[1,0]
	v_pk_add_f32 v[8:9], v[8:9], v[12:13]
	s_waitcnt vmcnt(2)
	v_pk_fma_f32 v[12:13], v[20:21], v[36:37], v[10:11] op_sel:[0,0,1] op_sel_hi:[1,1,0] neg_lo:[0,0,1] neg_hi:[0,0,1]
	v_pk_fma_f32 v[10:11], v[20:21], v[36:37], v[10:11] op_sel:[0,0,1] op_sel_hi:[1,0,0]
	s_waitcnt vmcnt(1)
	v_mov_b32_e32 v10, v39
	v_mov_b32_e32 v13, v11
	s_waitcnt lgkmcnt(0)
	v_pk_mul_f32 v[10:11], v[6:7], v[10:11] op_sel_hi:[1,0]
	v_pk_add_f32 v[8:9], v[8:9], v[12:13]
	s_waitcnt vmcnt(0)
	v_pk_fma_f32 v[12:13], v[6:7], v[38:39], v[10:11] op_sel:[0,0,1] op_sel_hi:[1,1,0] neg_lo:[0,0,1] neg_hi:[0,0,1]
	v_pk_fma_f32 v[6:7], v[6:7], v[38:39], v[10:11] op_sel:[0,0,1] op_sel_hi:[1,0,0]
	v_mov_b32_e32 v13, v7
	v_pk_add_f32 v[6:7], v[8:9], v[12:13]
	v_pk_add_f32 v[2:3], v[2:3], v[6:7] neg_lo:[0,1] neg_hi:[0,1]
	buffer_store_dword v2, off, s[0:3], 0 offset:256
	buffer_store_dword v3, off, s[0:3], 0 offset:260
	s_and_saveexec_b64 s[4:5], vcc
	s_cbranch_execz .LBB105_203
; %bb.202:
	buffer_load_dword v2, off, s[0:3], 0 offset:248
	buffer_load_dword v3, off, s[0:3], 0 offset:252
	s_waitcnt vmcnt(0)
	ds_write_b64 v1, v[2:3]
	buffer_store_dword v4, off, s[0:3], 0 offset:248
	buffer_store_dword v4, off, s[0:3], 0 offset:252
.LBB105_203:
	s_or_b64 exec, exec, s[4:5]
	s_waitcnt lgkmcnt(0)
	; wave barrier
	s_waitcnt lgkmcnt(0)
	ds_read_b128 v[6:9], v4 offset:592
	ds_read_b128 v[10:13], v4 offset:608
	;; [unrolled: 1-line block ×4, first 2 shown]
	buffer_load_dword v2, off, s[0:3], 0 offset:248
	buffer_load_dword v3, off, s[0:3], 0 offset:252
	;; [unrolled: 1-line block ×22, first 2 shown]
	v_cmp_lt_u32_e32 vcc, 30, v0
	s_waitcnt vmcnt(18) lgkmcnt(3)
	v_mul_f32_e32 v33, v6, v32
	v_fmac_f32_e32 v33, v7, v5
	v_mul_f32_e32 v7, v7, v32
	s_waitcnt vmcnt(16)
	v_mul_f32_e32 v35, v8, v42
	v_fma_f32 v32, v6, v5, -v7
	v_mul_f32_e32 v5, v9, v42
	v_fmac_f32_e32 v35, v9, v34
	v_fma_f32 v34, v8, v34, -v5
	v_pk_add_f32 v[8:9], v[32:33], 0 op_sel_hi:[1,0]
	s_waitcnt vmcnt(14)
	v_mov_b32_e32 v32, v23
	s_waitcnt lgkmcnt(2)
	v_pk_mul_f32 v[32:33], v[10:11], v[32:33] op_sel_hi:[1,0]
	v_pk_add_f32 v[8:9], v[8:9], v[34:35]
	v_pk_fma_f32 v[34:35], v[10:11], v[22:23], v[32:33] op_sel:[0,0,1] op_sel_hi:[1,1,0] neg_lo:[0,0,1] neg_hi:[0,0,1]
	v_pk_fma_f32 v[10:11], v[10:11], v[22:23], v[32:33] op_sel:[0,0,1] op_sel_hi:[1,0,0]
	s_waitcnt vmcnt(12)
	v_mov_b32_e32 v10, v25
	v_mov_b32_e32 v35, v11
	v_pk_mul_f32 v[10:11], v[12:13], v[10:11] op_sel_hi:[1,0]
	v_pk_fma_f32 v[22:23], v[12:13], v[24:25], v[10:11] op_sel:[0,0,1] op_sel_hi:[1,1,0] neg_lo:[0,0,1] neg_hi:[0,0,1]
	v_pk_fma_f32 v[10:11], v[12:13], v[24:25], v[10:11] op_sel:[0,0,1] op_sel_hi:[1,0,0]
	s_waitcnt vmcnt(10)
	v_mov_b32_e32 v10, v27
	v_mov_b32_e32 v23, v11
	s_waitcnt lgkmcnt(1)
	v_pk_mul_f32 v[10:11], v[14:15], v[10:11] op_sel_hi:[1,0]
	v_pk_fma_f32 v[12:13], v[14:15], v[26:27], v[10:11] op_sel:[0,0,1] op_sel_hi:[1,1,0] neg_lo:[0,0,1] neg_hi:[0,0,1]
	v_pk_fma_f32 v[10:11], v[14:15], v[26:27], v[10:11] op_sel:[0,0,1] op_sel_hi:[1,0,0]
	v_pk_add_f32 v[8:9], v[8:9], v[34:35]
	s_waitcnt vmcnt(8)
	v_mov_b32_e32 v10, v29
	v_pk_add_f32 v[8:9], v[8:9], v[22:23]
	v_mov_b32_e32 v13, v11
	v_pk_mul_f32 v[10:11], v[16:17], v[10:11] op_sel_hi:[1,0]
	v_pk_add_f32 v[8:9], v[8:9], v[12:13]
	v_pk_fma_f32 v[12:13], v[16:17], v[28:29], v[10:11] op_sel:[0,0,1] op_sel_hi:[1,1,0] neg_lo:[0,0,1] neg_hi:[0,0,1]
	v_pk_fma_f32 v[10:11], v[16:17], v[28:29], v[10:11] op_sel:[0,0,1] op_sel_hi:[1,0,0]
	s_waitcnt vmcnt(6)
	v_mov_b32_e32 v10, v31
	v_mov_b32_e32 v13, v11
	s_waitcnt lgkmcnt(0)
	v_pk_mul_f32 v[10:11], v[18:19], v[10:11] op_sel_hi:[1,0]
	ds_read_b128 v[4:7], v4 offset:656
	v_pk_add_f32 v[8:9], v[8:9], v[12:13]
	v_pk_fma_f32 v[12:13], v[18:19], v[30:31], v[10:11] op_sel:[0,0,1] op_sel_hi:[1,1,0] neg_lo:[0,0,1] neg_hi:[0,0,1]
	v_pk_fma_f32 v[10:11], v[18:19], v[30:31], v[10:11] op_sel:[0,0,1] op_sel_hi:[1,0,0]
	s_waitcnt vmcnt(5)
	v_mov_b32_e32 v10, v37
	v_mov_b32_e32 v13, v11
	v_pk_mul_f32 v[10:11], v[20:21], v[10:11] op_sel_hi:[1,0]
	v_pk_add_f32 v[8:9], v[8:9], v[12:13]
	s_waitcnt vmcnt(4)
	v_pk_fma_f32 v[12:13], v[20:21], v[36:37], v[10:11] op_sel:[0,0,1] op_sel_hi:[1,1,0] neg_lo:[0,0,1] neg_hi:[0,0,1]
	v_pk_fma_f32 v[10:11], v[20:21], v[36:37], v[10:11] op_sel:[0,0,1] op_sel_hi:[1,0,0]
	s_waitcnt vmcnt(3)
	v_mov_b32_e32 v10, v39
	v_mov_b32_e32 v13, v11
	s_waitcnt lgkmcnt(0)
	v_pk_mul_f32 v[10:11], v[4:5], v[10:11] op_sel_hi:[1,0]
	v_pk_add_f32 v[8:9], v[8:9], v[12:13]
	s_waitcnt vmcnt(2)
	v_pk_fma_f32 v[12:13], v[4:5], v[38:39], v[10:11] op_sel:[0,0,1] op_sel_hi:[1,1,0] neg_lo:[0,0,1] neg_hi:[0,0,1]
	v_pk_fma_f32 v[4:5], v[4:5], v[38:39], v[10:11] op_sel:[0,0,1] op_sel_hi:[1,0,0]
	v_mov_b32_e32 v13, v5
	v_pk_add_f32 v[4:5], v[8:9], v[12:13]
	s_waitcnt vmcnt(1)
	v_mov_b32_e32 v8, v41
	v_pk_mul_f32 v[8:9], v[6:7], v[8:9] op_sel_hi:[1,0]
	s_waitcnt vmcnt(0)
	v_pk_fma_f32 v[10:11], v[6:7], v[40:41], v[8:9] op_sel:[0,0,1] op_sel_hi:[1,1,0] neg_lo:[0,0,1] neg_hi:[0,0,1]
	v_pk_fma_f32 v[6:7], v[6:7], v[40:41], v[8:9] op_sel:[0,0,1] op_sel_hi:[1,0,0]
	v_mov_b32_e32 v11, v7
	v_pk_add_f32 v[4:5], v[4:5], v[10:11]
	v_pk_add_f32 v[2:3], v[2:3], v[4:5] neg_lo:[0,1] neg_hi:[0,1]
	buffer_store_dword v2, off, s[0:3], 0 offset:248
	buffer_store_dword v3, off, s[0:3], 0 offset:252
	s_and_saveexec_b64 s[4:5], vcc
	s_cbranch_execz .LBB105_205
; %bb.204:
	buffer_load_dword v2, off, s[0:3], 0 offset:240
	buffer_load_dword v3, off, s[0:3], 0 offset:244
	v_mov_b32_e32 v4, 0
	buffer_store_dword v4, off, s[0:3], 0 offset:240
	buffer_store_dword v4, off, s[0:3], 0 offset:244
	s_waitcnt vmcnt(2)
	ds_write_b64 v1, v[2:3]
.LBB105_205:
	s_or_b64 exec, exec, s[4:5]
	s_waitcnt lgkmcnt(0)
	; wave barrier
	s_waitcnt lgkmcnt(0)
	buffer_load_dword v3, off, s[0:3], 0 offset:252
	buffer_load_dword v44, off, s[0:3], 0 offset:260
	;; [unrolled: 1-line block ×24, first 2 shown]
	v_mov_b32_e32 v2, 0
	ds_read2_b64 v[4:7], v2 offset0:73 offset1:74
	ds_read2_b64 v[8:11], v2 offset0:75 offset1:76
	;; [unrolled: 1-line block ×5, first 2 shown]
	ds_read_b64 v[42:43], v2 offset:664
	v_cmp_lt_u32_e32 vcc, 29, v0
	s_waitcnt vmcnt(23) lgkmcnt(5)
	v_mul_f32_e32 v57, v4, v3
	v_mul_f32_e32 v3, v5, v3
	s_waitcnt vmcnt(22)
	v_mul_f32_e32 v45, v6, v44
	s_waitcnt vmcnt(21) lgkmcnt(4)
	v_mul_f32_e32 v47, v8, v46
	v_mul_f32_e32 v44, v7, v44
	;; [unrolled: 1-line block ×3, first 2 shown]
	s_waitcnt vmcnt(20)
	v_mov_b32_e32 v48, v25
	s_waitcnt vmcnt(19)
	v_mov_b32_e32 v50, v27
	;; [unrolled: 2-line block ×5, first 2 shown]
	s_waitcnt vmcnt(12)
	v_fmac_f32_e32 v57, v5, v49
	v_fma_f32 v3, v4, v49, -v3
	v_mov_b32_e32 v58, v35
	s_waitcnt vmcnt(11)
	v_fmac_f32_e32 v45, v7, v51
	s_waitcnt vmcnt(10)
	v_fmac_f32_e32 v47, v9, v53
	v_fma_f32 v44, v6, v51, -v44
	v_fma_f32 v46, v8, v53, -v46
	v_pk_mul_f32 v[4:5], v[10:11], v[48:49] op_sel_hi:[1,0]
	s_waitcnt lgkmcnt(3)
	v_pk_mul_f32 v[6:7], v[12:13], v[50:51] op_sel_hi:[1,0]
	v_pk_mul_f32 v[8:9], v[14:15], v[52:53] op_sel_hi:[1,0]
	s_waitcnt lgkmcnt(2)
	v_pk_mul_f32 v[48:49], v[16:17], v[54:55] op_sel_hi:[1,0]
	v_pk_mul_f32 v[50:51], v[18:19], v[56:57] op_sel_hi:[1,0]
	v_add_f32_e32 v57, 0, v57
	v_add_f32_e32 v56, 0, v3
	s_waitcnt lgkmcnt(1)
	v_pk_mul_f32 v[52:53], v[20:21], v[58:59] op_sel_hi:[1,0]
	s_waitcnt vmcnt(9)
	v_pk_fma_f32 v[58:59], v[10:11], v[24:25], v[4:5] op_sel:[0,0,1] op_sel_hi:[1,1,0] neg_lo:[0,0,1] neg_hi:[0,0,1]
	v_pk_fma_f32 v[4:5], v[10:11], v[24:25], v[4:5] op_sel:[0,0,1] op_sel_hi:[1,0,0]
	s_waitcnt vmcnt(8)
	v_pk_fma_f32 v[10:11], v[12:13], v[26:27], v[6:7] op_sel:[0,0,1] op_sel_hi:[1,1,0] neg_lo:[0,0,1] neg_hi:[0,0,1]
	v_pk_fma_f32 v[6:7], v[12:13], v[26:27], v[6:7] op_sel:[0,0,1] op_sel_hi:[1,0,0]
	;; [unrolled: 3-line block ×4, first 2 shown]
	v_pk_add_f32 v[30:31], v[56:57], v[44:45]
	v_mov_b32_e32 v59, v5
	v_pk_add_f32 v[4:5], v[30:31], v[46:47]
	v_mov_b32_e32 v11, v7
	;; [unrolled: 2-line block ×4, first 2 shown]
	s_waitcnt vmcnt(2)
	v_pk_fma_f32 v[24:25], v[18:19], v[32:33], v[50:51] op_sel:[0,0,1] op_sel_hi:[1,1,0] neg_lo:[0,0,1] neg_hi:[0,0,1]
	v_pk_fma_f32 v[18:19], v[18:19], v[32:33], v[50:51] op_sel:[0,0,1] op_sel_hi:[1,0,0]
	v_mov_b32_e32 v15, v17
	v_pk_add_f32 v[4:5], v[4:5], v[12:13]
	v_mov_b32_e32 v62, v39
	v_pk_mul_f32 v[54:55], v[22:23], v[60:61] op_sel_hi:[1,0]
	v_pk_fma_f32 v[26:27], v[20:21], v[34:35], v[52:53] op_sel:[0,0,1] op_sel_hi:[1,1,0] neg_lo:[0,0,1] neg_hi:[0,0,1]
	v_pk_fma_f32 v[20:21], v[20:21], v[34:35], v[52:53] op_sel:[0,0,1] op_sel_hi:[1,0,0]
	v_mov_b32_e32 v25, v19
	v_pk_add_f32 v[4:5], v[4:5], v[14:15]
	v_pk_fma_f32 v[28:29], v[22:23], v[36:37], v[54:55] op_sel:[0,0,1] op_sel_hi:[1,1,0] neg_lo:[0,0,1] neg_hi:[0,0,1]
	v_pk_fma_f32 v[22:23], v[22:23], v[36:37], v[54:55] op_sel:[0,0,1] op_sel_hi:[1,0,0]
	v_mov_b32_e32 v27, v21
	v_pk_add_f32 v[4:5], v[4:5], v[24:25]
	s_waitcnt lgkmcnt(0)
	v_pk_mul_f32 v[6:7], v[42:43], v[62:63] op_sel_hi:[1,0]
	v_mov_b32_e32 v29, v23
	v_pk_add_f32 v[4:5], v[4:5], v[26:27]
	v_pk_fma_f32 v[8:9], v[42:43], v[38:39], v[6:7] op_sel:[0,0,1] op_sel_hi:[1,1,0] neg_lo:[0,0,1] neg_hi:[0,0,1]
	v_pk_fma_f32 v[6:7], v[42:43], v[38:39], v[6:7] op_sel:[0,0,1] op_sel_hi:[1,0,0]
	v_pk_add_f32 v[4:5], v[4:5], v[28:29]
	v_mov_b32_e32 v9, v7
	v_pk_add_f32 v[4:5], v[4:5], v[8:9]
	s_waitcnt vmcnt(0)
	v_pk_add_f32 v[4:5], v[40:41], v[4:5] neg_lo:[0,1] neg_hi:[0,1]
	buffer_store_dword v5, off, s[0:3], 0 offset:244
	buffer_store_dword v4, off, s[0:3], 0 offset:240
	s_and_saveexec_b64 s[4:5], vcc
	s_cbranch_execz .LBB105_207
; %bb.206:
	buffer_load_dword v4, off, s[0:3], 0 offset:232
	buffer_load_dword v5, off, s[0:3], 0 offset:236
	s_waitcnt vmcnt(0)
	ds_write_b64 v1, v[4:5]
	buffer_store_dword v2, off, s[0:3], 0 offset:232
	buffer_store_dword v2, off, s[0:3], 0 offset:236
.LBB105_207:
	s_or_b64 exec, exec, s[4:5]
	s_waitcnt lgkmcnt(0)
	; wave barrier
	s_waitcnt lgkmcnt(0)
	buffer_load_dword v46, off, s[0:3], 0 offset:244
	buffer_load_dword v48, off, s[0:3], 0 offset:252
	buffer_load_dword v49, off, s[0:3], 0 offset:260
	buffer_load_dword v50, off, s[0:3], 0 offset:268
	buffer_load_dword v29, off, s[0:3], 0 offset:276
	buffer_load_dword v31, off, s[0:3], 0 offset:284
	buffer_load_dword v33, off, s[0:3], 0 offset:292
	buffer_load_dword v35, off, s[0:3], 0 offset:300
	buffer_load_dword v37, off, s[0:3], 0 offset:308
	buffer_load_dword v39, off, s[0:3], 0 offset:316
	buffer_load_dword v51, off, s[0:3], 0 offset:240
	buffer_load_dword v53, off, s[0:3], 0 offset:248
	buffer_load_dword v55, off, s[0:3], 0 offset:256
	buffer_load_dword v57, off, s[0:3], 0 offset:264
	buffer_load_dword v28, off, s[0:3], 0 offset:272
	buffer_load_dword v30, off, s[0:3], 0 offset:280
	buffer_load_dword v32, off, s[0:3], 0 offset:288
	buffer_load_dword v40, off, s[0:3], 0 offset:320
	buffer_load_dword v38, off, s[0:3], 0 offset:312
	buffer_load_dword v36, off, s[0:3], 0 offset:304
	buffer_load_dword v34, off, s[0:3], 0 offset:296
	buffer_load_dword v41, off, s[0:3], 0 offset:324
	buffer_load_dword v43, off, s[0:3], 0 offset:332
	buffer_load_dword v42, off, s[0:3], 0 offset:328
	buffer_load_dword v44, off, s[0:3], 0 offset:232
	buffer_load_dword v45, off, s[0:3], 0 offset:236
	ds_read_b128 v[4:7], v2 offset:576
	ds_read_b128 v[8:11], v2 offset:592
	;; [unrolled: 1-line block ×6, first 2 shown]
	v_cmp_lt_u32_e32 vcc, 28, v0
	s_waitcnt vmcnt(25) lgkmcnt(5)
	v_mul_f32_e32 v59, v4, v46
	v_mul_f32_e32 v2, v5, v46
	s_waitcnt vmcnt(24)
	v_mul_f32_e32 v60, v6, v48
	s_waitcnt vmcnt(23) lgkmcnt(4)
	v_mul_f32_e32 v3, v8, v49
	s_waitcnt vmcnt(22)
	v_mul_f32_e32 v47, v10, v50
	v_mul_f32_e32 v46, v7, v48
	;; [unrolled: 1-line block ×4, first 2 shown]
	s_waitcnt vmcnt(21)
	v_mov_b32_e32 v48, v29
	s_waitcnt vmcnt(20)
	v_mov_b32_e32 v50, v31
	;; [unrolled: 2-line block ×3, first 2 shown]
	s_waitcnt vmcnt(15)
	v_fmac_f32_e32 v59, v5, v51
	v_fma_f32 v62, v4, v51, -v2
	v_mov_b32_e32 v52, v33
	s_waitcnt vmcnt(14)
	v_fmac_f32_e32 v60, v7, v53
	s_waitcnt vmcnt(13)
	v_fmac_f32_e32 v3, v9, v55
	;; [unrolled: 2-line block ×3, first 2 shown]
	v_fma_f32 v63, v6, v53, -v46
	v_fma_f32 v2, v8, v55, -v49
	;; [unrolled: 1-line block ×3, first 2 shown]
	s_waitcnt lgkmcnt(3)
	v_pk_mul_f32 v[4:5], v[12:13], v[48:49] op_sel_hi:[1,0]
	v_pk_mul_f32 v[6:7], v[14:15], v[50:51] op_sel_hi:[1,0]
	s_waitcnt lgkmcnt(2)
	v_pk_mul_f32 v[10:11], v[18:19], v[54:55] op_sel_hi:[1,0]
	v_add_f32_e32 v54, 0, v59
	v_add_f32_e32 v55, 0, v62
	v_pk_mul_f32 v[8:9], v[16:17], v[52:53] op_sel_hi:[1,0]
	s_waitcnt vmcnt(11)
	v_pk_fma_f32 v[52:53], v[12:13], v[28:29], v[4:5] op_sel:[0,0,1] op_sel_hi:[1,1,0] neg_lo:[0,0,1] neg_hi:[0,0,1]
	v_pk_fma_f32 v[4:5], v[12:13], v[28:29], v[4:5] op_sel:[0,0,1] op_sel_hi:[1,0,0]
	s_waitcnt vmcnt(10)
	v_pk_fma_f32 v[12:13], v[14:15], v[30:31], v[6:7] op_sel:[0,0,1] op_sel_hi:[1,1,0] neg_lo:[0,0,1] neg_hi:[0,0,1]
	v_pk_fma_f32 v[6:7], v[14:15], v[30:31], v[6:7] op_sel:[0,0,1] op_sel_hi:[1,0,0]
	v_add_f32_e32 v31, v54, v60
	v_add_f32_e32 v30, v55, v63
	v_pk_add_f32 v[2:3], v[30:31], v[2:3]
	v_mov_b32_e32 v53, v5
	v_pk_add_f32 v[2:3], v[2:3], v[46:47]
	v_mov_b32_e32 v56, v37
	s_waitcnt vmcnt(9)
	v_pk_fma_f32 v[14:15], v[16:17], v[32:33], v[8:9] op_sel:[0,0,1] op_sel_hi:[1,1,0] neg_lo:[0,0,1] neg_hi:[0,0,1]
	v_pk_fma_f32 v[8:9], v[16:17], v[32:33], v[8:9] op_sel:[0,0,1] op_sel_hi:[1,0,0]
	v_mov_b32_e32 v13, v7
	v_pk_add_f32 v[2:3], v[2:3], v[52:53]
	v_mov_b32_e32 v58, v39
	s_waitcnt lgkmcnt(1)
	v_pk_mul_f32 v[48:49], v[20:21], v[56:57] op_sel_hi:[1,0]
	s_waitcnt vmcnt(5)
	v_pk_fma_f32 v[16:17], v[18:19], v[34:35], v[10:11] op_sel:[0,0,1] op_sel_hi:[1,1,0] neg_lo:[0,0,1] neg_hi:[0,0,1]
	v_pk_fma_f32 v[10:11], v[18:19], v[34:35], v[10:11] op_sel:[0,0,1] op_sel_hi:[1,0,0]
	v_mov_b32_e32 v15, v9
	v_pk_add_f32 v[2:3], v[2:3], v[12:13]
	s_waitcnt vmcnt(4)
	v_mov_b32_e32 v4, v41
	v_pk_mul_f32 v[50:51], v[22:23], v[58:59] op_sel_hi:[1,0]
	v_pk_fma_f32 v[18:19], v[20:21], v[36:37], v[48:49] op_sel:[0,0,1] op_sel_hi:[1,1,0] neg_lo:[0,0,1] neg_hi:[0,0,1]
	v_pk_fma_f32 v[20:21], v[20:21], v[36:37], v[48:49] op_sel:[0,0,1] op_sel_hi:[1,0,0]
	v_mov_b32_e32 v17, v11
	v_pk_add_f32 v[2:3], v[2:3], v[14:15]
	s_waitcnt lgkmcnt(0)
	v_pk_mul_f32 v[4:5], v[24:25], v[4:5] op_sel_hi:[1,0]
	v_pk_fma_f32 v[28:29], v[22:23], v[38:39], v[50:51] op_sel:[0,0,1] op_sel_hi:[1,1,0] neg_lo:[0,0,1] neg_hi:[0,0,1]
	v_pk_fma_f32 v[22:23], v[22:23], v[38:39], v[50:51] op_sel:[0,0,1] op_sel_hi:[1,0,0]
	v_mov_b32_e32 v19, v21
	v_pk_add_f32 v[2:3], v[2:3], v[16:17]
	v_pk_fma_f32 v[6:7], v[24:25], v[40:41], v[4:5] op_sel:[0,0,1] op_sel_hi:[1,1,0] neg_lo:[0,0,1] neg_hi:[0,0,1]
	v_pk_fma_f32 v[4:5], v[24:25], v[40:41], v[4:5] op_sel:[0,0,1] op_sel_hi:[1,0,0]
	v_mov_b32_e32 v29, v23
	v_pk_add_f32 v[2:3], v[2:3], v[18:19]
	s_waitcnt vmcnt(3)
	v_mov_b32_e32 v4, v43
	v_pk_add_f32 v[2:3], v[2:3], v[28:29]
	v_mov_b32_e32 v7, v5
	v_pk_mul_f32 v[4:5], v[26:27], v[4:5] op_sel_hi:[1,0]
	v_pk_add_f32 v[2:3], v[2:3], v[6:7]
	s_waitcnt vmcnt(2)
	v_pk_fma_f32 v[6:7], v[26:27], v[42:43], v[4:5] op_sel:[0,0,1] op_sel_hi:[1,1,0] neg_lo:[0,0,1] neg_hi:[0,0,1]
	v_pk_fma_f32 v[4:5], v[26:27], v[42:43], v[4:5] op_sel:[0,0,1] op_sel_hi:[1,0,0]
	v_mov_b32_e32 v7, v5
	v_pk_add_f32 v[2:3], v[2:3], v[6:7]
	s_waitcnt vmcnt(0)
	v_pk_add_f32 v[2:3], v[44:45], v[2:3] neg_lo:[0,1] neg_hi:[0,1]
	buffer_store_dword v3, off, s[0:3], 0 offset:236
	buffer_store_dword v2, off, s[0:3], 0 offset:232
	s_and_saveexec_b64 s[4:5], vcc
	s_cbranch_execz .LBB105_209
; %bb.208:
	buffer_load_dword v2, off, s[0:3], 0 offset:224
	buffer_load_dword v3, off, s[0:3], 0 offset:228
	v_mov_b32_e32 v4, 0
	buffer_store_dword v4, off, s[0:3], 0 offset:224
	buffer_store_dword v4, off, s[0:3], 0 offset:228
	s_waitcnt vmcnt(2)
	ds_write_b64 v1, v[2:3]
.LBB105_209:
	s_or_b64 exec, exec, s[4:5]
	s_waitcnt lgkmcnt(0)
	; wave barrier
	s_waitcnt lgkmcnt(0)
	buffer_load_dword v3, off, s[0:3], 0 offset:236
	buffer_load_dword v48, off, s[0:3], 0 offset:244
	buffer_load_dword v50, off, s[0:3], 0 offset:252
	buffer_load_dword v52, off, s[0:3], 0 offset:260
	buffer_load_dword v53, off, s[0:3], 0 offset:268
	buffer_load_dword v29, off, s[0:3], 0 offset:276
	buffer_load_dword v31, off, s[0:3], 0 offset:284
	buffer_load_dword v33, off, s[0:3], 0 offset:292
	buffer_load_dword v35, off, s[0:3], 0 offset:300
	buffer_load_dword v37, off, s[0:3], 0 offset:308
	buffer_load_dword v55, off, s[0:3], 0 offset:232
	buffer_load_dword v57, off, s[0:3], 0 offset:240
	buffer_load_dword v59, off, s[0:3], 0 offset:248
	buffer_load_dword v61, off, s[0:3], 0 offset:256
	buffer_load_dword v62, off, s[0:3], 0 offset:264
	buffer_load_dword v28, off, s[0:3], 0 offset:272
	buffer_load_dword v30, off, s[0:3], 0 offset:280
	buffer_load_dword v38, off, s[0:3], 0 offset:312
	buffer_load_dword v36, off, s[0:3], 0 offset:304
	buffer_load_dword v34, off, s[0:3], 0 offset:296
	buffer_load_dword v32, off, s[0:3], 0 offset:288
	buffer_load_dword v39, off, s[0:3], 0 offset:316
	buffer_load_dword v41, off, s[0:3], 0 offset:324
	buffer_load_dword v42, off, s[0:3], 0 offset:328
	buffer_load_dword v40, off, s[0:3], 0 offset:320
	buffer_load_dword v43, off, s[0:3], 0 offset:332
	buffer_load_dword v44, off, s[0:3], 0 offset:224
	buffer_load_dword v45, off, s[0:3], 0 offset:228
	v_mov_b32_e32 v2, 0
	ds_read2_b64 v[4:7], v2 offset0:71 offset1:72
	ds_read2_b64 v[8:11], v2 offset0:73 offset1:74
	;; [unrolled: 1-line block ×6, first 2 shown]
	ds_read_b64 v[46:47], v2 offset:664
	v_cmp_lt_u32_e32 vcc, 27, v0
	s_waitcnt vmcnt(27) lgkmcnt(6)
	v_mul_f32_e32 v63, v4, v3
	v_mul_f32_e32 v3, v5, v3
	s_waitcnt vmcnt(26)
	v_mul_f32_e32 v148, v6, v48
	s_waitcnt vmcnt(24) lgkmcnt(5)
	v_mul_f32_e32 v49, v10, v52
	s_waitcnt vmcnt(23) lgkmcnt(4)
	v_mul_f32_e32 v51, v12, v53
	v_mul_f32_e32 v150, v11, v52
	;; [unrolled: 1-line block ×3, first 2 shown]
	s_waitcnt vmcnt(22)
	v_mov_b32_e32 v52, v29
	v_mul_f32_e32 v149, v8, v50
	v_mul_f32_e32 v48, v7, v48
	v_mul_f32_e32 v50, v9, v50
	s_waitcnt vmcnt(17)
	v_fmac_f32_e32 v63, v5, v55
	v_fma_f32 v3, v4, v55, -v3
	v_pk_mul_f32 v[4:5], v[14:15], v[52:53] op_sel_hi:[1,0]
	s_waitcnt vmcnt(16)
	v_fmac_f32_e32 v148, v7, v57
	s_waitcnt vmcnt(13)
	v_fmac_f32_e32 v51, v13, v62
	v_fma_f32 v55, v6, v57, -v48
	v_fma_f32 v57, v8, v59, -v50
	;; [unrolled: 1-line block ×3, first 2 shown]
	v_add_f32_e32 v52, 0, v63
	v_add_f32_e32 v3, 0, v3
	s_waitcnt vmcnt(12)
	v_pk_fma_f32 v[12:13], v[14:15], v[28:29], v[4:5] op_sel:[0,0,1] op_sel_hi:[1,1,0] neg_lo:[0,0,1] neg_hi:[0,0,1]
	v_pk_fma_f32 v[4:5], v[14:15], v[28:29], v[4:5] op_sel:[0,0,1] op_sel_hi:[1,0,0]
	v_fmac_f32_e32 v149, v9, v59
	v_add_f32_e32 v4, v52, v148
	v_add_f32_e32 v3, v3, v55
	v_mov_b32_e32 v54, v31
	v_fmac_f32_e32 v49, v11, v61
	v_fma_f32 v48, v10, v61, -v150
	v_mov_b32_e32 v13, v5
	v_add_f32_e32 v5, v4, v149
	v_add_f32_e32 v4, v3, v57
	v_mov_b32_e32 v56, v33
	s_waitcnt lgkmcnt(3)
	v_pk_mul_f32 v[6:7], v[16:17], v[54:55] op_sel_hi:[1,0]
	v_pk_add_f32 v[4:5], v[4:5], v[48:49]
	v_mov_b32_e32 v58, v35
	v_mov_b32_e32 v60, v37
	v_pk_mul_f32 v[8:9], v[18:19], v[56:57] op_sel_hi:[1,0]
	s_waitcnt vmcnt(11)
	v_pk_fma_f32 v[14:15], v[16:17], v[30:31], v[6:7] op_sel:[0,0,1] op_sel_hi:[1,1,0] neg_lo:[0,0,1] neg_hi:[0,0,1]
	v_pk_fma_f32 v[6:7], v[16:17], v[30:31], v[6:7] op_sel:[0,0,1] op_sel_hi:[1,0,0]
	v_pk_add_f32 v[4:5], v[4:5], v[50:51]
	s_waitcnt lgkmcnt(2)
	v_pk_mul_f32 v[10:11], v[20:21], v[58:59] op_sel_hi:[1,0]
	s_waitcnt vmcnt(7)
	v_pk_fma_f32 v[16:17], v[18:19], v[32:33], v[8:9] op_sel:[0,0,1] op_sel_hi:[1,1,0] neg_lo:[0,0,1] neg_hi:[0,0,1]
	v_pk_fma_f32 v[8:9], v[18:19], v[32:33], v[8:9] op_sel:[0,0,1] op_sel_hi:[1,0,0]
	v_mov_b32_e32 v15, v7
	v_pk_add_f32 v[4:5], v[4:5], v[12:13]
	v_pk_mul_f32 v[6:7], v[22:23], v[60:61] op_sel_hi:[1,0]
	v_pk_fma_f32 v[18:19], v[20:21], v[34:35], v[10:11] op_sel:[0,0,1] op_sel_hi:[1,1,0] neg_lo:[0,0,1] neg_hi:[0,0,1]
	v_pk_fma_f32 v[10:11], v[20:21], v[34:35], v[10:11] op_sel:[0,0,1] op_sel_hi:[1,0,0]
	v_mov_b32_e32 v17, v9
	v_pk_add_f32 v[4:5], v[4:5], v[14:15]
	v_pk_fma_f32 v[8:9], v[22:23], v[36:37], v[6:7] op_sel:[0,0,1] op_sel_hi:[1,1,0] neg_lo:[0,0,1] neg_hi:[0,0,1]
	v_pk_fma_f32 v[6:7], v[22:23], v[36:37], v[6:7] op_sel:[0,0,1] op_sel_hi:[1,0,0]
	v_mov_b32_e32 v19, v11
	v_pk_add_f32 v[4:5], v[4:5], v[16:17]
	s_waitcnt vmcnt(6)
	v_mov_b32_e32 v6, v39
	v_pk_add_f32 v[4:5], v[4:5], v[18:19]
	v_mov_b32_e32 v9, v7
	s_waitcnt lgkmcnt(1)
	v_pk_mul_f32 v[6:7], v[24:25], v[6:7] op_sel_hi:[1,0]
	v_pk_add_f32 v[4:5], v[4:5], v[8:9]
	v_pk_fma_f32 v[8:9], v[24:25], v[38:39], v[6:7] op_sel:[0,0,1] op_sel_hi:[1,1,0] neg_lo:[0,0,1] neg_hi:[0,0,1]
	v_pk_fma_f32 v[6:7], v[24:25], v[38:39], v[6:7] op_sel:[0,0,1] op_sel_hi:[1,0,0]
	s_waitcnt vmcnt(5)
	v_mov_b32_e32 v6, v41
	v_mov_b32_e32 v9, v7
	v_pk_mul_f32 v[6:7], v[26:27], v[6:7] op_sel_hi:[1,0]
	v_pk_add_f32 v[4:5], v[4:5], v[8:9]
	s_waitcnt vmcnt(3)
	v_pk_fma_f32 v[8:9], v[26:27], v[40:41], v[6:7] op_sel:[0,0,1] op_sel_hi:[1,1,0] neg_lo:[0,0,1] neg_hi:[0,0,1]
	v_pk_fma_f32 v[6:7], v[26:27], v[40:41], v[6:7] op_sel:[0,0,1] op_sel_hi:[1,0,0]
	s_waitcnt vmcnt(2)
	v_mov_b32_e32 v6, v43
	v_mov_b32_e32 v9, v7
	s_waitcnt lgkmcnt(0)
	v_pk_mul_f32 v[6:7], v[46:47], v[6:7] op_sel_hi:[1,0]
	v_pk_add_f32 v[4:5], v[4:5], v[8:9]
	v_pk_fma_f32 v[8:9], v[46:47], v[42:43], v[6:7] op_sel:[0,0,1] op_sel_hi:[1,1,0] neg_lo:[0,0,1] neg_hi:[0,0,1]
	v_pk_fma_f32 v[6:7], v[46:47], v[42:43], v[6:7] op_sel:[0,0,1] op_sel_hi:[1,0,0]
	v_mov_b32_e32 v9, v7
	v_pk_add_f32 v[4:5], v[4:5], v[8:9]
	s_waitcnt vmcnt(0)
	v_pk_add_f32 v[4:5], v[44:45], v[4:5] neg_lo:[0,1] neg_hi:[0,1]
	buffer_store_dword v5, off, s[0:3], 0 offset:228
	buffer_store_dword v4, off, s[0:3], 0 offset:224
	s_and_saveexec_b64 s[4:5], vcc
	s_cbranch_execz .LBB105_211
; %bb.210:
	buffer_load_dword v4, off, s[0:3], 0 offset:216
	buffer_load_dword v5, off, s[0:3], 0 offset:220
	s_waitcnt vmcnt(0)
	ds_write_b64 v1, v[4:5]
	buffer_store_dword v2, off, s[0:3], 0 offset:216
	buffer_store_dword v2, off, s[0:3], 0 offset:220
.LBB105_211:
	s_or_b64 exec, exec, s[4:5]
	s_waitcnt lgkmcnt(0)
	; wave barrier
	s_waitcnt lgkmcnt(0)
	buffer_load_dword v50, off, s[0:3], 0 offset:228
	buffer_load_dword v52, off, s[0:3], 0 offset:236
	;; [unrolled: 1-line block ×30, first 2 shown]
	ds_read_b128 v[4:7], v2 offset:560
	ds_read_b128 v[8:11], v2 offset:576
	;; [unrolled: 1-line block ×7, first 2 shown]
	v_cmp_lt_u32_e32 vcc, 26, v0
	s_waitcnt vmcnt(29) lgkmcnt(6)
	v_mul_f32_e32 v63, v4, v50
	s_waitcnt vmcnt(28)
	v_mul_f32_e32 v148, v6, v52
	s_waitcnt vmcnt(27) lgkmcnt(5)
	v_mul_f32_e32 v149, v8, v53
	v_mul_f32_e32 v53, v9, v53
	s_waitcnt vmcnt(26)
	v_mul_f32_e32 v150, v10, v54
	s_waitcnt vmcnt(25) lgkmcnt(4)
	v_mul_f32_e32 v3, v12, v55
	v_mul_f32_e32 v2, v5, v50
	;; [unrolled: 1-line block ×5, first 2 shown]
	s_waitcnt vmcnt(23)
	v_mov_b32_e32 v52, v33
	s_waitcnt vmcnt(22)
	v_mov_b32_e32 v54, v35
	s_waitcnt vmcnt(18)
	v_fma_f32 v53, v8, v59, -v53
	v_fmac_f32_e32 v63, v5, v57
	v_fmac_f32_e32 v148, v7, v58
	s_waitcnt vmcnt(17)
	v_fmac_f32_e32 v150, v11, v60
	v_fma_f32 v11, v4, v57, -v2
	v_fma_f32 v57, v6, v58, -v50
	s_waitcnt lgkmcnt(3)
	v_pk_mul_f32 v[4:5], v[16:17], v[52:53] op_sel_hi:[1,0]
	v_pk_mul_f32 v[6:7], v[18:19], v[54:55] op_sel_hi:[1,0]
	s_waitcnt vmcnt(16)
	v_fmac_f32_e32 v3, v13, v61
	v_fma_f32 v58, v10, v60, -v151
	v_fma_f32 v2, v12, v61, -v55
	v_add_f32_e32 v52, 0, v63
	v_add_f32_e32 v54, 0, v11
	s_waitcnt vmcnt(14)
	v_pk_fma_f32 v[10:11], v[16:17], v[32:33], v[4:5] op_sel:[0,0,1] op_sel_hi:[1,1,0] neg_lo:[0,0,1] neg_hi:[0,0,1]
	v_pk_fma_f32 v[4:5], v[16:17], v[32:33], v[4:5] op_sel:[0,0,1] op_sel_hi:[1,0,0]
	s_waitcnt vmcnt(10)
	v_pk_fma_f32 v[12:13], v[18:19], v[34:35], v[6:7] op_sel:[0,0,1] op_sel_hi:[1,1,0] neg_lo:[0,0,1] neg_hi:[0,0,1]
	v_pk_fma_f32 v[6:7], v[18:19], v[34:35], v[6:7] op_sel:[0,0,1] op_sel_hi:[1,0,0]
	v_fmac_f32_e32 v149, v9, v59
	v_add_f32_e32 v4, v52, v148
	v_add_f32_e32 v6, v54, v57
	;; [unrolled: 1-line block ×4, first 2 shown]
	v_mul_f32_e32 v51, v14, v56
	v_mul_f32_e32 v152, v15, v56
	v_mov_b32_e32 v11, v5
	v_add_f32_e32 v5, v4, v150
	v_add_f32_e32 v4, v6, v58
	v_mov_b32_e32 v56, v37
	v_fmac_f32_e32 v51, v15, v62
	v_fma_f32 v50, v14, v62, -v152
	v_pk_add_f32 v[2:3], v[4:5], v[2:3]
	s_waitcnt vmcnt(9)
	v_mov_b32_e32 v4, v41
	s_waitcnt lgkmcnt(2)
	v_pk_mul_f32 v[8:9], v[20:21], v[56:57] op_sel_hi:[1,0]
	v_pk_add_f32 v[2:3], v[2:3], v[50:51]
	v_pk_mul_f32 v[4:5], v[22:23], v[4:5] op_sel_hi:[1,0]
	v_pk_fma_f32 v[14:15], v[20:21], v[36:37], v[8:9] op_sel:[0,0,1] op_sel_hi:[1,1,0] neg_lo:[0,0,1] neg_hi:[0,0,1]
	v_pk_fma_f32 v[8:9], v[20:21], v[36:37], v[8:9] op_sel:[0,0,1] op_sel_hi:[1,0,0]
	v_mov_b32_e32 v13, v7
	v_pk_add_f32 v[2:3], v[2:3], v[10:11]
	v_pk_fma_f32 v[6:7], v[22:23], v[40:41], v[4:5] op_sel:[0,0,1] op_sel_hi:[1,1,0] neg_lo:[0,0,1] neg_hi:[0,0,1]
	v_pk_fma_f32 v[4:5], v[22:23], v[40:41], v[4:5] op_sel:[0,0,1] op_sel_hi:[1,0,0]
	v_mov_b32_e32 v15, v9
	v_pk_add_f32 v[2:3], v[2:3], v[12:13]
	s_waitcnt vmcnt(8)
	v_mov_b32_e32 v4, v39
	v_pk_add_f32 v[2:3], v[2:3], v[14:15]
	v_mov_b32_e32 v7, v5
	s_waitcnt lgkmcnt(1)
	v_pk_mul_f32 v[4:5], v[24:25], v[4:5] op_sel_hi:[1,0]
	v_pk_add_f32 v[2:3], v[2:3], v[6:7]
	v_pk_fma_f32 v[6:7], v[24:25], v[38:39], v[4:5] op_sel:[0,0,1] op_sel_hi:[1,1,0] neg_lo:[0,0,1] neg_hi:[0,0,1]
	v_pk_fma_f32 v[4:5], v[24:25], v[38:39], v[4:5] op_sel:[0,0,1] op_sel_hi:[1,0,0]
	s_waitcnt vmcnt(7)
	v_mov_b32_e32 v4, v43
	v_mov_b32_e32 v7, v5
	v_pk_mul_f32 v[4:5], v[26:27], v[4:5] op_sel_hi:[1,0]
	v_pk_add_f32 v[2:3], v[2:3], v[6:7]
	s_waitcnt vmcnt(4)
	v_pk_fma_f32 v[6:7], v[26:27], v[42:43], v[4:5] op_sel:[0,0,1] op_sel_hi:[1,1,0] neg_lo:[0,0,1] neg_hi:[0,0,1]
	v_pk_fma_f32 v[4:5], v[26:27], v[42:43], v[4:5] op_sel:[0,0,1] op_sel_hi:[1,0,0]
	s_waitcnt vmcnt(3)
	v_mov_b32_e32 v4, v47
	v_mov_b32_e32 v7, v5
	s_waitcnt lgkmcnt(0)
	v_pk_mul_f32 v[4:5], v[28:29], v[4:5] op_sel_hi:[1,0]
	v_pk_add_f32 v[2:3], v[2:3], v[6:7]
	v_pk_fma_f32 v[6:7], v[28:29], v[46:47], v[4:5] op_sel:[0,0,1] op_sel_hi:[1,1,0] neg_lo:[0,0,1] neg_hi:[0,0,1]
	v_pk_fma_f32 v[4:5], v[28:29], v[46:47], v[4:5] op_sel:[0,0,1] op_sel_hi:[1,0,0]
	s_waitcnt vmcnt(0)
	v_mov_b32_e32 v4, v45
	v_mov_b32_e32 v7, v5
	v_pk_mul_f32 v[4:5], v[30:31], v[4:5] op_sel_hi:[1,0]
	v_pk_add_f32 v[2:3], v[2:3], v[6:7]
	v_pk_fma_f32 v[6:7], v[30:31], v[44:45], v[4:5] op_sel:[0,0,1] op_sel_hi:[1,1,0] neg_lo:[0,0,1] neg_hi:[0,0,1]
	v_pk_fma_f32 v[4:5], v[30:31], v[44:45], v[4:5] op_sel:[0,0,1] op_sel_hi:[1,0,0]
	v_mov_b32_e32 v7, v5
	v_pk_add_f32 v[2:3], v[2:3], v[6:7]
	v_pk_add_f32 v[2:3], v[48:49], v[2:3] neg_lo:[0,1] neg_hi:[0,1]
	buffer_store_dword v3, off, s[0:3], 0 offset:220
	buffer_store_dword v2, off, s[0:3], 0 offset:216
	s_and_saveexec_b64 s[4:5], vcc
	s_cbranch_execz .LBB105_213
; %bb.212:
	buffer_load_dword v2, off, s[0:3], 0 offset:208
	buffer_load_dword v3, off, s[0:3], 0 offset:212
	v_mov_b32_e32 v4, 0
	buffer_store_dword v4, off, s[0:3], 0 offset:208
	buffer_store_dword v4, off, s[0:3], 0 offset:212
	s_waitcnt vmcnt(2)
	ds_write_b64 v1, v[2:3]
.LBB105_213:
	s_or_b64 exec, exec, s[4:5]
	s_waitcnt lgkmcnt(0)
	; wave barrier
	s_waitcnt lgkmcnt(0)
	buffer_load_dword v3, off, s[0:3], 0 offset:220
	buffer_load_dword v52, off, s[0:3], 0 offset:228
	;; [unrolled: 1-line block ×32, first 2 shown]
	v_mov_b32_e32 v2, 0
	ds_read2_b64 v[4:7], v2 offset0:69 offset1:70
	ds_read2_b64 v[8:11], v2 offset0:71 offset1:72
	;; [unrolled: 1-line block ×7, first 2 shown]
	ds_read_b64 v[50:51], v2 offset:664
	v_cmp_lt_u32_e32 vcc, 25, v0
	s_waitcnt vmcnt(31) lgkmcnt(7)
	v_mul_f32_e32 v151, v4, v3
	v_mul_f32_e32 v3, v5, v3
	s_waitcnt vmcnt(30)
	v_mul_f32_e32 v152, v6, v52
	s_waitcnt vmcnt(28) lgkmcnt(6)
	v_mul_f32_e32 v154, v10, v56
	s_waitcnt vmcnt(27) lgkmcnt(5)
	v_mul_f32_e32 v155, v12, v57
	v_mul_f32_e32 v156, v11, v56
	;; [unrolled: 1-line block ×3, first 2 shown]
	s_waitcnt vmcnt(24)
	v_mov_b32_e32 v56, v33
	v_mul_f32_e32 v153, v8, v54
	v_mul_f32_e32 v52, v7, v52
	s_waitcnt vmcnt(22)
	v_fmac_f32_e32 v151, v5, v60
	v_fma_f32 v3, v4, v60, -v3
	s_waitcnt lgkmcnt(4)
	v_pk_mul_f32 v[4:5], v[18:19], v[56:57] op_sel_hi:[1,0]
	v_mul_f32_e32 v54, v9, v54
	s_waitcnt vmcnt(21)
	v_fmac_f32_e32 v152, v7, v61
	s_waitcnt vmcnt(20)
	v_fmac_f32_e32 v153, v9, v62
	;; [unrolled: 2-line block ×3, first 2 shown]
	v_fma_f32 v9, v6, v61, -v52
	s_waitcnt vmcnt(18)
	v_fma_f32 v11, v12, v148, -v57
	v_add_f32_e32 v12, 0, v151
	v_add_f32_e32 v3, 0, v3
	s_waitcnt vmcnt(12)
	v_pk_fma_f32 v[6:7], v[18:19], v[32:33], v[4:5] op_sel:[0,0,1] op_sel_hi:[1,1,0] neg_lo:[0,0,1] neg_hi:[0,0,1]
	v_pk_fma_f32 v[4:5], v[18:19], v[32:33], v[4:5] op_sel:[0,0,1] op_sel_hi:[1,0,0]
	v_fma_f32 v8, v8, v62, -v54
	v_add_f32_e32 v4, v12, v152
	v_add_f32_e32 v3, v3, v9
	v_fma_f32 v10, v10, v63, -v156
	v_add_f32_e32 v4, v4, v153
	v_add_f32_e32 v3, v3, v8
	v_mul_f32_e32 v53, v14, v58
	v_mul_f32_e32 v157, v15, v58
	v_fmac_f32_e32 v155, v13, v148
	v_add_f32_e32 v4, v4, v154
	v_add_f32_e32 v3, v3, v10
	v_mul_f32_e32 v55, v16, v59
	v_mul_f32_e32 v59, v17, v59
	v_fmac_f32_e32 v53, v15, v149
	v_fma_f32 v52, v14, v149, -v157
	v_mov_b32_e32 v7, v5
	v_add_f32_e32 v5, v4, v155
	v_add_f32_e32 v4, v3, v11
	v_fmac_f32_e32 v55, v17, v150
	v_fma_f32 v54, v16, v150, -v59
	v_pk_add_f32 v[4:5], v[4:5], v[52:53]
	v_mov_b32_e32 v58, v35
	v_pk_add_f32 v[4:5], v[4:5], v[54:55]
	v_pk_add_f32 v[4:5], v[4:5], v[6:7]
	s_waitcnt lgkmcnt(3)
	v_pk_mul_f32 v[6:7], v[20:21], v[58:59] op_sel_hi:[1,0]
	v_pk_fma_f32 v[8:9], v[20:21], v[34:35], v[6:7] op_sel:[0,0,1] op_sel_hi:[1,1,0] neg_lo:[0,0,1] neg_hi:[0,0,1]
	v_pk_fma_f32 v[6:7], v[20:21], v[34:35], v[6:7] op_sel:[0,0,1] op_sel_hi:[1,0,0]
	s_waitcnt vmcnt(11)
	v_mov_b32_e32 v6, v39
	v_mov_b32_e32 v9, v7
	v_pk_mul_f32 v[6:7], v[22:23], v[6:7] op_sel_hi:[1,0]
	v_pk_add_f32 v[4:5], v[4:5], v[8:9]
	v_pk_fma_f32 v[8:9], v[22:23], v[38:39], v[6:7] op_sel:[0,0,1] op_sel_hi:[1,1,0] neg_lo:[0,0,1] neg_hi:[0,0,1]
	v_pk_fma_f32 v[6:7], v[22:23], v[38:39], v[6:7] op_sel:[0,0,1] op_sel_hi:[1,0,0]
	s_waitcnt vmcnt(10)
	v_mov_b32_e32 v6, v37
	v_mov_b32_e32 v9, v7
	s_waitcnt lgkmcnt(2)
	v_pk_mul_f32 v[6:7], v[24:25], v[6:7] op_sel_hi:[1,0]
	v_pk_add_f32 v[4:5], v[4:5], v[8:9]
	v_pk_fma_f32 v[8:9], v[24:25], v[36:37], v[6:7] op_sel:[0,0,1] op_sel_hi:[1,1,0] neg_lo:[0,0,1] neg_hi:[0,0,1]
	v_pk_fma_f32 v[6:7], v[24:25], v[36:37], v[6:7] op_sel:[0,0,1] op_sel_hi:[1,0,0]
	s_waitcnt vmcnt(9)
	v_mov_b32_e32 v6, v41
	v_mov_b32_e32 v9, v7
	v_pk_mul_f32 v[6:7], v[26:27], v[6:7] op_sel_hi:[1,0]
	v_pk_add_f32 v[4:5], v[4:5], v[8:9]
	s_waitcnt vmcnt(4)
	v_pk_fma_f32 v[8:9], v[26:27], v[40:41], v[6:7] op_sel:[0,0,1] op_sel_hi:[1,1,0] neg_lo:[0,0,1] neg_hi:[0,0,1]
	v_pk_fma_f32 v[6:7], v[26:27], v[40:41], v[6:7] op_sel:[0,0,1] op_sel_hi:[1,0,0]
	v_mov_b32_e32 v6, v47
	v_mov_b32_e32 v9, v7
	s_waitcnt lgkmcnt(1)
	v_pk_mul_f32 v[6:7], v[28:29], v[6:7] op_sel_hi:[1,0]
	v_pk_add_f32 v[4:5], v[4:5], v[8:9]
	v_pk_fma_f32 v[8:9], v[28:29], v[46:47], v[6:7] op_sel:[0,0,1] op_sel_hi:[1,1,0] neg_lo:[0,0,1] neg_hi:[0,0,1]
	v_pk_fma_f32 v[6:7], v[28:29], v[46:47], v[6:7] op_sel:[0,0,1] op_sel_hi:[1,0,0]
	s_waitcnt vmcnt(3)
	v_mov_b32_e32 v6, v45
	v_mov_b32_e32 v9, v7
	v_pk_mul_f32 v[6:7], v[30:31], v[6:7] op_sel_hi:[1,0]
	v_pk_add_f32 v[4:5], v[4:5], v[8:9]
	v_pk_fma_f32 v[8:9], v[30:31], v[44:45], v[6:7] op_sel:[0,0,1] op_sel_hi:[1,1,0] neg_lo:[0,0,1] neg_hi:[0,0,1]
	v_pk_fma_f32 v[6:7], v[30:31], v[44:45], v[6:7] op_sel:[0,0,1] op_sel_hi:[1,0,0]
	s_waitcnt vmcnt(0)
	v_mov_b32_e32 v6, v43
	v_mov_b32_e32 v9, v7
	s_waitcnt lgkmcnt(0)
	v_pk_mul_f32 v[6:7], v[50:51], v[6:7] op_sel_hi:[1,0]
	v_pk_add_f32 v[4:5], v[4:5], v[8:9]
	v_pk_fma_f32 v[8:9], v[50:51], v[42:43], v[6:7] op_sel:[0,0,1] op_sel_hi:[1,1,0] neg_lo:[0,0,1] neg_hi:[0,0,1]
	v_pk_fma_f32 v[6:7], v[50:51], v[42:43], v[6:7] op_sel:[0,0,1] op_sel_hi:[1,0,0]
	v_mov_b32_e32 v9, v7
	v_pk_add_f32 v[4:5], v[4:5], v[8:9]
	v_pk_add_f32 v[4:5], v[48:49], v[4:5] neg_lo:[0,1] neg_hi:[0,1]
	buffer_store_dword v5, off, s[0:3], 0 offset:212
	buffer_store_dword v4, off, s[0:3], 0 offset:208
	s_and_saveexec_b64 s[4:5], vcc
	s_cbranch_execz .LBB105_215
; %bb.214:
	buffer_load_dword v4, off, s[0:3], 0 offset:200
	buffer_load_dword v5, off, s[0:3], 0 offset:204
	s_waitcnt vmcnt(0)
	ds_write_b64 v1, v[4:5]
	buffer_store_dword v2, off, s[0:3], 0 offset:200
	buffer_store_dword v2, off, s[0:3], 0 offset:204
.LBB105_215:
	s_or_b64 exec, exec, s[4:5]
	s_waitcnt lgkmcnt(0)
	; wave barrier
	s_waitcnt lgkmcnt(0)
	buffer_load_dword v54, off, s[0:3], 0 offset:212
	buffer_load_dword v56, off, s[0:3], 0 offset:220
	;; [unrolled: 1-line block ×32, first 2 shown]
	ds_read_b128 v[4:7], v2 offset:544
	ds_read_b128 v[8:11], v2 offset:560
	;; [unrolled: 1-line block ×4, first 2 shown]
	buffer_load_dword v53, off, s[0:3], 0 offset:332
	buffer_load_dword v52, off, s[0:3], 0 offset:328
	ds_read_b128 v[20:23], v2 offset:608
	ds_read_b128 v[24:27], v2 offset:624
	;; [unrolled: 1-line block ×4, first 2 shown]
	v_cmp_lt_u32_e32 vcc, 24, v0
	s_waitcnt vmcnt(33) lgkmcnt(7)
	v_mul_f32_e32 v155, v4, v54
	v_mul_f32_e32 v2, v5, v54
	s_waitcnt vmcnt(32)
	v_mul_f32_e32 v156, v6, v56
	s_waitcnt vmcnt(31) lgkmcnt(6)
	v_mul_f32_e32 v157, v8, v57
	v_mul_f32_e32 v54, v7, v56
	;; [unrolled: 1-line block ×3, first 2 shown]
	s_waitcnt vmcnt(30)
	v_mul_f32_e32 v57, v11, v58
	v_mul_f32_e32 v158, v10, v58
	s_waitcnt vmcnt(25)
	v_fmac_f32_e32 v155, v5, v63
	v_fma_f32 v4, v4, v63, -v2
	s_waitcnt vmcnt(24)
	v_fmac_f32_e32 v156, v7, v148
	v_fma_f32 v5, v6, v148, -v54
	s_waitcnt vmcnt(22)
	v_fma_f32 v7, v10, v150, -v57
	v_add_f32_e32 v10, 0, v155
	v_add_f32_e32 v4, 0, v4
	v_fmac_f32_e32 v157, v9, v149
	v_fma_f32 v6, v8, v149, -v56
	v_add_f32_e32 v10, v10, v156
	v_add_f32_e32 v4, v4, v5
	s_waitcnt lgkmcnt(5)
	v_mul_f32_e32 v159, v12, v59
	v_mul_f32_e32 v58, v13, v59
	v_fmac_f32_e32 v158, v11, v150
	v_add_f32_e32 v5, v10, v157
	v_add_f32_e32 v4, v4, v6
	v_mul_f32_e32 v160, v14, v60
	v_mul_f32_e32 v59, v15, v60
	s_waitcnt vmcnt(21)
	v_fmac_f32_e32 v159, v13, v151
	v_fma_f32 v8, v12, v151, -v58
	v_add_f32_e32 v5, v5, v158
	v_add_f32_e32 v4, v4, v7
	s_waitcnt lgkmcnt(4)
	v_mul_f32_e32 v3, v16, v61
	v_mul_f32_e32 v60, v17, v61
	s_waitcnt vmcnt(20)
	v_fmac_f32_e32 v160, v15, v152
	v_fma_f32 v9, v14, v152, -v59
	v_add_f32_e32 v5, v5, v159
	v_add_f32_e32 v4, v4, v8
	s_waitcnt vmcnt(19)
	v_fmac_f32_e32 v3, v17, v153
	v_fma_f32 v2, v16, v153, -v60
	v_add_f32_e32 v5, v5, v160
	v_add_f32_e32 v4, v4, v9
	v_pk_add_f32 v[2:3], v[4:5], v[2:3]
	s_waitcnt vmcnt(17)
	v_mov_b32_e32 v4, v37
	s_waitcnt lgkmcnt(3)
	v_pk_mul_f32 v[4:5], v[20:21], v[4:5] op_sel_hi:[1,0]
	v_mul_f32_e32 v55, v18, v62
	v_mul_f32_e32 v61, v19, v62
	s_waitcnt vmcnt(14)
	v_pk_fma_f32 v[6:7], v[20:21], v[36:37], v[4:5] op_sel:[0,0,1] op_sel_hi:[1,1,0] neg_lo:[0,0,1] neg_hi:[0,0,1]
	v_pk_fma_f32 v[4:5], v[20:21], v[36:37], v[4:5] op_sel:[0,0,1] op_sel_hi:[1,0,0]
	v_fmac_f32_e32 v55, v19, v154
	v_fma_f32 v54, v18, v154, -v61
	s_waitcnt vmcnt(13)
	v_mov_b32_e32 v4, v41
	v_pk_add_f32 v[2:3], v[2:3], v[54:55]
	v_mov_b32_e32 v7, v5
	v_pk_mul_f32 v[4:5], v[22:23], v[4:5] op_sel_hi:[1,0]
	v_pk_add_f32 v[2:3], v[2:3], v[6:7]
	v_pk_fma_f32 v[6:7], v[22:23], v[40:41], v[4:5] op_sel:[0,0,1] op_sel_hi:[1,1,0] neg_lo:[0,0,1] neg_hi:[0,0,1]
	v_pk_fma_f32 v[4:5], v[22:23], v[40:41], v[4:5] op_sel:[0,0,1] op_sel_hi:[1,0,0]
	s_waitcnt vmcnt(12)
	v_mov_b32_e32 v4, v39
	v_mov_b32_e32 v7, v5
	s_waitcnt lgkmcnt(2)
	v_pk_mul_f32 v[4:5], v[24:25], v[4:5] op_sel_hi:[1,0]
	v_pk_add_f32 v[2:3], v[2:3], v[6:7]
	v_pk_fma_f32 v[6:7], v[24:25], v[38:39], v[4:5] op_sel:[0,0,1] op_sel_hi:[1,1,0] neg_lo:[0,0,1] neg_hi:[0,0,1]
	v_pk_fma_f32 v[4:5], v[24:25], v[38:39], v[4:5] op_sel:[0,0,1] op_sel_hi:[1,0,0]
	s_waitcnt vmcnt(11)
	v_mov_b32_e32 v4, v43
	v_mov_b32_e32 v7, v5
	v_pk_mul_f32 v[4:5], v[26:27], v[4:5] op_sel_hi:[1,0]
	v_pk_add_f32 v[2:3], v[2:3], v[6:7]
	s_waitcnt vmcnt(5)
	v_pk_fma_f32 v[6:7], v[26:27], v[42:43], v[4:5] op_sel:[0,0,1] op_sel_hi:[1,1,0] neg_lo:[0,0,1] neg_hi:[0,0,1]
	v_pk_fma_f32 v[4:5], v[26:27], v[42:43], v[4:5] op_sel:[0,0,1] op_sel_hi:[1,0,0]
	v_mov_b32_e32 v4, v49
	v_mov_b32_e32 v7, v5
	s_waitcnt lgkmcnt(1)
	v_pk_mul_f32 v[4:5], v[28:29], v[4:5] op_sel_hi:[1,0]
	v_pk_add_f32 v[2:3], v[2:3], v[6:7]
	v_pk_fma_f32 v[6:7], v[28:29], v[48:49], v[4:5] op_sel:[0,0,1] op_sel_hi:[1,1,0] neg_lo:[0,0,1] neg_hi:[0,0,1]
	v_pk_fma_f32 v[4:5], v[28:29], v[48:49], v[4:5] op_sel:[0,0,1] op_sel_hi:[1,0,0]
	v_mov_b32_e32 v4, v47
	v_mov_b32_e32 v7, v5
	v_pk_mul_f32 v[4:5], v[30:31], v[4:5] op_sel_hi:[1,0]
	v_pk_add_f32 v[2:3], v[2:3], v[6:7]
	v_pk_fma_f32 v[6:7], v[30:31], v[46:47], v[4:5] op_sel:[0,0,1] op_sel_hi:[1,1,0] neg_lo:[0,0,1] neg_hi:[0,0,1]
	v_pk_fma_f32 v[4:5], v[30:31], v[46:47], v[4:5] op_sel:[0,0,1] op_sel_hi:[1,0,0]
	s_waitcnt vmcnt(2)
	v_mov_b32_e32 v4, v45
	v_mov_b32_e32 v7, v5
	s_waitcnt lgkmcnt(0)
	v_pk_mul_f32 v[4:5], v[32:33], v[4:5] op_sel_hi:[1,0]
	v_pk_add_f32 v[2:3], v[2:3], v[6:7]
	v_pk_fma_f32 v[6:7], v[32:33], v[44:45], v[4:5] op_sel:[0,0,1] op_sel_hi:[1,1,0] neg_lo:[0,0,1] neg_hi:[0,0,1]
	v_pk_fma_f32 v[4:5], v[32:33], v[44:45], v[4:5] op_sel:[0,0,1] op_sel_hi:[1,0,0]
	s_waitcnt vmcnt(1)
	v_mov_b32_e32 v4, v53
	v_mov_b32_e32 v7, v5
	v_pk_mul_f32 v[4:5], v[34:35], v[4:5] op_sel_hi:[1,0]
	v_pk_add_f32 v[2:3], v[2:3], v[6:7]
	s_waitcnt vmcnt(0)
	v_pk_fma_f32 v[6:7], v[34:35], v[52:53], v[4:5] op_sel:[0,0,1] op_sel_hi:[1,1,0] neg_lo:[0,0,1] neg_hi:[0,0,1]
	v_pk_fma_f32 v[4:5], v[34:35], v[52:53], v[4:5] op_sel:[0,0,1] op_sel_hi:[1,0,0]
	v_mov_b32_e32 v7, v5
	v_pk_add_f32 v[2:3], v[2:3], v[6:7]
	v_pk_add_f32 v[2:3], v[50:51], v[2:3] neg_lo:[0,1] neg_hi:[0,1]
	buffer_store_dword v3, off, s[0:3], 0 offset:204
	buffer_store_dword v2, off, s[0:3], 0 offset:200
	s_and_saveexec_b64 s[4:5], vcc
	s_cbranch_execz .LBB105_217
; %bb.216:
	buffer_load_dword v2, off, s[0:3], 0 offset:192
	buffer_load_dword v3, off, s[0:3], 0 offset:196
	v_mov_b32_e32 v4, 0
	buffer_store_dword v4, off, s[0:3], 0 offset:192
	buffer_store_dword v4, off, s[0:3], 0 offset:196
	s_waitcnt vmcnt(2)
	ds_write_b64 v1, v[2:3]
.LBB105_217:
	s_or_b64 exec, exec, s[4:5]
	s_waitcnt lgkmcnt(0)
	; wave barrier
	s_waitcnt lgkmcnt(0)
	buffer_load_dword v3, off, s[0:3], 0 offset:204
	buffer_load_dword v46, off, s[0:3], 0 offset:212
	;; [unrolled: 1-line block ×36, first 2 shown]
	v_mov_b32_e32 v2, 0
	ds_read2_b64 v[4:7], v2 offset0:67 offset1:68
	ds_read2_b64 v[8:11], v2 offset0:69 offset1:70
	;; [unrolled: 1-line block ×6, first 2 shown]
	v_cmp_lt_u32_e32 vcc, 23, v0
	s_waitcnt vmcnt(35) lgkmcnt(5)
	v_mul_f32_e32 v149, v4, v3
	s_waitcnt vmcnt(34)
	v_mul_f32_e32 v150, v6, v46
	s_waitcnt vmcnt(33) lgkmcnt(4)
	v_mul_f32_e32 v151, v8, v48
	v_mul_f32_e32 v3, v5, v3
	;; [unrolled: 1-line block ×4, first 2 shown]
	s_waitcnt vmcnt(32)
	v_mul_f32_e32 v152, v10, v50
	s_waitcnt vmcnt(31) lgkmcnt(3)
	v_mul_f32_e32 v153, v12, v51
	v_mul_f32_e32 v50, v11, v50
	s_waitcnt vmcnt(26)
	v_fmac_f32_e32 v149, v5, v56
	s_waitcnt vmcnt(25)
	v_fmac_f32_e32 v150, v7, v57
	;; [unrolled: 2-line block ×3, first 2 shown]
	v_fma_f32 v3, v4, v56, -v3
	v_add_f32_e32 v9, 0, v149
	v_fma_f32 v4, v6, v57, -v46
	v_add_f32_e32 v3, 0, v3
	v_add_f32_e32 v9, v9, v150
	s_waitcnt vmcnt(23)
	v_fmac_f32_e32 v152, v11, v59
	v_fma_f32 v5, v8, v58, -v48
	v_add_f32_e32 v3, v3, v4
	v_add_f32_e32 v4, v9, v151
	v_mul_f32_e32 v154, v14, v52
	v_mul_f32_e32 v51, v13, v51
	s_waitcnt vmcnt(22)
	v_fmac_f32_e32 v153, v13, v60
	v_fma_f32 v6, v10, v59, -v50
	v_add_f32_e32 v3, v3, v5
	v_add_f32_e32 v4, v4, v152
	s_waitcnt lgkmcnt(2)
	v_mul_f32_e32 v155, v16, v53
	v_mul_f32_e32 v52, v15, v52
	s_waitcnt vmcnt(21)
	v_fmac_f32_e32 v154, v15, v61
	v_fma_f32 v7, v12, v60, -v51
	v_add_f32_e32 v3, v3, v6
	v_add_f32_e32 v4, v4, v153
	v_mul_f32_e32 v53, v17, v53
	s_waitcnt vmcnt(20)
	v_fmac_f32_e32 v155, v17, v62
	v_fma_f32 v8, v14, v61, -v52
	v_add_f32_e32 v3, v3, v7
	v_add_f32_e32 v4, v4, v154
	;; [unrolled: 1-line block ×4, first 2 shown]
	v_fma_f32 v4, v16, v62, -v53
	s_waitcnt vmcnt(17)
	v_mov_b32_e32 v16, v29
	v_mul_f32_e32 v47, v18, v54
	v_add_f32_e32 v12, v3, v4
	v_mul_f32_e32 v3, v19, v54
	s_waitcnt lgkmcnt(1)
	v_pk_mul_f32 v[16:17], v[22:23], v[16:17] op_sel_hi:[1,0]
	v_mul_f32_e32 v49, v20, v55
	v_fmac_f32_e32 v47, v19, v63
	v_fma_f32 v46, v18, v63, -v3
	v_mul_f32_e32 v3, v21, v55
	s_waitcnt vmcnt(15)
	v_pk_fma_f32 v[18:19], v[22:23], v[28:29], v[16:17] op_sel:[0,0,1] op_sel_hi:[1,1,0] neg_lo:[0,0,1] neg_hi:[0,0,1]
	v_pk_fma_f32 v[16:17], v[22:23], v[28:29], v[16:17] op_sel:[0,0,1] op_sel_hi:[1,0,0]
	v_fmac_f32_e32 v49, v21, v148
	v_fma_f32 v48, v20, v148, -v3
	v_pk_add_f32 v[12:13], v[12:13], v[46:47]
	s_waitcnt vmcnt(12)
	v_mov_b32_e32 v16, v31
	v_pk_add_f32 v[12:13], v[12:13], v[48:49]
	v_mov_b32_e32 v19, v17
	s_waitcnt lgkmcnt(0)
	v_pk_mul_f32 v[16:17], v[24:25], v[16:17] op_sel_hi:[1,0]
	v_pk_add_f32 v[12:13], v[12:13], v[18:19]
	v_pk_fma_f32 v[18:19], v[24:25], v[30:31], v[16:17] op_sel:[0,0,1] op_sel_hi:[1,1,0] neg_lo:[0,0,1] neg_hi:[0,0,1]
	v_pk_fma_f32 v[16:17], v[24:25], v[30:31], v[16:17] op_sel:[0,0,1] op_sel_hi:[1,0,0]
	s_waitcnt vmcnt(11)
	v_mov_b32_e32 v16, v35
	ds_read2_b64 v[4:7], v2 offset0:79 offset1:80
	ds_read2_b64 v[8:11], v2 offset0:81 offset1:82
	ds_read_b64 v[14:15], v2 offset:664
	v_mov_b32_e32 v19, v17
	v_pk_mul_f32 v[16:17], v[26:27], v[16:17] op_sel_hi:[1,0]
	v_pk_add_f32 v[12:13], v[12:13], v[18:19]
	s_waitcnt vmcnt(4)
	v_pk_fma_f32 v[18:19], v[26:27], v[34:35], v[16:17] op_sel:[0,0,1] op_sel_hi:[1,1,0] neg_lo:[0,0,1] neg_hi:[0,0,1]
	v_pk_fma_f32 v[16:17], v[26:27], v[34:35], v[16:17] op_sel:[0,0,1] op_sel_hi:[1,0,0]
	v_mov_b32_e32 v16, v41
	v_mov_b32_e32 v19, v17
	s_waitcnt lgkmcnt(2)
	v_pk_mul_f32 v[16:17], v[4:5], v[16:17] op_sel_hi:[1,0]
	v_pk_add_f32 v[12:13], v[12:13], v[18:19]
	v_pk_fma_f32 v[18:19], v[4:5], v[40:41], v[16:17] op_sel:[0,0,1] op_sel_hi:[1,1,0] neg_lo:[0,0,1] neg_hi:[0,0,1]
	v_pk_fma_f32 v[4:5], v[4:5], v[40:41], v[16:17] op_sel:[0,0,1] op_sel_hi:[1,0,0]
	v_mov_b32_e32 v19, v5
	v_pk_add_f32 v[4:5], v[12:13], v[18:19]
	v_mov_b32_e32 v12, v39
	v_pk_mul_f32 v[12:13], v[6:7], v[12:13] op_sel_hi:[1,0]
	v_pk_fma_f32 v[16:17], v[6:7], v[38:39], v[12:13] op_sel:[0,0,1] op_sel_hi:[1,1,0] neg_lo:[0,0,1] neg_hi:[0,0,1]
	v_pk_fma_f32 v[6:7], v[6:7], v[38:39], v[12:13] op_sel:[0,0,1] op_sel_hi:[1,0,0]
	v_mov_b32_e32 v6, v37
	v_mov_b32_e32 v17, v7
	s_waitcnt lgkmcnt(1)
	v_pk_mul_f32 v[6:7], v[8:9], v[6:7] op_sel_hi:[1,0]
	v_pk_fma_f32 v[12:13], v[8:9], v[36:37], v[6:7] op_sel:[0,0,1] op_sel_hi:[1,1,0] neg_lo:[0,0,1] neg_hi:[0,0,1]
	v_pk_fma_f32 v[6:7], v[8:9], v[36:37], v[6:7] op_sel:[0,0,1] op_sel_hi:[1,0,0]
	s_waitcnt vmcnt(1)
	v_mov_b32_e32 v6, v45
	v_mov_b32_e32 v13, v7
	v_pk_mul_f32 v[6:7], v[10:11], v[6:7] op_sel_hi:[1,0]
	s_waitcnt vmcnt(0)
	v_pk_fma_f32 v[8:9], v[10:11], v[44:45], v[6:7] op_sel:[0,0,1] op_sel_hi:[1,1,0] neg_lo:[0,0,1] neg_hi:[0,0,1]
	v_pk_fma_f32 v[6:7], v[10:11], v[44:45], v[6:7] op_sel:[0,0,1] op_sel_hi:[1,0,0]
	v_pk_add_f32 v[4:5], v[4:5], v[16:17]
	v_mov_b32_e32 v6, v43
	v_pk_add_f32 v[4:5], v[4:5], v[12:13]
	v_mov_b32_e32 v9, v7
	s_waitcnt lgkmcnt(0)
	v_pk_mul_f32 v[6:7], v[14:15], v[6:7] op_sel_hi:[1,0]
	v_pk_add_f32 v[4:5], v[4:5], v[8:9]
	v_pk_fma_f32 v[8:9], v[14:15], v[42:43], v[6:7] op_sel:[0,0,1] op_sel_hi:[1,1,0] neg_lo:[0,0,1] neg_hi:[0,0,1]
	v_pk_fma_f32 v[6:7], v[14:15], v[42:43], v[6:7] op_sel:[0,0,1] op_sel_hi:[1,0,0]
	v_mov_b32_e32 v9, v7
	v_pk_add_f32 v[4:5], v[4:5], v[8:9]
	v_pk_add_f32 v[4:5], v[32:33], v[4:5] neg_lo:[0,1] neg_hi:[0,1]
	buffer_store_dword v5, off, s[0:3], 0 offset:196
	buffer_store_dword v4, off, s[0:3], 0 offset:192
	s_and_saveexec_b64 s[4:5], vcc
	s_cbranch_execz .LBB105_219
; %bb.218:
	buffer_load_dword v4, off, s[0:3], 0 offset:184
	buffer_load_dword v5, off, s[0:3], 0 offset:188
	s_waitcnt vmcnt(0)
	ds_write_b64 v1, v[4:5]
	buffer_store_dword v2, off, s[0:3], 0 offset:184
	buffer_store_dword v2, off, s[0:3], 0 offset:188
.LBB105_219:
	s_or_b64 exec, exec, s[4:5]
	s_waitcnt lgkmcnt(0)
	; wave barrier
	s_waitcnt lgkmcnt(0)
	buffer_load_dword v3, off, s[0:3], 0 offset:196
	buffer_load_dword v46, off, s[0:3], 0 offset:204
	;; [unrolled: 1-line block ×22, first 2 shown]
	ds_read_b128 v[4:7], v2 offset:528
	ds_read_b128 v[8:11], v2 offset:544
	buffer_load_dword v31, off, s[0:3], 0 offset:276
	buffer_load_dword v30, off, s[0:3], 0 offset:272
	;; [unrolled: 1-line block ×10, first 2 shown]
	ds_read_b128 v[12:15], v2 offset:560
	ds_read_b128 v[16:19], v2 offset:576
	;; [unrolled: 1-line block ×4, first 2 shown]
	buffer_load_dword v41, off, s[0:3], 0 offset:332
	buffer_load_dword v40, off, s[0:3], 0 offset:328
	buffer_load_dword v43, off, s[0:3], 0 offset:324
	buffer_load_dword v42, off, s[0:3], 0 offset:320
	buffer_load_dword v45, off, s[0:3], 0 offset:316
	buffer_load_dword v44, off, s[0:3], 0 offset:312
	v_cmp_lt_u32_e32 vcc, 22, v0
	s_waitcnt vmcnt(37) lgkmcnt(5)
	v_mul_f32_e32 v151, v4, v3
	s_waitcnt vmcnt(36)
	v_mul_f32_e32 v152, v6, v46
	s_waitcnt vmcnt(35) lgkmcnt(4)
	v_mul_f32_e32 v153, v8, v48
	v_mul_f32_e32 v3, v5, v3
	;; [unrolled: 1-line block ×4, first 2 shown]
	s_waitcnt vmcnt(34)
	v_mul_f32_e32 v154, v10, v50
	s_waitcnt vmcnt(33) lgkmcnt(3)
	v_mul_f32_e32 v155, v12, v51
	s_waitcnt vmcnt(32)
	v_mul_f32_e32 v156, v14, v52
	s_waitcnt vmcnt(31) lgkmcnt(2)
	v_mul_f32_e32 v157, v16, v53
	s_waitcnt vmcnt(27)
	v_fmac_f32_e32 v151, v5, v57
	s_waitcnt vmcnt(26)
	v_fmac_f32_e32 v152, v7, v58
	v_fma_f32 v3, v4, v57, -v3
	s_waitcnt vmcnt(25)
	v_fma_f32 v5, v8, v59, -v48
	v_add_f32_e32 v8, 0, v151
	v_fmac_f32_e32 v153, v9, v59
	v_fma_f32 v4, v6, v58, -v46
	v_add_f32_e32 v3, 0, v3
	v_add_f32_e32 v8, v8, v152
	s_waitcnt vmcnt(24)
	v_fmac_f32_e32 v154, v11, v60
	v_add_f32_e32 v3, v3, v4
	v_add_f32_e32 v4, v8, v153
	s_waitcnt vmcnt(23)
	v_fmac_f32_e32 v155, v13, v61
	v_add_f32_e32 v4, v4, v154
	v_mul_f32_e32 v50, v11, v50
	s_waitcnt vmcnt(22)
	v_fmac_f32_e32 v156, v15, v62
	v_add_f32_e32 v4, v4, v155
	v_mul_f32_e32 v158, v18, v54
	v_mul_f32_e32 v51, v13, v51
	s_waitcnt vmcnt(21)
	v_fmac_f32_e32 v157, v17, v63
	v_fma_f32 v6, v10, v60, -v50
	v_add_f32_e32 v3, v3, v5
	v_add_f32_e32 v4, v4, v156
	v_mul_f32_e32 v52, v15, v52
	s_waitcnt vmcnt(20)
	v_fmac_f32_e32 v158, v19, v148
	v_fma_f32 v7, v12, v61, -v51
	v_add_f32_e32 v3, v3, v6
	v_add_f32_e32 v4, v4, v157
	;; [unrolled: 1-line block ×4, first 2 shown]
	v_fma_f32 v4, v14, v62, -v52
	v_add_f32_e32 v3, v3, v4
	v_mul_f32_e32 v4, v17, v53
	v_fma_f32 v4, v16, v63, -v4
	v_add_f32_e32 v3, v3, v4
	v_mul_f32_e32 v4, v19, v54
	v_fma_f32 v4, v18, v148, -v4
	s_waitcnt vmcnt(15)
	v_mov_b32_e32 v16, v31
	s_waitcnt lgkmcnt(1)
	v_mul_f32_e32 v47, v20, v55
	v_add_f32_e32 v50, v3, v4
	v_mul_f32_e32 v3, v21, v55
	s_waitcnt lgkmcnt(0)
	v_pk_mul_f32 v[16:17], v[24:25], v[16:17] op_sel_hi:[1,0]
	v_mul_f32_e32 v49, v22, v56
	v_fmac_f32_e32 v47, v21, v149
	v_fma_f32 v46, v20, v149, -v3
	v_mul_f32_e32 v3, v23, v56
	s_waitcnt vmcnt(14)
	v_pk_fma_f32 v[18:19], v[24:25], v[30:31], v[16:17] op_sel:[0,0,1] op_sel_hi:[1,1,0] neg_lo:[0,0,1] neg_hi:[0,0,1]
	v_pk_fma_f32 v[16:17], v[24:25], v[30:31], v[16:17] op_sel:[0,0,1] op_sel_hi:[1,0,0]
	v_fmac_f32_e32 v49, v23, v150
	v_fma_f32 v48, v22, v150, -v3
	ds_read_b128 v[4:7], v2 offset:624
	ds_read_b128 v[8:11], v2 offset:640
	;; [unrolled: 1-line block ×3, first 2 shown]
	v_pk_add_f32 v[2:3], v[50:51], v[46:47]
	s_waitcnt vmcnt(13)
	v_mov_b32_e32 v16, v33
	v_pk_add_f32 v[2:3], v[2:3], v[48:49]
	v_mov_b32_e32 v19, v17
	v_pk_mul_f32 v[16:17], v[26:27], v[16:17] op_sel_hi:[1,0]
	v_pk_add_f32 v[2:3], v[2:3], v[18:19]
	s_waitcnt vmcnt(6)
	v_pk_fma_f32 v[18:19], v[26:27], v[32:33], v[16:17] op_sel:[0,0,1] op_sel_hi:[1,1,0] neg_lo:[0,0,1] neg_hi:[0,0,1]
	v_pk_fma_f32 v[16:17], v[26:27], v[32:33], v[16:17] op_sel:[0,0,1] op_sel_hi:[1,0,0]
	v_mov_b32_e32 v16, v39
	v_mov_b32_e32 v19, v17
	s_waitcnt lgkmcnt(2)
	v_pk_mul_f32 v[16:17], v[4:5], v[16:17] op_sel_hi:[1,0]
	v_pk_add_f32 v[2:3], v[2:3], v[18:19]
	v_pk_fma_f32 v[18:19], v[4:5], v[38:39], v[16:17] op_sel:[0,0,1] op_sel_hi:[1,1,0] neg_lo:[0,0,1] neg_hi:[0,0,1]
	v_pk_fma_f32 v[4:5], v[4:5], v[38:39], v[16:17] op_sel:[0,0,1] op_sel_hi:[1,0,0]
	v_mov_b32_e32 v4, v37
	v_mov_b32_e32 v19, v5
	v_pk_mul_f32 v[4:5], v[6:7], v[4:5] op_sel_hi:[1,0]
	v_pk_fma_f32 v[16:17], v[6:7], v[36:37], v[4:5] op_sel:[0,0,1] op_sel_hi:[1,1,0] neg_lo:[0,0,1] neg_hi:[0,0,1]
	v_pk_fma_f32 v[4:5], v[6:7], v[36:37], v[4:5] op_sel:[0,0,1] op_sel_hi:[1,0,0]
	v_mov_b32_e32 v4, v35
	v_mov_b32_e32 v17, v5
	s_waitcnt lgkmcnt(1)
	v_pk_mul_f32 v[4:5], v[8:9], v[4:5] op_sel_hi:[1,0]
	v_pk_fma_f32 v[6:7], v[8:9], v[34:35], v[4:5] op_sel:[0,0,1] op_sel_hi:[1,1,0] neg_lo:[0,0,1] neg_hi:[0,0,1]
	v_pk_fma_f32 v[4:5], v[8:9], v[34:35], v[4:5] op_sel:[0,0,1] op_sel_hi:[1,0,0]
	v_pk_add_f32 v[2:3], v[2:3], v[18:19]
	s_waitcnt vmcnt(1)
	v_mov_b32_e32 v4, v45
	v_pk_add_f32 v[2:3], v[2:3], v[16:17]
	v_mov_b32_e32 v7, v5
	v_pk_mul_f32 v[4:5], v[10:11], v[4:5] op_sel_hi:[1,0]
	v_pk_add_f32 v[2:3], v[2:3], v[6:7]
	s_waitcnt vmcnt(0)
	v_pk_fma_f32 v[6:7], v[10:11], v[44:45], v[4:5] op_sel:[0,0,1] op_sel_hi:[1,1,0] neg_lo:[0,0,1] neg_hi:[0,0,1]
	v_pk_fma_f32 v[4:5], v[10:11], v[44:45], v[4:5] op_sel:[0,0,1] op_sel_hi:[1,0,0]
	v_mov_b32_e32 v4, v43
	v_mov_b32_e32 v7, v5
	s_waitcnt lgkmcnt(0)
	v_pk_mul_f32 v[4:5], v[12:13], v[4:5] op_sel_hi:[1,0]
	v_pk_add_f32 v[2:3], v[2:3], v[6:7]
	v_pk_fma_f32 v[6:7], v[12:13], v[42:43], v[4:5] op_sel:[0,0,1] op_sel_hi:[1,1,0] neg_lo:[0,0,1] neg_hi:[0,0,1]
	v_pk_fma_f32 v[4:5], v[12:13], v[42:43], v[4:5] op_sel:[0,0,1] op_sel_hi:[1,0,0]
	v_mov_b32_e32 v4, v41
	v_mov_b32_e32 v7, v5
	v_pk_mul_f32 v[4:5], v[14:15], v[4:5] op_sel_hi:[1,0]
	v_pk_add_f32 v[2:3], v[2:3], v[6:7]
	v_pk_fma_f32 v[6:7], v[14:15], v[40:41], v[4:5] op_sel:[0,0,1] op_sel_hi:[1,1,0] neg_lo:[0,0,1] neg_hi:[0,0,1]
	v_pk_fma_f32 v[4:5], v[14:15], v[40:41], v[4:5] op_sel:[0,0,1] op_sel_hi:[1,0,0]
	v_mov_b32_e32 v7, v5
	v_pk_add_f32 v[2:3], v[2:3], v[6:7]
	v_pk_add_f32 v[2:3], v[28:29], v[2:3] neg_lo:[0,1] neg_hi:[0,1]
	buffer_store_dword v3, off, s[0:3], 0 offset:188
	buffer_store_dword v2, off, s[0:3], 0 offset:184
	s_and_saveexec_b64 s[4:5], vcc
	s_cbranch_execz .LBB105_221
; %bb.220:
	buffer_load_dword v2, off, s[0:3], 0 offset:176
	buffer_load_dword v3, off, s[0:3], 0 offset:180
	v_mov_b32_e32 v4, 0
	buffer_store_dword v4, off, s[0:3], 0 offset:176
	buffer_store_dword v4, off, s[0:3], 0 offset:180
	s_waitcnt vmcnt(2)
	ds_write_b64 v1, v[2:3]
.LBB105_221:
	s_or_b64 exec, exec, s[4:5]
	s_waitcnt lgkmcnt(0)
	; wave barrier
	s_waitcnt lgkmcnt(0)
	buffer_load_dword v3, off, s[0:3], 0 offset:188
	buffer_load_dword v46, off, s[0:3], 0 offset:196
	;; [unrolled: 1-line block ×40, first 2 shown]
	v_mov_b32_e32 v2, 0
	ds_read2_b64 v[4:7], v2 offset0:65 offset1:66
	ds_read2_b64 v[8:11], v2 offset0:67 offset1:68
	;; [unrolled: 1-line block ×6, first 2 shown]
	v_cmp_lt_u32_e32 vcc, 21, v0
	s_waitcnt vmcnt(39) lgkmcnt(5)
	v_mul_f32_e32 v153, v4, v3
	s_waitcnt vmcnt(38)
	v_mul_f32_e32 v154, v6, v46
	v_mul_f32_e32 v3, v5, v3
	s_waitcnt vmcnt(37) lgkmcnt(4)
	v_mul_f32_e32 v155, v8, v48
	v_mul_f32_e32 v46, v7, v46
	s_waitcnt vmcnt(36)
	v_mul_f32_e32 v156, v10, v50
	s_waitcnt vmcnt(35) lgkmcnt(3)
	v_mul_f32_e32 v157, v12, v52
	s_waitcnt vmcnt(34)
	v_mul_f32_e32 v158, v14, v53
	s_waitcnt vmcnt(33) lgkmcnt(2)
	;; [unrolled: 4-line block ×3, first 2 shown]
	v_mul_f32_e32 v161, v20, v56
	s_waitcnt vmcnt(28)
	v_fmac_f32_e32 v153, v5, v51
	s_waitcnt vmcnt(27)
	v_fmac_f32_e32 v154, v7, v59
	v_fma_f32 v3, v4, v51, -v3
	v_add_f32_e32 v7, 0, v153
	s_waitcnt vmcnt(26)
	v_fmac_f32_e32 v155, v9, v60
	v_fma_f32 v4, v6, v59, -v46
	v_add_f32_e32 v3, 0, v3
	v_add_f32_e32 v7, v7, v154
	s_waitcnt vmcnt(25)
	v_fmac_f32_e32 v156, v11, v61
	v_add_f32_e32 v3, v3, v4
	v_add_f32_e32 v4, v7, v155
	s_waitcnt vmcnt(24)
	v_fmac_f32_e32 v157, v13, v62
	v_add_f32_e32 v4, v4, v156
	s_waitcnt vmcnt(23)
	v_fmac_f32_e32 v158, v15, v63
	;; [unrolled: 3-line block ×3, first 2 shown]
	v_add_f32_e32 v4, v4, v158
	v_mul_f32_e32 v48, v9, v48
	s_waitcnt vmcnt(21)
	v_fmac_f32_e32 v160, v19, v149
	v_add_f32_e32 v4, v4, v159
	v_mul_f32_e32 v50, v11, v50
	s_waitcnt vmcnt(20)
	v_fmac_f32_e32 v161, v21, v150
	v_fma_f32 v5, v8, v60, -v48
	v_add_f32_e32 v4, v4, v160
	v_fma_f32 v6, v10, v61, -v50
	v_add_f32_e32 v3, v3, v5
	v_add_f32_e32 v51, v4, v161
	v_mul_f32_e32 v4, v13, v52
	v_add_f32_e32 v3, v3, v6
	v_fma_f32 v4, v12, v62, -v4
	v_add_f32_e32 v3, v3, v4
	v_mul_f32_e32 v4, v15, v53
	v_fma_f32 v4, v14, v63, -v4
	v_add_f32_e32 v3, v3, v4
	v_mul_f32_e32 v4, v17, v54
	;; [unrolled: 3-line block ×4, first 2 shown]
	v_fma_f32 v4, v20, v150, -v4
	s_waitcnt vmcnt(9)
	v_mov_b32_e32 v20, v37
	v_mul_f32_e32 v47, v22, v57
	v_add_f32_e32 v50, v3, v4
	v_mul_f32_e32 v3, v23, v57
	s_waitcnt lgkmcnt(0)
	v_pk_mul_f32 v[20:21], v[26:27], v[20:21] op_sel_hi:[1,0]
	v_mul_f32_e32 v49, v24, v58
	v_fmac_f32_e32 v47, v23, v151
	v_fma_f32 v46, v22, v151, -v3
	v_mul_f32_e32 v3, v25, v58
	ds_read2_b64 v[4:7], v2 offset0:77 offset1:78
	ds_read2_b64 v[8:11], v2 offset0:79 offset1:80
	;; [unrolled: 1-line block ×3, first 2 shown]
	ds_read_b64 v[16:17], v2 offset:664
	s_waitcnt vmcnt(8)
	v_pk_fma_f32 v[22:23], v[26:27], v[36:37], v[20:21] op_sel:[0,0,1] op_sel_hi:[1,1,0] neg_lo:[0,0,1] neg_hi:[0,0,1]
	v_pk_fma_f32 v[20:21], v[26:27], v[36:37], v[20:21] op_sel:[0,0,1] op_sel_hi:[1,0,0]
	v_fmac_f32_e32 v49, v25, v152
	v_fma_f32 v48, v24, v152, -v3
	v_pk_add_f32 v[18:19], v[50:51], v[46:47]
	v_mov_b32_e32 v20, v35
	v_pk_add_f32 v[18:19], v[18:19], v[48:49]
	v_mov_b32_e32 v23, v21
	s_waitcnt lgkmcnt(3)
	v_pk_mul_f32 v[20:21], v[4:5], v[20:21] op_sel_hi:[1,0]
	v_pk_add_f32 v[18:19], v[18:19], v[22:23]
	v_pk_fma_f32 v[22:23], v[4:5], v[34:35], v[20:21] op_sel:[0,0,1] op_sel_hi:[1,1,0] neg_lo:[0,0,1] neg_hi:[0,0,1]
	v_pk_fma_f32 v[4:5], v[4:5], v[34:35], v[20:21] op_sel:[0,0,1] op_sel_hi:[1,0,0]
	v_mov_b32_e32 v23, v5
	v_pk_add_f32 v[4:5], v[18:19], v[22:23]
	v_mov_b32_e32 v18, v33
	v_pk_mul_f32 v[18:19], v[6:7], v[18:19] op_sel_hi:[1,0]
	v_pk_fma_f32 v[20:21], v[6:7], v[32:33], v[18:19] op_sel:[0,0,1] op_sel_hi:[1,1,0] neg_lo:[0,0,1] neg_hi:[0,0,1]
	v_pk_fma_f32 v[6:7], v[6:7], v[32:33], v[18:19] op_sel:[0,0,1] op_sel_hi:[1,0,0]
	v_mov_b32_e32 v6, v31
	v_mov_b32_e32 v21, v7
	s_waitcnt lgkmcnt(2)
	v_pk_mul_f32 v[6:7], v[8:9], v[6:7] op_sel_hi:[1,0]
	v_pk_fma_f32 v[18:19], v[8:9], v[30:31], v[6:7] op_sel:[0,0,1] op_sel_hi:[1,1,0] neg_lo:[0,0,1] neg_hi:[0,0,1]
	v_pk_fma_f32 v[6:7], v[8:9], v[30:31], v[6:7] op_sel:[0,0,1] op_sel_hi:[1,0,0]
	s_waitcnt vmcnt(1)
	v_mov_b32_e32 v6, v45
	v_mov_b32_e32 v19, v7
	v_pk_mul_f32 v[6:7], v[10:11], v[6:7] op_sel_hi:[1,0]
	s_waitcnt vmcnt(0)
	v_pk_fma_f32 v[8:9], v[10:11], v[44:45], v[6:7] op_sel:[0,0,1] op_sel_hi:[1,1,0] neg_lo:[0,0,1] neg_hi:[0,0,1]
	v_pk_fma_f32 v[6:7], v[10:11], v[44:45], v[6:7] op_sel:[0,0,1] op_sel_hi:[1,0,0]
	v_pk_add_f32 v[4:5], v[4:5], v[20:21]
	v_mov_b32_e32 v6, v43
	v_pk_add_f32 v[4:5], v[4:5], v[18:19]
	v_mov_b32_e32 v9, v7
	s_waitcnt lgkmcnt(1)
	v_pk_mul_f32 v[6:7], v[12:13], v[6:7] op_sel_hi:[1,0]
	v_pk_add_f32 v[4:5], v[4:5], v[8:9]
	v_pk_fma_f32 v[8:9], v[12:13], v[42:43], v[6:7] op_sel:[0,0,1] op_sel_hi:[1,1,0] neg_lo:[0,0,1] neg_hi:[0,0,1]
	v_pk_fma_f32 v[6:7], v[12:13], v[42:43], v[6:7] op_sel:[0,0,1] op_sel_hi:[1,0,0]
	v_mov_b32_e32 v6, v41
	v_mov_b32_e32 v9, v7
	v_pk_mul_f32 v[6:7], v[14:15], v[6:7] op_sel_hi:[1,0]
	v_pk_add_f32 v[4:5], v[4:5], v[8:9]
	v_pk_fma_f32 v[8:9], v[14:15], v[40:41], v[6:7] op_sel:[0,0,1] op_sel_hi:[1,1,0] neg_lo:[0,0,1] neg_hi:[0,0,1]
	v_pk_fma_f32 v[6:7], v[14:15], v[40:41], v[6:7] op_sel:[0,0,1] op_sel_hi:[1,0,0]
	v_mov_b32_e32 v6, v39
	v_mov_b32_e32 v9, v7
	s_waitcnt lgkmcnt(0)
	v_pk_mul_f32 v[6:7], v[16:17], v[6:7] op_sel_hi:[1,0]
	v_pk_add_f32 v[4:5], v[4:5], v[8:9]
	v_pk_fma_f32 v[8:9], v[16:17], v[38:39], v[6:7] op_sel:[0,0,1] op_sel_hi:[1,1,0] neg_lo:[0,0,1] neg_hi:[0,0,1]
	v_pk_fma_f32 v[6:7], v[16:17], v[38:39], v[6:7] op_sel:[0,0,1] op_sel_hi:[1,0,0]
	v_mov_b32_e32 v9, v7
	v_pk_add_f32 v[4:5], v[4:5], v[8:9]
	v_pk_add_f32 v[4:5], v[28:29], v[4:5] neg_lo:[0,1] neg_hi:[0,1]
	buffer_store_dword v5, off, s[0:3], 0 offset:180
	buffer_store_dword v4, off, s[0:3], 0 offset:176
	s_and_saveexec_b64 s[4:5], vcc
	s_cbranch_execz .LBB105_223
; %bb.222:
	buffer_load_dword v4, off, s[0:3], 0 offset:168
	buffer_load_dword v5, off, s[0:3], 0 offset:172
	s_waitcnt vmcnt(0)
	ds_write_b64 v1, v[4:5]
	buffer_store_dword v2, off, s[0:3], 0 offset:168
	buffer_store_dword v2, off, s[0:3], 0 offset:172
.LBB105_223:
	s_or_b64 exec, exec, s[4:5]
	s_waitcnt lgkmcnt(0)
	; wave barrier
	s_waitcnt lgkmcnt(0)
	buffer_load_dword v3, off, s[0:3], 0 offset:180
	buffer_load_dword v46, off, s[0:3], 0 offset:188
	;; [unrolled: 1-line block ×26, first 2 shown]
	ds_read_b128 v[4:7], v2 offset:512
	ds_read_b128 v[8:11], v2 offset:528
	ds_read_b128 v[12:15], v2 offset:544
	ds_read_b128 v[16:19], v2 offset:560
	ds_read_b128 v[20:23], v2 offset:576
	ds_read_b128 v[24:27], v2 offset:592
	buffer_load_dword v31, off, s[0:3], 0 offset:292
	buffer_load_dword v30, off, s[0:3], 0 offset:288
	;; [unrolled: 1-line block ×16, first 2 shown]
	v_cmp_lt_u32_e32 vcc, 20, v0
	s_waitcnt vmcnt(41) lgkmcnt(5)
	v_mul_f32_e32 v155, v4, v3
	s_waitcnt vmcnt(40)
	v_mul_f32_e32 v156, v6, v46
	v_mul_f32_e32 v3, v5, v3
	;; [unrolled: 1-line block ×3, first 2 shown]
	s_waitcnt vmcnt(39) lgkmcnt(4)
	v_mul_f32_e32 v157, v8, v48
	s_waitcnt vmcnt(38)
	v_mul_f32_e32 v158, v10, v50
	s_waitcnt vmcnt(37) lgkmcnt(3)
	v_mul_f32_e32 v159, v12, v52
	s_waitcnt vmcnt(36)
	v_mul_f32_e32 v160, v14, v53
	;; [unrolled: 4-line block ×4, first 2 shown]
	s_waitcnt vmcnt(29)
	v_fmac_f32_e32 v155, v5, v51
	s_waitcnt vmcnt(28)
	v_fmac_f32_e32 v156, v7, v60
	v_fma_f32 v3, v4, v51, -v3
	v_fma_f32 v4, v6, v60, -v46
	v_add_f32_e32 v6, 0, v155
	s_waitcnt vmcnt(27)
	v_fmac_f32_e32 v157, v9, v61
	v_add_f32_e32 v3, 0, v3
	v_add_f32_e32 v6, v6, v156
	s_waitcnt vmcnt(26)
	v_fmac_f32_e32 v158, v11, v62
	v_add_f32_e32 v3, v3, v4
	;; [unrolled: 4-line block ×3, first 2 shown]
	s_waitcnt vmcnt(24)
	v_fmac_f32_e32 v160, v15, v148
	v_add_f32_e32 v4, v4, v159
	s_waitcnt vmcnt(23)
	v_fmac_f32_e32 v161, v17, v149
	v_add_f32_e32 v4, v4, v160
	;; [unrolled: 3-line block ×4, first 2 shown]
	v_mul_f32_e32 v48, v9, v48
	s_waitcnt vmcnt(20)
	v_fmac_f32_e32 v164, v23, v152
	v_add_f32_e32 v4, v4, v163
	v_fma_f32 v5, v8, v61, -v48
	v_add_f32_e32 v51, v4, v164
	v_mul_f32_e32 v4, v11, v50
	v_add_f32_e32 v3, v3, v5
	v_fma_f32 v4, v10, v62, -v4
	v_add_f32_e32 v3, v3, v4
	v_mul_f32_e32 v4, v13, v52
	v_fma_f32 v4, v12, v63, -v4
	v_add_f32_e32 v3, v3, v4
	v_mul_f32_e32 v4, v15, v53
	;; [unrolled: 3-line block ×6, first 2 shown]
	v_fma_f32 v4, v22, v152, -v4
	v_add_f32_e32 v50, v3, v4
	ds_read_b128 v[4:7], v2 offset:608
	ds_read_b128 v[8:11], v2 offset:624
	;; [unrolled: 1-line block ×4, first 2 shown]
	s_waitcnt vmcnt(11)
	v_mov_b32_e32 v20, v35
	s_waitcnt lgkmcnt(3)
	v_pk_mul_f32 v[20:21], v[4:5], v[20:21] op_sel_hi:[1,0]
	s_waitcnt vmcnt(10)
	v_pk_fma_f32 v[22:23], v[4:5], v[34:35], v[20:21] op_sel:[0,0,1] op_sel_hi:[1,1,0] neg_lo:[0,0,1] neg_hi:[0,0,1]
	v_pk_fma_f32 v[4:5], v[4:5], v[34:35], v[20:21] op_sel:[0,0,1] op_sel_hi:[1,0,0]
	v_mov_b32_e32 v4, v33
	v_mov_b32_e32 v23, v5
	v_pk_mul_f32 v[4:5], v[6:7], v[4:5] op_sel_hi:[1,0]
	v_mul_f32_e32 v47, v24, v58
	v_mul_f32_e32 v3, v25, v58
	v_pk_fma_f32 v[20:21], v[6:7], v[32:33], v[4:5] op_sel:[0,0,1] op_sel_hi:[1,1,0] neg_lo:[0,0,1] neg_hi:[0,0,1]
	v_pk_fma_f32 v[4:5], v[6:7], v[32:33], v[4:5] op_sel:[0,0,1] op_sel_hi:[1,0,0]
	v_mul_f32_e32 v49, v26, v59
	v_fmac_f32_e32 v47, v25, v153
	v_fma_f32 v46, v24, v153, -v3
	v_mul_f32_e32 v3, v27, v59
	v_mov_b32_e32 v4, v31
	v_fmac_f32_e32 v49, v27, v154
	v_fma_f32 v48, v26, v154, -v3
	v_pk_add_f32 v[2:3], v[50:51], v[46:47]
	v_mov_b32_e32 v21, v5
	s_waitcnt lgkmcnt(2)
	v_pk_mul_f32 v[4:5], v[8:9], v[4:5] op_sel_hi:[1,0]
	v_pk_add_f32 v[2:3], v[2:3], v[48:49]
	v_pk_fma_f32 v[6:7], v[8:9], v[30:31], v[4:5] op_sel:[0,0,1] op_sel_hi:[1,1,0] neg_lo:[0,0,1] neg_hi:[0,0,1]
	v_pk_fma_f32 v[4:5], v[8:9], v[30:31], v[4:5] op_sel:[0,0,1] op_sel_hi:[1,0,0]
	v_pk_add_f32 v[2:3], v[2:3], v[22:23]
	s_waitcnt vmcnt(3)
	v_mov_b32_e32 v4, v43
	v_pk_add_f32 v[2:3], v[2:3], v[20:21]
	v_mov_b32_e32 v7, v5
	v_pk_mul_f32 v[4:5], v[10:11], v[4:5] op_sel_hi:[1,0]
	v_pk_add_f32 v[2:3], v[2:3], v[6:7]
	s_waitcnt vmcnt(2)
	v_pk_fma_f32 v[6:7], v[10:11], v[42:43], v[4:5] op_sel:[0,0,1] op_sel_hi:[1,1,0] neg_lo:[0,0,1] neg_hi:[0,0,1]
	v_pk_fma_f32 v[4:5], v[10:11], v[42:43], v[4:5] op_sel:[0,0,1] op_sel_hi:[1,0,0]
	v_mov_b32_e32 v4, v41
	v_mov_b32_e32 v7, v5
	s_waitcnt lgkmcnt(1)
	v_pk_mul_f32 v[4:5], v[12:13], v[4:5] op_sel_hi:[1,0]
	v_pk_add_f32 v[2:3], v[2:3], v[6:7]
	v_pk_fma_f32 v[6:7], v[12:13], v[40:41], v[4:5] op_sel:[0,0,1] op_sel_hi:[1,1,0] neg_lo:[0,0,1] neg_hi:[0,0,1]
	v_pk_fma_f32 v[4:5], v[12:13], v[40:41], v[4:5] op_sel:[0,0,1] op_sel_hi:[1,0,0]
	v_mov_b32_e32 v4, v39
	v_mov_b32_e32 v7, v5
	v_pk_mul_f32 v[4:5], v[14:15], v[4:5] op_sel_hi:[1,0]
	v_pk_add_f32 v[2:3], v[2:3], v[6:7]
	v_pk_fma_f32 v[6:7], v[14:15], v[38:39], v[4:5] op_sel:[0,0,1] op_sel_hi:[1,1,0] neg_lo:[0,0,1] neg_hi:[0,0,1]
	v_pk_fma_f32 v[4:5], v[14:15], v[38:39], v[4:5] op_sel:[0,0,1] op_sel_hi:[1,0,0]
	v_mov_b32_e32 v4, v37
	v_mov_b32_e32 v7, v5
	s_waitcnt lgkmcnt(0)
	v_pk_mul_f32 v[4:5], v[16:17], v[4:5] op_sel_hi:[1,0]
	v_pk_add_f32 v[2:3], v[2:3], v[6:7]
	v_pk_fma_f32 v[6:7], v[16:17], v[36:37], v[4:5] op_sel:[0,0,1] op_sel_hi:[1,1,0] neg_lo:[0,0,1] neg_hi:[0,0,1]
	v_pk_fma_f32 v[4:5], v[16:17], v[36:37], v[4:5] op_sel:[0,0,1] op_sel_hi:[1,0,0]
	s_waitcnt vmcnt(1)
	v_mov_b32_e32 v4, v45
	v_mov_b32_e32 v7, v5
	v_pk_mul_f32 v[4:5], v[18:19], v[4:5] op_sel_hi:[1,0]
	v_pk_add_f32 v[2:3], v[2:3], v[6:7]
	s_waitcnt vmcnt(0)
	v_pk_fma_f32 v[6:7], v[18:19], v[44:45], v[4:5] op_sel:[0,0,1] op_sel_hi:[1,1,0] neg_lo:[0,0,1] neg_hi:[0,0,1]
	v_pk_fma_f32 v[4:5], v[18:19], v[44:45], v[4:5] op_sel:[0,0,1] op_sel_hi:[1,0,0]
	v_mov_b32_e32 v7, v5
	v_pk_add_f32 v[2:3], v[2:3], v[6:7]
	v_pk_add_f32 v[2:3], v[28:29], v[2:3] neg_lo:[0,1] neg_hi:[0,1]
	buffer_store_dword v3, off, s[0:3], 0 offset:172
	buffer_store_dword v2, off, s[0:3], 0 offset:168
	s_and_saveexec_b64 s[4:5], vcc
	s_cbranch_execz .LBB105_225
; %bb.224:
	buffer_load_dword v2, off, s[0:3], 0 offset:160
	buffer_load_dword v3, off, s[0:3], 0 offset:164
	v_mov_b32_e32 v4, 0
	buffer_store_dword v4, off, s[0:3], 0 offset:160
	buffer_store_dword v4, off, s[0:3], 0 offset:164
	s_waitcnt vmcnt(2)
	ds_write_b64 v1, v[2:3]
.LBB105_225:
	s_or_b64 exec, exec, s[4:5]
	v_mov_b32_e32 v12, 0
	s_waitcnt lgkmcnt(0)
	; wave barrier
	s_waitcnt lgkmcnt(0)
	ds_read2_b64 v[14:17], v12 offset0:63 offset1:64
	buffer_load_dword v6, off, s[0:3], 0 offset:160
	buffer_load_dword v7, off, s[0:3], 0 offset:164
	;; [unrolled: 1-line block ×16, first 2 shown]
	ds_read2_b64 v[18:21], v12 offset0:65 offset1:66
	ds_read2_b64 v[22:25], v12 offset0:67 offset1:68
	;; [unrolled: 1-line block ×3, first 2 shown]
	buffer_load_dword v150, off, s[0:3], 0 offset:224
	buffer_load_dword v151, off, s[0:3], 0 offset:228
	ds_read2_b64 v[30:33], v12 offset0:71 offset1:72
	buffer_load_dword v152, off, s[0:3], 0 offset:232
	buffer_load_dword v153, off, s[0:3], 0 offset:236
	;; [unrolled: 1-line block ×4, first 2 shown]
	ds_read2_b64 v[34:37], v12 offset0:73 offset1:74
	buffer_load_dword v156, off, s[0:3], 0 offset:248
	buffer_load_dword v157, off, s[0:3], 0 offset:252
	;; [unrolled: 1-line block ×4, first 2 shown]
	v_cmp_lt_u32_e32 vcc, 19, v0
	s_waitcnt vmcnt(22) lgkmcnt(5)
	v_mul_f32_e32 v2, v14, v10
	v_fmac_f32_e32 v2, v15, v8
	s_waitcnt vmcnt(20)
	v_mul_f32_e32 v3, v16, v38
	v_add_f32_e32 v2, 0, v2
	v_fmac_f32_e32 v3, v17, v13
	v_add_f32_e32 v2, v2, v3
	s_waitcnt vmcnt(18) lgkmcnt(4)
	v_mul_f32_e32 v3, v18, v57
	v_fmac_f32_e32 v3, v19, v56
	v_add_f32_e32 v2, v2, v3
	s_waitcnt vmcnt(16)
	v_mul_f32_e32 v3, v20, v59
	v_fmac_f32_e32 v3, v21, v58
	v_add_f32_e32 v2, v2, v3
	s_waitcnt vmcnt(14) lgkmcnt(3)
	v_mul_f32_e32 v3, v22, v61
	v_fmac_f32_e32 v3, v23, v60
	v_add_f32_e32 v2, v2, v3
	s_waitcnt vmcnt(12)
	v_mul_f32_e32 v3, v24, v63
	;; [unrolled: 8-line block ×4, first 2 shown]
	v_fmac_f32_e32 v3, v33, v154
	v_add_f32_e32 v2, v2, v3
	s_waitcnt vmcnt(2) lgkmcnt(0)
	v_mul_f32_e32 v3, v34, v157
	v_fmac_f32_e32 v3, v35, v156
	v_add_f32_e32 v9, v2, v3
	ds_read2_b64 v[2:5], v12 offset0:75 offset1:76
	buffer_load_dword v160, off, s[0:3], 0 offset:264
	buffer_load_dword v161, off, s[0:3], 0 offset:268
	;; [unrolled: 1-line block ×18, first 2 shown]
	v_mul_f32_e32 v10, v15, v10
	v_fma_f32 v8, v14, v8, -v10
	v_mul_f32_e32 v10, v17, v38
	v_add_f32_e32 v8, 0, v8
	v_fma_f32 v10, v16, v13, -v10
	v_add_f32_e32 v8, v8, v10
	v_mul_f32_e32 v10, v19, v57
	v_fma_f32 v10, v18, v56, -v10
	v_add_f32_e32 v8, v8, v10
	v_mul_f32_e32 v10, v21, v59
	;; [unrolled: 3-line block ×9, first 2 shown]
	v_fma_f32 v10, v34, v156, -v10
	s_waitcnt vmcnt(18)
	v_mul_f32_e32 v11, v36, v159
	v_add_f32_e32 v8, v8, v10
	v_mul_f32_e32 v10, v37, v159
	v_fmac_f32_e32 v11, v37, v158
	v_fma_f32 v10, v36, v158, -v10
	v_pk_add_f32 v[8:9], v[8:9], v[10:11]
	s_waitcnt vmcnt(15)
	v_mov_b32_e32 v10, v41
	s_waitcnt lgkmcnt(0)
	v_pk_mul_f32 v[10:11], v[4:5], v[10:11] op_sel_hi:[1,0]
	s_waitcnt vmcnt(14)
	v_pk_fma_f32 v[26:27], v[4:5], v[40:41], v[10:11] op_sel:[0,0,1] op_sel_hi:[1,1,0] neg_lo:[0,0,1] neg_hi:[0,0,1]
	v_pk_fma_f32 v[4:5], v[4:5], v[40:41], v[10:11] op_sel:[0,0,1] op_sel_hi:[1,0,0]
	v_mov_b32_e32 v27, v5
	v_mul_f32_e32 v39, v2, v161
	v_fmac_f32_e32 v39, v3, v160
	v_mul_f32_e32 v3, v3, v161
	v_fma_f32 v38, v2, v160, -v3
	ds_read2_b64 v[14:17], v12 offset0:77 offset1:78
	ds_read2_b64 v[18:21], v12 offset0:79 offset1:80
	;; [unrolled: 1-line block ×3, first 2 shown]
	ds_read_b64 v[2:3], v12 offset:664
	v_pk_add_f32 v[8:9], v[8:9], v[38:39]
	v_pk_add_f32 v[4:5], v[8:9], v[26:27]
	s_waitcnt vmcnt(13)
	v_mov_b32_e32 v8, v43
	s_waitcnt lgkmcnt(3)
	v_pk_mul_f32 v[8:9], v[14:15], v[8:9] op_sel_hi:[1,0]
	s_waitcnt vmcnt(12)
	v_pk_fma_f32 v[10:11], v[14:15], v[42:43], v[8:9] op_sel:[0,0,1] op_sel_hi:[1,1,0] neg_lo:[0,0,1] neg_hi:[0,0,1]
	v_pk_fma_f32 v[8:9], v[14:15], v[42:43], v[8:9] op_sel:[0,0,1] op_sel_hi:[1,0,0]
	s_waitcnt vmcnt(11)
	v_mov_b32_e32 v8, v45
	v_mov_b32_e32 v11, v9
	v_pk_mul_f32 v[8:9], v[16:17], v[8:9] op_sel_hi:[1,0]
	v_pk_add_f32 v[4:5], v[4:5], v[10:11]
	s_waitcnt vmcnt(10)
	v_pk_fma_f32 v[10:11], v[16:17], v[44:45], v[8:9] op_sel:[0,0,1] op_sel_hi:[1,1,0] neg_lo:[0,0,1] neg_hi:[0,0,1]
	v_pk_fma_f32 v[8:9], v[16:17], v[44:45], v[8:9] op_sel:[0,0,1] op_sel_hi:[1,0,0]
	s_waitcnt vmcnt(9)
	v_mov_b32_e32 v8, v47
	v_mov_b32_e32 v11, v9
	s_waitcnt lgkmcnt(2)
	v_pk_mul_f32 v[8:9], v[18:19], v[8:9] op_sel_hi:[1,0]
	v_pk_add_f32 v[4:5], v[4:5], v[10:11]
	s_waitcnt vmcnt(8)
	v_pk_fma_f32 v[10:11], v[18:19], v[46:47], v[8:9] op_sel:[0,0,1] op_sel_hi:[1,1,0] neg_lo:[0,0,1] neg_hi:[0,0,1]
	v_pk_fma_f32 v[8:9], v[18:19], v[46:47], v[8:9] op_sel:[0,0,1] op_sel_hi:[1,0,0]
	s_waitcnt vmcnt(7)
	v_mov_b32_e32 v8, v49
	v_mov_b32_e32 v11, v9
	v_pk_mul_f32 v[8:9], v[20:21], v[8:9] op_sel_hi:[1,0]
	v_pk_add_f32 v[4:5], v[4:5], v[10:11]
	s_waitcnt vmcnt(6)
	v_pk_fma_f32 v[10:11], v[20:21], v[48:49], v[8:9] op_sel:[0,0,1] op_sel_hi:[1,1,0] neg_lo:[0,0,1] neg_hi:[0,0,1]
	v_pk_fma_f32 v[8:9], v[20:21], v[48:49], v[8:9] op_sel:[0,0,1] op_sel_hi:[1,0,0]
	s_waitcnt vmcnt(5)
	v_mov_b32_e32 v8, v51
	v_mov_b32_e32 v11, v9
	s_waitcnt lgkmcnt(1)
	v_pk_mul_f32 v[8:9], v[22:23], v[8:9] op_sel_hi:[1,0]
	v_pk_add_f32 v[4:5], v[4:5], v[10:11]
	;; [unrolled: 17-line block ×3, first 2 shown]
	s_waitcnt vmcnt(0)
	v_pk_fma_f32 v[10:11], v[2:3], v[54:55], v[8:9] op_sel:[0,0,1] op_sel_hi:[1,1,0] neg_lo:[0,0,1] neg_hi:[0,0,1]
	v_pk_fma_f32 v[2:3], v[2:3], v[54:55], v[8:9] op_sel:[0,0,1] op_sel_hi:[1,0,0]
	v_mov_b32_e32 v11, v3
	v_pk_add_f32 v[2:3], v[4:5], v[10:11]
	v_pk_add_f32 v[2:3], v[6:7], v[2:3] neg_lo:[0,1] neg_hi:[0,1]
	buffer_store_dword v3, off, s[0:3], 0 offset:164
	buffer_store_dword v2, off, s[0:3], 0 offset:160
	s_and_saveexec_b64 s[4:5], vcc
	s_cbranch_execz .LBB105_227
; %bb.226:
	buffer_load_dword v2, off, s[0:3], 0 offset:152
	buffer_load_dword v3, off, s[0:3], 0 offset:156
	s_waitcnt vmcnt(0)
	ds_write_b64 v1, v[2:3]
	buffer_store_dword v12, off, s[0:3], 0 offset:152
	buffer_store_dword v12, off, s[0:3], 0 offset:156
.LBB105_227:
	s_or_b64 exec, exec, s[4:5]
	s_waitcnt lgkmcnt(0)
	; wave barrier
	s_waitcnt lgkmcnt(0)
	buffer_load_dword v10, off, s[0:3], 0 offset:164
	buffer_load_dword v11, off, s[0:3], 0 offset:172
	;; [unrolled: 1-line block ×30, first 2 shown]
	ds_read_b128 v[2:5], v12 offset:496
	ds_read_b128 v[6:9], v12 offset:512
	;; [unrolled: 1-line block ×6, first 2 shown]
	buffer_load_dword v41, off, s[0:3], 0 offset:276
	buffer_load_dword v40, off, s[0:3], 0 offset:272
	ds_read_b128 v[30:33], v12 offset:592
	ds_read_b128 v[34:37], v12 offset:608
	buffer_load_dword v43, off, s[0:3], 0 offset:308
	buffer_load_dword v42, off, s[0:3], 0 offset:304
	;; [unrolled: 1-line block ×14, first 2 shown]
	v_cmp_lt_u32_e32 vcc, 18, v0
	s_waitcnt vmcnt(45) lgkmcnt(7)
	v_mul_f32_e32 v59, v2, v10
	s_waitcnt vmcnt(44)
	v_mul_f32_e32 v61, v4, v11
	s_waitcnt vmcnt(43) lgkmcnt(6)
	v_mul_f32_e32 v168, v6, v13
	s_waitcnt vmcnt(42)
	v_mul_f32_e32 v169, v8, v56
	;; [unrolled: 4-line block ×6, first 2 shown]
	s_waitcnt vmcnt(33) lgkmcnt(1)
	v_mul_f32_e32 v57, v30, v152
	s_waitcnt vmcnt(32)
	v_fmac_f32_e32 v59, v3, v153
	v_mul_f32_e32 v3, v3, v10
	v_fma_f32 v2, v2, v153, -v3
	v_mul_f32_e32 v3, v5, v11
	v_add_f32_e32 v2, 0, v2
	s_waitcnt vmcnt(31)
	v_fma_f32 v3, v4, v154, -v3
	v_add_f32_e32 v2, v2, v3
	v_mul_f32_e32 v3, v7, v13
	s_waitcnt vmcnt(30)
	v_fma_f32 v3, v6, v155, -v3
	v_add_f32_e32 v2, v2, v3
	v_mul_f32_e32 v3, v9, v56
	;; [unrolled: 4-line block ×5, first 2 shown]
	s_waitcnt vmcnt(26)
	v_fma_f32 v3, v18, v159, -v3
	v_fmac_f32_e32 v61, v5, v154
	v_add_f32_e32 v59, 0, v59
	v_add_f32_e32 v2, v2, v3
	v_mul_f32_e32 v3, v21, v63
	v_fmac_f32_e32 v168, v7, v155
	v_add_f32_e32 v59, v59, v61
	s_waitcnt vmcnt(25)
	v_fma_f32 v3, v20, v160, -v3
	v_fmac_f32_e32 v169, v9, v156
	v_add_f32_e32 v59, v59, v168
	v_add_f32_e32 v2, v2, v3
	v_mul_f32_e32 v3, v23, v148
	v_fmac_f32_e32 v170, v15, v157
	v_add_f32_e32 v59, v59, v169
	;; [unrolled: 8-line block ×5, first 2 shown]
	s_waitcnt vmcnt(21)
	v_fma_f32 v3, v28, v164, -v3
	s_waitcnt vmcnt(15)
	v_mov_b32_e32 v16, v41
	v_fmac_f32_e32 v177, v29, v164
	v_add_f32_e32 v59, v59, v176
	v_add_f32_e32 v58, v2, v3
	v_mul_f32_e32 v2, v31, v152
	s_waitcnt lgkmcnt(0)
	v_pk_mul_f32 v[16:17], v[34:35], v[16:17] op_sel_hi:[1,0]
	v_fmac_f32_e32 v57, v31, v165
	v_add_f32_e32 v59, v59, v177
	v_mul_f32_e32 v61, v32, v166
	v_fma_f32 v56, v30, v165, -v2
	v_mul_f32_e32 v2, v33, v166
	s_waitcnt vmcnt(14)
	v_pk_fma_f32 v[18:19], v[34:35], v[40:41], v[16:17] op_sel:[0,0,1] op_sel_hi:[1,1,0] neg_lo:[0,0,1] neg_hi:[0,0,1]
	v_pk_fma_f32 v[16:17], v[34:35], v[40:41], v[16:17] op_sel:[0,0,1] op_sel_hi:[1,0,0]
	v_fmac_f32_e32 v61, v33, v167
	v_fma_f32 v60, v32, v167, -v2
	v_pk_add_f32 v[14:15], v[58:59], v[56:57]
	s_waitcnt vmcnt(7)
	v_mov_b32_e32 v16, v49
	ds_read_b128 v[2:5], v12 offset:624
	ds_read_b128 v[6:9], v12 offset:640
	;; [unrolled: 1-line block ×3, first 2 shown]
	v_pk_add_f32 v[14:15], v[14:15], v[60:61]
	v_mov_b32_e32 v19, v17
	v_pk_mul_f32 v[16:17], v[36:37], v[16:17] op_sel_hi:[1,0]
	v_pk_add_f32 v[14:15], v[14:15], v[18:19]
	s_waitcnt vmcnt(6)
	v_pk_fma_f32 v[18:19], v[36:37], v[48:49], v[16:17] op_sel:[0,0,1] op_sel_hi:[1,1,0] neg_lo:[0,0,1] neg_hi:[0,0,1]
	v_pk_fma_f32 v[16:17], v[36:37], v[48:49], v[16:17] op_sel:[0,0,1] op_sel_hi:[1,0,0]
	v_mov_b32_e32 v16, v47
	v_mov_b32_e32 v19, v17
	s_waitcnt lgkmcnt(2)
	v_pk_mul_f32 v[16:17], v[2:3], v[16:17] op_sel_hi:[1,0]
	v_pk_add_f32 v[14:15], v[14:15], v[18:19]
	v_pk_fma_f32 v[18:19], v[2:3], v[46:47], v[16:17] op_sel:[0,0,1] op_sel_hi:[1,1,0] neg_lo:[0,0,1] neg_hi:[0,0,1]
	v_pk_fma_f32 v[2:3], v[2:3], v[46:47], v[16:17] op_sel:[0,0,1] op_sel_hi:[1,0,0]
	v_mov_b32_e32 v19, v3
	v_pk_add_f32 v[2:3], v[14:15], v[18:19]
	v_mov_b32_e32 v14, v45
	v_pk_mul_f32 v[14:15], v[4:5], v[14:15] op_sel_hi:[1,0]
	v_pk_fma_f32 v[16:17], v[4:5], v[44:45], v[14:15] op_sel:[0,0,1] op_sel_hi:[1,1,0] neg_lo:[0,0,1] neg_hi:[0,0,1]
	v_pk_fma_f32 v[4:5], v[4:5], v[44:45], v[14:15] op_sel:[0,0,1] op_sel_hi:[1,0,0]
	v_mov_b32_e32 v4, v43
	v_mov_b32_e32 v17, v5
	s_waitcnt lgkmcnt(1)
	v_pk_mul_f32 v[4:5], v[6:7], v[4:5] op_sel_hi:[1,0]
	v_pk_fma_f32 v[14:15], v[6:7], v[42:43], v[4:5] op_sel:[0,0,1] op_sel_hi:[1,1,0] neg_lo:[0,0,1] neg_hi:[0,0,1]
	v_pk_fma_f32 v[4:5], v[6:7], v[42:43], v[4:5] op_sel:[0,0,1] op_sel_hi:[1,0,0]
	s_waitcnt vmcnt(1)
	v_mov_b32_e32 v4, v55
	v_mov_b32_e32 v15, v5
	v_pk_mul_f32 v[4:5], v[8:9], v[4:5] op_sel_hi:[1,0]
	s_waitcnt vmcnt(0)
	v_pk_fma_f32 v[6:7], v[8:9], v[54:55], v[4:5] op_sel:[0,0,1] op_sel_hi:[1,1,0] neg_lo:[0,0,1] neg_hi:[0,0,1]
	v_pk_fma_f32 v[4:5], v[8:9], v[54:55], v[4:5] op_sel:[0,0,1] op_sel_hi:[1,0,0]
	v_pk_add_f32 v[2:3], v[2:3], v[16:17]
	v_mov_b32_e32 v4, v53
	v_pk_add_f32 v[2:3], v[2:3], v[14:15]
	v_mov_b32_e32 v7, v5
	s_waitcnt lgkmcnt(0)
	v_pk_mul_f32 v[4:5], v[10:11], v[4:5] op_sel_hi:[1,0]
	v_pk_add_f32 v[2:3], v[2:3], v[6:7]
	v_pk_fma_f32 v[6:7], v[10:11], v[52:53], v[4:5] op_sel:[0,0,1] op_sel_hi:[1,1,0] neg_lo:[0,0,1] neg_hi:[0,0,1]
	v_pk_fma_f32 v[4:5], v[10:11], v[52:53], v[4:5] op_sel:[0,0,1] op_sel_hi:[1,0,0]
	v_mov_b32_e32 v4, v51
	v_mov_b32_e32 v7, v5
	v_pk_mul_f32 v[4:5], v[12:13], v[4:5] op_sel_hi:[1,0]
	v_pk_add_f32 v[2:3], v[2:3], v[6:7]
	v_pk_fma_f32 v[6:7], v[12:13], v[50:51], v[4:5] op_sel:[0,0,1] op_sel_hi:[1,1,0] neg_lo:[0,0,1] neg_hi:[0,0,1]
	v_pk_fma_f32 v[4:5], v[12:13], v[50:51], v[4:5] op_sel:[0,0,1] op_sel_hi:[1,0,0]
	v_mov_b32_e32 v7, v5
	v_pk_add_f32 v[2:3], v[2:3], v[6:7]
	v_pk_add_f32 v[2:3], v[38:39], v[2:3] neg_lo:[0,1] neg_hi:[0,1]
	buffer_store_dword v3, off, s[0:3], 0 offset:156
	buffer_store_dword v2, off, s[0:3], 0 offset:152
	s_and_saveexec_b64 s[4:5], vcc
	s_cbranch_execz .LBB105_229
; %bb.228:
	buffer_load_dword v2, off, s[0:3], 0 offset:144
	buffer_load_dword v3, off, s[0:3], 0 offset:148
	v_mov_b32_e32 v4, 0
	buffer_store_dword v4, off, s[0:3], 0 offset:144
	buffer_store_dword v4, off, s[0:3], 0 offset:148
	s_waitcnt vmcnt(2)
	ds_write_b64 v1, v[2:3]
.LBB105_229:
	s_or_b64 exec, exec, s[4:5]
	s_waitcnt lgkmcnt(0)
	; wave barrier
	s_waitcnt lgkmcnt(0)
	buffer_load_dword v3, off, s[0:3], 0 offset:156
	buffer_load_dword v52, off, s[0:3], 0 offset:164
	;; [unrolled: 1-line block ×32, first 2 shown]
	v_mov_b32_e32 v2, 0
	buffer_load_dword v39, off, s[0:3], 0 offset:300
	buffer_load_dword v38, off, s[0:3], 0 offset:296
	;; [unrolled: 1-line block ×13, first 2 shown]
	ds_read2_b64 v[4:7], v2 offset0:61 offset1:62
	ds_read2_b64 v[8:11], v2 offset0:63 offset1:64
	;; [unrolled: 1-line block ×8, first 2 shown]
	v_cmp_lt_u32_e32 vcc, 17, v0
	s_waitcnt vmcnt(44) lgkmcnt(7)
	v_mul_f32_e32 v46, v4, v3
	s_waitcnt vmcnt(43)
	v_mul_f32_e32 v53, v6, v52
	s_waitcnt vmcnt(42) lgkmcnt(6)
	v_mul_f32_e32 v54, v8, v56
	s_waitcnt vmcnt(41)
	v_mul_f32_e32 v55, v10, v58
	;; [unrolled: 4-line block ×6, first 2 shown]
	s_waitcnt vmcnt(32) lgkmcnt(1)
	v_mul_f32_e32 v176, v28, v152
	s_waitcnt vmcnt(31)
	v_fmac_f32_e32 v46, v5, v153
	s_waitcnt vmcnt(30)
	v_fmac_f32_e32 v53, v7, v154
	v_add_f32_e32 v46, 0, v46
	s_waitcnt vmcnt(29)
	v_fmac_f32_e32 v54, v9, v155
	v_add_f32_e32 v46, v46, v53
	;; [unrolled: 3-line block ×12, first 2 shown]
	v_add_f32_e32 v53, v46, v176
	buffer_load_dword v55, off, s[0:3], 0 offset:316
	buffer_load_dword v54, off, s[0:3], 0 offset:312
	buffer_load_dword v46, off, s[0:3], 0 offset:304
	v_mul_f32_e32 v3, v5, v3
	v_fma_f32 v3, v4, v153, -v3
	v_mul_f32_e32 v4, v7, v52
	v_add_f32_e32 v3, 0, v3
	v_fma_f32 v4, v6, v154, -v4
	v_add_f32_e32 v3, v3, v4
	v_mul_f32_e32 v4, v9, v56
	v_fma_f32 v4, v8, v155, -v4
	v_add_f32_e32 v3, v3, v4
	v_mul_f32_e32 v4, v11, v58
	;; [unrolled: 3-line block ×11, first 2 shown]
	v_fma_f32 v4, v28, v165, -v4
	s_waitcnt vmcnt(9)
	v_mov_b32_e32 v20, v45
	v_mul_f32_e32 v57, v30, v166
	v_add_f32_e32 v52, v3, v4
	v_mul_f32_e32 v3, v31, v166
	s_waitcnt lgkmcnt(0)
	v_pk_mul_f32 v[20:21], v[34:35], v[20:21] op_sel_hi:[1,0]
	v_fmac_f32_e32 v57, v31, v167
	v_mul_f32_e32 v59, v32, v168
	v_fma_f32 v56, v30, v167, -v3
	v_mul_f32_e32 v3, v33, v168
	ds_read2_b64 v[4:7], v2 offset0:77 offset1:78
	ds_read2_b64 v[8:11], v2 offset0:79 offset1:80
	;; [unrolled: 1-line block ×3, first 2 shown]
	ds_read_b64 v[16:17], v2 offset:664
	s_waitcnt vmcnt(8)
	v_pk_fma_f32 v[22:23], v[34:35], v[44:45], v[20:21] op_sel:[0,0,1] op_sel_hi:[1,1,0] neg_lo:[0,0,1] neg_hi:[0,0,1]
	v_pk_fma_f32 v[20:21], v[34:35], v[44:45], v[20:21] op_sel:[0,0,1] op_sel_hi:[1,0,0]
	v_fmac_f32_e32 v59, v33, v169
	v_fma_f32 v58, v32, v169, -v3
	v_pk_add_f32 v[18:19], v[52:53], v[56:57]
	v_mov_b32_e32 v20, v43
	v_pk_add_f32 v[18:19], v[18:19], v[58:59]
	v_mov_b32_e32 v23, v21
	s_waitcnt lgkmcnt(3)
	v_pk_mul_f32 v[20:21], v[4:5], v[20:21] op_sel_hi:[1,0]
	v_pk_add_f32 v[18:19], v[18:19], v[22:23]
	v_pk_fma_f32 v[22:23], v[4:5], v[42:43], v[20:21] op_sel:[0,0,1] op_sel_hi:[1,1,0] neg_lo:[0,0,1] neg_hi:[0,0,1]
	v_pk_fma_f32 v[4:5], v[4:5], v[42:43], v[20:21] op_sel:[0,0,1] op_sel_hi:[1,0,0]
	v_mov_b32_e32 v23, v5
	v_pk_add_f32 v[4:5], v[18:19], v[22:23]
	v_mov_b32_e32 v18, v41
	v_pk_mul_f32 v[18:19], v[6:7], v[18:19] op_sel_hi:[1,0]
	v_pk_fma_f32 v[20:21], v[6:7], v[40:41], v[18:19] op_sel:[0,0,1] op_sel_hi:[1,1,0] neg_lo:[0,0,1] neg_hi:[0,0,1]
	v_pk_fma_f32 v[6:7], v[6:7], v[40:41], v[18:19] op_sel:[0,0,1] op_sel_hi:[1,0,0]
	v_mov_b32_e32 v6, v39
	v_mov_b32_e32 v21, v7
	s_waitcnt lgkmcnt(2)
	v_pk_mul_f32 v[6:7], v[8:9], v[6:7] op_sel_hi:[1,0]
	v_pk_fma_f32 v[18:19], v[8:9], v[38:39], v[6:7] op_sel:[0,0,1] op_sel_hi:[1,1,0] neg_lo:[0,0,1] neg_hi:[0,0,1]
	v_pk_fma_f32 v[6:7], v[8:9], v[38:39], v[6:7] op_sel:[0,0,1] op_sel_hi:[1,0,0]
	s_waitcnt vmcnt(7)
	v_mov_b32_e32 v6, v47
	v_mov_b32_e32 v19, v7
	v_pk_mul_f32 v[6:7], v[10:11], v[6:7] op_sel_hi:[1,0]
	v_pk_add_f32 v[4:5], v[4:5], v[20:21]
	v_pk_add_f32 v[4:5], v[4:5], v[18:19]
	s_waitcnt vmcnt(0)
	v_pk_fma_f32 v[8:9], v[10:11], v[46:47], v[6:7] op_sel:[0,0,1] op_sel_hi:[1,1,0] neg_lo:[0,0,1] neg_hi:[0,0,1]
	v_pk_fma_f32 v[6:7], v[10:11], v[46:47], v[6:7] op_sel:[0,0,1] op_sel_hi:[1,0,0]
	v_mov_b32_e32 v6, v55
	v_mov_b32_e32 v9, v7
	s_waitcnt lgkmcnt(1)
	v_pk_mul_f32 v[6:7], v[12:13], v[6:7] op_sel_hi:[1,0]
	v_pk_add_f32 v[4:5], v[4:5], v[8:9]
	v_pk_fma_f32 v[8:9], v[12:13], v[54:55], v[6:7] op_sel:[0,0,1] op_sel_hi:[1,1,0] neg_lo:[0,0,1] neg_hi:[0,0,1]
	v_pk_fma_f32 v[6:7], v[12:13], v[54:55], v[6:7] op_sel:[0,0,1] op_sel_hi:[1,0,0]
	v_mov_b32_e32 v6, v51
	v_mov_b32_e32 v9, v7
	v_pk_mul_f32 v[6:7], v[14:15], v[6:7] op_sel_hi:[1,0]
	v_pk_add_f32 v[4:5], v[4:5], v[8:9]
	v_pk_fma_f32 v[8:9], v[14:15], v[50:51], v[6:7] op_sel:[0,0,1] op_sel_hi:[1,1,0] neg_lo:[0,0,1] neg_hi:[0,0,1]
	v_pk_fma_f32 v[6:7], v[14:15], v[50:51], v[6:7] op_sel:[0,0,1] op_sel_hi:[1,0,0]
	v_mov_b32_e32 v6, v49
	v_mov_b32_e32 v9, v7
	s_waitcnt lgkmcnt(0)
	v_pk_mul_f32 v[6:7], v[16:17], v[6:7] op_sel_hi:[1,0]
	v_pk_add_f32 v[4:5], v[4:5], v[8:9]
	v_pk_fma_f32 v[8:9], v[16:17], v[48:49], v[6:7] op_sel:[0,0,1] op_sel_hi:[1,1,0] neg_lo:[0,0,1] neg_hi:[0,0,1]
	v_pk_fma_f32 v[6:7], v[16:17], v[48:49], v[6:7] op_sel:[0,0,1] op_sel_hi:[1,0,0]
	v_mov_b32_e32 v9, v7
	v_pk_add_f32 v[4:5], v[4:5], v[8:9]
	v_pk_add_f32 v[4:5], v[36:37], v[4:5] neg_lo:[0,1] neg_hi:[0,1]
	buffer_store_dword v5, off, s[0:3], 0 offset:148
	buffer_store_dword v4, off, s[0:3], 0 offset:144
	s_and_saveexec_b64 s[4:5], vcc
	s_cbranch_execz .LBB105_231
; %bb.230:
	buffer_load_dword v4, off, s[0:3], 0 offset:136
	buffer_load_dword v5, off, s[0:3], 0 offset:140
	s_waitcnt vmcnt(0)
	ds_write_b64 v1, v[4:5]
	buffer_store_dword v2, off, s[0:3], 0 offset:136
	buffer_store_dword v2, off, s[0:3], 0 offset:140
.LBB105_231:
	s_or_b64 exec, exec, s[4:5]
	s_waitcnt lgkmcnt(0)
	; wave barrier
	s_waitcnt lgkmcnt(0)
	buffer_load_dword v3, off, s[0:3], 0 offset:148
	buffer_load_dword v52, off, s[0:3], 0 offset:156
	;; [unrolled: 1-line block ×34, first 2 shown]
	ds_read_b128 v[4:7], v2 offset:480
	ds_read_b128 v[8:11], v2 offset:496
	;; [unrolled: 1-line block ×8, first 2 shown]
	buffer_load_dword v39, off, s[0:3], 0 offset:292
	buffer_load_dword v38, off, s[0:3], 0 offset:288
	;; [unrolled: 1-line block ×9, first 2 shown]
	v_cmp_lt_u32_e32 vcc, 16, v0
	s_waitcnt vmcnt(42) lgkmcnt(7)
	v_mul_f32_e32 v44, v4, v3
	s_waitcnt vmcnt(41)
	v_mul_f32_e32 v48, v6, v52
	s_waitcnt vmcnt(40) lgkmcnt(6)
	v_mul_f32_e32 v49, v8, v54
	s_waitcnt vmcnt(39)
	v_mul_f32_e32 v50, v10, v56
	;; [unrolled: 4-line block ×6, first 2 shown]
	s_waitcnt vmcnt(30) lgkmcnt(1)
	v_mul_f32_e32 v174, v28, v152
	v_mul_f32_e32 v3, v5, v3
	s_waitcnt vmcnt(28)
	v_fmac_f32_e32 v44, v5, v154
	s_waitcnt vmcnt(27)
	v_fmac_f32_e32 v48, v7, v155
	v_add_f32_e32 v44, 0, v44
	s_waitcnt vmcnt(26)
	v_fmac_f32_e32 v49, v9, v156
	v_add_f32_e32 v44, v44, v48
	;; [unrolled: 3-line block ×12, first 2 shown]
	v_add_f32_e32 v53, v44, v174
	buffer_load_dword v49, off, s[0:3], 0 offset:316
	buffer_load_dword v48, off, s[0:3], 0 offset:312
	;; [unrolled: 1-line block ×7, first 2 shown]
	v_fma_f32 v3, v4, v154, -v3
	v_mul_f32_e32 v4, v7, v52
	v_add_f32_e32 v3, 0, v3
	v_fma_f32 v4, v6, v155, -v4
	v_add_f32_e32 v3, v3, v4
	v_mul_f32_e32 v4, v9, v54
	v_fma_f32 v4, v8, v156, -v4
	v_add_f32_e32 v3, v3, v4
	v_mul_f32_e32 v4, v11, v56
	;; [unrolled: 3-line block ×12, first 2 shown]
	s_waitcnt vmcnt(22)
	v_fma_f32 v4, v30, v167, -v4
	v_add_f32_e32 v52, v3, v4
	ds_read_b128 v[4:7], v2 offset:608
	ds_read_b128 v[8:11], v2 offset:624
	;; [unrolled: 1-line block ×4, first 2 shown]
	s_waitcnt vmcnt(11)
	v_mov_b32_e32 v20, v43
	s_waitcnt lgkmcnt(3)
	v_pk_mul_f32 v[20:21], v[4:5], v[20:21] op_sel_hi:[1,0]
	s_waitcnt vmcnt(10)
	v_pk_fma_f32 v[22:23], v[4:5], v[42:43], v[20:21] op_sel:[0,0,1] op_sel_hi:[1,1,0] neg_lo:[0,0,1] neg_hi:[0,0,1]
	v_pk_fma_f32 v[4:5], v[4:5], v[42:43], v[20:21] op_sel:[0,0,1] op_sel_hi:[1,0,0]
	v_mov_b32_e32 v4, v41
	v_mul_f32_e32 v175, v30, v153
	v_mov_b32_e32 v23, v5
	v_pk_mul_f32 v[4:5], v[6:7], v[4:5] op_sel_hi:[1,0]
	v_fmac_f32_e32 v175, v31, v167
	v_mul_f32_e32 v55, v32, v168
	v_mul_f32_e32 v3, v33, v168
	v_pk_fma_f32 v[20:21], v[6:7], v[40:41], v[4:5] op_sel:[0,0,1] op_sel_hi:[1,1,0] neg_lo:[0,0,1] neg_hi:[0,0,1]
	v_pk_fma_f32 v[4:5], v[6:7], v[40:41], v[4:5] op_sel:[0,0,1] op_sel_hi:[1,0,0]
	v_add_f32_e32 v53, v53, v175
	v_fmac_f32_e32 v55, v33, v169
	v_mul_f32_e32 v57, v34, v170
	v_fma_f32 v54, v32, v169, -v3
	v_mul_f32_e32 v3, v35, v170
	v_mov_b32_e32 v4, v39
	v_fmac_f32_e32 v57, v35, v171
	v_fma_f32 v56, v34, v171, -v3
	v_pk_add_f32 v[2:3], v[52:53], v[54:55]
	v_mov_b32_e32 v21, v5
	s_waitcnt lgkmcnt(2)
	v_pk_mul_f32 v[4:5], v[8:9], v[4:5] op_sel_hi:[1,0]
	v_pk_add_f32 v[2:3], v[2:3], v[56:57]
	v_pk_fma_f32 v[6:7], v[8:9], v[38:39], v[4:5] op_sel:[0,0,1] op_sel_hi:[1,1,0] neg_lo:[0,0,1] neg_hi:[0,0,1]
	v_pk_fma_f32 v[4:5], v[8:9], v[38:39], v[4:5] op_sel:[0,0,1] op_sel_hi:[1,0,0]
	v_pk_add_f32 v[2:3], v[2:3], v[22:23]
	s_waitcnt vmcnt(9)
	v_mov_b32_e32 v4, v45
	v_pk_add_f32 v[2:3], v[2:3], v[20:21]
	v_mov_b32_e32 v7, v5
	v_pk_mul_f32 v[4:5], v[10:11], v[4:5] op_sel_hi:[1,0]
	v_pk_add_f32 v[2:3], v[2:3], v[6:7]
	s_waitcnt vmcnt(2)
	v_pk_fma_f32 v[6:7], v[10:11], v[44:45], v[4:5] op_sel:[0,0,1] op_sel_hi:[1,1,0] neg_lo:[0,0,1] neg_hi:[0,0,1]
	v_pk_fma_f32 v[4:5], v[10:11], v[44:45], v[4:5] op_sel:[0,0,1] op_sel_hi:[1,0,0]
	v_mov_b32_e32 v4, v51
	v_mov_b32_e32 v7, v5
	s_waitcnt lgkmcnt(1)
	v_pk_mul_f32 v[4:5], v[12:13], v[4:5] op_sel_hi:[1,0]
	v_pk_add_f32 v[2:3], v[2:3], v[6:7]
	v_pk_fma_f32 v[6:7], v[12:13], v[50:51], v[4:5] op_sel:[0,0,1] op_sel_hi:[1,1,0] neg_lo:[0,0,1] neg_hi:[0,0,1]
	v_pk_fma_f32 v[4:5], v[12:13], v[50:51], v[4:5] op_sel:[0,0,1] op_sel_hi:[1,0,0]
	v_mov_b32_e32 v4, v49
	v_mov_b32_e32 v7, v5
	v_pk_mul_f32 v[4:5], v[14:15], v[4:5] op_sel_hi:[1,0]
	v_pk_add_f32 v[2:3], v[2:3], v[6:7]
	v_pk_fma_f32 v[6:7], v[14:15], v[48:49], v[4:5] op_sel:[0,0,1] op_sel_hi:[1,1,0] neg_lo:[0,0,1] neg_hi:[0,0,1]
	v_pk_fma_f32 v[4:5], v[14:15], v[48:49], v[4:5] op_sel:[0,0,1] op_sel_hi:[1,0,0]
	v_mov_b32_e32 v4, v47
	v_mov_b32_e32 v7, v5
	s_waitcnt lgkmcnt(0)
	v_pk_mul_f32 v[4:5], v[16:17], v[4:5] op_sel_hi:[1,0]
	v_pk_add_f32 v[2:3], v[2:3], v[6:7]
	v_pk_fma_f32 v[6:7], v[16:17], v[46:47], v[4:5] op_sel:[0,0,1] op_sel_hi:[1,1,0] neg_lo:[0,0,1] neg_hi:[0,0,1]
	v_pk_fma_f32 v[4:5], v[16:17], v[46:47], v[4:5] op_sel:[0,0,1] op_sel_hi:[1,0,0]
	s_waitcnt vmcnt(1)
	v_mov_b32_e32 v4, v59
	v_mov_b32_e32 v7, v5
	v_pk_mul_f32 v[4:5], v[18:19], v[4:5] op_sel_hi:[1,0]
	v_pk_add_f32 v[2:3], v[2:3], v[6:7]
	s_waitcnt vmcnt(0)
	v_pk_fma_f32 v[6:7], v[18:19], v[58:59], v[4:5] op_sel:[0,0,1] op_sel_hi:[1,1,0] neg_lo:[0,0,1] neg_hi:[0,0,1]
	v_pk_fma_f32 v[4:5], v[18:19], v[58:59], v[4:5] op_sel:[0,0,1] op_sel_hi:[1,0,0]
	v_mov_b32_e32 v7, v5
	v_pk_add_f32 v[2:3], v[2:3], v[6:7]
	v_pk_add_f32 v[2:3], v[36:37], v[2:3] neg_lo:[0,1] neg_hi:[0,1]
	buffer_store_dword v3, off, s[0:3], 0 offset:140
	buffer_store_dword v2, off, s[0:3], 0 offset:136
	s_and_saveexec_b64 s[4:5], vcc
	s_cbranch_execz .LBB105_233
; %bb.232:
	buffer_load_dword v2, off, s[0:3], 0 offset:128
	buffer_load_dword v3, off, s[0:3], 0 offset:132
	v_mov_b32_e32 v4, 0
	buffer_store_dword v4, off, s[0:3], 0 offset:128
	buffer_store_dword v4, off, s[0:3], 0 offset:132
	s_waitcnt vmcnt(2)
	ds_write_b64 v1, v[2:3]
.LBB105_233:
	s_or_b64 exec, exec, s[4:5]
	s_waitcnt lgkmcnt(0)
	; wave barrier
	s_waitcnt lgkmcnt(0)
	buffer_load_dword v5, off, s[0:3], 0 offset:140
	buffer_load_dword v58, off, s[0:3], 0 offset:148
	;; [unrolled: 1-line block ×36, first 2 shown]
	v_mov_b32_e32 v4, 0
	buffer_load_dword v47, off, s[0:3], 0 offset:284
	buffer_load_dword v46, off, s[0:3], 0 offset:280
	;; [unrolled: 1-line block ×5, first 2 shown]
	ds_read2_b64 v[6:9], v4 offset0:59 offset1:60
	ds_read2_b64 v[10:13], v4 offset0:61 offset1:62
	;; [unrolled: 1-line block ×8, first 2 shown]
	v_cmp_lt_u32_e32 vcc, 15, v0
	s_waitcnt vmcnt(40) lgkmcnt(7)
	v_mul_f32_e32 v38, v6, v5
	s_waitcnt vmcnt(39)
	v_mul_f32_e32 v39, v8, v58
	s_waitcnt vmcnt(38) lgkmcnt(6)
	v_mul_f32_e32 v40, v10, v60
	s_waitcnt vmcnt(37)
	v_mul_f32_e32 v41, v12, v62
	;; [unrolled: 4-line block ×7, first 2 shown]
	s_waitcnt vmcnt(26) lgkmcnt(0)
	v_mul_f32_e32 v59, v34, v162
	s_waitcnt vmcnt(25)
	v_fmac_f32_e32 v38, v7, v163
	s_waitcnt vmcnt(24)
	v_fmac_f32_e32 v39, v9, v164
	v_add_f32_e32 v38, 0, v38
	s_waitcnt vmcnt(23)
	v_fmac_f32_e32 v40, v11, v165
	v_add_f32_e32 v38, v38, v39
	;; [unrolled: 3-line block ×13, first 2 shown]
	v_add_f32_e32 v42, v38, v56
	buffer_load_dword v53, off, s[0:3], 0 offset:316
	buffer_load_dword v52, off, s[0:3], 0 offset:312
	;; [unrolled: 1-line block ×7, first 2 shown]
	s_waitcnt vmcnt(18)
	v_fmac_f32_e32 v59, v35, v177
	ds_read2_b64 v[38:41], v4 offset0:75 offset1:76
	v_add_f32_e32 v59, v42, v59
	ds_read2_b64 v[42:45], v4 offset0:77 offset1:78
	buffer_load_dword v149, off, s[0:3], 0 offset:332
	buffer_load_dword v148, off, s[0:3], 0 offset:328
	;; [unrolled: 1-line block ×4, first 2 shown]
	v_mul_f32_e32 v5, v7, v5
	v_fma_f32 v5, v6, v163, -v5
	v_mul_f32_e32 v6, v9, v58
	v_add_f32_e32 v5, 0, v5
	v_fma_f32 v6, v8, v164, -v6
	v_add_f32_e32 v5, v5, v6
	v_mul_f32_e32 v6, v11, v60
	v_fma_f32 v6, v10, v165, -v6
	v_add_f32_e32 v5, v5, v6
	v_mul_f32_e32 v6, v13, v62
	;; [unrolled: 3-line block ×13, first 2 shown]
	v_fma_f32 v6, v34, v177, -v6
	s_waitcnt vmcnt(13)
	v_mov_b32_e32 v18, v49
	v_mul_f32_e32 v61, v36, v178
	v_add_f32_e32 v58, v5, v6
	v_mul_f32_e32 v5, v37, v178
	s_waitcnt lgkmcnt(1)
	v_pk_mul_f32 v[18:19], v[40:41], v[18:19] op_sel_hi:[1,0]
	v_fmac_f32_e32 v61, v37, v179
	v_mul_f32_e32 v63, v38, v180
	v_fma_f32 v60, v36, v179, -v5
	v_mul_f32_e32 v5, v39, v180
	s_waitcnt vmcnt(12)
	v_pk_fma_f32 v[20:21], v[40:41], v[48:49], v[18:19] op_sel:[0,0,1] op_sel_hi:[1,1,0] neg_lo:[0,0,1] neg_hi:[0,0,1]
	v_pk_fma_f32 v[18:19], v[40:41], v[48:49], v[18:19] op_sel:[0,0,1] op_sel_hi:[1,0,0]
	v_fmac_f32_e32 v63, v39, v181
	v_fma_f32 v62, v38, v181, -v5
	v_pk_add_f32 v[16:17], v[58:59], v[60:61]
	v_mov_b32_e32 v18, v47
	v_pk_add_f32 v[16:17], v[16:17], v[62:63]
	v_mov_b32_e32 v21, v19
	s_waitcnt lgkmcnt(0)
	v_pk_mul_f32 v[18:19], v[42:43], v[18:19] op_sel_hi:[1,0]
	v_pk_add_f32 v[16:17], v[16:17], v[20:21]
	v_pk_fma_f32 v[20:21], v[42:43], v[46:47], v[18:19] op_sel:[0,0,1] op_sel_hi:[1,1,0] neg_lo:[0,0,1] neg_hi:[0,0,1]
	v_pk_fma_f32 v[18:19], v[42:43], v[46:47], v[18:19] op_sel:[0,0,1] op_sel_hi:[1,0,0]
	s_waitcnt vmcnt(11)
	v_mov_b32_e32 v18, v51
	ds_read2_b64 v[6:9], v4 offset0:79 offset1:80
	ds_read2_b64 v[10:13], v4 offset0:81 offset1:82
	ds_read_b64 v[14:15], v4 offset:664
	v_mov_b32_e32 v21, v19
	v_pk_mul_f32 v[18:19], v[44:45], v[18:19] op_sel_hi:[1,0]
	v_pk_add_f32 v[16:17], v[16:17], v[20:21]
	s_waitcnt vmcnt(4)
	v_pk_fma_f32 v[20:21], v[44:45], v[50:51], v[18:19] op_sel:[0,0,1] op_sel_hi:[1,1,0] neg_lo:[0,0,1] neg_hi:[0,0,1]
	v_pk_fma_f32 v[18:19], v[44:45], v[50:51], v[18:19] op_sel:[0,0,1] op_sel_hi:[1,0,0]
	v_mov_b32_e32 v18, v57
	v_mov_b32_e32 v21, v19
	s_waitcnt lgkmcnt(2)
	v_pk_mul_f32 v[18:19], v[6:7], v[18:19] op_sel_hi:[1,0]
	v_pk_add_f32 v[16:17], v[16:17], v[20:21]
	v_pk_fma_f32 v[20:21], v[6:7], v[56:57], v[18:19] op_sel:[0,0,1] op_sel_hi:[1,1,0] neg_lo:[0,0,1] neg_hi:[0,0,1]
	v_pk_fma_f32 v[6:7], v[6:7], v[56:57], v[18:19] op_sel:[0,0,1] op_sel_hi:[1,0,0]
	v_mov_b32_e32 v21, v7
	v_pk_add_f32 v[6:7], v[16:17], v[20:21]
	v_mov_b32_e32 v16, v55
	v_pk_mul_f32 v[16:17], v[8:9], v[16:17] op_sel_hi:[1,0]
	v_pk_fma_f32 v[18:19], v[8:9], v[54:55], v[16:17] op_sel:[0,0,1] op_sel_hi:[1,1,0] neg_lo:[0,0,1] neg_hi:[0,0,1]
	v_pk_fma_f32 v[8:9], v[8:9], v[54:55], v[16:17] op_sel:[0,0,1] op_sel_hi:[1,0,0]
	v_mov_b32_e32 v8, v53
	v_mov_b32_e32 v19, v9
	s_waitcnt lgkmcnt(1)
	v_pk_mul_f32 v[8:9], v[10:11], v[8:9] op_sel_hi:[1,0]
	v_pk_fma_f32 v[16:17], v[10:11], v[52:53], v[8:9] op_sel:[0,0,1] op_sel_hi:[1,1,0] neg_lo:[0,0,1] neg_hi:[0,0,1]
	v_pk_fma_f32 v[8:9], v[10:11], v[52:53], v[8:9] op_sel:[0,0,1] op_sel_hi:[1,0,0]
	s_waitcnt vmcnt(1)
	v_mov_b32_e32 v8, v151
	v_mov_b32_e32 v17, v9
	v_pk_mul_f32 v[8:9], v[12:13], v[8:9] op_sel_hi:[1,0]
	s_waitcnt vmcnt(0)
	v_pk_fma_f32 v[10:11], v[12:13], v[150:151], v[8:9] op_sel:[0,0,1] op_sel_hi:[1,1,0] neg_lo:[0,0,1] neg_hi:[0,0,1]
	v_pk_fma_f32 v[8:9], v[12:13], v[150:151], v[8:9] op_sel:[0,0,1] op_sel_hi:[1,0,0]
	v_pk_add_f32 v[6:7], v[6:7], v[18:19]
	v_mov_b32_e32 v8, v149
	v_pk_add_f32 v[6:7], v[6:7], v[16:17]
	v_mov_b32_e32 v11, v9
	s_waitcnt lgkmcnt(0)
	v_pk_mul_f32 v[8:9], v[14:15], v[8:9] op_sel_hi:[1,0]
	v_pk_add_f32 v[6:7], v[6:7], v[10:11]
	v_pk_fma_f32 v[10:11], v[14:15], v[148:149], v[8:9] op_sel:[0,0,1] op_sel_hi:[1,1,0] neg_lo:[0,0,1] neg_hi:[0,0,1]
	v_pk_fma_f32 v[8:9], v[14:15], v[148:149], v[8:9] op_sel:[0,0,1] op_sel_hi:[1,0,0]
	v_mov_b32_e32 v11, v9
	v_pk_add_f32 v[6:7], v[6:7], v[10:11]
	v_pk_add_f32 v[2:3], v[2:3], v[6:7] neg_lo:[0,1] neg_hi:[0,1]
	buffer_store_dword v3, off, s[0:3], 0 offset:132
	buffer_store_dword v2, off, s[0:3], 0 offset:128
	s_and_saveexec_b64 s[4:5], vcc
	s_cbranch_execz .LBB105_235
; %bb.234:
	buffer_load_dword v2, off, s[0:3], 0 offset:120
	buffer_load_dword v3, off, s[0:3], 0 offset:124
	s_waitcnt vmcnt(0)
	ds_write_b64 v1, v[2:3]
	buffer_store_dword v4, off, s[0:3], 0 offset:120
	buffer_store_dword v4, off, s[0:3], 0 offset:124
.LBB105_235:
	s_or_b64 exec, exec, s[4:5]
	s_waitcnt lgkmcnt(0)
	; wave barrier
	s_waitcnt lgkmcnt(0)
	buffer_load_dword v2, off, s[0:3], 0 offset:132
	buffer_load_dword v3, off, s[0:3], 0 offset:140
	;; [unrolled: 1-line block ×38, first 2 shown]
	ds_read_b128 v[6:9], v4 offset:464
	ds_read_b128 v[10:13], v4 offset:480
	;; [unrolled: 1-line block ×8, first 2 shown]
	buffer_load_dword v49, off, s[0:3], 0 offset:276
	buffer_load_dword v48, off, s[0:3], 0 offset:272
	;; [unrolled: 1-line block ×4, first 2 shown]
	v_cmp_lt_u32_e32 vcc, 14, v0
	s_waitcnt vmcnt(41) lgkmcnt(7)
	v_mul_f32_e32 v38, v6, v2
	s_waitcnt vmcnt(40)
	v_mul_f32_e32 v39, v8, v3
	s_waitcnt vmcnt(39) lgkmcnt(6)
	v_mul_f32_e32 v40, v10, v5
	s_waitcnt vmcnt(38)
	v_mul_f32_e32 v41, v12, v58
	;; [unrolled: 4-line block ×7, first 2 shown]
	s_waitcnt vmcnt(27) lgkmcnt(0)
	v_mul_f32_e32 v59, v34, v162
	s_waitcnt vmcnt(26)
	v_fmac_f32_e32 v38, v7, v163
	s_waitcnt vmcnt(25)
	v_fmac_f32_e32 v39, v9, v164
	v_add_f32_e32 v38, 0, v38
	s_waitcnt vmcnt(24)
	v_fmac_f32_e32 v40, v11, v165
	v_add_f32_e32 v38, v38, v39
	s_waitcnt vmcnt(23)
	v_fmac_f32_e32 v41, v13, v166
	v_add_f32_e32 v38, v38, v40
	s_waitcnt vmcnt(22)
	v_fmac_f32_e32 v42, v15, v167
	v_add_f32_e32 v38, v38, v41
	s_waitcnt vmcnt(21)
	v_fmac_f32_e32 v43, v17, v168
	v_add_f32_e32 v38, v38, v42
	s_waitcnt vmcnt(20)
	v_fmac_f32_e32 v44, v19, v169
	v_add_f32_e32 v38, v38, v43
	s_waitcnt vmcnt(19)
	v_fmac_f32_e32 v45, v21, v170
	v_add_f32_e32 v38, v38, v44
	s_waitcnt vmcnt(18)
	v_fmac_f32_e32 v52, v23, v171
	v_add_f32_e32 v38, v38, v45
	s_waitcnt vmcnt(17)
	v_fmac_f32_e32 v53, v25, v172
	v_add_f32_e32 v38, v38, v52
	s_waitcnt vmcnt(16)
	v_fmac_f32_e32 v54, v27, v173
	v_add_f32_e32 v38, v38, v53
	s_waitcnt vmcnt(15)
	v_fmac_f32_e32 v55, v29, v174
	v_add_f32_e32 v38, v38, v54
	s_waitcnt vmcnt(14)
	v_fmac_f32_e32 v56, v31, v175
	v_add_f32_e32 v38, v38, v55
	s_waitcnt vmcnt(13)
	v_fmac_f32_e32 v57, v33, v176
	v_add_f32_e32 v38, v38, v56
	v_add_f32_e32 v38, v38, v57
	buffer_load_dword v53, off, s[0:3], 0 offset:300
	buffer_load_dword v52, off, s[0:3], 0 offset:296
	;; [unrolled: 1-line block ×6, first 2 shown]
	s_waitcnt vmcnt(18)
	v_fmac_f32_e32 v59, v35, v177
	s_waitcnt vmcnt(17)
	v_mul_f32_e32 v43, v36, v178
	v_add_f32_e32 v42, v38, v59
	s_waitcnt vmcnt(16)
	v_fmac_f32_e32 v43, v37, v179
	ds_read_b128 v[38:41], v4 offset:592
	v_add_f32_e32 v59, v42, v43
	ds_read_b128 v[42:45], v4 offset:608
	buffer_load_dword v149, off, s[0:3], 0 offset:332
	buffer_load_dword v148, off, s[0:3], 0 offset:328
	;; [unrolled: 1-line block ×6, first 2 shown]
	v_mul_f32_e32 v2, v7, v2
	v_fma_f32 v2, v6, v163, -v2
	v_mul_f32_e32 v3, v9, v3
	v_add_f32_e32 v2, 0, v2
	v_fma_f32 v3, v8, v164, -v3
	v_add_f32_e32 v2, v2, v3
	v_mul_f32_e32 v3, v11, v5
	v_fma_f32 v3, v10, v165, -v3
	v_add_f32_e32 v2, v2, v3
	v_mul_f32_e32 v3, v13, v58
	;; [unrolled: 3-line block ×14, first 2 shown]
	v_fma_f32 v3, v36, v179, -v3
	s_waitcnt vmcnt(15)
	v_mov_b32_e32 v16, v49
	s_waitcnt lgkmcnt(1)
	v_mul_f32_e32 v61, v38, v180
	v_add_f32_e32 v58, v2, v3
	v_mul_f32_e32 v2, v39, v180
	s_waitcnt lgkmcnt(0)
	v_pk_mul_f32 v[16:17], v[42:43], v[16:17] op_sel_hi:[1,0]
	v_fmac_f32_e32 v61, v39, v181
	v_mul_f32_e32 v63, v40, v182
	v_fma_f32 v60, v38, v181, -v2
	v_mul_f32_e32 v2, v41, v182
	s_waitcnt vmcnt(14)
	v_pk_fma_f32 v[18:19], v[42:43], v[48:49], v[16:17] op_sel:[0,0,1] op_sel_hi:[1,1,0] neg_lo:[0,0,1] neg_hi:[0,0,1]
	v_pk_fma_f32 v[16:17], v[42:43], v[48:49], v[16:17] op_sel:[0,0,1] op_sel_hi:[1,0,0]
	v_fmac_f32_e32 v63, v41, v183
	v_fma_f32 v62, v40, v183, -v2
	v_pk_add_f32 v[14:15], v[58:59], v[60:61]
	ds_read_b128 v[6:9], v4 offset:624
	ds_read_b128 v[10:13], v4 offset:640
	;; [unrolled: 1-line block ×3, first 2 shown]
	v_pk_add_f32 v[14:15], v[14:15], v[62:63]
	v_mov_b32_e32 v19, v17
	v_pk_add_f32 v[14:15], v[14:15], v[18:19]
	s_waitcnt vmcnt(7)
	v_mov_b32_e32 v16, v57
	v_pk_mul_f32 v[16:17], v[44:45], v[16:17] op_sel_hi:[1,0]
	s_waitcnt vmcnt(6)
	v_pk_fma_f32 v[18:19], v[44:45], v[56:57], v[16:17] op_sel:[0,0,1] op_sel_hi:[1,1,0] neg_lo:[0,0,1] neg_hi:[0,0,1]
	v_pk_fma_f32 v[16:17], v[44:45], v[56:57], v[16:17] op_sel:[0,0,1] op_sel_hi:[1,0,0]
	v_mov_b32_e32 v16, v55
	v_mov_b32_e32 v19, v17
	s_waitcnt lgkmcnt(2)
	v_pk_mul_f32 v[16:17], v[6:7], v[16:17] op_sel_hi:[1,0]
	v_pk_add_f32 v[14:15], v[14:15], v[18:19]
	v_pk_fma_f32 v[18:19], v[6:7], v[54:55], v[16:17] op_sel:[0,0,1] op_sel_hi:[1,1,0] neg_lo:[0,0,1] neg_hi:[0,0,1]
	v_pk_fma_f32 v[6:7], v[6:7], v[54:55], v[16:17] op_sel:[0,0,1] op_sel_hi:[1,0,0]
	v_mov_b32_e32 v19, v7
	v_pk_add_f32 v[6:7], v[14:15], v[18:19]
	v_mov_b32_e32 v14, v53
	v_pk_mul_f32 v[14:15], v[8:9], v[14:15] op_sel_hi:[1,0]
	v_pk_fma_f32 v[16:17], v[8:9], v[52:53], v[14:15] op_sel:[0,0,1] op_sel_hi:[1,1,0] neg_lo:[0,0,1] neg_hi:[0,0,1]
	v_pk_fma_f32 v[8:9], v[8:9], v[52:53], v[14:15] op_sel:[0,0,1] op_sel_hi:[1,0,0]
	v_mov_b32_e32 v8, v51
	v_mov_b32_e32 v17, v9
	s_waitcnt lgkmcnt(1)
	v_pk_mul_f32 v[8:9], v[10:11], v[8:9] op_sel_hi:[1,0]
	v_pk_fma_f32 v[14:15], v[10:11], v[50:51], v[8:9] op_sel:[0,0,1] op_sel_hi:[1,1,0] neg_lo:[0,0,1] neg_hi:[0,0,1]
	v_pk_fma_f32 v[8:9], v[10:11], v[50:51], v[8:9] op_sel:[0,0,1] op_sel_hi:[1,0,0]
	s_waitcnt vmcnt(1)
	v_mov_b32_e32 v8, v153
	v_mov_b32_e32 v15, v9
	v_pk_mul_f32 v[8:9], v[12:13], v[8:9] op_sel_hi:[1,0]
	s_waitcnt vmcnt(0)
	v_pk_fma_f32 v[10:11], v[12:13], v[152:153], v[8:9] op_sel:[0,0,1] op_sel_hi:[1,1,0] neg_lo:[0,0,1] neg_hi:[0,0,1]
	v_pk_fma_f32 v[8:9], v[12:13], v[152:153], v[8:9] op_sel:[0,0,1] op_sel_hi:[1,0,0]
	v_pk_add_f32 v[6:7], v[6:7], v[16:17]
	v_mov_b32_e32 v8, v151
	v_pk_add_f32 v[6:7], v[6:7], v[14:15]
	v_mov_b32_e32 v11, v9
	s_waitcnt lgkmcnt(0)
	v_pk_mul_f32 v[8:9], v[2:3], v[8:9] op_sel_hi:[1,0]
	v_pk_add_f32 v[6:7], v[6:7], v[10:11]
	v_pk_fma_f32 v[10:11], v[2:3], v[150:151], v[8:9] op_sel:[0,0,1] op_sel_hi:[1,1,0] neg_lo:[0,0,1] neg_hi:[0,0,1]
	v_pk_fma_f32 v[2:3], v[2:3], v[150:151], v[8:9] op_sel:[0,0,1] op_sel_hi:[1,0,0]
	v_mov_b32_e32 v11, v3
	v_pk_add_f32 v[2:3], v[6:7], v[10:11]
	v_mov_b32_e32 v6, v149
	v_pk_mul_f32 v[6:7], v[4:5], v[6:7] op_sel_hi:[1,0]
	v_pk_fma_f32 v[8:9], v[4:5], v[148:149], v[6:7] op_sel:[0,0,1] op_sel_hi:[1,1,0] neg_lo:[0,0,1] neg_hi:[0,0,1]
	v_pk_fma_f32 v[4:5], v[4:5], v[148:149], v[6:7] op_sel:[0,0,1] op_sel_hi:[1,0,0]
	v_mov_b32_e32 v9, v5
	v_pk_add_f32 v[2:3], v[2:3], v[8:9]
	v_pk_add_f32 v[2:3], v[46:47], v[2:3] neg_lo:[0,1] neg_hi:[0,1]
	buffer_store_dword v3, off, s[0:3], 0 offset:124
	buffer_store_dword v2, off, s[0:3], 0 offset:120
	s_and_saveexec_b64 s[4:5], vcc
	s_cbranch_execz .LBB105_237
; %bb.236:
	buffer_load_dword v2, off, s[0:3], 0 offset:112
	buffer_load_dword v3, off, s[0:3], 0 offset:116
	v_mov_b32_e32 v4, 0
	buffer_store_dword v4, off, s[0:3], 0 offset:112
	buffer_store_dword v4, off, s[0:3], 0 offset:116
	s_waitcnt vmcnt(2)
	ds_write_b64 v1, v[2:3]
.LBB105_237:
	s_or_b64 exec, exec, s[4:5]
	s_waitcnt lgkmcnt(0)
	; wave barrier
	s_waitcnt lgkmcnt(0)
	buffer_load_dword v5, off, s[0:3], 0 offset:124
	buffer_load_dword v54, off, s[0:3], 0 offset:132
	;; [unrolled: 1-line block ×40, first 2 shown]
	v_mov_b32_e32 v4, 0
	ds_read2_b64 v[6:9], v4 offset0:57 offset1:58
	ds_read2_b64 v[10:13], v4 offset0:59 offset1:60
	;; [unrolled: 1-line block ×8, first 2 shown]
	v_cmp_lt_u32_e32 vcc, 13, v0
	s_waitcnt vmcnt(39) lgkmcnt(7)
	v_mul_f32_e32 v38, v6, v5
	s_waitcnt vmcnt(38)
	v_mul_f32_e32 v39, v8, v54
	s_waitcnt vmcnt(37) lgkmcnt(6)
	v_mul_f32_e32 v40, v10, v56
	s_waitcnt vmcnt(36)
	v_mul_f32_e32 v41, v12, v58
	;; [unrolled: 4-line block ×8, first 2 shown]
	s_waitcnt vmcnt(23)
	v_fmac_f32_e32 v38, v7, v164
	s_waitcnt vmcnt(22)
	v_fmac_f32_e32 v39, v9, v165
	v_add_f32_e32 v38, 0, v38
	s_waitcnt vmcnt(21)
	v_fmac_f32_e32 v40, v11, v166
	v_add_f32_e32 v38, v38, v39
	;; [unrolled: 3-line block ×14, first 2 shown]
	v_add_f32_e32 v38, v38, v52
	s_waitcnt vmcnt(8)
	v_fmac_f32_e32 v53, v37, v179
	v_add_f32_e32 v55, v38, v53
	ds_read2_b64 v[38:41], v4 offset0:73 offset1:74
	buffer_load_dword v47, off, s[0:3], 0 offset:276
	buffer_load_dword v49, off, s[0:3], 0 offset:300
	buffer_load_dword v48, off, s[0:3], 0 offset:296
	buffer_load_dword v51, off, s[0:3], 0 offset:292
	buffer_load_dword v50, off, s[0:3], 0 offset:288
	buffer_load_dword v53, off, s[0:3], 0 offset:284
	buffer_load_dword v52, off, s[0:3], 0 offset:280
	buffer_load_dword v46, off, s[0:3], 0 offset:272
	ds_read2_b64 v[42:45], v4 offset0:75 offset1:76
	buffer_load_dword v61, off, s[0:3], 0 offset:332
	buffer_load_dword v60, off, s[0:3], 0 offset:328
	buffer_load_dword v63, off, s[0:3], 0 offset:324
	buffer_load_dword v62, off, s[0:3], 0 offset:320
	buffer_load_dword v149, off, s[0:3], 0 offset:316
	buffer_load_dword v148, off, s[0:3], 0 offset:312
	buffer_load_dword v151, off, s[0:3], 0 offset:308
	buffer_load_dword v150, off, s[0:3], 0 offset:304
	v_mul_f32_e32 v5, v7, v5
	v_fma_f32 v5, v6, v164, -v5
	v_mul_f32_e32 v6, v9, v54
	v_add_f32_e32 v5, 0, v5
	v_fma_f32 v6, v8, v165, -v6
	v_add_f32_e32 v5, v5, v6
	v_mul_f32_e32 v6, v11, v56
	v_fma_f32 v6, v10, v166, -v6
	v_add_f32_e32 v5, v5, v6
	v_mul_f32_e32 v6, v13, v58
	;; [unrolled: 3-line block ×14, first 2 shown]
	v_fma_f32 v6, v36, v179, -v6
	s_waitcnt vmcnt(23) lgkmcnt(1)
	v_mul_f32_e32 v57, v38, v180
	v_add_f32_e32 v5, v5, v6
	v_mul_f32_e32 v6, v39, v180
	s_waitcnt vmcnt(22)
	v_fmac_f32_e32 v57, v39, v181
	v_fma_f32 v6, v38, v181, -v6
	v_add_f32_e32 v55, v55, v57
	s_waitcnt vmcnt(21)
	v_mul_f32_e32 v57, v40, v182
	v_add_f32_e32 v54, v5, v6
	v_mul_f32_e32 v5, v41, v182
	s_waitcnt vmcnt(20)
	v_fmac_f32_e32 v57, v41, v183
	s_waitcnt vmcnt(19) lgkmcnt(0)
	v_mul_f32_e32 v59, v42, v184
	v_fma_f32 v56, v40, v183, -v5
	v_mul_f32_e32 v5, v43, v184
	ds_read2_b64 v[6:9], v4 offset0:77 offset1:78
	ds_read2_b64 v[10:13], v4 offset0:79 offset1:80
	;; [unrolled: 1-line block ×3, first 2 shown]
	ds_read_b64 v[18:19], v4 offset:664
	s_waitcnt vmcnt(18)
	v_fmac_f32_e32 v59, v43, v185
	v_fma_f32 v58, v42, v185, -v5
	v_pk_add_f32 v[20:21], v[54:55], v[56:57]
	v_pk_add_f32 v[20:21], v[20:21], v[58:59]
	s_waitcnt vmcnt(15)
	v_mov_b32_e32 v22, v47
	v_pk_mul_f32 v[22:23], v[44:45], v[22:23] op_sel_hi:[1,0]
	s_waitcnt vmcnt(8)
	v_pk_fma_f32 v[24:25], v[44:45], v[46:47], v[22:23] op_sel:[0,0,1] op_sel_hi:[1,1,0] neg_lo:[0,0,1] neg_hi:[0,0,1]
	v_pk_fma_f32 v[22:23], v[44:45], v[46:47], v[22:23] op_sel:[0,0,1] op_sel_hi:[1,0,0]
	v_mov_b32_e32 v22, v53
	v_mov_b32_e32 v25, v23
	s_waitcnt lgkmcnt(3)
	v_pk_mul_f32 v[22:23], v[6:7], v[22:23] op_sel_hi:[1,0]
	v_pk_add_f32 v[20:21], v[20:21], v[24:25]
	v_pk_fma_f32 v[24:25], v[6:7], v[52:53], v[22:23] op_sel:[0,0,1] op_sel_hi:[1,1,0] neg_lo:[0,0,1] neg_hi:[0,0,1]
	v_pk_fma_f32 v[6:7], v[6:7], v[52:53], v[22:23] op_sel:[0,0,1] op_sel_hi:[1,0,0]
	v_mov_b32_e32 v25, v7
	v_pk_add_f32 v[6:7], v[20:21], v[24:25]
	v_mov_b32_e32 v20, v51
	v_pk_mul_f32 v[20:21], v[8:9], v[20:21] op_sel_hi:[1,0]
	v_pk_fma_f32 v[22:23], v[8:9], v[50:51], v[20:21] op_sel:[0,0,1] op_sel_hi:[1,1,0] neg_lo:[0,0,1] neg_hi:[0,0,1]
	v_pk_fma_f32 v[8:9], v[8:9], v[50:51], v[20:21] op_sel:[0,0,1] op_sel_hi:[1,0,0]
	v_mov_b32_e32 v8, v49
	v_mov_b32_e32 v23, v9
	s_waitcnt lgkmcnt(2)
	v_pk_mul_f32 v[8:9], v[10:11], v[8:9] op_sel_hi:[1,0]
	v_pk_fma_f32 v[20:21], v[10:11], v[48:49], v[8:9] op_sel:[0,0,1] op_sel_hi:[1,1,0] neg_lo:[0,0,1] neg_hi:[0,0,1]
	v_pk_fma_f32 v[8:9], v[10:11], v[48:49], v[8:9] op_sel:[0,0,1] op_sel_hi:[1,0,0]
	s_waitcnt vmcnt(1)
	v_mov_b32_e32 v8, v151
	v_mov_b32_e32 v21, v9
	v_pk_mul_f32 v[8:9], v[12:13], v[8:9] op_sel_hi:[1,0]
	s_waitcnt vmcnt(0)
	v_pk_fma_f32 v[10:11], v[12:13], v[150:151], v[8:9] op_sel:[0,0,1] op_sel_hi:[1,1,0] neg_lo:[0,0,1] neg_hi:[0,0,1]
	v_pk_fma_f32 v[8:9], v[12:13], v[150:151], v[8:9] op_sel:[0,0,1] op_sel_hi:[1,0,0]
	v_pk_add_f32 v[6:7], v[6:7], v[22:23]
	v_mov_b32_e32 v8, v149
	v_pk_add_f32 v[6:7], v[6:7], v[20:21]
	v_mov_b32_e32 v11, v9
	s_waitcnt lgkmcnt(1)
	v_pk_mul_f32 v[8:9], v[14:15], v[8:9] op_sel_hi:[1,0]
	v_pk_add_f32 v[6:7], v[6:7], v[10:11]
	v_pk_fma_f32 v[10:11], v[14:15], v[148:149], v[8:9] op_sel:[0,0,1] op_sel_hi:[1,1,0] neg_lo:[0,0,1] neg_hi:[0,0,1]
	v_pk_fma_f32 v[8:9], v[14:15], v[148:149], v[8:9] op_sel:[0,0,1] op_sel_hi:[1,0,0]
	v_mov_b32_e32 v8, v63
	v_mov_b32_e32 v11, v9
	v_pk_mul_f32 v[8:9], v[16:17], v[8:9] op_sel_hi:[1,0]
	v_pk_add_f32 v[6:7], v[6:7], v[10:11]
	v_pk_fma_f32 v[10:11], v[16:17], v[62:63], v[8:9] op_sel:[0,0,1] op_sel_hi:[1,1,0] neg_lo:[0,0,1] neg_hi:[0,0,1]
	v_pk_fma_f32 v[8:9], v[16:17], v[62:63], v[8:9] op_sel:[0,0,1] op_sel_hi:[1,0,0]
	v_mov_b32_e32 v8, v61
	v_mov_b32_e32 v11, v9
	s_waitcnt lgkmcnt(0)
	v_pk_mul_f32 v[8:9], v[18:19], v[8:9] op_sel_hi:[1,0]
	v_pk_add_f32 v[6:7], v[6:7], v[10:11]
	v_pk_fma_f32 v[10:11], v[18:19], v[60:61], v[8:9] op_sel:[0,0,1] op_sel_hi:[1,1,0] neg_lo:[0,0,1] neg_hi:[0,0,1]
	v_pk_fma_f32 v[8:9], v[18:19], v[60:61], v[8:9] op_sel:[0,0,1] op_sel_hi:[1,0,0]
	v_mov_b32_e32 v11, v9
	v_pk_add_f32 v[6:7], v[6:7], v[10:11]
	v_pk_add_f32 v[2:3], v[2:3], v[6:7] neg_lo:[0,1] neg_hi:[0,1]
	buffer_store_dword v3, off, s[0:3], 0 offset:116
	buffer_store_dword v2, off, s[0:3], 0 offset:112
	s_and_saveexec_b64 s[4:5], vcc
	s_cbranch_execz .LBB105_239
; %bb.238:
	buffer_load_dword v2, off, s[0:3], 0 offset:104
	buffer_load_dword v3, off, s[0:3], 0 offset:108
	s_waitcnt vmcnt(0)
	ds_write_b64 v1, v[2:3]
	buffer_store_dword v4, off, s[0:3], 0 offset:104
	buffer_store_dword v4, off, s[0:3], 0 offset:108
.LBB105_239:
	s_or_b64 exec, exec, s[4:5]
	s_waitcnt lgkmcnt(0)
	; wave barrier
	s_waitcnt lgkmcnt(0)
	buffer_load_dword v5, off, s[0:3], 0 offset:116
	buffer_load_dword v46, off, s[0:3], 0 offset:124
	;; [unrolled: 1-line block ×42, first 2 shown]
	ds_read_b128 v[6:9], v4 offset:448
	ds_read_b128 v[10:13], v4 offset:464
	;; [unrolled: 1-line block ×8, first 2 shown]
	v_cmp_lt_u32_e32 vcc, 12, v0
	s_waitcnt vmcnt(41) lgkmcnt(7)
	v_mul_f32_e32 v38, v6, v5
	s_waitcnt vmcnt(40)
	v_mul_f32_e32 v39, v8, v46
	s_waitcnt vmcnt(39) lgkmcnt(6)
	v_mul_f32_e32 v40, v10, v48
	s_waitcnt vmcnt(38)
	v_mul_f32_e32 v41, v12, v56
	;; [unrolled: 4-line block ×7, first 2 shown]
	s_waitcnt vmcnt(27) lgkmcnt(0)
	v_mul_f32_e32 v54, v34, v162
	s_waitcnt vmcnt(26)
	v_fmac_f32_e32 v38, v7, v163
	s_waitcnt vmcnt(25)
	v_fmac_f32_e32 v39, v9, v164
	v_add_f32_e32 v38, 0, v38
	s_waitcnt vmcnt(24)
	v_fmac_f32_e32 v40, v11, v165
	v_add_f32_e32 v38, v38, v39
	;; [unrolled: 3-line block ×14, first 2 shown]
	s_waitcnt vmcnt(11)
	v_mul_f32_e32 v43, v36, v178
	v_add_f32_e32 v42, v38, v54
	s_waitcnt vmcnt(10)
	v_fmac_f32_e32 v43, v37, v179
	ds_read_b128 v[38:41], v4 offset:576
	v_add_f32_e32 v47, v42, v43
	ds_read_b128 v[42:45], v4 offset:592
	buffer_load_dword v51, off, s[0:3], 0 offset:276
	buffer_load_dword v53, off, s[0:3], 0 offset:292
	buffer_load_dword v52, off, s[0:3], 0 offset:288
	buffer_load_dword v55, off, s[0:3], 0 offset:284
	buffer_load_dword v54, off, s[0:3], 0 offset:280
	buffer_load_dword v50, off, s[0:3], 0 offset:272
	buffer_load_dword v59, off, s[0:3], 0 offset:324
	buffer_load_dword v58, off, s[0:3], 0 offset:320
	buffer_load_dword v61, off, s[0:3], 0 offset:316
	buffer_load_dword v60, off, s[0:3], 0 offset:312
	buffer_load_dword v63, off, s[0:3], 0 offset:308
	buffer_load_dword v62, off, s[0:3], 0 offset:304
	buffer_load_dword v149, off, s[0:3], 0 offset:300
	buffer_load_dword v148, off, s[0:3], 0 offset:296
	buffer_load_dword v151, off, s[0:3], 0 offset:332
	buffer_load_dword v150, off, s[0:3], 0 offset:328
	v_mul_f32_e32 v5, v7, v5
	v_fma_f32 v5, v6, v163, -v5
	v_mul_f32_e32 v6, v9, v46
	v_add_f32_e32 v5, 0, v5
	v_fma_f32 v6, v8, v164, -v6
	v_add_f32_e32 v5, v5, v6
	v_mul_f32_e32 v6, v11, v48
	v_fma_f32 v6, v10, v165, -v6
	v_add_f32_e32 v5, v5, v6
	v_mul_f32_e32 v6, v13, v56
	v_fma_f32 v6, v12, v166, -v6
	v_add_f32_e32 v5, v5, v6
	v_mul_f32_e32 v6, v15, v152
	v_fma_f32 v6, v14, v167, -v6
	v_add_f32_e32 v5, v5, v6
	v_mul_f32_e32 v6, v17, v153
	v_fma_f32 v6, v16, v168, -v6
	v_add_f32_e32 v5, v5, v6
	v_mul_f32_e32 v6, v19, v154
	v_fma_f32 v6, v18, v169, -v6
	v_add_f32_e32 v5, v5, v6
	v_mul_f32_e32 v6, v21, v155
	v_fma_f32 v6, v20, v170, -v6
	v_add_f32_e32 v5, v5, v6
	v_mul_f32_e32 v6, v23, v156
	v_fma_f32 v6, v22, v171, -v6
	v_add_f32_e32 v5, v5, v6
	v_mul_f32_e32 v6, v25, v157
	v_fma_f32 v6, v24, v172, -v6
	v_add_f32_e32 v5, v5, v6
	v_mul_f32_e32 v6, v27, v158
	v_fma_f32 v6, v26, v173, -v6
	v_add_f32_e32 v5, v5, v6
	v_mul_f32_e32 v6, v29, v159
	v_fma_f32 v6, v28, v174, -v6
	v_add_f32_e32 v5, v5, v6
	v_mul_f32_e32 v6, v31, v160
	v_fma_f32 v6, v30, v175, -v6
	v_add_f32_e32 v5, v5, v6
	v_mul_f32_e32 v6, v33, v161
	v_fma_f32 v6, v32, v176, -v6
	v_add_f32_e32 v5, v5, v6
	v_mul_f32_e32 v6, v35, v162
	v_fma_f32 v6, v34, v177, -v6
	v_add_f32_e32 v5, v5, v6
	v_mul_f32_e32 v6, v37, v178
	v_fma_f32 v6, v36, v179, -v6
	v_add_f32_e32 v5, v5, v6
	s_waitcnt vmcnt(25) lgkmcnt(1)
	v_mul_f32_e32 v6, v39, v180
	s_waitcnt vmcnt(24)
	v_fma_f32 v6, v38, v181, -v6
	v_add_f32_e32 v5, v5, v6
	s_waitcnt vmcnt(23)
	v_mul_f32_e32 v6, v41, v182
	s_waitcnt vmcnt(22)
	v_fma_f32 v6, v40, v183, -v6
	v_add_f32_e32 v46, v5, v6
	ds_read_b128 v[6:9], v4 offset:608
	ds_read_b128 v[10:13], v4 offset:624
	;; [unrolled: 1-line block ×4, first 2 shown]
	v_mul_f32_e32 v49, v38, v180
	v_fmac_f32_e32 v49, v39, v181
	v_add_f32_e32 v47, v47, v49
	v_mul_f32_e32 v49, v40, v182
	v_fmac_f32_e32 v49, v41, v183
	v_add_f32_e32 v47, v47, v49
	s_waitcnt vmcnt(21) lgkmcnt(4)
	v_mul_f32_e32 v49, v42, v184
	v_mul_f32_e32 v5, v43, v184
	s_waitcnt vmcnt(20)
	v_fmac_f32_e32 v49, v43, v185
	s_waitcnt vmcnt(19)
	v_mul_f32_e32 v57, v44, v186
	v_fma_f32 v48, v42, v185, -v5
	v_mul_f32_e32 v5, v45, v186
	s_waitcnt vmcnt(18)
	v_fmac_f32_e32 v57, v45, v187
	v_fma_f32 v56, v44, v187, -v5
	v_pk_add_f32 v[4:5], v[46:47], v[48:49]
	v_pk_add_f32 v[4:5], v[4:5], v[56:57]
	s_waitcnt vmcnt(15)
	v_mov_b32_e32 v22, v51
	s_waitcnt lgkmcnt(3)
	v_pk_mul_f32 v[22:23], v[6:7], v[22:23] op_sel_hi:[1,0]
	s_waitcnt vmcnt(10)
	v_pk_fma_f32 v[24:25], v[6:7], v[50:51], v[22:23] op_sel:[0,0,1] op_sel_hi:[1,1,0] neg_lo:[0,0,1] neg_hi:[0,0,1]
	v_pk_fma_f32 v[6:7], v[6:7], v[50:51], v[22:23] op_sel:[0,0,1] op_sel_hi:[1,0,0]
	v_mov_b32_e32 v6, v55
	v_mov_b32_e32 v25, v7
	v_pk_mul_f32 v[6:7], v[8:9], v[6:7] op_sel_hi:[1,0]
	v_pk_fma_f32 v[22:23], v[8:9], v[54:55], v[6:7] op_sel:[0,0,1] op_sel_hi:[1,1,0] neg_lo:[0,0,1] neg_hi:[0,0,1]
	v_pk_fma_f32 v[6:7], v[8:9], v[54:55], v[6:7] op_sel:[0,0,1] op_sel_hi:[1,0,0]
	v_mov_b32_e32 v6, v53
	v_mov_b32_e32 v23, v7
	s_waitcnt lgkmcnt(2)
	v_pk_mul_f32 v[6:7], v[10:11], v[6:7] op_sel_hi:[1,0]
	v_pk_fma_f32 v[8:9], v[10:11], v[52:53], v[6:7] op_sel:[0,0,1] op_sel_hi:[1,1,0] neg_lo:[0,0,1] neg_hi:[0,0,1]
	v_pk_fma_f32 v[6:7], v[10:11], v[52:53], v[6:7] op_sel:[0,0,1] op_sel_hi:[1,0,0]
	v_pk_add_f32 v[4:5], v[4:5], v[24:25]
	s_waitcnt vmcnt(3)
	v_mov_b32_e32 v6, v149
	v_pk_add_f32 v[4:5], v[4:5], v[22:23]
	v_mov_b32_e32 v9, v7
	v_pk_mul_f32 v[6:7], v[12:13], v[6:7] op_sel_hi:[1,0]
	v_pk_add_f32 v[4:5], v[4:5], v[8:9]
	s_waitcnt vmcnt(2)
	v_pk_fma_f32 v[8:9], v[12:13], v[148:149], v[6:7] op_sel:[0,0,1] op_sel_hi:[1,1,0] neg_lo:[0,0,1] neg_hi:[0,0,1]
	v_pk_fma_f32 v[6:7], v[12:13], v[148:149], v[6:7] op_sel:[0,0,1] op_sel_hi:[1,0,0]
	v_mov_b32_e32 v6, v63
	v_mov_b32_e32 v9, v7
	s_waitcnt lgkmcnt(1)
	v_pk_mul_f32 v[6:7], v[14:15], v[6:7] op_sel_hi:[1,0]
	v_pk_add_f32 v[4:5], v[4:5], v[8:9]
	v_pk_fma_f32 v[8:9], v[14:15], v[62:63], v[6:7] op_sel:[0,0,1] op_sel_hi:[1,1,0] neg_lo:[0,0,1] neg_hi:[0,0,1]
	v_pk_fma_f32 v[6:7], v[14:15], v[62:63], v[6:7] op_sel:[0,0,1] op_sel_hi:[1,0,0]
	v_mov_b32_e32 v6, v61
	v_mov_b32_e32 v9, v7
	v_pk_mul_f32 v[6:7], v[16:17], v[6:7] op_sel_hi:[1,0]
	v_pk_add_f32 v[4:5], v[4:5], v[8:9]
	v_pk_fma_f32 v[8:9], v[16:17], v[60:61], v[6:7] op_sel:[0,0,1] op_sel_hi:[1,1,0] neg_lo:[0,0,1] neg_hi:[0,0,1]
	v_pk_fma_f32 v[6:7], v[16:17], v[60:61], v[6:7] op_sel:[0,0,1] op_sel_hi:[1,0,0]
	v_mov_b32_e32 v6, v59
	v_mov_b32_e32 v9, v7
	s_waitcnt lgkmcnt(0)
	v_pk_mul_f32 v[6:7], v[18:19], v[6:7] op_sel_hi:[1,0]
	v_pk_add_f32 v[4:5], v[4:5], v[8:9]
	v_pk_fma_f32 v[8:9], v[18:19], v[58:59], v[6:7] op_sel:[0,0,1] op_sel_hi:[1,1,0] neg_lo:[0,0,1] neg_hi:[0,0,1]
	v_pk_fma_f32 v[6:7], v[18:19], v[58:59], v[6:7] op_sel:[0,0,1] op_sel_hi:[1,0,0]
	s_waitcnt vmcnt(1)
	v_mov_b32_e32 v6, v151
	v_mov_b32_e32 v9, v7
	v_pk_mul_f32 v[6:7], v[20:21], v[6:7] op_sel_hi:[1,0]
	v_pk_add_f32 v[4:5], v[4:5], v[8:9]
	s_waitcnt vmcnt(0)
	v_pk_fma_f32 v[8:9], v[20:21], v[150:151], v[6:7] op_sel:[0,0,1] op_sel_hi:[1,1,0] neg_lo:[0,0,1] neg_hi:[0,0,1]
	v_pk_fma_f32 v[6:7], v[20:21], v[150:151], v[6:7] op_sel:[0,0,1] op_sel_hi:[1,0,0]
	v_mov_b32_e32 v9, v7
	v_pk_add_f32 v[4:5], v[4:5], v[8:9]
	v_pk_add_f32 v[2:3], v[2:3], v[4:5] neg_lo:[0,1] neg_hi:[0,1]
	buffer_store_dword v3, off, s[0:3], 0 offset:108
	buffer_store_dword v2, off, s[0:3], 0 offset:104
	s_and_saveexec_b64 s[4:5], vcc
	s_cbranch_execz .LBB105_241
; %bb.240:
	buffer_load_dword v2, off, s[0:3], 0 offset:96
	buffer_load_dword v3, off, s[0:3], 0 offset:100
	v_mov_b32_e32 v4, 0
	buffer_store_dword v4, off, s[0:3], 0 offset:96
	buffer_store_dword v4, off, s[0:3], 0 offset:100
	s_waitcnt vmcnt(2)
	ds_write_b64 v1, v[2:3]
.LBB105_241:
	s_or_b64 exec, exec, s[4:5]
	s_waitcnt lgkmcnt(0)
	; wave barrier
	s_waitcnt lgkmcnt(0)
	buffer_load_dword v5, off, s[0:3], 0 offset:108
	buffer_load_dword v54, off, s[0:3], 0 offset:116
	;; [unrolled: 1-line block ×44, first 2 shown]
	v_mov_b32_e32 v4, 0
	ds_read2_b64 v[6:9], v4 offset0:55 offset1:56
	ds_read2_b64 v[10:13], v4 offset0:57 offset1:58
	;; [unrolled: 1-line block ×8, first 2 shown]
	v_cmp_lt_u32_e32 vcc, 11, v0
	s_waitcnt vmcnt(43) lgkmcnt(7)
	v_mul_f32_e32 v38, v6, v5
	s_waitcnt vmcnt(42)
	v_mul_f32_e32 v39, v8, v54
	s_waitcnt vmcnt(41) lgkmcnt(6)
	v_mul_f32_e32 v40, v10, v60
	s_waitcnt vmcnt(40)
	v_mul_f32_e32 v41, v12, v62
	;; [unrolled: 4-line block ×7, first 2 shown]
	s_waitcnt vmcnt(29)
	v_fmac_f32_e32 v38, v7, v170
	s_waitcnt vmcnt(28)
	v_fmac_f32_e32 v39, v9, v171
	v_add_f32_e32 v38, 0, v38
	s_waitcnt vmcnt(27)
	v_fmac_f32_e32 v40, v11, v172
	v_add_f32_e32 v38, v38, v39
	;; [unrolled: 3-line block ×12, first 2 shown]
	v_add_f32_e32 v38, v38, v50
	s_waitcnt vmcnt(16)
	v_fmac_f32_e32 v51, v33, v183
	s_waitcnt vmcnt(15) lgkmcnt(0)
	v_mul_f32_e32 v39, v34, v184
	v_add_f32_e32 v38, v38, v51
	s_waitcnt vmcnt(14)
	v_fmac_f32_e32 v39, v35, v185
	v_add_f32_e32 v42, v38, v39
	ds_read2_b64 v[38:41], v4 offset0:71 offset1:72
	s_waitcnt vmcnt(13)
	v_mul_f32_e32 v43, v36, v186
	s_waitcnt vmcnt(12)
	v_fmac_f32_e32 v43, v37, v187
	v_add_f32_e32 v46, v42, v43
	ds_read2_b64 v[42:45], v4 offset0:73 offset1:74
	s_waitcnt vmcnt(11) lgkmcnt(1)
	v_mul_f32_e32 v47, v38, v188
	s_waitcnt vmcnt(10)
	v_fmac_f32_e32 v47, v39, v189
	v_add_f32_e32 v46, v46, v47
	s_waitcnt vmcnt(9)
	v_mul_f32_e32 v47, v40, v190
	s_waitcnt vmcnt(8)
	v_fmac_f32_e32 v47, v41, v191
	v_add_f32_e32 v46, v46, v47
	s_waitcnt vmcnt(7) lgkmcnt(0)
	v_mul_f32_e32 v47, v42, v192
	s_waitcnt vmcnt(6)
	v_fmac_f32_e32 v47, v43, v193
	v_add_f32_e32 v55, v46, v47
	ds_read2_b64 v[46:49], v4 offset0:75 offset1:76
	buffer_load_dword v57, off, s[0:3], 0 offset:284
	buffer_load_dword v56, off, s[0:3], 0 offset:280
	;; [unrolled: 1-line block ×4, first 2 shown]
	ds_read2_b64 v[50:53], v4 offset0:77 offset1:78
	buffer_load_dword v149, off, s[0:3], 0 offset:316
	buffer_load_dword v148, off, s[0:3], 0 offset:312
	buffer_load_dword v151, off, s[0:3], 0 offset:308
	buffer_load_dword v150, off, s[0:3], 0 offset:304
	buffer_load_dword v153, off, s[0:3], 0 offset:300
	buffer_load_dword v152, off, s[0:3], 0 offset:296
	buffer_load_dword v155, off, s[0:3], 0 offset:292
	buffer_load_dword v154, off, s[0:3], 0 offset:288
	buffer_load_dword v157, off, s[0:3], 0 offset:332
	buffer_load_dword v156, off, s[0:3], 0 offset:328
	buffer_load_dword v159, off, s[0:3], 0 offset:324
	buffer_load_dword v158, off, s[0:3], 0 offset:320
	v_mul_f32_e32 v5, v7, v5
	v_fma_f32 v5, v6, v170, -v5
	v_mul_f32_e32 v6, v9, v54
	v_add_f32_e32 v5, 0, v5
	v_fma_f32 v6, v8, v171, -v6
	v_add_f32_e32 v5, v5, v6
	v_mul_f32_e32 v6, v11, v60
	v_fma_f32 v6, v10, v172, -v6
	v_add_f32_e32 v5, v5, v6
	v_mul_f32_e32 v6, v13, v62
	;; [unrolled: 3-line block ×17, first 2 shown]
	v_fma_f32 v6, v42, v193, -v6
	s_waitcnt vmcnt(21)
	v_mul_f32_e32 v61, v44, v194
	v_add_f32_e32 v54, v5, v6
	v_mul_f32_e32 v5, v45, v194
	s_waitcnt vmcnt(20)
	v_fmac_f32_e32 v61, v45, v195
	s_waitcnt vmcnt(19) lgkmcnt(1)
	v_mul_f32_e32 v63, v46, v196
	v_fma_f32 v60, v44, v195, -v5
	v_mul_f32_e32 v5, v47, v196
	s_waitcnt vmcnt(18)
	v_fmac_f32_e32 v63, v47, v197
	v_fma_f32 v62, v46, v197, -v5
	v_pk_add_f32 v[16:17], v[54:55], v[60:61]
	v_pk_add_f32 v[16:17], v[16:17], v[62:63]
	ds_read2_b64 v[6:9], v4 offset0:79 offset1:80
	ds_read2_b64 v[10:13], v4 offset0:81 offset1:82
	ds_read_b64 v[14:15], v4 offset:664
	s_waitcnt vmcnt(13)
	v_mov_b32_e32 v18, v59
	v_pk_mul_f32 v[18:19], v[48:49], v[18:19] op_sel_hi:[1,0]
	s_waitcnt vmcnt(12)
	v_pk_fma_f32 v[20:21], v[48:49], v[58:59], v[18:19] op_sel:[0,0,1] op_sel_hi:[1,1,0] neg_lo:[0,0,1] neg_hi:[0,0,1]
	v_pk_fma_f32 v[18:19], v[48:49], v[58:59], v[18:19] op_sel:[0,0,1] op_sel_hi:[1,0,0]
	v_mov_b32_e32 v18, v57
	v_mov_b32_e32 v21, v19
	s_waitcnt lgkmcnt(3)
	v_pk_mul_f32 v[18:19], v[50:51], v[18:19] op_sel_hi:[1,0]
	v_pk_add_f32 v[16:17], v[16:17], v[20:21]
	v_pk_fma_f32 v[20:21], v[50:51], v[56:57], v[18:19] op_sel:[0,0,1] op_sel_hi:[1,1,0] neg_lo:[0,0,1] neg_hi:[0,0,1]
	v_pk_fma_f32 v[18:19], v[50:51], v[56:57], v[18:19] op_sel:[0,0,1] op_sel_hi:[1,0,0]
	s_waitcnt vmcnt(5)
	v_mov_b32_e32 v18, v155
	v_mov_b32_e32 v21, v19
	v_pk_mul_f32 v[18:19], v[52:53], v[18:19] op_sel_hi:[1,0]
	v_pk_add_f32 v[16:17], v[16:17], v[20:21]
	s_waitcnt vmcnt(4)
	v_pk_fma_f32 v[20:21], v[52:53], v[154:155], v[18:19] op_sel:[0,0,1] op_sel_hi:[1,1,0] neg_lo:[0,0,1] neg_hi:[0,0,1]
	v_pk_fma_f32 v[18:19], v[52:53], v[154:155], v[18:19] op_sel:[0,0,1] op_sel_hi:[1,0,0]
	v_mov_b32_e32 v18, v153
	v_mov_b32_e32 v21, v19
	s_waitcnt lgkmcnt(2)
	v_pk_mul_f32 v[18:19], v[6:7], v[18:19] op_sel_hi:[1,0]
	v_pk_add_f32 v[16:17], v[16:17], v[20:21]
	v_pk_fma_f32 v[20:21], v[6:7], v[152:153], v[18:19] op_sel:[0,0,1] op_sel_hi:[1,1,0] neg_lo:[0,0,1] neg_hi:[0,0,1]
	v_pk_fma_f32 v[6:7], v[6:7], v[152:153], v[18:19] op_sel:[0,0,1] op_sel_hi:[1,0,0]
	v_mov_b32_e32 v21, v7
	v_pk_add_f32 v[6:7], v[16:17], v[20:21]
	v_mov_b32_e32 v16, v151
	v_pk_mul_f32 v[16:17], v[8:9], v[16:17] op_sel_hi:[1,0]
	v_pk_fma_f32 v[18:19], v[8:9], v[150:151], v[16:17] op_sel:[0,0,1] op_sel_hi:[1,1,0] neg_lo:[0,0,1] neg_hi:[0,0,1]
	v_pk_fma_f32 v[8:9], v[8:9], v[150:151], v[16:17] op_sel:[0,0,1] op_sel_hi:[1,0,0]
	v_mov_b32_e32 v8, v149
	v_mov_b32_e32 v19, v9
	s_waitcnt lgkmcnt(1)
	v_pk_mul_f32 v[8:9], v[10:11], v[8:9] op_sel_hi:[1,0]
	v_pk_fma_f32 v[16:17], v[10:11], v[148:149], v[8:9] op_sel:[0,0,1] op_sel_hi:[1,1,0] neg_lo:[0,0,1] neg_hi:[0,0,1]
	v_pk_fma_f32 v[8:9], v[10:11], v[148:149], v[8:9] op_sel:[0,0,1] op_sel_hi:[1,0,0]
	s_waitcnt vmcnt(1)
	v_mov_b32_e32 v8, v159
	v_mov_b32_e32 v17, v9
	v_pk_mul_f32 v[8:9], v[12:13], v[8:9] op_sel_hi:[1,0]
	s_waitcnt vmcnt(0)
	v_pk_fma_f32 v[10:11], v[12:13], v[158:159], v[8:9] op_sel:[0,0,1] op_sel_hi:[1,1,0] neg_lo:[0,0,1] neg_hi:[0,0,1]
	v_pk_fma_f32 v[8:9], v[12:13], v[158:159], v[8:9] op_sel:[0,0,1] op_sel_hi:[1,0,0]
	v_pk_add_f32 v[6:7], v[6:7], v[18:19]
	v_mov_b32_e32 v8, v157
	v_pk_add_f32 v[6:7], v[6:7], v[16:17]
	v_mov_b32_e32 v11, v9
	s_waitcnt lgkmcnt(0)
	v_pk_mul_f32 v[8:9], v[14:15], v[8:9] op_sel_hi:[1,0]
	v_pk_add_f32 v[6:7], v[6:7], v[10:11]
	v_pk_fma_f32 v[10:11], v[14:15], v[156:157], v[8:9] op_sel:[0,0,1] op_sel_hi:[1,1,0] neg_lo:[0,0,1] neg_hi:[0,0,1]
	v_pk_fma_f32 v[8:9], v[14:15], v[156:157], v[8:9] op_sel:[0,0,1] op_sel_hi:[1,0,0]
	v_mov_b32_e32 v11, v9
	v_pk_add_f32 v[6:7], v[6:7], v[10:11]
	v_pk_add_f32 v[2:3], v[2:3], v[6:7] neg_lo:[0,1] neg_hi:[0,1]
	buffer_store_dword v3, off, s[0:3], 0 offset:100
	buffer_store_dword v2, off, s[0:3], 0 offset:96
	s_and_saveexec_b64 s[4:5], vcc
	s_cbranch_execz .LBB105_243
; %bb.242:
	buffer_load_dword v2, off, s[0:3], 0 offset:88
	buffer_load_dword v3, off, s[0:3], 0 offset:92
	s_waitcnt vmcnt(0)
	ds_write_b64 v1, v[2:3]
	buffer_store_dword v4, off, s[0:3], 0 offset:88
	buffer_store_dword v4, off, s[0:3], 0 offset:92
.LBB105_243:
	s_or_b64 exec, exec, s[4:5]
	s_waitcnt lgkmcnt(0)
	; wave barrier
	s_waitcnt lgkmcnt(0)
	buffer_load_dword v5, off, s[0:3], 0 offset:100
	buffer_load_dword v56, off, s[0:3], 0 offset:108
	;; [unrolled: 1-line block ×46, first 2 shown]
	ds_read_b128 v[6:9], v4 offset:432
	ds_read_b128 v[10:13], v4 offset:448
	;; [unrolled: 1-line block ×8, first 2 shown]
	v_cmp_lt_u32_e32 vcc, 10, v0
	s_waitcnt vmcnt(45) lgkmcnt(7)
	v_mul_f32_e32 v38, v6, v5
	s_waitcnt vmcnt(44)
	v_mul_f32_e32 v39, v8, v56
	s_waitcnt vmcnt(43) lgkmcnt(6)
	v_mul_f32_e32 v40, v10, v58
	s_waitcnt vmcnt(42)
	v_mul_f32_e32 v41, v12, v60
	s_waitcnt vmcnt(41) lgkmcnt(5)
	v_mul_f32_e32 v42, v14, v160
	s_waitcnt vmcnt(40)
	v_mul_f32_e32 v43, v16, v161
	s_waitcnt vmcnt(39) lgkmcnt(4)
	v_mul_f32_e32 v44, v18, v162
	s_waitcnt vmcnt(38)
	v_mul_f32_e32 v45, v20, v163
	s_waitcnt vmcnt(37) lgkmcnt(3)
	v_mul_f32_e32 v46, v22, v164
	s_waitcnt vmcnt(36)
	v_mul_f32_e32 v47, v24, v165
	s_waitcnt vmcnt(35) lgkmcnt(2)
	v_mul_f32_e32 v48, v26, v166
	s_waitcnt vmcnt(34)
	v_mul_f32_e32 v49, v28, v167
	s_waitcnt vmcnt(33) lgkmcnt(1)
	v_mul_f32_e32 v50, v30, v168
	s_waitcnt vmcnt(32)
	v_fmac_f32_e32 v38, v7, v169
	s_waitcnt vmcnt(31)
	v_fmac_f32_e32 v39, v9, v170
	v_add_f32_e32 v38, 0, v38
	s_waitcnt vmcnt(30)
	v_fmac_f32_e32 v40, v11, v171
	v_add_f32_e32 v38, v38, v39
	;; [unrolled: 3-line block ×12, first 2 shown]
	s_waitcnt vmcnt(19)
	v_mul_f32_e32 v39, v32, v182
	v_add_f32_e32 v38, v38, v50
	s_waitcnt vmcnt(18)
	v_fmac_f32_e32 v39, v33, v183
	v_add_f32_e32 v38, v38, v39
	s_waitcnt vmcnt(17) lgkmcnt(0)
	v_mul_f32_e32 v39, v34, v184
	s_waitcnt vmcnt(16)
	v_fmac_f32_e32 v39, v35, v185
	v_add_f32_e32 v42, v38, v39
	ds_read_b128 v[38:41], v4 offset:560
	s_waitcnt vmcnt(15)
	v_mul_f32_e32 v43, v36, v186
	s_waitcnt vmcnt(14)
	v_fmac_f32_e32 v43, v37, v187
	v_add_f32_e32 v46, v42, v43
	ds_read_b128 v[42:45], v4 offset:576
	buffer_load_dword v55, off, s[0:3], 0 offset:276
	buffer_load_dword v54, off, s[0:3], 0 offset:272
	s_waitcnt vmcnt(15) lgkmcnt(1)
	v_mul_f32_e32 v47, v38, v188
	s_waitcnt vmcnt(14)
	v_fmac_f32_e32 v47, v39, v189
	v_add_f32_e32 v46, v46, v47
	s_waitcnt vmcnt(13)
	v_mul_f32_e32 v47, v40, v190
	s_waitcnt vmcnt(12)
	v_fmac_f32_e32 v47, v41, v191
	v_add_f32_e32 v46, v46, v47
	s_waitcnt vmcnt(11) lgkmcnt(0)
	v_mul_f32_e32 v47, v42, v192
	s_waitcnt vmcnt(10)
	v_fmac_f32_e32 v47, v43, v193
	s_waitcnt vmcnt(9)
	v_mul_f32_e32 v51, v44, v194
	v_add_f32_e32 v50, v46, v47
	s_waitcnt vmcnt(8)
	v_fmac_f32_e32 v51, v45, v195
	ds_read_b128 v[46:49], v4 offset:592
	v_add_f32_e32 v57, v50, v51
	ds_read_b128 v[50:53], v4 offset:608
	buffer_load_dword v63, off, s[0:3], 0 offset:308
	buffer_load_dword v62, off, s[0:3], 0 offset:304
	;; [unrolled: 1-line block ×14, first 2 shown]
	v_mul_f32_e32 v5, v7, v5
	v_fma_f32 v5, v6, v169, -v5
	v_mul_f32_e32 v6, v9, v56
	v_add_f32_e32 v5, 0, v5
	v_fma_f32 v6, v8, v170, -v6
	v_add_f32_e32 v5, v5, v6
	v_mul_f32_e32 v6, v11, v58
	v_fma_f32 v6, v10, v171, -v6
	v_add_f32_e32 v5, v5, v6
	v_mul_f32_e32 v6, v13, v60
	;; [unrolled: 3-line block ×18, first 2 shown]
	v_fma_f32 v6, v44, v195, -v6
	s_waitcnt vmcnt(21) lgkmcnt(1)
	v_mul_f32_e32 v59, v46, v196
	v_add_f32_e32 v56, v5, v6
	v_mul_f32_e32 v5, v47, v196
	s_waitcnt vmcnt(20)
	v_fmac_f32_e32 v59, v47, v197
	s_waitcnt vmcnt(15)
	v_mov_b32_e32 v18, v55
	s_waitcnt lgkmcnt(0)
	v_pk_mul_f32 v[18:19], v[50:51], v[18:19] op_sel_hi:[1,0]
	v_mul_f32_e32 v61, v48, v198
	v_fma_f32 v58, v46, v197, -v5
	v_mul_f32_e32 v5, v49, v198
	s_waitcnt vmcnt(14)
	v_pk_fma_f32 v[20:21], v[50:51], v[54:55], v[18:19] op_sel:[0,0,1] op_sel_hi:[1,1,0] neg_lo:[0,0,1] neg_hi:[0,0,1]
	v_pk_fma_f32 v[18:19], v[50:51], v[54:55], v[18:19] op_sel:[0,0,1] op_sel_hi:[1,0,0]
	v_fmac_f32_e32 v61, v49, v199
	v_fma_f32 v60, v48, v199, -v5
	ds_read_b128 v[6:9], v4 offset:624
	ds_read_b128 v[10:13], v4 offset:640
	;; [unrolled: 1-line block ×3, first 2 shown]
	v_pk_add_f32 v[4:5], v[56:57], v[58:59]
	s_waitcnt vmcnt(7)
	v_mov_b32_e32 v18, v153
	v_pk_add_f32 v[4:5], v[4:5], v[60:61]
	v_mov_b32_e32 v21, v19
	v_pk_mul_f32 v[18:19], v[52:53], v[18:19] op_sel_hi:[1,0]
	v_pk_add_f32 v[4:5], v[4:5], v[20:21]
	s_waitcnt vmcnt(6)
	v_pk_fma_f32 v[20:21], v[52:53], v[152:153], v[18:19] op_sel:[0,0,1] op_sel_hi:[1,1,0] neg_lo:[0,0,1] neg_hi:[0,0,1]
	v_pk_fma_f32 v[18:19], v[52:53], v[152:153], v[18:19] op_sel:[0,0,1] op_sel_hi:[1,0,0]
	v_mov_b32_e32 v18, v151
	v_mov_b32_e32 v21, v19
	s_waitcnt lgkmcnt(2)
	v_pk_mul_f32 v[18:19], v[6:7], v[18:19] op_sel_hi:[1,0]
	v_pk_add_f32 v[4:5], v[4:5], v[20:21]
	v_pk_fma_f32 v[20:21], v[6:7], v[150:151], v[18:19] op_sel:[0,0,1] op_sel_hi:[1,1,0] neg_lo:[0,0,1] neg_hi:[0,0,1]
	v_pk_fma_f32 v[6:7], v[6:7], v[150:151], v[18:19] op_sel:[0,0,1] op_sel_hi:[1,0,0]
	v_mov_b32_e32 v6, v149
	v_mov_b32_e32 v21, v7
	v_pk_mul_f32 v[6:7], v[8:9], v[6:7] op_sel_hi:[1,0]
	v_pk_fma_f32 v[18:19], v[8:9], v[148:149], v[6:7] op_sel:[0,0,1] op_sel_hi:[1,1,0] neg_lo:[0,0,1] neg_hi:[0,0,1]
	v_pk_fma_f32 v[6:7], v[8:9], v[148:149], v[6:7] op_sel:[0,0,1] op_sel_hi:[1,0,0]
	v_mov_b32_e32 v6, v63
	v_mov_b32_e32 v19, v7
	s_waitcnt lgkmcnt(1)
	v_pk_mul_f32 v[6:7], v[10:11], v[6:7] op_sel_hi:[1,0]
	v_pk_fma_f32 v[8:9], v[10:11], v[62:63], v[6:7] op_sel:[0,0,1] op_sel_hi:[1,1,0] neg_lo:[0,0,1] neg_hi:[0,0,1]
	v_pk_fma_f32 v[6:7], v[10:11], v[62:63], v[6:7] op_sel:[0,0,1] op_sel_hi:[1,0,0]
	v_pk_add_f32 v[4:5], v[4:5], v[20:21]
	s_waitcnt vmcnt(1)
	v_mov_b32_e32 v6, v159
	v_pk_add_f32 v[4:5], v[4:5], v[18:19]
	v_mov_b32_e32 v9, v7
	v_pk_mul_f32 v[6:7], v[12:13], v[6:7] op_sel_hi:[1,0]
	v_pk_add_f32 v[4:5], v[4:5], v[8:9]
	s_waitcnt vmcnt(0)
	v_pk_fma_f32 v[8:9], v[12:13], v[158:159], v[6:7] op_sel:[0,0,1] op_sel_hi:[1,1,0] neg_lo:[0,0,1] neg_hi:[0,0,1]
	v_pk_fma_f32 v[6:7], v[12:13], v[158:159], v[6:7] op_sel:[0,0,1] op_sel_hi:[1,0,0]
	v_mov_b32_e32 v6, v157
	v_mov_b32_e32 v9, v7
	s_waitcnt lgkmcnt(0)
	v_pk_mul_f32 v[6:7], v[14:15], v[6:7] op_sel_hi:[1,0]
	v_pk_add_f32 v[4:5], v[4:5], v[8:9]
	v_pk_fma_f32 v[8:9], v[14:15], v[156:157], v[6:7] op_sel:[0,0,1] op_sel_hi:[1,1,0] neg_lo:[0,0,1] neg_hi:[0,0,1]
	v_pk_fma_f32 v[6:7], v[14:15], v[156:157], v[6:7] op_sel:[0,0,1] op_sel_hi:[1,0,0]
	v_mov_b32_e32 v6, v155
	v_mov_b32_e32 v9, v7
	v_pk_mul_f32 v[6:7], v[16:17], v[6:7] op_sel_hi:[1,0]
	v_pk_add_f32 v[4:5], v[4:5], v[8:9]
	v_pk_fma_f32 v[8:9], v[16:17], v[154:155], v[6:7] op_sel:[0,0,1] op_sel_hi:[1,1,0] neg_lo:[0,0,1] neg_hi:[0,0,1]
	v_pk_fma_f32 v[6:7], v[16:17], v[154:155], v[6:7] op_sel:[0,0,1] op_sel_hi:[1,0,0]
	v_mov_b32_e32 v9, v7
	v_pk_add_f32 v[4:5], v[4:5], v[8:9]
	v_pk_add_f32 v[2:3], v[2:3], v[4:5] neg_lo:[0,1] neg_hi:[0,1]
	buffer_store_dword v3, off, s[0:3], 0 offset:92
	buffer_store_dword v2, off, s[0:3], 0 offset:88
	s_and_saveexec_b64 s[4:5], vcc
	s_cbranch_execz .LBB105_245
; %bb.244:
	buffer_load_dword v2, off, s[0:3], 0 offset:80
	buffer_load_dword v3, off, s[0:3], 0 offset:84
	v_mov_b32_e32 v4, 0
	buffer_store_dword v4, off, s[0:3], 0 offset:80
	buffer_store_dword v4, off, s[0:3], 0 offset:84
	s_waitcnt vmcnt(2)
	ds_write_b64 v1, v[2:3]
.LBB105_245:
	s_or_b64 exec, exec, s[4:5]
	s_waitcnt lgkmcnt(0)
	; wave barrier
	s_waitcnt lgkmcnt(0)
	buffer_load_dword v5, off, s[0:3], 0 offset:92
	buffer_load_dword v54, off, s[0:3], 0 offset:100
	;; [unrolled: 1-line block ×48, first 2 shown]
	v_mov_b32_e32 v4, 0
	ds_read2_b64 v[6:9], v4 offset0:53 offset1:54
	ds_read2_b64 v[10:13], v4 offset0:55 offset1:56
	;; [unrolled: 1-line block ×6, first 2 shown]
	v_cmp_lt_u32_e32 vcc, 9, v0
	s_waitcnt vmcnt(47) lgkmcnt(5)
	v_mul_f32_e32 v30, v6, v5
	s_waitcnt vmcnt(46)
	v_mul_f32_e32 v31, v8, v54
	s_waitcnt vmcnt(45) lgkmcnt(4)
	v_mul_f32_e32 v32, v10, v56
	s_waitcnt vmcnt(44)
	v_mul_f32_e32 v33, v12, v58
	;; [unrolled: 4-line block ×6, first 2 shown]
	s_waitcnt vmcnt(35)
	v_fmac_f32_e32 v30, v7, v168
	s_waitcnt vmcnt(34)
	v_fmac_f32_e32 v31, v9, v169
	v_add_f32_e32 v30, 0, v30
	s_waitcnt vmcnt(33)
	v_fmac_f32_e32 v32, v11, v170
	v_add_f32_e32 v30, v30, v31
	;; [unrolled: 3-line block ×8, first 2 shown]
	v_add_f32_e32 v34, v30, v38
	ds_read2_b64 v[30:33], v4 offset0:65 offset1:66
	s_waitcnt vmcnt(26)
	v_fmac_f32_e32 v39, v25, v177
	s_waitcnt vmcnt(25)
	v_fmac_f32_e32 v40, v27, v178
	v_add_f32_e32 v34, v34, v39
	s_waitcnt vmcnt(24)
	v_fmac_f32_e32 v41, v29, v179
	v_add_f32_e32 v34, v34, v40
	v_add_f32_e32 v38, v34, v41
	ds_read2_b64 v[34:37], v4 offset0:67 offset1:68
	s_waitcnt vmcnt(23) lgkmcnt(1)
	v_mul_f32_e32 v39, v30, v180
	s_waitcnt vmcnt(22)
	v_fmac_f32_e32 v39, v31, v181
	v_add_f32_e32 v38, v38, v39
	s_waitcnt vmcnt(21)
	v_mul_f32_e32 v39, v32, v182
	s_waitcnt vmcnt(20)
	v_fmac_f32_e32 v39, v33, v183
	v_add_f32_e32 v38, v38, v39
	s_waitcnt vmcnt(19) lgkmcnt(0)
	v_mul_f32_e32 v39, v34, v184
	s_waitcnt vmcnt(18)
	v_fmac_f32_e32 v39, v35, v185
	v_add_f32_e32 v42, v38, v39
	ds_read2_b64 v[38:41], v4 offset0:69 offset1:70
	s_waitcnt vmcnt(17)
	v_mul_f32_e32 v43, v36, v186
	s_waitcnt vmcnt(16)
	v_fmac_f32_e32 v43, v37, v187
	v_add_f32_e32 v46, v42, v43
	ds_read2_b64 v[42:45], v4 offset0:71 offset1:72
	s_waitcnt vmcnt(15) lgkmcnt(1)
	v_mul_f32_e32 v47, v38, v188
	s_waitcnt vmcnt(14)
	v_fmac_f32_e32 v47, v39, v189
	v_add_f32_e32 v46, v46, v47
	s_waitcnt vmcnt(13)
	v_mul_f32_e32 v47, v40, v190
	s_waitcnt vmcnt(12)
	v_fmac_f32_e32 v47, v41, v191
	v_add_f32_e32 v46, v46, v47
	s_waitcnt vmcnt(11) lgkmcnt(0)
	v_mul_f32_e32 v47, v42, v192
	s_waitcnt vmcnt(10)
	v_fmac_f32_e32 v47, v43, v193
	s_waitcnt vmcnt(9)
	v_mul_f32_e32 v51, v44, v194
	v_add_f32_e32 v50, v46, v47
	s_waitcnt vmcnt(8)
	v_fmac_f32_e32 v51, v45, v195
	ds_read2_b64 v[46:49], v4 offset0:73 offset1:74
	v_add_f32_e32 v55, v50, v51
	ds_read2_b64 v[50:53], v4 offset0:75 offset1:76
	buffer_load_dword v61, off, s[0:3], 0 offset:300
	buffer_load_dword v60, off, s[0:3], 0 offset:296
	;; [unrolled: 1-line block ×16, first 2 shown]
	v_mul_f32_e32 v5, v7, v5
	v_fma_f32 v5, v6, v168, -v5
	v_mul_f32_e32 v6, v9, v54
	v_add_f32_e32 v5, 0, v5
	v_fma_f32 v6, v8, v169, -v6
	v_add_f32_e32 v5, v5, v6
	v_mul_f32_e32 v6, v11, v56
	v_fma_f32 v6, v10, v170, -v6
	v_add_f32_e32 v5, v5, v6
	v_mul_f32_e32 v6, v13, v58
	;; [unrolled: 3-line block ×18, first 2 shown]
	v_fma_f32 v6, v44, v195, -v6
	s_waitcnt vmcnt(22) lgkmcnt(1)
	v_mul_f32_e32 v57, v46, v197
	v_add_f32_e32 v5, v5, v6
	v_mul_f32_e32 v6, v47, v197
	v_fmac_f32_e32 v57, v47, v196
	v_fma_f32 v6, v46, v196, -v6
	v_add_f32_e32 v55, v55, v57
	s_waitcnt vmcnt(19)
	v_mul_f32_e32 v57, v48, v198
	v_add_f32_e32 v54, v5, v6
	v_mul_f32_e32 v5, v49, v198
	s_waitcnt vmcnt(18)
	v_fmac_f32_e32 v57, v49, v199
	s_waitcnt vmcnt(17) lgkmcnt(0)
	v_mul_f32_e32 v59, v50, v200
	s_waitcnt vmcnt(9)
	v_mov_b32_e32 v22, v151
	v_pk_mul_f32 v[22:23], v[52:53], v[22:23] op_sel_hi:[1,0]
	v_fma_f32 v56, v48, v199, -v5
	v_mul_f32_e32 v5, v51, v200
	ds_read2_b64 v[6:9], v4 offset0:77 offset1:78
	ds_read2_b64 v[10:13], v4 offset0:79 offset1:80
	;; [unrolled: 1-line block ×3, first 2 shown]
	ds_read_b64 v[18:19], v4 offset:664
	s_waitcnt vmcnt(8)
	v_pk_fma_f32 v[24:25], v[52:53], v[150:151], v[22:23] op_sel:[0,0,1] op_sel_hi:[1,1,0] neg_lo:[0,0,1] neg_hi:[0,0,1]
	v_pk_fma_f32 v[22:23], v[52:53], v[150:151], v[22:23] op_sel:[0,0,1] op_sel_hi:[1,0,0]
	v_fmac_f32_e32 v59, v51, v201
	v_fma_f32 v58, v50, v201, -v5
	v_pk_add_f32 v[20:21], v[54:55], v[56:57]
	v_mov_b32_e32 v22, v149
	v_pk_add_f32 v[20:21], v[20:21], v[58:59]
	v_mov_b32_e32 v25, v23
	s_waitcnt lgkmcnt(3)
	v_pk_mul_f32 v[22:23], v[6:7], v[22:23] op_sel_hi:[1,0]
	v_pk_add_f32 v[20:21], v[20:21], v[24:25]
	v_pk_fma_f32 v[24:25], v[6:7], v[148:149], v[22:23] op_sel:[0,0,1] op_sel_hi:[1,1,0] neg_lo:[0,0,1] neg_hi:[0,0,1]
	v_pk_fma_f32 v[6:7], v[6:7], v[148:149], v[22:23] op_sel:[0,0,1] op_sel_hi:[1,0,0]
	v_mov_b32_e32 v25, v7
	v_pk_add_f32 v[6:7], v[20:21], v[24:25]
	v_mov_b32_e32 v20, v63
	v_pk_mul_f32 v[20:21], v[8:9], v[20:21] op_sel_hi:[1,0]
	v_pk_fma_f32 v[22:23], v[8:9], v[62:63], v[20:21] op_sel:[0,0,1] op_sel_hi:[1,1,0] neg_lo:[0,0,1] neg_hi:[0,0,1]
	v_pk_fma_f32 v[8:9], v[8:9], v[62:63], v[20:21] op_sel:[0,0,1] op_sel_hi:[1,0,0]
	v_mov_b32_e32 v8, v61
	v_mov_b32_e32 v23, v9
	s_waitcnt lgkmcnt(2)
	v_pk_mul_f32 v[8:9], v[10:11], v[8:9] op_sel_hi:[1,0]
	v_pk_fma_f32 v[20:21], v[10:11], v[60:61], v[8:9] op_sel:[0,0,1] op_sel_hi:[1,1,0] neg_lo:[0,0,1] neg_hi:[0,0,1]
	v_pk_fma_f32 v[8:9], v[10:11], v[60:61], v[8:9] op_sel:[0,0,1] op_sel_hi:[1,0,0]
	s_waitcnt vmcnt(1)
	v_mov_b32_e32 v8, v159
	v_mov_b32_e32 v21, v9
	v_pk_mul_f32 v[8:9], v[12:13], v[8:9] op_sel_hi:[1,0]
	s_waitcnt vmcnt(0)
	v_pk_fma_f32 v[10:11], v[12:13], v[158:159], v[8:9] op_sel:[0,0,1] op_sel_hi:[1,1,0] neg_lo:[0,0,1] neg_hi:[0,0,1]
	v_pk_fma_f32 v[8:9], v[12:13], v[158:159], v[8:9] op_sel:[0,0,1] op_sel_hi:[1,0,0]
	v_pk_add_f32 v[6:7], v[6:7], v[22:23]
	v_mov_b32_e32 v8, v157
	v_pk_add_f32 v[6:7], v[6:7], v[20:21]
	v_mov_b32_e32 v11, v9
	s_waitcnt lgkmcnt(1)
	v_pk_mul_f32 v[8:9], v[14:15], v[8:9] op_sel_hi:[1,0]
	v_pk_add_f32 v[6:7], v[6:7], v[10:11]
	v_pk_fma_f32 v[10:11], v[14:15], v[156:157], v[8:9] op_sel:[0,0,1] op_sel_hi:[1,1,0] neg_lo:[0,0,1] neg_hi:[0,0,1]
	v_pk_fma_f32 v[8:9], v[14:15], v[156:157], v[8:9] op_sel:[0,0,1] op_sel_hi:[1,0,0]
	v_mov_b32_e32 v8, v155
	v_mov_b32_e32 v11, v9
	v_pk_mul_f32 v[8:9], v[16:17], v[8:9] op_sel_hi:[1,0]
	v_pk_add_f32 v[6:7], v[6:7], v[10:11]
	v_pk_fma_f32 v[10:11], v[16:17], v[154:155], v[8:9] op_sel:[0,0,1] op_sel_hi:[1,1,0] neg_lo:[0,0,1] neg_hi:[0,0,1]
	v_pk_fma_f32 v[8:9], v[16:17], v[154:155], v[8:9] op_sel:[0,0,1] op_sel_hi:[1,0,0]
	v_mov_b32_e32 v8, v153
	v_mov_b32_e32 v11, v9
	s_waitcnt lgkmcnt(0)
	v_pk_mul_f32 v[8:9], v[18:19], v[8:9] op_sel_hi:[1,0]
	v_pk_add_f32 v[6:7], v[6:7], v[10:11]
	v_pk_fma_f32 v[10:11], v[18:19], v[152:153], v[8:9] op_sel:[0,0,1] op_sel_hi:[1,1,0] neg_lo:[0,0,1] neg_hi:[0,0,1]
	v_pk_fma_f32 v[8:9], v[18:19], v[152:153], v[8:9] op_sel:[0,0,1] op_sel_hi:[1,0,0]
	v_mov_b32_e32 v11, v9
	v_pk_add_f32 v[6:7], v[6:7], v[10:11]
	v_pk_add_f32 v[2:3], v[2:3], v[6:7] neg_lo:[0,1] neg_hi:[0,1]
	buffer_store_dword v3, off, s[0:3], 0 offset:84
	buffer_store_dword v2, off, s[0:3], 0 offset:80
	s_and_saveexec_b64 s[4:5], vcc
	s_cbranch_execz .LBB105_247
; %bb.246:
	buffer_load_dword v2, off, s[0:3], 0 offset:72
	buffer_load_dword v3, off, s[0:3], 0 offset:76
	s_waitcnt vmcnt(0)
	ds_write_b64 v1, v[2:3]
	buffer_store_dword v4, off, s[0:3], 0 offset:72
	buffer_store_dword v4, off, s[0:3], 0 offset:76
.LBB105_247:
	s_or_b64 exec, exec, s[4:5]
	s_waitcnt lgkmcnt(0)
	; wave barrier
	s_waitcnt lgkmcnt(0)
	buffer_load_dword v5, off, s[0:3], 0 offset:84
	buffer_load_dword v54, off, s[0:3], 0 offset:92
	;; [unrolled: 1-line block ×48, first 2 shown]
	ds_read_b128 v[6:9], v4 offset:416
	ds_read_b128 v[10:13], v4 offset:432
	;; [unrolled: 1-line block ×6, first 2 shown]
	buffer_load_dword v202, off, s[0:3], 0 offset:264
	buffer_load_dword v203, off, s[0:3], 0 offset:268
	v_cmp_lt_u32_e32 vcc, 8, v0
	s_waitcnt vmcnt(49) lgkmcnt(5)
	v_mul_f32_e32 v30, v6, v5
	s_waitcnt vmcnt(48)
	v_mul_f32_e32 v31, v8, v54
	s_waitcnt vmcnt(47) lgkmcnt(4)
	v_mul_f32_e32 v32, v10, v56
	s_waitcnt vmcnt(46)
	v_mul_f32_e32 v33, v12, v148
	;; [unrolled: 4-line block ×6, first 2 shown]
	s_waitcnt vmcnt(37)
	v_fmac_f32_e32 v30, v7, v168
	s_waitcnt vmcnt(36)
	v_fmac_f32_e32 v31, v9, v169
	v_add_f32_e32 v30, 0, v30
	s_waitcnt vmcnt(35)
	v_fmac_f32_e32 v32, v11, v170
	v_add_f32_e32 v30, v30, v31
	;; [unrolled: 3-line block ×9, first 2 shown]
	v_add_f32_e32 v34, v30, v39
	ds_read_b128 v[30:33], v4 offset:512
	s_waitcnt vmcnt(27)
	v_fmac_f32_e32 v40, v27, v178
	v_add_f32_e32 v34, v34, v40
	s_waitcnt vmcnt(26)
	v_fmac_f32_e32 v41, v29, v179
	v_add_f32_e32 v38, v34, v41
	ds_read_b128 v[34:37], v4 offset:528
	s_waitcnt vmcnt(25) lgkmcnt(1)
	v_mul_f32_e32 v39, v30, v180
	s_waitcnt vmcnt(24)
	v_fmac_f32_e32 v39, v31, v181
	v_add_f32_e32 v38, v38, v39
	s_waitcnt vmcnt(23)
	v_mul_f32_e32 v39, v32, v182
	s_waitcnt vmcnt(22)
	v_fmac_f32_e32 v39, v33, v183
	v_add_f32_e32 v38, v38, v39
	s_waitcnt vmcnt(21) lgkmcnt(0)
	v_mul_f32_e32 v39, v34, v184
	s_waitcnt vmcnt(20)
	v_fmac_f32_e32 v39, v35, v185
	v_add_f32_e32 v42, v38, v39
	ds_read_b128 v[38:41], v4 offset:544
	s_waitcnt vmcnt(19)
	v_mul_f32_e32 v43, v36, v186
	s_waitcnt vmcnt(18)
	v_fmac_f32_e32 v43, v37, v187
	v_add_f32_e32 v46, v42, v43
	ds_read_b128 v[42:45], v4 offset:560
	s_waitcnt vmcnt(17) lgkmcnt(1)
	v_mul_f32_e32 v47, v38, v188
	s_waitcnt vmcnt(16)
	v_fmac_f32_e32 v47, v39, v189
	v_add_f32_e32 v46, v46, v47
	s_waitcnt vmcnt(15)
	v_mul_f32_e32 v47, v40, v190
	s_waitcnt vmcnt(14)
	v_fmac_f32_e32 v47, v41, v191
	v_add_f32_e32 v46, v46, v47
	s_waitcnt vmcnt(13) lgkmcnt(0)
	v_mul_f32_e32 v47, v42, v192
	s_waitcnt vmcnt(12)
	v_fmac_f32_e32 v47, v43, v193
	s_waitcnt vmcnt(11)
	v_mul_f32_e32 v51, v44, v194
	v_add_f32_e32 v50, v46, v47
	s_waitcnt vmcnt(10)
	v_fmac_f32_e32 v51, v45, v195
	ds_read_b128 v[46:49], v4 offset:576
	v_add_f32_e32 v55, v50, v51
	ds_read_b128 v[50:53], v4 offset:592
	buffer_load_dword v59, off, s[0:3], 0 offset:292
	buffer_load_dword v58, off, s[0:3], 0 offset:288
	buffer_load_dword v61, off, s[0:3], 0 offset:284
	buffer_load_dword v60, off, s[0:3], 0 offset:280
	buffer_load_dword v63, off, s[0:3], 0 offset:276
	buffer_load_dword v62, off, s[0:3], 0 offset:272
	buffer_load_dword v151, off, s[0:3], 0 offset:324
	buffer_load_dword v150, off, s[0:3], 0 offset:320
	buffer_load_dword v153, off, s[0:3], 0 offset:316
	buffer_load_dword v152, off, s[0:3], 0 offset:312
	buffer_load_dword v155, off, s[0:3], 0 offset:308
	buffer_load_dword v154, off, s[0:3], 0 offset:304
	buffer_load_dword v157, off, s[0:3], 0 offset:300
	buffer_load_dword v156, off, s[0:3], 0 offset:296
	buffer_load_dword v159, off, s[0:3], 0 offset:332
	buffer_load_dword v158, off, s[0:3], 0 offset:328
	v_mul_f32_e32 v5, v7, v5
	v_fma_f32 v5, v6, v168, -v5
	v_mul_f32_e32 v6, v9, v54
	v_add_f32_e32 v5, 0, v5
	v_fma_f32 v6, v8, v169, -v6
	v_add_f32_e32 v5, v5, v6
	v_mul_f32_e32 v6, v11, v56
	v_fma_f32 v6, v10, v170, -v6
	v_add_f32_e32 v5, v5, v6
	v_mul_f32_e32 v6, v13, v148
	;; [unrolled: 3-line block ×18, first 2 shown]
	v_fma_f32 v6, v44, v195, -v6
	v_add_f32_e32 v5, v5, v6
	s_waitcnt vmcnt(23) lgkmcnt(1)
	v_mul_f32_e32 v6, v47, v196
	s_waitcnt vmcnt(22)
	v_fma_f32 v6, v46, v197, -v6
	v_add_f32_e32 v5, v5, v6
	s_waitcnt vmcnt(20)
	v_mul_f32_e32 v6, v49, v199
	v_fma_f32 v6, v48, v198, -v6
	v_add_f32_e32 v54, v5, v6
	ds_read_b128 v[6:9], v4 offset:608
	ds_read_b128 v[10:13], v4 offset:624
	;; [unrolled: 1-line block ×4, first 2 shown]
	v_mul_f32_e32 v57, v46, v196
	v_fmac_f32_e32 v57, v47, v197
	v_add_f32_e32 v55, v55, v57
	v_mul_f32_e32 v57, v48, v199
	v_fmac_f32_e32 v57, v49, v198
	v_add_f32_e32 v55, v55, v57
	s_waitcnt vmcnt(18) lgkmcnt(4)
	v_mul_f32_e32 v57, v50, v201
	v_mul_f32_e32 v5, v51, v201
	v_fmac_f32_e32 v57, v51, v200
	s_waitcnt vmcnt(16)
	v_mul_f32_e32 v149, v52, v203
	s_waitcnt vmcnt(11)
	v_mov_b32_e32 v22, v63
	s_waitcnt lgkmcnt(3)
	v_pk_mul_f32 v[22:23], v[6:7], v[22:23] op_sel_hi:[1,0]
	s_waitcnt vmcnt(10)
	v_pk_fma_f32 v[24:25], v[6:7], v[62:63], v[22:23] op_sel:[0,0,1] op_sel_hi:[1,1,0] neg_lo:[0,0,1] neg_hi:[0,0,1]
	v_pk_fma_f32 v[6:7], v[6:7], v[62:63], v[22:23] op_sel:[0,0,1] op_sel_hi:[1,0,0]
	v_mov_b32_e32 v6, v61
	v_mov_b32_e32 v25, v7
	v_pk_mul_f32 v[6:7], v[8:9], v[6:7] op_sel_hi:[1,0]
	v_pk_fma_f32 v[22:23], v[8:9], v[60:61], v[6:7] op_sel:[0,0,1] op_sel_hi:[1,1,0] neg_lo:[0,0,1] neg_hi:[0,0,1]
	v_pk_fma_f32 v[6:7], v[8:9], v[60:61], v[6:7] op_sel:[0,0,1] op_sel_hi:[1,0,0]
	v_fma_f32 v56, v50, v200, -v5
	v_mul_f32_e32 v5, v53, v203
	v_mov_b32_e32 v6, v59
	v_fmac_f32_e32 v149, v53, v202
	v_fma_f32 v148, v52, v202, -v5
	v_pk_add_f32 v[4:5], v[54:55], v[56:57]
	v_mov_b32_e32 v23, v7
	s_waitcnt lgkmcnt(2)
	v_pk_mul_f32 v[6:7], v[10:11], v[6:7] op_sel_hi:[1,0]
	v_pk_add_f32 v[4:5], v[4:5], v[148:149]
	v_pk_fma_f32 v[8:9], v[10:11], v[58:59], v[6:7] op_sel:[0,0,1] op_sel_hi:[1,1,0] neg_lo:[0,0,1] neg_hi:[0,0,1]
	v_pk_fma_f32 v[6:7], v[10:11], v[58:59], v[6:7] op_sel:[0,0,1] op_sel_hi:[1,0,0]
	v_pk_add_f32 v[4:5], v[4:5], v[24:25]
	s_waitcnt vmcnt(3)
	v_mov_b32_e32 v6, v157
	v_pk_add_f32 v[4:5], v[4:5], v[22:23]
	v_mov_b32_e32 v9, v7
	v_pk_mul_f32 v[6:7], v[12:13], v[6:7] op_sel_hi:[1,0]
	v_pk_add_f32 v[4:5], v[4:5], v[8:9]
	s_waitcnt vmcnt(2)
	v_pk_fma_f32 v[8:9], v[12:13], v[156:157], v[6:7] op_sel:[0,0,1] op_sel_hi:[1,1,0] neg_lo:[0,0,1] neg_hi:[0,0,1]
	v_pk_fma_f32 v[6:7], v[12:13], v[156:157], v[6:7] op_sel:[0,0,1] op_sel_hi:[1,0,0]
	v_mov_b32_e32 v6, v155
	v_mov_b32_e32 v9, v7
	s_waitcnt lgkmcnt(1)
	v_pk_mul_f32 v[6:7], v[14:15], v[6:7] op_sel_hi:[1,0]
	v_pk_add_f32 v[4:5], v[4:5], v[8:9]
	v_pk_fma_f32 v[8:9], v[14:15], v[154:155], v[6:7] op_sel:[0,0,1] op_sel_hi:[1,1,0] neg_lo:[0,0,1] neg_hi:[0,0,1]
	v_pk_fma_f32 v[6:7], v[14:15], v[154:155], v[6:7] op_sel:[0,0,1] op_sel_hi:[1,0,0]
	v_mov_b32_e32 v6, v153
	v_mov_b32_e32 v9, v7
	v_pk_mul_f32 v[6:7], v[16:17], v[6:7] op_sel_hi:[1,0]
	v_pk_add_f32 v[4:5], v[4:5], v[8:9]
	v_pk_fma_f32 v[8:9], v[16:17], v[152:153], v[6:7] op_sel:[0,0,1] op_sel_hi:[1,1,0] neg_lo:[0,0,1] neg_hi:[0,0,1]
	v_pk_fma_f32 v[6:7], v[16:17], v[152:153], v[6:7] op_sel:[0,0,1] op_sel_hi:[1,0,0]
	v_mov_b32_e32 v6, v151
	v_mov_b32_e32 v9, v7
	s_waitcnt lgkmcnt(0)
	v_pk_mul_f32 v[6:7], v[18:19], v[6:7] op_sel_hi:[1,0]
	v_pk_add_f32 v[4:5], v[4:5], v[8:9]
	v_pk_fma_f32 v[8:9], v[18:19], v[150:151], v[6:7] op_sel:[0,0,1] op_sel_hi:[1,1,0] neg_lo:[0,0,1] neg_hi:[0,0,1]
	v_pk_fma_f32 v[6:7], v[18:19], v[150:151], v[6:7] op_sel:[0,0,1] op_sel_hi:[1,0,0]
	s_waitcnt vmcnt(1)
	v_mov_b32_e32 v6, v159
	v_mov_b32_e32 v9, v7
	v_pk_mul_f32 v[6:7], v[20:21], v[6:7] op_sel_hi:[1,0]
	v_pk_add_f32 v[4:5], v[4:5], v[8:9]
	s_waitcnt vmcnt(0)
	v_pk_fma_f32 v[8:9], v[20:21], v[158:159], v[6:7] op_sel:[0,0,1] op_sel_hi:[1,1,0] neg_lo:[0,0,1] neg_hi:[0,0,1]
	v_pk_fma_f32 v[6:7], v[20:21], v[158:159], v[6:7] op_sel:[0,0,1] op_sel_hi:[1,0,0]
	v_mov_b32_e32 v9, v7
	v_pk_add_f32 v[4:5], v[4:5], v[8:9]
	v_pk_add_f32 v[2:3], v[2:3], v[4:5] neg_lo:[0,1] neg_hi:[0,1]
	buffer_store_dword v3, off, s[0:3], 0 offset:76
	buffer_store_dword v2, off, s[0:3], 0 offset:72
	s_and_saveexec_b64 s[4:5], vcc
	s_cbranch_execz .LBB105_249
; %bb.248:
	buffer_load_dword v2, off, s[0:3], 0 offset:64
	buffer_load_dword v3, off, s[0:3], 0 offset:68
	v_mov_b32_e32 v4, 0
	buffer_store_dword v4, off, s[0:3], 0 offset:64
	buffer_store_dword v4, off, s[0:3], 0 offset:68
	s_waitcnt vmcnt(2)
	ds_write_b64 v1, v[2:3]
.LBB105_249:
	s_or_b64 exec, exec, s[4:5]
	s_waitcnt lgkmcnt(0)
	; wave barrier
	s_waitcnt lgkmcnt(0)
	buffer_load_dword v5, off, s[0:3], 0 offset:76
	buffer_load_dword v62, off, s[0:3], 0 offset:84
	;; [unrolled: 1-line block ×52, first 2 shown]
	v_mov_b32_e32 v4, 0
	ds_read2_b64 v[6:9], v4 offset0:51 offset1:52
	ds_read2_b64 v[10:13], v4 offset0:53 offset1:54
	;; [unrolled: 1-line block ×6, first 2 shown]
	v_cmp_lt_u32_e32 vcc, 7, v0
	s_waitcnt vmcnt(51) lgkmcnt(5)
	v_mul_f32_e32 v30, v6, v5
	s_waitcnt vmcnt(50)
	v_mul_f32_e32 v31, v8, v62
	s_waitcnt vmcnt(49) lgkmcnt(4)
	v_mul_f32_e32 v32, v10, v152
	s_waitcnt vmcnt(48)
	v_mul_f32_e32 v33, v12, v154
	;; [unrolled: 4-line block ×5, first 2 shown]
	s_waitcnt vmcnt(41) lgkmcnt(0)
	v_mul_f32_e32 v40, v26, v174
	s_waitcnt vmcnt(40)
	v_fmac_f32_e32 v30, v7, v175
	s_waitcnt vmcnt(39)
	v_fmac_f32_e32 v31, v9, v176
	v_add_f32_e32 v30, 0, v30
	s_waitcnt vmcnt(38)
	v_fmac_f32_e32 v32, v11, v177
	v_add_f32_e32 v30, v30, v31
	;; [unrolled: 3-line block ×9, first 2 shown]
	v_add_f32_e32 v30, v30, v39
	s_waitcnt vmcnt(30)
	v_fmac_f32_e32 v40, v27, v185
	v_add_f32_e32 v34, v30, v40
	ds_read2_b64 v[30:33], v4 offset0:63 offset1:64
	s_waitcnt vmcnt(29)
	v_mul_f32_e32 v35, v28, v186
	s_waitcnt vmcnt(28)
	v_fmac_f32_e32 v35, v29, v187
	v_add_f32_e32 v38, v34, v35
	ds_read2_b64 v[34:37], v4 offset0:65 offset1:66
	s_waitcnt vmcnt(27) lgkmcnt(1)
	v_mul_f32_e32 v39, v30, v188
	s_waitcnt vmcnt(26)
	v_fmac_f32_e32 v39, v31, v189
	v_add_f32_e32 v38, v38, v39
	s_waitcnt vmcnt(25)
	v_mul_f32_e32 v39, v32, v190
	s_waitcnt vmcnt(24)
	v_fmac_f32_e32 v39, v33, v191
	v_add_f32_e32 v38, v38, v39
	s_waitcnt vmcnt(23) lgkmcnt(0)
	v_mul_f32_e32 v39, v34, v192
	s_waitcnt vmcnt(22)
	v_fmac_f32_e32 v39, v35, v193
	v_add_f32_e32 v42, v38, v39
	ds_read2_b64 v[38:41], v4 offset0:67 offset1:68
	s_waitcnt vmcnt(21)
	v_mul_f32_e32 v43, v36, v194
	s_waitcnt vmcnt(20)
	v_fmac_f32_e32 v43, v37, v195
	v_add_f32_e32 v46, v42, v43
	ds_read2_b64 v[42:45], v4 offset0:69 offset1:70
	s_waitcnt vmcnt(19) lgkmcnt(1)
	v_mul_f32_e32 v47, v38, v196
	s_waitcnt vmcnt(18)
	v_fmac_f32_e32 v47, v39, v197
	v_add_f32_e32 v46, v46, v47
	s_waitcnt vmcnt(17)
	v_mul_f32_e32 v47, v40, v198
	s_waitcnt vmcnt(16)
	v_fmac_f32_e32 v47, v41, v199
	v_add_f32_e32 v46, v46, v47
	s_waitcnt vmcnt(14) lgkmcnt(0)
	v_mul_f32_e32 v47, v42, v201
	v_fmac_f32_e32 v47, v43, v200
	v_add_f32_e32 v50, v46, v47
	ds_read2_b64 v[46:49], v4 offset0:71 offset1:72
	s_waitcnt vmcnt(10)
	v_mul_f32_e32 v51, v44, v203
	v_fmac_f32_e32 v51, v45, v202
	v_add_f32_e32 v54, v50, v51
	ds_read2_b64 v[50:53], v4 offset0:73 offset1:74
	s_waitcnt vmcnt(8) lgkmcnt(1)
	v_mul_f32_e32 v55, v46, v205
	v_fmac_f32_e32 v55, v47, v204
	v_add_f32_e32 v54, v54, v55
	s_waitcnt vmcnt(6)
	v_mul_f32_e32 v55, v48, v207
	v_fmac_f32_e32 v55, v49, v206
	v_add_f32_e32 v54, v54, v55
	s_waitcnt vmcnt(4) lgkmcnt(0)
	v_mul_f32_e32 v55, v50, v209
	v_fmac_f32_e32 v55, v51, v208
	v_add_f32_e32 v63, v54, v55
	ds_read2_b64 v[54:57], v4 offset0:75 offset1:76
	buffer_load_dword v149, off, s[0:3], 0 offset:284
	buffer_load_dword v148, off, s[0:3], 0 offset:280
	;; [unrolled: 1-line block ×4, first 2 shown]
	ds_read2_b64 v[58:61], v4 offset0:77 offset1:78
	buffer_load_dword v157, off, s[0:3], 0 offset:316
	buffer_load_dword v156, off, s[0:3], 0 offset:312
	;; [unrolled: 1-line block ×12, first 2 shown]
	v_mul_f32_e32 v5, v7, v5
	v_fma_f32 v5, v6, v175, -v5
	v_mul_f32_e32 v6, v9, v62
	v_add_f32_e32 v5, 0, v5
	v_fma_f32 v6, v8, v176, -v6
	v_add_f32_e32 v5, v5, v6
	v_mul_f32_e32 v6, v11, v152
	v_fma_f32 v6, v10, v177, -v6
	v_add_f32_e32 v5, v5, v6
	v_mul_f32_e32 v6, v13, v154
	;; [unrolled: 3-line block ×21, first 2 shown]
	v_fma_f32 v6, v50, v208, -v6
	s_waitcnt vmcnt(18)
	v_mul_f32_e32 v153, v52, v211
	v_add_f32_e32 v62, v5, v6
	v_mul_f32_e32 v5, v53, v211
	v_fmac_f32_e32 v153, v53, v210
	s_waitcnt vmcnt(16) lgkmcnt(1)
	v_mul_f32_e32 v155, v54, v213
	v_fma_f32 v152, v52, v210, -v5
	v_mul_f32_e32 v5, v55, v213
	v_fmac_f32_e32 v155, v55, v212
	s_waitcnt vmcnt(13)
	v_mov_b32_e32 v18, v151
	v_pk_mul_f32 v[18:19], v[56:57], v[18:19] op_sel_hi:[1,0]
	s_waitcnt vmcnt(12)
	v_pk_fma_f32 v[20:21], v[56:57], v[150:151], v[18:19] op_sel:[0,0,1] op_sel_hi:[1,1,0] neg_lo:[0,0,1] neg_hi:[0,0,1]
	v_pk_fma_f32 v[18:19], v[56:57], v[150:151], v[18:19] op_sel:[0,0,1] op_sel_hi:[1,0,0]
	v_fma_f32 v154, v54, v212, -v5
	v_pk_add_f32 v[16:17], v[62:63], v[152:153]
	v_mov_b32_e32 v18, v149
	v_pk_add_f32 v[16:17], v[16:17], v[154:155]
	v_mov_b32_e32 v21, v19
	s_waitcnt lgkmcnt(0)
	v_pk_mul_f32 v[18:19], v[58:59], v[18:19] op_sel_hi:[1,0]
	v_pk_add_f32 v[16:17], v[16:17], v[20:21]
	v_pk_fma_f32 v[20:21], v[58:59], v[148:149], v[18:19] op_sel:[0,0,1] op_sel_hi:[1,1,0] neg_lo:[0,0,1] neg_hi:[0,0,1]
	v_pk_fma_f32 v[18:19], v[58:59], v[148:149], v[18:19] op_sel:[0,0,1] op_sel_hi:[1,0,0]
	s_waitcnt vmcnt(5)
	v_mov_b32_e32 v18, v163
	ds_read2_b64 v[6:9], v4 offset0:79 offset1:80
	ds_read2_b64 v[10:13], v4 offset0:81 offset1:82
	ds_read_b64 v[14:15], v4 offset:664
	v_mov_b32_e32 v21, v19
	v_pk_mul_f32 v[18:19], v[60:61], v[18:19] op_sel_hi:[1,0]
	v_pk_add_f32 v[16:17], v[16:17], v[20:21]
	s_waitcnt vmcnt(4)
	v_pk_fma_f32 v[20:21], v[60:61], v[162:163], v[18:19] op_sel:[0,0,1] op_sel_hi:[1,1,0] neg_lo:[0,0,1] neg_hi:[0,0,1]
	v_pk_fma_f32 v[18:19], v[60:61], v[162:163], v[18:19] op_sel:[0,0,1] op_sel_hi:[1,0,0]
	v_mov_b32_e32 v18, v161
	v_mov_b32_e32 v21, v19
	s_waitcnt lgkmcnt(2)
	v_pk_mul_f32 v[18:19], v[6:7], v[18:19] op_sel_hi:[1,0]
	v_pk_add_f32 v[16:17], v[16:17], v[20:21]
	v_pk_fma_f32 v[20:21], v[6:7], v[160:161], v[18:19] op_sel:[0,0,1] op_sel_hi:[1,1,0] neg_lo:[0,0,1] neg_hi:[0,0,1]
	v_pk_fma_f32 v[6:7], v[6:7], v[160:161], v[18:19] op_sel:[0,0,1] op_sel_hi:[1,0,0]
	v_mov_b32_e32 v21, v7
	v_pk_add_f32 v[6:7], v[16:17], v[20:21]
	v_mov_b32_e32 v16, v159
	v_pk_mul_f32 v[16:17], v[8:9], v[16:17] op_sel_hi:[1,0]
	v_pk_fma_f32 v[18:19], v[8:9], v[158:159], v[16:17] op_sel:[0,0,1] op_sel_hi:[1,1,0] neg_lo:[0,0,1] neg_hi:[0,0,1]
	v_pk_fma_f32 v[8:9], v[8:9], v[158:159], v[16:17] op_sel:[0,0,1] op_sel_hi:[1,0,0]
	v_mov_b32_e32 v8, v157
	v_mov_b32_e32 v19, v9
	s_waitcnt lgkmcnt(1)
	v_pk_mul_f32 v[8:9], v[10:11], v[8:9] op_sel_hi:[1,0]
	v_pk_fma_f32 v[16:17], v[10:11], v[156:157], v[8:9] op_sel:[0,0,1] op_sel_hi:[1,1,0] neg_lo:[0,0,1] neg_hi:[0,0,1]
	v_pk_fma_f32 v[8:9], v[10:11], v[156:157], v[8:9] op_sel:[0,0,1] op_sel_hi:[1,0,0]
	s_waitcnt vmcnt(1)
	v_mov_b32_e32 v8, v167
	v_mov_b32_e32 v17, v9
	v_pk_mul_f32 v[8:9], v[12:13], v[8:9] op_sel_hi:[1,0]
	s_waitcnt vmcnt(0)
	v_pk_fma_f32 v[10:11], v[12:13], v[166:167], v[8:9] op_sel:[0,0,1] op_sel_hi:[1,1,0] neg_lo:[0,0,1] neg_hi:[0,0,1]
	v_pk_fma_f32 v[8:9], v[12:13], v[166:167], v[8:9] op_sel:[0,0,1] op_sel_hi:[1,0,0]
	v_pk_add_f32 v[6:7], v[6:7], v[18:19]
	v_mov_b32_e32 v8, v165
	v_pk_add_f32 v[6:7], v[6:7], v[16:17]
	v_mov_b32_e32 v11, v9
	s_waitcnt lgkmcnt(0)
	v_pk_mul_f32 v[8:9], v[14:15], v[8:9] op_sel_hi:[1,0]
	v_pk_add_f32 v[6:7], v[6:7], v[10:11]
	v_pk_fma_f32 v[10:11], v[14:15], v[164:165], v[8:9] op_sel:[0,0,1] op_sel_hi:[1,1,0] neg_lo:[0,0,1] neg_hi:[0,0,1]
	v_pk_fma_f32 v[8:9], v[14:15], v[164:165], v[8:9] op_sel:[0,0,1] op_sel_hi:[1,0,0]
	v_mov_b32_e32 v11, v9
	v_pk_add_f32 v[6:7], v[6:7], v[10:11]
	v_pk_add_f32 v[2:3], v[2:3], v[6:7] neg_lo:[0,1] neg_hi:[0,1]
	buffer_store_dword v3, off, s[0:3], 0 offset:68
	buffer_store_dword v2, off, s[0:3], 0 offset:64
	s_and_saveexec_b64 s[4:5], vcc
	s_cbranch_execz .LBB105_251
; %bb.250:
	buffer_load_dword v2, off, s[0:3], 0 offset:56
	buffer_load_dword v3, off, s[0:3], 0 offset:60
	s_waitcnt vmcnt(0)
	ds_write_b64 v1, v[2:3]
	buffer_store_dword v4, off, s[0:3], 0 offset:56
	buffer_store_dword v4, off, s[0:3], 0 offset:60
.LBB105_251:
	s_or_b64 exec, exec, s[4:5]
	s_waitcnt lgkmcnt(0)
	; wave barrier
	s_waitcnt lgkmcnt(0)
	buffer_load_dword v5, off, s[0:3], 0 offset:68
	buffer_load_dword v148, off, s[0:3], 0 offset:76
	;; [unrolled: 1-line block ×42, first 2 shown]
	ds_read_b128 v[6:9], v4 offset:400
	ds_read_b128 v[10:13], v4 offset:416
	buffer_load_dword v204, off, s[0:3], 0 offset:224
	buffer_load_dword v205, off, s[0:3], 0 offset:228
	ds_read_b128 v[14:17], v4 offset:432
	ds_read_b128 v[18:21], v4 offset:448
	buffer_load_dword v206, off, s[0:3], 0 offset:232
	buffer_load_dword v207, off, s[0:3], 0 offset:236
	;; [unrolled: 1-line block ×4, first 2 shown]
	ds_read_b128 v[22:25], v4 offset:464
	ds_read_b128 v[26:29], v4 offset:480
	buffer_load_dword v210, off, s[0:3], 0 offset:248
	buffer_load_dword v211, off, s[0:3], 0 offset:252
	;; [unrolled: 1-line block ×6, first 2 shown]
	v_cmp_lt_u32_e32 vcc, 6, v0
	s_waitcnt vmcnt(53) lgkmcnt(5)
	v_mul_f32_e32 v30, v6, v5
	s_waitcnt vmcnt(52)
	v_mul_f32_e32 v31, v8, v148
	s_waitcnt vmcnt(51) lgkmcnt(4)
	v_mul_f32_e32 v32, v10, v150
	s_waitcnt vmcnt(50)
	v_mul_f32_e32 v33, v12, v152
	;; [unrolled: 4-line block ×5, first 2 shown]
	s_waitcnt vmcnt(43)
	v_fmac_f32_e32 v30, v7, v174
	s_waitcnt vmcnt(42)
	v_fmac_f32_e32 v31, v9, v175
	v_add_f32_e32 v30, 0, v30
	s_waitcnt vmcnt(41)
	v_fmac_f32_e32 v32, v11, v176
	v_add_f32_e32 v30, v30, v31
	;; [unrolled: 3-line block ×9, first 2 shown]
	s_waitcnt vmcnt(33) lgkmcnt(0)
	v_mul_f32_e32 v31, v26, v184
	v_add_f32_e32 v30, v30, v39
	s_waitcnt vmcnt(32)
	v_fmac_f32_e32 v31, v27, v185
	v_add_f32_e32 v34, v30, v31
	ds_read_b128 v[30:33], v4 offset:496
	s_waitcnt vmcnt(31)
	v_mul_f32_e32 v35, v28, v186
	s_waitcnt vmcnt(30)
	v_fmac_f32_e32 v35, v29, v187
	v_add_f32_e32 v38, v34, v35
	ds_read_b128 v[34:37], v4 offset:512
	s_waitcnt vmcnt(29) lgkmcnt(1)
	v_mul_f32_e32 v39, v30, v188
	s_waitcnt vmcnt(28)
	v_fmac_f32_e32 v39, v31, v189
	v_add_f32_e32 v38, v38, v39
	s_waitcnt vmcnt(27)
	v_mul_f32_e32 v39, v32, v190
	s_waitcnt vmcnt(26)
	v_fmac_f32_e32 v39, v33, v191
	v_add_f32_e32 v38, v38, v39
	s_waitcnt vmcnt(25) lgkmcnt(0)
	v_mul_f32_e32 v39, v34, v192
	s_waitcnt vmcnt(24)
	v_fmac_f32_e32 v39, v35, v193
	v_add_f32_e32 v42, v38, v39
	ds_read_b128 v[38:41], v4 offset:528
	s_waitcnt vmcnt(23)
	v_mul_f32_e32 v43, v36, v194
	s_waitcnt vmcnt(22)
	v_fmac_f32_e32 v43, v37, v195
	v_add_f32_e32 v46, v42, v43
	ds_read_b128 v[42:45], v4 offset:544
	s_waitcnt vmcnt(21) lgkmcnt(1)
	v_mul_f32_e32 v47, v38, v196
	s_waitcnt vmcnt(20)
	v_fmac_f32_e32 v47, v39, v197
	v_add_f32_e32 v46, v46, v47
	s_waitcnt vmcnt(18)
	v_mul_f32_e32 v47, v40, v199
	v_fmac_f32_e32 v47, v41, v198
	v_add_f32_e32 v46, v46, v47
	s_waitcnt vmcnt(15) lgkmcnt(0)
	v_mul_f32_e32 v47, v42, v200
	s_waitcnt vmcnt(14)
	v_fmac_f32_e32 v47, v43, v201
	v_add_f32_e32 v50, v46, v47
	ds_read_b128 v[46:49], v4 offset:560
	s_waitcnt vmcnt(12)
	v_mul_f32_e32 v51, v44, v203
	v_fmac_f32_e32 v51, v45, v202
	v_add_f32_e32 v54, v50, v51
	ds_read_b128 v[50:53], v4 offset:576
	buffer_load_dword v63, off, s[0:3], 0 offset:276
	buffer_load_dword v62, off, s[0:3], 0 offset:272
	s_waitcnt vmcnt(12) lgkmcnt(1)
	v_mul_f32_e32 v55, v46, v205
	v_fmac_f32_e32 v55, v47, v204
	v_add_f32_e32 v54, v54, v55
	s_waitcnt vmcnt(10)
	v_mul_f32_e32 v55, v48, v207
	v_fmac_f32_e32 v55, v49, v206
	v_add_f32_e32 v54, v54, v55
	s_waitcnt vmcnt(8) lgkmcnt(0)
	v_mul_f32_e32 v55, v50, v209
	v_fmac_f32_e32 v55, v51, v208
	s_waitcnt vmcnt(6)
	v_mul_f32_e32 v59, v52, v211
	v_add_f32_e32 v58, v54, v55
	v_fmac_f32_e32 v59, v53, v210
	ds_read_b128 v[54:57], v4 offset:592
	v_add_f32_e32 v149, v58, v59
	ds_read_b128 v[58:61], v4 offset:608
	buffer_load_dword v155, off, s[0:3], 0 offset:308
	buffer_load_dword v154, off, s[0:3], 0 offset:304
	buffer_load_dword v157, off, s[0:3], 0 offset:300
	buffer_load_dword v156, off, s[0:3], 0 offset:296
	buffer_load_dword v159, off, s[0:3], 0 offset:292
	buffer_load_dword v158, off, s[0:3], 0 offset:288
	buffer_load_dword v161, off, s[0:3], 0 offset:284
	buffer_load_dword v160, off, s[0:3], 0 offset:280
	buffer_load_dword v163, off, s[0:3], 0 offset:332
	buffer_load_dword v162, off, s[0:3], 0 offset:328
	buffer_load_dword v165, off, s[0:3], 0 offset:324
	buffer_load_dword v164, off, s[0:3], 0 offset:320
	buffer_load_dword v167, off, s[0:3], 0 offset:316
	buffer_load_dword v166, off, s[0:3], 0 offset:312
	v_mul_f32_e32 v5, v7, v5
	v_fma_f32 v5, v6, v174, -v5
	v_mul_f32_e32 v6, v9, v148
	v_add_f32_e32 v5, 0, v5
	v_fma_f32 v6, v8, v175, -v6
	v_add_f32_e32 v5, v5, v6
	v_mul_f32_e32 v6, v11, v150
	v_fma_f32 v6, v10, v176, -v6
	v_add_f32_e32 v5, v5, v6
	v_mul_f32_e32 v6, v13, v152
	;; [unrolled: 3-line block ×22, first 2 shown]
	v_fma_f32 v6, v52, v210, -v6
	s_waitcnt vmcnt(15)
	v_mov_b32_e32 v18, v63
	s_waitcnt lgkmcnt(1)
	v_mul_f32_e32 v151, v54, v213
	v_add_f32_e32 v148, v5, v6
	v_mul_f32_e32 v5, v55, v213
	s_waitcnt lgkmcnt(0)
	v_pk_mul_f32 v[18:19], v[58:59], v[18:19] op_sel_hi:[1,0]
	v_fmac_f32_e32 v151, v55, v212
	v_mul_f32_e32 v153, v56, v215
	v_fma_f32 v150, v54, v212, -v5
	v_mul_f32_e32 v5, v57, v215
	s_waitcnt vmcnt(14)
	v_pk_fma_f32 v[20:21], v[58:59], v[62:63], v[18:19] op_sel:[0,0,1] op_sel_hi:[1,1,0] neg_lo:[0,0,1] neg_hi:[0,0,1]
	v_pk_fma_f32 v[18:19], v[58:59], v[62:63], v[18:19] op_sel:[0,0,1] op_sel_hi:[1,0,0]
	v_fmac_f32_e32 v153, v57, v214
	v_fma_f32 v152, v56, v214, -v5
	ds_read_b128 v[6:9], v4 offset:624
	ds_read_b128 v[10:13], v4 offset:640
	ds_read_b128 v[14:17], v4 offset:656
	v_pk_add_f32 v[4:5], v[148:149], v[150:151]
	s_waitcnt vmcnt(7)
	v_mov_b32_e32 v18, v161
	v_pk_add_f32 v[4:5], v[4:5], v[152:153]
	v_mov_b32_e32 v21, v19
	v_pk_mul_f32 v[18:19], v[60:61], v[18:19] op_sel_hi:[1,0]
	v_pk_add_f32 v[4:5], v[4:5], v[20:21]
	s_waitcnt vmcnt(6)
	v_pk_fma_f32 v[20:21], v[60:61], v[160:161], v[18:19] op_sel:[0,0,1] op_sel_hi:[1,1,0] neg_lo:[0,0,1] neg_hi:[0,0,1]
	v_pk_fma_f32 v[18:19], v[60:61], v[160:161], v[18:19] op_sel:[0,0,1] op_sel_hi:[1,0,0]
	v_mov_b32_e32 v18, v159
	v_mov_b32_e32 v21, v19
	s_waitcnt lgkmcnt(2)
	v_pk_mul_f32 v[18:19], v[6:7], v[18:19] op_sel_hi:[1,0]
	v_pk_add_f32 v[4:5], v[4:5], v[20:21]
	v_pk_fma_f32 v[20:21], v[6:7], v[158:159], v[18:19] op_sel:[0,0,1] op_sel_hi:[1,1,0] neg_lo:[0,0,1] neg_hi:[0,0,1]
	v_pk_fma_f32 v[6:7], v[6:7], v[158:159], v[18:19] op_sel:[0,0,1] op_sel_hi:[1,0,0]
	v_mov_b32_e32 v6, v157
	v_mov_b32_e32 v21, v7
	v_pk_mul_f32 v[6:7], v[8:9], v[6:7] op_sel_hi:[1,0]
	v_pk_fma_f32 v[18:19], v[8:9], v[156:157], v[6:7] op_sel:[0,0,1] op_sel_hi:[1,1,0] neg_lo:[0,0,1] neg_hi:[0,0,1]
	v_pk_fma_f32 v[6:7], v[8:9], v[156:157], v[6:7] op_sel:[0,0,1] op_sel_hi:[1,0,0]
	v_mov_b32_e32 v6, v155
	v_mov_b32_e32 v19, v7
	s_waitcnt lgkmcnt(1)
	v_pk_mul_f32 v[6:7], v[10:11], v[6:7] op_sel_hi:[1,0]
	v_pk_fma_f32 v[8:9], v[10:11], v[154:155], v[6:7] op_sel:[0,0,1] op_sel_hi:[1,1,0] neg_lo:[0,0,1] neg_hi:[0,0,1]
	v_pk_fma_f32 v[6:7], v[10:11], v[154:155], v[6:7] op_sel:[0,0,1] op_sel_hi:[1,0,0]
	v_pk_add_f32 v[4:5], v[4:5], v[20:21]
	s_waitcnt vmcnt(1)
	v_mov_b32_e32 v6, v167
	v_pk_add_f32 v[4:5], v[4:5], v[18:19]
	v_mov_b32_e32 v9, v7
	v_pk_mul_f32 v[6:7], v[12:13], v[6:7] op_sel_hi:[1,0]
	v_pk_add_f32 v[4:5], v[4:5], v[8:9]
	s_waitcnt vmcnt(0)
	v_pk_fma_f32 v[8:9], v[12:13], v[166:167], v[6:7] op_sel:[0,0,1] op_sel_hi:[1,1,0] neg_lo:[0,0,1] neg_hi:[0,0,1]
	v_pk_fma_f32 v[6:7], v[12:13], v[166:167], v[6:7] op_sel:[0,0,1] op_sel_hi:[1,0,0]
	v_mov_b32_e32 v6, v165
	v_mov_b32_e32 v9, v7
	s_waitcnt lgkmcnt(0)
	v_pk_mul_f32 v[6:7], v[14:15], v[6:7] op_sel_hi:[1,0]
	v_pk_add_f32 v[4:5], v[4:5], v[8:9]
	v_pk_fma_f32 v[8:9], v[14:15], v[164:165], v[6:7] op_sel:[0,0,1] op_sel_hi:[1,1,0] neg_lo:[0,0,1] neg_hi:[0,0,1]
	v_pk_fma_f32 v[6:7], v[14:15], v[164:165], v[6:7] op_sel:[0,0,1] op_sel_hi:[1,0,0]
	v_mov_b32_e32 v6, v163
	v_mov_b32_e32 v9, v7
	v_pk_mul_f32 v[6:7], v[16:17], v[6:7] op_sel_hi:[1,0]
	v_pk_add_f32 v[4:5], v[4:5], v[8:9]
	v_pk_fma_f32 v[8:9], v[16:17], v[162:163], v[6:7] op_sel:[0,0,1] op_sel_hi:[1,1,0] neg_lo:[0,0,1] neg_hi:[0,0,1]
	v_pk_fma_f32 v[6:7], v[16:17], v[162:163], v[6:7] op_sel:[0,0,1] op_sel_hi:[1,0,0]
	v_mov_b32_e32 v9, v7
	v_pk_add_f32 v[4:5], v[4:5], v[8:9]
	v_pk_add_f32 v[2:3], v[2:3], v[4:5] neg_lo:[0,1] neg_hi:[0,1]
	buffer_store_dword v3, off, s[0:3], 0 offset:60
	buffer_store_dword v2, off, s[0:3], 0 offset:56
	s_and_saveexec_b64 s[4:5], vcc
	s_cbranch_execz .LBB105_253
; %bb.252:
	buffer_load_dword v2, off, s[0:3], 0 offset:48
	buffer_load_dword v3, off, s[0:3], 0 offset:52
	v_mov_b32_e32 v4, 0
	buffer_store_dword v4, off, s[0:3], 0 offset:48
	buffer_store_dword v4, off, s[0:3], 0 offset:52
	s_waitcnt vmcnt(2)
	ds_write_b64 v1, v[2:3]
.LBB105_253:
	s_or_b64 exec, exec, s[4:5]
	s_waitcnt lgkmcnt(0)
	; wave barrier
	s_waitcnt lgkmcnt(0)
	buffer_load_dword v5, off, s[0:3], 0 offset:60
	buffer_load_dword v62, off, s[0:3], 0 offset:68
	;; [unrolled: 1-line block ×56, first 2 shown]
	v_mov_b32_e32 v4, 0
	ds_read2_b64 v[6:9], v4 offset0:49 offset1:50
	ds_read2_b64 v[10:13], v4 offset0:51 offset1:52
	;; [unrolled: 1-line block ×6, first 2 shown]
	v_cmp_lt_u32_e32 vcc, 5, v0
	s_waitcnt vmcnt(55) lgkmcnt(5)
	v_mul_f32_e32 v30, v6, v5
	s_waitcnt vmcnt(54)
	v_mul_f32_e32 v31, v8, v62
	s_waitcnt vmcnt(53) lgkmcnt(4)
	v_mul_f32_e32 v32, v10, v148
	s_waitcnt vmcnt(52)
	v_mul_f32_e32 v33, v12, v150
	;; [unrolled: 4-line block ×4, first 2 shown]
	s_waitcnt vmcnt(47) lgkmcnt(1)
	v_mul_f32_e32 v38, v22, v172
	s_waitcnt vmcnt(46)
	v_fmac_f32_e32 v30, v7, v173
	s_waitcnt vmcnt(45)
	v_fmac_f32_e32 v31, v9, v174
	v_add_f32_e32 v30, 0, v30
	s_waitcnt vmcnt(44)
	v_fmac_f32_e32 v32, v11, v175
	v_add_f32_e32 v30, v30, v31
	;; [unrolled: 3-line block ×7, first 2 shown]
	v_add_f32_e32 v30, v30, v37
	s_waitcnt vmcnt(38)
	v_fmac_f32_e32 v38, v23, v181
	s_waitcnt vmcnt(37)
	v_mul_f32_e32 v31, v24, v182
	v_add_f32_e32 v30, v30, v38
	s_waitcnt vmcnt(36)
	v_fmac_f32_e32 v31, v25, v183
	v_add_f32_e32 v30, v30, v31
	s_waitcnt vmcnt(35) lgkmcnt(0)
	v_mul_f32_e32 v31, v26, v184
	s_waitcnt vmcnt(34)
	v_fmac_f32_e32 v31, v27, v185
	v_add_f32_e32 v34, v30, v31
	ds_read2_b64 v[30:33], v4 offset0:61 offset1:62
	s_waitcnt vmcnt(33)
	v_mul_f32_e32 v35, v28, v186
	s_waitcnt vmcnt(32)
	v_fmac_f32_e32 v35, v29, v187
	v_add_f32_e32 v38, v34, v35
	ds_read2_b64 v[34:37], v4 offset0:63 offset1:64
	s_waitcnt vmcnt(31) lgkmcnt(1)
	v_mul_f32_e32 v39, v30, v188
	s_waitcnt vmcnt(30)
	v_fmac_f32_e32 v39, v31, v189
	v_add_f32_e32 v38, v38, v39
	s_waitcnt vmcnt(29)
	v_mul_f32_e32 v39, v32, v190
	s_waitcnt vmcnt(28)
	v_fmac_f32_e32 v39, v33, v191
	v_add_f32_e32 v38, v38, v39
	s_waitcnt vmcnt(27) lgkmcnt(0)
	v_mul_f32_e32 v39, v34, v192
	s_waitcnt vmcnt(26)
	v_fmac_f32_e32 v39, v35, v193
	v_add_f32_e32 v42, v38, v39
	ds_read2_b64 v[38:41], v4 offset0:65 offset1:66
	s_waitcnt vmcnt(24)
	v_mul_f32_e32 v43, v36, v195
	v_fmac_f32_e32 v43, v37, v194
	v_add_f32_e32 v46, v42, v43
	ds_read2_b64 v[42:45], v4 offset0:67 offset1:68
	s_waitcnt vmcnt(20) lgkmcnt(1)
	v_mul_f32_e32 v47, v38, v197
	v_fmac_f32_e32 v47, v39, v196
	v_add_f32_e32 v46, v46, v47
	s_waitcnt vmcnt(18)
	v_mul_f32_e32 v47, v40, v199
	v_fmac_f32_e32 v47, v41, v198
	v_add_f32_e32 v46, v46, v47
	s_waitcnt vmcnt(16) lgkmcnt(0)
	v_mul_f32_e32 v47, v42, v201
	v_fmac_f32_e32 v47, v43, v200
	v_add_f32_e32 v50, v46, v47
	ds_read2_b64 v[46:49], v4 offset0:69 offset1:70
	s_waitcnt vmcnt(14)
	v_mul_f32_e32 v51, v44, v203
	v_fmac_f32_e32 v51, v45, v202
	v_add_f32_e32 v54, v50, v51
	ds_read2_b64 v[50:53], v4 offset0:71 offset1:72
	s_waitcnt vmcnt(12) lgkmcnt(1)
	v_mul_f32_e32 v55, v46, v205
	v_fmac_f32_e32 v55, v47, v204
	v_add_f32_e32 v54, v54, v55
	s_waitcnt vmcnt(10)
	v_mul_f32_e32 v55, v48, v207
	v_fmac_f32_e32 v55, v49, v206
	v_add_f32_e32 v54, v54, v55
	s_waitcnt vmcnt(8) lgkmcnt(0)
	v_mul_f32_e32 v55, v50, v209
	v_fmac_f32_e32 v55, v51, v208
	s_waitcnt vmcnt(6)
	v_mul_f32_e32 v59, v52, v211
	v_add_f32_e32 v58, v54, v55
	v_fmac_f32_e32 v59, v53, v210
	ds_read2_b64 v[54:57], v4 offset0:73 offset1:74
	v_add_f32_e32 v63, v58, v59
	ds_read2_b64 v[58:61], v4 offset0:75 offset1:76
	buffer_load_dword v153, off, s[0:3], 0 offset:300
	buffer_load_dword v152, off, s[0:3], 0 offset:296
	;; [unrolled: 1-line block ×16, first 2 shown]
	v_mul_f32_e32 v5, v7, v5
	v_fma_f32 v5, v6, v173, -v5
	v_mul_f32_e32 v6, v9, v62
	v_add_f32_e32 v5, 0, v5
	v_fma_f32 v6, v8, v174, -v6
	v_add_f32_e32 v5, v5, v6
	v_mul_f32_e32 v6, v11, v148
	v_fma_f32 v6, v10, v175, -v6
	v_add_f32_e32 v5, v5, v6
	v_mul_f32_e32 v6, v13, v150
	;; [unrolled: 3-line block ×22, first 2 shown]
	v_fma_f32 v6, v52, v210, -v6
	s_waitcnt vmcnt(20) lgkmcnt(1)
	v_mul_f32_e32 v149, v54, v213
	v_add_f32_e32 v5, v5, v6
	v_mul_f32_e32 v6, v55, v213
	v_fmac_f32_e32 v149, v55, v212
	v_fma_f32 v6, v54, v212, -v6
	s_waitcnt vmcnt(9)
	v_mov_b32_e32 v22, v159
	v_add_f32_e32 v63, v63, v149
	v_mul_f32_e32 v149, v56, v215
	v_add_f32_e32 v62, v5, v6
	v_mul_f32_e32 v5, v57, v215
	s_waitcnt lgkmcnt(0)
	v_pk_mul_f32 v[22:23], v[60:61], v[22:23] op_sel_hi:[1,0]
	v_fmac_f32_e32 v149, v57, v214
	v_mul_f32_e32 v151, v58, v217
	v_fma_f32 v148, v56, v214, -v5
	v_mul_f32_e32 v5, v59, v217
	ds_read2_b64 v[6:9], v4 offset0:77 offset1:78
	ds_read2_b64 v[10:13], v4 offset0:79 offset1:80
	;; [unrolled: 1-line block ×3, first 2 shown]
	ds_read_b64 v[18:19], v4 offset:664
	s_waitcnt vmcnt(8)
	v_pk_fma_f32 v[24:25], v[60:61], v[158:159], v[22:23] op_sel:[0,0,1] op_sel_hi:[1,1,0] neg_lo:[0,0,1] neg_hi:[0,0,1]
	v_pk_fma_f32 v[22:23], v[60:61], v[158:159], v[22:23] op_sel:[0,0,1] op_sel_hi:[1,0,0]
	v_fmac_f32_e32 v151, v59, v216
	v_fma_f32 v150, v58, v216, -v5
	v_pk_add_f32 v[20:21], v[62:63], v[148:149]
	v_mov_b32_e32 v22, v157
	v_pk_add_f32 v[20:21], v[20:21], v[150:151]
	v_mov_b32_e32 v25, v23
	s_waitcnt lgkmcnt(3)
	v_pk_mul_f32 v[22:23], v[6:7], v[22:23] op_sel_hi:[1,0]
	v_pk_add_f32 v[20:21], v[20:21], v[24:25]
	v_pk_fma_f32 v[24:25], v[6:7], v[156:157], v[22:23] op_sel:[0,0,1] op_sel_hi:[1,1,0] neg_lo:[0,0,1] neg_hi:[0,0,1]
	v_pk_fma_f32 v[6:7], v[6:7], v[156:157], v[22:23] op_sel:[0,0,1] op_sel_hi:[1,0,0]
	v_mov_b32_e32 v25, v7
	v_pk_add_f32 v[6:7], v[20:21], v[24:25]
	v_mov_b32_e32 v20, v155
	v_pk_mul_f32 v[20:21], v[8:9], v[20:21] op_sel_hi:[1,0]
	v_pk_fma_f32 v[22:23], v[8:9], v[154:155], v[20:21] op_sel:[0,0,1] op_sel_hi:[1,1,0] neg_lo:[0,0,1] neg_hi:[0,0,1]
	v_pk_fma_f32 v[8:9], v[8:9], v[154:155], v[20:21] op_sel:[0,0,1] op_sel_hi:[1,0,0]
	v_mov_b32_e32 v8, v153
	v_mov_b32_e32 v23, v9
	s_waitcnt lgkmcnt(2)
	v_pk_mul_f32 v[8:9], v[10:11], v[8:9] op_sel_hi:[1,0]
	v_pk_fma_f32 v[20:21], v[10:11], v[152:153], v[8:9] op_sel:[0,0,1] op_sel_hi:[1,1,0] neg_lo:[0,0,1] neg_hi:[0,0,1]
	v_pk_fma_f32 v[8:9], v[10:11], v[152:153], v[8:9] op_sel:[0,0,1] op_sel_hi:[1,0,0]
	s_waitcnt vmcnt(1)
	v_mov_b32_e32 v8, v167
	v_mov_b32_e32 v21, v9
	v_pk_mul_f32 v[8:9], v[12:13], v[8:9] op_sel_hi:[1,0]
	s_waitcnt vmcnt(0)
	v_pk_fma_f32 v[10:11], v[12:13], v[166:167], v[8:9] op_sel:[0,0,1] op_sel_hi:[1,1,0] neg_lo:[0,0,1] neg_hi:[0,0,1]
	v_pk_fma_f32 v[8:9], v[12:13], v[166:167], v[8:9] op_sel:[0,0,1] op_sel_hi:[1,0,0]
	v_pk_add_f32 v[6:7], v[6:7], v[22:23]
	v_mov_b32_e32 v8, v165
	v_pk_add_f32 v[6:7], v[6:7], v[20:21]
	v_mov_b32_e32 v11, v9
	s_waitcnt lgkmcnt(1)
	v_pk_mul_f32 v[8:9], v[14:15], v[8:9] op_sel_hi:[1,0]
	v_pk_add_f32 v[6:7], v[6:7], v[10:11]
	v_pk_fma_f32 v[10:11], v[14:15], v[164:165], v[8:9] op_sel:[0,0,1] op_sel_hi:[1,1,0] neg_lo:[0,0,1] neg_hi:[0,0,1]
	v_pk_fma_f32 v[8:9], v[14:15], v[164:165], v[8:9] op_sel:[0,0,1] op_sel_hi:[1,0,0]
	v_mov_b32_e32 v8, v163
	v_mov_b32_e32 v11, v9
	v_pk_mul_f32 v[8:9], v[16:17], v[8:9] op_sel_hi:[1,0]
	v_pk_add_f32 v[6:7], v[6:7], v[10:11]
	v_pk_fma_f32 v[10:11], v[16:17], v[162:163], v[8:9] op_sel:[0,0,1] op_sel_hi:[1,1,0] neg_lo:[0,0,1] neg_hi:[0,0,1]
	v_pk_fma_f32 v[8:9], v[16:17], v[162:163], v[8:9] op_sel:[0,0,1] op_sel_hi:[1,0,0]
	v_mov_b32_e32 v8, v161
	v_mov_b32_e32 v11, v9
	s_waitcnt lgkmcnt(0)
	v_pk_mul_f32 v[8:9], v[18:19], v[8:9] op_sel_hi:[1,0]
	v_pk_add_f32 v[6:7], v[6:7], v[10:11]
	v_pk_fma_f32 v[10:11], v[18:19], v[160:161], v[8:9] op_sel:[0,0,1] op_sel_hi:[1,1,0] neg_lo:[0,0,1] neg_hi:[0,0,1]
	v_pk_fma_f32 v[8:9], v[18:19], v[160:161], v[8:9] op_sel:[0,0,1] op_sel_hi:[1,0,0]
	v_mov_b32_e32 v11, v9
	v_pk_add_f32 v[6:7], v[6:7], v[10:11]
	v_pk_add_f32 v[2:3], v[2:3], v[6:7] neg_lo:[0,1] neg_hi:[0,1]
	buffer_store_dword v3, off, s[0:3], 0 offset:52
	buffer_store_dword v2, off, s[0:3], 0 offset:48
	s_and_saveexec_b64 s[4:5], vcc
	s_cbranch_execz .LBB105_255
; %bb.254:
	buffer_load_dword v2, off, s[0:3], 0 offset:40
	buffer_load_dword v3, off, s[0:3], 0 offset:44
	s_waitcnt vmcnt(0)
	ds_write_b64 v1, v[2:3]
	buffer_store_dword v4, off, s[0:3], 0 offset:40
	buffer_store_dword v4, off, s[0:3], 0 offset:44
.LBB105_255:
	s_or_b64 exec, exec, s[4:5]
	s_waitcnt lgkmcnt(0)
	; wave barrier
	s_waitcnt lgkmcnt(0)
	buffer_load_dword v5, off, s[0:3], 0 offset:52
	buffer_load_dword v62, off, s[0:3], 0 offset:60
	;; [unrolled: 1-line block ×36, first 2 shown]
	ds_read_b128 v[6:9], v4 offset:384
	ds_read_b128 v[10:13], v4 offset:400
	buffer_load_dword v198, off, s[0:3], 0 offset:184
	buffer_load_dword v199, off, s[0:3], 0 offset:188
	;; [unrolled: 1-line block ×4, first 2 shown]
	ds_read_b128 v[14:17], v4 offset:416
	ds_read_b128 v[18:21], v4 offset:432
	buffer_load_dword v202, off, s[0:3], 0 offset:200
	buffer_load_dword v203, off, s[0:3], 0 offset:204
	ds_read_b128 v[22:25], v4 offset:448
	ds_read_b128 v[26:29], v4 offset:464
	buffer_load_dword v204, off, s[0:3], 0 offset:208
	buffer_load_dword v205, off, s[0:3], 0 offset:212
	;; [unrolled: 1-line block ×16, first 2 shown]
	v_cmp_lt_u32_e32 vcc, 4, v0
	s_waitcnt vmcnt(57) lgkmcnt(5)
	v_mul_f32_e32 v30, v6, v5
	s_waitcnt vmcnt(56)
	v_mul_f32_e32 v31, v8, v62
	s_waitcnt vmcnt(55) lgkmcnt(4)
	v_mul_f32_e32 v32, v10, v148
	s_waitcnt vmcnt(54)
	v_mul_f32_e32 v33, v12, v156
	;; [unrolled: 4-line block ×4, first 2 shown]
	s_waitcnt vmcnt(49)
	v_fmac_f32_e32 v30, v7, v172
	s_waitcnt vmcnt(48)
	v_fmac_f32_e32 v31, v9, v173
	v_add_f32_e32 v30, 0, v30
	s_waitcnt vmcnt(47)
	v_fmac_f32_e32 v32, v11, v174
	v_add_f32_e32 v30, v30, v31
	;; [unrolled: 3-line block ×7, first 2 shown]
	s_waitcnt vmcnt(41) lgkmcnt(1)
	v_mul_f32_e32 v31, v22, v180
	v_add_f32_e32 v30, v30, v37
	s_waitcnt vmcnt(40)
	v_fmac_f32_e32 v31, v23, v181
	v_add_f32_e32 v30, v30, v31
	s_waitcnt vmcnt(39)
	v_mul_f32_e32 v31, v24, v182
	s_waitcnt vmcnt(38)
	v_fmac_f32_e32 v31, v25, v183
	v_add_f32_e32 v30, v30, v31
	s_waitcnt vmcnt(37) lgkmcnt(0)
	v_mul_f32_e32 v31, v26, v184
	s_waitcnt vmcnt(36)
	v_fmac_f32_e32 v31, v27, v185
	v_add_f32_e32 v34, v30, v31
	ds_read_b128 v[30:33], v4 offset:480
	s_waitcnt vmcnt(35)
	v_mul_f32_e32 v35, v28, v186
	s_waitcnt vmcnt(34)
	v_fmac_f32_e32 v35, v29, v187
	v_add_f32_e32 v38, v34, v35
	ds_read_b128 v[34:37], v4 offset:496
	s_waitcnt vmcnt(33) lgkmcnt(1)
	v_mul_f32_e32 v39, v30, v188
	s_waitcnt vmcnt(32)
	v_fmac_f32_e32 v39, v31, v189
	v_add_f32_e32 v38, v38, v39
	s_waitcnt vmcnt(31)
	v_mul_f32_e32 v39, v32, v190
	s_waitcnt vmcnt(30)
	v_fmac_f32_e32 v39, v33, v191
	v_add_f32_e32 v38, v38, v39
	s_waitcnt vmcnt(29) lgkmcnt(0)
	v_mul_f32_e32 v39, v34, v192
	s_waitcnt vmcnt(28)
	v_fmac_f32_e32 v39, v35, v193
	v_add_f32_e32 v42, v38, v39
	ds_read_b128 v[38:41], v4 offset:512
	s_waitcnt vmcnt(25)
	v_mul_f32_e32 v43, v36, v194
	s_waitcnt vmcnt(24)
	v_fmac_f32_e32 v43, v37, v195
	v_add_f32_e32 v46, v42, v43
	ds_read_b128 v[42:45], v4 offset:528
	s_waitcnt vmcnt(22) lgkmcnt(1)
	v_mul_f32_e32 v47, v38, v197
	v_fmac_f32_e32 v47, v39, v196
	v_add_f32_e32 v46, v46, v47
	s_waitcnt vmcnt(20)
	v_mul_f32_e32 v47, v40, v199
	v_fmac_f32_e32 v47, v41, v198
	v_add_f32_e32 v46, v46, v47
	s_waitcnt vmcnt(18) lgkmcnt(0)
	v_mul_f32_e32 v47, v42, v201
	v_fmac_f32_e32 v47, v43, v200
	v_add_f32_e32 v50, v46, v47
	ds_read_b128 v[46:49], v4 offset:544
	s_waitcnt vmcnt(16)
	v_mul_f32_e32 v51, v44, v203
	v_fmac_f32_e32 v51, v45, v202
	v_add_f32_e32 v54, v50, v51
	ds_read_b128 v[50:53], v4 offset:560
	s_waitcnt vmcnt(14) lgkmcnt(1)
	v_mul_f32_e32 v55, v46, v205
	v_fmac_f32_e32 v55, v47, v204
	v_add_f32_e32 v54, v54, v55
	s_waitcnt vmcnt(12)
	v_mul_f32_e32 v55, v48, v207
	v_fmac_f32_e32 v55, v49, v206
	v_add_f32_e32 v54, v54, v55
	s_waitcnt vmcnt(10) lgkmcnt(0)
	v_mul_f32_e32 v55, v50, v209
	v_fmac_f32_e32 v55, v51, v208
	s_waitcnt vmcnt(8)
	v_mul_f32_e32 v59, v52, v211
	v_add_f32_e32 v58, v54, v55
	v_fmac_f32_e32 v59, v53, v210
	ds_read_b128 v[54:57], v4 offset:576
	v_add_f32_e32 v63, v58, v59
	ds_read_b128 v[58:61], v4 offset:592
	buffer_load_dword v151, off, s[0:3], 0 offset:292
	buffer_load_dword v150, off, s[0:3], 0 offset:288
	;; [unrolled: 1-line block ×16, first 2 shown]
	v_mul_f32_e32 v5, v7, v5
	v_fma_f32 v5, v6, v172, -v5
	v_mul_f32_e32 v6, v9, v62
	v_add_f32_e32 v5, 0, v5
	v_fma_f32 v6, v8, v173, -v6
	v_add_f32_e32 v5, v5, v6
	v_mul_f32_e32 v6, v11, v148
	v_fma_f32 v6, v10, v174, -v6
	v_add_f32_e32 v5, v5, v6
	v_mul_f32_e32 v6, v13, v156
	;; [unrolled: 3-line block ×22, first 2 shown]
	v_fma_f32 v6, v52, v210, -v6
	v_add_f32_e32 v5, v5, v6
	s_waitcnt vmcnt(22) lgkmcnt(1)
	v_mul_f32_e32 v6, v55, v213
	v_fma_f32 v6, v54, v212, -v6
	v_add_f32_e32 v5, v5, v6
	s_waitcnt vmcnt(20)
	v_mul_f32_e32 v6, v57, v215
	v_fma_f32 v6, v56, v214, -v6
	v_add_f32_e32 v62, v5, v6
	ds_read_b128 v[6:9], v4 offset:608
	ds_read_b128 v[10:13], v4 offset:624
	ds_read_b128 v[14:17], v4 offset:640
	ds_read_b128 v[18:21], v4 offset:656
	s_waitcnt vmcnt(11)
	v_mov_b32_e32 v22, v155
	v_mul_f32_e32 v149, v54, v213
	s_waitcnt lgkmcnt(3)
	v_pk_mul_f32 v[22:23], v[6:7], v[22:23] op_sel_hi:[1,0]
	v_fmac_f32_e32 v149, v55, v212
	s_waitcnt vmcnt(10)
	v_pk_fma_f32 v[24:25], v[6:7], v[154:155], v[22:23] op_sel:[0,0,1] op_sel_hi:[1,1,0] neg_lo:[0,0,1] neg_hi:[0,0,1]
	v_pk_fma_f32 v[6:7], v[6:7], v[154:155], v[22:23] op_sel:[0,0,1] op_sel_hi:[1,0,0]
	v_add_f32_e32 v63, v63, v149
	v_mul_f32_e32 v149, v56, v215
	v_mov_b32_e32 v6, v153
	v_fmac_f32_e32 v149, v57, v214
	v_mov_b32_e32 v25, v7
	v_pk_mul_f32 v[6:7], v[8:9], v[6:7] op_sel_hi:[1,0]
	v_add_f32_e32 v63, v63, v149
	v_mul_f32_e32 v149, v58, v217
	v_mul_f32_e32 v5, v59, v217
	v_pk_fma_f32 v[22:23], v[8:9], v[152:153], v[6:7] op_sel:[0,0,1] op_sel_hi:[1,1,0] neg_lo:[0,0,1] neg_hi:[0,0,1]
	v_pk_fma_f32 v[6:7], v[8:9], v[152:153], v[6:7] op_sel:[0,0,1] op_sel_hi:[1,0,0]
	v_fmac_f32_e32 v149, v59, v216
	v_mul_f32_e32 v157, v60, v219
	v_fma_f32 v148, v58, v216, -v5
	v_mul_f32_e32 v5, v61, v219
	v_mov_b32_e32 v6, v151
	v_fmac_f32_e32 v157, v61, v218
	v_fma_f32 v156, v60, v218, -v5
	v_pk_add_f32 v[4:5], v[62:63], v[148:149]
	v_mov_b32_e32 v23, v7
	s_waitcnt lgkmcnt(2)
	v_pk_mul_f32 v[6:7], v[10:11], v[6:7] op_sel_hi:[1,0]
	v_pk_add_f32 v[4:5], v[4:5], v[156:157]
	v_pk_fma_f32 v[8:9], v[10:11], v[150:151], v[6:7] op_sel:[0,0,1] op_sel_hi:[1,1,0] neg_lo:[0,0,1] neg_hi:[0,0,1]
	v_pk_fma_f32 v[6:7], v[10:11], v[150:151], v[6:7] op_sel:[0,0,1] op_sel_hi:[1,0,0]
	v_pk_add_f32 v[4:5], v[4:5], v[24:25]
	s_waitcnt vmcnt(3)
	v_mov_b32_e32 v6, v165
	v_pk_add_f32 v[4:5], v[4:5], v[22:23]
	v_mov_b32_e32 v9, v7
	v_pk_mul_f32 v[6:7], v[12:13], v[6:7] op_sel_hi:[1,0]
	v_pk_add_f32 v[4:5], v[4:5], v[8:9]
	s_waitcnt vmcnt(2)
	v_pk_fma_f32 v[8:9], v[12:13], v[164:165], v[6:7] op_sel:[0,0,1] op_sel_hi:[1,1,0] neg_lo:[0,0,1] neg_hi:[0,0,1]
	v_pk_fma_f32 v[6:7], v[12:13], v[164:165], v[6:7] op_sel:[0,0,1] op_sel_hi:[1,0,0]
	v_mov_b32_e32 v6, v163
	v_mov_b32_e32 v9, v7
	s_waitcnt lgkmcnt(1)
	v_pk_mul_f32 v[6:7], v[14:15], v[6:7] op_sel_hi:[1,0]
	v_pk_add_f32 v[4:5], v[4:5], v[8:9]
	v_pk_fma_f32 v[8:9], v[14:15], v[162:163], v[6:7] op_sel:[0,0,1] op_sel_hi:[1,1,0] neg_lo:[0,0,1] neg_hi:[0,0,1]
	v_pk_fma_f32 v[6:7], v[14:15], v[162:163], v[6:7] op_sel:[0,0,1] op_sel_hi:[1,0,0]
	v_mov_b32_e32 v6, v161
	v_mov_b32_e32 v9, v7
	v_pk_mul_f32 v[6:7], v[16:17], v[6:7] op_sel_hi:[1,0]
	v_pk_add_f32 v[4:5], v[4:5], v[8:9]
	v_pk_fma_f32 v[8:9], v[16:17], v[160:161], v[6:7] op_sel:[0,0,1] op_sel_hi:[1,1,0] neg_lo:[0,0,1] neg_hi:[0,0,1]
	v_pk_fma_f32 v[6:7], v[16:17], v[160:161], v[6:7] op_sel:[0,0,1] op_sel_hi:[1,0,0]
	v_mov_b32_e32 v6, v159
	v_mov_b32_e32 v9, v7
	s_waitcnt lgkmcnt(0)
	v_pk_mul_f32 v[6:7], v[18:19], v[6:7] op_sel_hi:[1,0]
	v_pk_add_f32 v[4:5], v[4:5], v[8:9]
	v_pk_fma_f32 v[8:9], v[18:19], v[158:159], v[6:7] op_sel:[0,0,1] op_sel_hi:[1,1,0] neg_lo:[0,0,1] neg_hi:[0,0,1]
	v_pk_fma_f32 v[6:7], v[18:19], v[158:159], v[6:7] op_sel:[0,0,1] op_sel_hi:[1,0,0]
	s_waitcnt vmcnt(1)
	v_mov_b32_e32 v6, v167
	v_mov_b32_e32 v9, v7
	v_pk_mul_f32 v[6:7], v[20:21], v[6:7] op_sel_hi:[1,0]
	v_pk_add_f32 v[4:5], v[4:5], v[8:9]
	s_waitcnt vmcnt(0)
	v_pk_fma_f32 v[8:9], v[20:21], v[166:167], v[6:7] op_sel:[0,0,1] op_sel_hi:[1,1,0] neg_lo:[0,0,1] neg_hi:[0,0,1]
	v_pk_fma_f32 v[6:7], v[20:21], v[166:167], v[6:7] op_sel:[0,0,1] op_sel_hi:[1,0,0]
	v_mov_b32_e32 v9, v7
	v_pk_add_f32 v[4:5], v[4:5], v[8:9]
	v_pk_add_f32 v[2:3], v[2:3], v[4:5] neg_lo:[0,1] neg_hi:[0,1]
	buffer_store_dword v3, off, s[0:3], 0 offset:44
	buffer_store_dword v2, off, s[0:3], 0 offset:40
	s_and_saveexec_b64 s[4:5], vcc
	s_cbranch_execz .LBB105_257
; %bb.256:
	buffer_load_dword v2, off, s[0:3], 0 offset:32
	buffer_load_dword v3, off, s[0:3], 0 offset:36
	v_mov_b32_e32 v4, 0
	buffer_store_dword v4, off, s[0:3], 0 offset:32
	buffer_store_dword v4, off, s[0:3], 0 offset:36
	s_waitcnt vmcnt(2)
	ds_write_b64 v1, v[2:3]
.LBB105_257:
	s_or_b64 exec, exec, s[4:5]
	s_waitcnt lgkmcnt(0)
	; wave barrier
	s_waitcnt lgkmcnt(0)
	buffer_load_dword v17, off, s[0:3], 0 offset:44
	buffer_load_dword v62, off, s[0:3], 0 offset:52
	;; [unrolled: 1-line block ×56, first 2 shown]
	v_mov_b32_e32 v16, 0
	ds_read2_b64 v[2:5], v16 offset0:47 offset1:48
	buffer_load_dword v226, off, s[0:3], 0 offset:256
	buffer_load_dword v227, off, s[0:3], 0 offset:260
	;; [unrolled: 1-line block ×4, first 2 shown]
	ds_read2_b64 v[8:11], v16 offset0:49 offset1:50
	ds_read2_b64 v[12:15], v16 offset0:51 offset1:52
	;; [unrolled: 1-line block ×3, first 2 shown]
	v_cmp_lt_u32_e32 vcc, 3, v0
	s_waitcnt vmcnt(59) lgkmcnt(3)
	v_mul_f32_e32 v22, v2, v17
	s_waitcnt vmcnt(58)
	v_mul_f32_e32 v23, v4, v62
	s_waitcnt vmcnt(57) lgkmcnt(2)
	v_mul_f32_e32 v24, v8, v160
	s_waitcnt vmcnt(56)
	v_mul_f32_e32 v25, v10, v162
	;; [unrolled: 4-line block ×3, first 2 shown]
	s_waitcnt vmcnt(53) lgkmcnt(0)
	v_mul_f32_e32 v28, v18, v178
	s_waitcnt vmcnt(52)
	v_fmac_f32_e32 v22, v3, v179
	s_waitcnt vmcnt(51)
	v_fmac_f32_e32 v23, v5, v180
	v_add_f32_e32 v22, 0, v22
	s_waitcnt vmcnt(50)
	v_fmac_f32_e32 v24, v9, v181
	v_add_f32_e32 v22, v22, v23
	;; [unrolled: 3-line block ×6, first 2 shown]
	v_add_f32_e32 v26, v22, v28
	ds_read2_b64 v[22:25], v16 offset0:55 offset1:56
	s_waitcnt vmcnt(45)
	v_mul_f32_e32 v27, v20, v186
	s_waitcnt vmcnt(44)
	v_fmac_f32_e32 v27, v21, v187
	v_add_f32_e32 v30, v26, v27
	ds_read2_b64 v[26:29], v16 offset0:57 offset1:58
	s_waitcnt vmcnt(43) lgkmcnt(1)
	v_mul_f32_e32 v31, v22, v188
	s_waitcnt vmcnt(42)
	v_fmac_f32_e32 v31, v23, v189
	v_add_f32_e32 v30, v30, v31
	s_waitcnt vmcnt(41)
	v_mul_f32_e32 v31, v24, v190
	s_waitcnt vmcnt(40)
	v_fmac_f32_e32 v31, v25, v191
	v_add_f32_e32 v30, v30, v31
	s_waitcnt vmcnt(39) lgkmcnt(0)
	v_mul_f32_e32 v31, v26, v192
	s_waitcnt vmcnt(38)
	v_fmac_f32_e32 v31, v27, v193
	v_add_f32_e32 v34, v30, v31
	ds_read2_b64 v[30:33], v16 offset0:59 offset1:60
	s_waitcnt vmcnt(37)
	v_mul_f32_e32 v35, v28, v194
	s_waitcnt vmcnt(36)
	v_fmac_f32_e32 v35, v29, v195
	v_add_f32_e32 v38, v34, v35
	ds_read2_b64 v[34:37], v16 offset0:61 offset1:62
	s_waitcnt vmcnt(34) lgkmcnt(1)
	v_mul_f32_e32 v39, v30, v197
	v_fmac_f32_e32 v39, v31, v196
	v_add_f32_e32 v38, v38, v39
	s_waitcnt vmcnt(31)
	v_mul_f32_e32 v39, v32, v198
	s_waitcnt vmcnt(30)
	v_fmac_f32_e32 v39, v33, v199
	v_add_f32_e32 v38, v38, v39
	s_waitcnt vmcnt(28) lgkmcnt(0)
	v_mul_f32_e32 v39, v34, v201
	v_fmac_f32_e32 v39, v35, v200
	v_add_f32_e32 v42, v38, v39
	ds_read2_b64 v[38:41], v16 offset0:63 offset1:64
	s_waitcnt vmcnt(26)
	v_mul_f32_e32 v43, v36, v203
	v_fmac_f32_e32 v43, v37, v202
	v_add_f32_e32 v46, v42, v43
	ds_read2_b64 v[42:45], v16 offset0:65 offset1:66
	s_waitcnt vmcnt(24) lgkmcnt(1)
	v_mul_f32_e32 v47, v38, v205
	v_fmac_f32_e32 v47, v39, v204
	v_add_f32_e32 v46, v46, v47
	s_waitcnt vmcnt(22)
	v_mul_f32_e32 v47, v40, v207
	v_fmac_f32_e32 v47, v41, v206
	v_add_f32_e32 v46, v46, v47
	s_waitcnt vmcnt(20) lgkmcnt(0)
	v_mul_f32_e32 v47, v42, v209
	v_fmac_f32_e32 v47, v43, v208
	v_add_f32_e32 v50, v46, v47
	ds_read2_b64 v[46:49], v16 offset0:67 offset1:68
	s_waitcnt vmcnt(18)
	v_mul_f32_e32 v51, v44, v211
	v_fmac_f32_e32 v51, v45, v210
	v_add_f32_e32 v54, v50, v51
	ds_read2_b64 v[50:53], v16 offset0:69 offset1:70
	s_waitcnt vmcnt(16) lgkmcnt(1)
	v_mul_f32_e32 v55, v46, v213
	v_fmac_f32_e32 v55, v47, v212
	v_add_f32_e32 v54, v54, v55
	s_waitcnt vmcnt(14)
	v_mul_f32_e32 v55, v48, v215
	;; [unrolled: 18-line block ×3, first 2 shown]
	v_fmac_f32_e32 v148, v57, v222
	v_add_f32_e32 v63, v63, v148
	s_waitcnt vmcnt(4) lgkmcnt(0)
	v_mul_f32_e32 v148, v58, v225
	v_fmac_f32_e32 v148, v59, v224
	v_add_f32_e32 v63, v63, v148
	ds_read2_b64 v[148:151], v16 offset0:75 offset1:76
	buffer_load_dword v157, off, s[0:3], 0 offset:284
	buffer_load_dword v156, off, s[0:3], 0 offset:280
	buffer_load_dword v159, off, s[0:3], 0 offset:276
	buffer_load_dword v158, off, s[0:3], 0 offset:272
	ds_read2_b64 v[152:155], v16 offset0:77 offset1:78
	buffer_load_dword v165, off, s[0:3], 0 offset:316
	buffer_load_dword v164, off, s[0:3], 0 offset:312
	;; [unrolled: 1-line block ×12, first 2 shown]
	v_mul_f32_e32 v3, v3, v17
	v_fma_f32 v2, v2, v179, -v3
	v_mul_f32_e32 v3, v5, v62
	v_add_f32_e32 v2, 0, v2
	v_fma_f32 v3, v4, v180, -v3
	v_add_f32_e32 v2, v2, v3
	v_mul_f32_e32 v3, v9, v160
	v_fma_f32 v3, v8, v181, -v3
	v_add_f32_e32 v2, v2, v3
	v_mul_f32_e32 v3, v11, v162
	;; [unrolled: 3-line block ×25, first 2 shown]
	v_fma_f32 v3, v58, v224, -v3
	s_waitcnt vmcnt(13)
	v_mov_b32_e32 v18, v159
	v_mul_f32_e32 v161, v60, v227
	v_add_f32_e32 v62, v2, v3
	v_mul_f32_e32 v2, v61, v227
	s_waitcnt lgkmcnt(1)
	v_pk_mul_f32 v[18:19], v[150:151], v[18:19] op_sel_hi:[1,0]
	v_fmac_f32_e32 v161, v61, v226
	v_mul_f32_e32 v163, v148, v229
	v_fma_f32 v160, v60, v226, -v2
	v_mul_f32_e32 v2, v149, v229
	s_waitcnt vmcnt(12)
	v_pk_fma_f32 v[20:21], v[150:151], v[158:159], v[18:19] op_sel:[0,0,1] op_sel_hi:[1,1,0] neg_lo:[0,0,1] neg_hi:[0,0,1]
	v_pk_fma_f32 v[18:19], v[150:151], v[158:159], v[18:19] op_sel:[0,0,1] op_sel_hi:[1,0,0]
	v_fmac_f32_e32 v163, v149, v228
	v_fma_f32 v162, v148, v228, -v2
	v_pk_add_f32 v[14:15], v[62:63], v[160:161]
	v_mov_b32_e32 v18, v157
	v_pk_add_f32 v[14:15], v[14:15], v[162:163]
	v_mov_b32_e32 v21, v19
	s_waitcnt lgkmcnt(0)
	v_pk_mul_f32 v[18:19], v[152:153], v[18:19] op_sel_hi:[1,0]
	v_pk_add_f32 v[14:15], v[14:15], v[20:21]
	v_pk_fma_f32 v[20:21], v[152:153], v[156:157], v[18:19] op_sel:[0,0,1] op_sel_hi:[1,1,0] neg_lo:[0,0,1] neg_hi:[0,0,1]
	v_pk_fma_f32 v[18:19], v[152:153], v[156:157], v[18:19] op_sel:[0,0,1] op_sel_hi:[1,0,0]
	s_waitcnt vmcnt(5)
	v_mov_b32_e32 v18, v171
	ds_read2_b64 v[2:5], v16 offset0:79 offset1:80
	ds_read2_b64 v[8:11], v16 offset0:81 offset1:82
	ds_read_b64 v[12:13], v16 offset:664
	v_mov_b32_e32 v21, v19
	v_pk_mul_f32 v[18:19], v[154:155], v[18:19] op_sel_hi:[1,0]
	v_pk_add_f32 v[14:15], v[14:15], v[20:21]
	s_waitcnt vmcnt(4)
	v_pk_fma_f32 v[20:21], v[154:155], v[170:171], v[18:19] op_sel:[0,0,1] op_sel_hi:[1,1,0] neg_lo:[0,0,1] neg_hi:[0,0,1]
	v_pk_fma_f32 v[18:19], v[154:155], v[170:171], v[18:19] op_sel:[0,0,1] op_sel_hi:[1,0,0]
	v_mov_b32_e32 v18, v169
	v_mov_b32_e32 v21, v19
	s_waitcnt lgkmcnt(2)
	v_pk_mul_f32 v[18:19], v[2:3], v[18:19] op_sel_hi:[1,0]
	v_pk_add_f32 v[14:15], v[14:15], v[20:21]
	v_pk_fma_f32 v[20:21], v[2:3], v[168:169], v[18:19] op_sel:[0,0,1] op_sel_hi:[1,1,0] neg_lo:[0,0,1] neg_hi:[0,0,1]
	v_pk_fma_f32 v[2:3], v[2:3], v[168:169], v[18:19] op_sel:[0,0,1] op_sel_hi:[1,0,0]
	v_mov_b32_e32 v21, v3
	v_pk_add_f32 v[2:3], v[14:15], v[20:21]
	v_mov_b32_e32 v14, v167
	v_pk_mul_f32 v[14:15], v[4:5], v[14:15] op_sel_hi:[1,0]
	v_pk_fma_f32 v[18:19], v[4:5], v[166:167], v[14:15] op_sel:[0,0,1] op_sel_hi:[1,1,0] neg_lo:[0,0,1] neg_hi:[0,0,1]
	v_pk_fma_f32 v[4:5], v[4:5], v[166:167], v[14:15] op_sel:[0,0,1] op_sel_hi:[1,0,0]
	v_mov_b32_e32 v4, v165
	v_mov_b32_e32 v19, v5
	s_waitcnt lgkmcnt(1)
	v_pk_mul_f32 v[4:5], v[8:9], v[4:5] op_sel_hi:[1,0]
	v_pk_fma_f32 v[14:15], v[8:9], v[164:165], v[4:5] op_sel:[0,0,1] op_sel_hi:[1,1,0] neg_lo:[0,0,1] neg_hi:[0,0,1]
	v_pk_fma_f32 v[4:5], v[8:9], v[164:165], v[4:5] op_sel:[0,0,1] op_sel_hi:[1,0,0]
	s_waitcnt vmcnt(1)
	v_mov_b32_e32 v4, v175
	v_mov_b32_e32 v15, v5
	v_pk_mul_f32 v[4:5], v[10:11], v[4:5] op_sel_hi:[1,0]
	s_waitcnt vmcnt(0)
	v_pk_fma_f32 v[8:9], v[10:11], v[174:175], v[4:5] op_sel:[0,0,1] op_sel_hi:[1,1,0] neg_lo:[0,0,1] neg_hi:[0,0,1]
	v_pk_fma_f32 v[4:5], v[10:11], v[174:175], v[4:5] op_sel:[0,0,1] op_sel_hi:[1,0,0]
	v_pk_add_f32 v[2:3], v[2:3], v[18:19]
	v_mov_b32_e32 v4, v173
	v_pk_add_f32 v[2:3], v[2:3], v[14:15]
	v_mov_b32_e32 v9, v5
	s_waitcnt lgkmcnt(0)
	v_pk_mul_f32 v[4:5], v[12:13], v[4:5] op_sel_hi:[1,0]
	v_pk_add_f32 v[2:3], v[2:3], v[8:9]
	v_pk_fma_f32 v[8:9], v[12:13], v[172:173], v[4:5] op_sel:[0,0,1] op_sel_hi:[1,1,0] neg_lo:[0,0,1] neg_hi:[0,0,1]
	v_pk_fma_f32 v[4:5], v[12:13], v[172:173], v[4:5] op_sel:[0,0,1] op_sel_hi:[1,0,0]
	v_mov_b32_e32 v9, v5
	v_pk_add_f32 v[2:3], v[2:3], v[8:9]
	v_pk_add_f32 v[2:3], v[6:7], v[2:3] neg_lo:[0,1] neg_hi:[0,1]
	buffer_store_dword v3, off, s[0:3], 0 offset:36
	buffer_store_dword v2, off, s[0:3], 0 offset:32
	s_and_saveexec_b64 s[4:5], vcc
	s_cbranch_execz .LBB105_259
; %bb.258:
	buffer_load_dword v2, off, s[0:3], 0 offset:24
	buffer_load_dword v3, off, s[0:3], 0 offset:28
	s_waitcnt vmcnt(0)
	ds_write_b64 v1, v[2:3]
	buffer_store_dword v16, off, s[0:3], 0 offset:24
	buffer_store_dword v16, off, s[0:3], 0 offset:28
.LBB105_259:
	s_or_b64 exec, exec, s[4:5]
	s_waitcnt lgkmcnt(0)
	; wave barrier
	s_waitcnt lgkmcnt(0)
	buffer_load_dword v17, off, s[0:3], 0 offset:36
	buffer_load_dword v156, off, s[0:3], 0 offset:44
	;; [unrolled: 1-line block ×32, first 2 shown]
	ds_read_b128 v[18:21], v16 offset:368
	ds_read_b128 v[6:9], v16 offset:384
	buffer_load_dword v202, off, s[0:3], 0 offset:152
	buffer_load_dword v203, off, s[0:3], 0 offset:156
	ds_read_b128 v[10:13], v16 offset:400
	ds_read_b128 v[2:5], v16 offset:416
	buffer_load_dword v204, off, s[0:3], 0 offset:160
	buffer_load_dword v205, off, s[0:3], 0 offset:164
	;; [unrolled: 1-line block ×28, first 2 shown]
	v_cmp_lt_u32_e32 vcc, 2, v0
	s_waitcnt vmcnt(61) lgkmcnt(3)
	v_mul_f32_e32 v22, v18, v17
	s_waitcnt vmcnt(60)
	v_mul_f32_e32 v23, v20, v156
	s_waitcnt vmcnt(59) lgkmcnt(2)
	v_mul_f32_e32 v24, v6, v158
	s_waitcnt vmcnt(58)
	v_mul_f32_e32 v25, v8, v160
	;; [unrolled: 4-line block ×3, first 2 shown]
	s_waitcnt vmcnt(55) lgkmcnt(0)
	v_mul_f32_e32 v28, v2, v178
	s_waitcnt vmcnt(54)
	v_fmac_f32_e32 v22, v19, v179
	s_waitcnt vmcnt(53)
	v_fmac_f32_e32 v23, v21, v180
	v_add_f32_e32 v22, 0, v22
	s_waitcnt vmcnt(52)
	v_fmac_f32_e32 v24, v7, v181
	v_add_f32_e32 v22, v22, v23
	;; [unrolled: 3-line block ×6, first 2 shown]
	v_add_f32_e32 v26, v22, v28
	ds_read_b128 v[22:25], v16 offset:432
	s_waitcnt vmcnt(47)
	v_mul_f32_e32 v27, v4, v186
	s_waitcnt vmcnt(46)
	v_fmac_f32_e32 v27, v5, v187
	v_add_f32_e32 v30, v26, v27
	ds_read_b128 v[26:29], v16 offset:448
	s_waitcnt vmcnt(45) lgkmcnt(1)
	v_mul_f32_e32 v31, v22, v188
	s_waitcnt vmcnt(44)
	v_fmac_f32_e32 v31, v23, v189
	v_add_f32_e32 v30, v30, v31
	s_waitcnt vmcnt(43)
	v_mul_f32_e32 v31, v24, v190
	s_waitcnt vmcnt(42)
	v_fmac_f32_e32 v31, v25, v191
	v_add_f32_e32 v30, v30, v31
	s_waitcnt vmcnt(41) lgkmcnt(0)
	v_mul_f32_e32 v31, v26, v192
	s_waitcnt vmcnt(40)
	v_fmac_f32_e32 v31, v27, v193
	v_add_f32_e32 v34, v30, v31
	ds_read_b128 v[30:33], v16 offset:464
	s_waitcnt vmcnt(39)
	v_mul_f32_e32 v35, v28, v194
	s_waitcnt vmcnt(38)
	v_fmac_f32_e32 v35, v29, v195
	v_add_f32_e32 v38, v34, v35
	ds_read_b128 v[34:37], v16 offset:480
	s_waitcnt vmcnt(35) lgkmcnt(1)
	v_mul_f32_e32 v39, v30, v196
	s_waitcnt vmcnt(34)
	v_fmac_f32_e32 v39, v31, v197
	v_add_f32_e32 v38, v38, v39
	s_waitcnt vmcnt(32)
	v_mul_f32_e32 v39, v32, v199
	v_fmac_f32_e32 v39, v33, v198
	v_add_f32_e32 v38, v38, v39
	s_waitcnt vmcnt(30) lgkmcnt(0)
	v_mul_f32_e32 v39, v34, v201
	v_fmac_f32_e32 v39, v35, v200
	v_add_f32_e32 v42, v38, v39
	ds_read_b128 v[38:41], v16 offset:496
	s_waitcnt vmcnt(28)
	v_mul_f32_e32 v43, v36, v203
	v_fmac_f32_e32 v43, v37, v202
	v_add_f32_e32 v46, v42, v43
	ds_read_b128 v[42:45], v16 offset:512
	s_waitcnt vmcnt(26) lgkmcnt(1)
	v_mul_f32_e32 v47, v38, v205
	v_fmac_f32_e32 v47, v39, v204
	v_add_f32_e32 v46, v46, v47
	s_waitcnt vmcnt(24)
	v_mul_f32_e32 v47, v40, v207
	v_fmac_f32_e32 v47, v41, v206
	v_add_f32_e32 v46, v46, v47
	s_waitcnt vmcnt(22) lgkmcnt(0)
	v_mul_f32_e32 v47, v42, v209
	v_fmac_f32_e32 v47, v43, v208
	v_add_f32_e32 v50, v46, v47
	ds_read_b128 v[46:49], v16 offset:528
	s_waitcnt vmcnt(20)
	v_mul_f32_e32 v51, v44, v211
	v_fmac_f32_e32 v51, v45, v210
	v_add_f32_e32 v54, v50, v51
	ds_read_b128 v[50:53], v16 offset:544
	s_waitcnt vmcnt(18) lgkmcnt(1)
	v_mul_f32_e32 v55, v46, v213
	v_fmac_f32_e32 v55, v47, v212
	v_add_f32_e32 v54, v54, v55
	s_waitcnt vmcnt(16)
	v_mul_f32_e32 v55, v48, v215
	v_fmac_f32_e32 v55, v49, v214
	v_add_f32_e32 v54, v54, v55
	s_waitcnt vmcnt(14) lgkmcnt(0)
	v_mul_f32_e32 v55, v50, v217
	v_fmac_f32_e32 v55, v51, v216
	v_add_f32_e32 v58, v54, v55
	ds_read_b128 v[54:57], v16 offset:560
	s_waitcnt vmcnt(12)
	v_mul_f32_e32 v59, v52, v219
	v_fmac_f32_e32 v59, v53, v218
	v_add_f32_e32 v62, v58, v59
	ds_read_b128 v[58:61], v16 offset:576
	s_waitcnt vmcnt(10) lgkmcnt(1)
	v_mul_f32_e32 v63, v54, v221
	v_fmac_f32_e32 v63, v55, v220
	v_add_f32_e32 v62, v62, v63
	s_waitcnt vmcnt(8)
	v_mul_f32_e32 v63, v56, v223
	v_fmac_f32_e32 v63, v57, v222
	v_add_f32_e32 v62, v62, v63
	s_waitcnt vmcnt(6) lgkmcnt(0)
	v_mul_f32_e32 v63, v58, v225
	v_fmac_f32_e32 v63, v59, v224
	v_add_f32_e32 v152, v62, v63
	buffer_load_dword v63, off, s[0:3], 0 offset:276
	buffer_load_dword v62, off, s[0:3], 0 offset:272
	s_waitcnt vmcnt(6)
	v_mul_f32_e32 v153, v60, v227
	v_fmac_f32_e32 v153, v61, v226
	ds_read_b128 v[148:151], v16 offset:592
	v_add_f32_e32 v157, v152, v153
	ds_read_b128 v[152:155], v16 offset:608
	buffer_load_dword v163, off, s[0:3], 0 offset:308
	buffer_load_dword v162, off, s[0:3], 0 offset:304
	;; [unrolled: 1-line block ×14, first 2 shown]
	v_mul_f32_e32 v17, v19, v17
	v_fma_f32 v17, v18, v179, -v17
	v_mul_f32_e32 v18, v21, v156
	v_add_f32_e32 v17, 0, v17
	v_fma_f32 v18, v20, v180, -v18
	v_mul_f32_e32 v7, v7, v158
	v_add_f32_e32 v17, v17, v18
	v_fma_f32 v6, v6, v181, -v7
	v_mul_f32_e32 v7, v9, v160
	v_add_f32_e32 v6, v17, v6
	v_fma_f32 v7, v8, v182, -v7
	v_add_f32_e32 v6, v6, v7
	v_mul_f32_e32 v7, v11, v176
	v_fma_f32 v7, v10, v183, -v7
	v_add_f32_e32 v6, v6, v7
	v_mul_f32_e32 v7, v13, v177
	v_fma_f32 v7, v12, v184, -v7
	v_mul_f32_e32 v3, v3, v178
	v_add_f32_e32 v6, v6, v7
	v_fma_f32 v2, v2, v185, -v3
	v_mul_f32_e32 v3, v5, v186
	v_add_f32_e32 v2, v6, v2
	v_fma_f32 v3, v4, v187, -v3
	v_add_f32_e32 v2, v2, v3
	v_mul_f32_e32 v3, v23, v188
	v_fma_f32 v3, v22, v189, -v3
	v_add_f32_e32 v2, v2, v3
	v_mul_f32_e32 v3, v25, v190
	;; [unrolled: 3-line block ×20, first 2 shown]
	v_fma_f32 v3, v60, v226, -v3
	s_waitcnt vmcnt(15)
	v_mov_b32_e32 v18, v63
	s_waitcnt lgkmcnt(1)
	v_mul_f32_e32 v159, v148, v229
	v_add_f32_e32 v156, v2, v3
	v_mul_f32_e32 v2, v149, v229
	s_waitcnt lgkmcnt(0)
	v_pk_mul_f32 v[18:19], v[152:153], v[18:19] op_sel_hi:[1,0]
	v_fmac_f32_e32 v159, v149, v228
	v_mul_f32_e32 v161, v150, v231
	v_fma_f32 v158, v148, v228, -v2
	v_mul_f32_e32 v2, v151, v231
	s_waitcnt vmcnt(14)
	v_pk_fma_f32 v[20:21], v[152:153], v[62:63], v[18:19] op_sel:[0,0,1] op_sel_hi:[1,1,0] neg_lo:[0,0,1] neg_hi:[0,0,1]
	v_pk_fma_f32 v[18:19], v[152:153], v[62:63], v[18:19] op_sel:[0,0,1] op_sel_hi:[1,0,0]
	v_fmac_f32_e32 v161, v151, v230
	v_fma_f32 v160, v150, v230, -v2
	ds_read_b128 v[2:5], v16 offset:624
	ds_read_b128 v[6:9], v16 offset:640
	ds_read_b128 v[10:13], v16 offset:656
	v_pk_add_f32 v[16:17], v[156:157], v[158:159]
	s_waitcnt vmcnt(7)
	v_mov_b32_e32 v18, v169
	v_pk_add_f32 v[16:17], v[16:17], v[160:161]
	v_mov_b32_e32 v21, v19
	v_pk_mul_f32 v[18:19], v[154:155], v[18:19] op_sel_hi:[1,0]
	v_pk_add_f32 v[16:17], v[16:17], v[20:21]
	s_waitcnt vmcnt(6)
	v_pk_fma_f32 v[20:21], v[154:155], v[168:169], v[18:19] op_sel:[0,0,1] op_sel_hi:[1,1,0] neg_lo:[0,0,1] neg_hi:[0,0,1]
	v_pk_fma_f32 v[18:19], v[154:155], v[168:169], v[18:19] op_sel:[0,0,1] op_sel_hi:[1,0,0]
	v_mov_b32_e32 v18, v167
	v_mov_b32_e32 v21, v19
	s_waitcnt lgkmcnt(2)
	v_pk_mul_f32 v[18:19], v[2:3], v[18:19] op_sel_hi:[1,0]
	v_pk_add_f32 v[16:17], v[16:17], v[20:21]
	v_pk_fma_f32 v[20:21], v[2:3], v[166:167], v[18:19] op_sel:[0,0,1] op_sel_hi:[1,1,0] neg_lo:[0,0,1] neg_hi:[0,0,1]
	v_pk_fma_f32 v[2:3], v[2:3], v[166:167], v[18:19] op_sel:[0,0,1] op_sel_hi:[1,0,0]
	v_mov_b32_e32 v21, v3
	v_pk_add_f32 v[2:3], v[16:17], v[20:21]
	v_mov_b32_e32 v16, v165
	v_pk_mul_f32 v[16:17], v[4:5], v[16:17] op_sel_hi:[1,0]
	v_pk_fma_f32 v[18:19], v[4:5], v[164:165], v[16:17] op_sel:[0,0,1] op_sel_hi:[1,1,0] neg_lo:[0,0,1] neg_hi:[0,0,1]
	v_pk_fma_f32 v[4:5], v[4:5], v[164:165], v[16:17] op_sel:[0,0,1] op_sel_hi:[1,0,0]
	v_mov_b32_e32 v4, v163
	v_mov_b32_e32 v19, v5
	s_waitcnt lgkmcnt(1)
	v_pk_mul_f32 v[4:5], v[6:7], v[4:5] op_sel_hi:[1,0]
	v_pk_fma_f32 v[16:17], v[6:7], v[162:163], v[4:5] op_sel:[0,0,1] op_sel_hi:[1,1,0] neg_lo:[0,0,1] neg_hi:[0,0,1]
	v_pk_fma_f32 v[4:5], v[6:7], v[162:163], v[4:5] op_sel:[0,0,1] op_sel_hi:[1,0,0]
	s_waitcnt vmcnt(1)
	v_mov_b32_e32 v4, v175
	v_mov_b32_e32 v17, v5
	v_pk_mul_f32 v[4:5], v[8:9], v[4:5] op_sel_hi:[1,0]
	s_waitcnt vmcnt(0)
	v_pk_fma_f32 v[6:7], v[8:9], v[174:175], v[4:5] op_sel:[0,0,1] op_sel_hi:[1,1,0] neg_lo:[0,0,1] neg_hi:[0,0,1]
	v_pk_fma_f32 v[4:5], v[8:9], v[174:175], v[4:5] op_sel:[0,0,1] op_sel_hi:[1,0,0]
	v_pk_add_f32 v[2:3], v[2:3], v[18:19]
	v_mov_b32_e32 v4, v173
	v_pk_add_f32 v[2:3], v[2:3], v[16:17]
	v_mov_b32_e32 v7, v5
	s_waitcnt lgkmcnt(0)
	v_pk_mul_f32 v[4:5], v[10:11], v[4:5] op_sel_hi:[1,0]
	v_pk_add_f32 v[2:3], v[2:3], v[6:7]
	v_pk_fma_f32 v[6:7], v[10:11], v[172:173], v[4:5] op_sel:[0,0,1] op_sel_hi:[1,1,0] neg_lo:[0,0,1] neg_hi:[0,0,1]
	v_pk_fma_f32 v[4:5], v[10:11], v[172:173], v[4:5] op_sel:[0,0,1] op_sel_hi:[1,0,0]
	v_mov_b32_e32 v4, v171
	v_mov_b32_e32 v7, v5
	v_pk_mul_f32 v[4:5], v[12:13], v[4:5] op_sel_hi:[1,0]
	v_pk_add_f32 v[2:3], v[2:3], v[6:7]
	v_pk_fma_f32 v[6:7], v[12:13], v[170:171], v[4:5] op_sel:[0,0,1] op_sel_hi:[1,1,0] neg_lo:[0,0,1] neg_hi:[0,0,1]
	v_pk_fma_f32 v[4:5], v[12:13], v[170:171], v[4:5] op_sel:[0,0,1] op_sel_hi:[1,0,0]
	v_mov_b32_e32 v7, v5
	v_pk_add_f32 v[2:3], v[2:3], v[6:7]
	v_pk_add_f32 v[2:3], v[14:15], v[2:3] neg_lo:[0,1] neg_hi:[0,1]
	buffer_store_dword v3, off, s[0:3], 0 offset:28
	buffer_store_dword v2, off, s[0:3], 0 offset:24
	s_and_saveexec_b64 s[4:5], vcc
	s_cbranch_execz .LBB105_261
; %bb.260:
	buffer_load_dword v2, off, s[0:3], 0 offset:16
	buffer_load_dword v3, off, s[0:3], 0 offset:20
	v_mov_b32_e32 v4, 0
	buffer_store_dword v4, off, s[0:3], 0 offset:16
	buffer_store_dword v4, off, s[0:3], 0 offset:20
	s_waitcnt vmcnt(2)
	ds_write_b64 v1, v[2:3]
.LBB105_261:
	s_or_b64 exec, exec, s[4:5]
	s_waitcnt lgkmcnt(0)
	; wave barrier
	s_waitcnt lgkmcnt(0)
	buffer_load_dword v21, off, s[0:3], 0 offset:28
	buffer_load_dword v62, off, s[0:3], 0 offset:36
	;; [unrolled: 1-line block ×48, first 2 shown]
	v_mov_b32_e32 v20, 0
	ds_read2_b64 v[4:7], v20 offset0:45 offset1:46
	buffer_load_dword v218, off, s[0:3], 0 offset:208
	buffer_load_dword v219, off, s[0:3], 0 offset:212
	;; [unrolled: 1-line block ×8, first 2 shown]
	ds_read2_b64 v[8:11], v20 offset0:47 offset1:48
	ds_read2_b64 v[12:15], v20 offset0:49 offset1:50
	ds_read2_b64 v[16:19], v20 offset0:51 offset1:52
	buffer_load_dword v226, off, s[0:3], 0 offset:240
	buffer_load_dword v227, off, s[0:3], 0 offset:244
	;; [unrolled: 1-line block ×8, first 2 shown]
	v_cmp_lt_u32_e32 vcc, 1, v0
	s_waitcnt vmcnt(62) lgkmcnt(3)
	v_mul_f32_e32 v22, v4, v21
	v_mul_f32_e32 v23, v6, v62
	s_waitcnt vmcnt(61) lgkmcnt(2)
	v_mul_f32_e32 v24, v8, v156
	s_waitcnt vmcnt(60)
	v_mul_f32_e32 v25, v10, v158
	s_waitcnt vmcnt(59) lgkmcnt(1)
	v_mul_f32_e32 v26, v12, v176
	s_waitcnt vmcnt(58)
	;; [unrolled: 4-line block ×3, first 2 shown]
	v_fmac_f32_e32 v22, v5, v179
	s_waitcnt vmcnt(55)
	v_fmac_f32_e32 v23, v7, v180
	v_add_f32_e32 v22, 0, v22
	s_waitcnt vmcnt(54)
	v_fmac_f32_e32 v24, v9, v181
	v_add_f32_e32 v22, v22, v23
	;; [unrolled: 3-line block ×6, first 2 shown]
	v_add_f32_e32 v26, v22, v28
	ds_read2_b64 v[22:25], v20 offset0:53 offset1:54
	s_waitcnt vmcnt(49)
	v_mul_f32_e32 v27, v18, v186
	s_waitcnt vmcnt(48)
	v_fmac_f32_e32 v27, v19, v187
	v_add_f32_e32 v30, v26, v27
	ds_read2_b64 v[26:29], v20 offset0:55 offset1:56
	s_waitcnt vmcnt(47) lgkmcnt(1)
	v_mul_f32_e32 v31, v22, v188
	s_waitcnt vmcnt(46)
	v_fmac_f32_e32 v31, v23, v189
	v_add_f32_e32 v30, v30, v31
	s_waitcnt vmcnt(45)
	v_mul_f32_e32 v31, v24, v190
	s_waitcnt vmcnt(44)
	v_fmac_f32_e32 v31, v25, v191
	v_add_f32_e32 v30, v30, v31
	s_waitcnt vmcnt(42) lgkmcnt(0)
	v_mul_f32_e32 v31, v26, v193
	v_fmac_f32_e32 v31, v27, v192
	v_add_f32_e32 v34, v30, v31
	ds_read2_b64 v[30:33], v20 offset0:57 offset1:58
	s_waitcnt vmcnt(38)
	v_mul_f32_e32 v35, v28, v195
	v_fmac_f32_e32 v35, v29, v194
	v_add_f32_e32 v38, v34, v35
	ds_read2_b64 v[34:37], v20 offset0:59 offset1:60
	s_waitcnt vmcnt(36) lgkmcnt(1)
	v_mul_f32_e32 v39, v30, v197
	v_fmac_f32_e32 v39, v31, v196
	v_add_f32_e32 v38, v38, v39
	s_waitcnt vmcnt(34)
	v_mul_f32_e32 v39, v32, v199
	v_fmac_f32_e32 v39, v33, v198
	v_add_f32_e32 v38, v38, v39
	s_waitcnt vmcnt(32) lgkmcnt(0)
	v_mul_f32_e32 v39, v34, v201
	v_fmac_f32_e32 v39, v35, v200
	v_add_f32_e32 v42, v38, v39
	ds_read2_b64 v[38:41], v20 offset0:61 offset1:62
	s_waitcnt vmcnt(30)
	v_mul_f32_e32 v43, v36, v203
	v_fmac_f32_e32 v43, v37, v202
	v_add_f32_e32 v46, v42, v43
	ds_read2_b64 v[42:45], v20 offset0:63 offset1:64
	s_waitcnt vmcnt(28) lgkmcnt(1)
	v_mul_f32_e32 v47, v38, v205
	v_fmac_f32_e32 v47, v39, v204
	v_add_f32_e32 v46, v46, v47
	s_waitcnt vmcnt(26)
	v_mul_f32_e32 v47, v40, v207
	;; [unrolled: 18-line block ×4, first 2 shown]
	v_fmac_f32_e32 v148, v57, v222
	v_add_f32_e32 v63, v63, v148
	s_waitcnt vmcnt(8) lgkmcnt(0)
	v_mul_f32_e32 v148, v58, v225
	v_fmac_f32_e32 v148, v59, v224
	s_waitcnt vmcnt(6)
	v_mul_f32_e32 v152, v60, v227
	v_add_f32_e32 v63, v63, v148
	v_fmac_f32_e32 v152, v61, v226
	ds_read2_b64 v[148:151], v20 offset0:73 offset1:74
	v_add_f32_e32 v63, v63, v152
	ds_read2_b64 v[152:155], v20 offset0:75 offset1:76
	buffer_load_dword v161, off, s[0:3], 0 offset:300
	buffer_load_dword v160, off, s[0:3], 0 offset:296
	buffer_load_dword v163, off, s[0:3], 0 offset:292
	buffer_load_dword v162, off, s[0:3], 0 offset:288
	buffer_load_dword v165, off, s[0:3], 0 offset:284
	buffer_load_dword v164, off, s[0:3], 0 offset:280
	buffer_load_dword v167, off, s[0:3], 0 offset:276
	buffer_load_dword v166, off, s[0:3], 0 offset:272
	buffer_load_dword v169, off, s[0:3], 0 offset:332
	buffer_load_dword v168, off, s[0:3], 0 offset:328
	buffer_load_dword v171, off, s[0:3], 0 offset:324
	buffer_load_dword v170, off, s[0:3], 0 offset:320
	buffer_load_dword v173, off, s[0:3], 0 offset:316
	buffer_load_dword v172, off, s[0:3], 0 offset:312
	buffer_load_dword v175, off, s[0:3], 0 offset:308
	buffer_load_dword v174, off, s[0:3], 0 offset:304
	v_mul_f32_e32 v5, v5, v21
	v_fma_f32 v4, v4, v179, -v5
	v_mul_f32_e32 v5, v7, v62
	v_add_f32_e32 v4, 0, v4
	v_fma_f32 v5, v6, v180, -v5
	v_add_f32_e32 v4, v4, v5
	v_mul_f32_e32 v5, v9, v156
	v_fma_f32 v5, v8, v181, -v5
	v_add_f32_e32 v4, v4, v5
	v_mul_f32_e32 v5, v11, v158
	;; [unrolled: 3-line block ×26, first 2 shown]
	v_fma_f32 v5, v60, v226, -v5
	v_add_f32_e32 v4, v4, v5
	s_waitcnt vmcnt(20) lgkmcnt(1)
	v_mul_f32_e32 v5, v149, v229
	v_mul_f32_e32 v157, v148, v229
	v_fma_f32 v5, v148, v228, -v5
	v_fmac_f32_e32 v157, v149, v228
	v_add_f32_e32 v62, v4, v5
	s_waitcnt vmcnt(18)
	v_mul_f32_e32 v4, v151, v231
	s_waitcnt vmcnt(9)
	v_mov_b32_e32 v22, v167
	v_add_f32_e32 v63, v63, v157
	v_mul_f32_e32 v157, v150, v231
	v_fma_f32 v156, v150, v230, -v4
	s_waitcnt lgkmcnt(0)
	v_mul_f32_e32 v4, v153, v233
	v_pk_mul_f32 v[22:23], v[154:155], v[22:23] op_sel_hi:[1,0]
	v_fmac_f32_e32 v157, v151, v230
	v_mul_f32_e32 v159, v152, v233
	v_fma_f32 v158, v152, v232, -v4
	ds_read2_b64 v[4:7], v20 offset0:77 offset1:78
	ds_read2_b64 v[8:11], v20 offset0:79 offset1:80
	ds_read2_b64 v[12:15], v20 offset0:81 offset1:82
	ds_read_b64 v[16:17], v20 offset:664
	s_waitcnt vmcnt(8)
	v_pk_fma_f32 v[24:25], v[154:155], v[166:167], v[22:23] op_sel:[0,0,1] op_sel_hi:[1,1,0] neg_lo:[0,0,1] neg_hi:[0,0,1]
	v_pk_fma_f32 v[22:23], v[154:155], v[166:167], v[22:23] op_sel:[0,0,1] op_sel_hi:[1,0,0]
	v_fmac_f32_e32 v159, v153, v232
	v_pk_add_f32 v[18:19], v[62:63], v[156:157]
	v_mov_b32_e32 v22, v165
	v_pk_add_f32 v[18:19], v[18:19], v[158:159]
	v_mov_b32_e32 v25, v23
	s_waitcnt lgkmcnt(3)
	v_pk_mul_f32 v[22:23], v[4:5], v[22:23] op_sel_hi:[1,0]
	v_pk_add_f32 v[18:19], v[18:19], v[24:25]
	v_pk_fma_f32 v[24:25], v[4:5], v[164:165], v[22:23] op_sel:[0,0,1] op_sel_hi:[1,1,0] neg_lo:[0,0,1] neg_hi:[0,0,1]
	v_pk_fma_f32 v[4:5], v[4:5], v[164:165], v[22:23] op_sel:[0,0,1] op_sel_hi:[1,0,0]
	v_mov_b32_e32 v25, v5
	v_pk_add_f32 v[4:5], v[18:19], v[24:25]
	v_mov_b32_e32 v18, v163
	v_pk_mul_f32 v[18:19], v[6:7], v[18:19] op_sel_hi:[1,0]
	v_pk_fma_f32 v[22:23], v[6:7], v[162:163], v[18:19] op_sel:[0,0,1] op_sel_hi:[1,1,0] neg_lo:[0,0,1] neg_hi:[0,0,1]
	v_pk_fma_f32 v[6:7], v[6:7], v[162:163], v[18:19] op_sel:[0,0,1] op_sel_hi:[1,0,0]
	v_mov_b32_e32 v6, v161
	v_mov_b32_e32 v23, v7
	s_waitcnt lgkmcnt(2)
	v_pk_mul_f32 v[6:7], v[8:9], v[6:7] op_sel_hi:[1,0]
	v_pk_fma_f32 v[18:19], v[8:9], v[160:161], v[6:7] op_sel:[0,0,1] op_sel_hi:[1,1,0] neg_lo:[0,0,1] neg_hi:[0,0,1]
	v_pk_fma_f32 v[6:7], v[8:9], v[160:161], v[6:7] op_sel:[0,0,1] op_sel_hi:[1,0,0]
	s_waitcnt vmcnt(1)
	v_mov_b32_e32 v6, v175
	v_mov_b32_e32 v19, v7
	v_pk_mul_f32 v[6:7], v[10:11], v[6:7] op_sel_hi:[1,0]
	s_waitcnt vmcnt(0)
	v_pk_fma_f32 v[8:9], v[10:11], v[174:175], v[6:7] op_sel:[0,0,1] op_sel_hi:[1,1,0] neg_lo:[0,0,1] neg_hi:[0,0,1]
	v_pk_fma_f32 v[6:7], v[10:11], v[174:175], v[6:7] op_sel:[0,0,1] op_sel_hi:[1,0,0]
	v_pk_add_f32 v[4:5], v[4:5], v[22:23]
	v_mov_b32_e32 v6, v173
	v_pk_add_f32 v[4:5], v[4:5], v[18:19]
	v_mov_b32_e32 v9, v7
	s_waitcnt lgkmcnt(1)
	v_pk_mul_f32 v[6:7], v[12:13], v[6:7] op_sel_hi:[1,0]
	v_pk_add_f32 v[4:5], v[4:5], v[8:9]
	v_pk_fma_f32 v[8:9], v[12:13], v[172:173], v[6:7] op_sel:[0,0,1] op_sel_hi:[1,1,0] neg_lo:[0,0,1] neg_hi:[0,0,1]
	v_pk_fma_f32 v[6:7], v[12:13], v[172:173], v[6:7] op_sel:[0,0,1] op_sel_hi:[1,0,0]
	v_mov_b32_e32 v6, v171
	v_mov_b32_e32 v9, v7
	v_pk_mul_f32 v[6:7], v[14:15], v[6:7] op_sel_hi:[1,0]
	v_pk_add_f32 v[4:5], v[4:5], v[8:9]
	v_pk_fma_f32 v[8:9], v[14:15], v[170:171], v[6:7] op_sel:[0,0,1] op_sel_hi:[1,1,0] neg_lo:[0,0,1] neg_hi:[0,0,1]
	v_pk_fma_f32 v[6:7], v[14:15], v[170:171], v[6:7] op_sel:[0,0,1] op_sel_hi:[1,0,0]
	v_mov_b32_e32 v6, v169
	v_mov_b32_e32 v9, v7
	s_waitcnt lgkmcnt(0)
	v_pk_mul_f32 v[6:7], v[16:17], v[6:7] op_sel_hi:[1,0]
	v_pk_add_f32 v[4:5], v[4:5], v[8:9]
	v_pk_fma_f32 v[8:9], v[16:17], v[168:169], v[6:7] op_sel:[0,0,1] op_sel_hi:[1,1,0] neg_lo:[0,0,1] neg_hi:[0,0,1]
	v_pk_fma_f32 v[6:7], v[16:17], v[168:169], v[6:7] op_sel:[0,0,1] op_sel_hi:[1,0,0]
	v_mov_b32_e32 v9, v7
	v_pk_add_f32 v[4:5], v[4:5], v[8:9]
	v_pk_add_f32 v[2:3], v[2:3], v[4:5] neg_lo:[0,1] neg_hi:[0,1]
	buffer_store_dword v3, off, s[0:3], 0 offset:20
	buffer_store_dword v2, off, s[0:3], 0 offset:16
	s_and_saveexec_b64 s[4:5], vcc
	s_cbranch_execz .LBB105_263
; %bb.262:
	buffer_load_dword v2, off, s[0:3], 0 offset:8
	buffer_load_dword v3, off, s[0:3], 0 offset:12
	s_waitcnt vmcnt(0)
	ds_write_b64 v1, v[2:3]
	buffer_store_dword v20, off, s[0:3], 0 offset:8
	buffer_store_dword v20, off, s[0:3], 0 offset:12
.LBB105_263:
	s_or_b64 exec, exec, s[4:5]
	s_waitcnt lgkmcnt(0)
	; wave barrier
	s_waitcnt lgkmcnt(0)
	buffer_load_dword v21, off, s[0:3], 0 offset:20
	buffer_load_dword v62, off, s[0:3], 0 offset:28
	;; [unrolled: 1-line block ×26, first 2 shown]
	ds_read_b128 v[14:17], v20 offset:352
	ds_read_b128 v[6:9], v20 offset:368
	buffer_load_dword v196, off, s[0:3], 0 offset:112
	buffer_load_dword v197, off, s[0:3], 0 offset:116
	ds_read_b128 v[10:13], v20 offset:384
	ds_read_b128 v[2:5], v20 offset:400
	buffer_load_dword v198, off, s[0:3], 0 offset:120
	buffer_load_dword v199, off, s[0:3], 0 offset:124
	;; [unrolled: 1-line block ×32, first 2 shown]
	v_cmp_ne_u32_e32 vcc, 0, v0
	s_waitcnt vmcnt(59) lgkmcnt(3)
	v_mul_f32_e32 v22, v14, v21
	s_waitcnt vmcnt(58)
	v_mul_f32_e32 v23, v16, v62
	s_waitcnt vmcnt(57) lgkmcnt(2)
	v_mul_f32_e32 v24, v6, v156
	s_waitcnt vmcnt(56)
	v_mul_f32_e32 v25, v8, v164
	;; [unrolled: 4-line block ×4, first 2 shown]
	s_waitcnt vmcnt(51)
	v_fmac_f32_e32 v22, v15, v180
	s_waitcnt vmcnt(50)
	v_fmac_f32_e32 v23, v17, v181
	v_add_f32_e32 v22, 0, v22
	s_waitcnt vmcnt(49)
	v_fmac_f32_e32 v24, v7, v182
	v_add_f32_e32 v22, v22, v23
	;; [unrolled: 3-line block ×6, first 2 shown]
	v_add_f32_e32 v26, v22, v28
	ds_read_b128 v[22:25], v20 offset:416
	s_waitcnt vmcnt(44)
	v_fmac_f32_e32 v29, v5, v187
	buffer_load_dword v230, off, s[0:3], 0 offset:248
	buffer_load_dword v231, off, s[0:3], 0 offset:252
	v_add_f32_e32 v30, v26, v29
	buffer_load_dword v232, off, s[0:3], 0 offset:256
	buffer_load_dword v233, off, s[0:3], 0 offset:260
	ds_read_b128 v[26:29], v20 offset:432
	s_waitcnt vmcnt(47) lgkmcnt(1)
	v_mul_f32_e32 v31, v22, v188
	s_waitcnt vmcnt(46)
	v_fmac_f32_e32 v31, v23, v189
	v_add_f32_e32 v30, v30, v31
	s_waitcnt vmcnt(45)
	v_mul_f32_e32 v31, v24, v190
	s_waitcnt vmcnt(44)
	v_fmac_f32_e32 v31, v25, v191
	v_add_f32_e32 v30, v30, v31
	s_waitcnt vmcnt(41) lgkmcnt(0)
	v_mul_f32_e32 v31, v26, v192
	s_waitcnt vmcnt(40)
	v_fmac_f32_e32 v31, v27, v193
	buffer_load_dword v234, off, s[0:3], 0 offset:264
	buffer_load_dword v235, off, s[0:3], 0 offset:268
	v_add_f32_e32 v34, v30, v31
	ds_read_b128 v[30:33], v20 offset:448
	s_waitcnt vmcnt(40)
	v_mul_f32_e32 v35, v28, v195
	v_fmac_f32_e32 v35, v29, v194
	v_add_f32_e32 v38, v34, v35
	ds_read_b128 v[34:37], v20 offset:464
	s_waitcnt vmcnt(38) lgkmcnt(1)
	v_mul_f32_e32 v39, v30, v197
	v_fmac_f32_e32 v39, v31, v196
	v_add_f32_e32 v38, v38, v39
	s_waitcnt vmcnt(36)
	v_mul_f32_e32 v39, v32, v199
	v_fmac_f32_e32 v39, v33, v198
	v_add_f32_e32 v38, v38, v39
	s_waitcnt vmcnt(34) lgkmcnt(0)
	v_mul_f32_e32 v39, v34, v201
	v_fmac_f32_e32 v39, v35, v200
	v_add_f32_e32 v42, v38, v39
	ds_read_b128 v[38:41], v20 offset:480
	s_waitcnt vmcnt(32)
	v_mul_f32_e32 v43, v36, v203
	v_fmac_f32_e32 v43, v37, v202
	v_add_f32_e32 v46, v42, v43
	ds_read_b128 v[42:45], v20 offset:496
	s_waitcnt vmcnt(30) lgkmcnt(1)
	v_mul_f32_e32 v47, v38, v205
	v_fmac_f32_e32 v47, v39, v204
	v_add_f32_e32 v46, v46, v47
	s_waitcnt vmcnt(28)
	v_mul_f32_e32 v47, v40, v207
	v_fmac_f32_e32 v47, v41, v206
	v_add_f32_e32 v46, v46, v47
	s_waitcnt vmcnt(26) lgkmcnt(0)
	v_mul_f32_e32 v47, v42, v209
	v_fmac_f32_e32 v47, v43, v208
	;; [unrolled: 18-line block ×4, first 2 shown]
	s_waitcnt vmcnt(8)
	v_mul_f32_e32 v152, v60, v227
	v_add_f32_e32 v63, v63, v148
	v_fmac_f32_e32 v152, v61, v226
	ds_read_b128 v[148:151], v20 offset:576
	v_add_f32_e32 v63, v63, v152
	ds_read_b128 v[152:155], v20 offset:592
	buffer_load_dword v159, off, s[0:3], 0 offset:292
	buffer_load_dword v158, off, s[0:3], 0 offset:288
	;; [unrolled: 1-line block ×16, first 2 shown]
	v_mul_f32_e32 v15, v15, v21
	v_fma_f32 v14, v14, v180, -v15
	v_mul_f32_e32 v15, v17, v62
	v_add_f32_e32 v14, 0, v14
	v_fma_f32 v15, v16, v181, -v15
	v_mul_f32_e32 v7, v7, v156
	v_add_f32_e32 v14, v14, v15
	;; [unrolled: 3-line block ×3, first 2 shown]
	v_fma_f32 v7, v8, v183, -v7
	v_add_f32_e32 v6, v6, v7
	v_mul_f32_e32 v7, v11, v176
	v_fma_f32 v7, v10, v184, -v7
	v_add_f32_e32 v6, v6, v7
	v_mul_f32_e32 v7, v13, v177
	v_fma_f32 v7, v12, v185, -v7
	v_mul_f32_e32 v3, v3, v178
	v_add_f32_e32 v6, v6, v7
	v_fma_f32 v2, v2, v186, -v3
	v_mul_f32_e32 v3, v5, v179
	v_add_f32_e32 v2, v6, v2
	v_fma_f32 v3, v4, v187, -v3
	v_add_f32_e32 v2, v2, v3
	v_mul_f32_e32 v3, v23, v188
	v_fma_f32 v3, v22, v189, -v3
	v_add_f32_e32 v2, v2, v3
	v_mul_f32_e32 v3, v25, v190
	;; [unrolled: 3-line block ×20, first 2 shown]
	v_fma_f32 v3, v60, v226, -v3
	v_add_f32_e32 v2, v2, v3
	s_waitcnt vmcnt(22) lgkmcnt(1)
	v_mul_f32_e32 v3, v149, v229
	v_fma_f32 v3, v148, v228, -v3
	v_add_f32_e32 v2, v2, v3
	s_waitcnt vmcnt(20)
	v_mul_f32_e32 v3, v151, v231
	v_mul_f32_e32 v157, v148, v229
	v_fma_f32 v3, v150, v230, -v3
	v_fmac_f32_e32 v157, v149, v228
	v_add_f32_e32 v62, v2, v3
	s_waitcnt vmcnt(18) lgkmcnt(0)
	v_mul_f32_e32 v2, v153, v233
	v_add_f32_e32 v63, v63, v157
	v_mul_f32_e32 v157, v150, v231
	v_fma_f32 v156, v152, v232, -v2
	s_waitcnt vmcnt(16)
	v_mul_f32_e32 v2, v155, v235
	v_fmac_f32_e32 v157, v151, v230
	v_fma_f32 v164, v154, v234, -v2
	ds_read_b128 v[2:5], v20 offset:608
	ds_read_b128 v[6:9], v20 offset:624
	;; [unrolled: 1-line block ×4, first 2 shown]
	v_add_f32_e32 v63, v63, v157
	v_mul_f32_e32 v157, v152, v233
	s_waitcnt vmcnt(11)
	v_mov_b32_e32 v22, v163
	v_fmac_f32_e32 v157, v153, v232
	v_mul_f32_e32 v165, v154, v235
	s_waitcnt lgkmcnt(3)
	v_pk_mul_f32 v[22:23], v[2:3], v[22:23] op_sel_hi:[1,0]
	v_fmac_f32_e32 v165, v155, v234
	v_pk_add_f32 v[20:21], v[62:63], v[156:157]
	s_waitcnt vmcnt(10)
	v_pk_fma_f32 v[24:25], v[2:3], v[162:163], v[22:23] op_sel:[0,0,1] op_sel_hi:[1,1,0] neg_lo:[0,0,1] neg_hi:[0,0,1]
	v_pk_fma_f32 v[2:3], v[2:3], v[162:163], v[22:23] op_sel:[0,0,1] op_sel_hi:[1,0,0]
	v_pk_add_f32 v[20:21], v[20:21], v[164:165]
	v_mov_b32_e32 v25, v3
	v_pk_add_f32 v[2:3], v[20:21], v[24:25]
	v_mov_b32_e32 v20, v161
	v_pk_mul_f32 v[20:21], v[4:5], v[20:21] op_sel_hi:[1,0]
	v_pk_fma_f32 v[22:23], v[4:5], v[160:161], v[20:21] op_sel:[0,0,1] op_sel_hi:[1,1,0] neg_lo:[0,0,1] neg_hi:[0,0,1]
	v_pk_fma_f32 v[4:5], v[4:5], v[160:161], v[20:21] op_sel:[0,0,1] op_sel_hi:[1,0,0]
	v_mov_b32_e32 v4, v159
	v_mov_b32_e32 v23, v5
	s_waitcnt lgkmcnt(2)
	v_pk_mul_f32 v[4:5], v[6:7], v[4:5] op_sel_hi:[1,0]
	v_pk_fma_f32 v[20:21], v[6:7], v[158:159], v[4:5] op_sel:[0,0,1] op_sel_hi:[1,1,0] neg_lo:[0,0,1] neg_hi:[0,0,1]
	v_pk_fma_f32 v[4:5], v[6:7], v[158:159], v[4:5] op_sel:[0,0,1] op_sel_hi:[1,0,0]
	s_waitcnt vmcnt(3)
	v_mov_b32_e32 v4, v173
	v_mov_b32_e32 v21, v5
	v_pk_mul_f32 v[4:5], v[8:9], v[4:5] op_sel_hi:[1,0]
	s_waitcnt vmcnt(2)
	v_pk_fma_f32 v[6:7], v[8:9], v[172:173], v[4:5] op_sel:[0,0,1] op_sel_hi:[1,1,0] neg_lo:[0,0,1] neg_hi:[0,0,1]
	v_pk_fma_f32 v[4:5], v[8:9], v[172:173], v[4:5] op_sel:[0,0,1] op_sel_hi:[1,0,0]
	v_pk_add_f32 v[2:3], v[2:3], v[22:23]
	v_mov_b32_e32 v4, v171
	v_pk_add_f32 v[2:3], v[2:3], v[20:21]
	v_mov_b32_e32 v7, v5
	s_waitcnt lgkmcnt(1)
	v_pk_mul_f32 v[4:5], v[10:11], v[4:5] op_sel_hi:[1,0]
	v_pk_add_f32 v[2:3], v[2:3], v[6:7]
	v_pk_fma_f32 v[6:7], v[10:11], v[170:171], v[4:5] op_sel:[0,0,1] op_sel_hi:[1,1,0] neg_lo:[0,0,1] neg_hi:[0,0,1]
	v_pk_fma_f32 v[4:5], v[10:11], v[170:171], v[4:5] op_sel:[0,0,1] op_sel_hi:[1,0,0]
	v_mov_b32_e32 v4, v169
	v_mov_b32_e32 v7, v5
	v_pk_mul_f32 v[4:5], v[12:13], v[4:5] op_sel_hi:[1,0]
	v_pk_add_f32 v[2:3], v[2:3], v[6:7]
	v_pk_fma_f32 v[6:7], v[12:13], v[168:169], v[4:5] op_sel:[0,0,1] op_sel_hi:[1,1,0] neg_lo:[0,0,1] neg_hi:[0,0,1]
	v_pk_fma_f32 v[4:5], v[12:13], v[168:169], v[4:5] op_sel:[0,0,1] op_sel_hi:[1,0,0]
	v_mov_b32_e32 v4, v167
	v_mov_b32_e32 v7, v5
	s_waitcnt lgkmcnt(0)
	v_pk_mul_f32 v[4:5], v[14:15], v[4:5] op_sel_hi:[1,0]
	v_pk_add_f32 v[2:3], v[2:3], v[6:7]
	v_pk_fma_f32 v[6:7], v[14:15], v[166:167], v[4:5] op_sel:[0,0,1] op_sel_hi:[1,1,0] neg_lo:[0,0,1] neg_hi:[0,0,1]
	v_pk_fma_f32 v[4:5], v[14:15], v[166:167], v[4:5] op_sel:[0,0,1] op_sel_hi:[1,0,0]
	s_waitcnt vmcnt(1)
	v_mov_b32_e32 v4, v175
	v_mov_b32_e32 v7, v5
	v_pk_mul_f32 v[4:5], v[16:17], v[4:5] op_sel_hi:[1,0]
	v_pk_add_f32 v[2:3], v[2:3], v[6:7]
	s_waitcnt vmcnt(0)
	v_pk_fma_f32 v[6:7], v[16:17], v[174:175], v[4:5] op_sel:[0,0,1] op_sel_hi:[1,1,0] neg_lo:[0,0,1] neg_hi:[0,0,1]
	v_pk_fma_f32 v[4:5], v[16:17], v[174:175], v[4:5] op_sel:[0,0,1] op_sel_hi:[1,0,0]
	v_mov_b32_e32 v7, v5
	v_pk_add_f32 v[2:3], v[2:3], v[6:7]
	v_pk_add_f32 v[2:3], v[18:19], v[2:3] neg_lo:[0,1] neg_hi:[0,1]
	buffer_store_dword v3, off, s[0:3], 0 offset:12
	buffer_store_dword v2, off, s[0:3], 0 offset:8
	s_and_saveexec_b64 s[4:5], vcc
	s_cbranch_execz .LBB105_265
; %bb.264:
	buffer_load_dword v2, off, s[0:3], 0
	buffer_load_dword v3, off, s[0:3], 0 offset:4
	v_mov_b32_e32 v0, 0
	buffer_store_dword v0, off, s[0:3], 0
	buffer_store_dword v0, off, s[0:3], 0 offset:4
	s_waitcnt vmcnt(2)
	ds_write_b64 v1, v[2:3]
.LBB105_265:
	s_or_b64 exec, exec, s[4:5]
	s_waitcnt lgkmcnt(0)
	; wave barrier
	s_waitcnt lgkmcnt(0)
	buffer_load_dword v152, off, s[0:3], 0 offset:12
	buffer_load_dword v157, off, s[0:3], 0 offset:20
	;; [unrolled: 1-line block ×21, first 2 shown]
	buffer_load_dword v148, off, s[0:3], 0
	buffer_load_dword v149, off, s[0:3], 0 offset:4
	buffer_load_dword v199, off, s[0:3], 0 offset:88
	v_mov_b32_e32 v156, 0
	buffer_load_dword v200, off, s[0:3], 0 offset:96
	buffer_load_dword v201, off, s[0:3], 0 offset:100
	;; [unrolled: 1-line block ×32, first 2 shown]
	ds_read2_b64 v[16:19], v156 offset0:43 offset1:44
	ds_read2_b64 v[12:15], v156 offset0:45 offset1:46
	;; [unrolled: 1-line block ×5, first 2 shown]
	buffer_load_dword v232, off, s[0:3], 0 offset:224
	buffer_load_dword v233, off, s[0:3], 0 offset:228
	;; [unrolled: 1-line block ×4, first 2 shown]
	s_and_b64 vcc, exec, s[16:17]
	s_waitcnt vmcnt(59) lgkmcnt(4)
	v_mul_f32_e32 v20, v16, v152
	s_waitcnt vmcnt(58)
	v_mul_f32_e32 v21, v18, v157
	s_waitcnt vmcnt(57) lgkmcnt(3)
	v_mul_f32_e32 v22, v12, v166
	s_waitcnt vmcnt(56)
	v_mul_f32_e32 v23, v14, v168
	;; [unrolled: 4-line block ×4, first 2 shown]
	s_waitcnt vmcnt(51)
	v_fmac_f32_e32 v20, v17, v186
	s_waitcnt vmcnt(50)
	v_fmac_f32_e32 v21, v19, v187
	v_add_f32_e32 v20, 0, v20
	s_waitcnt vmcnt(49)
	v_fmac_f32_e32 v22, v13, v188
	v_add_f32_e32 v20, v20, v21
	;; [unrolled: 3-line block ×7, first 2 shown]
	v_add_f32_e32 v24, v20, v27
	ds_read2_b64 v[20:23], v156 offset0:53 offset1:54
	buffer_load_dword v236, off, s[0:3], 0 offset:240
	buffer_load_dword v237, off, s[0:3], 0 offset:244
	;; [unrolled: 1-line block ×4, first 2 shown]
	s_waitcnt vmcnt(47) lgkmcnt(1)
	v_mul_f32_e32 v25, v0, v194
	s_waitcnt vmcnt(46)
	v_fmac_f32_e32 v25, v1, v195
	v_add_f32_e32 v24, v24, v25
	s_waitcnt vmcnt(45)
	v_mul_f32_e32 v25, v2, v196
	s_waitcnt vmcnt(44)
	v_fmac_f32_e32 v25, v3, v197
	buffer_load_dword v240, off, s[0:3], 0 offset:256
	buffer_load_dword v241, off, s[0:3], 0 offset:260
	;; [unrolled: 1-line block ×4, first 2 shown]
	ds_read2_b64 v[32:35], v156 offset0:55 offset1:56
	ds_read2_b64 v[28:31], v156 offset0:57 offset1:58
	v_add_f32_e32 v24, v24, v25
	s_waitcnt vmcnt(47) lgkmcnt(2)
	v_mul_f32_e32 v25, v20, v198
	s_waitcnt vmcnt(44)
	v_fmac_f32_e32 v25, v21, v199
	v_add_f32_e32 v24, v24, v25
	s_waitcnt vmcnt(42)
	v_mul_f32_e32 v25, v22, v201
	v_fmac_f32_e32 v25, v23, v200
	v_add_f32_e32 v24, v24, v25
	s_waitcnt vmcnt(40) lgkmcnt(1)
	v_mul_f32_e32 v25, v32, v203
	v_fmac_f32_e32 v25, v33, v202
	v_add_f32_e32 v24, v24, v25
	s_waitcnt vmcnt(38)
	v_mul_f32_e32 v25, v34, v205
	v_fmac_f32_e32 v25, v35, v204
	ds_read2_b64 v[40:43], v156 offset0:59 offset1:60
	ds_read2_b64 v[36:39], v156 offset0:61 offset1:62
	v_add_f32_e32 v24, v24, v25
	s_waitcnt vmcnt(36) lgkmcnt(2)
	v_mul_f32_e32 v25, v28, v207
	v_fmac_f32_e32 v25, v29, v206
	v_add_f32_e32 v24, v24, v25
	s_waitcnt vmcnt(34)
	v_mul_f32_e32 v25, v30, v209
	v_fmac_f32_e32 v25, v31, v208
	v_add_f32_e32 v24, v24, v25
	s_waitcnt vmcnt(32) lgkmcnt(1)
	v_mul_f32_e32 v25, v40, v211
	v_fmac_f32_e32 v25, v41, v210
	v_add_f32_e32 v24, v24, v25
	s_waitcnt vmcnt(30)
	v_mul_f32_e32 v25, v42, v213
	v_fmac_f32_e32 v25, v43, v212
	ds_read2_b64 v[48:51], v156 offset0:63 offset1:64
	ds_read2_b64 v[44:47], v156 offset0:65 offset1:66
	v_add_f32_e32 v24, v24, v25
	s_waitcnt vmcnt(28) lgkmcnt(2)
	v_mul_f32_e32 v25, v36, v215
	;; [unrolled: 18-line block ×4, first 2 shown]
	v_fmac_f32_e32 v25, v53, v230
	v_add_f32_e32 v24, v24, v25
	s_waitcnt vmcnt(10)
	v_mul_f32_e32 v25, v54, v233
	v_fmac_f32_e32 v25, v55, v232
	v_add_f32_e32 v24, v24, v25
	s_waitcnt vmcnt(8) lgkmcnt(1)
	v_mul_f32_e32 v25, v158, v235
	v_fmac_f32_e32 v25, v159, v234
	v_add_f32_e32 v24, v24, v25
	v_mul_f32_e32 v17, v17, v152
	v_fma_f32 v16, v16, v186, -v17
	v_mul_f32_e32 v17, v19, v157
	s_waitcnt vmcnt(6)
	v_mul_f32_e32 v25, v160, v237
	v_fmac_f32_e32 v25, v161, v236
	v_add_f32_e32 v24, v24, v25
	s_waitcnt vmcnt(4) lgkmcnt(0)
	v_mul_f32_e32 v25, v60, v239
	v_fmac_f32_e32 v25, v61, v238
	v_add_f32_e32 v153, v24, v25
	ds_read2_b64 v[24:27], v156 offset0:75 offset1:76
	buffer_load_dword v151, off, s[0:3], 0 offset:284
	buffer_load_dword v150, off, s[0:3], 0 offset:280
	buffer_load_dword v155, off, s[0:3], 0 offset:276
	buffer_load_dword v154, off, s[0:3], 0 offset:272
	ds_read2_b64 v[162:165], v156 offset0:77 offset1:78
	buffer_load_dword v171, off, s[0:3], 0 offset:316
	buffer_load_dword v170, off, s[0:3], 0 offset:312
	;; [unrolled: 1-line block ×12, first 2 shown]
	v_add_f32_e32 v16, 0, v16
	v_fma_f32 v17, v18, v187, -v17
	v_mul_f32_e32 v13, v13, v166
	v_add_f32_e32 v16, v16, v17
	v_fma_f32 v12, v12, v188, -v13
	v_mul_f32_e32 v13, v15, v168
	;; [unrolled: 3-line block ×8, first 2 shown]
	v_add_f32_e32 v0, v4, v0
	v_fma_f32 v1, v2, v197, -v1
	v_add_f32_e32 v0, v0, v1
	v_mul_f32_e32 v1, v21, v198
	v_fma_f32 v1, v20, v199, -v1
	v_add_f32_e32 v0, v0, v1
	v_mul_f32_e32 v1, v23, v201
	;; [unrolled: 3-line block ×21, first 2 shown]
	v_fma_f32 v1, v60, v238, -v1
	s_waitcnt vmcnt(13)
	v_mov_b32_e32 v12, v155
	v_mul_f32_e32 v167, v62, v241
	v_add_f32_e32 v152, v0, v1
	v_mul_f32_e32 v0, v63, v241
	s_waitcnt lgkmcnt(1)
	v_pk_mul_f32 v[12:13], v[26:27], v[12:13] op_sel_hi:[1,0]
	v_fmac_f32_e32 v167, v63, v240
	v_mul_f32_e32 v169, v24, v243
	v_fma_f32 v166, v62, v240, -v0
	v_mul_f32_e32 v0, v25, v243
	s_waitcnt vmcnt(12)
	v_pk_fma_f32 v[14:15], v[26:27], v[154:155], v[12:13] op_sel:[0,0,1] op_sel_hi:[1,1,0] neg_lo:[0,0,1] neg_hi:[0,0,1]
	v_pk_fma_f32 v[12:13], v[26:27], v[154:155], v[12:13] op_sel:[0,0,1] op_sel_hi:[1,0,0]
	v_fmac_f32_e32 v169, v25, v242
	v_fma_f32 v168, v24, v242, -v0
	v_pk_add_f32 v[10:11], v[152:153], v[166:167]
	v_mov_b32_e32 v12, v151
	v_pk_add_f32 v[10:11], v[10:11], v[168:169]
	v_mov_b32_e32 v15, v13
	s_waitcnt lgkmcnt(0)
	v_pk_mul_f32 v[12:13], v[162:163], v[12:13] op_sel_hi:[1,0]
	v_pk_add_f32 v[10:11], v[10:11], v[14:15]
	v_pk_fma_f32 v[14:15], v[162:163], v[150:151], v[12:13] op_sel:[0,0,1] op_sel_hi:[1,1,0] neg_lo:[0,0,1] neg_hi:[0,0,1]
	v_pk_fma_f32 v[12:13], v[162:163], v[150:151], v[12:13] op_sel:[0,0,1] op_sel_hi:[1,0,0]
	s_waitcnt vmcnt(5)
	v_mov_b32_e32 v12, v177
	ds_read2_b64 v[0:3], v156 offset0:79 offset1:80
	ds_read2_b64 v[4:7], v156 offset0:81 offset1:82
	ds_read_b64 v[8:9], v156 offset:664
	v_mov_b32_e32 v15, v13
	v_pk_mul_f32 v[12:13], v[164:165], v[12:13] op_sel_hi:[1,0]
	v_pk_add_f32 v[10:11], v[10:11], v[14:15]
	s_waitcnt vmcnt(4)
	v_pk_fma_f32 v[14:15], v[164:165], v[176:177], v[12:13] op_sel:[0,0,1] op_sel_hi:[1,1,0] neg_lo:[0,0,1] neg_hi:[0,0,1]
	v_pk_fma_f32 v[12:13], v[164:165], v[176:177], v[12:13] op_sel:[0,0,1] op_sel_hi:[1,0,0]
	v_mov_b32_e32 v12, v175
	v_mov_b32_e32 v15, v13
	s_waitcnt lgkmcnt(2)
	v_pk_mul_f32 v[12:13], v[0:1], v[12:13] op_sel_hi:[1,0]
	v_pk_add_f32 v[10:11], v[10:11], v[14:15]
	v_pk_fma_f32 v[14:15], v[0:1], v[174:175], v[12:13] op_sel:[0,0,1] op_sel_hi:[1,1,0] neg_lo:[0,0,1] neg_hi:[0,0,1]
	v_pk_fma_f32 v[0:1], v[0:1], v[174:175], v[12:13] op_sel:[0,0,1] op_sel_hi:[1,0,0]
	v_mov_b32_e32 v15, v1
	v_pk_add_f32 v[0:1], v[10:11], v[14:15]
	v_mov_b32_e32 v10, v173
	v_pk_mul_f32 v[10:11], v[2:3], v[10:11] op_sel_hi:[1,0]
	v_pk_fma_f32 v[12:13], v[2:3], v[172:173], v[10:11] op_sel:[0,0,1] op_sel_hi:[1,1,0] neg_lo:[0,0,1] neg_hi:[0,0,1]
	v_pk_fma_f32 v[2:3], v[2:3], v[172:173], v[10:11] op_sel:[0,0,1] op_sel_hi:[1,0,0]
	v_mov_b32_e32 v2, v171
	v_mov_b32_e32 v13, v3
	s_waitcnt lgkmcnt(1)
	v_pk_mul_f32 v[2:3], v[4:5], v[2:3] op_sel_hi:[1,0]
	v_pk_fma_f32 v[10:11], v[4:5], v[170:171], v[2:3] op_sel:[0,0,1] op_sel_hi:[1,1,0] neg_lo:[0,0,1] neg_hi:[0,0,1]
	v_pk_fma_f32 v[2:3], v[4:5], v[170:171], v[2:3] op_sel:[0,0,1] op_sel_hi:[1,0,0]
	s_waitcnt vmcnt(1)
	v_mov_b32_e32 v2, v181
	v_mov_b32_e32 v11, v3
	v_pk_mul_f32 v[2:3], v[6:7], v[2:3] op_sel_hi:[1,0]
	s_waitcnt vmcnt(0)
	v_pk_fma_f32 v[4:5], v[6:7], v[180:181], v[2:3] op_sel:[0,0,1] op_sel_hi:[1,1,0] neg_lo:[0,0,1] neg_hi:[0,0,1]
	v_pk_fma_f32 v[2:3], v[6:7], v[180:181], v[2:3] op_sel:[0,0,1] op_sel_hi:[1,0,0]
	v_pk_add_f32 v[0:1], v[0:1], v[12:13]
	v_mov_b32_e32 v2, v179
	v_pk_add_f32 v[0:1], v[0:1], v[10:11]
	v_mov_b32_e32 v5, v3
	s_waitcnt lgkmcnt(0)
	v_pk_mul_f32 v[2:3], v[8:9], v[2:3] op_sel_hi:[1,0]
	v_pk_add_f32 v[0:1], v[0:1], v[4:5]
	v_pk_fma_f32 v[4:5], v[8:9], v[178:179], v[2:3] op_sel:[0,0,1] op_sel_hi:[1,1,0] neg_lo:[0,0,1] neg_hi:[0,0,1]
	v_pk_fma_f32 v[2:3], v[8:9], v[178:179], v[2:3] op_sel:[0,0,1] op_sel_hi:[1,0,0]
	v_mov_b32_e32 v5, v3
	v_pk_add_f32 v[0:1], v[0:1], v[4:5]
	v_pk_add_f32 v[0:1], v[148:149], v[0:1] neg_lo:[0,1] neg_hi:[0,1]
	buffer_store_dword v1, off, s[0:3], 0 offset:4
	buffer_store_dword v0, off, s[0:3], 0
	s_cbranch_vccz .LBB105_349
; %bb.266:
	v_pk_mov_b32 v[0:1], s[10:11], s[10:11] op_sel:[0,1]
	flat_load_dword v0, v[0:1] offset:160
	s_waitcnt vmcnt(0) lgkmcnt(0)
	v_add_u32_e32 v0, -1, v0
	v_cmp_ne_u32_e32 vcc, 40, v0
	s_and_saveexec_b64 s[4:5], vcc
	s_cbranch_execz .LBB105_268
; %bb.267:
	v_mov_b32_e32 v1, 0
	v_lshl_add_u32 v0, v0, 3, v1
	buffer_load_dword v1, v0, s[0:3], 0 offen
	buffer_load_dword v2, v0, s[0:3], 0 offen offset:4
	buffer_load_dword v3, off, s[0:3], 0 offset:324
	buffer_load_dword v4, off, s[0:3], 0 offset:320
	s_waitcnt vmcnt(3)
	buffer_store_dword v1, off, s[0:3], 0 offset:320
	s_waitcnt vmcnt(3)
	buffer_store_dword v2, off, s[0:3], 0 offset:324
	s_waitcnt vmcnt(3)
	buffer_store_dword v3, v0, s[0:3], 0 offen offset:4
	s_waitcnt vmcnt(3)
	buffer_store_dword v4, v0, s[0:3], 0 offen
.LBB105_268:
	s_or_b64 exec, exec, s[4:5]
	v_pk_mov_b32 v[0:1], s[10:11], s[10:11] op_sel:[0,1]
	flat_load_dword v0, v[0:1] offset:156
	s_waitcnt vmcnt(0) lgkmcnt(0)
	v_add_u32_e32 v0, -1, v0
	v_cmp_ne_u32_e32 vcc, 39, v0
	s_and_saveexec_b64 s[4:5], vcc
	s_cbranch_execz .LBB105_270
; %bb.269:
	v_mov_b32_e32 v1, 0
	v_lshl_add_u32 v0, v0, 3, v1
	buffer_load_dword v1, v0, s[0:3], 0 offen
	buffer_load_dword v2, v0, s[0:3], 0 offen offset:4
	buffer_load_dword v3, off, s[0:3], 0 offset:312
	buffer_load_dword v4, off, s[0:3], 0 offset:316
	s_waitcnt vmcnt(3)
	buffer_store_dword v1, off, s[0:3], 0 offset:312
	s_waitcnt vmcnt(3)
	buffer_store_dword v2, off, s[0:3], 0 offset:316
	s_waitcnt vmcnt(3)
	buffer_store_dword v3, v0, s[0:3], 0 offen
	s_waitcnt vmcnt(3)
	buffer_store_dword v4, v0, s[0:3], 0 offen offset:4
.LBB105_270:
	s_or_b64 exec, exec, s[4:5]
	v_pk_mov_b32 v[0:1], s[10:11], s[10:11] op_sel:[0,1]
	flat_load_dword v0, v[0:1] offset:152
	s_waitcnt vmcnt(0) lgkmcnt(0)
	v_add_u32_e32 v0, -1, v0
	v_cmp_ne_u32_e32 vcc, 38, v0
	s_and_saveexec_b64 s[4:5], vcc
	s_cbranch_execz .LBB105_272
; %bb.271:
	v_mov_b32_e32 v1, 0
	v_lshl_add_u32 v0, v0, 3, v1
	buffer_load_dword v1, v0, s[0:3], 0 offen
	buffer_load_dword v2, v0, s[0:3], 0 offen offset:4
	buffer_load_dword v3, off, s[0:3], 0 offset:308
	buffer_load_dword v4, off, s[0:3], 0 offset:304
	s_waitcnt vmcnt(3)
	buffer_store_dword v1, off, s[0:3], 0 offset:304
	s_waitcnt vmcnt(3)
	buffer_store_dword v2, off, s[0:3], 0 offset:308
	s_waitcnt vmcnt(3)
	buffer_store_dword v3, v0, s[0:3], 0 offen offset:4
	s_waitcnt vmcnt(3)
	buffer_store_dword v4, v0, s[0:3], 0 offen
.LBB105_272:
	s_or_b64 exec, exec, s[4:5]
	v_pk_mov_b32 v[0:1], s[10:11], s[10:11] op_sel:[0,1]
	flat_load_dword v0, v[0:1] offset:148
	s_waitcnt vmcnt(0) lgkmcnt(0)
	v_add_u32_e32 v0, -1, v0
	v_cmp_ne_u32_e32 vcc, 37, v0
	s_and_saveexec_b64 s[4:5], vcc
	s_cbranch_execz .LBB105_274
; %bb.273:
	v_mov_b32_e32 v1, 0
	v_lshl_add_u32 v0, v0, 3, v1
	buffer_load_dword v1, v0, s[0:3], 0 offen
	buffer_load_dword v2, v0, s[0:3], 0 offen offset:4
	buffer_load_dword v3, off, s[0:3], 0 offset:296
	buffer_load_dword v4, off, s[0:3], 0 offset:300
	s_waitcnt vmcnt(3)
	buffer_store_dword v1, off, s[0:3], 0 offset:296
	s_waitcnt vmcnt(3)
	buffer_store_dword v2, off, s[0:3], 0 offset:300
	s_waitcnt vmcnt(3)
	buffer_store_dword v3, v0, s[0:3], 0 offen
	s_waitcnt vmcnt(3)
	buffer_store_dword v4, v0, s[0:3], 0 offen offset:4
.LBB105_274:
	s_or_b64 exec, exec, s[4:5]
	;; [unrolled: 48-line block ×20, first 2 shown]
	v_pk_mov_b32 v[0:1], s[10:11], s[10:11] op_sel:[0,1]
	flat_load_dword v2, v[0:1]
	s_nop 0
	buffer_load_dword v0, off, s[0:3], 0
	buffer_load_dword v1, off, s[0:3], 0 offset:4
	s_waitcnt vmcnt(0) lgkmcnt(0)
	v_add_u32_e32 v2, -1, v2
	v_cmp_ne_u32_e32 vcc, 0, v2
	s_and_saveexec_b64 s[4:5], vcc
	s_cbranch_execz .LBB105_348
; %bb.347:
	v_mov_b32_e32 v3, 0
	v_lshl_add_u32 v2, v2, 3, v3
	buffer_load_dword v3, v2, s[0:3], 0 offen offset:4
	buffer_load_dword v4, v2, s[0:3], 0 offen
	s_waitcnt vmcnt(1)
	buffer_store_dword v3, off, s[0:3], 0 offset:4
	s_waitcnt vmcnt(1)
	buffer_store_dword v4, off, s[0:3], 0
	buffer_store_dword v1, v2, s[0:3], 0 offen offset:4
	buffer_store_dword v0, v2, s[0:3], 0 offen
	buffer_load_dword v0, off, s[0:3], 0
	s_nop 0
	buffer_load_dword v1, off, s[0:3], 0 offset:4
.LBB105_348:
	s_or_b64 exec, exec, s[4:5]
.LBB105_349:
	buffer_load_dword v2, off, s[0:3], 0 offset:8
	buffer_load_dword v3, off, s[0:3], 0 offset:12
	;; [unrolled: 1-line block ×82, first 2 shown]
	s_waitcnt vmcnt(62)
	global_store_dwordx2 v[136:137], v[0:1], off
	global_store_dwordx2 v[138:139], v[2:3], off
	;; [unrolled: 1-line block ×11, first 2 shown]
	s_waitcnt vmcnt(62)
	global_store_dwordx2 v[82:83], v[22:23], off
	global_store_dwordx2 v[84:85], v[24:25], off
	;; [unrolled: 1-line block ×5, first 2 shown]
	s_waitcnt vmcnt(62)
	global_store_dwordx2 v[92:93], v[32:33], off
	global_store_dwordx2 v[94:95], v[34:35], off
	global_store_dwordx2 v[96:97], v[36:37], off
	s_waitcnt vmcnt(62)
	global_store_dwordx2 v[98:99], v[38:39], off
	s_waitcnt vmcnt(62)
	global_store_dwordx2 v[100:101], v[40:41], off
	;; [unrolled: 2-line block ×23, first 2 shown]
	s_endpgm
	.section	.rodata,"a",@progbits
	.p2align	6, 0x0
	.amdhsa_kernel _ZN9rocsolver6v33100L18getri_kernel_smallILi42E19rocblas_complex_numIfEPKPS3_EEvT1_iilPiilS8_bb
		.amdhsa_group_segment_fixed_size 676
		.amdhsa_private_segment_fixed_size 352
		.amdhsa_kernarg_size 60
		.amdhsa_user_sgpr_count 8
		.amdhsa_user_sgpr_private_segment_buffer 1
		.amdhsa_user_sgpr_dispatch_ptr 0
		.amdhsa_user_sgpr_queue_ptr 0
		.amdhsa_user_sgpr_kernarg_segment_ptr 1
		.amdhsa_user_sgpr_dispatch_id 0
		.amdhsa_user_sgpr_flat_scratch_init 1
		.amdhsa_user_sgpr_kernarg_preload_length 0
		.amdhsa_user_sgpr_kernarg_preload_offset 0
		.amdhsa_user_sgpr_private_segment_size 0
		.amdhsa_uses_dynamic_stack 0
		.amdhsa_system_sgpr_private_segment_wavefront_offset 1
		.amdhsa_system_sgpr_workgroup_id_x 1
		.amdhsa_system_sgpr_workgroup_id_y 0
		.amdhsa_system_sgpr_workgroup_id_z 0
		.amdhsa_system_sgpr_workgroup_info 0
		.amdhsa_system_vgpr_workitem_id 0
		.amdhsa_next_free_vgpr 244
		.amdhsa_next_free_sgpr 22
		.amdhsa_accum_offset 244
		.amdhsa_reserve_vcc 1
		.amdhsa_reserve_flat_scratch 1
		.amdhsa_float_round_mode_32 0
		.amdhsa_float_round_mode_16_64 0
		.amdhsa_float_denorm_mode_32 3
		.amdhsa_float_denorm_mode_16_64 3
		.amdhsa_dx10_clamp 1
		.amdhsa_ieee_mode 1
		.amdhsa_fp16_overflow 0
		.amdhsa_tg_split 0
		.amdhsa_exception_fp_ieee_invalid_op 0
		.amdhsa_exception_fp_denorm_src 0
		.amdhsa_exception_fp_ieee_div_zero 0
		.amdhsa_exception_fp_ieee_overflow 0
		.amdhsa_exception_fp_ieee_underflow 0
		.amdhsa_exception_fp_ieee_inexact 0
		.amdhsa_exception_int_div_zero 0
	.end_amdhsa_kernel
	.section	.text._ZN9rocsolver6v33100L18getri_kernel_smallILi42E19rocblas_complex_numIfEPKPS3_EEvT1_iilPiilS8_bb,"axG",@progbits,_ZN9rocsolver6v33100L18getri_kernel_smallILi42E19rocblas_complex_numIfEPKPS3_EEvT1_iilPiilS8_bb,comdat
.Lfunc_end105:
	.size	_ZN9rocsolver6v33100L18getri_kernel_smallILi42E19rocblas_complex_numIfEPKPS3_EEvT1_iilPiilS8_bb, .Lfunc_end105-_ZN9rocsolver6v33100L18getri_kernel_smallILi42E19rocblas_complex_numIfEPKPS3_EEvT1_iilPiilS8_bb
                                        ; -- End function
	.section	.AMDGPU.csdata,"",@progbits
; Kernel info:
; codeLenInByte = 73948
; NumSgprs: 28
; NumVgprs: 244
; NumAgprs: 0
; TotalNumVgprs: 244
; ScratchSize: 352
; MemoryBound: 0
; FloatMode: 240
; IeeeMode: 1
; LDSByteSize: 676 bytes/workgroup (compile time only)
; SGPRBlocks: 3
; VGPRBlocks: 30
; NumSGPRsForWavesPerEU: 28
; NumVGPRsForWavesPerEU: 244
; AccumOffset: 244
; Occupancy: 2
; WaveLimiterHint : 1
; COMPUTE_PGM_RSRC2:SCRATCH_EN: 1
; COMPUTE_PGM_RSRC2:USER_SGPR: 8
; COMPUTE_PGM_RSRC2:TRAP_HANDLER: 0
; COMPUTE_PGM_RSRC2:TGID_X_EN: 1
; COMPUTE_PGM_RSRC2:TGID_Y_EN: 0
; COMPUTE_PGM_RSRC2:TGID_Z_EN: 0
; COMPUTE_PGM_RSRC2:TIDIG_COMP_CNT: 0
; COMPUTE_PGM_RSRC3_GFX90A:ACCUM_OFFSET: 60
; COMPUTE_PGM_RSRC3_GFX90A:TG_SPLIT: 0
	.section	.text._ZN9rocsolver6v33100L18getri_kernel_smallILi43E19rocblas_complex_numIfEPKPS3_EEvT1_iilPiilS8_bb,"axG",@progbits,_ZN9rocsolver6v33100L18getri_kernel_smallILi43E19rocblas_complex_numIfEPKPS3_EEvT1_iilPiilS8_bb,comdat
	.globl	_ZN9rocsolver6v33100L18getri_kernel_smallILi43E19rocblas_complex_numIfEPKPS3_EEvT1_iilPiilS8_bb ; -- Begin function _ZN9rocsolver6v33100L18getri_kernel_smallILi43E19rocblas_complex_numIfEPKPS3_EEvT1_iilPiilS8_bb
	.p2align	8
	.type	_ZN9rocsolver6v33100L18getri_kernel_smallILi43E19rocblas_complex_numIfEPKPS3_EEvT1_iilPiilS8_bb,@function
_ZN9rocsolver6v33100L18getri_kernel_smallILi43E19rocblas_complex_numIfEPKPS3_EEvT1_iilPiilS8_bb: ; @_ZN9rocsolver6v33100L18getri_kernel_smallILi43E19rocblas_complex_numIfEPKPS3_EEvT1_iilPiilS8_bb
; %bb.0:
	s_add_u32 flat_scratch_lo, s6, s9
	s_addc_u32 flat_scratch_hi, s7, 0
	s_add_u32 s0, s0, s9
	s_addc_u32 s1, s1, 0
	v_cmp_gt_u32_e32 vcc, 43, v0
	s_and_saveexec_b64 s[6:7], vcc
	s_cbranch_execz .LBB106_186
; %bb.1:
	s_load_dword s20, s[4:5], 0x38
	s_load_dwordx2 s[6:7], s[4:5], 0x0
	s_load_dwordx4 s[12:15], s[4:5], 0x28
	s_waitcnt lgkmcnt(0)
	s_bitcmp1_b32 s20, 8
	s_cselect_b64 s[16:17], -1, 0
	s_ashr_i32 s9, s8, 31
	s_lshl_b64 s[10:11], s[8:9], 3
	s_add_u32 s6, s6, s10
	s_addc_u32 s7, s7, s11
	s_load_dwordx2 s[18:19], s[6:7], 0x0
	s_bfe_u32 s6, s20, 0x10008
	s_cmp_eq_u32 s6, 0
                                        ; implicit-def: $sgpr10_sgpr11
	s_cbranch_scc1 .LBB106_3
; %bb.2:
	s_load_dword s6, s[4:5], 0x20
	s_load_dwordx2 s[10:11], s[4:5], 0x18
	s_mul_i32 s7, s8, s13
	s_mul_hi_u32 s13, s8, s12
	s_add_i32 s13, s13, s7
	s_mul_i32 s21, s9, s12
	s_add_i32 s13, s13, s21
	s_mul_i32 s12, s8, s12
	s_waitcnt lgkmcnt(0)
	s_ashr_i32 s7, s6, 31
	s_lshl_b64 s[12:13], s[12:13], 2
	s_add_u32 s10, s10, s12
	s_addc_u32 s11, s11, s13
	s_lshl_b64 s[6:7], s[6:7], 2
	s_add_u32 s10, s10, s6
	s_addc_u32 s11, s11, s7
.LBB106_3:
	s_load_dwordx2 s[6:7], s[4:5], 0x8
	v_lshlrev_b32_e32 v6, 3, v0
	s_waitcnt lgkmcnt(0)
	s_ashr_i32 s5, s6, 31
	s_mov_b32 s4, s6
	s_lshl_b64 s[4:5], s[4:5], 3
	s_add_u32 s4, s18, s4
	s_addc_u32 s5, s19, s5
	s_add_i32 s6, s7, s7
	v_add_u32_e32 v2, s6, v0
	v_ashrrev_i32_e32 v3, 31, v2
	v_lshlrev_b64 v[4:5], 3, v[2:3]
	v_add_u32_e32 v2, s7, v2
	v_mov_b32_e32 v1, s5
	v_add_co_u32_e32 v66, vcc, s4, v4
	v_ashrrev_i32_e32 v3, 31, v2
	v_addc_co_u32_e32 v67, vcc, v1, v5, vcc
	v_lshlrev_b64 v[4:5], 3, v[2:3]
	v_add_u32_e32 v2, s7, v2
	v_add_co_u32_e32 v68, vcc, s4, v4
	v_ashrrev_i32_e32 v3, 31, v2
	v_addc_co_u32_e32 v69, vcc, v1, v5, vcc
	v_lshlrev_b64 v[4:5], 3, v[2:3]
	v_add_u32_e32 v2, s7, v2
	;; [unrolled: 5-line block ×34, first 2 shown]
	v_add_co_u32_e32 v134, vcc, s4, v4
	v_ashrrev_i32_e32 v3, 31, v2
	v_addc_co_u32_e32 v135, vcc, v1, v5, vcc
	v_lshlrev_b64 v[4:5], 3, v[2:3]
	v_add_co_u32_e32 v136, vcc, s4, v4
	v_addc_co_u32_e32 v137, vcc, v1, v5, vcc
	v_mov_b32_e32 v7, s5
	v_add_co_u32_e32 v140, vcc, s4, v6
	s_ashr_i32 s13, s7, 31
	s_mov_b32 s12, s7
	v_add_u32_e32 v2, s7, v2
	v_addc_co_u32_e32 v141, vcc, 0, v7, vcc
	s_lshl_b64 s[12:13], s[12:13], 3
	v_ashrrev_i32_e32 v3, 31, v2
	v_mov_b32_e32 v7, s13
	v_add_co_u32_e32 v144, vcc, s12, v140
	v_addc_co_u32_e32 v145, vcc, v141, v7, vcc
	v_lshlrev_b64 v[10:11], 3, v[2:3]
	v_add_u32_e32 v2, s7, v2
	v_add_co_u32_e32 v138, vcc, s4, v10
	v_ashrrev_i32_e32 v3, 31, v2
	v_addc_co_u32_e32 v139, vcc, v1, v11, vcc
	v_lshlrev_b64 v[24:25], 3, v[2:3]
	v_add_u32_e32 v2, s7, v2
	v_add_co_u32_e32 v142, vcc, s4, v24
	v_ashrrev_i32_e32 v3, 31, v2
	;; [unrolled: 5-line block ×3, first 2 shown]
	v_addc_co_u32_e32 v147, vcc, v1, v41, vcc
	v_lshlrev_b64 v[56:57], 3, v[2:3]
	v_add_u32_e32 v2, s7, v2
	global_load_dwordx2 v[4:5], v6, s[4:5]
	global_load_dwordx2 v[8:9], v[144:145], off
	v_add_co_u32_e32 v148, vcc, s4, v56
	v_ashrrev_i32_e32 v3, 31, v2
	v_addc_co_u32_e32 v149, vcc, v1, v57, vcc
	v_lshlrev_b64 v[2:3], 3, v[2:3]
	v_add_co_u32_e32 v150, vcc, s4, v2
	global_load_dwordx2 v[12:13], v[66:67], off
	global_load_dwordx2 v[14:15], v[68:69], off
	;; [unrolled: 1-line block ×35, first 2 shown]
	v_addc_co_u32_e32 v151, vcc, v1, v3, vcc
	global_load_dwordx2 v[2:3], v[136:137], off
	global_load_dwordx2 v[166:167], v[150:151], off
	;; [unrolled: 1-line block ×5, first 2 shown]
	s_bitcmp0_b32 s20, 0
	s_mov_b64 s[6:7], -1
	s_waitcnt vmcnt(41)
	buffer_store_dword v5, off, s[0:3], 0 offset:4
	buffer_store_dword v4, off, s[0:3], 0
	global_load_dwordx2 v[4:5], v[146:147], off
	s_waitcnt vmcnt(43)
	buffer_store_dword v9, off, s[0:3], 0 offset:12
	buffer_store_dword v8, off, s[0:3], 0 offset:8
	s_waitcnt vmcnt(44)
	buffer_store_dword v13, off, s[0:3], 0 offset:20
	buffer_store_dword v12, off, s[0:3], 0 offset:16
	;; [unrolled: 3-line block ×21, first 2 shown]
	buffer_store_dword v50, off, s[0:3], 0 offset:176
	buffer_store_dword v51, off, s[0:3], 0 offset:180
	s_waitcnt vmcnt(62)
	buffer_store_dword v52, off, s[0:3], 0 offset:184
	buffer_store_dword v53, off, s[0:3], 0 offset:188
	;; [unrolled: 1-line block ×8, first 2 shown]
	s_waitcnt vmcnt(62)
	buffer_store_dword v62, off, s[0:3], 0 offset:216
	buffer_store_dword v63, off, s[0:3], 0 offset:220
	;; [unrolled: 1-line block ×16, first 2 shown]
	s_waitcnt vmcnt(62)
	buffer_store_dword v162, off, s[0:3], 0 offset:280
	buffer_store_dword v163, off, s[0:3], 0 offset:284
	;; [unrolled: 1-line block ×16, first 2 shown]
	s_cbranch_scc1 .LBB106_184
; %bb.4:
	v_cmp_eq_u32_e64 s[4:5], 0, v0
	s_and_saveexec_b64 s[6:7], s[4:5]
	s_cbranch_execz .LBB106_6
; %bb.5:
	v_mov_b32_e32 v1, 0
	ds_write_b32 v1, v1 offset:344
.LBB106_6:
	s_or_b64 exec, exec, s[6:7]
	v_mov_b32_e32 v1, 0
	v_lshl_add_u32 v7, v0, 3, v1
	s_waitcnt lgkmcnt(0)
	; wave barrier
	s_waitcnt lgkmcnt(0)
	buffer_load_dword v1, v7, s[0:3], 0 offen
	buffer_load_dword v2, v7, s[0:3], 0 offen offset:4
	s_waitcnt vmcnt(1)
	v_cmp_eq_f32_e32 vcc, 0, v1
	s_waitcnt vmcnt(0)
	v_cmp_eq_f32_e64 s[6:7], 0, v2
	s_and_b64 s[6:7], vcc, s[6:7]
	s_and_saveexec_b64 s[12:13], s[6:7]
	s_cbranch_execz .LBB106_10
; %bb.7:
	v_mov_b32_e32 v1, 0
	ds_read_b32 v3, v1 offset:344
	v_add_u32_e32 v2, 1, v0
	s_waitcnt lgkmcnt(0)
	v_readfirstlane_b32 s6, v3
	s_cmp_eq_u32 s6, 0
	s_cselect_b64 s[18:19], -1, 0
	v_cmp_gt_i32_e32 vcc, s6, v2
	s_or_b64 s[18:19], s[18:19], vcc
	s_and_b64 exec, exec, s[18:19]
	s_cbranch_execz .LBB106_10
; %bb.8:
	s_mov_b64 s[18:19], 0
	v_mov_b32_e32 v3, s6
.LBB106_9:                              ; =>This Inner Loop Header: Depth=1
	ds_cmpst_rtn_b32 v3, v1, v3, v2 offset:344
	s_waitcnt lgkmcnt(0)
	v_cmp_ne_u32_e32 vcc, 0, v3
	v_cmp_le_i32_e64 s[6:7], v3, v2
	s_and_b64 s[6:7], vcc, s[6:7]
	s_and_b64 s[6:7], exec, s[6:7]
	s_or_b64 s[18:19], s[6:7], s[18:19]
	s_andn2_b64 exec, exec, s[18:19]
	s_cbranch_execnz .LBB106_9
.LBB106_10:
	s_or_b64 exec, exec, s[12:13]
	v_mov_b32_e32 v2, 0
	s_waitcnt lgkmcnt(0)
	; wave barrier
	ds_read_b32 v1, v2 offset:344
	s_and_saveexec_b64 s[6:7], s[4:5]
	s_cbranch_execz .LBB106_12
; %bb.11:
	s_lshl_b64 s[12:13], s[8:9], 2
	s_add_u32 s12, s14, s12
	s_addc_u32 s13, s15, s13
	s_waitcnt lgkmcnt(0)
	global_store_dword v2, v1, s[12:13]
.LBB106_12:
	s_or_b64 exec, exec, s[6:7]
	s_waitcnt lgkmcnt(0)
	v_cmp_ne_u32_e32 vcc, 0, v1
	s_mov_b64 s[6:7], 0
	s_cbranch_vccnz .LBB106_184
; %bb.13:
	buffer_load_dword v8, v7, s[0:3], 0 offen offset:4
	buffer_load_dword v3, v7, s[0:3], 0 offen
	s_waitcnt vmcnt(1)
	v_cmp_gt_f32_e32 vcc, 0, v8
	v_cndmask_b32_e64 v1, v8, -v8, vcc
	s_waitcnt vmcnt(0)
	v_cmp_gt_f32_e32 vcc, 0, v3
	v_cndmask_b32_e64 v2, v3, -v3, vcc
	v_cmp_ngt_f32_e32 vcc, v2, v1
                                        ; implicit-def: $vgpr1
                                        ; implicit-def: $vgpr2
	s_and_saveexec_b64 s[6:7], vcc
	s_xor_b64 s[6:7], exec, s[6:7]
                                        ; implicit-def: $vgpr4_vgpr5
	s_cbranch_execz .LBB106_15
; %bb.14:
	v_div_scale_f32 v1, s[12:13], v8, v8, v3
	v_rcp_f32_e32 v2, v1
	v_div_scale_f32 v4, vcc, v3, v8, v3
	v_fma_f32 v5, -v1, v2, 1.0
	v_fmac_f32_e32 v2, v5, v2
	v_mul_f32_e32 v5, v4, v2
	v_fma_f32 v9, -v1, v5, v4
	v_fmac_f32_e32 v5, v9, v2
	v_fma_f32 v1, -v1, v5, v4
	v_div_fmas_f32 v1, v1, v2, v5
	v_div_fixup_f32 v2, v1, v8, v3
	v_fmac_f32_e32 v8, v3, v2
	v_div_scale_f32 v1, s[12:13], v8, v8, -1.0
	v_rcp_f32_e32 v3, v1
	v_fma_f32 v4, -v1, v3, 1.0
	v_fmac_f32_e32 v3, v4, v3
	v_div_scale_f32 v4, vcc, -1.0, v8, -1.0
	v_mul_f32_e32 v5, v4, v3
	v_fma_f32 v9, -v1, v5, v4
	v_fmac_f32_e32 v5, v9, v3
	v_fma_f32 v1, -v1, v5, v4
	v_div_fmas_f32 v1, v1, v3, v5
	v_div_fixup_f32 v1, v1, v8, -1.0
	v_mul_f32_e32 v2, v2, v1
	v_xor_b32_e32 v4, 0x80000000, v2
                                        ; implicit-def: $vgpr3
                                        ; implicit-def: $vgpr8
.LBB106_15:
	s_andn2_saveexec_b64 s[6:7], s[6:7]
	s_cbranch_execz .LBB106_17
; %bb.16:
	v_div_scale_f32 v1, s[12:13], v3, v3, v8
	v_rcp_f32_e32 v2, v1
	v_div_scale_f32 v4, vcc, v8, v3, v8
	v_fma_f32 v5, -v1, v2, 1.0
	v_fmac_f32_e32 v2, v5, v2
	v_mul_f32_e32 v5, v4, v2
	v_fma_f32 v9, -v1, v5, v4
	v_fmac_f32_e32 v5, v9, v2
	v_fma_f32 v1, -v1, v5, v4
	v_div_fmas_f32 v1, v1, v2, v5
	v_div_fixup_f32 v1, v1, v3, v8
	v_fmac_f32_e32 v3, v8, v1
	v_div_scale_f32 v2, s[12:13], v3, v3, 1.0
	v_rcp_f32_e32 v4, v2
	v_fma_f32 v5, -v2, v4, 1.0
	v_fmac_f32_e32 v4, v5, v4
	v_div_scale_f32 v5, vcc, 1.0, v3, 1.0
	v_mul_f32_e32 v8, v5, v4
	v_fma_f32 v9, -v2, v8, v5
	v_fmac_f32_e32 v8, v9, v4
	v_fma_f32 v2, -v2, v8, v5
	v_div_fmas_f32 v2, v2, v4, v8
	v_div_fixup_f32 v4, v2, v3, 1.0
	v_xor_b32_e32 v2, 0x80000000, v4
	v_mul_f32_e64 v1, v1, -v4
.LBB106_17:
	s_or_b64 exec, exec, s[6:7]
	buffer_store_dword v1, v7, s[0:3], 0 offen offset:4
	buffer_store_dword v4, v7, s[0:3], 0 offen
	buffer_load_dword v5, off, s[0:3], 0 offset:12
	s_nop 0
	buffer_load_dword v4, off, s[0:3], 0 offset:8
	v_xor_b32_e32 v3, 0x80000000, v1
	v_add_u32_e32 v1, 0x160, v6
	s_waitcnt vmcnt(0)
	ds_write2_b64 v6, v[2:3], v[4:5] offset1:44
	s_waitcnt lgkmcnt(0)
	; wave barrier
	s_waitcnt lgkmcnt(0)
	s_and_saveexec_b64 s[6:7], s[4:5]
	s_cbranch_execz .LBB106_19
; %bb.18:
	buffer_load_dword v8, v7, s[0:3], 0 offen offset:4
	buffer_load_dword v9, v7, s[0:3], 0 offen
	ds_read_b64 v[2:3], v1
	v_mov_b32_e32 v4, 0
	ds_read_b64 v[4:5], v4 offset:8
	s_waitcnt vmcnt(1) lgkmcnt(1)
	v_mul_f32_e32 v10, v3, v8
	v_mul_f32_e32 v8, v2, v8
	s_waitcnt vmcnt(0)
	v_fmac_f32_e32 v8, v3, v9
	v_fma_f32 v2, v2, v9, -v10
	v_add_f32_e32 v3, 0, v8
	v_add_f32_e32 v2, 0, v2
	s_waitcnt lgkmcnt(0)
	v_mul_f32_e32 v8, v3, v5
	v_mul_f32_e32 v5, v2, v5
	v_fma_f32 v2, v2, v4, -v8
	v_fmac_f32_e32 v5, v3, v4
	buffer_store_dword v2, off, s[0:3], 0 offset:8
	buffer_store_dword v5, off, s[0:3], 0 offset:12
.LBB106_19:
	s_or_b64 exec, exec, s[6:7]
	s_waitcnt lgkmcnt(0)
	; wave barrier
	buffer_load_dword v2, off, s[0:3], 0 offset:16
	buffer_load_dword v3, off, s[0:3], 0 offset:20
	v_cmp_gt_u32_e32 vcc, 2, v0
	s_waitcnt vmcnt(0)
	ds_write_b64 v1, v[2:3]
	s_waitcnt lgkmcnt(0)
	; wave barrier
	s_waitcnt lgkmcnt(0)
	s_and_saveexec_b64 s[6:7], vcc
	s_cbranch_execz .LBB106_23
; %bb.20:
	buffer_load_dword v4, v7, s[0:3], 0 offen offset:4
	buffer_load_dword v5, v7, s[0:3], 0 offen
	ds_read_b64 v[2:3], v1
	s_waitcnt vmcnt(1) lgkmcnt(0)
	v_mul_f32_e32 v7, v3, v4
	v_mul_f32_e32 v4, v2, v4
	s_waitcnt vmcnt(0)
	v_fma_f32 v2, v2, v5, -v7
	v_fmac_f32_e32 v4, v3, v5
	v_add_f32_e32 v3, 0, v2
	v_add_f32_e32 v2, 0, v4
	s_and_saveexec_b64 s[12:13], s[4:5]
	s_cbranch_execz .LBB106_22
; %bb.21:
	buffer_load_dword v7, off, s[0:3], 0 offset:12
	buffer_load_dword v8, off, s[0:3], 0 offset:8
	v_mov_b32_e32 v4, 0
	ds_read_b64 v[4:5], v4 offset:360
	s_waitcnt vmcnt(1) lgkmcnt(0)
	v_mul_f32_e32 v9, v4, v7
	v_mul_f32_e32 v7, v5, v7
	s_waitcnt vmcnt(0)
	v_fmac_f32_e32 v9, v5, v8
	v_fma_f32 v4, v4, v8, -v7
	v_add_f32_e32 v2, v2, v9
	v_add_f32_e32 v3, v3, v4
.LBB106_22:
	s_or_b64 exec, exec, s[12:13]
	v_mov_b32_e32 v4, 0
	ds_read_b64 v[4:5], v4 offset:16
	s_waitcnt lgkmcnt(0)
	v_mul_f32_e32 v7, v2, v5
	v_mul_f32_e32 v5, v3, v5
	v_fma_f32 v3, v3, v4, -v7
	v_fmac_f32_e32 v5, v2, v4
	buffer_store_dword v3, off, s[0:3], 0 offset:16
	buffer_store_dword v5, off, s[0:3], 0 offset:20
.LBB106_23:
	s_or_b64 exec, exec, s[6:7]
	s_waitcnt lgkmcnt(0)
	; wave barrier
	buffer_load_dword v2, off, s[0:3], 0 offset:24
	buffer_load_dword v3, off, s[0:3], 0 offset:28
	v_cmp_gt_u32_e32 vcc, 3, v0
	s_waitcnt vmcnt(0)
	ds_write_b64 v1, v[2:3]
	v_add_u32_e32 v2, -1, v0
	s_waitcnt lgkmcnt(0)
	; wave barrier
	s_waitcnt lgkmcnt(0)
	s_and_saveexec_b64 s[4:5], vcc
	s_cbranch_execz .LBB106_27
; %bb.24:
	v_add_u32_e32 v4, -1, v0
	v_add_u32_e32 v5, 0x160, v6
	v_add_u32_e32 v7, 0, v6
	s_mov_b64 s[6:7], 0
	v_mov_b32_e32 v3, 0
	v_mov_b32_e32 v8, 0
.LBB106_25:                             ; =>This Inner Loop Header: Depth=1
	buffer_load_dword v9, v7, s[0:3], 0 offen offset:4
	buffer_load_dword v12, v7, s[0:3], 0 offen
	ds_read_b64 v[10:11], v5
	v_add_u32_e32 v4, 1, v4
	v_cmp_lt_u32_e32 vcc, 1, v4
	v_add_u32_e32 v5, 8, v5
	v_add_u32_e32 v7, 8, v7
	s_or_b64 s[6:7], vcc, s[6:7]
	s_waitcnt vmcnt(1) lgkmcnt(0)
	v_mul_f32_e32 v13, v11, v9
	v_mul_f32_e32 v9, v10, v9
	s_waitcnt vmcnt(0)
	v_fma_f32 v10, v10, v12, -v13
	v_fmac_f32_e32 v9, v11, v12
	v_add_f32_e32 v8, v8, v10
	v_add_f32_e32 v3, v3, v9
	s_andn2_b64 exec, exec, s[6:7]
	s_cbranch_execnz .LBB106_25
; %bb.26:
	s_or_b64 exec, exec, s[6:7]
	v_mov_b32_e32 v4, 0
	ds_read_b64 v[4:5], v4 offset:24
	s_waitcnt lgkmcnt(0)
	v_mul_f32_e32 v7, v3, v5
	v_mul_f32_e32 v5, v8, v5
	v_fma_f32 v7, v8, v4, -v7
	v_fmac_f32_e32 v5, v3, v4
	buffer_store_dword v7, off, s[0:3], 0 offset:24
	buffer_store_dword v5, off, s[0:3], 0 offset:28
.LBB106_27:
	s_or_b64 exec, exec, s[4:5]
	s_waitcnt lgkmcnt(0)
	; wave barrier
	buffer_load_dword v4, off, s[0:3], 0 offset:32
	buffer_load_dword v5, off, s[0:3], 0 offset:36
	v_cmp_gt_u32_e32 vcc, 4, v0
	s_waitcnt vmcnt(0)
	ds_write_b64 v1, v[4:5]
	s_waitcnt lgkmcnt(0)
	; wave barrier
	s_waitcnt lgkmcnt(0)
	s_and_saveexec_b64 s[4:5], vcc
	s_cbranch_execz .LBB106_31
; %bb.28:
	v_add_u32_e32 v4, -1, v0
	v_add_u32_e32 v5, 0x160, v6
	v_add_u32_e32 v7, 0, v6
	s_mov_b64 s[6:7], 0
	v_mov_b32_e32 v3, 0
	v_mov_b32_e32 v8, 0
.LBB106_29:                             ; =>This Inner Loop Header: Depth=1
	buffer_load_dword v9, v7, s[0:3], 0 offen offset:4
	buffer_load_dword v12, v7, s[0:3], 0 offen
	ds_read_b64 v[10:11], v5
	v_add_u32_e32 v4, 1, v4
	v_cmp_lt_u32_e32 vcc, 2, v4
	v_add_u32_e32 v5, 8, v5
	v_add_u32_e32 v7, 8, v7
	s_or_b64 s[6:7], vcc, s[6:7]
	s_waitcnt vmcnt(1) lgkmcnt(0)
	v_mul_f32_e32 v13, v11, v9
	v_mul_f32_e32 v9, v10, v9
	s_waitcnt vmcnt(0)
	v_fma_f32 v10, v10, v12, -v13
	v_fmac_f32_e32 v9, v11, v12
	v_add_f32_e32 v8, v8, v10
	v_add_f32_e32 v3, v3, v9
	s_andn2_b64 exec, exec, s[6:7]
	s_cbranch_execnz .LBB106_29
; %bb.30:
	s_or_b64 exec, exec, s[6:7]
	v_mov_b32_e32 v4, 0
	ds_read_b64 v[4:5], v4 offset:32
	s_waitcnt lgkmcnt(0)
	v_mul_f32_e32 v7, v3, v5
	v_mul_f32_e32 v5, v8, v5
	v_fma_f32 v7, v8, v4, -v7
	v_fmac_f32_e32 v5, v3, v4
	buffer_store_dword v7, off, s[0:3], 0 offset:32
	buffer_store_dword v5, off, s[0:3], 0 offset:36
.LBB106_31:
	s_or_b64 exec, exec, s[4:5]
	s_waitcnt lgkmcnt(0)
	; wave barrier
	buffer_load_dword v4, off, s[0:3], 0 offset:40
	buffer_load_dword v5, off, s[0:3], 0 offset:44
	v_cmp_gt_u32_e32 vcc, 5, v0
	s_waitcnt vmcnt(0)
	ds_write_b64 v1, v[4:5]
	;; [unrolled: 51-line block ×19, first 2 shown]
	s_waitcnt lgkmcnt(0)
	; wave barrier
	s_waitcnt lgkmcnt(0)
	s_and_saveexec_b64 s[4:5], vcc
	s_cbranch_execz .LBB106_103
; %bb.100:
	v_add_u32_e32 v4, -1, v0
	v_add_u32_e32 v5, 0x160, v6
	v_add_u32_e32 v7, 0, v6
	s_mov_b64 s[6:7], 0
	v_mov_b32_e32 v3, 0
	v_mov_b32_e32 v8, 0
.LBB106_101:                            ; =>This Inner Loop Header: Depth=1
	buffer_load_dword v9, v7, s[0:3], 0 offen offset:4
	buffer_load_dword v12, v7, s[0:3], 0 offen
	ds_read_b64 v[10:11], v5
	v_add_u32_e32 v4, 1, v4
	v_cmp_lt_u32_e32 vcc, 20, v4
	v_add_u32_e32 v5, 8, v5
	v_add_u32_e32 v7, 8, v7
	s_or_b64 s[6:7], vcc, s[6:7]
	s_waitcnt vmcnt(1) lgkmcnt(0)
	v_mul_f32_e32 v13, v11, v9
	v_mul_f32_e32 v9, v10, v9
	s_waitcnt vmcnt(0)
	v_fma_f32 v10, v10, v12, -v13
	v_fmac_f32_e32 v9, v11, v12
	v_add_f32_e32 v8, v8, v10
	v_add_f32_e32 v3, v3, v9
	s_andn2_b64 exec, exec, s[6:7]
	s_cbranch_execnz .LBB106_101
; %bb.102:
	s_or_b64 exec, exec, s[6:7]
	v_mov_b32_e32 v4, 0
	ds_read_b64 v[4:5], v4 offset:176
	s_waitcnt lgkmcnt(0)
	v_mul_f32_e32 v7, v3, v5
	v_mul_f32_e32 v5, v8, v5
	v_fma_f32 v7, v8, v4, -v7
	v_fmac_f32_e32 v5, v3, v4
	buffer_store_dword v7, off, s[0:3], 0 offset:176
	buffer_store_dword v5, off, s[0:3], 0 offset:180
.LBB106_103:
	s_or_b64 exec, exec, s[4:5]
	s_waitcnt lgkmcnt(0)
	; wave barrier
	buffer_load_dword v4, off, s[0:3], 0 offset:184
	buffer_load_dword v5, off, s[0:3], 0 offset:188
	v_cmp_gt_u32_e32 vcc, 23, v0
	s_waitcnt vmcnt(0)
	ds_write_b64 v1, v[4:5]
	s_waitcnt lgkmcnt(0)
	; wave barrier
	s_waitcnt lgkmcnt(0)
	s_and_saveexec_b64 s[4:5], vcc
	s_cbranch_execz .LBB106_107
; %bb.104:
	v_add_u32_e32 v4, -1, v0
	v_add_u32_e32 v5, 0x160, v6
	v_add_u32_e32 v7, 0, v6
	s_mov_b64 s[6:7], 0
	v_mov_b32_e32 v3, 0
	v_mov_b32_e32 v8, 0
.LBB106_105:                            ; =>This Inner Loop Header: Depth=1
	buffer_load_dword v9, v7, s[0:3], 0 offen offset:4
	buffer_load_dword v12, v7, s[0:3], 0 offen
	ds_read_b64 v[10:11], v5
	v_add_u32_e32 v4, 1, v4
	v_cmp_lt_u32_e32 vcc, 21, v4
	v_add_u32_e32 v5, 8, v5
	v_add_u32_e32 v7, 8, v7
	s_or_b64 s[6:7], vcc, s[6:7]
	s_waitcnt vmcnt(1) lgkmcnt(0)
	v_mul_f32_e32 v13, v11, v9
	v_mul_f32_e32 v9, v10, v9
	s_waitcnt vmcnt(0)
	v_fma_f32 v10, v10, v12, -v13
	v_fmac_f32_e32 v9, v11, v12
	v_add_f32_e32 v8, v8, v10
	v_add_f32_e32 v3, v3, v9
	s_andn2_b64 exec, exec, s[6:7]
	s_cbranch_execnz .LBB106_105
; %bb.106:
	s_or_b64 exec, exec, s[6:7]
	v_mov_b32_e32 v4, 0
	ds_read_b64 v[4:5], v4 offset:184
	s_waitcnt lgkmcnt(0)
	v_mul_f32_e32 v7, v3, v5
	v_mul_f32_e32 v5, v8, v5
	v_fma_f32 v7, v8, v4, -v7
	v_fmac_f32_e32 v5, v3, v4
	buffer_store_dword v7, off, s[0:3], 0 offset:184
	buffer_store_dword v5, off, s[0:3], 0 offset:188
.LBB106_107:
	s_or_b64 exec, exec, s[4:5]
	s_waitcnt lgkmcnt(0)
	; wave barrier
	buffer_load_dword v4, off, s[0:3], 0 offset:192
	buffer_load_dword v5, off, s[0:3], 0 offset:196
	v_cmp_gt_u32_e32 vcc, 24, v0
	s_waitcnt vmcnt(0)
	ds_write_b64 v1, v[4:5]
	;; [unrolled: 51-line block ×19, first 2 shown]
	s_waitcnt lgkmcnt(0)
	; wave barrier
	s_waitcnt lgkmcnt(0)
	s_and_saveexec_b64 s[4:5], vcc
	s_cbranch_execz .LBB106_179
; %bb.176:
	v_add_u32_e32 v4, -1, v0
	v_add_u32_e32 v5, 0x160, v6
	v_add_u32_e32 v7, 0, v6
	s_mov_b64 s[6:7], 0
	v_mov_b32_e32 v3, 0
	v_mov_b32_e32 v8, 0
.LBB106_177:                            ; =>This Inner Loop Header: Depth=1
	buffer_load_dword v9, v7, s[0:3], 0 offen offset:4
	buffer_load_dword v12, v7, s[0:3], 0 offen
	ds_read_b64 v[10:11], v5
	v_add_u32_e32 v4, 1, v4
	v_cmp_lt_u32_e32 vcc, 39, v4
	v_add_u32_e32 v5, 8, v5
	v_add_u32_e32 v7, 8, v7
	s_or_b64 s[6:7], vcc, s[6:7]
	s_waitcnt vmcnt(1) lgkmcnt(0)
	v_mul_f32_e32 v13, v11, v9
	v_mul_f32_e32 v9, v10, v9
	s_waitcnt vmcnt(0)
	v_fma_f32 v10, v10, v12, -v13
	v_fmac_f32_e32 v9, v11, v12
	v_add_f32_e32 v8, v8, v10
	v_add_f32_e32 v3, v3, v9
	s_andn2_b64 exec, exec, s[6:7]
	s_cbranch_execnz .LBB106_177
; %bb.178:
	s_or_b64 exec, exec, s[6:7]
	v_mov_b32_e32 v4, 0
	ds_read_b64 v[4:5], v4 offset:328
	s_waitcnt lgkmcnt(0)
	v_mul_f32_e32 v7, v3, v5
	v_mul_f32_e32 v5, v8, v5
	v_fma_f32 v7, v8, v4, -v7
	v_fmac_f32_e32 v5, v3, v4
	buffer_store_dword v7, off, s[0:3], 0 offset:328
	buffer_store_dword v5, off, s[0:3], 0 offset:332
.LBB106_179:
	s_or_b64 exec, exec, s[4:5]
	s_waitcnt lgkmcnt(0)
	; wave barrier
	buffer_load_dword v4, off, s[0:3], 0 offset:336
	buffer_load_dword v5, off, s[0:3], 0 offset:340
	v_cmp_ne_u32_e32 vcc, 42, v0
	s_waitcnt vmcnt(0)
	ds_write_b64 v1, v[4:5]
	s_waitcnt lgkmcnt(0)
	; wave barrier
	s_waitcnt lgkmcnt(0)
	s_and_saveexec_b64 s[4:5], vcc
	s_cbranch_execz .LBB106_183
; %bb.180:
	v_add_u32_e32 v3, 0x160, v6
	v_add_u32_e32 v4, 0, v6
	s_mov_b64 s[6:7], 0
	v_mov_b32_e32 v1, 0
	v_mov_b32_e32 v5, 0
.LBB106_181:                            ; =>This Inner Loop Header: Depth=1
	buffer_load_dword v8, v4, s[0:3], 0 offen offset:4
	buffer_load_dword v9, v4, s[0:3], 0 offen
	ds_read_b64 v[6:7], v3
	v_add_u32_e32 v2, 1, v2
	v_cmp_lt_u32_e32 vcc, 40, v2
	v_add_u32_e32 v3, 8, v3
	v_add_u32_e32 v4, 8, v4
	s_or_b64 s[6:7], vcc, s[6:7]
	s_waitcnt vmcnt(1) lgkmcnt(0)
	v_mul_f32_e32 v10, v7, v8
	v_mul_f32_e32 v8, v6, v8
	s_waitcnt vmcnt(0)
	v_fma_f32 v6, v6, v9, -v10
	v_fmac_f32_e32 v8, v7, v9
	v_add_f32_e32 v5, v5, v6
	v_add_f32_e32 v1, v1, v8
	s_andn2_b64 exec, exec, s[6:7]
	s_cbranch_execnz .LBB106_181
; %bb.182:
	s_or_b64 exec, exec, s[6:7]
	v_mov_b32_e32 v2, 0
	ds_read_b64 v[2:3], v2 offset:336
	s_waitcnt lgkmcnt(0)
	v_mul_f32_e32 v4, v1, v3
	v_mul_f32_e32 v3, v5, v3
	v_fma_f32 v4, v5, v2, -v4
	v_fmac_f32_e32 v3, v1, v2
	buffer_store_dword v4, off, s[0:3], 0 offset:336
	buffer_store_dword v3, off, s[0:3], 0 offset:340
.LBB106_183:
	s_or_b64 exec, exec, s[4:5]
	s_mov_b64 s[6:7], -1
	s_waitcnt lgkmcnt(0)
	; wave barrier
.LBB106_184:
	s_and_b64 vcc, exec, s[6:7]
	s_cbranch_vccz .LBB106_186
; %bb.185:
	s_lshl_b64 s[4:5], s[8:9], 2
	s_add_u32 s4, s14, s4
	s_addc_u32 s5, s15, s5
	v_mov_b32_e32 v1, 0
	global_load_dword v1, v1, s[4:5]
	s_waitcnt vmcnt(0)
	v_cmp_ne_u32_e32 vcc, 0, v1
	s_cbranch_vccz .LBB106_187
.LBB106_186:
	s_endpgm
.LBB106_187:
	v_mov_b32_e32 v1, 0x160
	v_lshl_add_u32 v1, v0, 3, v1
	v_cmp_eq_u32_e32 vcc, 42, v0
	s_and_saveexec_b64 s[4:5], vcc
	s_cbranch_execz .LBB106_189
; %bb.188:
	buffer_load_dword v2, off, s[0:3], 0 offset:328
	buffer_load_dword v3, off, s[0:3], 0 offset:332
	v_mov_b32_e32 v4, 0
	buffer_store_dword v4, off, s[0:3], 0 offset:328
	buffer_store_dword v4, off, s[0:3], 0 offset:332
	s_waitcnt vmcnt(2)
	ds_write_b64 v1, v[2:3]
.LBB106_189:
	s_or_b64 exec, exec, s[4:5]
	s_waitcnt lgkmcnt(0)
	; wave barrier
	s_waitcnt lgkmcnt(0)
	buffer_load_dword v5, off, s[0:3], 0 offset:340
	buffer_load_dword v4, off, s[0:3], 0 offset:336
	;; [unrolled: 1-line block ×4, first 2 shown]
	v_mov_b32_e32 v2, 0
	ds_read_b64 v[8:9], v2 offset:688
	v_cmp_lt_u32_e32 vcc, 40, v0
	s_waitcnt vmcnt(3)
	v_mov_b32_e32 v10, v5
	s_waitcnt lgkmcnt(0)
	v_pk_mul_f32 v[10:11], v[8:9], v[10:11] op_sel_hi:[1,0]
	s_waitcnt vmcnt(2)
	v_pk_fma_f32 v[12:13], v[8:9], v[4:5], v[10:11] op_sel:[0,0,1] op_sel_hi:[1,1,0] neg_lo:[0,0,1] neg_hi:[0,0,1]
	v_pk_fma_f32 v[4:5], v[8:9], v[4:5], v[10:11] op_sel:[0,0,1] op_sel_hi:[1,0,0]
	v_mov_b32_e32 v13, v5
	v_pk_add_f32 v[4:5], v[12:13], 0 op_sel_hi:[1,0]
	s_waitcnt vmcnt(0)
	v_pk_add_f32 v[4:5], v[6:7], v[4:5] neg_lo:[0,1] neg_hi:[0,1]
	buffer_store_dword v4, off, s[0:3], 0 offset:328
	buffer_store_dword v5, off, s[0:3], 0 offset:332
	s_and_saveexec_b64 s[4:5], vcc
	s_cbranch_execz .LBB106_191
; %bb.190:
	buffer_load_dword v4, off, s[0:3], 0 offset:320
	buffer_load_dword v5, off, s[0:3], 0 offset:324
	s_waitcnt vmcnt(0)
	ds_write_b64 v1, v[4:5]
	buffer_store_dword v2, off, s[0:3], 0 offset:320
	buffer_store_dword v2, off, s[0:3], 0 offset:324
.LBB106_191:
	s_or_b64 exec, exec, s[4:5]
	s_waitcnt lgkmcnt(0)
	; wave barrier
	s_waitcnt lgkmcnt(0)
	buffer_load_dword v7, off, s[0:3], 0 offset:332
	buffer_load_dword v9, off, s[0:3], 0 offset:340
	;; [unrolled: 1-line block ×6, first 2 shown]
	ds_read2_b64 v[2:5], v2 offset0:85 offset1:86
	v_cmp_lt_u32_e32 vcc, 39, v0
	s_waitcnt vmcnt(5)
	v_mov_b32_e32 v12, v7
	s_waitcnt vmcnt(4)
	v_mov_b32_e32 v14, v9
	s_waitcnt lgkmcnt(0)
	v_pk_mul_f32 v[12:13], v[2:3], v[12:13] op_sel_hi:[1,0]
	v_pk_mul_f32 v[14:15], v[4:5], v[14:15] op_sel_hi:[1,0]
	s_waitcnt vmcnt(3)
	v_pk_fma_f32 v[16:17], v[2:3], v[6:7], v[12:13] op_sel:[0,0,1] op_sel_hi:[1,1,0] neg_lo:[0,0,1] neg_hi:[0,0,1]
	v_pk_fma_f32 v[2:3], v[2:3], v[6:7], v[12:13] op_sel:[0,0,1] op_sel_hi:[1,0,0]
	s_waitcnt vmcnt(2)
	v_pk_fma_f32 v[6:7], v[4:5], v[8:9], v[14:15] op_sel:[0,0,1] op_sel_hi:[1,1,0] neg_lo:[0,0,1] neg_hi:[0,0,1]
	v_pk_fma_f32 v[4:5], v[4:5], v[8:9], v[14:15] op_sel:[0,0,1] op_sel_hi:[1,0,0]
	v_mov_b32_e32 v17, v3
	v_mov_b32_e32 v7, v5
	v_pk_add_f32 v[2:3], v[16:17], 0 op_sel_hi:[1,0]
	v_pk_add_f32 v[2:3], v[2:3], v[6:7]
	s_waitcnt vmcnt(0)
	v_pk_add_f32 v[2:3], v[10:11], v[2:3] neg_lo:[0,1] neg_hi:[0,1]
	buffer_store_dword v2, off, s[0:3], 0 offset:320
	buffer_store_dword v3, off, s[0:3], 0 offset:324
	s_and_saveexec_b64 s[4:5], vcc
	s_cbranch_execz .LBB106_193
; %bb.192:
	buffer_load_dword v2, off, s[0:3], 0 offset:312
	buffer_load_dword v3, off, s[0:3], 0 offset:316
	v_mov_b32_e32 v4, 0
	buffer_store_dword v4, off, s[0:3], 0 offset:312
	buffer_store_dword v4, off, s[0:3], 0 offset:316
	s_waitcnt vmcnt(2)
	ds_write_b64 v1, v[2:3]
.LBB106_193:
	s_or_b64 exec, exec, s[4:5]
	s_waitcnt lgkmcnt(0)
	; wave barrier
	s_waitcnt lgkmcnt(0)
	buffer_load_dword v9, off, s[0:3], 0 offset:324
	buffer_load_dword v11, off, s[0:3], 0 offset:332
	;; [unrolled: 1-line block ×8, first 2 shown]
	v_mov_b32_e32 v2, 0
	ds_read_b128 v[4:7], v2 offset:672
	ds_read_b64 v[16:17], v2 offset:688
	v_cmp_lt_u32_e32 vcc, 38, v0
	s_waitcnt vmcnt(7)
	v_mov_b32_e32 v18, v9
	s_waitcnt vmcnt(6)
	v_mov_b32_e32 v20, v11
	s_waitcnt lgkmcnt(1)
	v_pk_mul_f32 v[18:19], v[4:5], v[18:19] op_sel_hi:[1,0]
	s_waitcnt vmcnt(5)
	v_mov_b32_e32 v22, v13
	v_pk_mul_f32 v[20:21], v[6:7], v[20:21] op_sel_hi:[1,0]
	s_waitcnt vmcnt(4)
	v_pk_fma_f32 v[24:25], v[4:5], v[8:9], v[18:19] op_sel:[0,0,1] op_sel_hi:[1,1,0] neg_lo:[0,0,1] neg_hi:[0,0,1]
	v_pk_fma_f32 v[4:5], v[4:5], v[8:9], v[18:19] op_sel:[0,0,1] op_sel_hi:[1,0,0]
	s_waitcnt lgkmcnt(0)
	v_pk_mul_f32 v[22:23], v[16:17], v[22:23] op_sel_hi:[1,0]
	s_waitcnt vmcnt(3)
	v_pk_fma_f32 v[8:9], v[6:7], v[10:11], v[20:21] op_sel:[0,0,1] op_sel_hi:[1,1,0] neg_lo:[0,0,1] neg_hi:[0,0,1]
	v_pk_fma_f32 v[6:7], v[6:7], v[10:11], v[20:21] op_sel:[0,0,1] op_sel_hi:[1,0,0]
	v_mov_b32_e32 v25, v5
	s_waitcnt vmcnt(2)
	v_pk_fma_f32 v[10:11], v[16:17], v[12:13], v[22:23] op_sel:[0,0,1] op_sel_hi:[1,1,0] neg_lo:[0,0,1] neg_hi:[0,0,1]
	v_pk_fma_f32 v[12:13], v[16:17], v[12:13], v[22:23] op_sel:[0,0,1] op_sel_hi:[1,0,0]
	v_mov_b32_e32 v9, v7
	v_pk_add_f32 v[4:5], v[24:25], 0 op_sel_hi:[1,0]
	v_mov_b32_e32 v11, v13
	v_pk_add_f32 v[4:5], v[4:5], v[8:9]
	v_pk_add_f32 v[4:5], v[4:5], v[10:11]
	s_waitcnt vmcnt(0)
	v_pk_add_f32 v[4:5], v[14:15], v[4:5] neg_lo:[0,1] neg_hi:[0,1]
	buffer_store_dword v4, off, s[0:3], 0 offset:312
	buffer_store_dword v5, off, s[0:3], 0 offset:316
	s_and_saveexec_b64 s[4:5], vcc
	s_cbranch_execz .LBB106_195
; %bb.194:
	buffer_load_dword v4, off, s[0:3], 0 offset:304
	buffer_load_dword v5, off, s[0:3], 0 offset:308
	s_waitcnt vmcnt(0)
	ds_write_b64 v1, v[4:5]
	buffer_store_dword v2, off, s[0:3], 0 offset:304
	buffer_store_dword v2, off, s[0:3], 0 offset:308
.LBB106_195:
	s_or_b64 exec, exec, s[4:5]
	s_waitcnt lgkmcnt(0)
	; wave barrier
	s_waitcnt lgkmcnt(0)
	buffer_load_dword v13, off, s[0:3], 0 offset:316
	buffer_load_dword v15, off, s[0:3], 0 offset:324
	;; [unrolled: 1-line block ×10, first 2 shown]
	ds_read2_b64 v[4:7], v2 offset0:83 offset1:84
	ds_read2_b64 v[8:11], v2 offset0:85 offset1:86
	v_cmp_lt_u32_e32 vcc, 37, v0
	s_waitcnt vmcnt(9)
	v_mov_b32_e32 v2, v13
	s_waitcnt vmcnt(8)
	v_mov_b32_e32 v22, v15
	s_waitcnt lgkmcnt(1)
	v_pk_mul_f32 v[2:3], v[4:5], v[2:3] op_sel_hi:[1,0]
	s_waitcnt vmcnt(7)
	v_mov_b32_e32 v24, v17
	v_pk_mul_f32 v[22:23], v[6:7], v[22:23] op_sel_hi:[1,0]
	s_waitcnt vmcnt(5)
	v_pk_fma_f32 v[28:29], v[4:5], v[12:13], v[2:3] op_sel:[0,0,1] op_sel_hi:[1,1,0] neg_lo:[0,0,1] neg_hi:[0,0,1]
	v_pk_fma_f32 v[2:3], v[4:5], v[12:13], v[2:3] op_sel:[0,0,1] op_sel_hi:[1,0,0]
	v_mov_b32_e32 v26, v19
	s_waitcnt lgkmcnt(0)
	v_pk_mul_f32 v[24:25], v[8:9], v[24:25] op_sel_hi:[1,0]
	s_waitcnt vmcnt(4)
	v_pk_fma_f32 v[4:5], v[6:7], v[14:15], v[22:23] op_sel:[0,0,1] op_sel_hi:[1,1,0] neg_lo:[0,0,1] neg_hi:[0,0,1]
	v_pk_fma_f32 v[6:7], v[6:7], v[14:15], v[22:23] op_sel:[0,0,1] op_sel_hi:[1,0,0]
	v_mov_b32_e32 v29, v3
	v_pk_mul_f32 v[26:27], v[10:11], v[26:27] op_sel_hi:[1,0]
	s_waitcnt vmcnt(3)
	v_pk_fma_f32 v[12:13], v[8:9], v[16:17], v[24:25] op_sel:[0,0,1] op_sel_hi:[1,1,0] neg_lo:[0,0,1] neg_hi:[0,0,1]
	v_pk_fma_f32 v[8:9], v[8:9], v[16:17], v[24:25] op_sel:[0,0,1] op_sel_hi:[1,0,0]
	v_mov_b32_e32 v5, v7
	v_pk_add_f32 v[2:3], v[28:29], 0 op_sel_hi:[1,0]
	s_waitcnt vmcnt(2)
	v_pk_fma_f32 v[14:15], v[10:11], v[18:19], v[26:27] op_sel:[0,0,1] op_sel_hi:[1,1,0] neg_lo:[0,0,1] neg_hi:[0,0,1]
	v_pk_fma_f32 v[10:11], v[10:11], v[18:19], v[26:27] op_sel:[0,0,1] op_sel_hi:[1,0,0]
	v_mov_b32_e32 v13, v9
	v_pk_add_f32 v[2:3], v[2:3], v[4:5]
	v_mov_b32_e32 v15, v11
	v_pk_add_f32 v[2:3], v[2:3], v[12:13]
	v_pk_add_f32 v[2:3], v[2:3], v[14:15]
	s_waitcnt vmcnt(0)
	v_pk_add_f32 v[2:3], v[20:21], v[2:3] neg_lo:[0,1] neg_hi:[0,1]
	buffer_store_dword v2, off, s[0:3], 0 offset:304
	buffer_store_dword v3, off, s[0:3], 0 offset:308
	s_and_saveexec_b64 s[4:5], vcc
	s_cbranch_execz .LBB106_197
; %bb.196:
	buffer_load_dword v2, off, s[0:3], 0 offset:296
	buffer_load_dword v3, off, s[0:3], 0 offset:300
	v_mov_b32_e32 v4, 0
	buffer_store_dword v4, off, s[0:3], 0 offset:296
	buffer_store_dword v4, off, s[0:3], 0 offset:300
	s_waitcnt vmcnt(2)
	ds_write_b64 v1, v[2:3]
.LBB106_197:
	s_or_b64 exec, exec, s[4:5]
	s_waitcnt lgkmcnt(0)
	; wave barrier
	s_waitcnt lgkmcnt(0)
	buffer_load_dword v13, off, s[0:3], 0 offset:308
	buffer_load_dword v15, off, s[0:3], 0 offset:316
	;; [unrolled: 1-line block ×12, first 2 shown]
	v_mov_b32_e32 v2, 0
	ds_read_b128 v[4:7], v2 offset:656
	ds_read_b128 v[8:11], v2 offset:672
	ds_read_b64 v[24:25], v2 offset:688
	v_cmp_lt_u32_e32 vcc, 36, v0
	s_waitcnt vmcnt(11)
	v_mov_b32_e32 v26, v13
	s_waitcnt vmcnt(10)
	v_mov_b32_e32 v28, v15
	s_waitcnt lgkmcnt(2)
	v_pk_mul_f32 v[26:27], v[4:5], v[26:27] op_sel_hi:[1,0]
	s_waitcnt vmcnt(9)
	v_mov_b32_e32 v30, v17
	v_pk_mul_f32 v[28:29], v[6:7], v[28:29] op_sel_hi:[1,0]
	s_waitcnt vmcnt(6)
	v_pk_fma_f32 v[36:37], v[4:5], v[12:13], v[26:27] op_sel:[0,0,1] op_sel_hi:[1,1,0] neg_lo:[0,0,1] neg_hi:[0,0,1]
	v_pk_fma_f32 v[4:5], v[4:5], v[12:13], v[26:27] op_sel:[0,0,1] op_sel_hi:[1,0,0]
	v_mov_b32_e32 v32, v19
	s_waitcnt lgkmcnt(1)
	v_pk_mul_f32 v[30:31], v[8:9], v[30:31] op_sel_hi:[1,0]
	s_waitcnt vmcnt(5)
	v_pk_fma_f32 v[12:13], v[6:7], v[14:15], v[28:29] op_sel:[0,0,1] op_sel_hi:[1,1,0] neg_lo:[0,0,1] neg_hi:[0,0,1]
	v_pk_fma_f32 v[6:7], v[6:7], v[14:15], v[28:29] op_sel:[0,0,1] op_sel_hi:[1,0,0]
	v_mov_b32_e32 v37, v5
	v_mov_b32_e32 v34, v21
	v_pk_mul_f32 v[32:33], v[10:11], v[32:33] op_sel_hi:[1,0]
	s_waitcnt vmcnt(4)
	v_pk_fma_f32 v[14:15], v[8:9], v[16:17], v[30:31] op_sel:[0,0,1] op_sel_hi:[1,1,0] neg_lo:[0,0,1] neg_hi:[0,0,1]
	v_pk_fma_f32 v[8:9], v[8:9], v[16:17], v[30:31] op_sel:[0,0,1] op_sel_hi:[1,0,0]
	v_mov_b32_e32 v13, v7
	v_pk_add_f32 v[4:5], v[36:37], 0 op_sel_hi:[1,0]
	s_waitcnt lgkmcnt(0)
	v_pk_mul_f32 v[34:35], v[24:25], v[34:35] op_sel_hi:[1,0]
	s_waitcnt vmcnt(3)
	v_pk_fma_f32 v[16:17], v[10:11], v[18:19], v[32:33] op_sel:[0,0,1] op_sel_hi:[1,1,0] neg_lo:[0,0,1] neg_hi:[0,0,1]
	v_pk_fma_f32 v[10:11], v[10:11], v[18:19], v[32:33] op_sel:[0,0,1] op_sel_hi:[1,0,0]
	v_mov_b32_e32 v15, v9
	v_pk_add_f32 v[4:5], v[4:5], v[12:13]
	s_waitcnt vmcnt(2)
	v_pk_fma_f32 v[18:19], v[24:25], v[20:21], v[34:35] op_sel:[0,0,1] op_sel_hi:[1,1,0] neg_lo:[0,0,1] neg_hi:[0,0,1]
	v_pk_fma_f32 v[20:21], v[24:25], v[20:21], v[34:35] op_sel:[0,0,1] op_sel_hi:[1,0,0]
	v_mov_b32_e32 v17, v11
	v_pk_add_f32 v[4:5], v[4:5], v[14:15]
	v_mov_b32_e32 v19, v21
	v_pk_add_f32 v[4:5], v[4:5], v[16:17]
	v_pk_add_f32 v[4:5], v[4:5], v[18:19]
	s_waitcnt vmcnt(0)
	v_pk_add_f32 v[4:5], v[22:23], v[4:5] neg_lo:[0,1] neg_hi:[0,1]
	buffer_store_dword v4, off, s[0:3], 0 offset:296
	buffer_store_dword v5, off, s[0:3], 0 offset:300
	s_and_saveexec_b64 s[4:5], vcc
	s_cbranch_execz .LBB106_199
; %bb.198:
	buffer_load_dword v4, off, s[0:3], 0 offset:288
	buffer_load_dword v5, off, s[0:3], 0 offset:292
	s_waitcnt vmcnt(0)
	ds_write_b64 v1, v[4:5]
	buffer_store_dword v2, off, s[0:3], 0 offset:288
	buffer_store_dword v2, off, s[0:3], 0 offset:292
.LBB106_199:
	s_or_b64 exec, exec, s[4:5]
	s_waitcnt lgkmcnt(0)
	; wave barrier
	s_waitcnt lgkmcnt(0)
	buffer_load_dword v17, off, s[0:3], 0 offset:300
	buffer_load_dword v19, off, s[0:3], 0 offset:308
	;; [unrolled: 1-line block ×14, first 2 shown]
	ds_read2_b64 v[4:7], v2 offset0:81 offset1:82
	ds_read2_b64 v[8:11], v2 offset0:83 offset1:84
	;; [unrolled: 1-line block ×3, first 2 shown]
	v_cmp_lt_u32_e32 vcc, 35, v0
	s_waitcnt vmcnt(13)
	v_mov_b32_e32 v2, v17
	s_waitcnt vmcnt(12)
	v_mov_b32_e32 v30, v19
	s_waitcnt lgkmcnt(2)
	v_pk_mul_f32 v[2:3], v[4:5], v[2:3] op_sel_hi:[1,0]
	s_waitcnt vmcnt(11)
	v_mov_b32_e32 v32, v21
	v_pk_mul_f32 v[30:31], v[6:7], v[30:31] op_sel_hi:[1,0]
	s_waitcnt vmcnt(10)
	v_mov_b32_e32 v34, v23
	s_waitcnt vmcnt(7)
	v_pk_fma_f32 v[40:41], v[4:5], v[16:17], v[2:3] op_sel:[0,0,1] op_sel_hi:[1,1,0] neg_lo:[0,0,1] neg_hi:[0,0,1]
	v_pk_fma_f32 v[2:3], v[4:5], v[16:17], v[2:3] op_sel:[0,0,1] op_sel_hi:[1,0,0]
	s_waitcnt lgkmcnt(1)
	v_pk_mul_f32 v[32:33], v[8:9], v[32:33] op_sel_hi:[1,0]
	s_waitcnt vmcnt(6)
	v_pk_fma_f32 v[4:5], v[6:7], v[18:19], v[30:31] op_sel:[0,0,1] op_sel_hi:[1,1,0] neg_lo:[0,0,1] neg_hi:[0,0,1]
	v_pk_fma_f32 v[6:7], v[6:7], v[18:19], v[30:31] op_sel:[0,0,1] op_sel_hi:[1,0,0]
	v_mov_b32_e32 v41, v3
	v_mov_b32_e32 v36, v25
	v_pk_mul_f32 v[34:35], v[10:11], v[34:35] op_sel_hi:[1,0]
	s_waitcnt vmcnt(5)
	v_pk_fma_f32 v[16:17], v[8:9], v[20:21], v[32:33] op_sel:[0,0,1] op_sel_hi:[1,1,0] neg_lo:[0,0,1] neg_hi:[0,0,1]
	v_pk_fma_f32 v[8:9], v[8:9], v[20:21], v[32:33] op_sel:[0,0,1] op_sel_hi:[1,0,0]
	v_mov_b32_e32 v5, v7
	v_pk_add_f32 v[2:3], v[40:41], 0 op_sel_hi:[1,0]
	v_mov_b32_e32 v38, v27
	s_waitcnt lgkmcnt(0)
	v_pk_mul_f32 v[36:37], v[12:13], v[36:37] op_sel_hi:[1,0]
	s_waitcnt vmcnt(4)
	v_pk_fma_f32 v[18:19], v[10:11], v[22:23], v[34:35] op_sel:[0,0,1] op_sel_hi:[1,1,0] neg_lo:[0,0,1] neg_hi:[0,0,1]
	v_pk_fma_f32 v[10:11], v[10:11], v[22:23], v[34:35] op_sel:[0,0,1] op_sel_hi:[1,0,0]
	v_mov_b32_e32 v17, v9
	v_pk_add_f32 v[2:3], v[2:3], v[4:5]
	v_pk_mul_f32 v[38:39], v[14:15], v[38:39] op_sel_hi:[1,0]
	s_waitcnt vmcnt(3)
	v_pk_fma_f32 v[20:21], v[12:13], v[24:25], v[36:37] op_sel:[0,0,1] op_sel_hi:[1,1,0] neg_lo:[0,0,1] neg_hi:[0,0,1]
	v_pk_fma_f32 v[12:13], v[12:13], v[24:25], v[36:37] op_sel:[0,0,1] op_sel_hi:[1,0,0]
	v_mov_b32_e32 v19, v11
	v_pk_add_f32 v[2:3], v[2:3], v[16:17]
	s_waitcnt vmcnt(2)
	v_pk_fma_f32 v[22:23], v[14:15], v[26:27], v[38:39] op_sel:[0,0,1] op_sel_hi:[1,1,0] neg_lo:[0,0,1] neg_hi:[0,0,1]
	v_pk_fma_f32 v[14:15], v[14:15], v[26:27], v[38:39] op_sel:[0,0,1] op_sel_hi:[1,0,0]
	v_mov_b32_e32 v21, v13
	v_pk_add_f32 v[2:3], v[2:3], v[18:19]
	v_mov_b32_e32 v23, v15
	v_pk_add_f32 v[2:3], v[2:3], v[20:21]
	v_pk_add_f32 v[2:3], v[2:3], v[22:23]
	s_waitcnt vmcnt(0)
	v_pk_add_f32 v[2:3], v[28:29], v[2:3] neg_lo:[0,1] neg_hi:[0,1]
	buffer_store_dword v2, off, s[0:3], 0 offset:288
	buffer_store_dword v3, off, s[0:3], 0 offset:292
	s_and_saveexec_b64 s[4:5], vcc
	s_cbranch_execz .LBB106_201
; %bb.200:
	buffer_load_dword v2, off, s[0:3], 0 offset:280
	buffer_load_dword v3, off, s[0:3], 0 offset:284
	v_mov_b32_e32 v4, 0
	buffer_store_dword v4, off, s[0:3], 0 offset:280
	buffer_store_dword v4, off, s[0:3], 0 offset:284
	s_waitcnt vmcnt(2)
	ds_write_b64 v1, v[2:3]
.LBB106_201:
	s_or_b64 exec, exec, s[4:5]
	s_waitcnt lgkmcnt(0)
	; wave barrier
	s_waitcnt lgkmcnt(0)
	buffer_load_dword v16, off, s[0:3], 0 offset:280
	buffer_load_dword v17, off, s[0:3], 0 offset:284
	;; [unrolled: 1-line block ×16, first 2 shown]
	v_mov_b32_e32 v2, 0
	ds_read_b128 v[4:7], v2 offset:640
	ds_read_b128 v[8:11], v2 offset:656
	;; [unrolled: 1-line block ×3, first 2 shown]
	ds_read_b64 v[32:33], v2 offset:688
	v_cmp_lt_u32_e32 vcc, 34, v0
	s_waitcnt vmcnt(12)
	v_mov_b32_e32 v34, v19
	s_waitcnt lgkmcnt(3)
	v_pk_mul_f32 v[34:35], v[4:5], v[34:35] op_sel_hi:[1,0]
	v_pk_fma_f32 v[36:37], v[4:5], v[18:19], v[34:35] op_sel:[0,0,1] op_sel_hi:[1,1,0] neg_lo:[0,0,1] neg_hi:[0,0,1]
	v_pk_fma_f32 v[4:5], v[4:5], v[18:19], v[34:35] op_sel:[0,0,1] op_sel_hi:[1,0,0]
	s_waitcnt vmcnt(10)
	v_mov_b32_e32 v18, v21
	v_pk_mul_f32 v[18:19], v[6:7], v[18:19] op_sel_hi:[1,0]
	v_pk_fma_f32 v[34:35], v[6:7], v[20:21], v[18:19] op_sel:[0,0,1] op_sel_hi:[1,1,0] neg_lo:[0,0,1] neg_hi:[0,0,1]
	v_pk_fma_f32 v[6:7], v[6:7], v[20:21], v[18:19] op_sel:[0,0,1] op_sel_hi:[1,0,0]
	s_waitcnt vmcnt(8)
	v_mov_b32_e32 v6, v23
	v_mov_b32_e32 v35, v7
	s_waitcnt lgkmcnt(2)
	v_pk_mul_f32 v[6:7], v[8:9], v[6:7] op_sel_hi:[1,0]
	v_pk_fma_f32 v[18:19], v[8:9], v[22:23], v[6:7] op_sel:[0,0,1] op_sel_hi:[1,1,0] neg_lo:[0,0,1] neg_hi:[0,0,1]
	v_pk_fma_f32 v[6:7], v[8:9], v[22:23], v[6:7] op_sel:[0,0,1] op_sel_hi:[1,0,0]
	s_waitcnt vmcnt(6)
	v_mov_b32_e32 v6, v25
	v_mov_b32_e32 v37, v5
	;; [unrolled: 1-line block ×3, first 2 shown]
	v_pk_mul_f32 v[6:7], v[10:11], v[6:7] op_sel_hi:[1,0]
	v_pk_add_f32 v[4:5], v[36:37], 0 op_sel_hi:[1,0]
	v_pk_fma_f32 v[8:9], v[10:11], v[24:25], v[6:7] op_sel:[0,0,1] op_sel_hi:[1,1,0] neg_lo:[0,0,1] neg_hi:[0,0,1]
	v_pk_fma_f32 v[6:7], v[10:11], v[24:25], v[6:7] op_sel:[0,0,1] op_sel_hi:[1,0,0]
	v_pk_add_f32 v[4:5], v[4:5], v[34:35]
	s_waitcnt vmcnt(4)
	v_mov_b32_e32 v6, v27
	v_pk_add_f32 v[4:5], v[4:5], v[18:19]
	v_mov_b32_e32 v9, v7
	s_waitcnt lgkmcnt(1)
	v_pk_mul_f32 v[6:7], v[12:13], v[6:7] op_sel_hi:[1,0]
	v_pk_add_f32 v[4:5], v[4:5], v[8:9]
	v_pk_fma_f32 v[8:9], v[12:13], v[26:27], v[6:7] op_sel:[0,0,1] op_sel_hi:[1,1,0] neg_lo:[0,0,1] neg_hi:[0,0,1]
	v_pk_fma_f32 v[6:7], v[12:13], v[26:27], v[6:7] op_sel:[0,0,1] op_sel_hi:[1,0,0]
	s_waitcnt vmcnt(2)
	v_mov_b32_e32 v6, v29
	v_mov_b32_e32 v9, v7
	v_pk_mul_f32 v[6:7], v[14:15], v[6:7] op_sel_hi:[1,0]
	v_pk_add_f32 v[4:5], v[4:5], v[8:9]
	v_pk_fma_f32 v[8:9], v[14:15], v[28:29], v[6:7] op_sel:[0,0,1] op_sel_hi:[1,1,0] neg_lo:[0,0,1] neg_hi:[0,0,1]
	v_pk_fma_f32 v[6:7], v[14:15], v[28:29], v[6:7] op_sel:[0,0,1] op_sel_hi:[1,0,0]
	s_waitcnt vmcnt(0)
	v_mov_b32_e32 v6, v31
	v_mov_b32_e32 v9, v7
	s_waitcnt lgkmcnt(0)
	v_pk_mul_f32 v[6:7], v[32:33], v[6:7] op_sel_hi:[1,0]
	v_pk_add_f32 v[4:5], v[4:5], v[8:9]
	v_pk_fma_f32 v[8:9], v[32:33], v[30:31], v[6:7] op_sel:[0,0,1] op_sel_hi:[1,1,0] neg_lo:[0,0,1] neg_hi:[0,0,1]
	v_pk_fma_f32 v[6:7], v[32:33], v[30:31], v[6:7] op_sel:[0,0,1] op_sel_hi:[1,0,0]
	v_mov_b32_e32 v9, v7
	v_pk_add_f32 v[4:5], v[4:5], v[8:9]
	v_pk_add_f32 v[4:5], v[16:17], v[4:5] neg_lo:[0,1] neg_hi:[0,1]
	buffer_store_dword v4, off, s[0:3], 0 offset:280
	buffer_store_dword v5, off, s[0:3], 0 offset:284
	s_and_saveexec_b64 s[4:5], vcc
	s_cbranch_execz .LBB106_203
; %bb.202:
	buffer_load_dword v4, off, s[0:3], 0 offset:272
	buffer_load_dword v5, off, s[0:3], 0 offset:276
	s_waitcnt vmcnt(0)
	ds_write_b64 v1, v[4:5]
	buffer_store_dword v2, off, s[0:3], 0 offset:272
	buffer_store_dword v2, off, s[0:3], 0 offset:276
.LBB106_203:
	s_or_b64 exec, exec, s[4:5]
	s_waitcnt lgkmcnt(0)
	; wave barrier
	s_waitcnt lgkmcnt(0)
	buffer_load_dword v20, off, s[0:3], 0 offset:272
	buffer_load_dword v21, off, s[0:3], 0 offset:276
	buffer_load_dword v22, off, s[0:3], 0 offset:280
	buffer_load_dword v23, off, s[0:3], 0 offset:284
	buffer_load_dword v24, off, s[0:3], 0 offset:288
	buffer_load_dword v25, off, s[0:3], 0 offset:292
	buffer_load_dword v26, off, s[0:3], 0 offset:296
	buffer_load_dword v27, off, s[0:3], 0 offset:300
	buffer_load_dword v28, off, s[0:3], 0 offset:304
	buffer_load_dword v29, off, s[0:3], 0 offset:308
	buffer_load_dword v30, off, s[0:3], 0 offset:312
	buffer_load_dword v31, off, s[0:3], 0 offset:316
	buffer_load_dword v32, off, s[0:3], 0 offset:320
	buffer_load_dword v33, off, s[0:3], 0 offset:324
	buffer_load_dword v34, off, s[0:3], 0 offset:328
	buffer_load_dword v35, off, s[0:3], 0 offset:332
	ds_read2_b64 v[4:7], v2 offset0:79 offset1:80
	buffer_load_dword v37, off, s[0:3], 0 offset:340
	buffer_load_dword v36, off, s[0:3], 0 offset:336
	ds_read2_b64 v[8:11], v2 offset0:81 offset1:82
	ds_read2_b64 v[12:15], v2 offset0:83 offset1:84
	;; [unrolled: 1-line block ×3, first 2 shown]
	v_cmp_lt_u32_e32 vcc, 33, v0
	s_waitcnt vmcnt(14)
	v_mov_b32_e32 v2, v23
	s_waitcnt lgkmcnt(3)
	v_pk_mul_f32 v[2:3], v[4:5], v[2:3] op_sel_hi:[1,0]
	v_pk_fma_f32 v[38:39], v[4:5], v[22:23], v[2:3] op_sel:[0,0,1] op_sel_hi:[1,1,0] neg_lo:[0,0,1] neg_hi:[0,0,1]
	v_pk_fma_f32 v[2:3], v[4:5], v[22:23], v[2:3] op_sel:[0,0,1] op_sel_hi:[1,0,0]
	s_waitcnt vmcnt(12)
	v_mov_b32_e32 v4, v25
	v_pk_mul_f32 v[4:5], v[6:7], v[4:5] op_sel_hi:[1,0]
	v_pk_fma_f32 v[22:23], v[6:7], v[24:25], v[4:5] op_sel:[0,0,1] op_sel_hi:[1,1,0] neg_lo:[0,0,1] neg_hi:[0,0,1]
	v_pk_fma_f32 v[4:5], v[6:7], v[24:25], v[4:5] op_sel:[0,0,1] op_sel_hi:[1,0,0]
	s_waitcnt vmcnt(10)
	v_mov_b32_e32 v4, v27
	v_mov_b32_e32 v23, v5
	s_waitcnt lgkmcnt(2)
	v_pk_mul_f32 v[4:5], v[8:9], v[4:5] op_sel_hi:[1,0]
	v_mov_b32_e32 v39, v3
	v_pk_fma_f32 v[6:7], v[8:9], v[26:27], v[4:5] op_sel:[0,0,1] op_sel_hi:[1,1,0] neg_lo:[0,0,1] neg_hi:[0,0,1]
	v_pk_fma_f32 v[4:5], v[8:9], v[26:27], v[4:5] op_sel:[0,0,1] op_sel_hi:[1,0,0]
	v_pk_add_f32 v[2:3], v[38:39], 0 op_sel_hi:[1,0]
	s_waitcnt vmcnt(8)
	v_mov_b32_e32 v4, v29
	v_pk_add_f32 v[2:3], v[2:3], v[22:23]
	v_mov_b32_e32 v7, v5
	v_pk_mul_f32 v[4:5], v[10:11], v[4:5] op_sel_hi:[1,0]
	v_pk_add_f32 v[2:3], v[2:3], v[6:7]
	v_pk_fma_f32 v[6:7], v[10:11], v[28:29], v[4:5] op_sel:[0,0,1] op_sel_hi:[1,1,0] neg_lo:[0,0,1] neg_hi:[0,0,1]
	v_pk_fma_f32 v[4:5], v[10:11], v[28:29], v[4:5] op_sel:[0,0,1] op_sel_hi:[1,0,0]
	s_waitcnt vmcnt(6)
	v_mov_b32_e32 v4, v31
	v_mov_b32_e32 v7, v5
	s_waitcnt lgkmcnt(1)
	v_pk_mul_f32 v[4:5], v[12:13], v[4:5] op_sel_hi:[1,0]
	v_pk_add_f32 v[2:3], v[2:3], v[6:7]
	v_pk_fma_f32 v[6:7], v[12:13], v[30:31], v[4:5] op_sel:[0,0,1] op_sel_hi:[1,1,0] neg_lo:[0,0,1] neg_hi:[0,0,1]
	v_pk_fma_f32 v[4:5], v[12:13], v[30:31], v[4:5] op_sel:[0,0,1] op_sel_hi:[1,0,0]
	s_waitcnt vmcnt(4)
	v_mov_b32_e32 v4, v33
	v_mov_b32_e32 v7, v5
	v_pk_mul_f32 v[4:5], v[14:15], v[4:5] op_sel_hi:[1,0]
	v_pk_add_f32 v[2:3], v[2:3], v[6:7]
	v_pk_fma_f32 v[6:7], v[14:15], v[32:33], v[4:5] op_sel:[0,0,1] op_sel_hi:[1,1,0] neg_lo:[0,0,1] neg_hi:[0,0,1]
	v_pk_fma_f32 v[4:5], v[14:15], v[32:33], v[4:5] op_sel:[0,0,1] op_sel_hi:[1,0,0]
	s_waitcnt vmcnt(2)
	v_mov_b32_e32 v4, v35
	v_mov_b32_e32 v7, v5
	s_waitcnt lgkmcnt(0)
	v_pk_mul_f32 v[4:5], v[16:17], v[4:5] op_sel_hi:[1,0]
	v_pk_add_f32 v[2:3], v[2:3], v[6:7]
	v_pk_fma_f32 v[6:7], v[16:17], v[34:35], v[4:5] op_sel:[0,0,1] op_sel_hi:[1,1,0] neg_lo:[0,0,1] neg_hi:[0,0,1]
	v_pk_fma_f32 v[4:5], v[16:17], v[34:35], v[4:5] op_sel:[0,0,1] op_sel_hi:[1,0,0]
	s_waitcnt vmcnt(1)
	v_mov_b32_e32 v4, v37
	v_mov_b32_e32 v7, v5
	v_pk_mul_f32 v[4:5], v[18:19], v[4:5] op_sel_hi:[1,0]
	v_pk_add_f32 v[2:3], v[2:3], v[6:7]
	s_waitcnt vmcnt(0)
	v_pk_fma_f32 v[6:7], v[18:19], v[36:37], v[4:5] op_sel:[0,0,1] op_sel_hi:[1,1,0] neg_lo:[0,0,1] neg_hi:[0,0,1]
	v_pk_fma_f32 v[4:5], v[18:19], v[36:37], v[4:5] op_sel:[0,0,1] op_sel_hi:[1,0,0]
	v_mov_b32_e32 v7, v5
	v_pk_add_f32 v[2:3], v[2:3], v[6:7]
	v_pk_add_f32 v[2:3], v[20:21], v[2:3] neg_lo:[0,1] neg_hi:[0,1]
	buffer_store_dword v2, off, s[0:3], 0 offset:272
	buffer_store_dword v3, off, s[0:3], 0 offset:276
	s_and_saveexec_b64 s[4:5], vcc
	s_cbranch_execz .LBB106_205
; %bb.204:
	buffer_load_dword v2, off, s[0:3], 0 offset:264
	buffer_load_dword v3, off, s[0:3], 0 offset:268
	v_mov_b32_e32 v4, 0
	buffer_store_dword v4, off, s[0:3], 0 offset:264
	buffer_store_dword v4, off, s[0:3], 0 offset:268
	s_waitcnt vmcnt(2)
	ds_write_b64 v1, v[2:3]
.LBB106_205:
	s_or_b64 exec, exec, s[4:5]
	s_waitcnt lgkmcnt(0)
	; wave barrier
	s_waitcnt lgkmcnt(0)
	buffer_load_dword v3, off, s[0:3], 0 offset:276
	buffer_load_dword v21, off, s[0:3], 0 offset:284
	;; [unrolled: 1-line block ×20, first 2 shown]
	v_mov_b32_e32 v2, 0
	ds_read_b128 v[4:7], v2 offset:624
	ds_read_b128 v[8:11], v2 offset:640
	;; [unrolled: 1-line block ×4, first 2 shown]
	ds_read_b64 v[38:39], v2 offset:688
	v_cmp_lt_u32_e32 vcc, 32, v0
	s_waitcnt vmcnt(19) lgkmcnt(4)
	v_mul_f32_e32 v41, v4, v3
	v_mul_f32_e32 v3, v5, v3
	s_waitcnt vmcnt(18)
	v_mov_b32_e32 v42, v21
	s_waitcnt vmcnt(17)
	v_mov_b32_e32 v44, v23
	;; [unrolled: 2-line block ×8, first 2 shown]
	s_waitcnt vmcnt(10)
	v_fmac_f32_e32 v41, v5, v40
	v_fma_f32 v40, v4, v40, -v3
	v_pk_mul_f32 v[4:5], v[6:7], v[42:43] op_sel_hi:[1,0]
	s_waitcnt lgkmcnt(3)
	v_pk_mul_f32 v[42:43], v[8:9], v[44:45] op_sel_hi:[1,0]
	v_pk_mul_f32 v[44:45], v[10:11], v[46:47] op_sel_hi:[1,0]
	s_waitcnt lgkmcnt(2)
	v_pk_mul_f32 v[46:47], v[12:13], v[48:49] op_sel_hi:[1,0]
	;; [unrolled: 3-line block ×4, first 2 shown]
	s_waitcnt vmcnt(9)
	v_pk_fma_f32 v[56:57], v[6:7], v[20:21], v[4:5] op_sel:[0,0,1] op_sel_hi:[1,1,0] neg_lo:[0,0,1] neg_hi:[0,0,1]
	v_pk_fma_f32 v[4:5], v[6:7], v[20:21], v[4:5] op_sel:[0,0,1] op_sel_hi:[1,0,0]
	v_pk_add_f32 v[40:41], v[40:41], 0 op_sel_hi:[1,0]
	s_waitcnt vmcnt(8)
	v_pk_fma_f32 v[6:7], v[8:9], v[22:23], v[42:43] op_sel:[0,0,1] op_sel_hi:[1,1,0] neg_lo:[0,0,1] neg_hi:[0,0,1]
	v_pk_fma_f32 v[8:9], v[8:9], v[22:23], v[42:43] op_sel:[0,0,1] op_sel_hi:[1,0,0]
	v_mov_b32_e32 v57, v5
	s_waitcnt vmcnt(7)
	v_pk_fma_f32 v[20:21], v[10:11], v[24:25], v[44:45] op_sel:[0,0,1] op_sel_hi:[1,1,0] neg_lo:[0,0,1] neg_hi:[0,0,1]
	v_pk_fma_f32 v[10:11], v[10:11], v[24:25], v[44:45] op_sel:[0,0,1] op_sel_hi:[1,0,0]
	v_mov_b32_e32 v7, v9
	v_pk_add_f32 v[4:5], v[40:41], v[56:57]
	s_waitcnt vmcnt(6)
	v_pk_fma_f32 v[22:23], v[12:13], v[26:27], v[46:47] op_sel:[0,0,1] op_sel_hi:[1,1,0] neg_lo:[0,0,1] neg_hi:[0,0,1]
	v_pk_fma_f32 v[12:13], v[12:13], v[26:27], v[46:47] op_sel:[0,0,1] op_sel_hi:[1,0,0]
	v_mov_b32_e32 v21, v11
	v_pk_add_f32 v[4:5], v[4:5], v[6:7]
	;; [unrolled: 5-line block ×5, first 2 shown]
	v_pk_fma_f32 v[30:31], v[38:39], v[34:35], v[54:55] op_sel:[0,0,1] op_sel_hi:[1,1,0] neg_lo:[0,0,1] neg_hi:[0,0,1]
	v_pk_fma_f32 v[32:33], v[38:39], v[34:35], v[54:55] op_sel:[0,0,1] op_sel_hi:[1,0,0]
	v_mov_b32_e32 v29, v19
	v_pk_add_f32 v[4:5], v[4:5], v[26:27]
	v_mov_b32_e32 v31, v33
	v_pk_add_f32 v[4:5], v[4:5], v[28:29]
	v_pk_add_f32 v[4:5], v[4:5], v[30:31]
	s_waitcnt vmcnt(0)
	v_pk_add_f32 v[4:5], v[36:37], v[4:5] neg_lo:[0,1] neg_hi:[0,1]
	buffer_store_dword v4, off, s[0:3], 0 offset:264
	buffer_store_dword v5, off, s[0:3], 0 offset:268
	s_and_saveexec_b64 s[4:5], vcc
	s_cbranch_execz .LBB106_207
; %bb.206:
	buffer_load_dword v4, off, s[0:3], 0 offset:256
	buffer_load_dword v5, off, s[0:3], 0 offset:260
	s_waitcnt vmcnt(0)
	ds_write_b64 v1, v[4:5]
	buffer_store_dword v2, off, s[0:3], 0 offset:256
	buffer_store_dword v2, off, s[0:3], 0 offset:260
.LBB106_207:
	s_or_b64 exec, exec, s[4:5]
	s_waitcnt lgkmcnt(0)
	; wave barrier
	s_waitcnt lgkmcnt(0)
	buffer_load_dword v42, off, s[0:3], 0 offset:268
	buffer_load_dword v44, off, s[0:3], 0 offset:276
	;; [unrolled: 1-line block ×22, first 2 shown]
	ds_read2_b64 v[4:7], v2 offset0:77 offset1:78
	ds_read2_b64 v[8:11], v2 offset0:79 offset1:80
	;; [unrolled: 1-line block ×5, first 2 shown]
	v_cmp_lt_u32_e32 vcc, 31, v0
	s_waitcnt vmcnt(21) lgkmcnt(4)
	v_mul_f32_e32 v3, v4, v42
	s_waitcnt vmcnt(20)
	v_mul_f32_e32 v43, v6, v44
	v_mul_f32_e32 v2, v5, v42
	v_mul_f32_e32 v42, v7, v44
	s_waitcnt vmcnt(19)
	v_mov_b32_e32 v44, v25
	s_waitcnt vmcnt(18)
	v_mov_b32_e32 v46, v27
	;; [unrolled: 2-line block ×5, first 2 shown]
	v_mov_b32_e32 v50, v31
	s_waitcnt vmcnt(11)
	v_fmac_f32_e32 v3, v5, v45
	v_fma_f32 v2, v4, v45, -v2
	s_waitcnt lgkmcnt(3)
	v_pk_mul_f32 v[4:5], v[8:9], v[44:45] op_sel_hi:[1,0]
	s_waitcnt vmcnt(10)
	v_fmac_f32_e32 v43, v7, v47
	v_fma_f32 v42, v6, v47, -v42
	v_pk_mul_f32 v[6:7], v[10:11], v[46:47] op_sel_hi:[1,0]
	s_waitcnt lgkmcnt(2)
	v_pk_mul_f32 v[44:45], v[12:13], v[48:49] op_sel_hi:[1,0]
	s_waitcnt lgkmcnt(1)
	;; [unrolled: 2-line block ×3, first 2 shown]
	v_pk_mul_f32 v[52:53], v[20:21], v[56:57] op_sel_hi:[1,0]
	v_pk_add_f32 v[2:3], v[2:3], 0 op_sel_hi:[1,0]
	s_waitcnt vmcnt(9)
	v_pk_fma_f32 v[56:57], v[8:9], v[24:25], v[4:5] op_sel:[0,0,1] op_sel_hi:[1,1,0] neg_lo:[0,0,1] neg_hi:[0,0,1]
	v_pk_fma_f32 v[4:5], v[8:9], v[24:25], v[4:5] op_sel:[0,0,1] op_sel_hi:[1,0,0]
	s_waitcnt vmcnt(8)
	v_pk_fma_f32 v[8:9], v[10:11], v[26:27], v[6:7] op_sel:[0,0,1] op_sel_hi:[1,1,0] neg_lo:[0,0,1] neg_hi:[0,0,1]
	v_pk_fma_f32 v[6:7], v[10:11], v[26:27], v[6:7] op_sel:[0,0,1] op_sel_hi:[1,0,0]
	v_pk_add_f32 v[2:3], v[2:3], v[42:43]
	v_mov_b32_e32 v57, v5
	v_pk_mul_f32 v[46:47], v[14:15], v[50:51] op_sel_hi:[1,0]
	s_waitcnt vmcnt(7)
	v_pk_fma_f32 v[10:11], v[12:13], v[28:29], v[44:45] op_sel:[0,0,1] op_sel_hi:[1,1,0] neg_lo:[0,0,1] neg_hi:[0,0,1]
	v_pk_fma_f32 v[12:13], v[12:13], v[28:29], v[44:45] op_sel:[0,0,1] op_sel_hi:[1,0,0]
	v_mov_b32_e32 v9, v7
	v_pk_add_f32 v[2:3], v[2:3], v[56:57]
	v_mov_b32_e32 v54, v35
	s_waitcnt vmcnt(6)
	v_pk_fma_f32 v[24:25], v[14:15], v[30:31], v[46:47] op_sel:[0,0,1] op_sel_hi:[1,1,0] neg_lo:[0,0,1] neg_hi:[0,0,1]
	v_pk_fma_f32 v[14:15], v[14:15], v[30:31], v[46:47] op_sel:[0,0,1] op_sel_hi:[1,0,0]
	v_mov_b32_e32 v11, v13
	v_pk_add_f32 v[2:3], v[2:3], v[8:9]
	v_pk_mul_f32 v[50:51], v[18:19], v[54:55] op_sel_hi:[1,0]
	s_waitcnt vmcnt(5)
	v_pk_fma_f32 v[26:27], v[16:17], v[32:33], v[48:49] op_sel:[0,0,1] op_sel_hi:[1,1,0] neg_lo:[0,0,1] neg_hi:[0,0,1]
	v_pk_fma_f32 v[16:17], v[16:17], v[32:33], v[48:49] op_sel:[0,0,1] op_sel_hi:[1,0,0]
	v_mov_b32_e32 v25, v15
	v_pk_add_f32 v[2:3], v[2:3], v[10:11]
	v_mov_b32_e32 v58, v39
	s_waitcnt vmcnt(2)
	v_pk_fma_f32 v[28:29], v[18:19], v[34:35], v[50:51] op_sel:[0,0,1] op_sel_hi:[1,1,0] neg_lo:[0,0,1] neg_hi:[0,0,1]
	v_pk_fma_f32 v[18:19], v[18:19], v[34:35], v[50:51] op_sel:[0,0,1] op_sel_hi:[1,0,0]
	v_mov_b32_e32 v27, v17
	v_pk_add_f32 v[2:3], v[2:3], v[24:25]
	v_pk_mul_f32 v[54:55], v[22:23], v[58:59] op_sel_hi:[1,0]
	v_pk_fma_f32 v[30:31], v[20:21], v[36:37], v[52:53] op_sel:[0,0,1] op_sel_hi:[1,1,0] neg_lo:[0,0,1] neg_hi:[0,0,1]
	v_pk_fma_f32 v[20:21], v[20:21], v[36:37], v[52:53] op_sel:[0,0,1] op_sel_hi:[1,0,0]
	v_mov_b32_e32 v29, v19
	v_pk_add_f32 v[2:3], v[2:3], v[26:27]
	v_pk_fma_f32 v[32:33], v[22:23], v[38:39], v[54:55] op_sel:[0,0,1] op_sel_hi:[1,1,0] neg_lo:[0,0,1] neg_hi:[0,0,1]
	v_pk_fma_f32 v[22:23], v[22:23], v[38:39], v[54:55] op_sel:[0,0,1] op_sel_hi:[1,0,0]
	v_mov_b32_e32 v31, v21
	v_pk_add_f32 v[2:3], v[2:3], v[28:29]
	v_mov_b32_e32 v33, v23
	v_pk_add_f32 v[2:3], v[2:3], v[30:31]
	v_pk_add_f32 v[2:3], v[2:3], v[32:33]
	s_waitcnt vmcnt(0)
	v_pk_add_f32 v[2:3], v[40:41], v[2:3] neg_lo:[0,1] neg_hi:[0,1]
	buffer_store_dword v2, off, s[0:3], 0 offset:256
	buffer_store_dword v3, off, s[0:3], 0 offset:260
	s_and_saveexec_b64 s[4:5], vcc
	s_cbranch_execz .LBB106_209
; %bb.208:
	buffer_load_dword v2, off, s[0:3], 0 offset:248
	buffer_load_dword v3, off, s[0:3], 0 offset:252
	v_mov_b32_e32 v4, 0
	buffer_store_dword v4, off, s[0:3], 0 offset:248
	buffer_store_dword v4, off, s[0:3], 0 offset:252
	s_waitcnt vmcnt(2)
	ds_write_b64 v1, v[2:3]
.LBB106_209:
	s_or_b64 exec, exec, s[4:5]
	s_waitcnt lgkmcnt(0)
	; wave barrier
	s_waitcnt lgkmcnt(0)
	buffer_load_dword v3, off, s[0:3], 0 offset:260
	buffer_load_dword v44, off, s[0:3], 0 offset:268
	;; [unrolled: 1-line block ×24, first 2 shown]
	v_mov_b32_e32 v2, 0
	ds_read_b128 v[4:7], v2 offset:608
	ds_read_b128 v[8:11], v2 offset:624
	;; [unrolled: 1-line block ×5, first 2 shown]
	ds_read_b64 v[42:43], v2 offset:688
	v_cmp_lt_u32_e32 vcc, 30, v0
	s_waitcnt vmcnt(23) lgkmcnt(5)
	v_mul_f32_e32 v57, v4, v3
	v_mul_f32_e32 v3, v5, v3
	s_waitcnt vmcnt(22)
	v_mul_f32_e32 v45, v6, v44
	s_waitcnt vmcnt(21) lgkmcnt(4)
	v_mul_f32_e32 v47, v8, v46
	v_mul_f32_e32 v44, v7, v44
	;; [unrolled: 1-line block ×3, first 2 shown]
	s_waitcnt vmcnt(20)
	v_mov_b32_e32 v48, v25
	s_waitcnt vmcnt(19)
	v_mov_b32_e32 v50, v27
	s_waitcnt vmcnt(18)
	v_mov_b32_e32 v52, v29
	s_waitcnt vmcnt(17)
	v_mov_b32_e32 v54, v31
	s_waitcnt vmcnt(16)
	v_mov_b32_e32 v56, v33
	s_waitcnt vmcnt(12)
	v_fmac_f32_e32 v57, v5, v49
	v_fma_f32 v3, v4, v49, -v3
	v_mov_b32_e32 v58, v35
	s_waitcnt vmcnt(11)
	v_fmac_f32_e32 v45, v7, v51
	s_waitcnt vmcnt(10)
	v_fmac_f32_e32 v47, v9, v53
	v_fma_f32 v44, v6, v51, -v44
	v_fma_f32 v46, v8, v53, -v46
	v_pk_mul_f32 v[4:5], v[10:11], v[48:49] op_sel_hi:[1,0]
	s_waitcnt lgkmcnt(3)
	v_pk_mul_f32 v[6:7], v[12:13], v[50:51] op_sel_hi:[1,0]
	v_pk_mul_f32 v[8:9], v[14:15], v[52:53] op_sel_hi:[1,0]
	s_waitcnt lgkmcnt(2)
	v_pk_mul_f32 v[48:49], v[16:17], v[54:55] op_sel_hi:[1,0]
	v_pk_mul_f32 v[50:51], v[18:19], v[56:57] op_sel_hi:[1,0]
	v_add_f32_e32 v57, 0, v57
	v_add_f32_e32 v56, 0, v3
	s_waitcnt lgkmcnt(1)
	v_pk_mul_f32 v[52:53], v[20:21], v[58:59] op_sel_hi:[1,0]
	s_waitcnt vmcnt(9)
	v_pk_fma_f32 v[58:59], v[10:11], v[24:25], v[4:5] op_sel:[0,0,1] op_sel_hi:[1,1,0] neg_lo:[0,0,1] neg_hi:[0,0,1]
	v_pk_fma_f32 v[4:5], v[10:11], v[24:25], v[4:5] op_sel:[0,0,1] op_sel_hi:[1,0,0]
	s_waitcnt vmcnt(8)
	v_pk_fma_f32 v[10:11], v[12:13], v[26:27], v[6:7] op_sel:[0,0,1] op_sel_hi:[1,1,0] neg_lo:[0,0,1] neg_hi:[0,0,1]
	v_pk_fma_f32 v[6:7], v[12:13], v[26:27], v[6:7] op_sel:[0,0,1] op_sel_hi:[1,0,0]
	;; [unrolled: 3-line block ×4, first 2 shown]
	v_pk_add_f32 v[30:31], v[56:57], v[44:45]
	v_mov_b32_e32 v59, v5
	v_pk_add_f32 v[4:5], v[30:31], v[46:47]
	v_mov_b32_e32 v11, v7
	;; [unrolled: 2-line block ×4, first 2 shown]
	s_waitcnt vmcnt(2)
	v_pk_fma_f32 v[24:25], v[18:19], v[32:33], v[50:51] op_sel:[0,0,1] op_sel_hi:[1,1,0] neg_lo:[0,0,1] neg_hi:[0,0,1]
	v_pk_fma_f32 v[18:19], v[18:19], v[32:33], v[50:51] op_sel:[0,0,1] op_sel_hi:[1,0,0]
	v_mov_b32_e32 v15, v17
	v_pk_add_f32 v[4:5], v[4:5], v[12:13]
	v_mov_b32_e32 v62, v39
	v_pk_mul_f32 v[54:55], v[22:23], v[60:61] op_sel_hi:[1,0]
	v_pk_fma_f32 v[26:27], v[20:21], v[34:35], v[52:53] op_sel:[0,0,1] op_sel_hi:[1,1,0] neg_lo:[0,0,1] neg_hi:[0,0,1]
	v_pk_fma_f32 v[20:21], v[20:21], v[34:35], v[52:53] op_sel:[0,0,1] op_sel_hi:[1,0,0]
	v_mov_b32_e32 v25, v19
	v_pk_add_f32 v[4:5], v[4:5], v[14:15]
	v_pk_fma_f32 v[28:29], v[22:23], v[36:37], v[54:55] op_sel:[0,0,1] op_sel_hi:[1,1,0] neg_lo:[0,0,1] neg_hi:[0,0,1]
	v_pk_fma_f32 v[22:23], v[22:23], v[36:37], v[54:55] op_sel:[0,0,1] op_sel_hi:[1,0,0]
	v_mov_b32_e32 v27, v21
	v_pk_add_f32 v[4:5], v[4:5], v[24:25]
	s_waitcnt lgkmcnt(0)
	v_pk_mul_f32 v[6:7], v[42:43], v[62:63] op_sel_hi:[1,0]
	v_mov_b32_e32 v29, v23
	v_pk_add_f32 v[4:5], v[4:5], v[26:27]
	v_pk_fma_f32 v[8:9], v[42:43], v[38:39], v[6:7] op_sel:[0,0,1] op_sel_hi:[1,1,0] neg_lo:[0,0,1] neg_hi:[0,0,1]
	v_pk_fma_f32 v[6:7], v[42:43], v[38:39], v[6:7] op_sel:[0,0,1] op_sel_hi:[1,0,0]
	v_pk_add_f32 v[4:5], v[4:5], v[28:29]
	v_mov_b32_e32 v9, v7
	v_pk_add_f32 v[4:5], v[4:5], v[8:9]
	s_waitcnt vmcnt(0)
	v_pk_add_f32 v[4:5], v[40:41], v[4:5] neg_lo:[0,1] neg_hi:[0,1]
	buffer_store_dword v5, off, s[0:3], 0 offset:252
	buffer_store_dword v4, off, s[0:3], 0 offset:248
	s_and_saveexec_b64 s[4:5], vcc
	s_cbranch_execz .LBB106_211
; %bb.210:
	buffer_load_dword v4, off, s[0:3], 0 offset:240
	buffer_load_dword v5, off, s[0:3], 0 offset:244
	s_waitcnt vmcnt(0)
	ds_write_b64 v1, v[4:5]
	buffer_store_dword v2, off, s[0:3], 0 offset:240
	buffer_store_dword v2, off, s[0:3], 0 offset:244
.LBB106_211:
	s_or_b64 exec, exec, s[4:5]
	s_waitcnt lgkmcnt(0)
	; wave barrier
	s_waitcnt lgkmcnt(0)
	buffer_load_dword v46, off, s[0:3], 0 offset:252
	buffer_load_dword v48, off, s[0:3], 0 offset:260
	;; [unrolled: 1-line block ×26, first 2 shown]
	ds_read2_b64 v[4:7], v2 offset0:75 offset1:76
	ds_read2_b64 v[8:11], v2 offset0:77 offset1:78
	;; [unrolled: 1-line block ×6, first 2 shown]
	v_cmp_lt_u32_e32 vcc, 29, v0
	s_waitcnt vmcnt(25) lgkmcnt(5)
	v_mul_f32_e32 v59, v4, v46
	v_mul_f32_e32 v2, v5, v46
	s_waitcnt vmcnt(24)
	v_mul_f32_e32 v60, v6, v48
	s_waitcnt vmcnt(23) lgkmcnt(4)
	v_mul_f32_e32 v3, v8, v49
	s_waitcnt vmcnt(22)
	v_mul_f32_e32 v47, v10, v50
	v_mul_f32_e32 v46, v7, v48
	;; [unrolled: 1-line block ×4, first 2 shown]
	s_waitcnt vmcnt(21)
	v_mov_b32_e32 v48, v29
	s_waitcnt vmcnt(20)
	v_mov_b32_e32 v50, v31
	;; [unrolled: 2-line block ×3, first 2 shown]
	s_waitcnt vmcnt(15)
	v_fmac_f32_e32 v59, v5, v51
	v_fma_f32 v62, v4, v51, -v2
	v_mov_b32_e32 v52, v33
	s_waitcnt vmcnt(14)
	v_fmac_f32_e32 v60, v7, v53
	s_waitcnt vmcnt(13)
	v_fmac_f32_e32 v3, v9, v55
	;; [unrolled: 2-line block ×3, first 2 shown]
	v_fma_f32 v63, v6, v53, -v46
	v_fma_f32 v2, v8, v55, -v49
	v_fma_f32 v46, v10, v57, -v61
	s_waitcnt lgkmcnt(3)
	v_pk_mul_f32 v[4:5], v[12:13], v[48:49] op_sel_hi:[1,0]
	v_pk_mul_f32 v[6:7], v[14:15], v[50:51] op_sel_hi:[1,0]
	s_waitcnt lgkmcnt(2)
	v_pk_mul_f32 v[10:11], v[18:19], v[54:55] op_sel_hi:[1,0]
	v_add_f32_e32 v54, 0, v59
	v_add_f32_e32 v55, 0, v62
	v_pk_mul_f32 v[8:9], v[16:17], v[52:53] op_sel_hi:[1,0]
	s_waitcnt vmcnt(11)
	v_pk_fma_f32 v[52:53], v[12:13], v[28:29], v[4:5] op_sel:[0,0,1] op_sel_hi:[1,1,0] neg_lo:[0,0,1] neg_hi:[0,0,1]
	v_pk_fma_f32 v[4:5], v[12:13], v[28:29], v[4:5] op_sel:[0,0,1] op_sel_hi:[1,0,0]
	s_waitcnt vmcnt(10)
	v_pk_fma_f32 v[12:13], v[14:15], v[30:31], v[6:7] op_sel:[0,0,1] op_sel_hi:[1,1,0] neg_lo:[0,0,1] neg_hi:[0,0,1]
	v_pk_fma_f32 v[6:7], v[14:15], v[30:31], v[6:7] op_sel:[0,0,1] op_sel_hi:[1,0,0]
	v_add_f32_e32 v31, v54, v60
	v_add_f32_e32 v30, v55, v63
	v_pk_add_f32 v[2:3], v[30:31], v[2:3]
	v_mov_b32_e32 v53, v5
	v_pk_add_f32 v[2:3], v[2:3], v[46:47]
	v_mov_b32_e32 v56, v37
	s_waitcnt vmcnt(9)
	v_pk_fma_f32 v[14:15], v[16:17], v[32:33], v[8:9] op_sel:[0,0,1] op_sel_hi:[1,1,0] neg_lo:[0,0,1] neg_hi:[0,0,1]
	v_pk_fma_f32 v[8:9], v[16:17], v[32:33], v[8:9] op_sel:[0,0,1] op_sel_hi:[1,0,0]
	v_mov_b32_e32 v13, v7
	v_pk_add_f32 v[2:3], v[2:3], v[52:53]
	v_mov_b32_e32 v58, v39
	s_waitcnt lgkmcnt(1)
	v_pk_mul_f32 v[48:49], v[20:21], v[56:57] op_sel_hi:[1,0]
	s_waitcnt vmcnt(5)
	v_pk_fma_f32 v[16:17], v[18:19], v[34:35], v[10:11] op_sel:[0,0,1] op_sel_hi:[1,1,0] neg_lo:[0,0,1] neg_hi:[0,0,1]
	v_pk_fma_f32 v[10:11], v[18:19], v[34:35], v[10:11] op_sel:[0,0,1] op_sel_hi:[1,0,0]
	v_mov_b32_e32 v15, v9
	v_pk_add_f32 v[2:3], v[2:3], v[12:13]
	s_waitcnt vmcnt(4)
	v_mov_b32_e32 v4, v41
	v_pk_mul_f32 v[50:51], v[22:23], v[58:59] op_sel_hi:[1,0]
	v_pk_fma_f32 v[18:19], v[20:21], v[36:37], v[48:49] op_sel:[0,0,1] op_sel_hi:[1,1,0] neg_lo:[0,0,1] neg_hi:[0,0,1]
	v_pk_fma_f32 v[20:21], v[20:21], v[36:37], v[48:49] op_sel:[0,0,1] op_sel_hi:[1,0,0]
	v_mov_b32_e32 v17, v11
	v_pk_add_f32 v[2:3], v[2:3], v[14:15]
	s_waitcnt lgkmcnt(0)
	v_pk_mul_f32 v[4:5], v[24:25], v[4:5] op_sel_hi:[1,0]
	v_pk_fma_f32 v[28:29], v[22:23], v[38:39], v[50:51] op_sel:[0,0,1] op_sel_hi:[1,1,0] neg_lo:[0,0,1] neg_hi:[0,0,1]
	v_pk_fma_f32 v[22:23], v[22:23], v[38:39], v[50:51] op_sel:[0,0,1] op_sel_hi:[1,0,0]
	v_mov_b32_e32 v19, v21
	v_pk_add_f32 v[2:3], v[2:3], v[16:17]
	v_pk_fma_f32 v[6:7], v[24:25], v[40:41], v[4:5] op_sel:[0,0,1] op_sel_hi:[1,1,0] neg_lo:[0,0,1] neg_hi:[0,0,1]
	v_pk_fma_f32 v[4:5], v[24:25], v[40:41], v[4:5] op_sel:[0,0,1] op_sel_hi:[1,0,0]
	v_mov_b32_e32 v29, v23
	v_pk_add_f32 v[2:3], v[2:3], v[18:19]
	s_waitcnt vmcnt(3)
	v_mov_b32_e32 v4, v43
	v_pk_add_f32 v[2:3], v[2:3], v[28:29]
	v_mov_b32_e32 v7, v5
	v_pk_mul_f32 v[4:5], v[26:27], v[4:5] op_sel_hi:[1,0]
	v_pk_add_f32 v[2:3], v[2:3], v[6:7]
	s_waitcnt vmcnt(2)
	v_pk_fma_f32 v[6:7], v[26:27], v[42:43], v[4:5] op_sel:[0,0,1] op_sel_hi:[1,1,0] neg_lo:[0,0,1] neg_hi:[0,0,1]
	v_pk_fma_f32 v[4:5], v[26:27], v[42:43], v[4:5] op_sel:[0,0,1] op_sel_hi:[1,0,0]
	v_mov_b32_e32 v7, v5
	v_pk_add_f32 v[2:3], v[2:3], v[6:7]
	s_waitcnt vmcnt(0)
	v_pk_add_f32 v[2:3], v[44:45], v[2:3] neg_lo:[0,1] neg_hi:[0,1]
	buffer_store_dword v3, off, s[0:3], 0 offset:244
	buffer_store_dword v2, off, s[0:3], 0 offset:240
	s_and_saveexec_b64 s[4:5], vcc
	s_cbranch_execz .LBB106_213
; %bb.212:
	buffer_load_dword v2, off, s[0:3], 0 offset:232
	buffer_load_dword v3, off, s[0:3], 0 offset:236
	v_mov_b32_e32 v4, 0
	buffer_store_dword v4, off, s[0:3], 0 offset:232
	buffer_store_dword v4, off, s[0:3], 0 offset:236
	s_waitcnt vmcnt(2)
	ds_write_b64 v1, v[2:3]
.LBB106_213:
	s_or_b64 exec, exec, s[4:5]
	s_waitcnt lgkmcnt(0)
	; wave barrier
	s_waitcnt lgkmcnt(0)
	buffer_load_dword v3, off, s[0:3], 0 offset:244
	buffer_load_dword v48, off, s[0:3], 0 offset:252
	;; [unrolled: 1-line block ×28, first 2 shown]
	v_mov_b32_e32 v2, 0
	ds_read_b128 v[4:7], v2 offset:592
	ds_read_b128 v[8:11], v2 offset:608
	;; [unrolled: 1-line block ×6, first 2 shown]
	ds_read_b64 v[46:47], v2 offset:688
	v_cmp_lt_u32_e32 vcc, 28, v0
	s_waitcnt vmcnt(27) lgkmcnt(6)
	v_mul_f32_e32 v63, v4, v3
	v_mul_f32_e32 v3, v5, v3
	s_waitcnt vmcnt(26)
	v_mul_f32_e32 v64, v6, v48
	s_waitcnt vmcnt(24) lgkmcnt(5)
	v_mul_f32_e32 v49, v10, v52
	s_waitcnt vmcnt(23) lgkmcnt(4)
	v_mul_f32_e32 v51, v12, v53
	v_mul_f32_e32 v152, v11, v52
	;; [unrolled: 1-line block ×3, first 2 shown]
	s_waitcnt vmcnt(22)
	v_mov_b32_e32 v52, v29
	v_mul_f32_e32 v65, v8, v50
	v_mul_f32_e32 v48, v7, v48
	;; [unrolled: 1-line block ×3, first 2 shown]
	s_waitcnt vmcnt(17)
	v_fmac_f32_e32 v63, v5, v55
	v_fma_f32 v3, v4, v55, -v3
	v_pk_mul_f32 v[4:5], v[14:15], v[52:53] op_sel_hi:[1,0]
	s_waitcnt vmcnt(16)
	v_fmac_f32_e32 v64, v7, v57
	s_waitcnt vmcnt(13)
	v_fmac_f32_e32 v51, v13, v62
	v_fma_f32 v55, v6, v57, -v48
	v_fma_f32 v57, v8, v59, -v50
	;; [unrolled: 1-line block ×3, first 2 shown]
	v_add_f32_e32 v52, 0, v63
	v_add_f32_e32 v3, 0, v3
	s_waitcnt vmcnt(12)
	v_pk_fma_f32 v[12:13], v[14:15], v[28:29], v[4:5] op_sel:[0,0,1] op_sel_hi:[1,1,0] neg_lo:[0,0,1] neg_hi:[0,0,1]
	v_pk_fma_f32 v[4:5], v[14:15], v[28:29], v[4:5] op_sel:[0,0,1] op_sel_hi:[1,0,0]
	v_fmac_f32_e32 v65, v9, v59
	v_add_f32_e32 v4, v52, v64
	v_add_f32_e32 v3, v3, v55
	v_mov_b32_e32 v54, v31
	v_fmac_f32_e32 v49, v11, v61
	v_fma_f32 v48, v10, v61, -v152
	v_mov_b32_e32 v13, v5
	v_add_f32_e32 v5, v4, v65
	v_add_f32_e32 v4, v3, v57
	v_mov_b32_e32 v56, v33
	s_waitcnt lgkmcnt(3)
	v_pk_mul_f32 v[6:7], v[16:17], v[54:55] op_sel_hi:[1,0]
	v_pk_add_f32 v[4:5], v[4:5], v[48:49]
	v_mov_b32_e32 v58, v35
	v_mov_b32_e32 v60, v37
	v_pk_mul_f32 v[8:9], v[18:19], v[56:57] op_sel_hi:[1,0]
	s_waitcnt vmcnt(11)
	v_pk_fma_f32 v[14:15], v[16:17], v[30:31], v[6:7] op_sel:[0,0,1] op_sel_hi:[1,1,0] neg_lo:[0,0,1] neg_hi:[0,0,1]
	v_pk_fma_f32 v[6:7], v[16:17], v[30:31], v[6:7] op_sel:[0,0,1] op_sel_hi:[1,0,0]
	v_pk_add_f32 v[4:5], v[4:5], v[50:51]
	s_waitcnt lgkmcnt(2)
	v_pk_mul_f32 v[10:11], v[20:21], v[58:59] op_sel_hi:[1,0]
	s_waitcnt vmcnt(7)
	v_pk_fma_f32 v[16:17], v[18:19], v[32:33], v[8:9] op_sel:[0,0,1] op_sel_hi:[1,1,0] neg_lo:[0,0,1] neg_hi:[0,0,1]
	v_pk_fma_f32 v[8:9], v[18:19], v[32:33], v[8:9] op_sel:[0,0,1] op_sel_hi:[1,0,0]
	v_mov_b32_e32 v15, v7
	v_pk_add_f32 v[4:5], v[4:5], v[12:13]
	v_pk_mul_f32 v[6:7], v[22:23], v[60:61] op_sel_hi:[1,0]
	v_pk_fma_f32 v[18:19], v[20:21], v[34:35], v[10:11] op_sel:[0,0,1] op_sel_hi:[1,1,0] neg_lo:[0,0,1] neg_hi:[0,0,1]
	v_pk_fma_f32 v[10:11], v[20:21], v[34:35], v[10:11] op_sel:[0,0,1] op_sel_hi:[1,0,0]
	v_mov_b32_e32 v17, v9
	v_pk_add_f32 v[4:5], v[4:5], v[14:15]
	v_pk_fma_f32 v[8:9], v[22:23], v[36:37], v[6:7] op_sel:[0,0,1] op_sel_hi:[1,1,0] neg_lo:[0,0,1] neg_hi:[0,0,1]
	v_pk_fma_f32 v[6:7], v[22:23], v[36:37], v[6:7] op_sel:[0,0,1] op_sel_hi:[1,0,0]
	v_mov_b32_e32 v19, v11
	v_pk_add_f32 v[4:5], v[4:5], v[16:17]
	s_waitcnt vmcnt(6)
	v_mov_b32_e32 v6, v39
	v_pk_add_f32 v[4:5], v[4:5], v[18:19]
	v_mov_b32_e32 v9, v7
	s_waitcnt lgkmcnt(1)
	v_pk_mul_f32 v[6:7], v[24:25], v[6:7] op_sel_hi:[1,0]
	v_pk_add_f32 v[4:5], v[4:5], v[8:9]
	v_pk_fma_f32 v[8:9], v[24:25], v[38:39], v[6:7] op_sel:[0,0,1] op_sel_hi:[1,1,0] neg_lo:[0,0,1] neg_hi:[0,0,1]
	v_pk_fma_f32 v[6:7], v[24:25], v[38:39], v[6:7] op_sel:[0,0,1] op_sel_hi:[1,0,0]
	s_waitcnt vmcnt(5)
	v_mov_b32_e32 v6, v41
	v_mov_b32_e32 v9, v7
	v_pk_mul_f32 v[6:7], v[26:27], v[6:7] op_sel_hi:[1,0]
	v_pk_add_f32 v[4:5], v[4:5], v[8:9]
	s_waitcnt vmcnt(3)
	v_pk_fma_f32 v[8:9], v[26:27], v[40:41], v[6:7] op_sel:[0,0,1] op_sel_hi:[1,1,0] neg_lo:[0,0,1] neg_hi:[0,0,1]
	v_pk_fma_f32 v[6:7], v[26:27], v[40:41], v[6:7] op_sel:[0,0,1] op_sel_hi:[1,0,0]
	s_waitcnt vmcnt(2)
	v_mov_b32_e32 v6, v43
	v_mov_b32_e32 v9, v7
	s_waitcnt lgkmcnt(0)
	v_pk_mul_f32 v[6:7], v[46:47], v[6:7] op_sel_hi:[1,0]
	v_pk_add_f32 v[4:5], v[4:5], v[8:9]
	v_pk_fma_f32 v[8:9], v[46:47], v[42:43], v[6:7] op_sel:[0,0,1] op_sel_hi:[1,1,0] neg_lo:[0,0,1] neg_hi:[0,0,1]
	v_pk_fma_f32 v[6:7], v[46:47], v[42:43], v[6:7] op_sel:[0,0,1] op_sel_hi:[1,0,0]
	v_mov_b32_e32 v9, v7
	v_pk_add_f32 v[4:5], v[4:5], v[8:9]
	s_waitcnt vmcnt(0)
	v_pk_add_f32 v[4:5], v[44:45], v[4:5] neg_lo:[0,1] neg_hi:[0,1]
	buffer_store_dword v5, off, s[0:3], 0 offset:236
	buffer_store_dword v4, off, s[0:3], 0 offset:232
	s_and_saveexec_b64 s[4:5], vcc
	s_cbranch_execz .LBB106_215
; %bb.214:
	buffer_load_dword v4, off, s[0:3], 0 offset:224
	buffer_load_dword v5, off, s[0:3], 0 offset:228
	s_waitcnt vmcnt(0)
	ds_write_b64 v1, v[4:5]
	buffer_store_dword v2, off, s[0:3], 0 offset:224
	buffer_store_dword v2, off, s[0:3], 0 offset:228
.LBB106_215:
	s_or_b64 exec, exec, s[4:5]
	s_waitcnt lgkmcnt(0)
	; wave barrier
	s_waitcnt lgkmcnt(0)
	buffer_load_dword v50, off, s[0:3], 0 offset:236
	buffer_load_dword v52, off, s[0:3], 0 offset:244
	;; [unrolled: 1-line block ×30, first 2 shown]
	ds_read2_b64 v[4:7], v2 offset0:73 offset1:74
	ds_read2_b64 v[8:11], v2 offset0:75 offset1:76
	;; [unrolled: 1-line block ×7, first 2 shown]
	v_cmp_lt_u32_e32 vcc, 27, v0
	s_waitcnt vmcnt(29) lgkmcnt(6)
	v_mul_f32_e32 v63, v4, v50
	s_waitcnt vmcnt(28)
	v_mul_f32_e32 v64, v6, v52
	s_waitcnt vmcnt(27) lgkmcnt(5)
	v_mul_f32_e32 v65, v8, v53
	v_mul_f32_e32 v53, v9, v53
	s_waitcnt vmcnt(26)
	v_mul_f32_e32 v152, v10, v54
	s_waitcnt vmcnt(25) lgkmcnt(4)
	v_mul_f32_e32 v3, v12, v55
	v_mul_f32_e32 v2, v5, v50
	;; [unrolled: 1-line block ×5, first 2 shown]
	s_waitcnt vmcnt(23)
	v_mov_b32_e32 v52, v33
	s_waitcnt vmcnt(22)
	v_mov_b32_e32 v54, v35
	s_waitcnt vmcnt(18)
	v_fma_f32 v53, v8, v59, -v53
	v_fmac_f32_e32 v63, v5, v57
	v_fmac_f32_e32 v64, v7, v58
	s_waitcnt vmcnt(17)
	v_fmac_f32_e32 v152, v11, v60
	v_fma_f32 v11, v4, v57, -v2
	v_fma_f32 v57, v6, v58, -v50
	s_waitcnt lgkmcnt(3)
	v_pk_mul_f32 v[4:5], v[16:17], v[52:53] op_sel_hi:[1,0]
	v_pk_mul_f32 v[6:7], v[18:19], v[54:55] op_sel_hi:[1,0]
	s_waitcnt vmcnt(16)
	v_fmac_f32_e32 v3, v13, v61
	v_fma_f32 v58, v10, v60, -v153
	v_fma_f32 v2, v12, v61, -v55
	v_add_f32_e32 v52, 0, v63
	v_add_f32_e32 v54, 0, v11
	s_waitcnt vmcnt(14)
	v_pk_fma_f32 v[10:11], v[16:17], v[32:33], v[4:5] op_sel:[0,0,1] op_sel_hi:[1,1,0] neg_lo:[0,0,1] neg_hi:[0,0,1]
	v_pk_fma_f32 v[4:5], v[16:17], v[32:33], v[4:5] op_sel:[0,0,1] op_sel_hi:[1,0,0]
	s_waitcnt vmcnt(10)
	v_pk_fma_f32 v[12:13], v[18:19], v[34:35], v[6:7] op_sel:[0,0,1] op_sel_hi:[1,1,0] neg_lo:[0,0,1] neg_hi:[0,0,1]
	v_pk_fma_f32 v[6:7], v[18:19], v[34:35], v[6:7] op_sel:[0,0,1] op_sel_hi:[1,0,0]
	v_fmac_f32_e32 v65, v9, v59
	v_add_f32_e32 v4, v52, v64
	v_add_f32_e32 v6, v54, v57
	;; [unrolled: 1-line block ×4, first 2 shown]
	v_mul_f32_e32 v51, v14, v56
	v_mul_f32_e32 v154, v15, v56
	v_mov_b32_e32 v11, v5
	v_add_f32_e32 v5, v4, v152
	v_add_f32_e32 v4, v6, v58
	v_mov_b32_e32 v56, v37
	v_fmac_f32_e32 v51, v15, v62
	v_fma_f32 v50, v14, v62, -v154
	v_pk_add_f32 v[2:3], v[4:5], v[2:3]
	s_waitcnt vmcnt(9)
	v_mov_b32_e32 v4, v41
	s_waitcnt lgkmcnt(2)
	v_pk_mul_f32 v[8:9], v[20:21], v[56:57] op_sel_hi:[1,0]
	v_pk_add_f32 v[2:3], v[2:3], v[50:51]
	v_pk_mul_f32 v[4:5], v[22:23], v[4:5] op_sel_hi:[1,0]
	v_pk_fma_f32 v[14:15], v[20:21], v[36:37], v[8:9] op_sel:[0,0,1] op_sel_hi:[1,1,0] neg_lo:[0,0,1] neg_hi:[0,0,1]
	v_pk_fma_f32 v[8:9], v[20:21], v[36:37], v[8:9] op_sel:[0,0,1] op_sel_hi:[1,0,0]
	v_mov_b32_e32 v13, v7
	v_pk_add_f32 v[2:3], v[2:3], v[10:11]
	v_pk_fma_f32 v[6:7], v[22:23], v[40:41], v[4:5] op_sel:[0,0,1] op_sel_hi:[1,1,0] neg_lo:[0,0,1] neg_hi:[0,0,1]
	v_pk_fma_f32 v[4:5], v[22:23], v[40:41], v[4:5] op_sel:[0,0,1] op_sel_hi:[1,0,0]
	v_mov_b32_e32 v15, v9
	v_pk_add_f32 v[2:3], v[2:3], v[12:13]
	s_waitcnt vmcnt(8)
	v_mov_b32_e32 v4, v39
	v_pk_add_f32 v[2:3], v[2:3], v[14:15]
	v_mov_b32_e32 v7, v5
	s_waitcnt lgkmcnt(1)
	v_pk_mul_f32 v[4:5], v[24:25], v[4:5] op_sel_hi:[1,0]
	v_pk_add_f32 v[2:3], v[2:3], v[6:7]
	v_pk_fma_f32 v[6:7], v[24:25], v[38:39], v[4:5] op_sel:[0,0,1] op_sel_hi:[1,1,0] neg_lo:[0,0,1] neg_hi:[0,0,1]
	v_pk_fma_f32 v[4:5], v[24:25], v[38:39], v[4:5] op_sel:[0,0,1] op_sel_hi:[1,0,0]
	s_waitcnt vmcnt(7)
	v_mov_b32_e32 v4, v43
	v_mov_b32_e32 v7, v5
	v_pk_mul_f32 v[4:5], v[26:27], v[4:5] op_sel_hi:[1,0]
	v_pk_add_f32 v[2:3], v[2:3], v[6:7]
	s_waitcnt vmcnt(4)
	v_pk_fma_f32 v[6:7], v[26:27], v[42:43], v[4:5] op_sel:[0,0,1] op_sel_hi:[1,1,0] neg_lo:[0,0,1] neg_hi:[0,0,1]
	v_pk_fma_f32 v[4:5], v[26:27], v[42:43], v[4:5] op_sel:[0,0,1] op_sel_hi:[1,0,0]
	s_waitcnt vmcnt(3)
	v_mov_b32_e32 v4, v47
	v_mov_b32_e32 v7, v5
	s_waitcnt lgkmcnt(0)
	v_pk_mul_f32 v[4:5], v[28:29], v[4:5] op_sel_hi:[1,0]
	v_pk_add_f32 v[2:3], v[2:3], v[6:7]
	v_pk_fma_f32 v[6:7], v[28:29], v[46:47], v[4:5] op_sel:[0,0,1] op_sel_hi:[1,1,0] neg_lo:[0,0,1] neg_hi:[0,0,1]
	v_pk_fma_f32 v[4:5], v[28:29], v[46:47], v[4:5] op_sel:[0,0,1] op_sel_hi:[1,0,0]
	s_waitcnt vmcnt(0)
	v_mov_b32_e32 v4, v45
	v_mov_b32_e32 v7, v5
	v_pk_mul_f32 v[4:5], v[30:31], v[4:5] op_sel_hi:[1,0]
	v_pk_add_f32 v[2:3], v[2:3], v[6:7]
	v_pk_fma_f32 v[6:7], v[30:31], v[44:45], v[4:5] op_sel:[0,0,1] op_sel_hi:[1,1,0] neg_lo:[0,0,1] neg_hi:[0,0,1]
	v_pk_fma_f32 v[4:5], v[30:31], v[44:45], v[4:5] op_sel:[0,0,1] op_sel_hi:[1,0,0]
	v_mov_b32_e32 v7, v5
	v_pk_add_f32 v[2:3], v[2:3], v[6:7]
	v_pk_add_f32 v[2:3], v[48:49], v[2:3] neg_lo:[0,1] neg_hi:[0,1]
	buffer_store_dword v3, off, s[0:3], 0 offset:228
	buffer_store_dword v2, off, s[0:3], 0 offset:224
	s_and_saveexec_b64 s[4:5], vcc
	s_cbranch_execz .LBB106_217
; %bb.216:
	buffer_load_dword v2, off, s[0:3], 0 offset:216
	buffer_load_dword v3, off, s[0:3], 0 offset:220
	v_mov_b32_e32 v4, 0
	buffer_store_dword v4, off, s[0:3], 0 offset:216
	buffer_store_dword v4, off, s[0:3], 0 offset:220
	s_waitcnt vmcnt(2)
	ds_write_b64 v1, v[2:3]
.LBB106_217:
	s_or_b64 exec, exec, s[4:5]
	s_waitcnt lgkmcnt(0)
	; wave barrier
	s_waitcnt lgkmcnt(0)
	buffer_load_dword v3, off, s[0:3], 0 offset:228
	buffer_load_dword v52, off, s[0:3], 0 offset:236
	;; [unrolled: 1-line block ×32, first 2 shown]
	v_mov_b32_e32 v2, 0
	ds_read_b128 v[4:7], v2 offset:576
	ds_read_b128 v[8:11], v2 offset:592
	;; [unrolled: 1-line block ×7, first 2 shown]
	ds_read_b64 v[50:51], v2 offset:688
	v_cmp_lt_u32_e32 vcc, 26, v0
	s_waitcnt vmcnt(31) lgkmcnt(7)
	v_mul_f32_e32 v153, v4, v3
	v_mul_f32_e32 v3, v5, v3
	s_waitcnt vmcnt(30)
	v_mul_f32_e32 v154, v6, v52
	s_waitcnt vmcnt(28) lgkmcnt(6)
	v_mul_f32_e32 v156, v10, v56
	s_waitcnt vmcnt(27) lgkmcnt(5)
	v_mul_f32_e32 v157, v12, v57
	v_mul_f32_e32 v158, v11, v56
	;; [unrolled: 1-line block ×3, first 2 shown]
	s_waitcnt vmcnt(24)
	v_mov_b32_e32 v56, v33
	v_mul_f32_e32 v155, v8, v54
	v_mul_f32_e32 v52, v7, v52
	s_waitcnt vmcnt(22)
	v_fmac_f32_e32 v153, v5, v60
	v_fma_f32 v3, v4, v60, -v3
	s_waitcnt lgkmcnt(4)
	v_pk_mul_f32 v[4:5], v[18:19], v[56:57] op_sel_hi:[1,0]
	v_mul_f32_e32 v54, v9, v54
	s_waitcnt vmcnt(21)
	v_fmac_f32_e32 v154, v7, v61
	s_waitcnt vmcnt(20)
	v_fmac_f32_e32 v155, v9, v62
	;; [unrolled: 2-line block ×3, first 2 shown]
	v_fma_f32 v9, v6, v61, -v52
	s_waitcnt vmcnt(18)
	v_fma_f32 v11, v12, v64, -v57
	v_add_f32_e32 v12, 0, v153
	v_add_f32_e32 v3, 0, v3
	s_waitcnt vmcnt(12)
	v_pk_fma_f32 v[6:7], v[18:19], v[32:33], v[4:5] op_sel:[0,0,1] op_sel_hi:[1,1,0] neg_lo:[0,0,1] neg_hi:[0,0,1]
	v_pk_fma_f32 v[4:5], v[18:19], v[32:33], v[4:5] op_sel:[0,0,1] op_sel_hi:[1,0,0]
	v_fma_f32 v8, v8, v62, -v54
	v_add_f32_e32 v4, v12, v154
	v_add_f32_e32 v3, v3, v9
	v_fma_f32 v10, v10, v63, -v158
	v_add_f32_e32 v4, v4, v155
	v_add_f32_e32 v3, v3, v8
	v_mul_f32_e32 v53, v14, v58
	v_mul_f32_e32 v159, v15, v58
	v_fmac_f32_e32 v157, v13, v64
	v_add_f32_e32 v4, v4, v156
	v_add_f32_e32 v3, v3, v10
	v_mul_f32_e32 v55, v16, v59
	v_mul_f32_e32 v59, v17, v59
	v_fmac_f32_e32 v53, v15, v65
	v_fma_f32 v52, v14, v65, -v159
	v_mov_b32_e32 v7, v5
	v_add_f32_e32 v5, v4, v157
	v_add_f32_e32 v4, v3, v11
	v_fmac_f32_e32 v55, v17, v152
	v_fma_f32 v54, v16, v152, -v59
	v_pk_add_f32 v[4:5], v[4:5], v[52:53]
	v_mov_b32_e32 v58, v35
	v_pk_add_f32 v[4:5], v[4:5], v[54:55]
	v_pk_add_f32 v[4:5], v[4:5], v[6:7]
	s_waitcnt lgkmcnt(3)
	v_pk_mul_f32 v[6:7], v[20:21], v[58:59] op_sel_hi:[1,0]
	v_pk_fma_f32 v[8:9], v[20:21], v[34:35], v[6:7] op_sel:[0,0,1] op_sel_hi:[1,1,0] neg_lo:[0,0,1] neg_hi:[0,0,1]
	v_pk_fma_f32 v[6:7], v[20:21], v[34:35], v[6:7] op_sel:[0,0,1] op_sel_hi:[1,0,0]
	s_waitcnt vmcnt(11)
	v_mov_b32_e32 v6, v39
	v_mov_b32_e32 v9, v7
	v_pk_mul_f32 v[6:7], v[22:23], v[6:7] op_sel_hi:[1,0]
	v_pk_add_f32 v[4:5], v[4:5], v[8:9]
	v_pk_fma_f32 v[8:9], v[22:23], v[38:39], v[6:7] op_sel:[0,0,1] op_sel_hi:[1,1,0] neg_lo:[0,0,1] neg_hi:[0,0,1]
	v_pk_fma_f32 v[6:7], v[22:23], v[38:39], v[6:7] op_sel:[0,0,1] op_sel_hi:[1,0,0]
	s_waitcnt vmcnt(10)
	v_mov_b32_e32 v6, v37
	v_mov_b32_e32 v9, v7
	s_waitcnt lgkmcnt(2)
	v_pk_mul_f32 v[6:7], v[24:25], v[6:7] op_sel_hi:[1,0]
	v_pk_add_f32 v[4:5], v[4:5], v[8:9]
	v_pk_fma_f32 v[8:9], v[24:25], v[36:37], v[6:7] op_sel:[0,0,1] op_sel_hi:[1,1,0] neg_lo:[0,0,1] neg_hi:[0,0,1]
	v_pk_fma_f32 v[6:7], v[24:25], v[36:37], v[6:7] op_sel:[0,0,1] op_sel_hi:[1,0,0]
	s_waitcnt vmcnt(9)
	v_mov_b32_e32 v6, v41
	v_mov_b32_e32 v9, v7
	v_pk_mul_f32 v[6:7], v[26:27], v[6:7] op_sel_hi:[1,0]
	v_pk_add_f32 v[4:5], v[4:5], v[8:9]
	s_waitcnt vmcnt(4)
	v_pk_fma_f32 v[8:9], v[26:27], v[40:41], v[6:7] op_sel:[0,0,1] op_sel_hi:[1,1,0] neg_lo:[0,0,1] neg_hi:[0,0,1]
	v_pk_fma_f32 v[6:7], v[26:27], v[40:41], v[6:7] op_sel:[0,0,1] op_sel_hi:[1,0,0]
	v_mov_b32_e32 v6, v47
	v_mov_b32_e32 v9, v7
	s_waitcnt lgkmcnt(1)
	v_pk_mul_f32 v[6:7], v[28:29], v[6:7] op_sel_hi:[1,0]
	v_pk_add_f32 v[4:5], v[4:5], v[8:9]
	v_pk_fma_f32 v[8:9], v[28:29], v[46:47], v[6:7] op_sel:[0,0,1] op_sel_hi:[1,1,0] neg_lo:[0,0,1] neg_hi:[0,0,1]
	v_pk_fma_f32 v[6:7], v[28:29], v[46:47], v[6:7] op_sel:[0,0,1] op_sel_hi:[1,0,0]
	s_waitcnt vmcnt(3)
	v_mov_b32_e32 v6, v45
	v_mov_b32_e32 v9, v7
	v_pk_mul_f32 v[6:7], v[30:31], v[6:7] op_sel_hi:[1,0]
	v_pk_add_f32 v[4:5], v[4:5], v[8:9]
	v_pk_fma_f32 v[8:9], v[30:31], v[44:45], v[6:7] op_sel:[0,0,1] op_sel_hi:[1,1,0] neg_lo:[0,0,1] neg_hi:[0,0,1]
	v_pk_fma_f32 v[6:7], v[30:31], v[44:45], v[6:7] op_sel:[0,0,1] op_sel_hi:[1,0,0]
	s_waitcnt vmcnt(0)
	v_mov_b32_e32 v6, v43
	v_mov_b32_e32 v9, v7
	s_waitcnt lgkmcnt(0)
	v_pk_mul_f32 v[6:7], v[50:51], v[6:7] op_sel_hi:[1,0]
	v_pk_add_f32 v[4:5], v[4:5], v[8:9]
	v_pk_fma_f32 v[8:9], v[50:51], v[42:43], v[6:7] op_sel:[0,0,1] op_sel_hi:[1,1,0] neg_lo:[0,0,1] neg_hi:[0,0,1]
	v_pk_fma_f32 v[6:7], v[50:51], v[42:43], v[6:7] op_sel:[0,0,1] op_sel_hi:[1,0,0]
	v_mov_b32_e32 v9, v7
	v_pk_add_f32 v[4:5], v[4:5], v[8:9]
	v_pk_add_f32 v[4:5], v[48:49], v[4:5] neg_lo:[0,1] neg_hi:[0,1]
	buffer_store_dword v5, off, s[0:3], 0 offset:220
	buffer_store_dword v4, off, s[0:3], 0 offset:216
	s_and_saveexec_b64 s[4:5], vcc
	s_cbranch_execz .LBB106_219
; %bb.218:
	buffer_load_dword v4, off, s[0:3], 0 offset:208
	buffer_load_dword v5, off, s[0:3], 0 offset:212
	s_waitcnt vmcnt(0)
	ds_write_b64 v1, v[4:5]
	buffer_store_dword v2, off, s[0:3], 0 offset:208
	buffer_store_dword v2, off, s[0:3], 0 offset:212
.LBB106_219:
	s_or_b64 exec, exec, s[4:5]
	s_waitcnt lgkmcnt(0)
	; wave barrier
	s_waitcnt lgkmcnt(0)
	buffer_load_dword v54, off, s[0:3], 0 offset:220
	buffer_load_dword v56, off, s[0:3], 0 offset:228
	;; [unrolled: 1-line block ×32, first 2 shown]
	ds_read2_b64 v[4:7], v2 offset0:71 offset1:72
	ds_read2_b64 v[8:11], v2 offset0:73 offset1:74
	;; [unrolled: 1-line block ×4, first 2 shown]
	buffer_load_dword v53, off, s[0:3], 0 offset:340
	buffer_load_dword v52, off, s[0:3], 0 offset:336
	ds_read2_b64 v[20:23], v2 offset0:79 offset1:80
	ds_read2_b64 v[24:27], v2 offset0:81 offset1:82
	;; [unrolled: 1-line block ×4, first 2 shown]
	v_cmp_lt_u32_e32 vcc, 25, v0
	s_waitcnt vmcnt(33) lgkmcnt(7)
	v_mul_f32_e32 v157, v4, v54
	v_mul_f32_e32 v2, v5, v54
	s_waitcnt vmcnt(32)
	v_mul_f32_e32 v158, v6, v56
	s_waitcnt vmcnt(31) lgkmcnt(6)
	v_mul_f32_e32 v159, v8, v57
	v_mul_f32_e32 v54, v7, v56
	;; [unrolled: 1-line block ×3, first 2 shown]
	s_waitcnt vmcnt(30)
	v_mul_f32_e32 v57, v11, v58
	v_mul_f32_e32 v160, v10, v58
	s_waitcnt vmcnt(25)
	v_fmac_f32_e32 v157, v5, v63
	v_fma_f32 v4, v4, v63, -v2
	s_waitcnt vmcnt(24)
	v_fmac_f32_e32 v158, v7, v64
	v_fma_f32 v5, v6, v64, -v54
	s_waitcnt vmcnt(22)
	v_fma_f32 v7, v10, v152, -v57
	v_add_f32_e32 v10, 0, v157
	v_add_f32_e32 v4, 0, v4
	v_fmac_f32_e32 v159, v9, v65
	v_fma_f32 v6, v8, v65, -v56
	v_add_f32_e32 v10, v10, v158
	v_add_f32_e32 v4, v4, v5
	s_waitcnt lgkmcnt(5)
	v_mul_f32_e32 v161, v12, v59
	v_mul_f32_e32 v58, v13, v59
	v_fmac_f32_e32 v160, v11, v152
	v_add_f32_e32 v5, v10, v159
	v_add_f32_e32 v4, v4, v6
	v_mul_f32_e32 v162, v14, v60
	v_mul_f32_e32 v59, v15, v60
	s_waitcnt vmcnt(21)
	v_fmac_f32_e32 v161, v13, v153
	v_fma_f32 v8, v12, v153, -v58
	v_add_f32_e32 v5, v5, v160
	v_add_f32_e32 v4, v4, v7
	s_waitcnt lgkmcnt(4)
	v_mul_f32_e32 v3, v16, v61
	v_mul_f32_e32 v60, v17, v61
	s_waitcnt vmcnt(20)
	v_fmac_f32_e32 v162, v15, v154
	v_fma_f32 v9, v14, v154, -v59
	v_add_f32_e32 v5, v5, v161
	v_add_f32_e32 v4, v4, v8
	s_waitcnt vmcnt(19)
	v_fmac_f32_e32 v3, v17, v155
	v_fma_f32 v2, v16, v155, -v60
	v_add_f32_e32 v5, v5, v162
	v_add_f32_e32 v4, v4, v9
	v_pk_add_f32 v[2:3], v[4:5], v[2:3]
	s_waitcnt vmcnt(17)
	v_mov_b32_e32 v4, v37
	s_waitcnt lgkmcnt(3)
	v_pk_mul_f32 v[4:5], v[20:21], v[4:5] op_sel_hi:[1,0]
	v_mul_f32_e32 v55, v18, v62
	v_mul_f32_e32 v61, v19, v62
	s_waitcnt vmcnt(14)
	v_pk_fma_f32 v[6:7], v[20:21], v[36:37], v[4:5] op_sel:[0,0,1] op_sel_hi:[1,1,0] neg_lo:[0,0,1] neg_hi:[0,0,1]
	v_pk_fma_f32 v[4:5], v[20:21], v[36:37], v[4:5] op_sel:[0,0,1] op_sel_hi:[1,0,0]
	v_fmac_f32_e32 v55, v19, v156
	v_fma_f32 v54, v18, v156, -v61
	s_waitcnt vmcnt(13)
	v_mov_b32_e32 v4, v41
	v_pk_add_f32 v[2:3], v[2:3], v[54:55]
	v_mov_b32_e32 v7, v5
	v_pk_mul_f32 v[4:5], v[22:23], v[4:5] op_sel_hi:[1,0]
	v_pk_add_f32 v[2:3], v[2:3], v[6:7]
	v_pk_fma_f32 v[6:7], v[22:23], v[40:41], v[4:5] op_sel:[0,0,1] op_sel_hi:[1,1,0] neg_lo:[0,0,1] neg_hi:[0,0,1]
	v_pk_fma_f32 v[4:5], v[22:23], v[40:41], v[4:5] op_sel:[0,0,1] op_sel_hi:[1,0,0]
	s_waitcnt vmcnt(12)
	v_mov_b32_e32 v4, v39
	v_mov_b32_e32 v7, v5
	s_waitcnt lgkmcnt(2)
	v_pk_mul_f32 v[4:5], v[24:25], v[4:5] op_sel_hi:[1,0]
	v_pk_add_f32 v[2:3], v[2:3], v[6:7]
	v_pk_fma_f32 v[6:7], v[24:25], v[38:39], v[4:5] op_sel:[0,0,1] op_sel_hi:[1,1,0] neg_lo:[0,0,1] neg_hi:[0,0,1]
	v_pk_fma_f32 v[4:5], v[24:25], v[38:39], v[4:5] op_sel:[0,0,1] op_sel_hi:[1,0,0]
	s_waitcnt vmcnt(11)
	v_mov_b32_e32 v4, v43
	v_mov_b32_e32 v7, v5
	v_pk_mul_f32 v[4:5], v[26:27], v[4:5] op_sel_hi:[1,0]
	v_pk_add_f32 v[2:3], v[2:3], v[6:7]
	s_waitcnt vmcnt(5)
	v_pk_fma_f32 v[6:7], v[26:27], v[42:43], v[4:5] op_sel:[0,0,1] op_sel_hi:[1,1,0] neg_lo:[0,0,1] neg_hi:[0,0,1]
	v_pk_fma_f32 v[4:5], v[26:27], v[42:43], v[4:5] op_sel:[0,0,1] op_sel_hi:[1,0,0]
	v_mov_b32_e32 v4, v49
	v_mov_b32_e32 v7, v5
	s_waitcnt lgkmcnt(1)
	v_pk_mul_f32 v[4:5], v[28:29], v[4:5] op_sel_hi:[1,0]
	v_pk_add_f32 v[2:3], v[2:3], v[6:7]
	v_pk_fma_f32 v[6:7], v[28:29], v[48:49], v[4:5] op_sel:[0,0,1] op_sel_hi:[1,1,0] neg_lo:[0,0,1] neg_hi:[0,0,1]
	v_pk_fma_f32 v[4:5], v[28:29], v[48:49], v[4:5] op_sel:[0,0,1] op_sel_hi:[1,0,0]
	v_mov_b32_e32 v4, v47
	v_mov_b32_e32 v7, v5
	v_pk_mul_f32 v[4:5], v[30:31], v[4:5] op_sel_hi:[1,0]
	v_pk_add_f32 v[2:3], v[2:3], v[6:7]
	v_pk_fma_f32 v[6:7], v[30:31], v[46:47], v[4:5] op_sel:[0,0,1] op_sel_hi:[1,1,0] neg_lo:[0,0,1] neg_hi:[0,0,1]
	v_pk_fma_f32 v[4:5], v[30:31], v[46:47], v[4:5] op_sel:[0,0,1] op_sel_hi:[1,0,0]
	s_waitcnt vmcnt(2)
	v_mov_b32_e32 v4, v45
	v_mov_b32_e32 v7, v5
	s_waitcnt lgkmcnt(0)
	v_pk_mul_f32 v[4:5], v[32:33], v[4:5] op_sel_hi:[1,0]
	v_pk_add_f32 v[2:3], v[2:3], v[6:7]
	v_pk_fma_f32 v[6:7], v[32:33], v[44:45], v[4:5] op_sel:[0,0,1] op_sel_hi:[1,1,0] neg_lo:[0,0,1] neg_hi:[0,0,1]
	v_pk_fma_f32 v[4:5], v[32:33], v[44:45], v[4:5] op_sel:[0,0,1] op_sel_hi:[1,0,0]
	s_waitcnt vmcnt(1)
	v_mov_b32_e32 v4, v53
	v_mov_b32_e32 v7, v5
	v_pk_mul_f32 v[4:5], v[34:35], v[4:5] op_sel_hi:[1,0]
	v_pk_add_f32 v[2:3], v[2:3], v[6:7]
	s_waitcnt vmcnt(0)
	v_pk_fma_f32 v[6:7], v[34:35], v[52:53], v[4:5] op_sel:[0,0,1] op_sel_hi:[1,1,0] neg_lo:[0,0,1] neg_hi:[0,0,1]
	v_pk_fma_f32 v[4:5], v[34:35], v[52:53], v[4:5] op_sel:[0,0,1] op_sel_hi:[1,0,0]
	v_mov_b32_e32 v7, v5
	v_pk_add_f32 v[2:3], v[2:3], v[6:7]
	v_pk_add_f32 v[2:3], v[50:51], v[2:3] neg_lo:[0,1] neg_hi:[0,1]
	buffer_store_dword v3, off, s[0:3], 0 offset:212
	buffer_store_dword v2, off, s[0:3], 0 offset:208
	s_and_saveexec_b64 s[4:5], vcc
	s_cbranch_execz .LBB106_221
; %bb.220:
	buffer_load_dword v2, off, s[0:3], 0 offset:200
	buffer_load_dword v3, off, s[0:3], 0 offset:204
	v_mov_b32_e32 v4, 0
	buffer_store_dword v4, off, s[0:3], 0 offset:200
	buffer_store_dword v4, off, s[0:3], 0 offset:204
	s_waitcnt vmcnt(2)
	ds_write_b64 v1, v[2:3]
.LBB106_221:
	s_or_b64 exec, exec, s[4:5]
	s_waitcnt lgkmcnt(0)
	; wave barrier
	s_waitcnt lgkmcnt(0)
	buffer_load_dword v3, off, s[0:3], 0 offset:212
	buffer_load_dword v46, off, s[0:3], 0 offset:220
	;; [unrolled: 1-line block ×36, first 2 shown]
	v_mov_b32_e32 v2, 0
	ds_read_b128 v[4:7], v2 offset:560
	ds_read_b128 v[8:11], v2 offset:576
	;; [unrolled: 1-line block ×6, first 2 shown]
	v_cmp_lt_u32_e32 vcc, 24, v0
	s_waitcnt vmcnt(35) lgkmcnt(5)
	v_mul_f32_e32 v65, v4, v3
	s_waitcnt vmcnt(34)
	v_mul_f32_e32 v152, v6, v46
	s_waitcnt vmcnt(33) lgkmcnt(4)
	v_mul_f32_e32 v153, v8, v48
	v_mul_f32_e32 v3, v5, v3
	;; [unrolled: 1-line block ×4, first 2 shown]
	s_waitcnt vmcnt(32)
	v_mul_f32_e32 v154, v10, v50
	s_waitcnt vmcnt(31) lgkmcnt(3)
	v_mul_f32_e32 v155, v12, v51
	v_mul_f32_e32 v50, v11, v50
	s_waitcnt vmcnt(26)
	v_fmac_f32_e32 v65, v5, v56
	s_waitcnt vmcnt(25)
	v_fmac_f32_e32 v152, v7, v57
	;; [unrolled: 2-line block ×3, first 2 shown]
	v_fma_f32 v3, v4, v56, -v3
	v_add_f32_e32 v9, 0, v65
	v_fma_f32 v4, v6, v57, -v46
	v_add_f32_e32 v3, 0, v3
	v_add_f32_e32 v9, v9, v152
	s_waitcnt vmcnt(23)
	v_fmac_f32_e32 v154, v11, v59
	v_fma_f32 v5, v8, v58, -v48
	v_add_f32_e32 v3, v3, v4
	v_add_f32_e32 v4, v9, v153
	v_mul_f32_e32 v156, v14, v52
	v_mul_f32_e32 v51, v13, v51
	s_waitcnt vmcnt(22)
	v_fmac_f32_e32 v155, v13, v60
	v_fma_f32 v6, v10, v59, -v50
	v_add_f32_e32 v3, v3, v5
	v_add_f32_e32 v4, v4, v154
	s_waitcnt lgkmcnt(2)
	v_mul_f32_e32 v157, v16, v53
	v_mul_f32_e32 v52, v15, v52
	s_waitcnt vmcnt(21)
	v_fmac_f32_e32 v156, v15, v61
	v_fma_f32 v7, v12, v60, -v51
	v_add_f32_e32 v3, v3, v6
	v_add_f32_e32 v4, v4, v155
	v_mul_f32_e32 v53, v17, v53
	s_waitcnt vmcnt(20)
	v_fmac_f32_e32 v157, v17, v62
	v_fma_f32 v8, v14, v61, -v52
	v_add_f32_e32 v3, v3, v7
	v_add_f32_e32 v4, v4, v156
	;; [unrolled: 1-line block ×4, first 2 shown]
	v_fma_f32 v4, v16, v62, -v53
	s_waitcnt vmcnt(17)
	v_mov_b32_e32 v16, v29
	v_mul_f32_e32 v47, v18, v54
	v_add_f32_e32 v12, v3, v4
	v_mul_f32_e32 v3, v19, v54
	s_waitcnt lgkmcnt(1)
	v_pk_mul_f32 v[16:17], v[22:23], v[16:17] op_sel_hi:[1,0]
	v_mul_f32_e32 v49, v20, v55
	v_fmac_f32_e32 v47, v19, v63
	v_fma_f32 v46, v18, v63, -v3
	v_mul_f32_e32 v3, v21, v55
	s_waitcnt vmcnt(15)
	v_pk_fma_f32 v[18:19], v[22:23], v[28:29], v[16:17] op_sel:[0,0,1] op_sel_hi:[1,1,0] neg_lo:[0,0,1] neg_hi:[0,0,1]
	v_pk_fma_f32 v[16:17], v[22:23], v[28:29], v[16:17] op_sel:[0,0,1] op_sel_hi:[1,0,0]
	v_fmac_f32_e32 v49, v21, v64
	v_fma_f32 v48, v20, v64, -v3
	v_pk_add_f32 v[12:13], v[12:13], v[46:47]
	s_waitcnt vmcnt(12)
	v_mov_b32_e32 v16, v31
	v_pk_add_f32 v[12:13], v[12:13], v[48:49]
	v_mov_b32_e32 v19, v17
	s_waitcnt lgkmcnt(0)
	v_pk_mul_f32 v[16:17], v[24:25], v[16:17] op_sel_hi:[1,0]
	v_pk_add_f32 v[12:13], v[12:13], v[18:19]
	v_pk_fma_f32 v[18:19], v[24:25], v[30:31], v[16:17] op_sel:[0,0,1] op_sel_hi:[1,1,0] neg_lo:[0,0,1] neg_hi:[0,0,1]
	v_pk_fma_f32 v[16:17], v[24:25], v[30:31], v[16:17] op_sel:[0,0,1] op_sel_hi:[1,0,0]
	s_waitcnt vmcnt(11)
	v_mov_b32_e32 v16, v35
	ds_read_b128 v[4:7], v2 offset:656
	ds_read_b128 v[8:11], v2 offset:672
	ds_read_b64 v[14:15], v2 offset:688
	v_mov_b32_e32 v19, v17
	v_pk_mul_f32 v[16:17], v[26:27], v[16:17] op_sel_hi:[1,0]
	v_pk_add_f32 v[12:13], v[12:13], v[18:19]
	s_waitcnt vmcnt(4)
	v_pk_fma_f32 v[18:19], v[26:27], v[34:35], v[16:17] op_sel:[0,0,1] op_sel_hi:[1,1,0] neg_lo:[0,0,1] neg_hi:[0,0,1]
	v_pk_fma_f32 v[16:17], v[26:27], v[34:35], v[16:17] op_sel:[0,0,1] op_sel_hi:[1,0,0]
	v_mov_b32_e32 v16, v41
	v_mov_b32_e32 v19, v17
	s_waitcnt lgkmcnt(2)
	v_pk_mul_f32 v[16:17], v[4:5], v[16:17] op_sel_hi:[1,0]
	v_pk_add_f32 v[12:13], v[12:13], v[18:19]
	v_pk_fma_f32 v[18:19], v[4:5], v[40:41], v[16:17] op_sel:[0,0,1] op_sel_hi:[1,1,0] neg_lo:[0,0,1] neg_hi:[0,0,1]
	v_pk_fma_f32 v[4:5], v[4:5], v[40:41], v[16:17] op_sel:[0,0,1] op_sel_hi:[1,0,0]
	v_mov_b32_e32 v19, v5
	v_pk_add_f32 v[4:5], v[12:13], v[18:19]
	v_mov_b32_e32 v12, v39
	v_pk_mul_f32 v[12:13], v[6:7], v[12:13] op_sel_hi:[1,0]
	v_pk_fma_f32 v[16:17], v[6:7], v[38:39], v[12:13] op_sel:[0,0,1] op_sel_hi:[1,1,0] neg_lo:[0,0,1] neg_hi:[0,0,1]
	v_pk_fma_f32 v[6:7], v[6:7], v[38:39], v[12:13] op_sel:[0,0,1] op_sel_hi:[1,0,0]
	v_mov_b32_e32 v6, v37
	v_mov_b32_e32 v17, v7
	s_waitcnt lgkmcnt(1)
	v_pk_mul_f32 v[6:7], v[8:9], v[6:7] op_sel_hi:[1,0]
	v_pk_fma_f32 v[12:13], v[8:9], v[36:37], v[6:7] op_sel:[0,0,1] op_sel_hi:[1,1,0] neg_lo:[0,0,1] neg_hi:[0,0,1]
	v_pk_fma_f32 v[6:7], v[8:9], v[36:37], v[6:7] op_sel:[0,0,1] op_sel_hi:[1,0,0]
	s_waitcnt vmcnt(1)
	v_mov_b32_e32 v6, v45
	v_mov_b32_e32 v13, v7
	v_pk_mul_f32 v[6:7], v[10:11], v[6:7] op_sel_hi:[1,0]
	s_waitcnt vmcnt(0)
	v_pk_fma_f32 v[8:9], v[10:11], v[44:45], v[6:7] op_sel:[0,0,1] op_sel_hi:[1,1,0] neg_lo:[0,0,1] neg_hi:[0,0,1]
	v_pk_fma_f32 v[6:7], v[10:11], v[44:45], v[6:7] op_sel:[0,0,1] op_sel_hi:[1,0,0]
	v_pk_add_f32 v[4:5], v[4:5], v[16:17]
	v_mov_b32_e32 v6, v43
	v_pk_add_f32 v[4:5], v[4:5], v[12:13]
	v_mov_b32_e32 v9, v7
	s_waitcnt lgkmcnt(0)
	v_pk_mul_f32 v[6:7], v[14:15], v[6:7] op_sel_hi:[1,0]
	v_pk_add_f32 v[4:5], v[4:5], v[8:9]
	v_pk_fma_f32 v[8:9], v[14:15], v[42:43], v[6:7] op_sel:[0,0,1] op_sel_hi:[1,1,0] neg_lo:[0,0,1] neg_hi:[0,0,1]
	v_pk_fma_f32 v[6:7], v[14:15], v[42:43], v[6:7] op_sel:[0,0,1] op_sel_hi:[1,0,0]
	v_mov_b32_e32 v9, v7
	v_pk_add_f32 v[4:5], v[4:5], v[8:9]
	v_pk_add_f32 v[4:5], v[32:33], v[4:5] neg_lo:[0,1] neg_hi:[0,1]
	buffer_store_dword v5, off, s[0:3], 0 offset:204
	buffer_store_dword v4, off, s[0:3], 0 offset:200
	s_and_saveexec_b64 s[4:5], vcc
	s_cbranch_execz .LBB106_223
; %bb.222:
	buffer_load_dword v4, off, s[0:3], 0 offset:192
	buffer_load_dword v5, off, s[0:3], 0 offset:196
	s_waitcnt vmcnt(0)
	ds_write_b64 v1, v[4:5]
	buffer_store_dword v2, off, s[0:3], 0 offset:192
	buffer_store_dword v2, off, s[0:3], 0 offset:196
.LBB106_223:
	s_or_b64 exec, exec, s[4:5]
	s_waitcnt lgkmcnt(0)
	; wave barrier
	s_waitcnt lgkmcnt(0)
	buffer_load_dword v3, off, s[0:3], 0 offset:204
	buffer_load_dword v46, off, s[0:3], 0 offset:212
	;; [unrolled: 1-line block ×22, first 2 shown]
	ds_read2_b64 v[4:7], v2 offset0:69 offset1:70
	ds_read2_b64 v[8:11], v2 offset0:71 offset1:72
	buffer_load_dword v31, off, s[0:3], 0 offset:284
	buffer_load_dword v30, off, s[0:3], 0 offset:280
	buffer_load_dword v33, off, s[0:3], 0 offset:292
	buffer_load_dword v35, off, s[0:3], 0 offset:316
	buffer_load_dword v34, off, s[0:3], 0 offset:312
	buffer_load_dword v37, off, s[0:3], 0 offset:308
	buffer_load_dword v36, off, s[0:3], 0 offset:304
	buffer_load_dword v39, off, s[0:3], 0 offset:300
	buffer_load_dword v38, off, s[0:3], 0 offset:296
	buffer_load_dword v32, off, s[0:3], 0 offset:288
	ds_read2_b64 v[12:15], v2 offset0:73 offset1:74
	ds_read2_b64 v[16:19], v2 offset0:75 offset1:76
	;; [unrolled: 1-line block ×4, first 2 shown]
	buffer_load_dword v41, off, s[0:3], 0 offset:340
	buffer_load_dword v40, off, s[0:3], 0 offset:336
	;; [unrolled: 1-line block ×6, first 2 shown]
	v_cmp_lt_u32_e32 vcc, 23, v0
	s_waitcnt vmcnt(37) lgkmcnt(5)
	v_mul_f32_e32 v153, v4, v3
	s_waitcnt vmcnt(36)
	v_mul_f32_e32 v154, v6, v46
	s_waitcnt vmcnt(35) lgkmcnt(4)
	v_mul_f32_e32 v155, v8, v48
	v_mul_f32_e32 v3, v5, v3
	;; [unrolled: 1-line block ×4, first 2 shown]
	s_waitcnt vmcnt(34)
	v_mul_f32_e32 v156, v10, v50
	s_waitcnt vmcnt(33) lgkmcnt(3)
	v_mul_f32_e32 v157, v12, v51
	s_waitcnt vmcnt(32)
	v_mul_f32_e32 v158, v14, v52
	s_waitcnt vmcnt(31) lgkmcnt(2)
	v_mul_f32_e32 v159, v16, v53
	s_waitcnt vmcnt(27)
	v_fmac_f32_e32 v153, v5, v57
	s_waitcnt vmcnt(26)
	v_fmac_f32_e32 v154, v7, v58
	v_fma_f32 v3, v4, v57, -v3
	s_waitcnt vmcnt(25)
	v_fma_f32 v5, v8, v59, -v48
	v_add_f32_e32 v8, 0, v153
	v_fmac_f32_e32 v155, v9, v59
	v_fma_f32 v4, v6, v58, -v46
	v_add_f32_e32 v3, 0, v3
	v_add_f32_e32 v8, v8, v154
	s_waitcnt vmcnt(24)
	v_fmac_f32_e32 v156, v11, v60
	v_add_f32_e32 v3, v3, v4
	v_add_f32_e32 v4, v8, v155
	s_waitcnt vmcnt(23)
	v_fmac_f32_e32 v157, v13, v61
	v_add_f32_e32 v4, v4, v156
	v_mul_f32_e32 v50, v11, v50
	s_waitcnt vmcnt(22)
	v_fmac_f32_e32 v158, v15, v62
	v_add_f32_e32 v4, v4, v157
	v_mul_f32_e32 v160, v18, v54
	v_mul_f32_e32 v51, v13, v51
	s_waitcnt vmcnt(21)
	v_fmac_f32_e32 v159, v17, v63
	v_fma_f32 v6, v10, v60, -v50
	v_add_f32_e32 v3, v3, v5
	v_add_f32_e32 v4, v4, v158
	v_mul_f32_e32 v52, v15, v52
	s_waitcnt vmcnt(20)
	v_fmac_f32_e32 v160, v19, v64
	v_fma_f32 v7, v12, v61, -v51
	v_add_f32_e32 v3, v3, v6
	v_add_f32_e32 v4, v4, v159
	;; [unrolled: 1-line block ×4, first 2 shown]
	v_fma_f32 v4, v14, v62, -v52
	v_add_f32_e32 v3, v3, v4
	v_mul_f32_e32 v4, v17, v53
	v_fma_f32 v4, v16, v63, -v4
	v_add_f32_e32 v3, v3, v4
	v_mul_f32_e32 v4, v19, v54
	v_fma_f32 v4, v18, v64, -v4
	s_waitcnt vmcnt(15)
	v_mov_b32_e32 v16, v31
	s_waitcnt lgkmcnt(1)
	v_mul_f32_e32 v47, v20, v55
	v_add_f32_e32 v50, v3, v4
	v_mul_f32_e32 v3, v21, v55
	s_waitcnt lgkmcnt(0)
	v_pk_mul_f32 v[16:17], v[24:25], v[16:17] op_sel_hi:[1,0]
	v_mul_f32_e32 v49, v22, v56
	v_fmac_f32_e32 v47, v21, v65
	v_fma_f32 v46, v20, v65, -v3
	v_mul_f32_e32 v3, v23, v56
	s_waitcnt vmcnt(14)
	v_pk_fma_f32 v[18:19], v[24:25], v[30:31], v[16:17] op_sel:[0,0,1] op_sel_hi:[1,1,0] neg_lo:[0,0,1] neg_hi:[0,0,1]
	v_pk_fma_f32 v[16:17], v[24:25], v[30:31], v[16:17] op_sel:[0,0,1] op_sel_hi:[1,0,0]
	v_fmac_f32_e32 v49, v23, v152
	v_fma_f32 v48, v22, v152, -v3
	ds_read2_b64 v[4:7], v2 offset0:81 offset1:82
	ds_read2_b64 v[8:11], v2 offset0:83 offset1:84
	;; [unrolled: 1-line block ×3, first 2 shown]
	v_pk_add_f32 v[2:3], v[50:51], v[46:47]
	s_waitcnt vmcnt(13)
	v_mov_b32_e32 v16, v33
	v_pk_add_f32 v[2:3], v[2:3], v[48:49]
	v_mov_b32_e32 v19, v17
	v_pk_mul_f32 v[16:17], v[26:27], v[16:17] op_sel_hi:[1,0]
	v_pk_add_f32 v[2:3], v[2:3], v[18:19]
	s_waitcnt vmcnt(6)
	v_pk_fma_f32 v[18:19], v[26:27], v[32:33], v[16:17] op_sel:[0,0,1] op_sel_hi:[1,1,0] neg_lo:[0,0,1] neg_hi:[0,0,1]
	v_pk_fma_f32 v[16:17], v[26:27], v[32:33], v[16:17] op_sel:[0,0,1] op_sel_hi:[1,0,0]
	v_mov_b32_e32 v16, v39
	v_mov_b32_e32 v19, v17
	s_waitcnt lgkmcnt(2)
	v_pk_mul_f32 v[16:17], v[4:5], v[16:17] op_sel_hi:[1,0]
	v_pk_add_f32 v[2:3], v[2:3], v[18:19]
	v_pk_fma_f32 v[18:19], v[4:5], v[38:39], v[16:17] op_sel:[0,0,1] op_sel_hi:[1,1,0] neg_lo:[0,0,1] neg_hi:[0,0,1]
	v_pk_fma_f32 v[4:5], v[4:5], v[38:39], v[16:17] op_sel:[0,0,1] op_sel_hi:[1,0,0]
	v_mov_b32_e32 v4, v37
	v_mov_b32_e32 v19, v5
	v_pk_mul_f32 v[4:5], v[6:7], v[4:5] op_sel_hi:[1,0]
	v_pk_fma_f32 v[16:17], v[6:7], v[36:37], v[4:5] op_sel:[0,0,1] op_sel_hi:[1,1,0] neg_lo:[0,0,1] neg_hi:[0,0,1]
	v_pk_fma_f32 v[4:5], v[6:7], v[36:37], v[4:5] op_sel:[0,0,1] op_sel_hi:[1,0,0]
	v_mov_b32_e32 v4, v35
	v_mov_b32_e32 v17, v5
	s_waitcnt lgkmcnt(1)
	v_pk_mul_f32 v[4:5], v[8:9], v[4:5] op_sel_hi:[1,0]
	v_pk_fma_f32 v[6:7], v[8:9], v[34:35], v[4:5] op_sel:[0,0,1] op_sel_hi:[1,1,0] neg_lo:[0,0,1] neg_hi:[0,0,1]
	v_pk_fma_f32 v[4:5], v[8:9], v[34:35], v[4:5] op_sel:[0,0,1] op_sel_hi:[1,0,0]
	v_pk_add_f32 v[2:3], v[2:3], v[18:19]
	s_waitcnt vmcnt(1)
	v_mov_b32_e32 v4, v45
	v_pk_add_f32 v[2:3], v[2:3], v[16:17]
	v_mov_b32_e32 v7, v5
	v_pk_mul_f32 v[4:5], v[10:11], v[4:5] op_sel_hi:[1,0]
	v_pk_add_f32 v[2:3], v[2:3], v[6:7]
	s_waitcnt vmcnt(0)
	v_pk_fma_f32 v[6:7], v[10:11], v[44:45], v[4:5] op_sel:[0,0,1] op_sel_hi:[1,1,0] neg_lo:[0,0,1] neg_hi:[0,0,1]
	v_pk_fma_f32 v[4:5], v[10:11], v[44:45], v[4:5] op_sel:[0,0,1] op_sel_hi:[1,0,0]
	v_mov_b32_e32 v4, v43
	v_mov_b32_e32 v7, v5
	s_waitcnt lgkmcnt(0)
	v_pk_mul_f32 v[4:5], v[12:13], v[4:5] op_sel_hi:[1,0]
	v_pk_add_f32 v[2:3], v[2:3], v[6:7]
	v_pk_fma_f32 v[6:7], v[12:13], v[42:43], v[4:5] op_sel:[0,0,1] op_sel_hi:[1,1,0] neg_lo:[0,0,1] neg_hi:[0,0,1]
	v_pk_fma_f32 v[4:5], v[12:13], v[42:43], v[4:5] op_sel:[0,0,1] op_sel_hi:[1,0,0]
	v_mov_b32_e32 v4, v41
	v_mov_b32_e32 v7, v5
	v_pk_mul_f32 v[4:5], v[14:15], v[4:5] op_sel_hi:[1,0]
	v_pk_add_f32 v[2:3], v[2:3], v[6:7]
	v_pk_fma_f32 v[6:7], v[14:15], v[40:41], v[4:5] op_sel:[0,0,1] op_sel_hi:[1,1,0] neg_lo:[0,0,1] neg_hi:[0,0,1]
	v_pk_fma_f32 v[4:5], v[14:15], v[40:41], v[4:5] op_sel:[0,0,1] op_sel_hi:[1,0,0]
	v_mov_b32_e32 v7, v5
	v_pk_add_f32 v[2:3], v[2:3], v[6:7]
	v_pk_add_f32 v[2:3], v[28:29], v[2:3] neg_lo:[0,1] neg_hi:[0,1]
	buffer_store_dword v3, off, s[0:3], 0 offset:196
	buffer_store_dword v2, off, s[0:3], 0 offset:192
	s_and_saveexec_b64 s[4:5], vcc
	s_cbranch_execz .LBB106_225
; %bb.224:
	buffer_load_dword v2, off, s[0:3], 0 offset:184
	buffer_load_dword v3, off, s[0:3], 0 offset:188
	v_mov_b32_e32 v4, 0
	buffer_store_dword v4, off, s[0:3], 0 offset:184
	buffer_store_dword v4, off, s[0:3], 0 offset:188
	s_waitcnt vmcnt(2)
	ds_write_b64 v1, v[2:3]
.LBB106_225:
	s_or_b64 exec, exec, s[4:5]
	s_waitcnt lgkmcnt(0)
	; wave barrier
	s_waitcnt lgkmcnt(0)
	buffer_load_dword v3, off, s[0:3], 0 offset:196
	buffer_load_dword v46, off, s[0:3], 0 offset:204
	;; [unrolled: 1-line block ×40, first 2 shown]
	v_mov_b32_e32 v2, 0
	ds_read_b128 v[4:7], v2 offset:544
	ds_read_b128 v[8:11], v2 offset:560
	;; [unrolled: 1-line block ×6, first 2 shown]
	v_cmp_lt_u32_e32 vcc, 22, v0
	s_waitcnt vmcnt(39) lgkmcnt(5)
	v_mul_f32_e32 v155, v4, v3
	s_waitcnt vmcnt(38)
	v_mul_f32_e32 v156, v6, v46
	v_mul_f32_e32 v3, v5, v3
	s_waitcnt vmcnt(37) lgkmcnt(4)
	v_mul_f32_e32 v157, v8, v48
	v_mul_f32_e32 v46, v7, v46
	s_waitcnt vmcnt(36)
	v_mul_f32_e32 v158, v10, v50
	s_waitcnt vmcnt(35) lgkmcnt(3)
	v_mul_f32_e32 v159, v12, v52
	s_waitcnt vmcnt(34)
	v_mul_f32_e32 v160, v14, v53
	s_waitcnt vmcnt(33) lgkmcnt(2)
	;; [unrolled: 4-line block ×3, first 2 shown]
	v_mul_f32_e32 v163, v20, v56
	s_waitcnt vmcnt(28)
	v_fmac_f32_e32 v155, v5, v51
	s_waitcnt vmcnt(27)
	v_fmac_f32_e32 v156, v7, v59
	v_fma_f32 v3, v4, v51, -v3
	v_add_f32_e32 v7, 0, v155
	s_waitcnt vmcnt(26)
	v_fmac_f32_e32 v157, v9, v60
	v_fma_f32 v4, v6, v59, -v46
	v_add_f32_e32 v3, 0, v3
	v_add_f32_e32 v7, v7, v156
	s_waitcnt vmcnt(25)
	v_fmac_f32_e32 v158, v11, v61
	v_add_f32_e32 v3, v3, v4
	v_add_f32_e32 v4, v7, v157
	s_waitcnt vmcnt(24)
	v_fmac_f32_e32 v159, v13, v62
	v_add_f32_e32 v4, v4, v158
	s_waitcnt vmcnt(23)
	v_fmac_f32_e32 v160, v15, v63
	;; [unrolled: 3-line block ×3, first 2 shown]
	v_add_f32_e32 v4, v4, v160
	v_mul_f32_e32 v48, v9, v48
	s_waitcnt vmcnt(21)
	v_fmac_f32_e32 v162, v19, v65
	v_add_f32_e32 v4, v4, v161
	v_mul_f32_e32 v50, v11, v50
	s_waitcnt vmcnt(20)
	v_fmac_f32_e32 v163, v21, v152
	v_fma_f32 v5, v8, v60, -v48
	v_add_f32_e32 v4, v4, v162
	v_fma_f32 v6, v10, v61, -v50
	v_add_f32_e32 v3, v3, v5
	v_add_f32_e32 v51, v4, v163
	v_mul_f32_e32 v4, v13, v52
	v_add_f32_e32 v3, v3, v6
	v_fma_f32 v4, v12, v62, -v4
	v_add_f32_e32 v3, v3, v4
	v_mul_f32_e32 v4, v15, v53
	v_fma_f32 v4, v14, v63, -v4
	v_add_f32_e32 v3, v3, v4
	v_mul_f32_e32 v4, v17, v54
	;; [unrolled: 3-line block ×4, first 2 shown]
	v_fma_f32 v4, v20, v152, -v4
	s_waitcnt vmcnt(9)
	v_mov_b32_e32 v20, v37
	v_mul_f32_e32 v47, v22, v57
	v_add_f32_e32 v50, v3, v4
	v_mul_f32_e32 v3, v23, v57
	s_waitcnt lgkmcnt(0)
	v_pk_mul_f32 v[20:21], v[26:27], v[20:21] op_sel_hi:[1,0]
	v_mul_f32_e32 v49, v24, v58
	v_fmac_f32_e32 v47, v23, v153
	v_fma_f32 v46, v22, v153, -v3
	v_mul_f32_e32 v3, v25, v58
	ds_read_b128 v[4:7], v2 offset:640
	ds_read_b128 v[8:11], v2 offset:656
	;; [unrolled: 1-line block ×3, first 2 shown]
	ds_read_b64 v[16:17], v2 offset:688
	s_waitcnt vmcnt(8)
	v_pk_fma_f32 v[22:23], v[26:27], v[36:37], v[20:21] op_sel:[0,0,1] op_sel_hi:[1,1,0] neg_lo:[0,0,1] neg_hi:[0,0,1]
	v_pk_fma_f32 v[20:21], v[26:27], v[36:37], v[20:21] op_sel:[0,0,1] op_sel_hi:[1,0,0]
	v_fmac_f32_e32 v49, v25, v154
	v_fma_f32 v48, v24, v154, -v3
	v_pk_add_f32 v[18:19], v[50:51], v[46:47]
	v_mov_b32_e32 v20, v35
	v_pk_add_f32 v[18:19], v[18:19], v[48:49]
	v_mov_b32_e32 v23, v21
	s_waitcnt lgkmcnt(3)
	v_pk_mul_f32 v[20:21], v[4:5], v[20:21] op_sel_hi:[1,0]
	v_pk_add_f32 v[18:19], v[18:19], v[22:23]
	v_pk_fma_f32 v[22:23], v[4:5], v[34:35], v[20:21] op_sel:[0,0,1] op_sel_hi:[1,1,0] neg_lo:[0,0,1] neg_hi:[0,0,1]
	v_pk_fma_f32 v[4:5], v[4:5], v[34:35], v[20:21] op_sel:[0,0,1] op_sel_hi:[1,0,0]
	v_mov_b32_e32 v23, v5
	v_pk_add_f32 v[4:5], v[18:19], v[22:23]
	v_mov_b32_e32 v18, v33
	v_pk_mul_f32 v[18:19], v[6:7], v[18:19] op_sel_hi:[1,0]
	v_pk_fma_f32 v[20:21], v[6:7], v[32:33], v[18:19] op_sel:[0,0,1] op_sel_hi:[1,1,0] neg_lo:[0,0,1] neg_hi:[0,0,1]
	v_pk_fma_f32 v[6:7], v[6:7], v[32:33], v[18:19] op_sel:[0,0,1] op_sel_hi:[1,0,0]
	v_mov_b32_e32 v6, v31
	v_mov_b32_e32 v21, v7
	s_waitcnt lgkmcnt(2)
	v_pk_mul_f32 v[6:7], v[8:9], v[6:7] op_sel_hi:[1,0]
	v_pk_fma_f32 v[18:19], v[8:9], v[30:31], v[6:7] op_sel:[0,0,1] op_sel_hi:[1,1,0] neg_lo:[0,0,1] neg_hi:[0,0,1]
	v_pk_fma_f32 v[6:7], v[8:9], v[30:31], v[6:7] op_sel:[0,0,1] op_sel_hi:[1,0,0]
	s_waitcnt vmcnt(1)
	v_mov_b32_e32 v6, v45
	v_mov_b32_e32 v19, v7
	v_pk_mul_f32 v[6:7], v[10:11], v[6:7] op_sel_hi:[1,0]
	s_waitcnt vmcnt(0)
	v_pk_fma_f32 v[8:9], v[10:11], v[44:45], v[6:7] op_sel:[0,0,1] op_sel_hi:[1,1,0] neg_lo:[0,0,1] neg_hi:[0,0,1]
	v_pk_fma_f32 v[6:7], v[10:11], v[44:45], v[6:7] op_sel:[0,0,1] op_sel_hi:[1,0,0]
	v_pk_add_f32 v[4:5], v[4:5], v[20:21]
	v_mov_b32_e32 v6, v43
	v_pk_add_f32 v[4:5], v[4:5], v[18:19]
	v_mov_b32_e32 v9, v7
	s_waitcnt lgkmcnt(1)
	v_pk_mul_f32 v[6:7], v[12:13], v[6:7] op_sel_hi:[1,0]
	v_pk_add_f32 v[4:5], v[4:5], v[8:9]
	v_pk_fma_f32 v[8:9], v[12:13], v[42:43], v[6:7] op_sel:[0,0,1] op_sel_hi:[1,1,0] neg_lo:[0,0,1] neg_hi:[0,0,1]
	v_pk_fma_f32 v[6:7], v[12:13], v[42:43], v[6:7] op_sel:[0,0,1] op_sel_hi:[1,0,0]
	v_mov_b32_e32 v6, v41
	v_mov_b32_e32 v9, v7
	v_pk_mul_f32 v[6:7], v[14:15], v[6:7] op_sel_hi:[1,0]
	v_pk_add_f32 v[4:5], v[4:5], v[8:9]
	v_pk_fma_f32 v[8:9], v[14:15], v[40:41], v[6:7] op_sel:[0,0,1] op_sel_hi:[1,1,0] neg_lo:[0,0,1] neg_hi:[0,0,1]
	v_pk_fma_f32 v[6:7], v[14:15], v[40:41], v[6:7] op_sel:[0,0,1] op_sel_hi:[1,0,0]
	v_mov_b32_e32 v6, v39
	v_mov_b32_e32 v9, v7
	s_waitcnt lgkmcnt(0)
	v_pk_mul_f32 v[6:7], v[16:17], v[6:7] op_sel_hi:[1,0]
	v_pk_add_f32 v[4:5], v[4:5], v[8:9]
	v_pk_fma_f32 v[8:9], v[16:17], v[38:39], v[6:7] op_sel:[0,0,1] op_sel_hi:[1,1,0] neg_lo:[0,0,1] neg_hi:[0,0,1]
	v_pk_fma_f32 v[6:7], v[16:17], v[38:39], v[6:7] op_sel:[0,0,1] op_sel_hi:[1,0,0]
	v_mov_b32_e32 v9, v7
	v_pk_add_f32 v[4:5], v[4:5], v[8:9]
	v_pk_add_f32 v[4:5], v[28:29], v[4:5] neg_lo:[0,1] neg_hi:[0,1]
	buffer_store_dword v5, off, s[0:3], 0 offset:188
	buffer_store_dword v4, off, s[0:3], 0 offset:184
	s_and_saveexec_b64 s[4:5], vcc
	s_cbranch_execz .LBB106_227
; %bb.226:
	buffer_load_dword v4, off, s[0:3], 0 offset:176
	buffer_load_dword v5, off, s[0:3], 0 offset:180
	s_waitcnt vmcnt(0)
	ds_write_b64 v1, v[4:5]
	buffer_store_dword v2, off, s[0:3], 0 offset:176
	buffer_store_dword v2, off, s[0:3], 0 offset:180
.LBB106_227:
	s_or_b64 exec, exec, s[4:5]
	s_waitcnt lgkmcnt(0)
	; wave barrier
	s_waitcnt lgkmcnt(0)
	buffer_load_dword v3, off, s[0:3], 0 offset:188
	buffer_load_dword v46, off, s[0:3], 0 offset:196
	;; [unrolled: 1-line block ×26, first 2 shown]
	ds_read2_b64 v[4:7], v2 offset0:67 offset1:68
	ds_read2_b64 v[8:11], v2 offset0:69 offset1:70
	;; [unrolled: 1-line block ×6, first 2 shown]
	buffer_load_dword v31, off, s[0:3], 0 offset:300
	buffer_load_dword v30, off, s[0:3], 0 offset:296
	buffer_load_dword v33, off, s[0:3], 0 offset:292
	buffer_load_dword v32, off, s[0:3], 0 offset:288
	buffer_load_dword v35, off, s[0:3], 0 offset:284
	buffer_load_dword v34, off, s[0:3], 0 offset:280
	buffer_load_dword v37, off, s[0:3], 0 offset:332
	buffer_load_dword v36, off, s[0:3], 0 offset:328
	buffer_load_dword v39, off, s[0:3], 0 offset:324
	buffer_load_dword v38, off, s[0:3], 0 offset:320
	buffer_load_dword v41, off, s[0:3], 0 offset:316
	buffer_load_dword v40, off, s[0:3], 0 offset:312
	buffer_load_dword v43, off, s[0:3], 0 offset:308
	buffer_load_dword v42, off, s[0:3], 0 offset:304
	buffer_load_dword v45, off, s[0:3], 0 offset:340
	buffer_load_dword v44, off, s[0:3], 0 offset:336
	v_cmp_lt_u32_e32 vcc, 21, v0
	s_waitcnt vmcnt(41) lgkmcnt(5)
	v_mul_f32_e32 v157, v4, v3
	s_waitcnt vmcnt(40)
	v_mul_f32_e32 v158, v6, v46
	v_mul_f32_e32 v3, v5, v3
	;; [unrolled: 1-line block ×3, first 2 shown]
	s_waitcnt vmcnt(39) lgkmcnt(4)
	v_mul_f32_e32 v159, v8, v48
	s_waitcnt vmcnt(38)
	v_mul_f32_e32 v160, v10, v50
	s_waitcnt vmcnt(37) lgkmcnt(3)
	v_mul_f32_e32 v161, v12, v52
	s_waitcnt vmcnt(36)
	v_mul_f32_e32 v162, v14, v53
	;; [unrolled: 4-line block ×4, first 2 shown]
	s_waitcnt vmcnt(29)
	v_fmac_f32_e32 v157, v5, v51
	s_waitcnt vmcnt(28)
	v_fmac_f32_e32 v158, v7, v60
	v_fma_f32 v3, v4, v51, -v3
	v_fma_f32 v4, v6, v60, -v46
	v_add_f32_e32 v6, 0, v157
	s_waitcnt vmcnt(27)
	v_fmac_f32_e32 v159, v9, v61
	v_add_f32_e32 v3, 0, v3
	v_add_f32_e32 v6, v6, v158
	s_waitcnt vmcnt(26)
	v_fmac_f32_e32 v160, v11, v62
	v_add_f32_e32 v3, v3, v4
	;; [unrolled: 4-line block ×3, first 2 shown]
	s_waitcnt vmcnt(24)
	v_fmac_f32_e32 v162, v15, v64
	v_add_f32_e32 v4, v4, v161
	s_waitcnt vmcnt(23)
	v_fmac_f32_e32 v163, v17, v65
	v_add_f32_e32 v4, v4, v162
	;; [unrolled: 3-line block ×4, first 2 shown]
	v_mul_f32_e32 v48, v9, v48
	s_waitcnt vmcnt(20)
	v_fmac_f32_e32 v166, v23, v154
	v_add_f32_e32 v4, v4, v165
	v_fma_f32 v5, v8, v61, -v48
	v_add_f32_e32 v51, v4, v166
	v_mul_f32_e32 v4, v11, v50
	v_add_f32_e32 v3, v3, v5
	v_fma_f32 v4, v10, v62, -v4
	v_add_f32_e32 v3, v3, v4
	v_mul_f32_e32 v4, v13, v52
	v_fma_f32 v4, v12, v63, -v4
	v_add_f32_e32 v3, v3, v4
	v_mul_f32_e32 v4, v15, v53
	;; [unrolled: 3-line block ×6, first 2 shown]
	v_fma_f32 v4, v22, v154, -v4
	v_add_f32_e32 v50, v3, v4
	ds_read2_b64 v[4:7], v2 offset0:79 offset1:80
	ds_read2_b64 v[8:11], v2 offset0:81 offset1:82
	;; [unrolled: 1-line block ×4, first 2 shown]
	s_waitcnt vmcnt(11)
	v_mov_b32_e32 v20, v35
	s_waitcnt lgkmcnt(3)
	v_pk_mul_f32 v[20:21], v[4:5], v[20:21] op_sel_hi:[1,0]
	s_waitcnt vmcnt(10)
	v_pk_fma_f32 v[22:23], v[4:5], v[34:35], v[20:21] op_sel:[0,0,1] op_sel_hi:[1,1,0] neg_lo:[0,0,1] neg_hi:[0,0,1]
	v_pk_fma_f32 v[4:5], v[4:5], v[34:35], v[20:21] op_sel:[0,0,1] op_sel_hi:[1,0,0]
	v_mov_b32_e32 v4, v33
	v_mov_b32_e32 v23, v5
	v_pk_mul_f32 v[4:5], v[6:7], v[4:5] op_sel_hi:[1,0]
	v_mul_f32_e32 v47, v24, v58
	v_mul_f32_e32 v3, v25, v58
	v_pk_fma_f32 v[20:21], v[6:7], v[32:33], v[4:5] op_sel:[0,0,1] op_sel_hi:[1,1,0] neg_lo:[0,0,1] neg_hi:[0,0,1]
	v_pk_fma_f32 v[4:5], v[6:7], v[32:33], v[4:5] op_sel:[0,0,1] op_sel_hi:[1,0,0]
	v_mul_f32_e32 v49, v26, v59
	v_fmac_f32_e32 v47, v25, v155
	v_fma_f32 v46, v24, v155, -v3
	v_mul_f32_e32 v3, v27, v59
	v_mov_b32_e32 v4, v31
	v_fmac_f32_e32 v49, v27, v156
	v_fma_f32 v48, v26, v156, -v3
	v_pk_add_f32 v[2:3], v[50:51], v[46:47]
	v_mov_b32_e32 v21, v5
	s_waitcnt lgkmcnt(2)
	v_pk_mul_f32 v[4:5], v[8:9], v[4:5] op_sel_hi:[1,0]
	v_pk_add_f32 v[2:3], v[2:3], v[48:49]
	v_pk_fma_f32 v[6:7], v[8:9], v[30:31], v[4:5] op_sel:[0,0,1] op_sel_hi:[1,1,0] neg_lo:[0,0,1] neg_hi:[0,0,1]
	v_pk_fma_f32 v[4:5], v[8:9], v[30:31], v[4:5] op_sel:[0,0,1] op_sel_hi:[1,0,0]
	v_pk_add_f32 v[2:3], v[2:3], v[22:23]
	s_waitcnt vmcnt(3)
	v_mov_b32_e32 v4, v43
	v_pk_add_f32 v[2:3], v[2:3], v[20:21]
	v_mov_b32_e32 v7, v5
	v_pk_mul_f32 v[4:5], v[10:11], v[4:5] op_sel_hi:[1,0]
	v_pk_add_f32 v[2:3], v[2:3], v[6:7]
	s_waitcnt vmcnt(2)
	v_pk_fma_f32 v[6:7], v[10:11], v[42:43], v[4:5] op_sel:[0,0,1] op_sel_hi:[1,1,0] neg_lo:[0,0,1] neg_hi:[0,0,1]
	v_pk_fma_f32 v[4:5], v[10:11], v[42:43], v[4:5] op_sel:[0,0,1] op_sel_hi:[1,0,0]
	v_mov_b32_e32 v4, v41
	v_mov_b32_e32 v7, v5
	s_waitcnt lgkmcnt(1)
	v_pk_mul_f32 v[4:5], v[12:13], v[4:5] op_sel_hi:[1,0]
	v_pk_add_f32 v[2:3], v[2:3], v[6:7]
	v_pk_fma_f32 v[6:7], v[12:13], v[40:41], v[4:5] op_sel:[0,0,1] op_sel_hi:[1,1,0] neg_lo:[0,0,1] neg_hi:[0,0,1]
	v_pk_fma_f32 v[4:5], v[12:13], v[40:41], v[4:5] op_sel:[0,0,1] op_sel_hi:[1,0,0]
	v_mov_b32_e32 v4, v39
	v_mov_b32_e32 v7, v5
	v_pk_mul_f32 v[4:5], v[14:15], v[4:5] op_sel_hi:[1,0]
	v_pk_add_f32 v[2:3], v[2:3], v[6:7]
	v_pk_fma_f32 v[6:7], v[14:15], v[38:39], v[4:5] op_sel:[0,0,1] op_sel_hi:[1,1,0] neg_lo:[0,0,1] neg_hi:[0,0,1]
	v_pk_fma_f32 v[4:5], v[14:15], v[38:39], v[4:5] op_sel:[0,0,1] op_sel_hi:[1,0,0]
	v_mov_b32_e32 v4, v37
	v_mov_b32_e32 v7, v5
	s_waitcnt lgkmcnt(0)
	v_pk_mul_f32 v[4:5], v[16:17], v[4:5] op_sel_hi:[1,0]
	v_pk_add_f32 v[2:3], v[2:3], v[6:7]
	v_pk_fma_f32 v[6:7], v[16:17], v[36:37], v[4:5] op_sel:[0,0,1] op_sel_hi:[1,1,0] neg_lo:[0,0,1] neg_hi:[0,0,1]
	v_pk_fma_f32 v[4:5], v[16:17], v[36:37], v[4:5] op_sel:[0,0,1] op_sel_hi:[1,0,0]
	s_waitcnt vmcnt(1)
	v_mov_b32_e32 v4, v45
	v_mov_b32_e32 v7, v5
	v_pk_mul_f32 v[4:5], v[18:19], v[4:5] op_sel_hi:[1,0]
	v_pk_add_f32 v[2:3], v[2:3], v[6:7]
	s_waitcnt vmcnt(0)
	v_pk_fma_f32 v[6:7], v[18:19], v[44:45], v[4:5] op_sel:[0,0,1] op_sel_hi:[1,1,0] neg_lo:[0,0,1] neg_hi:[0,0,1]
	v_pk_fma_f32 v[4:5], v[18:19], v[44:45], v[4:5] op_sel:[0,0,1] op_sel_hi:[1,0,0]
	v_mov_b32_e32 v7, v5
	v_pk_add_f32 v[2:3], v[2:3], v[6:7]
	v_pk_add_f32 v[2:3], v[28:29], v[2:3] neg_lo:[0,1] neg_hi:[0,1]
	buffer_store_dword v3, off, s[0:3], 0 offset:180
	buffer_store_dword v2, off, s[0:3], 0 offset:176
	s_and_saveexec_b64 s[4:5], vcc
	s_cbranch_execz .LBB106_229
; %bb.228:
	buffer_load_dword v2, off, s[0:3], 0 offset:168
	buffer_load_dword v3, off, s[0:3], 0 offset:172
	v_mov_b32_e32 v4, 0
	buffer_store_dword v4, off, s[0:3], 0 offset:168
	buffer_store_dword v4, off, s[0:3], 0 offset:172
	s_waitcnt vmcnt(2)
	ds_write_b64 v1, v[2:3]
.LBB106_229:
	s_or_b64 exec, exec, s[4:5]
	v_mov_b32_e32 v12, 0
	s_waitcnt lgkmcnt(0)
	; wave barrier
	s_waitcnt lgkmcnt(0)
	ds_read_b128 v[14:17], v12 offset:528
	ds_read_b128 v[18:21], v12 offset:544
	;; [unrolled: 1-line block ×4, first 2 shown]
	buffer_load_dword v6, off, s[0:3], 0 offset:168
	buffer_load_dword v7, off, s[0:3], 0 offset:172
	;; [unrolled: 1-line block ×18, first 2 shown]
	ds_read_b128 v[30:33], v12 offset:592
	buffer_load_dword v154, off, s[0:3], 0 offset:240
	buffer_load_dword v155, off, s[0:3], 0 offset:244
	;; [unrolled: 1-line block ×4, first 2 shown]
	ds_read_b128 v[34:37], v12 offset:608
	buffer_load_dword v158, off, s[0:3], 0 offset:256
	buffer_load_dword v159, off, s[0:3], 0 offset:260
	;; [unrolled: 1-line block ×4, first 2 shown]
	v_cmp_lt_u32_e32 vcc, 20, v0
	s_waitcnt vmcnt(22) lgkmcnt(5)
	v_mul_f32_e32 v2, v14, v10
	v_fmac_f32_e32 v2, v15, v8
	s_waitcnt vmcnt(20)
	v_mul_f32_e32 v3, v16, v38
	v_add_f32_e32 v2, 0, v2
	v_fmac_f32_e32 v3, v17, v13
	v_add_f32_e32 v2, v2, v3
	s_waitcnt vmcnt(18) lgkmcnt(4)
	v_mul_f32_e32 v3, v18, v57
	v_fmac_f32_e32 v3, v19, v56
	v_add_f32_e32 v2, v2, v3
	s_waitcnt vmcnt(16)
	v_mul_f32_e32 v3, v20, v59
	v_fmac_f32_e32 v3, v21, v58
	v_add_f32_e32 v2, v2, v3
	s_waitcnt vmcnt(14) lgkmcnt(3)
	v_mul_f32_e32 v3, v22, v61
	v_fmac_f32_e32 v3, v23, v60
	v_add_f32_e32 v2, v2, v3
	s_waitcnt vmcnt(12)
	v_mul_f32_e32 v3, v24, v63
	;; [unrolled: 8-line block ×4, first 2 shown]
	v_fmac_f32_e32 v3, v33, v156
	v_add_f32_e32 v2, v2, v3
	s_waitcnt vmcnt(2) lgkmcnt(0)
	v_mul_f32_e32 v3, v34, v159
	v_fmac_f32_e32 v3, v35, v158
	v_add_f32_e32 v9, v2, v3
	ds_read_b128 v[2:5], v12 offset:624
	buffer_load_dword v162, off, s[0:3], 0 offset:272
	buffer_load_dword v163, off, s[0:3], 0 offset:276
	;; [unrolled: 1-line block ×18, first 2 shown]
	v_mul_f32_e32 v10, v15, v10
	v_fma_f32 v8, v14, v8, -v10
	v_mul_f32_e32 v10, v17, v38
	v_add_f32_e32 v8, 0, v8
	v_fma_f32 v10, v16, v13, -v10
	v_add_f32_e32 v8, v8, v10
	v_mul_f32_e32 v10, v19, v57
	v_fma_f32 v10, v18, v56, -v10
	v_add_f32_e32 v8, v8, v10
	v_mul_f32_e32 v10, v21, v59
	;; [unrolled: 3-line block ×9, first 2 shown]
	v_fma_f32 v10, v34, v158, -v10
	s_waitcnt vmcnt(18)
	v_mul_f32_e32 v11, v36, v161
	v_add_f32_e32 v8, v8, v10
	v_mul_f32_e32 v10, v37, v161
	v_fmac_f32_e32 v11, v37, v160
	v_fma_f32 v10, v36, v160, -v10
	v_pk_add_f32 v[8:9], v[8:9], v[10:11]
	s_waitcnt vmcnt(15)
	v_mov_b32_e32 v10, v41
	s_waitcnt lgkmcnt(0)
	v_pk_mul_f32 v[10:11], v[4:5], v[10:11] op_sel_hi:[1,0]
	s_waitcnt vmcnt(14)
	v_pk_fma_f32 v[26:27], v[4:5], v[40:41], v[10:11] op_sel:[0,0,1] op_sel_hi:[1,1,0] neg_lo:[0,0,1] neg_hi:[0,0,1]
	v_pk_fma_f32 v[4:5], v[4:5], v[40:41], v[10:11] op_sel:[0,0,1] op_sel_hi:[1,0,0]
	v_mov_b32_e32 v27, v5
	v_mul_f32_e32 v39, v2, v163
	v_fmac_f32_e32 v39, v3, v162
	v_mul_f32_e32 v3, v3, v163
	v_fma_f32 v38, v2, v162, -v3
	ds_read_b128 v[14:17], v12 offset:640
	ds_read_b128 v[18:21], v12 offset:656
	;; [unrolled: 1-line block ×3, first 2 shown]
	ds_read_b64 v[2:3], v12 offset:688
	v_pk_add_f32 v[8:9], v[8:9], v[38:39]
	v_pk_add_f32 v[4:5], v[8:9], v[26:27]
	s_waitcnt vmcnt(13)
	v_mov_b32_e32 v8, v43
	s_waitcnt lgkmcnt(3)
	v_pk_mul_f32 v[8:9], v[14:15], v[8:9] op_sel_hi:[1,0]
	s_waitcnt vmcnt(12)
	v_pk_fma_f32 v[10:11], v[14:15], v[42:43], v[8:9] op_sel:[0,0,1] op_sel_hi:[1,1,0] neg_lo:[0,0,1] neg_hi:[0,0,1]
	v_pk_fma_f32 v[8:9], v[14:15], v[42:43], v[8:9] op_sel:[0,0,1] op_sel_hi:[1,0,0]
	s_waitcnt vmcnt(11)
	v_mov_b32_e32 v8, v45
	v_mov_b32_e32 v11, v9
	v_pk_mul_f32 v[8:9], v[16:17], v[8:9] op_sel_hi:[1,0]
	v_pk_add_f32 v[4:5], v[4:5], v[10:11]
	s_waitcnt vmcnt(10)
	v_pk_fma_f32 v[10:11], v[16:17], v[44:45], v[8:9] op_sel:[0,0,1] op_sel_hi:[1,1,0] neg_lo:[0,0,1] neg_hi:[0,0,1]
	v_pk_fma_f32 v[8:9], v[16:17], v[44:45], v[8:9] op_sel:[0,0,1] op_sel_hi:[1,0,0]
	s_waitcnt vmcnt(9)
	v_mov_b32_e32 v8, v47
	v_mov_b32_e32 v11, v9
	s_waitcnt lgkmcnt(2)
	v_pk_mul_f32 v[8:9], v[18:19], v[8:9] op_sel_hi:[1,0]
	v_pk_add_f32 v[4:5], v[4:5], v[10:11]
	s_waitcnt vmcnt(8)
	v_pk_fma_f32 v[10:11], v[18:19], v[46:47], v[8:9] op_sel:[0,0,1] op_sel_hi:[1,1,0] neg_lo:[0,0,1] neg_hi:[0,0,1]
	v_pk_fma_f32 v[8:9], v[18:19], v[46:47], v[8:9] op_sel:[0,0,1] op_sel_hi:[1,0,0]
	s_waitcnt vmcnt(7)
	v_mov_b32_e32 v8, v49
	v_mov_b32_e32 v11, v9
	v_pk_mul_f32 v[8:9], v[20:21], v[8:9] op_sel_hi:[1,0]
	v_pk_add_f32 v[4:5], v[4:5], v[10:11]
	s_waitcnt vmcnt(6)
	v_pk_fma_f32 v[10:11], v[20:21], v[48:49], v[8:9] op_sel:[0,0,1] op_sel_hi:[1,1,0] neg_lo:[0,0,1] neg_hi:[0,0,1]
	v_pk_fma_f32 v[8:9], v[20:21], v[48:49], v[8:9] op_sel:[0,0,1] op_sel_hi:[1,0,0]
	s_waitcnt vmcnt(5)
	v_mov_b32_e32 v8, v51
	v_mov_b32_e32 v11, v9
	s_waitcnt lgkmcnt(1)
	v_pk_mul_f32 v[8:9], v[22:23], v[8:9] op_sel_hi:[1,0]
	v_pk_add_f32 v[4:5], v[4:5], v[10:11]
	;; [unrolled: 17-line block ×3, first 2 shown]
	s_waitcnt vmcnt(0)
	v_pk_fma_f32 v[10:11], v[2:3], v[54:55], v[8:9] op_sel:[0,0,1] op_sel_hi:[1,1,0] neg_lo:[0,0,1] neg_hi:[0,0,1]
	v_pk_fma_f32 v[2:3], v[2:3], v[54:55], v[8:9] op_sel:[0,0,1] op_sel_hi:[1,0,0]
	v_mov_b32_e32 v11, v3
	v_pk_add_f32 v[2:3], v[4:5], v[10:11]
	v_pk_add_f32 v[2:3], v[6:7], v[2:3] neg_lo:[0,1] neg_hi:[0,1]
	buffer_store_dword v3, off, s[0:3], 0 offset:172
	buffer_store_dword v2, off, s[0:3], 0 offset:168
	s_and_saveexec_b64 s[4:5], vcc
	s_cbranch_execz .LBB106_231
; %bb.230:
	buffer_load_dword v2, off, s[0:3], 0 offset:160
	buffer_load_dword v3, off, s[0:3], 0 offset:164
	s_waitcnt vmcnt(0)
	ds_write_b64 v1, v[2:3]
	buffer_store_dword v12, off, s[0:3], 0 offset:160
	buffer_store_dword v12, off, s[0:3], 0 offset:164
.LBB106_231:
	s_or_b64 exec, exec, s[4:5]
	s_waitcnt lgkmcnt(0)
	; wave barrier
	s_waitcnt lgkmcnt(0)
	buffer_load_dword v10, off, s[0:3], 0 offset:172
	buffer_load_dword v11, off, s[0:3], 0 offset:180
	;; [unrolled: 1-line block ×30, first 2 shown]
	ds_read2_b64 v[2:5], v12 offset0:65 offset1:66
	ds_read2_b64 v[6:9], v12 offset0:67 offset1:68
	;; [unrolled: 1-line block ×6, first 2 shown]
	buffer_load_dword v41, off, s[0:3], 0 offset:284
	buffer_load_dword v40, off, s[0:3], 0 offset:280
	ds_read2_b64 v[30:33], v12 offset0:77 offset1:78
	ds_read2_b64 v[34:37], v12 offset0:79 offset1:80
	buffer_load_dword v43, off, s[0:3], 0 offset:316
	buffer_load_dword v42, off, s[0:3], 0 offset:312
	;; [unrolled: 1-line block ×14, first 2 shown]
	v_cmp_lt_u32_e32 vcc, 19, v0
	s_waitcnt vmcnt(45) lgkmcnt(7)
	v_mul_f32_e32 v59, v2, v10
	s_waitcnt vmcnt(44)
	v_mul_f32_e32 v61, v4, v11
	s_waitcnt vmcnt(43) lgkmcnt(6)
	v_mul_f32_e32 v170, v6, v13
	s_waitcnt vmcnt(42)
	v_mul_f32_e32 v171, v8, v56
	;; [unrolled: 4-line block ×6, first 2 shown]
	s_waitcnt vmcnt(33) lgkmcnt(1)
	v_mul_f32_e32 v57, v30, v154
	s_waitcnt vmcnt(32)
	v_fmac_f32_e32 v59, v3, v155
	v_mul_f32_e32 v3, v3, v10
	v_fma_f32 v2, v2, v155, -v3
	v_mul_f32_e32 v3, v5, v11
	v_add_f32_e32 v2, 0, v2
	s_waitcnt vmcnt(31)
	v_fma_f32 v3, v4, v156, -v3
	v_add_f32_e32 v2, v2, v3
	v_mul_f32_e32 v3, v7, v13
	s_waitcnt vmcnt(30)
	v_fma_f32 v3, v6, v157, -v3
	v_add_f32_e32 v2, v2, v3
	v_mul_f32_e32 v3, v9, v56
	;; [unrolled: 4-line block ×5, first 2 shown]
	s_waitcnt vmcnt(26)
	v_fma_f32 v3, v18, v161, -v3
	v_fmac_f32_e32 v61, v5, v156
	v_add_f32_e32 v59, 0, v59
	v_add_f32_e32 v2, v2, v3
	v_mul_f32_e32 v3, v21, v63
	v_fmac_f32_e32 v170, v7, v157
	v_add_f32_e32 v59, v59, v61
	s_waitcnt vmcnt(25)
	v_fma_f32 v3, v20, v162, -v3
	v_fmac_f32_e32 v171, v9, v158
	v_add_f32_e32 v59, v59, v170
	v_add_f32_e32 v2, v2, v3
	v_mul_f32_e32 v3, v23, v64
	v_fmac_f32_e32 v172, v15, v159
	v_add_f32_e32 v59, v59, v171
	;; [unrolled: 8-line block ×5, first 2 shown]
	s_waitcnt vmcnt(21)
	v_fma_f32 v3, v28, v166, -v3
	s_waitcnt vmcnt(15)
	v_mov_b32_e32 v16, v41
	v_fmac_f32_e32 v179, v29, v166
	v_add_f32_e32 v59, v59, v178
	v_add_f32_e32 v58, v2, v3
	v_mul_f32_e32 v2, v31, v154
	s_waitcnt lgkmcnt(0)
	v_pk_mul_f32 v[16:17], v[34:35], v[16:17] op_sel_hi:[1,0]
	v_fmac_f32_e32 v57, v31, v167
	v_add_f32_e32 v59, v59, v179
	v_mul_f32_e32 v61, v32, v168
	v_fma_f32 v56, v30, v167, -v2
	v_mul_f32_e32 v2, v33, v168
	s_waitcnt vmcnt(14)
	v_pk_fma_f32 v[18:19], v[34:35], v[40:41], v[16:17] op_sel:[0,0,1] op_sel_hi:[1,1,0] neg_lo:[0,0,1] neg_hi:[0,0,1]
	v_pk_fma_f32 v[16:17], v[34:35], v[40:41], v[16:17] op_sel:[0,0,1] op_sel_hi:[1,0,0]
	v_fmac_f32_e32 v61, v33, v169
	v_fma_f32 v60, v32, v169, -v2
	v_pk_add_f32 v[14:15], v[58:59], v[56:57]
	s_waitcnt vmcnt(7)
	v_mov_b32_e32 v16, v49
	ds_read2_b64 v[2:5], v12 offset0:81 offset1:82
	ds_read2_b64 v[6:9], v12 offset0:83 offset1:84
	;; [unrolled: 1-line block ×3, first 2 shown]
	v_pk_add_f32 v[14:15], v[14:15], v[60:61]
	v_mov_b32_e32 v19, v17
	v_pk_mul_f32 v[16:17], v[36:37], v[16:17] op_sel_hi:[1,0]
	v_pk_add_f32 v[14:15], v[14:15], v[18:19]
	s_waitcnt vmcnt(6)
	v_pk_fma_f32 v[18:19], v[36:37], v[48:49], v[16:17] op_sel:[0,0,1] op_sel_hi:[1,1,0] neg_lo:[0,0,1] neg_hi:[0,0,1]
	v_pk_fma_f32 v[16:17], v[36:37], v[48:49], v[16:17] op_sel:[0,0,1] op_sel_hi:[1,0,0]
	v_mov_b32_e32 v16, v47
	v_mov_b32_e32 v19, v17
	s_waitcnt lgkmcnt(2)
	v_pk_mul_f32 v[16:17], v[2:3], v[16:17] op_sel_hi:[1,0]
	v_pk_add_f32 v[14:15], v[14:15], v[18:19]
	v_pk_fma_f32 v[18:19], v[2:3], v[46:47], v[16:17] op_sel:[0,0,1] op_sel_hi:[1,1,0] neg_lo:[0,0,1] neg_hi:[0,0,1]
	v_pk_fma_f32 v[2:3], v[2:3], v[46:47], v[16:17] op_sel:[0,0,1] op_sel_hi:[1,0,0]
	v_mov_b32_e32 v19, v3
	v_pk_add_f32 v[2:3], v[14:15], v[18:19]
	v_mov_b32_e32 v14, v45
	v_pk_mul_f32 v[14:15], v[4:5], v[14:15] op_sel_hi:[1,0]
	v_pk_fma_f32 v[16:17], v[4:5], v[44:45], v[14:15] op_sel:[0,0,1] op_sel_hi:[1,1,0] neg_lo:[0,0,1] neg_hi:[0,0,1]
	v_pk_fma_f32 v[4:5], v[4:5], v[44:45], v[14:15] op_sel:[0,0,1] op_sel_hi:[1,0,0]
	v_mov_b32_e32 v4, v43
	v_mov_b32_e32 v17, v5
	s_waitcnt lgkmcnt(1)
	v_pk_mul_f32 v[4:5], v[6:7], v[4:5] op_sel_hi:[1,0]
	v_pk_fma_f32 v[14:15], v[6:7], v[42:43], v[4:5] op_sel:[0,0,1] op_sel_hi:[1,1,0] neg_lo:[0,0,1] neg_hi:[0,0,1]
	v_pk_fma_f32 v[4:5], v[6:7], v[42:43], v[4:5] op_sel:[0,0,1] op_sel_hi:[1,0,0]
	s_waitcnt vmcnt(1)
	v_mov_b32_e32 v4, v55
	v_mov_b32_e32 v15, v5
	v_pk_mul_f32 v[4:5], v[8:9], v[4:5] op_sel_hi:[1,0]
	s_waitcnt vmcnt(0)
	v_pk_fma_f32 v[6:7], v[8:9], v[54:55], v[4:5] op_sel:[0,0,1] op_sel_hi:[1,1,0] neg_lo:[0,0,1] neg_hi:[0,0,1]
	v_pk_fma_f32 v[4:5], v[8:9], v[54:55], v[4:5] op_sel:[0,0,1] op_sel_hi:[1,0,0]
	v_pk_add_f32 v[2:3], v[2:3], v[16:17]
	v_mov_b32_e32 v4, v53
	v_pk_add_f32 v[2:3], v[2:3], v[14:15]
	v_mov_b32_e32 v7, v5
	s_waitcnt lgkmcnt(0)
	v_pk_mul_f32 v[4:5], v[10:11], v[4:5] op_sel_hi:[1,0]
	v_pk_add_f32 v[2:3], v[2:3], v[6:7]
	v_pk_fma_f32 v[6:7], v[10:11], v[52:53], v[4:5] op_sel:[0,0,1] op_sel_hi:[1,1,0] neg_lo:[0,0,1] neg_hi:[0,0,1]
	v_pk_fma_f32 v[4:5], v[10:11], v[52:53], v[4:5] op_sel:[0,0,1] op_sel_hi:[1,0,0]
	v_mov_b32_e32 v4, v51
	v_mov_b32_e32 v7, v5
	v_pk_mul_f32 v[4:5], v[12:13], v[4:5] op_sel_hi:[1,0]
	v_pk_add_f32 v[2:3], v[2:3], v[6:7]
	v_pk_fma_f32 v[6:7], v[12:13], v[50:51], v[4:5] op_sel:[0,0,1] op_sel_hi:[1,1,0] neg_lo:[0,0,1] neg_hi:[0,0,1]
	v_pk_fma_f32 v[4:5], v[12:13], v[50:51], v[4:5] op_sel:[0,0,1] op_sel_hi:[1,0,0]
	v_mov_b32_e32 v7, v5
	v_pk_add_f32 v[2:3], v[2:3], v[6:7]
	v_pk_add_f32 v[2:3], v[38:39], v[2:3] neg_lo:[0,1] neg_hi:[0,1]
	buffer_store_dword v3, off, s[0:3], 0 offset:164
	buffer_store_dword v2, off, s[0:3], 0 offset:160
	s_and_saveexec_b64 s[4:5], vcc
	s_cbranch_execz .LBB106_233
; %bb.232:
	buffer_load_dword v2, off, s[0:3], 0 offset:152
	buffer_load_dword v3, off, s[0:3], 0 offset:156
	v_mov_b32_e32 v4, 0
	buffer_store_dword v4, off, s[0:3], 0 offset:152
	buffer_store_dword v4, off, s[0:3], 0 offset:156
	s_waitcnt vmcnt(2)
	ds_write_b64 v1, v[2:3]
.LBB106_233:
	s_or_b64 exec, exec, s[4:5]
	s_waitcnt lgkmcnt(0)
	; wave barrier
	s_waitcnt lgkmcnt(0)
	buffer_load_dword v3, off, s[0:3], 0 offset:164
	buffer_load_dword v52, off, s[0:3], 0 offset:172
	;; [unrolled: 1-line block ×32, first 2 shown]
	v_mov_b32_e32 v2, 0
	buffer_load_dword v39, off, s[0:3], 0 offset:308
	buffer_load_dword v38, off, s[0:3], 0 offset:304
	;; [unrolled: 1-line block ×13, first 2 shown]
	ds_read_b128 v[4:7], v2 offset:512
	ds_read_b128 v[8:11], v2 offset:528
	ds_read_b128 v[12:15], v2 offset:544
	ds_read_b128 v[16:19], v2 offset:560
	ds_read_b128 v[20:23], v2 offset:576
	ds_read_b128 v[24:27], v2 offset:592
	ds_read_b128 v[28:31], v2 offset:608
	ds_read_b128 v[32:35], v2 offset:624
	v_cmp_lt_u32_e32 vcc, 18, v0
	s_waitcnt vmcnt(44) lgkmcnt(7)
	v_mul_f32_e32 v46, v4, v3
	s_waitcnt vmcnt(43)
	v_mul_f32_e32 v53, v6, v52
	s_waitcnt vmcnt(42) lgkmcnt(6)
	v_mul_f32_e32 v54, v8, v56
	s_waitcnt vmcnt(41)
	v_mul_f32_e32 v55, v10, v58
	;; [unrolled: 4-line block ×6, first 2 shown]
	s_waitcnt vmcnt(32) lgkmcnt(1)
	v_mul_f32_e32 v178, v28, v154
	s_waitcnt vmcnt(31)
	v_fmac_f32_e32 v46, v5, v155
	s_waitcnt vmcnt(30)
	v_fmac_f32_e32 v53, v7, v156
	v_add_f32_e32 v46, 0, v46
	s_waitcnt vmcnt(29)
	v_fmac_f32_e32 v54, v9, v157
	v_add_f32_e32 v46, v46, v53
	s_waitcnt vmcnt(28)
	v_fmac_f32_e32 v55, v11, v158
	v_add_f32_e32 v46, v46, v54
	s_waitcnt vmcnt(27)
	v_fmac_f32_e32 v57, v13, v159
	v_add_f32_e32 v46, v46, v55
	s_waitcnt vmcnt(26)
	v_fmac_f32_e32 v59, v15, v160
	v_add_f32_e32 v46, v46, v57
	s_waitcnt vmcnt(25)
	v_fmac_f32_e32 v172, v17, v161
	v_add_f32_e32 v46, v46, v59
	s_waitcnt vmcnt(24)
	v_fmac_f32_e32 v173, v19, v162
	v_add_f32_e32 v46, v46, v172
	s_waitcnt vmcnt(23)
	v_fmac_f32_e32 v174, v21, v163
	v_add_f32_e32 v46, v46, v173
	s_waitcnt vmcnt(22)
	v_fmac_f32_e32 v175, v23, v164
	v_add_f32_e32 v46, v46, v174
	s_waitcnt vmcnt(21)
	v_fmac_f32_e32 v176, v25, v165
	v_add_f32_e32 v46, v46, v175
	s_waitcnt vmcnt(20)
	v_fmac_f32_e32 v177, v27, v166
	v_add_f32_e32 v46, v46, v176
	s_waitcnt vmcnt(19)
	v_fmac_f32_e32 v178, v29, v167
	v_add_f32_e32 v46, v46, v177
	v_add_f32_e32 v53, v46, v178
	buffer_load_dword v55, off, s[0:3], 0 offset:324
	buffer_load_dword v54, off, s[0:3], 0 offset:320
	;; [unrolled: 1-line block ×3, first 2 shown]
	v_mul_f32_e32 v3, v5, v3
	v_fma_f32 v3, v4, v155, -v3
	v_mul_f32_e32 v4, v7, v52
	v_add_f32_e32 v3, 0, v3
	v_fma_f32 v4, v6, v156, -v4
	v_add_f32_e32 v3, v3, v4
	v_mul_f32_e32 v4, v9, v56
	v_fma_f32 v4, v8, v157, -v4
	v_add_f32_e32 v3, v3, v4
	v_mul_f32_e32 v4, v11, v58
	;; [unrolled: 3-line block ×11, first 2 shown]
	v_fma_f32 v4, v28, v167, -v4
	s_waitcnt vmcnt(9)
	v_mov_b32_e32 v20, v45
	v_mul_f32_e32 v57, v30, v168
	v_add_f32_e32 v52, v3, v4
	v_mul_f32_e32 v3, v31, v168
	s_waitcnt lgkmcnt(0)
	v_pk_mul_f32 v[20:21], v[34:35], v[20:21] op_sel_hi:[1,0]
	v_fmac_f32_e32 v57, v31, v169
	v_mul_f32_e32 v59, v32, v170
	v_fma_f32 v56, v30, v169, -v3
	v_mul_f32_e32 v3, v33, v170
	ds_read_b128 v[4:7], v2 offset:640
	ds_read_b128 v[8:11], v2 offset:656
	;; [unrolled: 1-line block ×3, first 2 shown]
	ds_read_b64 v[16:17], v2 offset:688
	s_waitcnt vmcnt(8)
	v_pk_fma_f32 v[22:23], v[34:35], v[44:45], v[20:21] op_sel:[0,0,1] op_sel_hi:[1,1,0] neg_lo:[0,0,1] neg_hi:[0,0,1]
	v_pk_fma_f32 v[20:21], v[34:35], v[44:45], v[20:21] op_sel:[0,0,1] op_sel_hi:[1,0,0]
	v_fmac_f32_e32 v59, v33, v171
	v_fma_f32 v58, v32, v171, -v3
	v_pk_add_f32 v[18:19], v[52:53], v[56:57]
	v_mov_b32_e32 v20, v43
	v_pk_add_f32 v[18:19], v[18:19], v[58:59]
	v_mov_b32_e32 v23, v21
	s_waitcnt lgkmcnt(3)
	v_pk_mul_f32 v[20:21], v[4:5], v[20:21] op_sel_hi:[1,0]
	v_pk_add_f32 v[18:19], v[18:19], v[22:23]
	v_pk_fma_f32 v[22:23], v[4:5], v[42:43], v[20:21] op_sel:[0,0,1] op_sel_hi:[1,1,0] neg_lo:[0,0,1] neg_hi:[0,0,1]
	v_pk_fma_f32 v[4:5], v[4:5], v[42:43], v[20:21] op_sel:[0,0,1] op_sel_hi:[1,0,0]
	v_mov_b32_e32 v23, v5
	v_pk_add_f32 v[4:5], v[18:19], v[22:23]
	v_mov_b32_e32 v18, v41
	v_pk_mul_f32 v[18:19], v[6:7], v[18:19] op_sel_hi:[1,0]
	v_pk_fma_f32 v[20:21], v[6:7], v[40:41], v[18:19] op_sel:[0,0,1] op_sel_hi:[1,1,0] neg_lo:[0,0,1] neg_hi:[0,0,1]
	v_pk_fma_f32 v[6:7], v[6:7], v[40:41], v[18:19] op_sel:[0,0,1] op_sel_hi:[1,0,0]
	v_mov_b32_e32 v6, v39
	v_mov_b32_e32 v21, v7
	s_waitcnt lgkmcnt(2)
	v_pk_mul_f32 v[6:7], v[8:9], v[6:7] op_sel_hi:[1,0]
	v_pk_fma_f32 v[18:19], v[8:9], v[38:39], v[6:7] op_sel:[0,0,1] op_sel_hi:[1,1,0] neg_lo:[0,0,1] neg_hi:[0,0,1]
	v_pk_fma_f32 v[6:7], v[8:9], v[38:39], v[6:7] op_sel:[0,0,1] op_sel_hi:[1,0,0]
	s_waitcnt vmcnt(7)
	v_mov_b32_e32 v6, v47
	v_mov_b32_e32 v19, v7
	v_pk_mul_f32 v[6:7], v[10:11], v[6:7] op_sel_hi:[1,0]
	v_pk_add_f32 v[4:5], v[4:5], v[20:21]
	v_pk_add_f32 v[4:5], v[4:5], v[18:19]
	s_waitcnt vmcnt(0)
	v_pk_fma_f32 v[8:9], v[10:11], v[46:47], v[6:7] op_sel:[0,0,1] op_sel_hi:[1,1,0] neg_lo:[0,0,1] neg_hi:[0,0,1]
	v_pk_fma_f32 v[6:7], v[10:11], v[46:47], v[6:7] op_sel:[0,0,1] op_sel_hi:[1,0,0]
	v_mov_b32_e32 v6, v55
	v_mov_b32_e32 v9, v7
	s_waitcnt lgkmcnt(1)
	v_pk_mul_f32 v[6:7], v[12:13], v[6:7] op_sel_hi:[1,0]
	v_pk_add_f32 v[4:5], v[4:5], v[8:9]
	v_pk_fma_f32 v[8:9], v[12:13], v[54:55], v[6:7] op_sel:[0,0,1] op_sel_hi:[1,1,0] neg_lo:[0,0,1] neg_hi:[0,0,1]
	v_pk_fma_f32 v[6:7], v[12:13], v[54:55], v[6:7] op_sel:[0,0,1] op_sel_hi:[1,0,0]
	v_mov_b32_e32 v6, v51
	v_mov_b32_e32 v9, v7
	v_pk_mul_f32 v[6:7], v[14:15], v[6:7] op_sel_hi:[1,0]
	v_pk_add_f32 v[4:5], v[4:5], v[8:9]
	v_pk_fma_f32 v[8:9], v[14:15], v[50:51], v[6:7] op_sel:[0,0,1] op_sel_hi:[1,1,0] neg_lo:[0,0,1] neg_hi:[0,0,1]
	v_pk_fma_f32 v[6:7], v[14:15], v[50:51], v[6:7] op_sel:[0,0,1] op_sel_hi:[1,0,0]
	v_mov_b32_e32 v6, v49
	v_mov_b32_e32 v9, v7
	s_waitcnt lgkmcnt(0)
	v_pk_mul_f32 v[6:7], v[16:17], v[6:7] op_sel_hi:[1,0]
	v_pk_add_f32 v[4:5], v[4:5], v[8:9]
	v_pk_fma_f32 v[8:9], v[16:17], v[48:49], v[6:7] op_sel:[0,0,1] op_sel_hi:[1,1,0] neg_lo:[0,0,1] neg_hi:[0,0,1]
	v_pk_fma_f32 v[6:7], v[16:17], v[48:49], v[6:7] op_sel:[0,0,1] op_sel_hi:[1,0,0]
	v_mov_b32_e32 v9, v7
	v_pk_add_f32 v[4:5], v[4:5], v[8:9]
	v_pk_add_f32 v[4:5], v[36:37], v[4:5] neg_lo:[0,1] neg_hi:[0,1]
	buffer_store_dword v5, off, s[0:3], 0 offset:156
	buffer_store_dword v4, off, s[0:3], 0 offset:152
	s_and_saveexec_b64 s[4:5], vcc
	s_cbranch_execz .LBB106_235
; %bb.234:
	buffer_load_dword v4, off, s[0:3], 0 offset:144
	buffer_load_dword v5, off, s[0:3], 0 offset:148
	s_waitcnt vmcnt(0)
	ds_write_b64 v1, v[4:5]
	buffer_store_dword v2, off, s[0:3], 0 offset:144
	buffer_store_dword v2, off, s[0:3], 0 offset:148
.LBB106_235:
	s_or_b64 exec, exec, s[4:5]
	s_waitcnt lgkmcnt(0)
	; wave barrier
	s_waitcnt lgkmcnt(0)
	buffer_load_dword v3, off, s[0:3], 0 offset:156
	buffer_load_dword v52, off, s[0:3], 0 offset:164
	;; [unrolled: 1-line block ×34, first 2 shown]
	ds_read2_b64 v[4:7], v2 offset0:63 offset1:64
	ds_read2_b64 v[8:11], v2 offset0:65 offset1:66
	;; [unrolled: 1-line block ×8, first 2 shown]
	buffer_load_dword v39, off, s[0:3], 0 offset:300
	buffer_load_dword v38, off, s[0:3], 0 offset:296
	buffer_load_dword v41, off, s[0:3], 0 offset:292
	buffer_load_dword v40, off, s[0:3], 0 offset:288
	buffer_load_dword v43, off, s[0:3], 0 offset:284
	buffer_load_dword v42, off, s[0:3], 0 offset:280
	buffer_load_dword v45, off, s[0:3], 0 offset:308
	buffer_load_dword v47, off, s[0:3], 0 offset:332
	buffer_load_dword v46, off, s[0:3], 0 offset:328
	v_cmp_lt_u32_e32 vcc, 17, v0
	s_waitcnt vmcnt(42) lgkmcnt(7)
	v_mul_f32_e32 v44, v4, v3
	s_waitcnt vmcnt(41)
	v_mul_f32_e32 v48, v6, v52
	s_waitcnt vmcnt(40) lgkmcnt(6)
	v_mul_f32_e32 v49, v8, v54
	s_waitcnt vmcnt(39)
	v_mul_f32_e32 v50, v10, v56
	;; [unrolled: 4-line block ×6, first 2 shown]
	s_waitcnt vmcnt(30) lgkmcnt(1)
	v_mul_f32_e32 v176, v28, v154
	v_mul_f32_e32 v3, v5, v3
	s_waitcnt vmcnt(28)
	v_fmac_f32_e32 v44, v5, v156
	s_waitcnt vmcnt(27)
	v_fmac_f32_e32 v48, v7, v157
	v_add_f32_e32 v44, 0, v44
	s_waitcnt vmcnt(26)
	v_fmac_f32_e32 v49, v9, v158
	v_add_f32_e32 v44, v44, v48
	;; [unrolled: 3-line block ×12, first 2 shown]
	v_add_f32_e32 v53, v44, v176
	buffer_load_dword v49, off, s[0:3], 0 offset:324
	buffer_load_dword v48, off, s[0:3], 0 offset:320
	;; [unrolled: 1-line block ×7, first 2 shown]
	v_fma_f32 v3, v4, v156, -v3
	v_mul_f32_e32 v4, v7, v52
	v_add_f32_e32 v3, 0, v3
	v_fma_f32 v4, v6, v157, -v4
	v_add_f32_e32 v3, v3, v4
	v_mul_f32_e32 v4, v9, v54
	v_fma_f32 v4, v8, v158, -v4
	v_add_f32_e32 v3, v3, v4
	v_mul_f32_e32 v4, v11, v56
	;; [unrolled: 3-line block ×12, first 2 shown]
	s_waitcnt vmcnt(22)
	v_fma_f32 v4, v30, v169, -v4
	v_add_f32_e32 v52, v3, v4
	ds_read2_b64 v[4:7], v2 offset0:79 offset1:80
	ds_read2_b64 v[8:11], v2 offset0:81 offset1:82
	;; [unrolled: 1-line block ×4, first 2 shown]
	s_waitcnt vmcnt(11)
	v_mov_b32_e32 v20, v43
	s_waitcnt lgkmcnt(3)
	v_pk_mul_f32 v[20:21], v[4:5], v[20:21] op_sel_hi:[1,0]
	s_waitcnt vmcnt(10)
	v_pk_fma_f32 v[22:23], v[4:5], v[42:43], v[20:21] op_sel:[0,0,1] op_sel_hi:[1,1,0] neg_lo:[0,0,1] neg_hi:[0,0,1]
	v_pk_fma_f32 v[4:5], v[4:5], v[42:43], v[20:21] op_sel:[0,0,1] op_sel_hi:[1,0,0]
	v_mov_b32_e32 v4, v41
	v_mul_f32_e32 v177, v30, v155
	v_mov_b32_e32 v23, v5
	v_pk_mul_f32 v[4:5], v[6:7], v[4:5] op_sel_hi:[1,0]
	v_fmac_f32_e32 v177, v31, v169
	v_mul_f32_e32 v55, v32, v170
	v_mul_f32_e32 v3, v33, v170
	v_pk_fma_f32 v[20:21], v[6:7], v[40:41], v[4:5] op_sel:[0,0,1] op_sel_hi:[1,1,0] neg_lo:[0,0,1] neg_hi:[0,0,1]
	v_pk_fma_f32 v[4:5], v[6:7], v[40:41], v[4:5] op_sel:[0,0,1] op_sel_hi:[1,0,0]
	v_add_f32_e32 v53, v53, v177
	v_fmac_f32_e32 v55, v33, v171
	v_mul_f32_e32 v57, v34, v172
	v_fma_f32 v54, v32, v171, -v3
	v_mul_f32_e32 v3, v35, v172
	v_mov_b32_e32 v4, v39
	v_fmac_f32_e32 v57, v35, v173
	v_fma_f32 v56, v34, v173, -v3
	v_pk_add_f32 v[2:3], v[52:53], v[54:55]
	v_mov_b32_e32 v21, v5
	s_waitcnt lgkmcnt(2)
	v_pk_mul_f32 v[4:5], v[8:9], v[4:5] op_sel_hi:[1,0]
	v_pk_add_f32 v[2:3], v[2:3], v[56:57]
	v_pk_fma_f32 v[6:7], v[8:9], v[38:39], v[4:5] op_sel:[0,0,1] op_sel_hi:[1,1,0] neg_lo:[0,0,1] neg_hi:[0,0,1]
	v_pk_fma_f32 v[4:5], v[8:9], v[38:39], v[4:5] op_sel:[0,0,1] op_sel_hi:[1,0,0]
	v_pk_add_f32 v[2:3], v[2:3], v[22:23]
	s_waitcnt vmcnt(9)
	v_mov_b32_e32 v4, v45
	v_pk_add_f32 v[2:3], v[2:3], v[20:21]
	v_mov_b32_e32 v7, v5
	v_pk_mul_f32 v[4:5], v[10:11], v[4:5] op_sel_hi:[1,0]
	v_pk_add_f32 v[2:3], v[2:3], v[6:7]
	s_waitcnt vmcnt(2)
	v_pk_fma_f32 v[6:7], v[10:11], v[44:45], v[4:5] op_sel:[0,0,1] op_sel_hi:[1,1,0] neg_lo:[0,0,1] neg_hi:[0,0,1]
	v_pk_fma_f32 v[4:5], v[10:11], v[44:45], v[4:5] op_sel:[0,0,1] op_sel_hi:[1,0,0]
	v_mov_b32_e32 v4, v51
	v_mov_b32_e32 v7, v5
	s_waitcnt lgkmcnt(1)
	v_pk_mul_f32 v[4:5], v[12:13], v[4:5] op_sel_hi:[1,0]
	v_pk_add_f32 v[2:3], v[2:3], v[6:7]
	v_pk_fma_f32 v[6:7], v[12:13], v[50:51], v[4:5] op_sel:[0,0,1] op_sel_hi:[1,1,0] neg_lo:[0,0,1] neg_hi:[0,0,1]
	v_pk_fma_f32 v[4:5], v[12:13], v[50:51], v[4:5] op_sel:[0,0,1] op_sel_hi:[1,0,0]
	v_mov_b32_e32 v4, v49
	v_mov_b32_e32 v7, v5
	v_pk_mul_f32 v[4:5], v[14:15], v[4:5] op_sel_hi:[1,0]
	v_pk_add_f32 v[2:3], v[2:3], v[6:7]
	v_pk_fma_f32 v[6:7], v[14:15], v[48:49], v[4:5] op_sel:[0,0,1] op_sel_hi:[1,1,0] neg_lo:[0,0,1] neg_hi:[0,0,1]
	v_pk_fma_f32 v[4:5], v[14:15], v[48:49], v[4:5] op_sel:[0,0,1] op_sel_hi:[1,0,0]
	v_mov_b32_e32 v4, v47
	v_mov_b32_e32 v7, v5
	s_waitcnt lgkmcnt(0)
	v_pk_mul_f32 v[4:5], v[16:17], v[4:5] op_sel_hi:[1,0]
	v_pk_add_f32 v[2:3], v[2:3], v[6:7]
	v_pk_fma_f32 v[6:7], v[16:17], v[46:47], v[4:5] op_sel:[0,0,1] op_sel_hi:[1,1,0] neg_lo:[0,0,1] neg_hi:[0,0,1]
	v_pk_fma_f32 v[4:5], v[16:17], v[46:47], v[4:5] op_sel:[0,0,1] op_sel_hi:[1,0,0]
	s_waitcnt vmcnt(1)
	v_mov_b32_e32 v4, v59
	v_mov_b32_e32 v7, v5
	v_pk_mul_f32 v[4:5], v[18:19], v[4:5] op_sel_hi:[1,0]
	v_pk_add_f32 v[2:3], v[2:3], v[6:7]
	s_waitcnt vmcnt(0)
	v_pk_fma_f32 v[6:7], v[18:19], v[58:59], v[4:5] op_sel:[0,0,1] op_sel_hi:[1,1,0] neg_lo:[0,0,1] neg_hi:[0,0,1]
	v_pk_fma_f32 v[4:5], v[18:19], v[58:59], v[4:5] op_sel:[0,0,1] op_sel_hi:[1,0,0]
	v_mov_b32_e32 v7, v5
	v_pk_add_f32 v[2:3], v[2:3], v[6:7]
	v_pk_add_f32 v[2:3], v[36:37], v[2:3] neg_lo:[0,1] neg_hi:[0,1]
	buffer_store_dword v3, off, s[0:3], 0 offset:148
	buffer_store_dword v2, off, s[0:3], 0 offset:144
	s_and_saveexec_b64 s[4:5], vcc
	s_cbranch_execz .LBB106_237
; %bb.236:
	buffer_load_dword v2, off, s[0:3], 0 offset:136
	buffer_load_dword v3, off, s[0:3], 0 offset:140
	v_mov_b32_e32 v4, 0
	buffer_store_dword v4, off, s[0:3], 0 offset:136
	buffer_store_dword v4, off, s[0:3], 0 offset:140
	s_waitcnt vmcnt(2)
	ds_write_b64 v1, v[2:3]
.LBB106_237:
	s_or_b64 exec, exec, s[4:5]
	s_waitcnt lgkmcnt(0)
	; wave barrier
	s_waitcnt lgkmcnt(0)
	buffer_load_dword v5, off, s[0:3], 0 offset:148
	buffer_load_dword v58, off, s[0:3], 0 offset:156
	;; [unrolled: 1-line block ×36, first 2 shown]
	v_mov_b32_e32 v4, 0
	buffer_load_dword v47, off, s[0:3], 0 offset:292
	buffer_load_dword v46, off, s[0:3], 0 offset:288
	;; [unrolled: 1-line block ×5, first 2 shown]
	ds_read_b128 v[6:9], v4 offset:496
	ds_read_b128 v[10:13], v4 offset:512
	;; [unrolled: 1-line block ×8, first 2 shown]
	v_cmp_lt_u32_e32 vcc, 16, v0
	s_waitcnt vmcnt(40) lgkmcnt(7)
	v_mul_f32_e32 v38, v6, v5
	s_waitcnt vmcnt(39)
	v_mul_f32_e32 v39, v8, v58
	s_waitcnt vmcnt(38) lgkmcnt(6)
	v_mul_f32_e32 v40, v10, v60
	s_waitcnt vmcnt(37)
	v_mul_f32_e32 v41, v12, v62
	;; [unrolled: 4-line block ×7, first 2 shown]
	s_waitcnt vmcnt(26) lgkmcnt(0)
	v_mul_f32_e32 v59, v34, v164
	s_waitcnt vmcnt(25)
	v_fmac_f32_e32 v38, v7, v165
	s_waitcnt vmcnt(24)
	v_fmac_f32_e32 v39, v9, v166
	v_add_f32_e32 v38, 0, v38
	s_waitcnt vmcnt(23)
	v_fmac_f32_e32 v40, v11, v167
	v_add_f32_e32 v38, v38, v39
	;; [unrolled: 3-line block ×13, first 2 shown]
	v_add_f32_e32 v42, v38, v56
	buffer_load_dword v53, off, s[0:3], 0 offset:324
	buffer_load_dword v52, off, s[0:3], 0 offset:320
	;; [unrolled: 1-line block ×7, first 2 shown]
	s_waitcnt vmcnt(18)
	v_fmac_f32_e32 v59, v35, v179
	ds_read_b128 v[38:41], v4 offset:624
	v_add_f32_e32 v59, v42, v59
	ds_read_b128 v[42:45], v4 offset:640
	buffer_load_dword v65, off, s[0:3], 0 offset:340
	buffer_load_dword v64, off, s[0:3], 0 offset:336
	;; [unrolled: 1-line block ×4, first 2 shown]
	v_mul_f32_e32 v5, v7, v5
	v_fma_f32 v5, v6, v165, -v5
	v_mul_f32_e32 v6, v9, v58
	v_add_f32_e32 v5, 0, v5
	v_fma_f32 v6, v8, v166, -v6
	v_add_f32_e32 v5, v5, v6
	v_mul_f32_e32 v6, v11, v60
	v_fma_f32 v6, v10, v167, -v6
	v_add_f32_e32 v5, v5, v6
	v_mul_f32_e32 v6, v13, v62
	;; [unrolled: 3-line block ×13, first 2 shown]
	v_fma_f32 v6, v34, v179, -v6
	s_waitcnt vmcnt(13)
	v_mov_b32_e32 v18, v49
	v_mul_f32_e32 v61, v36, v180
	v_add_f32_e32 v58, v5, v6
	v_mul_f32_e32 v5, v37, v180
	s_waitcnt lgkmcnt(1)
	v_pk_mul_f32 v[18:19], v[40:41], v[18:19] op_sel_hi:[1,0]
	v_fmac_f32_e32 v61, v37, v181
	v_mul_f32_e32 v63, v38, v182
	v_fma_f32 v60, v36, v181, -v5
	v_mul_f32_e32 v5, v39, v182
	s_waitcnt vmcnt(12)
	v_pk_fma_f32 v[20:21], v[40:41], v[48:49], v[18:19] op_sel:[0,0,1] op_sel_hi:[1,1,0] neg_lo:[0,0,1] neg_hi:[0,0,1]
	v_pk_fma_f32 v[18:19], v[40:41], v[48:49], v[18:19] op_sel:[0,0,1] op_sel_hi:[1,0,0]
	v_fmac_f32_e32 v63, v39, v183
	v_fma_f32 v62, v38, v183, -v5
	v_pk_add_f32 v[16:17], v[58:59], v[60:61]
	v_mov_b32_e32 v18, v47
	v_pk_add_f32 v[16:17], v[16:17], v[62:63]
	v_mov_b32_e32 v21, v19
	s_waitcnt lgkmcnt(0)
	v_pk_mul_f32 v[18:19], v[42:43], v[18:19] op_sel_hi:[1,0]
	v_pk_add_f32 v[16:17], v[16:17], v[20:21]
	v_pk_fma_f32 v[20:21], v[42:43], v[46:47], v[18:19] op_sel:[0,0,1] op_sel_hi:[1,1,0] neg_lo:[0,0,1] neg_hi:[0,0,1]
	v_pk_fma_f32 v[18:19], v[42:43], v[46:47], v[18:19] op_sel:[0,0,1] op_sel_hi:[1,0,0]
	s_waitcnt vmcnt(11)
	v_mov_b32_e32 v18, v51
	ds_read_b128 v[6:9], v4 offset:656
	ds_read_b128 v[10:13], v4 offset:672
	ds_read_b64 v[14:15], v4 offset:688
	v_mov_b32_e32 v21, v19
	v_pk_mul_f32 v[18:19], v[44:45], v[18:19] op_sel_hi:[1,0]
	v_pk_add_f32 v[16:17], v[16:17], v[20:21]
	s_waitcnt vmcnt(4)
	v_pk_fma_f32 v[20:21], v[44:45], v[50:51], v[18:19] op_sel:[0,0,1] op_sel_hi:[1,1,0] neg_lo:[0,0,1] neg_hi:[0,0,1]
	v_pk_fma_f32 v[18:19], v[44:45], v[50:51], v[18:19] op_sel:[0,0,1] op_sel_hi:[1,0,0]
	v_mov_b32_e32 v18, v57
	v_mov_b32_e32 v21, v19
	s_waitcnt lgkmcnt(2)
	v_pk_mul_f32 v[18:19], v[6:7], v[18:19] op_sel_hi:[1,0]
	v_pk_add_f32 v[16:17], v[16:17], v[20:21]
	v_pk_fma_f32 v[20:21], v[6:7], v[56:57], v[18:19] op_sel:[0,0,1] op_sel_hi:[1,1,0] neg_lo:[0,0,1] neg_hi:[0,0,1]
	v_pk_fma_f32 v[6:7], v[6:7], v[56:57], v[18:19] op_sel:[0,0,1] op_sel_hi:[1,0,0]
	v_mov_b32_e32 v21, v7
	v_pk_add_f32 v[6:7], v[16:17], v[20:21]
	v_mov_b32_e32 v16, v55
	v_pk_mul_f32 v[16:17], v[8:9], v[16:17] op_sel_hi:[1,0]
	v_pk_fma_f32 v[18:19], v[8:9], v[54:55], v[16:17] op_sel:[0,0,1] op_sel_hi:[1,1,0] neg_lo:[0,0,1] neg_hi:[0,0,1]
	v_pk_fma_f32 v[8:9], v[8:9], v[54:55], v[16:17] op_sel:[0,0,1] op_sel_hi:[1,0,0]
	v_mov_b32_e32 v8, v53
	v_mov_b32_e32 v19, v9
	s_waitcnt lgkmcnt(1)
	v_pk_mul_f32 v[8:9], v[10:11], v[8:9] op_sel_hi:[1,0]
	v_pk_fma_f32 v[16:17], v[10:11], v[52:53], v[8:9] op_sel:[0,0,1] op_sel_hi:[1,1,0] neg_lo:[0,0,1] neg_hi:[0,0,1]
	v_pk_fma_f32 v[8:9], v[10:11], v[52:53], v[8:9] op_sel:[0,0,1] op_sel_hi:[1,0,0]
	s_waitcnt vmcnt(1)
	v_mov_b32_e32 v8, v153
	v_mov_b32_e32 v17, v9
	v_pk_mul_f32 v[8:9], v[12:13], v[8:9] op_sel_hi:[1,0]
	s_waitcnt vmcnt(0)
	v_pk_fma_f32 v[10:11], v[12:13], v[152:153], v[8:9] op_sel:[0,0,1] op_sel_hi:[1,1,0] neg_lo:[0,0,1] neg_hi:[0,0,1]
	v_pk_fma_f32 v[8:9], v[12:13], v[152:153], v[8:9] op_sel:[0,0,1] op_sel_hi:[1,0,0]
	v_pk_add_f32 v[6:7], v[6:7], v[18:19]
	v_mov_b32_e32 v8, v65
	v_pk_add_f32 v[6:7], v[6:7], v[16:17]
	v_mov_b32_e32 v11, v9
	s_waitcnt lgkmcnt(0)
	v_pk_mul_f32 v[8:9], v[14:15], v[8:9] op_sel_hi:[1,0]
	v_pk_add_f32 v[6:7], v[6:7], v[10:11]
	v_pk_fma_f32 v[10:11], v[14:15], v[64:65], v[8:9] op_sel:[0,0,1] op_sel_hi:[1,1,0] neg_lo:[0,0,1] neg_hi:[0,0,1]
	v_pk_fma_f32 v[8:9], v[14:15], v[64:65], v[8:9] op_sel:[0,0,1] op_sel_hi:[1,0,0]
	v_mov_b32_e32 v11, v9
	v_pk_add_f32 v[6:7], v[6:7], v[10:11]
	v_pk_add_f32 v[2:3], v[2:3], v[6:7] neg_lo:[0,1] neg_hi:[0,1]
	buffer_store_dword v3, off, s[0:3], 0 offset:140
	buffer_store_dword v2, off, s[0:3], 0 offset:136
	s_and_saveexec_b64 s[4:5], vcc
	s_cbranch_execz .LBB106_239
; %bb.238:
	buffer_load_dword v2, off, s[0:3], 0 offset:128
	buffer_load_dword v3, off, s[0:3], 0 offset:132
	s_waitcnt vmcnt(0)
	ds_write_b64 v1, v[2:3]
	buffer_store_dword v4, off, s[0:3], 0 offset:128
	buffer_store_dword v4, off, s[0:3], 0 offset:132
.LBB106_239:
	s_or_b64 exec, exec, s[4:5]
	s_waitcnt lgkmcnt(0)
	; wave barrier
	s_waitcnt lgkmcnt(0)
	buffer_load_dword v2, off, s[0:3], 0 offset:140
	buffer_load_dword v3, off, s[0:3], 0 offset:148
	;; [unrolled: 1-line block ×38, first 2 shown]
	ds_read2_b64 v[6:9], v4 offset0:61 offset1:62
	ds_read2_b64 v[10:13], v4 offset0:63 offset1:64
	;; [unrolled: 1-line block ×8, first 2 shown]
	buffer_load_dword v49, off, s[0:3], 0 offset:284
	buffer_load_dword v48, off, s[0:3], 0 offset:280
	;; [unrolled: 1-line block ×4, first 2 shown]
	v_cmp_lt_u32_e32 vcc, 15, v0
	s_waitcnt vmcnt(41) lgkmcnt(7)
	v_mul_f32_e32 v38, v6, v2
	s_waitcnt vmcnt(40)
	v_mul_f32_e32 v39, v8, v3
	s_waitcnt vmcnt(39) lgkmcnt(6)
	v_mul_f32_e32 v40, v10, v5
	s_waitcnt vmcnt(38)
	v_mul_f32_e32 v41, v12, v58
	s_waitcnt vmcnt(37) lgkmcnt(5)
	v_mul_f32_e32 v42, v14, v60
	s_waitcnt vmcnt(36)
	v_mul_f32_e32 v43, v16, v62
	s_waitcnt vmcnt(35) lgkmcnt(4)
	v_mul_f32_e32 v44, v18, v156
	s_waitcnt vmcnt(34)
	v_mul_f32_e32 v45, v20, v157
	s_waitcnt vmcnt(33) lgkmcnt(3)
	v_mul_f32_e32 v52, v22, v158
	s_waitcnt vmcnt(32)
	v_mul_f32_e32 v53, v24, v159
	s_waitcnt vmcnt(31) lgkmcnt(2)
	v_mul_f32_e32 v54, v26, v160
	s_waitcnt vmcnt(30)
	v_mul_f32_e32 v55, v28, v161
	s_waitcnt vmcnt(29) lgkmcnt(1)
	v_mul_f32_e32 v56, v30, v162
	s_waitcnt vmcnt(28)
	v_mul_f32_e32 v57, v32, v163
	s_waitcnt vmcnt(27) lgkmcnt(0)
	v_mul_f32_e32 v59, v34, v164
	s_waitcnt vmcnt(26)
	v_fmac_f32_e32 v38, v7, v165
	s_waitcnt vmcnt(25)
	v_fmac_f32_e32 v39, v9, v166
	v_add_f32_e32 v38, 0, v38
	s_waitcnt vmcnt(24)
	v_fmac_f32_e32 v40, v11, v167
	v_add_f32_e32 v38, v38, v39
	;; [unrolled: 3-line block ×13, first 2 shown]
	v_add_f32_e32 v38, v38, v57
	buffer_load_dword v53, off, s[0:3], 0 offset:308
	buffer_load_dword v52, off, s[0:3], 0 offset:304
	;; [unrolled: 1-line block ×6, first 2 shown]
	s_waitcnt vmcnt(18)
	v_fmac_f32_e32 v59, v35, v179
	s_waitcnt vmcnt(17)
	v_mul_f32_e32 v43, v36, v180
	v_add_f32_e32 v42, v38, v59
	s_waitcnt vmcnt(16)
	v_fmac_f32_e32 v43, v37, v181
	ds_read2_b64 v[38:41], v4 offset0:77 offset1:78
	v_add_f32_e32 v59, v42, v43
	ds_read2_b64 v[42:45], v4 offset0:79 offset1:80
	buffer_load_dword v65, off, s[0:3], 0 offset:340
	buffer_load_dword v64, off, s[0:3], 0 offset:336
	;; [unrolled: 1-line block ×6, first 2 shown]
	v_mul_f32_e32 v2, v7, v2
	v_fma_f32 v2, v6, v165, -v2
	v_mul_f32_e32 v3, v9, v3
	v_add_f32_e32 v2, 0, v2
	v_fma_f32 v3, v8, v166, -v3
	v_add_f32_e32 v2, v2, v3
	v_mul_f32_e32 v3, v11, v5
	v_fma_f32 v3, v10, v167, -v3
	v_add_f32_e32 v2, v2, v3
	v_mul_f32_e32 v3, v13, v58
	;; [unrolled: 3-line block ×14, first 2 shown]
	v_fma_f32 v3, v36, v181, -v3
	s_waitcnt vmcnt(15)
	v_mov_b32_e32 v16, v49
	s_waitcnt lgkmcnt(1)
	v_mul_f32_e32 v61, v38, v182
	v_add_f32_e32 v58, v2, v3
	v_mul_f32_e32 v2, v39, v182
	s_waitcnt lgkmcnt(0)
	v_pk_mul_f32 v[16:17], v[42:43], v[16:17] op_sel_hi:[1,0]
	v_fmac_f32_e32 v61, v39, v183
	v_mul_f32_e32 v63, v40, v184
	v_fma_f32 v60, v38, v183, -v2
	v_mul_f32_e32 v2, v41, v184
	s_waitcnt vmcnt(14)
	v_pk_fma_f32 v[18:19], v[42:43], v[48:49], v[16:17] op_sel:[0,0,1] op_sel_hi:[1,1,0] neg_lo:[0,0,1] neg_hi:[0,0,1]
	v_pk_fma_f32 v[16:17], v[42:43], v[48:49], v[16:17] op_sel:[0,0,1] op_sel_hi:[1,0,0]
	v_fmac_f32_e32 v63, v41, v185
	v_fma_f32 v62, v40, v185, -v2
	v_pk_add_f32 v[14:15], v[58:59], v[60:61]
	ds_read2_b64 v[6:9], v4 offset0:81 offset1:82
	ds_read2_b64 v[10:13], v4 offset0:83 offset1:84
	;; [unrolled: 1-line block ×3, first 2 shown]
	v_pk_add_f32 v[14:15], v[14:15], v[62:63]
	v_mov_b32_e32 v19, v17
	v_pk_add_f32 v[14:15], v[14:15], v[18:19]
	s_waitcnt vmcnt(7)
	v_mov_b32_e32 v16, v57
	v_pk_mul_f32 v[16:17], v[44:45], v[16:17] op_sel_hi:[1,0]
	s_waitcnt vmcnt(6)
	v_pk_fma_f32 v[18:19], v[44:45], v[56:57], v[16:17] op_sel:[0,0,1] op_sel_hi:[1,1,0] neg_lo:[0,0,1] neg_hi:[0,0,1]
	v_pk_fma_f32 v[16:17], v[44:45], v[56:57], v[16:17] op_sel:[0,0,1] op_sel_hi:[1,0,0]
	v_mov_b32_e32 v16, v55
	v_mov_b32_e32 v19, v17
	s_waitcnt lgkmcnt(2)
	v_pk_mul_f32 v[16:17], v[6:7], v[16:17] op_sel_hi:[1,0]
	v_pk_add_f32 v[14:15], v[14:15], v[18:19]
	v_pk_fma_f32 v[18:19], v[6:7], v[54:55], v[16:17] op_sel:[0,0,1] op_sel_hi:[1,1,0] neg_lo:[0,0,1] neg_hi:[0,0,1]
	v_pk_fma_f32 v[6:7], v[6:7], v[54:55], v[16:17] op_sel:[0,0,1] op_sel_hi:[1,0,0]
	v_mov_b32_e32 v19, v7
	v_pk_add_f32 v[6:7], v[14:15], v[18:19]
	v_mov_b32_e32 v14, v53
	v_pk_mul_f32 v[14:15], v[8:9], v[14:15] op_sel_hi:[1,0]
	v_pk_fma_f32 v[16:17], v[8:9], v[52:53], v[14:15] op_sel:[0,0,1] op_sel_hi:[1,1,0] neg_lo:[0,0,1] neg_hi:[0,0,1]
	v_pk_fma_f32 v[8:9], v[8:9], v[52:53], v[14:15] op_sel:[0,0,1] op_sel_hi:[1,0,0]
	v_mov_b32_e32 v8, v51
	v_mov_b32_e32 v17, v9
	s_waitcnt lgkmcnt(1)
	v_pk_mul_f32 v[8:9], v[10:11], v[8:9] op_sel_hi:[1,0]
	v_pk_fma_f32 v[14:15], v[10:11], v[50:51], v[8:9] op_sel:[0,0,1] op_sel_hi:[1,1,0] neg_lo:[0,0,1] neg_hi:[0,0,1]
	v_pk_fma_f32 v[8:9], v[10:11], v[50:51], v[8:9] op_sel:[0,0,1] op_sel_hi:[1,0,0]
	s_waitcnt vmcnt(1)
	v_mov_b32_e32 v8, v155
	v_mov_b32_e32 v15, v9
	v_pk_mul_f32 v[8:9], v[12:13], v[8:9] op_sel_hi:[1,0]
	s_waitcnt vmcnt(0)
	v_pk_fma_f32 v[10:11], v[12:13], v[154:155], v[8:9] op_sel:[0,0,1] op_sel_hi:[1,1,0] neg_lo:[0,0,1] neg_hi:[0,0,1]
	v_pk_fma_f32 v[8:9], v[12:13], v[154:155], v[8:9] op_sel:[0,0,1] op_sel_hi:[1,0,0]
	v_pk_add_f32 v[6:7], v[6:7], v[16:17]
	v_mov_b32_e32 v8, v153
	v_pk_add_f32 v[6:7], v[6:7], v[14:15]
	v_mov_b32_e32 v11, v9
	s_waitcnt lgkmcnt(0)
	v_pk_mul_f32 v[8:9], v[2:3], v[8:9] op_sel_hi:[1,0]
	v_pk_add_f32 v[6:7], v[6:7], v[10:11]
	v_pk_fma_f32 v[10:11], v[2:3], v[152:153], v[8:9] op_sel:[0,0,1] op_sel_hi:[1,1,0] neg_lo:[0,0,1] neg_hi:[0,0,1]
	v_pk_fma_f32 v[2:3], v[2:3], v[152:153], v[8:9] op_sel:[0,0,1] op_sel_hi:[1,0,0]
	v_mov_b32_e32 v11, v3
	v_pk_add_f32 v[2:3], v[6:7], v[10:11]
	v_mov_b32_e32 v6, v65
	v_pk_mul_f32 v[6:7], v[4:5], v[6:7] op_sel_hi:[1,0]
	v_pk_fma_f32 v[8:9], v[4:5], v[64:65], v[6:7] op_sel:[0,0,1] op_sel_hi:[1,1,0] neg_lo:[0,0,1] neg_hi:[0,0,1]
	v_pk_fma_f32 v[4:5], v[4:5], v[64:65], v[6:7] op_sel:[0,0,1] op_sel_hi:[1,0,0]
	v_mov_b32_e32 v9, v5
	v_pk_add_f32 v[2:3], v[2:3], v[8:9]
	v_pk_add_f32 v[2:3], v[46:47], v[2:3] neg_lo:[0,1] neg_hi:[0,1]
	buffer_store_dword v3, off, s[0:3], 0 offset:132
	buffer_store_dword v2, off, s[0:3], 0 offset:128
	s_and_saveexec_b64 s[4:5], vcc
	s_cbranch_execz .LBB106_241
; %bb.240:
	buffer_load_dword v2, off, s[0:3], 0 offset:120
	buffer_load_dword v3, off, s[0:3], 0 offset:124
	v_mov_b32_e32 v4, 0
	buffer_store_dword v4, off, s[0:3], 0 offset:120
	buffer_store_dword v4, off, s[0:3], 0 offset:124
	s_waitcnt vmcnt(2)
	ds_write_b64 v1, v[2:3]
.LBB106_241:
	s_or_b64 exec, exec, s[4:5]
	s_waitcnt lgkmcnt(0)
	; wave barrier
	s_waitcnt lgkmcnt(0)
	buffer_load_dword v5, off, s[0:3], 0 offset:132
	buffer_load_dword v54, off, s[0:3], 0 offset:140
	;; [unrolled: 1-line block ×40, first 2 shown]
	v_mov_b32_e32 v4, 0
	ds_read_b128 v[6:9], v4 offset:480
	ds_read_b128 v[10:13], v4 offset:496
	;; [unrolled: 1-line block ×8, first 2 shown]
	v_cmp_lt_u32_e32 vcc, 14, v0
	s_waitcnt vmcnt(39) lgkmcnt(7)
	v_mul_f32_e32 v38, v6, v5
	s_waitcnt vmcnt(38)
	v_mul_f32_e32 v39, v8, v54
	s_waitcnt vmcnt(37) lgkmcnt(6)
	v_mul_f32_e32 v40, v10, v56
	s_waitcnt vmcnt(36)
	v_mul_f32_e32 v41, v12, v58
	;; [unrolled: 4-line block ×8, first 2 shown]
	s_waitcnt vmcnt(23)
	v_fmac_f32_e32 v38, v7, v166
	s_waitcnt vmcnt(22)
	v_fmac_f32_e32 v39, v9, v167
	v_add_f32_e32 v38, 0, v38
	s_waitcnt vmcnt(21)
	v_fmac_f32_e32 v40, v11, v168
	v_add_f32_e32 v38, v38, v39
	;; [unrolled: 3-line block ×14, first 2 shown]
	v_add_f32_e32 v38, v38, v52
	s_waitcnt vmcnt(8)
	v_fmac_f32_e32 v53, v37, v181
	v_add_f32_e32 v55, v38, v53
	ds_read_b128 v[38:41], v4 offset:608
	buffer_load_dword v47, off, s[0:3], 0 offset:284
	buffer_load_dword v49, off, s[0:3], 0 offset:308
	;; [unrolled: 1-line block ×8, first 2 shown]
	ds_read_b128 v[42:45], v4 offset:624
	buffer_load_dword v61, off, s[0:3], 0 offset:340
	buffer_load_dword v60, off, s[0:3], 0 offset:336
	;; [unrolled: 1-line block ×8, first 2 shown]
	v_mul_f32_e32 v5, v7, v5
	v_fma_f32 v5, v6, v166, -v5
	v_mul_f32_e32 v6, v9, v54
	v_add_f32_e32 v5, 0, v5
	v_fma_f32 v6, v8, v167, -v6
	v_add_f32_e32 v5, v5, v6
	v_mul_f32_e32 v6, v11, v56
	v_fma_f32 v6, v10, v168, -v6
	v_add_f32_e32 v5, v5, v6
	v_mul_f32_e32 v6, v13, v58
	;; [unrolled: 3-line block ×14, first 2 shown]
	v_fma_f32 v6, v36, v181, -v6
	s_waitcnt vmcnt(23) lgkmcnt(1)
	v_mul_f32_e32 v57, v38, v182
	v_add_f32_e32 v5, v5, v6
	v_mul_f32_e32 v6, v39, v182
	s_waitcnt vmcnt(22)
	v_fmac_f32_e32 v57, v39, v183
	v_fma_f32 v6, v38, v183, -v6
	v_add_f32_e32 v55, v55, v57
	s_waitcnt vmcnt(21)
	v_mul_f32_e32 v57, v40, v184
	v_add_f32_e32 v54, v5, v6
	v_mul_f32_e32 v5, v41, v184
	s_waitcnt vmcnt(20)
	v_fmac_f32_e32 v57, v41, v185
	s_waitcnt vmcnt(19) lgkmcnt(0)
	v_mul_f32_e32 v59, v42, v186
	v_fma_f32 v56, v40, v185, -v5
	v_mul_f32_e32 v5, v43, v186
	ds_read_b128 v[6:9], v4 offset:640
	ds_read_b128 v[10:13], v4 offset:656
	;; [unrolled: 1-line block ×3, first 2 shown]
	ds_read_b64 v[18:19], v4 offset:688
	s_waitcnt vmcnt(18)
	v_fmac_f32_e32 v59, v43, v187
	v_fma_f32 v58, v42, v187, -v5
	v_pk_add_f32 v[20:21], v[54:55], v[56:57]
	v_pk_add_f32 v[20:21], v[20:21], v[58:59]
	s_waitcnt vmcnt(15)
	v_mov_b32_e32 v22, v47
	v_pk_mul_f32 v[22:23], v[44:45], v[22:23] op_sel_hi:[1,0]
	s_waitcnt vmcnt(8)
	v_pk_fma_f32 v[24:25], v[44:45], v[46:47], v[22:23] op_sel:[0,0,1] op_sel_hi:[1,1,0] neg_lo:[0,0,1] neg_hi:[0,0,1]
	v_pk_fma_f32 v[22:23], v[44:45], v[46:47], v[22:23] op_sel:[0,0,1] op_sel_hi:[1,0,0]
	v_mov_b32_e32 v22, v53
	v_mov_b32_e32 v25, v23
	s_waitcnt lgkmcnt(3)
	v_pk_mul_f32 v[22:23], v[6:7], v[22:23] op_sel_hi:[1,0]
	v_pk_add_f32 v[20:21], v[20:21], v[24:25]
	v_pk_fma_f32 v[24:25], v[6:7], v[52:53], v[22:23] op_sel:[0,0,1] op_sel_hi:[1,1,0] neg_lo:[0,0,1] neg_hi:[0,0,1]
	v_pk_fma_f32 v[6:7], v[6:7], v[52:53], v[22:23] op_sel:[0,0,1] op_sel_hi:[1,0,0]
	v_mov_b32_e32 v25, v7
	v_pk_add_f32 v[6:7], v[20:21], v[24:25]
	v_mov_b32_e32 v20, v51
	v_pk_mul_f32 v[20:21], v[8:9], v[20:21] op_sel_hi:[1,0]
	v_pk_fma_f32 v[22:23], v[8:9], v[50:51], v[20:21] op_sel:[0,0,1] op_sel_hi:[1,1,0] neg_lo:[0,0,1] neg_hi:[0,0,1]
	v_pk_fma_f32 v[8:9], v[8:9], v[50:51], v[20:21] op_sel:[0,0,1] op_sel_hi:[1,0,0]
	v_mov_b32_e32 v8, v49
	v_mov_b32_e32 v23, v9
	s_waitcnt lgkmcnt(2)
	v_pk_mul_f32 v[8:9], v[10:11], v[8:9] op_sel_hi:[1,0]
	v_pk_fma_f32 v[20:21], v[10:11], v[48:49], v[8:9] op_sel:[0,0,1] op_sel_hi:[1,1,0] neg_lo:[0,0,1] neg_hi:[0,0,1]
	v_pk_fma_f32 v[8:9], v[10:11], v[48:49], v[8:9] op_sel:[0,0,1] op_sel_hi:[1,0,0]
	s_waitcnt vmcnt(1)
	v_mov_b32_e32 v8, v153
	v_mov_b32_e32 v21, v9
	v_pk_mul_f32 v[8:9], v[12:13], v[8:9] op_sel_hi:[1,0]
	s_waitcnt vmcnt(0)
	v_pk_fma_f32 v[10:11], v[12:13], v[152:153], v[8:9] op_sel:[0,0,1] op_sel_hi:[1,1,0] neg_lo:[0,0,1] neg_hi:[0,0,1]
	v_pk_fma_f32 v[8:9], v[12:13], v[152:153], v[8:9] op_sel:[0,0,1] op_sel_hi:[1,0,0]
	v_pk_add_f32 v[6:7], v[6:7], v[22:23]
	v_mov_b32_e32 v8, v65
	v_pk_add_f32 v[6:7], v[6:7], v[20:21]
	v_mov_b32_e32 v11, v9
	s_waitcnt lgkmcnt(1)
	v_pk_mul_f32 v[8:9], v[14:15], v[8:9] op_sel_hi:[1,0]
	v_pk_add_f32 v[6:7], v[6:7], v[10:11]
	v_pk_fma_f32 v[10:11], v[14:15], v[64:65], v[8:9] op_sel:[0,0,1] op_sel_hi:[1,1,0] neg_lo:[0,0,1] neg_hi:[0,0,1]
	v_pk_fma_f32 v[8:9], v[14:15], v[64:65], v[8:9] op_sel:[0,0,1] op_sel_hi:[1,0,0]
	v_mov_b32_e32 v8, v63
	v_mov_b32_e32 v11, v9
	v_pk_mul_f32 v[8:9], v[16:17], v[8:9] op_sel_hi:[1,0]
	v_pk_add_f32 v[6:7], v[6:7], v[10:11]
	v_pk_fma_f32 v[10:11], v[16:17], v[62:63], v[8:9] op_sel:[0,0,1] op_sel_hi:[1,1,0] neg_lo:[0,0,1] neg_hi:[0,0,1]
	v_pk_fma_f32 v[8:9], v[16:17], v[62:63], v[8:9] op_sel:[0,0,1] op_sel_hi:[1,0,0]
	v_mov_b32_e32 v8, v61
	v_mov_b32_e32 v11, v9
	s_waitcnt lgkmcnt(0)
	v_pk_mul_f32 v[8:9], v[18:19], v[8:9] op_sel_hi:[1,0]
	v_pk_add_f32 v[6:7], v[6:7], v[10:11]
	v_pk_fma_f32 v[10:11], v[18:19], v[60:61], v[8:9] op_sel:[0,0,1] op_sel_hi:[1,1,0] neg_lo:[0,0,1] neg_hi:[0,0,1]
	v_pk_fma_f32 v[8:9], v[18:19], v[60:61], v[8:9] op_sel:[0,0,1] op_sel_hi:[1,0,0]
	v_mov_b32_e32 v11, v9
	v_pk_add_f32 v[6:7], v[6:7], v[10:11]
	v_pk_add_f32 v[2:3], v[2:3], v[6:7] neg_lo:[0,1] neg_hi:[0,1]
	buffer_store_dword v3, off, s[0:3], 0 offset:124
	buffer_store_dword v2, off, s[0:3], 0 offset:120
	s_and_saveexec_b64 s[4:5], vcc
	s_cbranch_execz .LBB106_243
; %bb.242:
	buffer_load_dword v2, off, s[0:3], 0 offset:112
	buffer_load_dword v3, off, s[0:3], 0 offset:116
	s_waitcnt vmcnt(0)
	ds_write_b64 v1, v[2:3]
	buffer_store_dword v4, off, s[0:3], 0 offset:112
	buffer_store_dword v4, off, s[0:3], 0 offset:116
.LBB106_243:
	s_or_b64 exec, exec, s[4:5]
	s_waitcnt lgkmcnt(0)
	; wave barrier
	s_waitcnt lgkmcnt(0)
	buffer_load_dword v5, off, s[0:3], 0 offset:124
	buffer_load_dword v46, off, s[0:3], 0 offset:132
	;; [unrolled: 1-line block ×42, first 2 shown]
	ds_read2_b64 v[6:9], v4 offset0:59 offset1:60
	ds_read2_b64 v[10:13], v4 offset0:61 offset1:62
	;; [unrolled: 1-line block ×8, first 2 shown]
	v_cmp_lt_u32_e32 vcc, 13, v0
	s_waitcnt vmcnt(41) lgkmcnt(7)
	v_mul_f32_e32 v38, v6, v5
	s_waitcnt vmcnt(40)
	v_mul_f32_e32 v39, v8, v46
	s_waitcnt vmcnt(39) lgkmcnt(6)
	v_mul_f32_e32 v40, v10, v48
	s_waitcnt vmcnt(38)
	v_mul_f32_e32 v41, v12, v56
	;; [unrolled: 4-line block ×7, first 2 shown]
	s_waitcnt vmcnt(27) lgkmcnt(0)
	v_mul_f32_e32 v54, v34, v164
	s_waitcnt vmcnt(26)
	v_fmac_f32_e32 v38, v7, v165
	s_waitcnt vmcnt(25)
	v_fmac_f32_e32 v39, v9, v166
	v_add_f32_e32 v38, 0, v38
	s_waitcnt vmcnt(24)
	v_fmac_f32_e32 v40, v11, v167
	v_add_f32_e32 v38, v38, v39
	;; [unrolled: 3-line block ×14, first 2 shown]
	s_waitcnt vmcnt(11)
	v_mul_f32_e32 v43, v36, v180
	v_add_f32_e32 v42, v38, v54
	s_waitcnt vmcnt(10)
	v_fmac_f32_e32 v43, v37, v181
	ds_read2_b64 v[38:41], v4 offset0:75 offset1:76
	v_add_f32_e32 v47, v42, v43
	ds_read2_b64 v[42:45], v4 offset0:77 offset1:78
	buffer_load_dword v51, off, s[0:3], 0 offset:284
	buffer_load_dword v53, off, s[0:3], 0 offset:300
	;; [unrolled: 1-line block ×16, first 2 shown]
	v_mul_f32_e32 v5, v7, v5
	v_fma_f32 v5, v6, v165, -v5
	v_mul_f32_e32 v6, v9, v46
	v_add_f32_e32 v5, 0, v5
	v_fma_f32 v6, v8, v166, -v6
	v_add_f32_e32 v5, v5, v6
	v_mul_f32_e32 v6, v11, v48
	v_fma_f32 v6, v10, v167, -v6
	v_add_f32_e32 v5, v5, v6
	v_mul_f32_e32 v6, v13, v56
	;; [unrolled: 3-line block ×14, first 2 shown]
	v_fma_f32 v6, v36, v181, -v6
	v_add_f32_e32 v5, v5, v6
	s_waitcnt vmcnt(25) lgkmcnt(1)
	v_mul_f32_e32 v6, v39, v182
	s_waitcnt vmcnt(24)
	v_fma_f32 v6, v38, v183, -v6
	v_add_f32_e32 v5, v5, v6
	s_waitcnt vmcnt(23)
	v_mul_f32_e32 v6, v41, v184
	s_waitcnt vmcnt(22)
	v_fma_f32 v6, v40, v185, -v6
	v_add_f32_e32 v46, v5, v6
	ds_read2_b64 v[6:9], v4 offset0:79 offset1:80
	ds_read2_b64 v[10:13], v4 offset0:81 offset1:82
	;; [unrolled: 1-line block ×4, first 2 shown]
	v_mul_f32_e32 v49, v38, v182
	v_fmac_f32_e32 v49, v39, v183
	v_add_f32_e32 v47, v47, v49
	v_mul_f32_e32 v49, v40, v184
	v_fmac_f32_e32 v49, v41, v185
	v_add_f32_e32 v47, v47, v49
	s_waitcnt vmcnt(21) lgkmcnt(4)
	v_mul_f32_e32 v49, v42, v186
	v_mul_f32_e32 v5, v43, v186
	s_waitcnt vmcnt(20)
	v_fmac_f32_e32 v49, v43, v187
	s_waitcnt vmcnt(19)
	v_mul_f32_e32 v57, v44, v188
	v_fma_f32 v48, v42, v187, -v5
	v_mul_f32_e32 v5, v45, v188
	s_waitcnt vmcnt(18)
	v_fmac_f32_e32 v57, v45, v189
	v_fma_f32 v56, v44, v189, -v5
	v_pk_add_f32 v[4:5], v[46:47], v[48:49]
	v_pk_add_f32 v[4:5], v[4:5], v[56:57]
	s_waitcnt vmcnt(15)
	v_mov_b32_e32 v22, v51
	s_waitcnt lgkmcnt(3)
	v_pk_mul_f32 v[22:23], v[6:7], v[22:23] op_sel_hi:[1,0]
	s_waitcnt vmcnt(10)
	v_pk_fma_f32 v[24:25], v[6:7], v[50:51], v[22:23] op_sel:[0,0,1] op_sel_hi:[1,1,0] neg_lo:[0,0,1] neg_hi:[0,0,1]
	v_pk_fma_f32 v[6:7], v[6:7], v[50:51], v[22:23] op_sel:[0,0,1] op_sel_hi:[1,0,0]
	v_mov_b32_e32 v6, v55
	v_mov_b32_e32 v25, v7
	v_pk_mul_f32 v[6:7], v[8:9], v[6:7] op_sel_hi:[1,0]
	v_pk_fma_f32 v[22:23], v[8:9], v[54:55], v[6:7] op_sel:[0,0,1] op_sel_hi:[1,1,0] neg_lo:[0,0,1] neg_hi:[0,0,1]
	v_pk_fma_f32 v[6:7], v[8:9], v[54:55], v[6:7] op_sel:[0,0,1] op_sel_hi:[1,0,0]
	v_mov_b32_e32 v6, v53
	v_mov_b32_e32 v23, v7
	s_waitcnt lgkmcnt(2)
	v_pk_mul_f32 v[6:7], v[10:11], v[6:7] op_sel_hi:[1,0]
	v_pk_fma_f32 v[8:9], v[10:11], v[52:53], v[6:7] op_sel:[0,0,1] op_sel_hi:[1,1,0] neg_lo:[0,0,1] neg_hi:[0,0,1]
	v_pk_fma_f32 v[6:7], v[10:11], v[52:53], v[6:7] op_sel:[0,0,1] op_sel_hi:[1,0,0]
	v_pk_add_f32 v[4:5], v[4:5], v[24:25]
	s_waitcnt vmcnt(3)
	v_mov_b32_e32 v6, v65
	v_pk_add_f32 v[4:5], v[4:5], v[22:23]
	v_mov_b32_e32 v9, v7
	v_pk_mul_f32 v[6:7], v[12:13], v[6:7] op_sel_hi:[1,0]
	v_pk_add_f32 v[4:5], v[4:5], v[8:9]
	s_waitcnt vmcnt(2)
	v_pk_fma_f32 v[8:9], v[12:13], v[64:65], v[6:7] op_sel:[0,0,1] op_sel_hi:[1,1,0] neg_lo:[0,0,1] neg_hi:[0,0,1]
	v_pk_fma_f32 v[6:7], v[12:13], v[64:65], v[6:7] op_sel:[0,0,1] op_sel_hi:[1,0,0]
	v_mov_b32_e32 v6, v63
	v_mov_b32_e32 v9, v7
	s_waitcnt lgkmcnt(1)
	v_pk_mul_f32 v[6:7], v[14:15], v[6:7] op_sel_hi:[1,0]
	v_pk_add_f32 v[4:5], v[4:5], v[8:9]
	v_pk_fma_f32 v[8:9], v[14:15], v[62:63], v[6:7] op_sel:[0,0,1] op_sel_hi:[1,1,0] neg_lo:[0,0,1] neg_hi:[0,0,1]
	v_pk_fma_f32 v[6:7], v[14:15], v[62:63], v[6:7] op_sel:[0,0,1] op_sel_hi:[1,0,0]
	v_mov_b32_e32 v6, v61
	v_mov_b32_e32 v9, v7
	v_pk_mul_f32 v[6:7], v[16:17], v[6:7] op_sel_hi:[1,0]
	v_pk_add_f32 v[4:5], v[4:5], v[8:9]
	v_pk_fma_f32 v[8:9], v[16:17], v[60:61], v[6:7] op_sel:[0,0,1] op_sel_hi:[1,1,0] neg_lo:[0,0,1] neg_hi:[0,0,1]
	v_pk_fma_f32 v[6:7], v[16:17], v[60:61], v[6:7] op_sel:[0,0,1] op_sel_hi:[1,0,0]
	v_mov_b32_e32 v6, v59
	v_mov_b32_e32 v9, v7
	s_waitcnt lgkmcnt(0)
	v_pk_mul_f32 v[6:7], v[18:19], v[6:7] op_sel_hi:[1,0]
	v_pk_add_f32 v[4:5], v[4:5], v[8:9]
	v_pk_fma_f32 v[8:9], v[18:19], v[58:59], v[6:7] op_sel:[0,0,1] op_sel_hi:[1,1,0] neg_lo:[0,0,1] neg_hi:[0,0,1]
	v_pk_fma_f32 v[6:7], v[18:19], v[58:59], v[6:7] op_sel:[0,0,1] op_sel_hi:[1,0,0]
	s_waitcnt vmcnt(1)
	v_mov_b32_e32 v6, v153
	v_mov_b32_e32 v9, v7
	v_pk_mul_f32 v[6:7], v[20:21], v[6:7] op_sel_hi:[1,0]
	v_pk_add_f32 v[4:5], v[4:5], v[8:9]
	s_waitcnt vmcnt(0)
	v_pk_fma_f32 v[8:9], v[20:21], v[152:153], v[6:7] op_sel:[0,0,1] op_sel_hi:[1,1,0] neg_lo:[0,0,1] neg_hi:[0,0,1]
	v_pk_fma_f32 v[6:7], v[20:21], v[152:153], v[6:7] op_sel:[0,0,1] op_sel_hi:[1,0,0]
	v_mov_b32_e32 v9, v7
	v_pk_add_f32 v[4:5], v[4:5], v[8:9]
	v_pk_add_f32 v[2:3], v[2:3], v[4:5] neg_lo:[0,1] neg_hi:[0,1]
	buffer_store_dword v3, off, s[0:3], 0 offset:116
	buffer_store_dword v2, off, s[0:3], 0 offset:112
	s_and_saveexec_b64 s[4:5], vcc
	s_cbranch_execz .LBB106_245
; %bb.244:
	buffer_load_dword v2, off, s[0:3], 0 offset:104
	buffer_load_dword v3, off, s[0:3], 0 offset:108
	v_mov_b32_e32 v4, 0
	buffer_store_dword v4, off, s[0:3], 0 offset:104
	buffer_store_dword v4, off, s[0:3], 0 offset:108
	s_waitcnt vmcnt(2)
	ds_write_b64 v1, v[2:3]
.LBB106_245:
	s_or_b64 exec, exec, s[4:5]
	s_waitcnt lgkmcnt(0)
	; wave barrier
	s_waitcnt lgkmcnt(0)
	buffer_load_dword v5, off, s[0:3], 0 offset:116
	buffer_load_dword v54, off, s[0:3], 0 offset:124
	;; [unrolled: 1-line block ×44, first 2 shown]
	v_mov_b32_e32 v4, 0
	ds_read_b128 v[6:9], v4 offset:464
	ds_read_b128 v[10:13], v4 offset:480
	;; [unrolled: 1-line block ×8, first 2 shown]
	v_cmp_lt_u32_e32 vcc, 12, v0
	s_waitcnt vmcnt(43) lgkmcnt(7)
	v_mul_f32_e32 v38, v6, v5
	s_waitcnt vmcnt(42)
	v_mul_f32_e32 v39, v8, v54
	s_waitcnt vmcnt(41) lgkmcnt(6)
	v_mul_f32_e32 v40, v10, v60
	s_waitcnt vmcnt(40)
	v_mul_f32_e32 v41, v12, v62
	;; [unrolled: 4-line block ×7, first 2 shown]
	s_waitcnt vmcnt(29)
	v_fmac_f32_e32 v38, v7, v172
	s_waitcnt vmcnt(28)
	v_fmac_f32_e32 v39, v9, v173
	v_add_f32_e32 v38, 0, v38
	s_waitcnt vmcnt(27)
	v_fmac_f32_e32 v40, v11, v174
	v_add_f32_e32 v38, v38, v39
	s_waitcnt vmcnt(26)
	v_fmac_f32_e32 v41, v13, v175
	v_add_f32_e32 v38, v38, v40
	s_waitcnt vmcnt(25)
	v_fmac_f32_e32 v42, v15, v176
	v_add_f32_e32 v38, v38, v41
	s_waitcnt vmcnt(24)
	v_fmac_f32_e32 v43, v17, v177
	v_add_f32_e32 v38, v38, v42
	s_waitcnt vmcnt(23)
	v_fmac_f32_e32 v44, v19, v178
	v_add_f32_e32 v38, v38, v43
	s_waitcnt vmcnt(22)
	v_fmac_f32_e32 v45, v21, v179
	v_add_f32_e32 v38, v38, v44
	s_waitcnt vmcnt(21)
	v_fmac_f32_e32 v46, v23, v180
	v_add_f32_e32 v38, v38, v45
	s_waitcnt vmcnt(20)
	v_fmac_f32_e32 v47, v25, v181
	v_add_f32_e32 v38, v38, v46
	s_waitcnt vmcnt(19)
	v_fmac_f32_e32 v48, v27, v182
	v_add_f32_e32 v38, v38, v47
	s_waitcnt vmcnt(18)
	v_fmac_f32_e32 v49, v29, v183
	v_add_f32_e32 v38, v38, v48
	s_waitcnt vmcnt(17)
	v_fmac_f32_e32 v50, v31, v184
	v_add_f32_e32 v38, v38, v49
	v_add_f32_e32 v38, v38, v50
	s_waitcnt vmcnt(16)
	v_fmac_f32_e32 v51, v33, v185
	s_waitcnt vmcnt(15) lgkmcnt(0)
	v_mul_f32_e32 v39, v34, v186
	v_add_f32_e32 v38, v38, v51
	s_waitcnt vmcnt(14)
	v_fmac_f32_e32 v39, v35, v187
	v_add_f32_e32 v42, v38, v39
	ds_read_b128 v[38:41], v4 offset:592
	s_waitcnt vmcnt(13)
	v_mul_f32_e32 v43, v36, v188
	s_waitcnt vmcnt(12)
	v_fmac_f32_e32 v43, v37, v189
	v_add_f32_e32 v46, v42, v43
	ds_read_b128 v[42:45], v4 offset:608
	s_waitcnt vmcnt(11) lgkmcnt(1)
	v_mul_f32_e32 v47, v38, v190
	s_waitcnt vmcnt(10)
	v_fmac_f32_e32 v47, v39, v191
	v_add_f32_e32 v46, v46, v47
	s_waitcnt vmcnt(9)
	v_mul_f32_e32 v47, v40, v192
	s_waitcnt vmcnt(8)
	v_fmac_f32_e32 v47, v41, v193
	v_add_f32_e32 v46, v46, v47
	s_waitcnt vmcnt(7) lgkmcnt(0)
	v_mul_f32_e32 v47, v42, v194
	s_waitcnt vmcnt(6)
	v_fmac_f32_e32 v47, v43, v195
	v_add_f32_e32 v55, v46, v47
	ds_read_b128 v[46:49], v4 offset:624
	buffer_load_dword v57, off, s[0:3], 0 offset:292
	buffer_load_dword v56, off, s[0:3], 0 offset:288
	;; [unrolled: 1-line block ×4, first 2 shown]
	ds_read_b128 v[50:53], v4 offset:640
	buffer_load_dword v65, off, s[0:3], 0 offset:324
	buffer_load_dword v64, off, s[0:3], 0 offset:320
	;; [unrolled: 1-line block ×12, first 2 shown]
	v_mul_f32_e32 v5, v7, v5
	v_fma_f32 v5, v6, v172, -v5
	v_mul_f32_e32 v6, v9, v54
	v_add_f32_e32 v5, 0, v5
	v_fma_f32 v6, v8, v173, -v6
	v_add_f32_e32 v5, v5, v6
	v_mul_f32_e32 v6, v11, v60
	v_fma_f32 v6, v10, v174, -v6
	v_add_f32_e32 v5, v5, v6
	v_mul_f32_e32 v6, v13, v62
	v_fma_f32 v6, v12, v175, -v6
	v_add_f32_e32 v5, v5, v6
	v_mul_f32_e32 v6, v15, v162
	v_fma_f32 v6, v14, v176, -v6
	v_add_f32_e32 v5, v5, v6
	v_mul_f32_e32 v6, v17, v163
	v_fma_f32 v6, v16, v177, -v6
	v_add_f32_e32 v5, v5, v6
	v_mul_f32_e32 v6, v19, v164
	v_fma_f32 v6, v18, v178, -v6
	v_add_f32_e32 v5, v5, v6
	v_mul_f32_e32 v6, v21, v165
	v_fma_f32 v6, v20, v179, -v6
	v_add_f32_e32 v5, v5, v6
	v_mul_f32_e32 v6, v23, v166
	v_fma_f32 v6, v22, v180, -v6
	v_add_f32_e32 v5, v5, v6
	v_mul_f32_e32 v6, v25, v167
	v_fma_f32 v6, v24, v181, -v6
	v_add_f32_e32 v5, v5, v6
	v_mul_f32_e32 v6, v27, v168
	v_fma_f32 v6, v26, v182, -v6
	v_add_f32_e32 v5, v5, v6
	v_mul_f32_e32 v6, v29, v169
	v_fma_f32 v6, v28, v183, -v6
	v_add_f32_e32 v5, v5, v6
	v_mul_f32_e32 v6, v31, v170
	v_fma_f32 v6, v30, v184, -v6
	v_add_f32_e32 v5, v5, v6
	v_mul_f32_e32 v6, v33, v171
	v_fma_f32 v6, v32, v185, -v6
	v_add_f32_e32 v5, v5, v6
	v_mul_f32_e32 v6, v35, v186
	v_fma_f32 v6, v34, v187, -v6
	v_add_f32_e32 v5, v5, v6
	v_mul_f32_e32 v6, v37, v188
	v_fma_f32 v6, v36, v189, -v6
	v_add_f32_e32 v5, v5, v6
	v_mul_f32_e32 v6, v39, v190
	v_fma_f32 v6, v38, v191, -v6
	v_add_f32_e32 v5, v5, v6
	v_mul_f32_e32 v6, v41, v192
	v_fma_f32 v6, v40, v193, -v6
	v_add_f32_e32 v5, v5, v6
	v_mul_f32_e32 v6, v43, v194
	v_fma_f32 v6, v42, v195, -v6
	s_waitcnt vmcnt(21)
	v_mul_f32_e32 v61, v44, v196
	v_add_f32_e32 v54, v5, v6
	v_mul_f32_e32 v5, v45, v196
	s_waitcnt vmcnt(20)
	v_fmac_f32_e32 v61, v45, v197
	s_waitcnt vmcnt(19) lgkmcnt(1)
	v_mul_f32_e32 v63, v46, v198
	v_fma_f32 v60, v44, v197, -v5
	v_mul_f32_e32 v5, v47, v198
	s_waitcnt vmcnt(18)
	v_fmac_f32_e32 v63, v47, v199
	v_fma_f32 v62, v46, v199, -v5
	v_pk_add_f32 v[16:17], v[54:55], v[60:61]
	v_pk_add_f32 v[16:17], v[16:17], v[62:63]
	ds_read_b128 v[6:9], v4 offset:656
	ds_read_b128 v[10:13], v4 offset:672
	ds_read_b64 v[14:15], v4 offset:688
	s_waitcnt vmcnt(13)
	v_mov_b32_e32 v18, v59
	v_pk_mul_f32 v[18:19], v[48:49], v[18:19] op_sel_hi:[1,0]
	s_waitcnt vmcnt(12)
	v_pk_fma_f32 v[20:21], v[48:49], v[58:59], v[18:19] op_sel:[0,0,1] op_sel_hi:[1,1,0] neg_lo:[0,0,1] neg_hi:[0,0,1]
	v_pk_fma_f32 v[18:19], v[48:49], v[58:59], v[18:19] op_sel:[0,0,1] op_sel_hi:[1,0,0]
	v_mov_b32_e32 v18, v57
	v_mov_b32_e32 v21, v19
	s_waitcnt lgkmcnt(3)
	v_pk_mul_f32 v[18:19], v[50:51], v[18:19] op_sel_hi:[1,0]
	v_pk_add_f32 v[16:17], v[16:17], v[20:21]
	v_pk_fma_f32 v[20:21], v[50:51], v[56:57], v[18:19] op_sel:[0,0,1] op_sel_hi:[1,1,0] neg_lo:[0,0,1] neg_hi:[0,0,1]
	v_pk_fma_f32 v[18:19], v[50:51], v[56:57], v[18:19] op_sel:[0,0,1] op_sel_hi:[1,0,0]
	s_waitcnt vmcnt(5)
	v_mov_b32_e32 v18, v157
	v_mov_b32_e32 v21, v19
	v_pk_mul_f32 v[18:19], v[52:53], v[18:19] op_sel_hi:[1,0]
	v_pk_add_f32 v[16:17], v[16:17], v[20:21]
	s_waitcnt vmcnt(4)
	v_pk_fma_f32 v[20:21], v[52:53], v[156:157], v[18:19] op_sel:[0,0,1] op_sel_hi:[1,1,0] neg_lo:[0,0,1] neg_hi:[0,0,1]
	v_pk_fma_f32 v[18:19], v[52:53], v[156:157], v[18:19] op_sel:[0,0,1] op_sel_hi:[1,0,0]
	v_mov_b32_e32 v18, v155
	v_mov_b32_e32 v21, v19
	s_waitcnt lgkmcnt(2)
	v_pk_mul_f32 v[18:19], v[6:7], v[18:19] op_sel_hi:[1,0]
	v_pk_add_f32 v[16:17], v[16:17], v[20:21]
	v_pk_fma_f32 v[20:21], v[6:7], v[154:155], v[18:19] op_sel:[0,0,1] op_sel_hi:[1,1,0] neg_lo:[0,0,1] neg_hi:[0,0,1]
	v_pk_fma_f32 v[6:7], v[6:7], v[154:155], v[18:19] op_sel:[0,0,1] op_sel_hi:[1,0,0]
	v_mov_b32_e32 v21, v7
	v_pk_add_f32 v[6:7], v[16:17], v[20:21]
	v_mov_b32_e32 v16, v153
	v_pk_mul_f32 v[16:17], v[8:9], v[16:17] op_sel_hi:[1,0]
	v_pk_fma_f32 v[18:19], v[8:9], v[152:153], v[16:17] op_sel:[0,0,1] op_sel_hi:[1,1,0] neg_lo:[0,0,1] neg_hi:[0,0,1]
	v_pk_fma_f32 v[8:9], v[8:9], v[152:153], v[16:17] op_sel:[0,0,1] op_sel_hi:[1,0,0]
	v_mov_b32_e32 v8, v65
	v_mov_b32_e32 v19, v9
	s_waitcnt lgkmcnt(1)
	v_pk_mul_f32 v[8:9], v[10:11], v[8:9] op_sel_hi:[1,0]
	v_pk_fma_f32 v[16:17], v[10:11], v[64:65], v[8:9] op_sel:[0,0,1] op_sel_hi:[1,1,0] neg_lo:[0,0,1] neg_hi:[0,0,1]
	v_pk_fma_f32 v[8:9], v[10:11], v[64:65], v[8:9] op_sel:[0,0,1] op_sel_hi:[1,0,0]
	s_waitcnt vmcnt(1)
	v_mov_b32_e32 v8, v161
	v_mov_b32_e32 v17, v9
	v_pk_mul_f32 v[8:9], v[12:13], v[8:9] op_sel_hi:[1,0]
	s_waitcnt vmcnt(0)
	v_pk_fma_f32 v[10:11], v[12:13], v[160:161], v[8:9] op_sel:[0,0,1] op_sel_hi:[1,1,0] neg_lo:[0,0,1] neg_hi:[0,0,1]
	v_pk_fma_f32 v[8:9], v[12:13], v[160:161], v[8:9] op_sel:[0,0,1] op_sel_hi:[1,0,0]
	v_pk_add_f32 v[6:7], v[6:7], v[18:19]
	v_mov_b32_e32 v8, v159
	v_pk_add_f32 v[6:7], v[6:7], v[16:17]
	v_mov_b32_e32 v11, v9
	s_waitcnt lgkmcnt(0)
	v_pk_mul_f32 v[8:9], v[14:15], v[8:9] op_sel_hi:[1,0]
	v_pk_add_f32 v[6:7], v[6:7], v[10:11]
	v_pk_fma_f32 v[10:11], v[14:15], v[158:159], v[8:9] op_sel:[0,0,1] op_sel_hi:[1,1,0] neg_lo:[0,0,1] neg_hi:[0,0,1]
	v_pk_fma_f32 v[8:9], v[14:15], v[158:159], v[8:9] op_sel:[0,0,1] op_sel_hi:[1,0,0]
	v_mov_b32_e32 v11, v9
	v_pk_add_f32 v[6:7], v[6:7], v[10:11]
	v_pk_add_f32 v[2:3], v[2:3], v[6:7] neg_lo:[0,1] neg_hi:[0,1]
	buffer_store_dword v3, off, s[0:3], 0 offset:108
	buffer_store_dword v2, off, s[0:3], 0 offset:104
	s_and_saveexec_b64 s[4:5], vcc
	s_cbranch_execz .LBB106_247
; %bb.246:
	buffer_load_dword v2, off, s[0:3], 0 offset:96
	buffer_load_dword v3, off, s[0:3], 0 offset:100
	s_waitcnt vmcnt(0)
	ds_write_b64 v1, v[2:3]
	buffer_store_dword v4, off, s[0:3], 0 offset:96
	buffer_store_dword v4, off, s[0:3], 0 offset:100
.LBB106_247:
	s_or_b64 exec, exec, s[4:5]
	s_waitcnt lgkmcnt(0)
	; wave barrier
	s_waitcnt lgkmcnt(0)
	buffer_load_dword v5, off, s[0:3], 0 offset:108
	buffer_load_dword v56, off, s[0:3], 0 offset:116
	;; [unrolled: 1-line block ×46, first 2 shown]
	ds_read2_b64 v[6:9], v4 offset0:57 offset1:58
	ds_read2_b64 v[10:13], v4 offset0:59 offset1:60
	;; [unrolled: 1-line block ×8, first 2 shown]
	v_cmp_lt_u32_e32 vcc, 11, v0
	s_waitcnt vmcnt(45) lgkmcnt(7)
	v_mul_f32_e32 v38, v6, v5
	s_waitcnt vmcnt(44)
	v_mul_f32_e32 v39, v8, v56
	s_waitcnt vmcnt(43) lgkmcnt(6)
	v_mul_f32_e32 v40, v10, v58
	s_waitcnt vmcnt(42)
	v_mul_f32_e32 v41, v12, v60
	;; [unrolled: 4-line block ×6, first 2 shown]
	s_waitcnt vmcnt(33) lgkmcnt(1)
	v_mul_f32_e32 v50, v30, v170
	s_waitcnt vmcnt(32)
	v_fmac_f32_e32 v38, v7, v171
	s_waitcnt vmcnt(31)
	v_fmac_f32_e32 v39, v9, v172
	v_add_f32_e32 v38, 0, v38
	s_waitcnt vmcnt(30)
	v_fmac_f32_e32 v40, v11, v173
	v_add_f32_e32 v38, v38, v39
	;; [unrolled: 3-line block ×12, first 2 shown]
	s_waitcnt vmcnt(19)
	v_mul_f32_e32 v39, v32, v184
	v_add_f32_e32 v38, v38, v50
	s_waitcnt vmcnt(18)
	v_fmac_f32_e32 v39, v33, v185
	v_add_f32_e32 v38, v38, v39
	s_waitcnt vmcnt(17) lgkmcnt(0)
	v_mul_f32_e32 v39, v34, v186
	s_waitcnt vmcnt(16)
	v_fmac_f32_e32 v39, v35, v187
	v_add_f32_e32 v42, v38, v39
	ds_read2_b64 v[38:41], v4 offset0:73 offset1:74
	s_waitcnt vmcnt(15)
	v_mul_f32_e32 v43, v36, v188
	s_waitcnt vmcnt(14)
	v_fmac_f32_e32 v43, v37, v189
	v_add_f32_e32 v46, v42, v43
	ds_read2_b64 v[42:45], v4 offset0:75 offset1:76
	buffer_load_dword v55, off, s[0:3], 0 offset:284
	buffer_load_dword v54, off, s[0:3], 0 offset:280
	s_waitcnt vmcnt(15) lgkmcnt(1)
	v_mul_f32_e32 v47, v38, v190
	s_waitcnt vmcnt(14)
	v_fmac_f32_e32 v47, v39, v191
	v_add_f32_e32 v46, v46, v47
	s_waitcnt vmcnt(13)
	v_mul_f32_e32 v47, v40, v192
	s_waitcnt vmcnt(12)
	v_fmac_f32_e32 v47, v41, v193
	v_add_f32_e32 v46, v46, v47
	s_waitcnt vmcnt(11) lgkmcnt(0)
	v_mul_f32_e32 v47, v42, v194
	s_waitcnt vmcnt(10)
	v_fmac_f32_e32 v47, v43, v195
	s_waitcnt vmcnt(9)
	v_mul_f32_e32 v51, v44, v196
	v_add_f32_e32 v50, v46, v47
	s_waitcnt vmcnt(8)
	v_fmac_f32_e32 v51, v45, v197
	ds_read2_b64 v[46:49], v4 offset0:77 offset1:78
	v_add_f32_e32 v57, v50, v51
	ds_read2_b64 v[50:53], v4 offset0:79 offset1:80
	buffer_load_dword v63, off, s[0:3], 0 offset:316
	buffer_load_dword v62, off, s[0:3], 0 offset:312
	;; [unrolled: 1-line block ×14, first 2 shown]
	v_mul_f32_e32 v5, v7, v5
	v_fma_f32 v5, v6, v171, -v5
	v_mul_f32_e32 v6, v9, v56
	v_add_f32_e32 v5, 0, v5
	v_fma_f32 v6, v8, v172, -v6
	v_add_f32_e32 v5, v5, v6
	v_mul_f32_e32 v6, v11, v58
	v_fma_f32 v6, v10, v173, -v6
	v_add_f32_e32 v5, v5, v6
	v_mul_f32_e32 v6, v13, v60
	;; [unrolled: 3-line block ×18, first 2 shown]
	v_fma_f32 v6, v44, v197, -v6
	s_waitcnt vmcnt(21) lgkmcnt(1)
	v_mul_f32_e32 v59, v46, v198
	v_add_f32_e32 v56, v5, v6
	v_mul_f32_e32 v5, v47, v198
	s_waitcnt vmcnt(20)
	v_fmac_f32_e32 v59, v47, v199
	s_waitcnt vmcnt(15)
	v_mov_b32_e32 v18, v55
	s_waitcnt lgkmcnt(0)
	v_pk_mul_f32 v[18:19], v[50:51], v[18:19] op_sel_hi:[1,0]
	v_mul_f32_e32 v61, v48, v200
	v_fma_f32 v58, v46, v199, -v5
	v_mul_f32_e32 v5, v49, v200
	s_waitcnt vmcnt(14)
	v_pk_fma_f32 v[20:21], v[50:51], v[54:55], v[18:19] op_sel:[0,0,1] op_sel_hi:[1,1,0] neg_lo:[0,0,1] neg_hi:[0,0,1]
	v_pk_fma_f32 v[18:19], v[50:51], v[54:55], v[18:19] op_sel:[0,0,1] op_sel_hi:[1,0,0]
	v_fmac_f32_e32 v61, v49, v201
	v_fma_f32 v60, v48, v201, -v5
	ds_read2_b64 v[6:9], v4 offset0:81 offset1:82
	ds_read2_b64 v[10:13], v4 offset0:83 offset1:84
	;; [unrolled: 1-line block ×3, first 2 shown]
	v_pk_add_f32 v[4:5], v[56:57], v[58:59]
	s_waitcnt vmcnt(7)
	v_mov_b32_e32 v18, v155
	v_pk_add_f32 v[4:5], v[4:5], v[60:61]
	v_mov_b32_e32 v21, v19
	v_pk_mul_f32 v[18:19], v[52:53], v[18:19] op_sel_hi:[1,0]
	v_pk_add_f32 v[4:5], v[4:5], v[20:21]
	s_waitcnt vmcnt(6)
	v_pk_fma_f32 v[20:21], v[52:53], v[154:155], v[18:19] op_sel:[0,0,1] op_sel_hi:[1,1,0] neg_lo:[0,0,1] neg_hi:[0,0,1]
	v_pk_fma_f32 v[18:19], v[52:53], v[154:155], v[18:19] op_sel:[0,0,1] op_sel_hi:[1,0,0]
	v_mov_b32_e32 v18, v153
	v_mov_b32_e32 v21, v19
	s_waitcnt lgkmcnt(2)
	v_pk_mul_f32 v[18:19], v[6:7], v[18:19] op_sel_hi:[1,0]
	v_pk_add_f32 v[4:5], v[4:5], v[20:21]
	v_pk_fma_f32 v[20:21], v[6:7], v[152:153], v[18:19] op_sel:[0,0,1] op_sel_hi:[1,1,0] neg_lo:[0,0,1] neg_hi:[0,0,1]
	v_pk_fma_f32 v[6:7], v[6:7], v[152:153], v[18:19] op_sel:[0,0,1] op_sel_hi:[1,0,0]
	v_mov_b32_e32 v6, v65
	v_mov_b32_e32 v21, v7
	v_pk_mul_f32 v[6:7], v[8:9], v[6:7] op_sel_hi:[1,0]
	v_pk_fma_f32 v[18:19], v[8:9], v[64:65], v[6:7] op_sel:[0,0,1] op_sel_hi:[1,1,0] neg_lo:[0,0,1] neg_hi:[0,0,1]
	v_pk_fma_f32 v[6:7], v[8:9], v[64:65], v[6:7] op_sel:[0,0,1] op_sel_hi:[1,0,0]
	v_mov_b32_e32 v6, v63
	v_mov_b32_e32 v19, v7
	s_waitcnt lgkmcnt(1)
	v_pk_mul_f32 v[6:7], v[10:11], v[6:7] op_sel_hi:[1,0]
	v_pk_fma_f32 v[8:9], v[10:11], v[62:63], v[6:7] op_sel:[0,0,1] op_sel_hi:[1,1,0] neg_lo:[0,0,1] neg_hi:[0,0,1]
	v_pk_fma_f32 v[6:7], v[10:11], v[62:63], v[6:7] op_sel:[0,0,1] op_sel_hi:[1,0,0]
	v_pk_add_f32 v[4:5], v[4:5], v[20:21]
	s_waitcnt vmcnt(1)
	v_mov_b32_e32 v6, v161
	v_pk_add_f32 v[4:5], v[4:5], v[18:19]
	v_mov_b32_e32 v9, v7
	v_pk_mul_f32 v[6:7], v[12:13], v[6:7] op_sel_hi:[1,0]
	v_pk_add_f32 v[4:5], v[4:5], v[8:9]
	s_waitcnt vmcnt(0)
	v_pk_fma_f32 v[8:9], v[12:13], v[160:161], v[6:7] op_sel:[0,0,1] op_sel_hi:[1,1,0] neg_lo:[0,0,1] neg_hi:[0,0,1]
	v_pk_fma_f32 v[6:7], v[12:13], v[160:161], v[6:7] op_sel:[0,0,1] op_sel_hi:[1,0,0]
	v_mov_b32_e32 v6, v159
	v_mov_b32_e32 v9, v7
	s_waitcnt lgkmcnt(0)
	v_pk_mul_f32 v[6:7], v[14:15], v[6:7] op_sel_hi:[1,0]
	v_pk_add_f32 v[4:5], v[4:5], v[8:9]
	v_pk_fma_f32 v[8:9], v[14:15], v[158:159], v[6:7] op_sel:[0,0,1] op_sel_hi:[1,1,0] neg_lo:[0,0,1] neg_hi:[0,0,1]
	v_pk_fma_f32 v[6:7], v[14:15], v[158:159], v[6:7] op_sel:[0,0,1] op_sel_hi:[1,0,0]
	v_mov_b32_e32 v6, v157
	v_mov_b32_e32 v9, v7
	v_pk_mul_f32 v[6:7], v[16:17], v[6:7] op_sel_hi:[1,0]
	v_pk_add_f32 v[4:5], v[4:5], v[8:9]
	v_pk_fma_f32 v[8:9], v[16:17], v[156:157], v[6:7] op_sel:[0,0,1] op_sel_hi:[1,1,0] neg_lo:[0,0,1] neg_hi:[0,0,1]
	v_pk_fma_f32 v[6:7], v[16:17], v[156:157], v[6:7] op_sel:[0,0,1] op_sel_hi:[1,0,0]
	v_mov_b32_e32 v9, v7
	v_pk_add_f32 v[4:5], v[4:5], v[8:9]
	v_pk_add_f32 v[2:3], v[2:3], v[4:5] neg_lo:[0,1] neg_hi:[0,1]
	buffer_store_dword v3, off, s[0:3], 0 offset:100
	buffer_store_dword v2, off, s[0:3], 0 offset:96
	s_and_saveexec_b64 s[4:5], vcc
	s_cbranch_execz .LBB106_249
; %bb.248:
	buffer_load_dword v2, off, s[0:3], 0 offset:88
	buffer_load_dword v3, off, s[0:3], 0 offset:92
	v_mov_b32_e32 v4, 0
	buffer_store_dword v4, off, s[0:3], 0 offset:88
	buffer_store_dword v4, off, s[0:3], 0 offset:92
	s_waitcnt vmcnt(2)
	ds_write_b64 v1, v[2:3]
.LBB106_249:
	s_or_b64 exec, exec, s[4:5]
	s_waitcnt lgkmcnt(0)
	; wave barrier
	s_waitcnt lgkmcnt(0)
	buffer_load_dword v5, off, s[0:3], 0 offset:100
	buffer_load_dword v54, off, s[0:3], 0 offset:108
	;; [unrolled: 1-line block ×48, first 2 shown]
	v_mov_b32_e32 v4, 0
	ds_read_b128 v[6:9], v4 offset:448
	ds_read_b128 v[10:13], v4 offset:464
	;; [unrolled: 1-line block ×6, first 2 shown]
	v_cmp_lt_u32_e32 vcc, 10, v0
	s_waitcnt vmcnt(47) lgkmcnt(5)
	v_mul_f32_e32 v30, v6, v5
	s_waitcnt vmcnt(46)
	v_mul_f32_e32 v31, v8, v54
	s_waitcnt vmcnt(45) lgkmcnt(4)
	v_mul_f32_e32 v32, v10, v56
	s_waitcnt vmcnt(44)
	v_mul_f32_e32 v33, v12, v58
	;; [unrolled: 4-line block ×6, first 2 shown]
	s_waitcnt vmcnt(35)
	v_fmac_f32_e32 v30, v7, v170
	s_waitcnt vmcnt(34)
	v_fmac_f32_e32 v31, v9, v171
	v_add_f32_e32 v30, 0, v30
	s_waitcnt vmcnt(33)
	v_fmac_f32_e32 v32, v11, v172
	v_add_f32_e32 v30, v30, v31
	;; [unrolled: 3-line block ×8, first 2 shown]
	v_add_f32_e32 v34, v30, v38
	ds_read_b128 v[30:33], v4 offset:544
	s_waitcnt vmcnt(26)
	v_fmac_f32_e32 v39, v25, v179
	s_waitcnt vmcnt(25)
	v_fmac_f32_e32 v40, v27, v180
	v_add_f32_e32 v34, v34, v39
	s_waitcnt vmcnt(24)
	v_fmac_f32_e32 v41, v29, v181
	v_add_f32_e32 v34, v34, v40
	v_add_f32_e32 v38, v34, v41
	ds_read_b128 v[34:37], v4 offset:560
	s_waitcnt vmcnt(23) lgkmcnt(1)
	v_mul_f32_e32 v39, v30, v182
	s_waitcnt vmcnt(22)
	v_fmac_f32_e32 v39, v31, v183
	v_add_f32_e32 v38, v38, v39
	s_waitcnt vmcnt(21)
	v_mul_f32_e32 v39, v32, v184
	s_waitcnt vmcnt(20)
	v_fmac_f32_e32 v39, v33, v185
	v_add_f32_e32 v38, v38, v39
	s_waitcnt vmcnt(19) lgkmcnt(0)
	v_mul_f32_e32 v39, v34, v186
	s_waitcnt vmcnt(18)
	v_fmac_f32_e32 v39, v35, v187
	v_add_f32_e32 v42, v38, v39
	ds_read_b128 v[38:41], v4 offset:576
	s_waitcnt vmcnt(17)
	v_mul_f32_e32 v43, v36, v188
	s_waitcnt vmcnt(16)
	v_fmac_f32_e32 v43, v37, v189
	v_add_f32_e32 v46, v42, v43
	ds_read_b128 v[42:45], v4 offset:592
	s_waitcnt vmcnt(15) lgkmcnt(1)
	v_mul_f32_e32 v47, v38, v190
	s_waitcnt vmcnt(14)
	v_fmac_f32_e32 v47, v39, v191
	v_add_f32_e32 v46, v46, v47
	s_waitcnt vmcnt(13)
	v_mul_f32_e32 v47, v40, v192
	s_waitcnt vmcnt(12)
	v_fmac_f32_e32 v47, v41, v193
	v_add_f32_e32 v46, v46, v47
	s_waitcnt vmcnt(11) lgkmcnt(0)
	v_mul_f32_e32 v47, v42, v194
	s_waitcnt vmcnt(10)
	v_fmac_f32_e32 v47, v43, v195
	s_waitcnt vmcnt(9)
	v_mul_f32_e32 v51, v44, v196
	v_add_f32_e32 v50, v46, v47
	s_waitcnt vmcnt(8)
	v_fmac_f32_e32 v51, v45, v197
	ds_read_b128 v[46:49], v4 offset:608
	v_add_f32_e32 v55, v50, v51
	ds_read_b128 v[50:53], v4 offset:624
	buffer_load_dword v61, off, s[0:3], 0 offset:308
	buffer_load_dword v60, off, s[0:3], 0 offset:304
	;; [unrolled: 1-line block ×16, first 2 shown]
	v_mul_f32_e32 v5, v7, v5
	v_fma_f32 v5, v6, v170, -v5
	v_mul_f32_e32 v6, v9, v54
	v_add_f32_e32 v5, 0, v5
	v_fma_f32 v6, v8, v171, -v6
	v_add_f32_e32 v5, v5, v6
	v_mul_f32_e32 v6, v11, v56
	v_fma_f32 v6, v10, v172, -v6
	v_add_f32_e32 v5, v5, v6
	v_mul_f32_e32 v6, v13, v58
	v_fma_f32 v6, v12, v173, -v6
	v_add_f32_e32 v5, v5, v6
	v_mul_f32_e32 v6, v15, v162
	v_fma_f32 v6, v14, v174, -v6
	v_add_f32_e32 v5, v5, v6
	v_mul_f32_e32 v6, v17, v163
	v_fma_f32 v6, v16, v175, -v6
	v_add_f32_e32 v5, v5, v6
	v_mul_f32_e32 v6, v19, v164
	v_fma_f32 v6, v18, v176, -v6
	v_add_f32_e32 v5, v5, v6
	v_mul_f32_e32 v6, v21, v165
	v_fma_f32 v6, v20, v177, -v6
	v_add_f32_e32 v5, v5, v6
	v_mul_f32_e32 v6, v23, v166
	v_fma_f32 v6, v22, v178, -v6
	v_add_f32_e32 v5, v5, v6
	v_mul_f32_e32 v6, v25, v167
	v_fma_f32 v6, v24, v179, -v6
	v_add_f32_e32 v5, v5, v6
	v_mul_f32_e32 v6, v27, v168
	v_fma_f32 v6, v26, v180, -v6
	v_add_f32_e32 v5, v5, v6
	v_mul_f32_e32 v6, v29, v169
	v_fma_f32 v6, v28, v181, -v6
	v_add_f32_e32 v5, v5, v6
	v_mul_f32_e32 v6, v31, v182
	v_fma_f32 v6, v30, v183, -v6
	v_add_f32_e32 v5, v5, v6
	v_mul_f32_e32 v6, v33, v184
	v_fma_f32 v6, v32, v185, -v6
	v_add_f32_e32 v5, v5, v6
	v_mul_f32_e32 v6, v35, v186
	v_fma_f32 v6, v34, v187, -v6
	v_add_f32_e32 v5, v5, v6
	v_mul_f32_e32 v6, v37, v188
	v_fma_f32 v6, v36, v189, -v6
	v_add_f32_e32 v5, v5, v6
	v_mul_f32_e32 v6, v39, v190
	v_fma_f32 v6, v38, v191, -v6
	v_add_f32_e32 v5, v5, v6
	v_mul_f32_e32 v6, v41, v192
	v_fma_f32 v6, v40, v193, -v6
	v_add_f32_e32 v5, v5, v6
	v_mul_f32_e32 v6, v43, v194
	v_fma_f32 v6, v42, v195, -v6
	v_add_f32_e32 v5, v5, v6
	v_mul_f32_e32 v6, v45, v196
	v_fma_f32 v6, v44, v197, -v6
	s_waitcnt vmcnt(22) lgkmcnt(1)
	v_mul_f32_e32 v57, v46, v199
	v_add_f32_e32 v5, v5, v6
	v_mul_f32_e32 v6, v47, v199
	v_fmac_f32_e32 v57, v47, v198
	v_fma_f32 v6, v46, v198, -v6
	v_add_f32_e32 v55, v55, v57
	s_waitcnt vmcnt(19)
	v_mul_f32_e32 v57, v48, v200
	v_add_f32_e32 v54, v5, v6
	v_mul_f32_e32 v5, v49, v200
	s_waitcnt vmcnt(18)
	v_fmac_f32_e32 v57, v49, v201
	s_waitcnt vmcnt(17) lgkmcnt(0)
	v_mul_f32_e32 v59, v50, v202
	s_waitcnt vmcnt(9)
	v_mov_b32_e32 v22, v153
	v_pk_mul_f32 v[22:23], v[52:53], v[22:23] op_sel_hi:[1,0]
	v_fma_f32 v56, v48, v201, -v5
	v_mul_f32_e32 v5, v51, v202
	ds_read_b128 v[6:9], v4 offset:640
	ds_read_b128 v[10:13], v4 offset:656
	;; [unrolled: 1-line block ×3, first 2 shown]
	ds_read_b64 v[18:19], v4 offset:688
	s_waitcnt vmcnt(8)
	v_pk_fma_f32 v[24:25], v[52:53], v[152:153], v[22:23] op_sel:[0,0,1] op_sel_hi:[1,1,0] neg_lo:[0,0,1] neg_hi:[0,0,1]
	v_pk_fma_f32 v[22:23], v[52:53], v[152:153], v[22:23] op_sel:[0,0,1] op_sel_hi:[1,0,0]
	v_fmac_f32_e32 v59, v51, v203
	v_fma_f32 v58, v50, v203, -v5
	v_pk_add_f32 v[20:21], v[54:55], v[56:57]
	v_mov_b32_e32 v22, v65
	v_pk_add_f32 v[20:21], v[20:21], v[58:59]
	v_mov_b32_e32 v25, v23
	s_waitcnt lgkmcnt(3)
	v_pk_mul_f32 v[22:23], v[6:7], v[22:23] op_sel_hi:[1,0]
	v_pk_add_f32 v[20:21], v[20:21], v[24:25]
	v_pk_fma_f32 v[24:25], v[6:7], v[64:65], v[22:23] op_sel:[0,0,1] op_sel_hi:[1,1,0] neg_lo:[0,0,1] neg_hi:[0,0,1]
	v_pk_fma_f32 v[6:7], v[6:7], v[64:65], v[22:23] op_sel:[0,0,1] op_sel_hi:[1,0,0]
	v_mov_b32_e32 v25, v7
	v_pk_add_f32 v[6:7], v[20:21], v[24:25]
	v_mov_b32_e32 v20, v63
	v_pk_mul_f32 v[20:21], v[8:9], v[20:21] op_sel_hi:[1,0]
	v_pk_fma_f32 v[22:23], v[8:9], v[62:63], v[20:21] op_sel:[0,0,1] op_sel_hi:[1,1,0] neg_lo:[0,0,1] neg_hi:[0,0,1]
	v_pk_fma_f32 v[8:9], v[8:9], v[62:63], v[20:21] op_sel:[0,0,1] op_sel_hi:[1,0,0]
	v_mov_b32_e32 v8, v61
	v_mov_b32_e32 v23, v9
	s_waitcnt lgkmcnt(2)
	v_pk_mul_f32 v[8:9], v[10:11], v[8:9] op_sel_hi:[1,0]
	v_pk_fma_f32 v[20:21], v[10:11], v[60:61], v[8:9] op_sel:[0,0,1] op_sel_hi:[1,1,0] neg_lo:[0,0,1] neg_hi:[0,0,1]
	v_pk_fma_f32 v[8:9], v[10:11], v[60:61], v[8:9] op_sel:[0,0,1] op_sel_hi:[1,0,0]
	s_waitcnt vmcnt(1)
	v_mov_b32_e32 v8, v161
	v_mov_b32_e32 v21, v9
	v_pk_mul_f32 v[8:9], v[12:13], v[8:9] op_sel_hi:[1,0]
	s_waitcnt vmcnt(0)
	v_pk_fma_f32 v[10:11], v[12:13], v[160:161], v[8:9] op_sel:[0,0,1] op_sel_hi:[1,1,0] neg_lo:[0,0,1] neg_hi:[0,0,1]
	v_pk_fma_f32 v[8:9], v[12:13], v[160:161], v[8:9] op_sel:[0,0,1] op_sel_hi:[1,0,0]
	v_pk_add_f32 v[6:7], v[6:7], v[22:23]
	v_mov_b32_e32 v8, v159
	v_pk_add_f32 v[6:7], v[6:7], v[20:21]
	v_mov_b32_e32 v11, v9
	s_waitcnt lgkmcnt(1)
	v_pk_mul_f32 v[8:9], v[14:15], v[8:9] op_sel_hi:[1,0]
	v_pk_add_f32 v[6:7], v[6:7], v[10:11]
	v_pk_fma_f32 v[10:11], v[14:15], v[158:159], v[8:9] op_sel:[0,0,1] op_sel_hi:[1,1,0] neg_lo:[0,0,1] neg_hi:[0,0,1]
	v_pk_fma_f32 v[8:9], v[14:15], v[158:159], v[8:9] op_sel:[0,0,1] op_sel_hi:[1,0,0]
	v_mov_b32_e32 v8, v157
	v_mov_b32_e32 v11, v9
	v_pk_mul_f32 v[8:9], v[16:17], v[8:9] op_sel_hi:[1,0]
	v_pk_add_f32 v[6:7], v[6:7], v[10:11]
	v_pk_fma_f32 v[10:11], v[16:17], v[156:157], v[8:9] op_sel:[0,0,1] op_sel_hi:[1,1,0] neg_lo:[0,0,1] neg_hi:[0,0,1]
	v_pk_fma_f32 v[8:9], v[16:17], v[156:157], v[8:9] op_sel:[0,0,1] op_sel_hi:[1,0,0]
	v_mov_b32_e32 v8, v155
	v_mov_b32_e32 v11, v9
	s_waitcnt lgkmcnt(0)
	v_pk_mul_f32 v[8:9], v[18:19], v[8:9] op_sel_hi:[1,0]
	v_pk_add_f32 v[6:7], v[6:7], v[10:11]
	v_pk_fma_f32 v[10:11], v[18:19], v[154:155], v[8:9] op_sel:[0,0,1] op_sel_hi:[1,1,0] neg_lo:[0,0,1] neg_hi:[0,0,1]
	v_pk_fma_f32 v[8:9], v[18:19], v[154:155], v[8:9] op_sel:[0,0,1] op_sel_hi:[1,0,0]
	v_mov_b32_e32 v11, v9
	v_pk_add_f32 v[6:7], v[6:7], v[10:11]
	v_pk_add_f32 v[2:3], v[2:3], v[6:7] neg_lo:[0,1] neg_hi:[0,1]
	buffer_store_dword v3, off, s[0:3], 0 offset:92
	buffer_store_dword v2, off, s[0:3], 0 offset:88
	s_and_saveexec_b64 s[4:5], vcc
	s_cbranch_execz .LBB106_251
; %bb.250:
	buffer_load_dword v2, off, s[0:3], 0 offset:80
	buffer_load_dword v3, off, s[0:3], 0 offset:84
	s_waitcnt vmcnt(0)
	ds_write_b64 v1, v[2:3]
	buffer_store_dword v4, off, s[0:3], 0 offset:80
	buffer_store_dword v4, off, s[0:3], 0 offset:84
.LBB106_251:
	s_or_b64 exec, exec, s[4:5]
	s_waitcnt lgkmcnt(0)
	; wave barrier
	s_waitcnt lgkmcnt(0)
	buffer_load_dword v5, off, s[0:3], 0 offset:92
	buffer_load_dword v54, off, s[0:3], 0 offset:100
	buffer_load_dword v56, off, s[0:3], 0 offset:108
	buffer_load_dword v64, off, s[0:3], 0 offset:116
	buffer_load_dword v162, off, s[0:3], 0 offset:124
	buffer_load_dword v163, off, s[0:3], 0 offset:132
	buffer_load_dword v164, off, s[0:3], 0 offset:140
	buffer_load_dword v165, off, s[0:3], 0 offset:148
	buffer_load_dword v166, off, s[0:3], 0 offset:156
	buffer_load_dword v167, off, s[0:3], 0 offset:164
	buffer_load_dword v168, off, s[0:3], 0 offset:172
	buffer_load_dword v169, off, s[0:3], 0 offset:180
	buffer_load_dword v170, off, s[0:3], 0 offset:88
	buffer_load_dword v171, off, s[0:3], 0 offset:96
	buffer_load_dword v172, off, s[0:3], 0 offset:104
	buffer_load_dword v173, off, s[0:3], 0 offset:112
	buffer_load_dword v174, off, s[0:3], 0 offset:120
	buffer_load_dword v175, off, s[0:3], 0 offset:128
	buffer_load_dword v176, off, s[0:3], 0 offset:136
	buffer_load_dword v177, off, s[0:3], 0 offset:144
	buffer_load_dword v178, off, s[0:3], 0 offset:152
	buffer_load_dword v179, off, s[0:3], 0 offset:160
	buffer_load_dword v180, off, s[0:3], 0 offset:168
	buffer_load_dword v181, off, s[0:3], 0 offset:176
	buffer_load_dword v182, off, s[0:3], 0 offset:188
	buffer_load_dword v183, off, s[0:3], 0 offset:184
	buffer_load_dword v184, off, s[0:3], 0 offset:196
	buffer_load_dword v185, off, s[0:3], 0 offset:192
	buffer_load_dword v186, off, s[0:3], 0 offset:204
	buffer_load_dword v187, off, s[0:3], 0 offset:200
	buffer_load_dword v188, off, s[0:3], 0 offset:212
	buffer_load_dword v189, off, s[0:3], 0 offset:208
	buffer_load_dword v190, off, s[0:3], 0 offset:220
	buffer_load_dword v191, off, s[0:3], 0 offset:216
	buffer_load_dword v192, off, s[0:3], 0 offset:228
	buffer_load_dword v193, off, s[0:3], 0 offset:224
	buffer_load_dword v194, off, s[0:3], 0 offset:236
	buffer_load_dword v195, off, s[0:3], 0 offset:232
	buffer_load_dword v196, off, s[0:3], 0 offset:244
	buffer_load_dword v197, off, s[0:3], 0 offset:240
	buffer_load_dword v2, off, s[0:3], 0 offset:80
	buffer_load_dword v3, off, s[0:3], 0 offset:84
	buffer_load_dword v198, off, s[0:3], 0 offset:252
	buffer_load_dword v199, off, s[0:3], 0 offset:248
	buffer_load_dword v200, off, s[0:3], 0 offset:256
	buffer_load_dword v201, off, s[0:3], 0 offset:260
	buffer_load_dword v202, off, s[0:3], 0 offset:264
	buffer_load_dword v203, off, s[0:3], 0 offset:268
	ds_read2_b64 v[6:9], v4 offset0:55 offset1:56
	ds_read2_b64 v[10:13], v4 offset0:57 offset1:58
	ds_read2_b64 v[14:17], v4 offset0:59 offset1:60
	ds_read2_b64 v[18:21], v4 offset0:61 offset1:62
	ds_read2_b64 v[22:25], v4 offset0:63 offset1:64
	ds_read2_b64 v[26:29], v4 offset0:65 offset1:66
	buffer_load_dword v204, off, s[0:3], 0 offset:272
	buffer_load_dword v205, off, s[0:3], 0 offset:276
	v_cmp_lt_u32_e32 vcc, 9, v0
	s_waitcnt vmcnt(49) lgkmcnt(5)
	v_mul_f32_e32 v30, v6, v5
	s_waitcnt vmcnt(48)
	v_mul_f32_e32 v31, v8, v54
	s_waitcnt vmcnt(47) lgkmcnt(4)
	v_mul_f32_e32 v32, v10, v56
	s_waitcnt vmcnt(46)
	v_mul_f32_e32 v33, v12, v64
	;; [unrolled: 4-line block ×6, first 2 shown]
	s_waitcnt vmcnt(37)
	v_fmac_f32_e32 v30, v7, v170
	s_waitcnt vmcnt(36)
	v_fmac_f32_e32 v31, v9, v171
	v_add_f32_e32 v30, 0, v30
	s_waitcnt vmcnt(35)
	v_fmac_f32_e32 v32, v11, v172
	v_add_f32_e32 v30, v30, v31
	;; [unrolled: 3-line block ×9, first 2 shown]
	v_add_f32_e32 v34, v30, v39
	ds_read2_b64 v[30:33], v4 offset0:67 offset1:68
	s_waitcnt vmcnt(27)
	v_fmac_f32_e32 v40, v27, v180
	v_add_f32_e32 v34, v34, v40
	s_waitcnt vmcnt(26)
	v_fmac_f32_e32 v41, v29, v181
	v_add_f32_e32 v38, v34, v41
	ds_read2_b64 v[34:37], v4 offset0:69 offset1:70
	s_waitcnt vmcnt(25) lgkmcnt(1)
	v_mul_f32_e32 v39, v30, v182
	s_waitcnt vmcnt(24)
	v_fmac_f32_e32 v39, v31, v183
	v_add_f32_e32 v38, v38, v39
	s_waitcnt vmcnt(23)
	v_mul_f32_e32 v39, v32, v184
	s_waitcnt vmcnt(22)
	v_fmac_f32_e32 v39, v33, v185
	v_add_f32_e32 v38, v38, v39
	s_waitcnt vmcnt(21) lgkmcnt(0)
	v_mul_f32_e32 v39, v34, v186
	s_waitcnt vmcnt(20)
	v_fmac_f32_e32 v39, v35, v187
	v_add_f32_e32 v42, v38, v39
	ds_read2_b64 v[38:41], v4 offset0:71 offset1:72
	s_waitcnt vmcnt(19)
	v_mul_f32_e32 v43, v36, v188
	s_waitcnt vmcnt(18)
	v_fmac_f32_e32 v43, v37, v189
	v_add_f32_e32 v46, v42, v43
	ds_read2_b64 v[42:45], v4 offset0:73 offset1:74
	s_waitcnt vmcnt(17) lgkmcnt(1)
	v_mul_f32_e32 v47, v38, v190
	s_waitcnt vmcnt(16)
	v_fmac_f32_e32 v47, v39, v191
	v_add_f32_e32 v46, v46, v47
	s_waitcnt vmcnt(15)
	v_mul_f32_e32 v47, v40, v192
	s_waitcnt vmcnt(14)
	v_fmac_f32_e32 v47, v41, v193
	v_add_f32_e32 v46, v46, v47
	s_waitcnt vmcnt(13) lgkmcnt(0)
	v_mul_f32_e32 v47, v42, v194
	s_waitcnt vmcnt(12)
	v_fmac_f32_e32 v47, v43, v195
	s_waitcnt vmcnt(11)
	v_mul_f32_e32 v51, v44, v196
	v_add_f32_e32 v50, v46, v47
	s_waitcnt vmcnt(10)
	v_fmac_f32_e32 v51, v45, v197
	ds_read2_b64 v[46:49], v4 offset0:75 offset1:76
	v_add_f32_e32 v55, v50, v51
	ds_read2_b64 v[50:53], v4 offset0:77 offset1:78
	buffer_load_dword v59, off, s[0:3], 0 offset:300
	buffer_load_dword v58, off, s[0:3], 0 offset:296
	;; [unrolled: 1-line block ×16, first 2 shown]
	v_mul_f32_e32 v5, v7, v5
	v_fma_f32 v5, v6, v170, -v5
	v_mul_f32_e32 v6, v9, v54
	v_add_f32_e32 v5, 0, v5
	v_fma_f32 v6, v8, v171, -v6
	v_add_f32_e32 v5, v5, v6
	v_mul_f32_e32 v6, v11, v56
	v_fma_f32 v6, v10, v172, -v6
	v_add_f32_e32 v5, v5, v6
	v_mul_f32_e32 v6, v13, v64
	;; [unrolled: 3-line block ×18, first 2 shown]
	v_fma_f32 v6, v44, v197, -v6
	v_add_f32_e32 v5, v5, v6
	s_waitcnt vmcnt(23) lgkmcnt(1)
	v_mul_f32_e32 v6, v47, v198
	s_waitcnt vmcnt(22)
	v_fma_f32 v6, v46, v199, -v6
	v_add_f32_e32 v5, v5, v6
	s_waitcnt vmcnt(20)
	v_mul_f32_e32 v6, v49, v201
	v_fma_f32 v6, v48, v200, -v6
	v_add_f32_e32 v54, v5, v6
	ds_read2_b64 v[6:9], v4 offset0:79 offset1:80
	ds_read2_b64 v[10:13], v4 offset0:81 offset1:82
	;; [unrolled: 1-line block ×4, first 2 shown]
	v_mul_f32_e32 v57, v46, v198
	v_fmac_f32_e32 v57, v47, v199
	v_add_f32_e32 v55, v55, v57
	v_mul_f32_e32 v57, v48, v201
	v_fmac_f32_e32 v57, v49, v200
	v_add_f32_e32 v55, v55, v57
	s_waitcnt vmcnt(18) lgkmcnt(4)
	v_mul_f32_e32 v57, v50, v203
	v_mul_f32_e32 v5, v51, v203
	v_fmac_f32_e32 v57, v51, v202
	s_waitcnt vmcnt(16)
	v_mul_f32_e32 v65, v52, v205
	s_waitcnt vmcnt(11)
	v_mov_b32_e32 v22, v63
	s_waitcnt lgkmcnt(3)
	v_pk_mul_f32 v[22:23], v[6:7], v[22:23] op_sel_hi:[1,0]
	s_waitcnt vmcnt(10)
	v_pk_fma_f32 v[24:25], v[6:7], v[62:63], v[22:23] op_sel:[0,0,1] op_sel_hi:[1,1,0] neg_lo:[0,0,1] neg_hi:[0,0,1]
	v_pk_fma_f32 v[6:7], v[6:7], v[62:63], v[22:23] op_sel:[0,0,1] op_sel_hi:[1,0,0]
	v_mov_b32_e32 v6, v61
	v_mov_b32_e32 v25, v7
	v_pk_mul_f32 v[6:7], v[8:9], v[6:7] op_sel_hi:[1,0]
	v_pk_fma_f32 v[22:23], v[8:9], v[60:61], v[6:7] op_sel:[0,0,1] op_sel_hi:[1,1,0] neg_lo:[0,0,1] neg_hi:[0,0,1]
	v_pk_fma_f32 v[6:7], v[8:9], v[60:61], v[6:7] op_sel:[0,0,1] op_sel_hi:[1,0,0]
	v_fma_f32 v56, v50, v202, -v5
	v_mul_f32_e32 v5, v53, v205
	v_mov_b32_e32 v6, v59
	v_fmac_f32_e32 v65, v53, v204
	v_fma_f32 v64, v52, v204, -v5
	v_pk_add_f32 v[4:5], v[54:55], v[56:57]
	v_mov_b32_e32 v23, v7
	s_waitcnt lgkmcnt(2)
	v_pk_mul_f32 v[6:7], v[10:11], v[6:7] op_sel_hi:[1,0]
	v_pk_add_f32 v[4:5], v[4:5], v[64:65]
	v_pk_fma_f32 v[8:9], v[10:11], v[58:59], v[6:7] op_sel:[0,0,1] op_sel_hi:[1,1,0] neg_lo:[0,0,1] neg_hi:[0,0,1]
	v_pk_fma_f32 v[6:7], v[10:11], v[58:59], v[6:7] op_sel:[0,0,1] op_sel_hi:[1,0,0]
	v_pk_add_f32 v[4:5], v[4:5], v[24:25]
	s_waitcnt vmcnt(3)
	v_mov_b32_e32 v6, v159
	v_pk_add_f32 v[4:5], v[4:5], v[22:23]
	v_mov_b32_e32 v9, v7
	v_pk_mul_f32 v[6:7], v[12:13], v[6:7] op_sel_hi:[1,0]
	v_pk_add_f32 v[4:5], v[4:5], v[8:9]
	s_waitcnt vmcnt(2)
	v_pk_fma_f32 v[8:9], v[12:13], v[158:159], v[6:7] op_sel:[0,0,1] op_sel_hi:[1,1,0] neg_lo:[0,0,1] neg_hi:[0,0,1]
	v_pk_fma_f32 v[6:7], v[12:13], v[158:159], v[6:7] op_sel:[0,0,1] op_sel_hi:[1,0,0]
	v_mov_b32_e32 v6, v157
	v_mov_b32_e32 v9, v7
	s_waitcnt lgkmcnt(1)
	v_pk_mul_f32 v[6:7], v[14:15], v[6:7] op_sel_hi:[1,0]
	v_pk_add_f32 v[4:5], v[4:5], v[8:9]
	v_pk_fma_f32 v[8:9], v[14:15], v[156:157], v[6:7] op_sel:[0,0,1] op_sel_hi:[1,1,0] neg_lo:[0,0,1] neg_hi:[0,0,1]
	v_pk_fma_f32 v[6:7], v[14:15], v[156:157], v[6:7] op_sel:[0,0,1] op_sel_hi:[1,0,0]
	v_mov_b32_e32 v6, v155
	v_mov_b32_e32 v9, v7
	v_pk_mul_f32 v[6:7], v[16:17], v[6:7] op_sel_hi:[1,0]
	v_pk_add_f32 v[4:5], v[4:5], v[8:9]
	v_pk_fma_f32 v[8:9], v[16:17], v[154:155], v[6:7] op_sel:[0,0,1] op_sel_hi:[1,1,0] neg_lo:[0,0,1] neg_hi:[0,0,1]
	v_pk_fma_f32 v[6:7], v[16:17], v[154:155], v[6:7] op_sel:[0,0,1] op_sel_hi:[1,0,0]
	v_mov_b32_e32 v6, v153
	v_mov_b32_e32 v9, v7
	s_waitcnt lgkmcnt(0)
	v_pk_mul_f32 v[6:7], v[18:19], v[6:7] op_sel_hi:[1,0]
	v_pk_add_f32 v[4:5], v[4:5], v[8:9]
	v_pk_fma_f32 v[8:9], v[18:19], v[152:153], v[6:7] op_sel:[0,0,1] op_sel_hi:[1,1,0] neg_lo:[0,0,1] neg_hi:[0,0,1]
	v_pk_fma_f32 v[6:7], v[18:19], v[152:153], v[6:7] op_sel:[0,0,1] op_sel_hi:[1,0,0]
	s_waitcnt vmcnt(1)
	v_mov_b32_e32 v6, v161
	v_mov_b32_e32 v9, v7
	v_pk_mul_f32 v[6:7], v[20:21], v[6:7] op_sel_hi:[1,0]
	v_pk_add_f32 v[4:5], v[4:5], v[8:9]
	s_waitcnt vmcnt(0)
	v_pk_fma_f32 v[8:9], v[20:21], v[160:161], v[6:7] op_sel:[0,0,1] op_sel_hi:[1,1,0] neg_lo:[0,0,1] neg_hi:[0,0,1]
	v_pk_fma_f32 v[6:7], v[20:21], v[160:161], v[6:7] op_sel:[0,0,1] op_sel_hi:[1,0,0]
	v_mov_b32_e32 v9, v7
	v_pk_add_f32 v[4:5], v[4:5], v[8:9]
	v_pk_add_f32 v[2:3], v[2:3], v[4:5] neg_lo:[0,1] neg_hi:[0,1]
	buffer_store_dword v3, off, s[0:3], 0 offset:84
	buffer_store_dword v2, off, s[0:3], 0 offset:80
	s_and_saveexec_b64 s[4:5], vcc
	s_cbranch_execz .LBB106_253
; %bb.252:
	buffer_load_dword v2, off, s[0:3], 0 offset:72
	buffer_load_dword v3, off, s[0:3], 0 offset:76
	v_mov_b32_e32 v4, 0
	buffer_store_dword v4, off, s[0:3], 0 offset:72
	buffer_store_dword v4, off, s[0:3], 0 offset:76
	s_waitcnt vmcnt(2)
	ds_write_b64 v1, v[2:3]
.LBB106_253:
	s_or_b64 exec, exec, s[4:5]
	s_waitcnt lgkmcnt(0)
	; wave barrier
	s_waitcnt lgkmcnt(0)
	buffer_load_dword v5, off, s[0:3], 0 offset:84
	buffer_load_dword v62, off, s[0:3], 0 offset:92
	;; [unrolled: 1-line block ×52, first 2 shown]
	v_mov_b32_e32 v4, 0
	ds_read_b128 v[6:9], v4 offset:432
	ds_read_b128 v[10:13], v4 offset:448
	;; [unrolled: 1-line block ×6, first 2 shown]
	v_cmp_lt_u32_e32 vcc, 8, v0
	s_waitcnt vmcnt(51) lgkmcnt(5)
	v_mul_f32_e32 v30, v6, v5
	s_waitcnt vmcnt(50)
	v_mul_f32_e32 v31, v8, v62
	s_waitcnt vmcnt(49) lgkmcnt(4)
	v_mul_f32_e32 v32, v10, v154
	s_waitcnt vmcnt(48)
	v_mul_f32_e32 v33, v12, v156
	;; [unrolled: 4-line block ×5, first 2 shown]
	s_waitcnt vmcnt(41) lgkmcnt(0)
	v_mul_f32_e32 v40, v26, v176
	s_waitcnt vmcnt(40)
	v_fmac_f32_e32 v30, v7, v177
	s_waitcnt vmcnt(39)
	v_fmac_f32_e32 v31, v9, v178
	v_add_f32_e32 v30, 0, v30
	s_waitcnt vmcnt(38)
	v_fmac_f32_e32 v32, v11, v179
	v_add_f32_e32 v30, v30, v31
	;; [unrolled: 3-line block ×9, first 2 shown]
	v_add_f32_e32 v30, v30, v39
	s_waitcnt vmcnt(30)
	v_fmac_f32_e32 v40, v27, v187
	v_add_f32_e32 v34, v30, v40
	ds_read_b128 v[30:33], v4 offset:528
	s_waitcnt vmcnt(29)
	v_mul_f32_e32 v35, v28, v188
	s_waitcnt vmcnt(28)
	v_fmac_f32_e32 v35, v29, v189
	v_add_f32_e32 v38, v34, v35
	ds_read_b128 v[34:37], v4 offset:544
	s_waitcnt vmcnt(27) lgkmcnt(1)
	v_mul_f32_e32 v39, v30, v190
	s_waitcnt vmcnt(26)
	v_fmac_f32_e32 v39, v31, v191
	v_add_f32_e32 v38, v38, v39
	s_waitcnt vmcnt(25)
	v_mul_f32_e32 v39, v32, v192
	s_waitcnt vmcnt(24)
	v_fmac_f32_e32 v39, v33, v193
	v_add_f32_e32 v38, v38, v39
	s_waitcnt vmcnt(23) lgkmcnt(0)
	v_mul_f32_e32 v39, v34, v194
	s_waitcnt vmcnt(22)
	v_fmac_f32_e32 v39, v35, v195
	v_add_f32_e32 v42, v38, v39
	ds_read_b128 v[38:41], v4 offset:560
	s_waitcnt vmcnt(21)
	v_mul_f32_e32 v43, v36, v196
	s_waitcnt vmcnt(20)
	v_fmac_f32_e32 v43, v37, v197
	v_add_f32_e32 v46, v42, v43
	ds_read_b128 v[42:45], v4 offset:576
	s_waitcnt vmcnt(19) lgkmcnt(1)
	v_mul_f32_e32 v47, v38, v198
	s_waitcnt vmcnt(18)
	v_fmac_f32_e32 v47, v39, v199
	v_add_f32_e32 v46, v46, v47
	s_waitcnt vmcnt(17)
	v_mul_f32_e32 v47, v40, v200
	s_waitcnt vmcnt(16)
	v_fmac_f32_e32 v47, v41, v201
	v_add_f32_e32 v46, v46, v47
	s_waitcnt vmcnt(14) lgkmcnt(0)
	v_mul_f32_e32 v47, v42, v203
	v_fmac_f32_e32 v47, v43, v202
	v_add_f32_e32 v50, v46, v47
	ds_read_b128 v[46:49], v4 offset:592
	s_waitcnt vmcnt(10)
	v_mul_f32_e32 v51, v44, v205
	v_fmac_f32_e32 v51, v45, v204
	v_add_f32_e32 v54, v50, v51
	ds_read_b128 v[50:53], v4 offset:608
	s_waitcnt vmcnt(8) lgkmcnt(1)
	v_mul_f32_e32 v55, v46, v207
	v_fmac_f32_e32 v55, v47, v206
	v_add_f32_e32 v54, v54, v55
	s_waitcnt vmcnt(6)
	v_mul_f32_e32 v55, v48, v209
	v_fmac_f32_e32 v55, v49, v208
	v_add_f32_e32 v54, v54, v55
	s_waitcnt vmcnt(4) lgkmcnt(0)
	v_mul_f32_e32 v55, v50, v211
	v_fmac_f32_e32 v55, v51, v210
	v_add_f32_e32 v63, v54, v55
	ds_read_b128 v[54:57], v4 offset:624
	buffer_load_dword v65, off, s[0:3], 0 offset:292
	buffer_load_dword v64, off, s[0:3], 0 offset:288
	;; [unrolled: 1-line block ×4, first 2 shown]
	ds_read_b128 v[58:61], v4 offset:640
	buffer_load_dword v159, off, s[0:3], 0 offset:324
	buffer_load_dword v158, off, s[0:3], 0 offset:320
	;; [unrolled: 1-line block ×12, first 2 shown]
	v_mul_f32_e32 v5, v7, v5
	v_fma_f32 v5, v6, v177, -v5
	v_mul_f32_e32 v6, v9, v62
	v_add_f32_e32 v5, 0, v5
	v_fma_f32 v6, v8, v178, -v6
	v_add_f32_e32 v5, v5, v6
	v_mul_f32_e32 v6, v11, v154
	v_fma_f32 v6, v10, v179, -v6
	v_add_f32_e32 v5, v5, v6
	v_mul_f32_e32 v6, v13, v156
	;; [unrolled: 3-line block ×21, first 2 shown]
	v_fma_f32 v6, v50, v210, -v6
	s_waitcnt vmcnt(18)
	v_mul_f32_e32 v155, v52, v213
	v_add_f32_e32 v62, v5, v6
	v_mul_f32_e32 v5, v53, v213
	v_fmac_f32_e32 v155, v53, v212
	s_waitcnt vmcnt(16) lgkmcnt(1)
	v_mul_f32_e32 v157, v54, v215
	v_fma_f32 v154, v52, v212, -v5
	v_mul_f32_e32 v5, v55, v215
	v_fmac_f32_e32 v157, v55, v214
	s_waitcnt vmcnt(13)
	v_mov_b32_e32 v18, v153
	v_pk_mul_f32 v[18:19], v[56:57], v[18:19] op_sel_hi:[1,0]
	s_waitcnt vmcnt(12)
	v_pk_fma_f32 v[20:21], v[56:57], v[152:153], v[18:19] op_sel:[0,0,1] op_sel_hi:[1,1,0] neg_lo:[0,0,1] neg_hi:[0,0,1]
	v_pk_fma_f32 v[18:19], v[56:57], v[152:153], v[18:19] op_sel:[0,0,1] op_sel_hi:[1,0,0]
	v_fma_f32 v156, v54, v214, -v5
	v_pk_add_f32 v[16:17], v[62:63], v[154:155]
	v_mov_b32_e32 v18, v65
	v_pk_add_f32 v[16:17], v[16:17], v[156:157]
	v_mov_b32_e32 v21, v19
	s_waitcnt lgkmcnt(0)
	v_pk_mul_f32 v[18:19], v[58:59], v[18:19] op_sel_hi:[1,0]
	v_pk_add_f32 v[16:17], v[16:17], v[20:21]
	v_pk_fma_f32 v[20:21], v[58:59], v[64:65], v[18:19] op_sel:[0,0,1] op_sel_hi:[1,1,0] neg_lo:[0,0,1] neg_hi:[0,0,1]
	v_pk_fma_f32 v[18:19], v[58:59], v[64:65], v[18:19] op_sel:[0,0,1] op_sel_hi:[1,0,0]
	s_waitcnt vmcnt(5)
	v_mov_b32_e32 v18, v165
	ds_read_b128 v[6:9], v4 offset:656
	ds_read_b128 v[10:13], v4 offset:672
	ds_read_b64 v[14:15], v4 offset:688
	v_mov_b32_e32 v21, v19
	v_pk_mul_f32 v[18:19], v[60:61], v[18:19] op_sel_hi:[1,0]
	v_pk_add_f32 v[16:17], v[16:17], v[20:21]
	s_waitcnt vmcnt(4)
	v_pk_fma_f32 v[20:21], v[60:61], v[164:165], v[18:19] op_sel:[0,0,1] op_sel_hi:[1,1,0] neg_lo:[0,0,1] neg_hi:[0,0,1]
	v_pk_fma_f32 v[18:19], v[60:61], v[164:165], v[18:19] op_sel:[0,0,1] op_sel_hi:[1,0,0]
	v_mov_b32_e32 v18, v163
	v_mov_b32_e32 v21, v19
	s_waitcnt lgkmcnt(2)
	v_pk_mul_f32 v[18:19], v[6:7], v[18:19] op_sel_hi:[1,0]
	v_pk_add_f32 v[16:17], v[16:17], v[20:21]
	v_pk_fma_f32 v[20:21], v[6:7], v[162:163], v[18:19] op_sel:[0,0,1] op_sel_hi:[1,1,0] neg_lo:[0,0,1] neg_hi:[0,0,1]
	v_pk_fma_f32 v[6:7], v[6:7], v[162:163], v[18:19] op_sel:[0,0,1] op_sel_hi:[1,0,0]
	v_mov_b32_e32 v21, v7
	v_pk_add_f32 v[6:7], v[16:17], v[20:21]
	v_mov_b32_e32 v16, v161
	v_pk_mul_f32 v[16:17], v[8:9], v[16:17] op_sel_hi:[1,0]
	v_pk_fma_f32 v[18:19], v[8:9], v[160:161], v[16:17] op_sel:[0,0,1] op_sel_hi:[1,1,0] neg_lo:[0,0,1] neg_hi:[0,0,1]
	v_pk_fma_f32 v[8:9], v[8:9], v[160:161], v[16:17] op_sel:[0,0,1] op_sel_hi:[1,0,0]
	v_mov_b32_e32 v8, v159
	v_mov_b32_e32 v19, v9
	s_waitcnt lgkmcnt(1)
	v_pk_mul_f32 v[8:9], v[10:11], v[8:9] op_sel_hi:[1,0]
	v_pk_fma_f32 v[16:17], v[10:11], v[158:159], v[8:9] op_sel:[0,0,1] op_sel_hi:[1,1,0] neg_lo:[0,0,1] neg_hi:[0,0,1]
	v_pk_fma_f32 v[8:9], v[10:11], v[158:159], v[8:9] op_sel:[0,0,1] op_sel_hi:[1,0,0]
	s_waitcnt vmcnt(1)
	v_mov_b32_e32 v8, v169
	v_mov_b32_e32 v17, v9
	v_pk_mul_f32 v[8:9], v[12:13], v[8:9] op_sel_hi:[1,0]
	s_waitcnt vmcnt(0)
	v_pk_fma_f32 v[10:11], v[12:13], v[168:169], v[8:9] op_sel:[0,0,1] op_sel_hi:[1,1,0] neg_lo:[0,0,1] neg_hi:[0,0,1]
	v_pk_fma_f32 v[8:9], v[12:13], v[168:169], v[8:9] op_sel:[0,0,1] op_sel_hi:[1,0,0]
	v_pk_add_f32 v[6:7], v[6:7], v[18:19]
	v_mov_b32_e32 v8, v167
	v_pk_add_f32 v[6:7], v[6:7], v[16:17]
	v_mov_b32_e32 v11, v9
	s_waitcnt lgkmcnt(0)
	v_pk_mul_f32 v[8:9], v[14:15], v[8:9] op_sel_hi:[1,0]
	v_pk_add_f32 v[6:7], v[6:7], v[10:11]
	v_pk_fma_f32 v[10:11], v[14:15], v[166:167], v[8:9] op_sel:[0,0,1] op_sel_hi:[1,1,0] neg_lo:[0,0,1] neg_hi:[0,0,1]
	v_pk_fma_f32 v[8:9], v[14:15], v[166:167], v[8:9] op_sel:[0,0,1] op_sel_hi:[1,0,0]
	v_mov_b32_e32 v11, v9
	v_pk_add_f32 v[6:7], v[6:7], v[10:11]
	v_pk_add_f32 v[2:3], v[2:3], v[6:7] neg_lo:[0,1] neg_hi:[0,1]
	buffer_store_dword v3, off, s[0:3], 0 offset:76
	buffer_store_dword v2, off, s[0:3], 0 offset:72
	s_and_saveexec_b64 s[4:5], vcc
	s_cbranch_execz .LBB106_255
; %bb.254:
	buffer_load_dword v2, off, s[0:3], 0 offset:64
	buffer_load_dword v3, off, s[0:3], 0 offset:68
	s_waitcnt vmcnt(0)
	ds_write_b64 v1, v[2:3]
	buffer_store_dword v4, off, s[0:3], 0 offset:64
	buffer_store_dword v4, off, s[0:3], 0 offset:68
.LBB106_255:
	s_or_b64 exec, exec, s[4:5]
	s_waitcnt lgkmcnt(0)
	; wave barrier
	s_waitcnt lgkmcnt(0)
	buffer_load_dword v5, off, s[0:3], 0 offset:76
	buffer_load_dword v64, off, s[0:3], 0 offset:84
	;; [unrolled: 1-line block ×42, first 2 shown]
	ds_read2_b64 v[6:9], v4 offset0:53 offset1:54
	ds_read2_b64 v[10:13], v4 offset0:55 offset1:56
	buffer_load_dword v206, off, s[0:3], 0 offset:232
	buffer_load_dword v207, off, s[0:3], 0 offset:236
	ds_read2_b64 v[14:17], v4 offset0:57 offset1:58
	ds_read2_b64 v[18:21], v4 offset0:59 offset1:60
	buffer_load_dword v208, off, s[0:3], 0 offset:240
	buffer_load_dword v209, off, s[0:3], 0 offset:244
	;; [unrolled: 1-line block ×4, first 2 shown]
	ds_read2_b64 v[22:25], v4 offset0:61 offset1:62
	ds_read2_b64 v[26:29], v4 offset0:63 offset1:64
	buffer_load_dword v212, off, s[0:3], 0 offset:256
	buffer_load_dword v213, off, s[0:3], 0 offset:260
	;; [unrolled: 1-line block ×6, first 2 shown]
	v_cmp_lt_u32_e32 vcc, 7, v0
	s_waitcnt vmcnt(53) lgkmcnt(5)
	v_mul_f32_e32 v30, v6, v5
	s_waitcnt vmcnt(52)
	v_mul_f32_e32 v31, v8, v64
	s_waitcnt vmcnt(51) lgkmcnt(4)
	v_mul_f32_e32 v32, v10, v152
	s_waitcnt vmcnt(50)
	v_mul_f32_e32 v33, v12, v154
	;; [unrolled: 4-line block ×5, first 2 shown]
	s_waitcnt vmcnt(43)
	v_fmac_f32_e32 v30, v7, v176
	s_waitcnt vmcnt(42)
	v_fmac_f32_e32 v31, v9, v177
	v_add_f32_e32 v30, 0, v30
	s_waitcnt vmcnt(41)
	v_fmac_f32_e32 v32, v11, v178
	v_add_f32_e32 v30, v30, v31
	;; [unrolled: 3-line block ×9, first 2 shown]
	s_waitcnt vmcnt(33) lgkmcnt(0)
	v_mul_f32_e32 v31, v26, v186
	v_add_f32_e32 v30, v30, v39
	s_waitcnt vmcnt(32)
	v_fmac_f32_e32 v31, v27, v187
	v_add_f32_e32 v34, v30, v31
	ds_read2_b64 v[30:33], v4 offset0:65 offset1:66
	s_waitcnt vmcnt(31)
	v_mul_f32_e32 v35, v28, v188
	s_waitcnt vmcnt(30)
	v_fmac_f32_e32 v35, v29, v189
	v_add_f32_e32 v38, v34, v35
	ds_read2_b64 v[34:37], v4 offset0:67 offset1:68
	s_waitcnt vmcnt(29) lgkmcnt(1)
	v_mul_f32_e32 v39, v30, v190
	s_waitcnt vmcnt(28)
	v_fmac_f32_e32 v39, v31, v191
	v_add_f32_e32 v38, v38, v39
	s_waitcnt vmcnt(27)
	v_mul_f32_e32 v39, v32, v192
	s_waitcnt vmcnt(26)
	v_fmac_f32_e32 v39, v33, v193
	v_add_f32_e32 v38, v38, v39
	s_waitcnt vmcnt(25) lgkmcnt(0)
	v_mul_f32_e32 v39, v34, v194
	s_waitcnt vmcnt(24)
	v_fmac_f32_e32 v39, v35, v195
	v_add_f32_e32 v42, v38, v39
	ds_read2_b64 v[38:41], v4 offset0:69 offset1:70
	s_waitcnt vmcnt(23)
	v_mul_f32_e32 v43, v36, v196
	s_waitcnt vmcnt(22)
	v_fmac_f32_e32 v43, v37, v197
	v_add_f32_e32 v46, v42, v43
	ds_read2_b64 v[42:45], v4 offset0:71 offset1:72
	s_waitcnt vmcnt(21) lgkmcnt(1)
	v_mul_f32_e32 v47, v38, v198
	s_waitcnt vmcnt(20)
	v_fmac_f32_e32 v47, v39, v199
	v_add_f32_e32 v46, v46, v47
	s_waitcnt vmcnt(18)
	v_mul_f32_e32 v47, v40, v201
	v_fmac_f32_e32 v47, v41, v200
	v_add_f32_e32 v46, v46, v47
	s_waitcnt vmcnt(15) lgkmcnt(0)
	v_mul_f32_e32 v47, v42, v202
	s_waitcnt vmcnt(14)
	v_fmac_f32_e32 v47, v43, v203
	v_add_f32_e32 v50, v46, v47
	ds_read2_b64 v[46:49], v4 offset0:73 offset1:74
	s_waitcnt vmcnt(12)
	v_mul_f32_e32 v51, v44, v205
	v_fmac_f32_e32 v51, v45, v204
	v_add_f32_e32 v54, v50, v51
	ds_read2_b64 v[50:53], v4 offset0:75 offset1:76
	buffer_load_dword v63, off, s[0:3], 0 offset:284
	buffer_load_dword v62, off, s[0:3], 0 offset:280
	s_waitcnt vmcnt(12) lgkmcnt(1)
	v_mul_f32_e32 v55, v46, v207
	v_fmac_f32_e32 v55, v47, v206
	v_add_f32_e32 v54, v54, v55
	s_waitcnt vmcnt(10)
	v_mul_f32_e32 v55, v48, v209
	v_fmac_f32_e32 v55, v49, v208
	v_add_f32_e32 v54, v54, v55
	s_waitcnt vmcnt(8) lgkmcnt(0)
	v_mul_f32_e32 v55, v50, v211
	v_fmac_f32_e32 v55, v51, v210
	s_waitcnt vmcnt(6)
	v_mul_f32_e32 v59, v52, v213
	v_add_f32_e32 v58, v54, v55
	v_fmac_f32_e32 v59, v53, v212
	ds_read2_b64 v[54:57], v4 offset0:77 offset1:78
	v_add_f32_e32 v65, v58, v59
	ds_read2_b64 v[58:61], v4 offset0:79 offset1:80
	buffer_load_dword v157, off, s[0:3], 0 offset:316
	buffer_load_dword v156, off, s[0:3], 0 offset:312
	;; [unrolled: 1-line block ×14, first 2 shown]
	v_mul_f32_e32 v5, v7, v5
	v_fma_f32 v5, v6, v176, -v5
	v_mul_f32_e32 v6, v9, v64
	v_add_f32_e32 v5, 0, v5
	v_fma_f32 v6, v8, v177, -v6
	v_add_f32_e32 v5, v5, v6
	v_mul_f32_e32 v6, v11, v152
	v_fma_f32 v6, v10, v178, -v6
	v_add_f32_e32 v5, v5, v6
	v_mul_f32_e32 v6, v13, v154
	;; [unrolled: 3-line block ×22, first 2 shown]
	v_fma_f32 v6, v52, v212, -v6
	s_waitcnt vmcnt(15)
	v_mov_b32_e32 v18, v63
	s_waitcnt lgkmcnt(1)
	v_mul_f32_e32 v153, v54, v215
	v_add_f32_e32 v64, v5, v6
	v_mul_f32_e32 v5, v55, v215
	s_waitcnt lgkmcnt(0)
	v_pk_mul_f32 v[18:19], v[58:59], v[18:19] op_sel_hi:[1,0]
	v_fmac_f32_e32 v153, v55, v214
	v_mul_f32_e32 v155, v56, v217
	v_fma_f32 v152, v54, v214, -v5
	v_mul_f32_e32 v5, v57, v217
	s_waitcnt vmcnt(14)
	v_pk_fma_f32 v[20:21], v[58:59], v[62:63], v[18:19] op_sel:[0,0,1] op_sel_hi:[1,1,0] neg_lo:[0,0,1] neg_hi:[0,0,1]
	v_pk_fma_f32 v[18:19], v[58:59], v[62:63], v[18:19] op_sel:[0,0,1] op_sel_hi:[1,0,0]
	v_fmac_f32_e32 v155, v57, v216
	v_fma_f32 v154, v56, v216, -v5
	ds_read2_b64 v[6:9], v4 offset0:81 offset1:82
	ds_read2_b64 v[10:13], v4 offset0:83 offset1:84
	ds_read2_b64 v[14:17], v4 offset0:85 offset1:86
	v_pk_add_f32 v[4:5], v[64:65], v[152:153]
	s_waitcnt vmcnt(7)
	v_mov_b32_e32 v18, v163
	v_pk_add_f32 v[4:5], v[4:5], v[154:155]
	v_mov_b32_e32 v21, v19
	v_pk_mul_f32 v[18:19], v[60:61], v[18:19] op_sel_hi:[1,0]
	v_pk_add_f32 v[4:5], v[4:5], v[20:21]
	s_waitcnt vmcnt(6)
	v_pk_fma_f32 v[20:21], v[60:61], v[162:163], v[18:19] op_sel:[0,0,1] op_sel_hi:[1,1,0] neg_lo:[0,0,1] neg_hi:[0,0,1]
	v_pk_fma_f32 v[18:19], v[60:61], v[162:163], v[18:19] op_sel:[0,0,1] op_sel_hi:[1,0,0]
	v_mov_b32_e32 v18, v161
	v_mov_b32_e32 v21, v19
	s_waitcnt lgkmcnt(2)
	v_pk_mul_f32 v[18:19], v[6:7], v[18:19] op_sel_hi:[1,0]
	v_pk_add_f32 v[4:5], v[4:5], v[20:21]
	v_pk_fma_f32 v[20:21], v[6:7], v[160:161], v[18:19] op_sel:[0,0,1] op_sel_hi:[1,1,0] neg_lo:[0,0,1] neg_hi:[0,0,1]
	v_pk_fma_f32 v[6:7], v[6:7], v[160:161], v[18:19] op_sel:[0,0,1] op_sel_hi:[1,0,0]
	v_mov_b32_e32 v6, v159
	v_mov_b32_e32 v21, v7
	v_pk_mul_f32 v[6:7], v[8:9], v[6:7] op_sel_hi:[1,0]
	v_pk_fma_f32 v[18:19], v[8:9], v[158:159], v[6:7] op_sel:[0,0,1] op_sel_hi:[1,1,0] neg_lo:[0,0,1] neg_hi:[0,0,1]
	v_pk_fma_f32 v[6:7], v[8:9], v[158:159], v[6:7] op_sel:[0,0,1] op_sel_hi:[1,0,0]
	v_mov_b32_e32 v6, v157
	v_mov_b32_e32 v19, v7
	s_waitcnt lgkmcnt(1)
	v_pk_mul_f32 v[6:7], v[10:11], v[6:7] op_sel_hi:[1,0]
	v_pk_fma_f32 v[8:9], v[10:11], v[156:157], v[6:7] op_sel:[0,0,1] op_sel_hi:[1,1,0] neg_lo:[0,0,1] neg_hi:[0,0,1]
	v_pk_fma_f32 v[6:7], v[10:11], v[156:157], v[6:7] op_sel:[0,0,1] op_sel_hi:[1,0,0]
	v_pk_add_f32 v[4:5], v[4:5], v[20:21]
	s_waitcnt vmcnt(1)
	v_mov_b32_e32 v6, v169
	v_pk_add_f32 v[4:5], v[4:5], v[18:19]
	v_mov_b32_e32 v9, v7
	v_pk_mul_f32 v[6:7], v[12:13], v[6:7] op_sel_hi:[1,0]
	v_pk_add_f32 v[4:5], v[4:5], v[8:9]
	s_waitcnt vmcnt(0)
	v_pk_fma_f32 v[8:9], v[12:13], v[168:169], v[6:7] op_sel:[0,0,1] op_sel_hi:[1,1,0] neg_lo:[0,0,1] neg_hi:[0,0,1]
	v_pk_fma_f32 v[6:7], v[12:13], v[168:169], v[6:7] op_sel:[0,0,1] op_sel_hi:[1,0,0]
	v_mov_b32_e32 v6, v167
	v_mov_b32_e32 v9, v7
	s_waitcnt lgkmcnt(0)
	v_pk_mul_f32 v[6:7], v[14:15], v[6:7] op_sel_hi:[1,0]
	v_pk_add_f32 v[4:5], v[4:5], v[8:9]
	v_pk_fma_f32 v[8:9], v[14:15], v[166:167], v[6:7] op_sel:[0,0,1] op_sel_hi:[1,1,0] neg_lo:[0,0,1] neg_hi:[0,0,1]
	v_pk_fma_f32 v[6:7], v[14:15], v[166:167], v[6:7] op_sel:[0,0,1] op_sel_hi:[1,0,0]
	v_mov_b32_e32 v6, v165
	v_mov_b32_e32 v9, v7
	v_pk_mul_f32 v[6:7], v[16:17], v[6:7] op_sel_hi:[1,0]
	v_pk_add_f32 v[4:5], v[4:5], v[8:9]
	v_pk_fma_f32 v[8:9], v[16:17], v[164:165], v[6:7] op_sel:[0,0,1] op_sel_hi:[1,1,0] neg_lo:[0,0,1] neg_hi:[0,0,1]
	v_pk_fma_f32 v[6:7], v[16:17], v[164:165], v[6:7] op_sel:[0,0,1] op_sel_hi:[1,0,0]
	v_mov_b32_e32 v9, v7
	v_pk_add_f32 v[4:5], v[4:5], v[8:9]
	v_pk_add_f32 v[2:3], v[2:3], v[4:5] neg_lo:[0,1] neg_hi:[0,1]
	buffer_store_dword v3, off, s[0:3], 0 offset:68
	buffer_store_dword v2, off, s[0:3], 0 offset:64
	s_and_saveexec_b64 s[4:5], vcc
	s_cbranch_execz .LBB106_257
; %bb.256:
	buffer_load_dword v2, off, s[0:3], 0 offset:56
	buffer_load_dword v3, off, s[0:3], 0 offset:60
	v_mov_b32_e32 v4, 0
	buffer_store_dword v4, off, s[0:3], 0 offset:56
	buffer_store_dword v4, off, s[0:3], 0 offset:60
	s_waitcnt vmcnt(2)
	ds_write_b64 v1, v[2:3]
.LBB106_257:
	s_or_b64 exec, exec, s[4:5]
	s_waitcnt lgkmcnt(0)
	; wave barrier
	s_waitcnt lgkmcnt(0)
	buffer_load_dword v5, off, s[0:3], 0 offset:68
	buffer_load_dword v62, off, s[0:3], 0 offset:76
	;; [unrolled: 1-line block ×56, first 2 shown]
	v_mov_b32_e32 v4, 0
	ds_read_b128 v[6:9], v4 offset:416
	ds_read_b128 v[10:13], v4 offset:432
	;; [unrolled: 1-line block ×6, first 2 shown]
	v_cmp_lt_u32_e32 vcc, 6, v0
	s_waitcnt vmcnt(55) lgkmcnt(5)
	v_mul_f32_e32 v30, v6, v5
	s_waitcnt vmcnt(54)
	v_mul_f32_e32 v31, v8, v62
	s_waitcnt vmcnt(53) lgkmcnt(4)
	v_mul_f32_e32 v32, v10, v64
	s_waitcnt vmcnt(52)
	v_mul_f32_e32 v33, v12, v152
	;; [unrolled: 4-line block ×4, first 2 shown]
	s_waitcnt vmcnt(47) lgkmcnt(1)
	v_mul_f32_e32 v38, v22, v174
	s_waitcnt vmcnt(46)
	v_fmac_f32_e32 v30, v7, v175
	s_waitcnt vmcnt(45)
	v_fmac_f32_e32 v31, v9, v176
	v_add_f32_e32 v30, 0, v30
	s_waitcnt vmcnt(44)
	v_fmac_f32_e32 v32, v11, v177
	v_add_f32_e32 v30, v30, v31
	;; [unrolled: 3-line block ×7, first 2 shown]
	v_add_f32_e32 v30, v30, v37
	s_waitcnt vmcnt(38)
	v_fmac_f32_e32 v38, v23, v183
	s_waitcnt vmcnt(37)
	v_mul_f32_e32 v31, v24, v184
	v_add_f32_e32 v30, v30, v38
	s_waitcnt vmcnt(36)
	v_fmac_f32_e32 v31, v25, v185
	v_add_f32_e32 v30, v30, v31
	s_waitcnt vmcnt(35) lgkmcnt(0)
	v_mul_f32_e32 v31, v26, v186
	s_waitcnt vmcnt(34)
	v_fmac_f32_e32 v31, v27, v187
	v_add_f32_e32 v34, v30, v31
	ds_read_b128 v[30:33], v4 offset:512
	s_waitcnt vmcnt(33)
	v_mul_f32_e32 v35, v28, v188
	s_waitcnt vmcnt(32)
	v_fmac_f32_e32 v35, v29, v189
	v_add_f32_e32 v38, v34, v35
	ds_read_b128 v[34:37], v4 offset:528
	s_waitcnt vmcnt(31) lgkmcnt(1)
	v_mul_f32_e32 v39, v30, v190
	s_waitcnt vmcnt(30)
	v_fmac_f32_e32 v39, v31, v191
	v_add_f32_e32 v38, v38, v39
	s_waitcnt vmcnt(29)
	v_mul_f32_e32 v39, v32, v192
	s_waitcnt vmcnt(28)
	v_fmac_f32_e32 v39, v33, v193
	v_add_f32_e32 v38, v38, v39
	s_waitcnt vmcnt(27) lgkmcnt(0)
	v_mul_f32_e32 v39, v34, v194
	s_waitcnt vmcnt(26)
	v_fmac_f32_e32 v39, v35, v195
	v_add_f32_e32 v42, v38, v39
	ds_read_b128 v[38:41], v4 offset:544
	s_waitcnt vmcnt(24)
	v_mul_f32_e32 v43, v36, v197
	v_fmac_f32_e32 v43, v37, v196
	v_add_f32_e32 v46, v42, v43
	ds_read_b128 v[42:45], v4 offset:560
	s_waitcnt vmcnt(20) lgkmcnt(1)
	v_mul_f32_e32 v47, v38, v199
	v_fmac_f32_e32 v47, v39, v198
	v_add_f32_e32 v46, v46, v47
	s_waitcnt vmcnt(18)
	v_mul_f32_e32 v47, v40, v201
	v_fmac_f32_e32 v47, v41, v200
	v_add_f32_e32 v46, v46, v47
	s_waitcnt vmcnt(16) lgkmcnt(0)
	v_mul_f32_e32 v47, v42, v203
	v_fmac_f32_e32 v47, v43, v202
	v_add_f32_e32 v50, v46, v47
	ds_read_b128 v[46:49], v4 offset:576
	s_waitcnt vmcnt(14)
	v_mul_f32_e32 v51, v44, v205
	v_fmac_f32_e32 v51, v45, v204
	v_add_f32_e32 v54, v50, v51
	ds_read_b128 v[50:53], v4 offset:592
	s_waitcnt vmcnt(12) lgkmcnt(1)
	v_mul_f32_e32 v55, v46, v207
	v_fmac_f32_e32 v55, v47, v206
	v_add_f32_e32 v54, v54, v55
	s_waitcnt vmcnt(10)
	v_mul_f32_e32 v55, v48, v209
	v_fmac_f32_e32 v55, v49, v208
	v_add_f32_e32 v54, v54, v55
	s_waitcnt vmcnt(8) lgkmcnt(0)
	v_mul_f32_e32 v55, v50, v211
	v_fmac_f32_e32 v55, v51, v210
	s_waitcnt vmcnt(6)
	v_mul_f32_e32 v59, v52, v213
	v_add_f32_e32 v58, v54, v55
	v_fmac_f32_e32 v59, v53, v212
	ds_read_b128 v[54:57], v4 offset:608
	v_add_f32_e32 v63, v58, v59
	ds_read_b128 v[58:61], v4 offset:624
	buffer_load_dword v155, off, s[0:3], 0 offset:308
	buffer_load_dword v154, off, s[0:3], 0 offset:304
	buffer_load_dword v157, off, s[0:3], 0 offset:300
	buffer_load_dword v156, off, s[0:3], 0 offset:296
	buffer_load_dword v159, off, s[0:3], 0 offset:292
	buffer_load_dword v158, off, s[0:3], 0 offset:288
	buffer_load_dword v161, off, s[0:3], 0 offset:284
	buffer_load_dword v160, off, s[0:3], 0 offset:280
	buffer_load_dword v163, off, s[0:3], 0 offset:340
	buffer_load_dword v162, off, s[0:3], 0 offset:336
	buffer_load_dword v165, off, s[0:3], 0 offset:332
	buffer_load_dword v164, off, s[0:3], 0 offset:328
	buffer_load_dword v167, off, s[0:3], 0 offset:324
	buffer_load_dword v166, off, s[0:3], 0 offset:320
	buffer_load_dword v169, off, s[0:3], 0 offset:316
	buffer_load_dword v168, off, s[0:3], 0 offset:312
	v_mul_f32_e32 v5, v7, v5
	v_fma_f32 v5, v6, v175, -v5
	v_mul_f32_e32 v6, v9, v62
	v_add_f32_e32 v5, 0, v5
	v_fma_f32 v6, v8, v176, -v6
	v_add_f32_e32 v5, v5, v6
	v_mul_f32_e32 v6, v11, v64
	v_fma_f32 v6, v10, v177, -v6
	v_add_f32_e32 v5, v5, v6
	v_mul_f32_e32 v6, v13, v152
	;; [unrolled: 3-line block ×22, first 2 shown]
	v_fma_f32 v6, v52, v212, -v6
	s_waitcnt vmcnt(20) lgkmcnt(1)
	v_mul_f32_e32 v65, v54, v215
	v_add_f32_e32 v5, v5, v6
	v_mul_f32_e32 v6, v55, v215
	v_fmac_f32_e32 v65, v55, v214
	v_fma_f32 v6, v54, v214, -v6
	s_waitcnt vmcnt(9)
	v_mov_b32_e32 v22, v161
	v_add_f32_e32 v63, v63, v65
	v_mul_f32_e32 v65, v56, v217
	v_add_f32_e32 v62, v5, v6
	v_mul_f32_e32 v5, v57, v217
	s_waitcnt lgkmcnt(0)
	v_pk_mul_f32 v[22:23], v[60:61], v[22:23] op_sel_hi:[1,0]
	v_fmac_f32_e32 v65, v57, v216
	v_mul_f32_e32 v153, v58, v219
	v_fma_f32 v64, v56, v216, -v5
	v_mul_f32_e32 v5, v59, v219
	ds_read_b128 v[6:9], v4 offset:640
	ds_read_b128 v[10:13], v4 offset:656
	;; [unrolled: 1-line block ×3, first 2 shown]
	ds_read_b64 v[18:19], v4 offset:688
	s_waitcnt vmcnt(8)
	v_pk_fma_f32 v[24:25], v[60:61], v[160:161], v[22:23] op_sel:[0,0,1] op_sel_hi:[1,1,0] neg_lo:[0,0,1] neg_hi:[0,0,1]
	v_pk_fma_f32 v[22:23], v[60:61], v[160:161], v[22:23] op_sel:[0,0,1] op_sel_hi:[1,0,0]
	v_fmac_f32_e32 v153, v59, v218
	v_fma_f32 v152, v58, v218, -v5
	v_pk_add_f32 v[20:21], v[62:63], v[64:65]
	v_mov_b32_e32 v22, v159
	v_pk_add_f32 v[20:21], v[20:21], v[152:153]
	v_mov_b32_e32 v25, v23
	s_waitcnt lgkmcnt(3)
	v_pk_mul_f32 v[22:23], v[6:7], v[22:23] op_sel_hi:[1,0]
	v_pk_add_f32 v[20:21], v[20:21], v[24:25]
	v_pk_fma_f32 v[24:25], v[6:7], v[158:159], v[22:23] op_sel:[0,0,1] op_sel_hi:[1,1,0] neg_lo:[0,0,1] neg_hi:[0,0,1]
	v_pk_fma_f32 v[6:7], v[6:7], v[158:159], v[22:23] op_sel:[0,0,1] op_sel_hi:[1,0,0]
	v_mov_b32_e32 v25, v7
	v_pk_add_f32 v[6:7], v[20:21], v[24:25]
	v_mov_b32_e32 v20, v157
	v_pk_mul_f32 v[20:21], v[8:9], v[20:21] op_sel_hi:[1,0]
	v_pk_fma_f32 v[22:23], v[8:9], v[156:157], v[20:21] op_sel:[0,0,1] op_sel_hi:[1,1,0] neg_lo:[0,0,1] neg_hi:[0,0,1]
	v_pk_fma_f32 v[8:9], v[8:9], v[156:157], v[20:21] op_sel:[0,0,1] op_sel_hi:[1,0,0]
	v_mov_b32_e32 v8, v155
	v_mov_b32_e32 v23, v9
	s_waitcnt lgkmcnt(2)
	v_pk_mul_f32 v[8:9], v[10:11], v[8:9] op_sel_hi:[1,0]
	v_pk_fma_f32 v[20:21], v[10:11], v[154:155], v[8:9] op_sel:[0,0,1] op_sel_hi:[1,1,0] neg_lo:[0,0,1] neg_hi:[0,0,1]
	v_pk_fma_f32 v[8:9], v[10:11], v[154:155], v[8:9] op_sel:[0,0,1] op_sel_hi:[1,0,0]
	s_waitcnt vmcnt(1)
	v_mov_b32_e32 v8, v169
	v_mov_b32_e32 v21, v9
	v_pk_mul_f32 v[8:9], v[12:13], v[8:9] op_sel_hi:[1,0]
	s_waitcnt vmcnt(0)
	v_pk_fma_f32 v[10:11], v[12:13], v[168:169], v[8:9] op_sel:[0,0,1] op_sel_hi:[1,1,0] neg_lo:[0,0,1] neg_hi:[0,0,1]
	v_pk_fma_f32 v[8:9], v[12:13], v[168:169], v[8:9] op_sel:[0,0,1] op_sel_hi:[1,0,0]
	v_pk_add_f32 v[6:7], v[6:7], v[22:23]
	v_mov_b32_e32 v8, v167
	v_pk_add_f32 v[6:7], v[6:7], v[20:21]
	v_mov_b32_e32 v11, v9
	s_waitcnt lgkmcnt(1)
	v_pk_mul_f32 v[8:9], v[14:15], v[8:9] op_sel_hi:[1,0]
	v_pk_add_f32 v[6:7], v[6:7], v[10:11]
	v_pk_fma_f32 v[10:11], v[14:15], v[166:167], v[8:9] op_sel:[0,0,1] op_sel_hi:[1,1,0] neg_lo:[0,0,1] neg_hi:[0,0,1]
	v_pk_fma_f32 v[8:9], v[14:15], v[166:167], v[8:9] op_sel:[0,0,1] op_sel_hi:[1,0,0]
	v_mov_b32_e32 v8, v165
	v_mov_b32_e32 v11, v9
	v_pk_mul_f32 v[8:9], v[16:17], v[8:9] op_sel_hi:[1,0]
	v_pk_add_f32 v[6:7], v[6:7], v[10:11]
	v_pk_fma_f32 v[10:11], v[16:17], v[164:165], v[8:9] op_sel:[0,0,1] op_sel_hi:[1,1,0] neg_lo:[0,0,1] neg_hi:[0,0,1]
	v_pk_fma_f32 v[8:9], v[16:17], v[164:165], v[8:9] op_sel:[0,0,1] op_sel_hi:[1,0,0]
	v_mov_b32_e32 v8, v163
	v_mov_b32_e32 v11, v9
	s_waitcnt lgkmcnt(0)
	v_pk_mul_f32 v[8:9], v[18:19], v[8:9] op_sel_hi:[1,0]
	v_pk_add_f32 v[6:7], v[6:7], v[10:11]
	v_pk_fma_f32 v[10:11], v[18:19], v[162:163], v[8:9] op_sel:[0,0,1] op_sel_hi:[1,1,0] neg_lo:[0,0,1] neg_hi:[0,0,1]
	v_pk_fma_f32 v[8:9], v[18:19], v[162:163], v[8:9] op_sel:[0,0,1] op_sel_hi:[1,0,0]
	v_mov_b32_e32 v11, v9
	v_pk_add_f32 v[6:7], v[6:7], v[10:11]
	v_pk_add_f32 v[2:3], v[2:3], v[6:7] neg_lo:[0,1] neg_hi:[0,1]
	buffer_store_dword v3, off, s[0:3], 0 offset:60
	buffer_store_dword v2, off, s[0:3], 0 offset:56
	s_and_saveexec_b64 s[4:5], vcc
	s_cbranch_execz .LBB106_259
; %bb.258:
	buffer_load_dword v2, off, s[0:3], 0 offset:48
	buffer_load_dword v3, off, s[0:3], 0 offset:52
	s_waitcnt vmcnt(0)
	ds_write_b64 v1, v[2:3]
	buffer_store_dword v4, off, s[0:3], 0 offset:48
	buffer_store_dword v4, off, s[0:3], 0 offset:52
.LBB106_259:
	s_or_b64 exec, exec, s[4:5]
	s_waitcnt lgkmcnt(0)
	; wave barrier
	s_waitcnt lgkmcnt(0)
	buffer_load_dword v5, off, s[0:3], 0 offset:60
	buffer_load_dword v62, off, s[0:3], 0 offset:68
	;; [unrolled: 1-line block ×36, first 2 shown]
	ds_read2_b64 v[6:9], v4 offset0:51 offset1:52
	ds_read2_b64 v[10:13], v4 offset0:53 offset1:54
	buffer_load_dword v200, off, s[0:3], 0 offset:192
	buffer_load_dword v201, off, s[0:3], 0 offset:196
	;; [unrolled: 1-line block ×4, first 2 shown]
	ds_read2_b64 v[14:17], v4 offset0:55 offset1:56
	ds_read2_b64 v[18:21], v4 offset0:57 offset1:58
	buffer_load_dword v204, off, s[0:3], 0 offset:208
	buffer_load_dword v205, off, s[0:3], 0 offset:212
	ds_read2_b64 v[22:25], v4 offset0:59 offset1:60
	ds_read2_b64 v[26:29], v4 offset0:61 offset1:62
	buffer_load_dword v206, off, s[0:3], 0 offset:216
	buffer_load_dword v207, off, s[0:3], 0 offset:220
	;; [unrolled: 1-line block ×16, first 2 shown]
	v_cmp_lt_u32_e32 vcc, 5, v0
	s_waitcnt vmcnt(57) lgkmcnt(5)
	v_mul_f32_e32 v30, v6, v5
	s_waitcnt vmcnt(56)
	v_mul_f32_e32 v31, v8, v62
	s_waitcnt vmcnt(55) lgkmcnt(4)
	v_mul_f32_e32 v32, v10, v64
	s_waitcnt vmcnt(54)
	v_mul_f32_e32 v33, v12, v158
	;; [unrolled: 4-line block ×4, first 2 shown]
	s_waitcnt vmcnt(49)
	v_fmac_f32_e32 v30, v7, v174
	s_waitcnt vmcnt(48)
	v_fmac_f32_e32 v31, v9, v175
	v_add_f32_e32 v30, 0, v30
	s_waitcnt vmcnt(47)
	v_fmac_f32_e32 v32, v11, v176
	v_add_f32_e32 v30, v30, v31
	;; [unrolled: 3-line block ×7, first 2 shown]
	s_waitcnt vmcnt(41) lgkmcnt(1)
	v_mul_f32_e32 v31, v22, v182
	v_add_f32_e32 v30, v30, v37
	s_waitcnt vmcnt(40)
	v_fmac_f32_e32 v31, v23, v183
	v_add_f32_e32 v30, v30, v31
	s_waitcnt vmcnt(39)
	v_mul_f32_e32 v31, v24, v184
	s_waitcnt vmcnt(38)
	v_fmac_f32_e32 v31, v25, v185
	v_add_f32_e32 v30, v30, v31
	s_waitcnt vmcnt(37) lgkmcnt(0)
	v_mul_f32_e32 v31, v26, v186
	s_waitcnt vmcnt(36)
	v_fmac_f32_e32 v31, v27, v187
	v_add_f32_e32 v34, v30, v31
	ds_read2_b64 v[30:33], v4 offset0:63 offset1:64
	s_waitcnt vmcnt(35)
	v_mul_f32_e32 v35, v28, v188
	s_waitcnt vmcnt(34)
	v_fmac_f32_e32 v35, v29, v189
	v_add_f32_e32 v38, v34, v35
	ds_read2_b64 v[34:37], v4 offset0:65 offset1:66
	s_waitcnt vmcnt(33) lgkmcnt(1)
	v_mul_f32_e32 v39, v30, v190
	s_waitcnt vmcnt(32)
	v_fmac_f32_e32 v39, v31, v191
	v_add_f32_e32 v38, v38, v39
	s_waitcnt vmcnt(31)
	v_mul_f32_e32 v39, v32, v192
	s_waitcnt vmcnt(30)
	v_fmac_f32_e32 v39, v33, v193
	v_add_f32_e32 v38, v38, v39
	s_waitcnt vmcnt(29) lgkmcnt(0)
	v_mul_f32_e32 v39, v34, v194
	s_waitcnt vmcnt(28)
	v_fmac_f32_e32 v39, v35, v195
	v_add_f32_e32 v42, v38, v39
	ds_read2_b64 v[38:41], v4 offset0:67 offset1:68
	s_waitcnt vmcnt(25)
	v_mul_f32_e32 v43, v36, v196
	s_waitcnt vmcnt(24)
	v_fmac_f32_e32 v43, v37, v197
	v_add_f32_e32 v46, v42, v43
	ds_read2_b64 v[42:45], v4 offset0:69 offset1:70
	s_waitcnt vmcnt(22) lgkmcnt(1)
	v_mul_f32_e32 v47, v38, v199
	v_fmac_f32_e32 v47, v39, v198
	v_add_f32_e32 v46, v46, v47
	s_waitcnt vmcnt(20)
	v_mul_f32_e32 v47, v40, v201
	v_fmac_f32_e32 v47, v41, v200
	v_add_f32_e32 v46, v46, v47
	s_waitcnt vmcnt(18) lgkmcnt(0)
	v_mul_f32_e32 v47, v42, v203
	v_fmac_f32_e32 v47, v43, v202
	v_add_f32_e32 v50, v46, v47
	ds_read2_b64 v[46:49], v4 offset0:71 offset1:72
	s_waitcnt vmcnt(16)
	v_mul_f32_e32 v51, v44, v205
	v_fmac_f32_e32 v51, v45, v204
	v_add_f32_e32 v54, v50, v51
	ds_read2_b64 v[50:53], v4 offset0:73 offset1:74
	s_waitcnt vmcnt(14) lgkmcnt(1)
	v_mul_f32_e32 v55, v46, v207
	v_fmac_f32_e32 v55, v47, v206
	v_add_f32_e32 v54, v54, v55
	s_waitcnt vmcnt(12)
	v_mul_f32_e32 v55, v48, v209
	v_fmac_f32_e32 v55, v49, v208
	v_add_f32_e32 v54, v54, v55
	s_waitcnt vmcnt(10) lgkmcnt(0)
	v_mul_f32_e32 v55, v50, v211
	v_fmac_f32_e32 v55, v51, v210
	s_waitcnt vmcnt(8)
	v_mul_f32_e32 v59, v52, v213
	v_add_f32_e32 v58, v54, v55
	v_fmac_f32_e32 v59, v53, v212
	ds_read2_b64 v[54:57], v4 offset0:75 offset1:76
	v_add_f32_e32 v63, v58, v59
	ds_read2_b64 v[58:61], v4 offset0:77 offset1:78
	buffer_load_dword v153, off, s[0:3], 0 offset:300
	buffer_load_dword v152, off, s[0:3], 0 offset:296
	;; [unrolled: 1-line block ×16, first 2 shown]
	v_mul_f32_e32 v5, v7, v5
	v_fma_f32 v5, v6, v174, -v5
	v_mul_f32_e32 v6, v9, v62
	v_add_f32_e32 v5, 0, v5
	v_fma_f32 v6, v8, v175, -v6
	v_add_f32_e32 v5, v5, v6
	v_mul_f32_e32 v6, v11, v64
	v_fma_f32 v6, v10, v176, -v6
	v_add_f32_e32 v5, v5, v6
	v_mul_f32_e32 v6, v13, v158
	;; [unrolled: 3-line block ×22, first 2 shown]
	v_fma_f32 v6, v52, v212, -v6
	v_add_f32_e32 v5, v5, v6
	s_waitcnt vmcnt(22) lgkmcnt(1)
	v_mul_f32_e32 v6, v55, v215
	v_fma_f32 v6, v54, v214, -v6
	v_add_f32_e32 v5, v5, v6
	s_waitcnt vmcnt(20)
	v_mul_f32_e32 v6, v57, v217
	v_fma_f32 v6, v56, v216, -v6
	v_add_f32_e32 v62, v5, v6
	ds_read2_b64 v[6:9], v4 offset0:79 offset1:80
	ds_read2_b64 v[10:13], v4 offset0:81 offset1:82
	;; [unrolled: 1-line block ×4, first 2 shown]
	s_waitcnt vmcnt(11)
	v_mov_b32_e32 v22, v157
	v_mul_f32_e32 v65, v54, v215
	s_waitcnt lgkmcnt(3)
	v_pk_mul_f32 v[22:23], v[6:7], v[22:23] op_sel_hi:[1,0]
	v_fmac_f32_e32 v65, v55, v214
	s_waitcnt vmcnt(10)
	v_pk_fma_f32 v[24:25], v[6:7], v[156:157], v[22:23] op_sel:[0,0,1] op_sel_hi:[1,1,0] neg_lo:[0,0,1] neg_hi:[0,0,1]
	v_pk_fma_f32 v[6:7], v[6:7], v[156:157], v[22:23] op_sel:[0,0,1] op_sel_hi:[1,0,0]
	v_add_f32_e32 v63, v63, v65
	v_mul_f32_e32 v65, v56, v217
	v_mov_b32_e32 v6, v155
	v_fmac_f32_e32 v65, v57, v216
	v_mov_b32_e32 v25, v7
	v_pk_mul_f32 v[6:7], v[8:9], v[6:7] op_sel_hi:[1,0]
	v_add_f32_e32 v63, v63, v65
	v_mul_f32_e32 v65, v58, v219
	v_mul_f32_e32 v5, v59, v219
	v_pk_fma_f32 v[22:23], v[8:9], v[154:155], v[6:7] op_sel:[0,0,1] op_sel_hi:[1,1,0] neg_lo:[0,0,1] neg_hi:[0,0,1]
	v_pk_fma_f32 v[6:7], v[8:9], v[154:155], v[6:7] op_sel:[0,0,1] op_sel_hi:[1,0,0]
	v_fmac_f32_e32 v65, v59, v218
	v_mul_f32_e32 v159, v60, v221
	v_fma_f32 v64, v58, v218, -v5
	v_mul_f32_e32 v5, v61, v221
	v_mov_b32_e32 v6, v153
	v_fmac_f32_e32 v159, v61, v220
	v_fma_f32 v158, v60, v220, -v5
	v_pk_add_f32 v[4:5], v[62:63], v[64:65]
	v_mov_b32_e32 v23, v7
	s_waitcnt lgkmcnt(2)
	v_pk_mul_f32 v[6:7], v[10:11], v[6:7] op_sel_hi:[1,0]
	v_pk_add_f32 v[4:5], v[4:5], v[158:159]
	v_pk_fma_f32 v[8:9], v[10:11], v[152:153], v[6:7] op_sel:[0,0,1] op_sel_hi:[1,1,0] neg_lo:[0,0,1] neg_hi:[0,0,1]
	v_pk_fma_f32 v[6:7], v[10:11], v[152:153], v[6:7] op_sel:[0,0,1] op_sel_hi:[1,0,0]
	v_pk_add_f32 v[4:5], v[4:5], v[24:25]
	s_waitcnt vmcnt(3)
	v_mov_b32_e32 v6, v167
	v_pk_add_f32 v[4:5], v[4:5], v[22:23]
	v_mov_b32_e32 v9, v7
	v_pk_mul_f32 v[6:7], v[12:13], v[6:7] op_sel_hi:[1,0]
	v_pk_add_f32 v[4:5], v[4:5], v[8:9]
	s_waitcnt vmcnt(2)
	v_pk_fma_f32 v[8:9], v[12:13], v[166:167], v[6:7] op_sel:[0,0,1] op_sel_hi:[1,1,0] neg_lo:[0,0,1] neg_hi:[0,0,1]
	v_pk_fma_f32 v[6:7], v[12:13], v[166:167], v[6:7] op_sel:[0,0,1] op_sel_hi:[1,0,0]
	v_mov_b32_e32 v6, v165
	v_mov_b32_e32 v9, v7
	s_waitcnt lgkmcnt(1)
	v_pk_mul_f32 v[6:7], v[14:15], v[6:7] op_sel_hi:[1,0]
	v_pk_add_f32 v[4:5], v[4:5], v[8:9]
	v_pk_fma_f32 v[8:9], v[14:15], v[164:165], v[6:7] op_sel:[0,0,1] op_sel_hi:[1,1,0] neg_lo:[0,0,1] neg_hi:[0,0,1]
	v_pk_fma_f32 v[6:7], v[14:15], v[164:165], v[6:7] op_sel:[0,0,1] op_sel_hi:[1,0,0]
	v_mov_b32_e32 v6, v163
	v_mov_b32_e32 v9, v7
	v_pk_mul_f32 v[6:7], v[16:17], v[6:7] op_sel_hi:[1,0]
	v_pk_add_f32 v[4:5], v[4:5], v[8:9]
	v_pk_fma_f32 v[8:9], v[16:17], v[162:163], v[6:7] op_sel:[0,0,1] op_sel_hi:[1,1,0] neg_lo:[0,0,1] neg_hi:[0,0,1]
	v_pk_fma_f32 v[6:7], v[16:17], v[162:163], v[6:7] op_sel:[0,0,1] op_sel_hi:[1,0,0]
	v_mov_b32_e32 v6, v161
	v_mov_b32_e32 v9, v7
	s_waitcnt lgkmcnt(0)
	v_pk_mul_f32 v[6:7], v[18:19], v[6:7] op_sel_hi:[1,0]
	v_pk_add_f32 v[4:5], v[4:5], v[8:9]
	v_pk_fma_f32 v[8:9], v[18:19], v[160:161], v[6:7] op_sel:[0,0,1] op_sel_hi:[1,1,0] neg_lo:[0,0,1] neg_hi:[0,0,1]
	v_pk_fma_f32 v[6:7], v[18:19], v[160:161], v[6:7] op_sel:[0,0,1] op_sel_hi:[1,0,0]
	s_waitcnt vmcnt(1)
	v_mov_b32_e32 v6, v169
	v_mov_b32_e32 v9, v7
	v_pk_mul_f32 v[6:7], v[20:21], v[6:7] op_sel_hi:[1,0]
	v_pk_add_f32 v[4:5], v[4:5], v[8:9]
	s_waitcnt vmcnt(0)
	v_pk_fma_f32 v[8:9], v[20:21], v[168:169], v[6:7] op_sel:[0,0,1] op_sel_hi:[1,1,0] neg_lo:[0,0,1] neg_hi:[0,0,1]
	v_pk_fma_f32 v[6:7], v[20:21], v[168:169], v[6:7] op_sel:[0,0,1] op_sel_hi:[1,0,0]
	v_mov_b32_e32 v9, v7
	v_pk_add_f32 v[4:5], v[4:5], v[8:9]
	v_pk_add_f32 v[2:3], v[2:3], v[4:5] neg_lo:[0,1] neg_hi:[0,1]
	buffer_store_dword v3, off, s[0:3], 0 offset:52
	buffer_store_dword v2, off, s[0:3], 0 offset:48
	s_and_saveexec_b64 s[4:5], vcc
	s_cbranch_execz .LBB106_261
; %bb.260:
	buffer_load_dword v2, off, s[0:3], 0 offset:40
	buffer_load_dword v3, off, s[0:3], 0 offset:44
	v_mov_b32_e32 v4, 0
	buffer_store_dword v4, off, s[0:3], 0 offset:40
	buffer_store_dword v4, off, s[0:3], 0 offset:44
	s_waitcnt vmcnt(2)
	ds_write_b64 v1, v[2:3]
.LBB106_261:
	s_or_b64 exec, exec, s[4:5]
	s_waitcnt lgkmcnt(0)
	; wave barrier
	s_waitcnt lgkmcnt(0)
	buffer_load_dword v17, off, s[0:3], 0 offset:52
	buffer_load_dword v156, off, s[0:3], 0 offset:60
	;; [unrolled: 1-line block ×56, first 2 shown]
	v_mov_b32_e32 v16, 0
	ds_read_b128 v[2:5], v16 offset:400
	buffer_load_dword v228, off, s[0:3], 0 offset:264
	buffer_load_dword v229, off, s[0:3], 0 offset:268
	;; [unrolled: 1-line block ×4, first 2 shown]
	ds_read_b128 v[8:11], v16 offset:416
	ds_read_b128 v[12:15], v16 offset:432
	;; [unrolled: 1-line block ×3, first 2 shown]
	v_cmp_lt_u32_e32 vcc, 4, v0
	s_waitcnt vmcnt(59) lgkmcnt(3)
	v_mul_f32_e32 v22, v2, v17
	s_waitcnt vmcnt(58)
	v_mul_f32_e32 v23, v4, v156
	s_waitcnt vmcnt(57) lgkmcnt(2)
	v_mul_f32_e32 v24, v8, v162
	s_waitcnt vmcnt(56)
	v_mul_f32_e32 v25, v10, v164
	;; [unrolled: 4-line block ×3, first 2 shown]
	s_waitcnt vmcnt(53) lgkmcnt(0)
	v_mul_f32_e32 v28, v18, v180
	s_waitcnt vmcnt(52)
	v_fmac_f32_e32 v22, v3, v181
	s_waitcnt vmcnt(51)
	v_fmac_f32_e32 v23, v5, v182
	v_add_f32_e32 v22, 0, v22
	s_waitcnt vmcnt(50)
	v_fmac_f32_e32 v24, v9, v183
	v_add_f32_e32 v22, v22, v23
	;; [unrolled: 3-line block ×6, first 2 shown]
	v_add_f32_e32 v26, v22, v28
	ds_read_b128 v[22:25], v16 offset:464
	s_waitcnt vmcnt(45)
	v_mul_f32_e32 v27, v20, v188
	s_waitcnt vmcnt(44)
	v_fmac_f32_e32 v27, v21, v189
	v_add_f32_e32 v30, v26, v27
	ds_read_b128 v[26:29], v16 offset:480
	s_waitcnt vmcnt(43) lgkmcnt(1)
	v_mul_f32_e32 v31, v22, v190
	s_waitcnt vmcnt(42)
	v_fmac_f32_e32 v31, v23, v191
	v_add_f32_e32 v30, v30, v31
	s_waitcnt vmcnt(41)
	v_mul_f32_e32 v31, v24, v192
	s_waitcnt vmcnt(40)
	v_fmac_f32_e32 v31, v25, v193
	v_add_f32_e32 v30, v30, v31
	s_waitcnt vmcnt(39) lgkmcnt(0)
	v_mul_f32_e32 v31, v26, v194
	s_waitcnt vmcnt(38)
	v_fmac_f32_e32 v31, v27, v195
	v_add_f32_e32 v34, v30, v31
	ds_read_b128 v[30:33], v16 offset:496
	s_waitcnt vmcnt(37)
	v_mul_f32_e32 v35, v28, v196
	s_waitcnt vmcnt(36)
	v_fmac_f32_e32 v35, v29, v197
	v_add_f32_e32 v38, v34, v35
	ds_read_b128 v[34:37], v16 offset:512
	s_waitcnt vmcnt(34) lgkmcnt(1)
	v_mul_f32_e32 v39, v30, v199
	v_fmac_f32_e32 v39, v31, v198
	v_add_f32_e32 v38, v38, v39
	s_waitcnt vmcnt(31)
	v_mul_f32_e32 v39, v32, v200
	s_waitcnt vmcnt(30)
	v_fmac_f32_e32 v39, v33, v201
	v_add_f32_e32 v38, v38, v39
	s_waitcnt vmcnt(28) lgkmcnt(0)
	v_mul_f32_e32 v39, v34, v203
	v_fmac_f32_e32 v39, v35, v202
	v_add_f32_e32 v42, v38, v39
	ds_read_b128 v[38:41], v16 offset:528
	s_waitcnt vmcnt(26)
	v_mul_f32_e32 v43, v36, v205
	v_fmac_f32_e32 v43, v37, v204
	v_add_f32_e32 v46, v42, v43
	ds_read_b128 v[42:45], v16 offset:544
	s_waitcnt vmcnt(24) lgkmcnt(1)
	v_mul_f32_e32 v47, v38, v207
	v_fmac_f32_e32 v47, v39, v206
	v_add_f32_e32 v46, v46, v47
	s_waitcnt vmcnt(22)
	v_mul_f32_e32 v47, v40, v209
	v_fmac_f32_e32 v47, v41, v208
	v_add_f32_e32 v46, v46, v47
	s_waitcnt vmcnt(20) lgkmcnt(0)
	v_mul_f32_e32 v47, v42, v211
	v_fmac_f32_e32 v47, v43, v210
	v_add_f32_e32 v50, v46, v47
	ds_read_b128 v[46:49], v16 offset:560
	s_waitcnt vmcnt(18)
	v_mul_f32_e32 v51, v44, v213
	v_fmac_f32_e32 v51, v45, v212
	v_add_f32_e32 v54, v50, v51
	ds_read_b128 v[50:53], v16 offset:576
	s_waitcnt vmcnt(16) lgkmcnt(1)
	v_mul_f32_e32 v55, v46, v215
	v_fmac_f32_e32 v55, v47, v214
	v_add_f32_e32 v54, v54, v55
	s_waitcnt vmcnt(14)
	v_mul_f32_e32 v55, v48, v217
	;; [unrolled: 18-line block ×3, first 2 shown]
	v_fmac_f32_e32 v63, v57, v224
	v_add_f32_e32 v62, v62, v63
	s_waitcnt vmcnt(4) lgkmcnt(0)
	v_mul_f32_e32 v63, v58, v227
	v_fmac_f32_e32 v63, v59, v226
	v_add_f32_e32 v157, v62, v63
	ds_read_b128 v[62:65], v16 offset:624
	buffer_load_dword v159, off, s[0:3], 0 offset:292
	buffer_load_dword v158, off, s[0:3], 0 offset:288
	;; [unrolled: 1-line block ×4, first 2 shown]
	ds_read_b128 v[152:155], v16 offset:640
	buffer_load_dword v167, off, s[0:3], 0 offset:324
	buffer_load_dword v166, off, s[0:3], 0 offset:320
	;; [unrolled: 1-line block ×12, first 2 shown]
	v_mul_f32_e32 v3, v3, v17
	v_fma_f32 v2, v2, v181, -v3
	v_mul_f32_e32 v3, v5, v156
	v_add_f32_e32 v2, 0, v2
	v_fma_f32 v3, v4, v182, -v3
	v_add_f32_e32 v2, v2, v3
	v_mul_f32_e32 v3, v9, v162
	v_fma_f32 v3, v8, v183, -v3
	v_add_f32_e32 v2, v2, v3
	v_mul_f32_e32 v3, v11, v164
	;; [unrolled: 3-line block ×25, first 2 shown]
	v_fma_f32 v3, v58, v226, -v3
	s_waitcnt vmcnt(13)
	v_mov_b32_e32 v18, v161
	v_mul_f32_e32 v163, v60, v229
	v_add_f32_e32 v156, v2, v3
	v_mul_f32_e32 v2, v61, v229
	s_waitcnt lgkmcnt(1)
	v_pk_mul_f32 v[18:19], v[64:65], v[18:19] op_sel_hi:[1,0]
	v_fmac_f32_e32 v163, v61, v228
	v_mul_f32_e32 v165, v62, v231
	v_fma_f32 v162, v60, v228, -v2
	v_mul_f32_e32 v2, v63, v231
	s_waitcnt vmcnt(12)
	v_pk_fma_f32 v[20:21], v[64:65], v[160:161], v[18:19] op_sel:[0,0,1] op_sel_hi:[1,1,0] neg_lo:[0,0,1] neg_hi:[0,0,1]
	v_pk_fma_f32 v[18:19], v[64:65], v[160:161], v[18:19] op_sel:[0,0,1] op_sel_hi:[1,0,0]
	v_fmac_f32_e32 v165, v63, v230
	v_fma_f32 v164, v62, v230, -v2
	v_pk_add_f32 v[14:15], v[156:157], v[162:163]
	v_mov_b32_e32 v18, v159
	v_pk_add_f32 v[14:15], v[14:15], v[164:165]
	v_mov_b32_e32 v21, v19
	s_waitcnt lgkmcnt(0)
	v_pk_mul_f32 v[18:19], v[152:153], v[18:19] op_sel_hi:[1,0]
	v_pk_add_f32 v[14:15], v[14:15], v[20:21]
	v_pk_fma_f32 v[20:21], v[152:153], v[158:159], v[18:19] op_sel:[0,0,1] op_sel_hi:[1,1,0] neg_lo:[0,0,1] neg_hi:[0,0,1]
	v_pk_fma_f32 v[18:19], v[152:153], v[158:159], v[18:19] op_sel:[0,0,1] op_sel_hi:[1,0,0]
	s_waitcnt vmcnt(5)
	v_mov_b32_e32 v18, v173
	ds_read_b128 v[2:5], v16 offset:656
	ds_read_b128 v[8:11], v16 offset:672
	ds_read_b64 v[12:13], v16 offset:688
	v_mov_b32_e32 v21, v19
	v_pk_mul_f32 v[18:19], v[154:155], v[18:19] op_sel_hi:[1,0]
	v_pk_add_f32 v[14:15], v[14:15], v[20:21]
	s_waitcnt vmcnt(4)
	v_pk_fma_f32 v[20:21], v[154:155], v[172:173], v[18:19] op_sel:[0,0,1] op_sel_hi:[1,1,0] neg_lo:[0,0,1] neg_hi:[0,0,1]
	v_pk_fma_f32 v[18:19], v[154:155], v[172:173], v[18:19] op_sel:[0,0,1] op_sel_hi:[1,0,0]
	v_mov_b32_e32 v18, v171
	v_mov_b32_e32 v21, v19
	s_waitcnt lgkmcnt(2)
	v_pk_mul_f32 v[18:19], v[2:3], v[18:19] op_sel_hi:[1,0]
	v_pk_add_f32 v[14:15], v[14:15], v[20:21]
	v_pk_fma_f32 v[20:21], v[2:3], v[170:171], v[18:19] op_sel:[0,0,1] op_sel_hi:[1,1,0] neg_lo:[0,0,1] neg_hi:[0,0,1]
	v_pk_fma_f32 v[2:3], v[2:3], v[170:171], v[18:19] op_sel:[0,0,1] op_sel_hi:[1,0,0]
	v_mov_b32_e32 v21, v3
	v_pk_add_f32 v[2:3], v[14:15], v[20:21]
	v_mov_b32_e32 v14, v169
	v_pk_mul_f32 v[14:15], v[4:5], v[14:15] op_sel_hi:[1,0]
	v_pk_fma_f32 v[18:19], v[4:5], v[168:169], v[14:15] op_sel:[0,0,1] op_sel_hi:[1,1,0] neg_lo:[0,0,1] neg_hi:[0,0,1]
	v_pk_fma_f32 v[4:5], v[4:5], v[168:169], v[14:15] op_sel:[0,0,1] op_sel_hi:[1,0,0]
	v_mov_b32_e32 v4, v167
	v_mov_b32_e32 v19, v5
	s_waitcnt lgkmcnt(1)
	v_pk_mul_f32 v[4:5], v[8:9], v[4:5] op_sel_hi:[1,0]
	v_pk_fma_f32 v[14:15], v[8:9], v[166:167], v[4:5] op_sel:[0,0,1] op_sel_hi:[1,1,0] neg_lo:[0,0,1] neg_hi:[0,0,1]
	v_pk_fma_f32 v[4:5], v[8:9], v[166:167], v[4:5] op_sel:[0,0,1] op_sel_hi:[1,0,0]
	s_waitcnt vmcnt(1)
	v_mov_b32_e32 v4, v177
	v_mov_b32_e32 v15, v5
	v_pk_mul_f32 v[4:5], v[10:11], v[4:5] op_sel_hi:[1,0]
	s_waitcnt vmcnt(0)
	v_pk_fma_f32 v[8:9], v[10:11], v[176:177], v[4:5] op_sel:[0,0,1] op_sel_hi:[1,1,0] neg_lo:[0,0,1] neg_hi:[0,0,1]
	v_pk_fma_f32 v[4:5], v[10:11], v[176:177], v[4:5] op_sel:[0,0,1] op_sel_hi:[1,0,0]
	v_pk_add_f32 v[2:3], v[2:3], v[18:19]
	v_mov_b32_e32 v4, v175
	v_pk_add_f32 v[2:3], v[2:3], v[14:15]
	v_mov_b32_e32 v9, v5
	s_waitcnt lgkmcnt(0)
	v_pk_mul_f32 v[4:5], v[12:13], v[4:5] op_sel_hi:[1,0]
	v_pk_add_f32 v[2:3], v[2:3], v[8:9]
	v_pk_fma_f32 v[8:9], v[12:13], v[174:175], v[4:5] op_sel:[0,0,1] op_sel_hi:[1,1,0] neg_lo:[0,0,1] neg_hi:[0,0,1]
	v_pk_fma_f32 v[4:5], v[12:13], v[174:175], v[4:5] op_sel:[0,0,1] op_sel_hi:[1,0,0]
	v_mov_b32_e32 v9, v5
	v_pk_add_f32 v[2:3], v[2:3], v[8:9]
	v_pk_add_f32 v[2:3], v[6:7], v[2:3] neg_lo:[0,1] neg_hi:[0,1]
	buffer_store_dword v3, off, s[0:3], 0 offset:44
	buffer_store_dword v2, off, s[0:3], 0 offset:40
	s_and_saveexec_b64 s[4:5], vcc
	s_cbranch_execz .LBB106_263
; %bb.262:
	buffer_load_dword v2, off, s[0:3], 0 offset:32
	buffer_load_dword v3, off, s[0:3], 0 offset:36
	s_waitcnt vmcnt(0)
	ds_write_b64 v1, v[2:3]
	buffer_store_dword v16, off, s[0:3], 0 offset:32
	buffer_store_dword v16, off, s[0:3], 0 offset:36
.LBB106_263:
	s_or_b64 exec, exec, s[4:5]
	s_waitcnt lgkmcnt(0)
	; wave barrier
	s_waitcnt lgkmcnt(0)
	buffer_load_dword v17, off, s[0:3], 0 offset:44
	buffer_load_dword v158, off, s[0:3], 0 offset:52
	;; [unrolled: 1-line block ×32, first 2 shown]
	ds_read2_b64 v[18:21], v16 offset0:49 offset1:50
	ds_read2_b64 v[6:9], v16 offset0:51 offset1:52
	buffer_load_dword v204, off, s[0:3], 0 offset:160
	buffer_load_dword v205, off, s[0:3], 0 offset:164
	ds_read2_b64 v[10:13], v16 offset0:53 offset1:54
	ds_read2_b64 v[2:5], v16 offset0:55 offset1:56
	buffer_load_dword v206, off, s[0:3], 0 offset:168
	buffer_load_dword v207, off, s[0:3], 0 offset:172
	buffer_load_dword v208, off, s[0:3], 0 offset:176
	buffer_load_dword v209, off, s[0:3], 0 offset:180
	buffer_load_dword v210, off, s[0:3], 0 offset:184
	buffer_load_dword v211, off, s[0:3], 0 offset:188
	buffer_load_dword v212, off, s[0:3], 0 offset:192
	buffer_load_dword v213, off, s[0:3], 0 offset:196
	buffer_load_dword v214, off, s[0:3], 0 offset:200
	buffer_load_dword v215, off, s[0:3], 0 offset:204
	buffer_load_dword v216, off, s[0:3], 0 offset:208
	buffer_load_dword v217, off, s[0:3], 0 offset:212
	buffer_load_dword v218, off, s[0:3], 0 offset:216
	buffer_load_dword v219, off, s[0:3], 0 offset:220
	buffer_load_dword v220, off, s[0:3], 0 offset:224
	buffer_load_dword v221, off, s[0:3], 0 offset:228
	buffer_load_dword v222, off, s[0:3], 0 offset:232
	buffer_load_dword v223, off, s[0:3], 0 offset:236
	buffer_load_dword v224, off, s[0:3], 0 offset:240
	buffer_load_dword v225, off, s[0:3], 0 offset:244
	buffer_load_dword v226, off, s[0:3], 0 offset:248
	buffer_load_dword v227, off, s[0:3], 0 offset:252
	buffer_load_dword v228, off, s[0:3], 0 offset:256
	buffer_load_dword v229, off, s[0:3], 0 offset:260
	buffer_load_dword v230, off, s[0:3], 0 offset:264
	buffer_load_dword v231, off, s[0:3], 0 offset:268
	buffer_load_dword v232, off, s[0:3], 0 offset:272
	buffer_load_dword v233, off, s[0:3], 0 offset:276
	v_cmp_lt_u32_e32 vcc, 3, v0
	s_waitcnt vmcnt(61) lgkmcnt(3)
	v_mul_f32_e32 v22, v18, v17
	s_waitcnt vmcnt(60)
	v_mul_f32_e32 v23, v20, v158
	s_waitcnt vmcnt(59) lgkmcnt(2)
	v_mul_f32_e32 v24, v6, v160
	s_waitcnt vmcnt(58)
	v_mul_f32_e32 v25, v8, v162
	;; [unrolled: 4-line block ×3, first 2 shown]
	s_waitcnt vmcnt(55) lgkmcnt(0)
	v_mul_f32_e32 v28, v2, v180
	s_waitcnt vmcnt(54)
	v_fmac_f32_e32 v22, v19, v181
	s_waitcnt vmcnt(53)
	v_fmac_f32_e32 v23, v21, v182
	v_add_f32_e32 v22, 0, v22
	s_waitcnt vmcnt(52)
	v_fmac_f32_e32 v24, v7, v183
	v_add_f32_e32 v22, v22, v23
	;; [unrolled: 3-line block ×6, first 2 shown]
	v_add_f32_e32 v26, v22, v28
	ds_read2_b64 v[22:25], v16 offset0:57 offset1:58
	s_waitcnt vmcnt(47)
	v_mul_f32_e32 v27, v4, v188
	s_waitcnt vmcnt(46)
	v_fmac_f32_e32 v27, v5, v189
	v_add_f32_e32 v30, v26, v27
	ds_read2_b64 v[26:29], v16 offset0:59 offset1:60
	s_waitcnt vmcnt(45) lgkmcnt(1)
	v_mul_f32_e32 v31, v22, v190
	s_waitcnt vmcnt(44)
	v_fmac_f32_e32 v31, v23, v191
	v_add_f32_e32 v30, v30, v31
	s_waitcnt vmcnt(43)
	v_mul_f32_e32 v31, v24, v192
	s_waitcnt vmcnt(42)
	v_fmac_f32_e32 v31, v25, v193
	v_add_f32_e32 v30, v30, v31
	s_waitcnt vmcnt(41) lgkmcnt(0)
	v_mul_f32_e32 v31, v26, v194
	s_waitcnt vmcnt(40)
	v_fmac_f32_e32 v31, v27, v195
	v_add_f32_e32 v34, v30, v31
	ds_read2_b64 v[30:33], v16 offset0:61 offset1:62
	s_waitcnt vmcnt(39)
	v_mul_f32_e32 v35, v28, v196
	s_waitcnt vmcnt(38)
	v_fmac_f32_e32 v35, v29, v197
	v_add_f32_e32 v38, v34, v35
	ds_read2_b64 v[34:37], v16 offset0:63 offset1:64
	s_waitcnt vmcnt(35) lgkmcnt(1)
	v_mul_f32_e32 v39, v30, v198
	s_waitcnt vmcnt(34)
	v_fmac_f32_e32 v39, v31, v199
	v_add_f32_e32 v38, v38, v39
	s_waitcnt vmcnt(32)
	v_mul_f32_e32 v39, v32, v201
	v_fmac_f32_e32 v39, v33, v200
	v_add_f32_e32 v38, v38, v39
	s_waitcnt vmcnt(30) lgkmcnt(0)
	v_mul_f32_e32 v39, v34, v203
	v_fmac_f32_e32 v39, v35, v202
	v_add_f32_e32 v42, v38, v39
	ds_read2_b64 v[38:41], v16 offset0:65 offset1:66
	s_waitcnt vmcnt(28)
	v_mul_f32_e32 v43, v36, v205
	v_fmac_f32_e32 v43, v37, v204
	v_add_f32_e32 v46, v42, v43
	ds_read2_b64 v[42:45], v16 offset0:67 offset1:68
	s_waitcnt vmcnt(26) lgkmcnt(1)
	v_mul_f32_e32 v47, v38, v207
	v_fmac_f32_e32 v47, v39, v206
	v_add_f32_e32 v46, v46, v47
	s_waitcnt vmcnt(24)
	v_mul_f32_e32 v47, v40, v209
	v_fmac_f32_e32 v47, v41, v208
	v_add_f32_e32 v46, v46, v47
	s_waitcnt vmcnt(22) lgkmcnt(0)
	v_mul_f32_e32 v47, v42, v211
	v_fmac_f32_e32 v47, v43, v210
	v_add_f32_e32 v50, v46, v47
	ds_read2_b64 v[46:49], v16 offset0:69 offset1:70
	s_waitcnt vmcnt(20)
	v_mul_f32_e32 v51, v44, v213
	v_fmac_f32_e32 v51, v45, v212
	v_add_f32_e32 v54, v50, v51
	ds_read2_b64 v[50:53], v16 offset0:71 offset1:72
	s_waitcnt vmcnt(18) lgkmcnt(1)
	v_mul_f32_e32 v55, v46, v215
	v_fmac_f32_e32 v55, v47, v214
	v_add_f32_e32 v54, v54, v55
	s_waitcnt vmcnt(16)
	v_mul_f32_e32 v55, v48, v217
	v_fmac_f32_e32 v55, v49, v216
	v_add_f32_e32 v54, v54, v55
	s_waitcnt vmcnt(14) lgkmcnt(0)
	v_mul_f32_e32 v55, v50, v219
	v_fmac_f32_e32 v55, v51, v218
	v_add_f32_e32 v58, v54, v55
	ds_read2_b64 v[54:57], v16 offset0:73 offset1:74
	s_waitcnt vmcnt(12)
	v_mul_f32_e32 v59, v52, v221
	v_fmac_f32_e32 v59, v53, v220
	v_add_f32_e32 v62, v58, v59
	ds_read2_b64 v[58:61], v16 offset0:75 offset1:76
	buffer_load_dword v157, off, s[0:3], 0 offset:284
	buffer_load_dword v156, off, s[0:3], 0 offset:280
	s_waitcnt vmcnt(12) lgkmcnt(1)
	v_mul_f32_e32 v63, v54, v223
	v_fmac_f32_e32 v63, v55, v222
	v_add_f32_e32 v62, v62, v63
	s_waitcnt vmcnt(10)
	v_mul_f32_e32 v63, v56, v225
	v_fmac_f32_e32 v63, v57, v224
	v_add_f32_e32 v62, v62, v63
	s_waitcnt vmcnt(8) lgkmcnt(0)
	v_mul_f32_e32 v63, v58, v227
	v_fmac_f32_e32 v63, v59, v226
	s_waitcnt vmcnt(6)
	v_mul_f32_e32 v153, v60, v229
	v_add_f32_e32 v152, v62, v63
	v_fmac_f32_e32 v153, v61, v228
	ds_read2_b64 v[62:65], v16 offset0:77 offset1:78
	v_add_f32_e32 v159, v152, v153
	ds_read2_b64 v[152:155], v16 offset0:79 offset1:80
	buffer_load_dword v165, off, s[0:3], 0 offset:316
	buffer_load_dword v164, off, s[0:3], 0 offset:312
	buffer_load_dword v167, off, s[0:3], 0 offset:308
	buffer_load_dword v166, off, s[0:3], 0 offset:304
	buffer_load_dword v169, off, s[0:3], 0 offset:300
	buffer_load_dword v168, off, s[0:3], 0 offset:296
	buffer_load_dword v171, off, s[0:3], 0 offset:292
	buffer_load_dword v170, off, s[0:3], 0 offset:288
	buffer_load_dword v173, off, s[0:3], 0 offset:340
	buffer_load_dword v172, off, s[0:3], 0 offset:336
	buffer_load_dword v175, off, s[0:3], 0 offset:332
	buffer_load_dword v174, off, s[0:3], 0 offset:328
	buffer_load_dword v177, off, s[0:3], 0 offset:324
	buffer_load_dword v176, off, s[0:3], 0 offset:320
	v_mul_f32_e32 v17, v19, v17
	v_fma_f32 v17, v18, v181, -v17
	v_mul_f32_e32 v18, v21, v158
	v_add_f32_e32 v17, 0, v17
	v_fma_f32 v18, v20, v182, -v18
	v_mul_f32_e32 v7, v7, v160
	v_add_f32_e32 v17, v17, v18
	;; [unrolled: 3-line block ×3, first 2 shown]
	v_fma_f32 v7, v8, v184, -v7
	v_add_f32_e32 v6, v6, v7
	v_mul_f32_e32 v7, v11, v178
	v_fma_f32 v7, v10, v185, -v7
	v_add_f32_e32 v6, v6, v7
	v_mul_f32_e32 v7, v13, v179
	v_fma_f32 v7, v12, v186, -v7
	v_mul_f32_e32 v3, v3, v180
	v_add_f32_e32 v6, v6, v7
	v_fma_f32 v2, v2, v187, -v3
	v_mul_f32_e32 v3, v5, v188
	v_add_f32_e32 v2, v6, v2
	v_fma_f32 v3, v4, v189, -v3
	v_add_f32_e32 v2, v2, v3
	v_mul_f32_e32 v3, v23, v190
	v_fma_f32 v3, v22, v191, -v3
	v_add_f32_e32 v2, v2, v3
	v_mul_f32_e32 v3, v25, v192
	;; [unrolled: 3-line block ×20, first 2 shown]
	v_fma_f32 v3, v60, v228, -v3
	s_waitcnt vmcnt(15)
	v_mov_b32_e32 v18, v157
	s_waitcnt lgkmcnt(1)
	v_mul_f32_e32 v161, v62, v231
	v_add_f32_e32 v158, v2, v3
	v_mul_f32_e32 v2, v63, v231
	s_waitcnt lgkmcnt(0)
	v_pk_mul_f32 v[18:19], v[152:153], v[18:19] op_sel_hi:[1,0]
	v_fmac_f32_e32 v161, v63, v230
	v_mul_f32_e32 v163, v64, v233
	v_fma_f32 v160, v62, v230, -v2
	v_mul_f32_e32 v2, v65, v233
	s_waitcnt vmcnt(14)
	v_pk_fma_f32 v[20:21], v[152:153], v[156:157], v[18:19] op_sel:[0,0,1] op_sel_hi:[1,1,0] neg_lo:[0,0,1] neg_hi:[0,0,1]
	v_pk_fma_f32 v[18:19], v[152:153], v[156:157], v[18:19] op_sel:[0,0,1] op_sel_hi:[1,0,0]
	v_fmac_f32_e32 v163, v65, v232
	v_fma_f32 v162, v64, v232, -v2
	ds_read2_b64 v[2:5], v16 offset0:81 offset1:82
	ds_read2_b64 v[6:9], v16 offset0:83 offset1:84
	;; [unrolled: 1-line block ×3, first 2 shown]
	v_pk_add_f32 v[16:17], v[158:159], v[160:161]
	s_waitcnt vmcnt(7)
	v_mov_b32_e32 v18, v171
	v_pk_add_f32 v[16:17], v[16:17], v[162:163]
	v_mov_b32_e32 v21, v19
	v_pk_mul_f32 v[18:19], v[154:155], v[18:19] op_sel_hi:[1,0]
	v_pk_add_f32 v[16:17], v[16:17], v[20:21]
	s_waitcnt vmcnt(6)
	v_pk_fma_f32 v[20:21], v[154:155], v[170:171], v[18:19] op_sel:[0,0,1] op_sel_hi:[1,1,0] neg_lo:[0,0,1] neg_hi:[0,0,1]
	v_pk_fma_f32 v[18:19], v[154:155], v[170:171], v[18:19] op_sel:[0,0,1] op_sel_hi:[1,0,0]
	v_mov_b32_e32 v18, v169
	v_mov_b32_e32 v21, v19
	s_waitcnt lgkmcnt(2)
	v_pk_mul_f32 v[18:19], v[2:3], v[18:19] op_sel_hi:[1,0]
	v_pk_add_f32 v[16:17], v[16:17], v[20:21]
	v_pk_fma_f32 v[20:21], v[2:3], v[168:169], v[18:19] op_sel:[0,0,1] op_sel_hi:[1,1,0] neg_lo:[0,0,1] neg_hi:[0,0,1]
	v_pk_fma_f32 v[2:3], v[2:3], v[168:169], v[18:19] op_sel:[0,0,1] op_sel_hi:[1,0,0]
	v_mov_b32_e32 v21, v3
	v_pk_add_f32 v[2:3], v[16:17], v[20:21]
	v_mov_b32_e32 v16, v167
	v_pk_mul_f32 v[16:17], v[4:5], v[16:17] op_sel_hi:[1,0]
	v_pk_fma_f32 v[18:19], v[4:5], v[166:167], v[16:17] op_sel:[0,0,1] op_sel_hi:[1,1,0] neg_lo:[0,0,1] neg_hi:[0,0,1]
	v_pk_fma_f32 v[4:5], v[4:5], v[166:167], v[16:17] op_sel:[0,0,1] op_sel_hi:[1,0,0]
	v_mov_b32_e32 v4, v165
	v_mov_b32_e32 v19, v5
	s_waitcnt lgkmcnt(1)
	v_pk_mul_f32 v[4:5], v[6:7], v[4:5] op_sel_hi:[1,0]
	v_pk_fma_f32 v[16:17], v[6:7], v[164:165], v[4:5] op_sel:[0,0,1] op_sel_hi:[1,1,0] neg_lo:[0,0,1] neg_hi:[0,0,1]
	v_pk_fma_f32 v[4:5], v[6:7], v[164:165], v[4:5] op_sel:[0,0,1] op_sel_hi:[1,0,0]
	s_waitcnt vmcnt(1)
	v_mov_b32_e32 v4, v177
	v_mov_b32_e32 v17, v5
	v_pk_mul_f32 v[4:5], v[8:9], v[4:5] op_sel_hi:[1,0]
	s_waitcnt vmcnt(0)
	v_pk_fma_f32 v[6:7], v[8:9], v[176:177], v[4:5] op_sel:[0,0,1] op_sel_hi:[1,1,0] neg_lo:[0,0,1] neg_hi:[0,0,1]
	v_pk_fma_f32 v[4:5], v[8:9], v[176:177], v[4:5] op_sel:[0,0,1] op_sel_hi:[1,0,0]
	v_pk_add_f32 v[2:3], v[2:3], v[18:19]
	v_mov_b32_e32 v4, v175
	v_pk_add_f32 v[2:3], v[2:3], v[16:17]
	v_mov_b32_e32 v7, v5
	s_waitcnt lgkmcnt(0)
	v_pk_mul_f32 v[4:5], v[10:11], v[4:5] op_sel_hi:[1,0]
	v_pk_add_f32 v[2:3], v[2:3], v[6:7]
	v_pk_fma_f32 v[6:7], v[10:11], v[174:175], v[4:5] op_sel:[0,0,1] op_sel_hi:[1,1,0] neg_lo:[0,0,1] neg_hi:[0,0,1]
	v_pk_fma_f32 v[4:5], v[10:11], v[174:175], v[4:5] op_sel:[0,0,1] op_sel_hi:[1,0,0]
	v_mov_b32_e32 v4, v173
	v_mov_b32_e32 v7, v5
	v_pk_mul_f32 v[4:5], v[12:13], v[4:5] op_sel_hi:[1,0]
	v_pk_add_f32 v[2:3], v[2:3], v[6:7]
	v_pk_fma_f32 v[6:7], v[12:13], v[172:173], v[4:5] op_sel:[0,0,1] op_sel_hi:[1,1,0] neg_lo:[0,0,1] neg_hi:[0,0,1]
	v_pk_fma_f32 v[4:5], v[12:13], v[172:173], v[4:5] op_sel:[0,0,1] op_sel_hi:[1,0,0]
	v_mov_b32_e32 v7, v5
	v_pk_add_f32 v[2:3], v[2:3], v[6:7]
	v_pk_add_f32 v[2:3], v[14:15], v[2:3] neg_lo:[0,1] neg_hi:[0,1]
	buffer_store_dword v3, off, s[0:3], 0 offset:36
	buffer_store_dword v2, off, s[0:3], 0 offset:32
	s_and_saveexec_b64 s[4:5], vcc
	s_cbranch_execz .LBB106_265
; %bb.264:
	buffer_load_dword v2, off, s[0:3], 0 offset:24
	buffer_load_dword v3, off, s[0:3], 0 offset:28
	v_mov_b32_e32 v4, 0
	buffer_store_dword v4, off, s[0:3], 0 offset:24
	buffer_store_dword v4, off, s[0:3], 0 offset:28
	s_waitcnt vmcnt(2)
	ds_write_b64 v1, v[2:3]
.LBB106_265:
	s_or_b64 exec, exec, s[4:5]
	s_waitcnt lgkmcnt(0)
	; wave barrier
	s_waitcnt lgkmcnt(0)
	buffer_load_dword v21, off, s[0:3], 0 offset:36
	buffer_load_dword v156, off, s[0:3], 0 offset:44
	;; [unrolled: 1-line block ×48, first 2 shown]
	v_mov_b32_e32 v20, 0
	ds_read_b128 v[4:7], v20 offset:384
	buffer_load_dword v220, off, s[0:3], 0 offset:216
	buffer_load_dword v221, off, s[0:3], 0 offset:220
	;; [unrolled: 1-line block ×8, first 2 shown]
	ds_read_b128 v[8:11], v20 offset:400
	ds_read_b128 v[12:15], v20 offset:416
	ds_read_b128 v[16:19], v20 offset:432
	buffer_load_dword v228, off, s[0:3], 0 offset:248
	buffer_load_dword v229, off, s[0:3], 0 offset:252
	;; [unrolled: 1-line block ×8, first 2 shown]
	v_cmp_lt_u32_e32 vcc, 2, v0
	s_waitcnt vmcnt(62) lgkmcnt(3)
	v_mul_f32_e32 v22, v4, v21
	v_mul_f32_e32 v23, v6, v156
	s_waitcnt vmcnt(61) lgkmcnt(2)
	v_mul_f32_e32 v24, v8, v158
	s_waitcnt vmcnt(60)
	v_mul_f32_e32 v25, v10, v160
	s_waitcnt vmcnt(59) lgkmcnt(1)
	v_mul_f32_e32 v26, v12, v178
	s_waitcnt vmcnt(58)
	;; [unrolled: 4-line block ×3, first 2 shown]
	v_fmac_f32_e32 v22, v5, v181
	s_waitcnt vmcnt(55)
	v_fmac_f32_e32 v23, v7, v182
	v_add_f32_e32 v22, 0, v22
	s_waitcnt vmcnt(54)
	v_fmac_f32_e32 v24, v9, v183
	v_add_f32_e32 v22, v22, v23
	;; [unrolled: 3-line block ×6, first 2 shown]
	v_add_f32_e32 v26, v22, v28
	ds_read_b128 v[22:25], v20 offset:448
	s_waitcnt vmcnt(49)
	v_mul_f32_e32 v27, v18, v188
	s_waitcnt vmcnt(48)
	v_fmac_f32_e32 v27, v19, v189
	v_add_f32_e32 v30, v26, v27
	ds_read_b128 v[26:29], v20 offset:464
	s_waitcnt vmcnt(47) lgkmcnt(1)
	v_mul_f32_e32 v31, v22, v190
	s_waitcnt vmcnt(46)
	v_fmac_f32_e32 v31, v23, v191
	v_add_f32_e32 v30, v30, v31
	s_waitcnt vmcnt(45)
	v_mul_f32_e32 v31, v24, v192
	s_waitcnt vmcnt(44)
	v_fmac_f32_e32 v31, v25, v193
	v_add_f32_e32 v30, v30, v31
	s_waitcnt vmcnt(42) lgkmcnt(0)
	v_mul_f32_e32 v31, v26, v195
	v_fmac_f32_e32 v31, v27, v194
	v_add_f32_e32 v34, v30, v31
	ds_read_b128 v[30:33], v20 offset:480
	s_waitcnt vmcnt(38)
	v_mul_f32_e32 v35, v28, v197
	v_fmac_f32_e32 v35, v29, v196
	v_add_f32_e32 v38, v34, v35
	ds_read_b128 v[34:37], v20 offset:496
	s_waitcnt vmcnt(36) lgkmcnt(1)
	v_mul_f32_e32 v39, v30, v199
	v_fmac_f32_e32 v39, v31, v198
	v_add_f32_e32 v38, v38, v39
	s_waitcnt vmcnt(34)
	v_mul_f32_e32 v39, v32, v201
	v_fmac_f32_e32 v39, v33, v200
	v_add_f32_e32 v38, v38, v39
	s_waitcnt vmcnt(32) lgkmcnt(0)
	v_mul_f32_e32 v39, v34, v203
	v_fmac_f32_e32 v39, v35, v202
	v_add_f32_e32 v42, v38, v39
	ds_read_b128 v[38:41], v20 offset:512
	s_waitcnt vmcnt(30)
	v_mul_f32_e32 v43, v36, v205
	v_fmac_f32_e32 v43, v37, v204
	v_add_f32_e32 v46, v42, v43
	ds_read_b128 v[42:45], v20 offset:528
	s_waitcnt vmcnt(28) lgkmcnt(1)
	v_mul_f32_e32 v47, v38, v207
	v_fmac_f32_e32 v47, v39, v206
	v_add_f32_e32 v46, v46, v47
	s_waitcnt vmcnt(26)
	v_mul_f32_e32 v47, v40, v209
	;; [unrolled: 18-line block ×4, first 2 shown]
	v_fmac_f32_e32 v63, v57, v224
	v_add_f32_e32 v62, v62, v63
	s_waitcnt vmcnt(8) lgkmcnt(0)
	v_mul_f32_e32 v63, v58, v227
	v_fmac_f32_e32 v63, v59, v226
	s_waitcnt vmcnt(6)
	v_mul_f32_e32 v153, v60, v229
	v_add_f32_e32 v152, v62, v63
	v_fmac_f32_e32 v153, v61, v228
	ds_read_b128 v[62:65], v20 offset:608
	v_add_f32_e32 v157, v152, v153
	ds_read_b128 v[152:155], v20 offset:624
	buffer_load_dword v163, off, s[0:3], 0 offset:308
	buffer_load_dword v162, off, s[0:3], 0 offset:304
	;; [unrolled: 1-line block ×16, first 2 shown]
	v_mul_f32_e32 v5, v5, v21
	v_fma_f32 v4, v4, v181, -v5
	v_mul_f32_e32 v5, v7, v156
	v_add_f32_e32 v4, 0, v4
	v_fma_f32 v5, v6, v182, -v5
	v_add_f32_e32 v4, v4, v5
	v_mul_f32_e32 v5, v9, v158
	v_fma_f32 v5, v8, v183, -v5
	v_add_f32_e32 v4, v4, v5
	v_mul_f32_e32 v5, v11, v160
	;; [unrolled: 3-line block ×26, first 2 shown]
	v_fma_f32 v5, v60, v228, -v5
	v_add_f32_e32 v4, v4, v5
	s_waitcnt vmcnt(20) lgkmcnt(1)
	v_mul_f32_e32 v5, v63, v231
	v_mul_f32_e32 v159, v62, v231
	v_fma_f32 v5, v62, v230, -v5
	v_fmac_f32_e32 v159, v63, v230
	v_add_f32_e32 v156, v4, v5
	s_waitcnt vmcnt(18)
	v_mul_f32_e32 v4, v65, v233
	s_waitcnt vmcnt(9)
	v_mov_b32_e32 v22, v169
	v_add_f32_e32 v157, v157, v159
	v_mul_f32_e32 v159, v64, v233
	v_fma_f32 v158, v64, v232, -v4
	s_waitcnt lgkmcnt(0)
	v_mul_f32_e32 v4, v153, v235
	v_pk_mul_f32 v[22:23], v[154:155], v[22:23] op_sel_hi:[1,0]
	v_fmac_f32_e32 v159, v65, v232
	v_mul_f32_e32 v161, v152, v235
	v_fma_f32 v160, v152, v234, -v4
	ds_read_b128 v[4:7], v20 offset:640
	ds_read_b128 v[8:11], v20 offset:656
	;; [unrolled: 1-line block ×3, first 2 shown]
	ds_read_b64 v[16:17], v20 offset:688
	s_waitcnt vmcnt(8)
	v_pk_fma_f32 v[24:25], v[154:155], v[168:169], v[22:23] op_sel:[0,0,1] op_sel_hi:[1,1,0] neg_lo:[0,0,1] neg_hi:[0,0,1]
	v_pk_fma_f32 v[22:23], v[154:155], v[168:169], v[22:23] op_sel:[0,0,1] op_sel_hi:[1,0,0]
	v_fmac_f32_e32 v161, v153, v234
	v_pk_add_f32 v[18:19], v[156:157], v[158:159]
	v_mov_b32_e32 v22, v167
	v_pk_add_f32 v[18:19], v[18:19], v[160:161]
	v_mov_b32_e32 v25, v23
	s_waitcnt lgkmcnt(3)
	v_pk_mul_f32 v[22:23], v[4:5], v[22:23] op_sel_hi:[1,0]
	v_pk_add_f32 v[18:19], v[18:19], v[24:25]
	v_pk_fma_f32 v[24:25], v[4:5], v[166:167], v[22:23] op_sel:[0,0,1] op_sel_hi:[1,1,0] neg_lo:[0,0,1] neg_hi:[0,0,1]
	v_pk_fma_f32 v[4:5], v[4:5], v[166:167], v[22:23] op_sel:[0,0,1] op_sel_hi:[1,0,0]
	v_mov_b32_e32 v25, v5
	v_pk_add_f32 v[4:5], v[18:19], v[24:25]
	v_mov_b32_e32 v18, v165
	v_pk_mul_f32 v[18:19], v[6:7], v[18:19] op_sel_hi:[1,0]
	v_pk_fma_f32 v[22:23], v[6:7], v[164:165], v[18:19] op_sel:[0,0,1] op_sel_hi:[1,1,0] neg_lo:[0,0,1] neg_hi:[0,0,1]
	v_pk_fma_f32 v[6:7], v[6:7], v[164:165], v[18:19] op_sel:[0,0,1] op_sel_hi:[1,0,0]
	v_mov_b32_e32 v6, v163
	v_mov_b32_e32 v23, v7
	s_waitcnt lgkmcnt(2)
	v_pk_mul_f32 v[6:7], v[8:9], v[6:7] op_sel_hi:[1,0]
	v_pk_fma_f32 v[18:19], v[8:9], v[162:163], v[6:7] op_sel:[0,0,1] op_sel_hi:[1,1,0] neg_lo:[0,0,1] neg_hi:[0,0,1]
	v_pk_fma_f32 v[6:7], v[8:9], v[162:163], v[6:7] op_sel:[0,0,1] op_sel_hi:[1,0,0]
	s_waitcnt vmcnt(1)
	v_mov_b32_e32 v6, v177
	v_mov_b32_e32 v19, v7
	v_pk_mul_f32 v[6:7], v[10:11], v[6:7] op_sel_hi:[1,0]
	s_waitcnt vmcnt(0)
	v_pk_fma_f32 v[8:9], v[10:11], v[176:177], v[6:7] op_sel:[0,0,1] op_sel_hi:[1,1,0] neg_lo:[0,0,1] neg_hi:[0,0,1]
	v_pk_fma_f32 v[6:7], v[10:11], v[176:177], v[6:7] op_sel:[0,0,1] op_sel_hi:[1,0,0]
	v_pk_add_f32 v[4:5], v[4:5], v[22:23]
	v_mov_b32_e32 v6, v175
	v_pk_add_f32 v[4:5], v[4:5], v[18:19]
	v_mov_b32_e32 v9, v7
	s_waitcnt lgkmcnt(1)
	v_pk_mul_f32 v[6:7], v[12:13], v[6:7] op_sel_hi:[1,0]
	v_pk_add_f32 v[4:5], v[4:5], v[8:9]
	v_pk_fma_f32 v[8:9], v[12:13], v[174:175], v[6:7] op_sel:[0,0,1] op_sel_hi:[1,1,0] neg_lo:[0,0,1] neg_hi:[0,0,1]
	v_pk_fma_f32 v[6:7], v[12:13], v[174:175], v[6:7] op_sel:[0,0,1] op_sel_hi:[1,0,0]
	v_mov_b32_e32 v6, v173
	v_mov_b32_e32 v9, v7
	v_pk_mul_f32 v[6:7], v[14:15], v[6:7] op_sel_hi:[1,0]
	v_pk_add_f32 v[4:5], v[4:5], v[8:9]
	v_pk_fma_f32 v[8:9], v[14:15], v[172:173], v[6:7] op_sel:[0,0,1] op_sel_hi:[1,1,0] neg_lo:[0,0,1] neg_hi:[0,0,1]
	v_pk_fma_f32 v[6:7], v[14:15], v[172:173], v[6:7] op_sel:[0,0,1] op_sel_hi:[1,0,0]
	v_mov_b32_e32 v6, v171
	v_mov_b32_e32 v9, v7
	s_waitcnt lgkmcnt(0)
	v_pk_mul_f32 v[6:7], v[16:17], v[6:7] op_sel_hi:[1,0]
	v_pk_add_f32 v[4:5], v[4:5], v[8:9]
	v_pk_fma_f32 v[8:9], v[16:17], v[170:171], v[6:7] op_sel:[0,0,1] op_sel_hi:[1,1,0] neg_lo:[0,0,1] neg_hi:[0,0,1]
	v_pk_fma_f32 v[6:7], v[16:17], v[170:171], v[6:7] op_sel:[0,0,1] op_sel_hi:[1,0,0]
	v_mov_b32_e32 v9, v7
	v_pk_add_f32 v[4:5], v[4:5], v[8:9]
	v_pk_add_f32 v[2:3], v[2:3], v[4:5] neg_lo:[0,1] neg_hi:[0,1]
	buffer_store_dword v3, off, s[0:3], 0 offset:28
	buffer_store_dword v2, off, s[0:3], 0 offset:24
	s_and_saveexec_b64 s[4:5], vcc
	s_cbranch_execz .LBB106_267
; %bb.266:
	buffer_load_dword v2, off, s[0:3], 0 offset:16
	buffer_load_dword v3, off, s[0:3], 0 offset:20
	s_waitcnt vmcnt(0)
	ds_write_b64 v1, v[2:3]
	buffer_store_dword v20, off, s[0:3], 0 offset:16
	buffer_store_dword v20, off, s[0:3], 0 offset:20
.LBB106_267:
	s_or_b64 exec, exec, s[4:5]
	s_waitcnt lgkmcnt(0)
	; wave barrier
	s_waitcnt lgkmcnt(0)
	buffer_load_dword v21, off, s[0:3], 0 offset:28
	buffer_load_dword v156, off, s[0:3], 0 offset:36
	;; [unrolled: 1-line block ×26, first 2 shown]
	ds_read2_b64 v[14:17], v20 offset0:47 offset1:48
	ds_read2_b64 v[6:9], v20 offset0:49 offset1:50
	buffer_load_dword v198, off, s[0:3], 0 offset:120
	buffer_load_dword v199, off, s[0:3], 0 offset:124
	ds_read2_b64 v[10:13], v20 offset0:51 offset1:52
	ds_read2_b64 v[2:5], v20 offset0:53 offset1:54
	buffer_load_dword v200, off, s[0:3], 0 offset:128
	buffer_load_dword v201, off, s[0:3], 0 offset:132
	buffer_load_dword v202, off, s[0:3], 0 offset:136
	buffer_load_dword v203, off, s[0:3], 0 offset:140
	buffer_load_dword v204, off, s[0:3], 0 offset:144
	buffer_load_dword v205, off, s[0:3], 0 offset:148
	buffer_load_dword v206, off, s[0:3], 0 offset:152
	buffer_load_dword v207, off, s[0:3], 0 offset:156
	buffer_load_dword v208, off, s[0:3], 0 offset:160
	buffer_load_dword v209, off, s[0:3], 0 offset:164
	buffer_load_dword v210, off, s[0:3], 0 offset:168
	buffer_load_dword v211, off, s[0:3], 0 offset:172
	buffer_load_dword v212, off, s[0:3], 0 offset:176
	buffer_load_dword v213, off, s[0:3], 0 offset:180
	buffer_load_dword v214, off, s[0:3], 0 offset:184
	buffer_load_dword v215, off, s[0:3], 0 offset:188
	buffer_load_dword v216, off, s[0:3], 0 offset:192
	buffer_load_dword v217, off, s[0:3], 0 offset:196
	buffer_load_dword v218, off, s[0:3], 0 offset:200
	buffer_load_dword v219, off, s[0:3], 0 offset:204
	buffer_load_dword v220, off, s[0:3], 0 offset:208
	buffer_load_dword v221, off, s[0:3], 0 offset:212
	buffer_load_dword v222, off, s[0:3], 0 offset:216
	buffer_load_dword v223, off, s[0:3], 0 offset:220
	buffer_load_dword v224, off, s[0:3], 0 offset:224
	buffer_load_dword v225, off, s[0:3], 0 offset:228
	buffer_load_dword v226, off, s[0:3], 0 offset:232
	buffer_load_dword v227, off, s[0:3], 0 offset:236
	buffer_load_dword v228, off, s[0:3], 0 offset:240
	buffer_load_dword v229, off, s[0:3], 0 offset:244
	buffer_load_dword v230, off, s[0:3], 0 offset:248
	buffer_load_dword v231, off, s[0:3], 0 offset:252
	v_cmp_lt_u32_e32 vcc, 1, v0
	s_waitcnt vmcnt(59) lgkmcnt(3)
	v_mul_f32_e32 v22, v14, v21
	s_waitcnt vmcnt(58)
	v_mul_f32_e32 v23, v16, v156
	s_waitcnt vmcnt(57) lgkmcnt(2)
	v_mul_f32_e32 v24, v6, v158
	s_waitcnt vmcnt(56)
	v_mul_f32_e32 v25, v8, v166
	;; [unrolled: 4-line block ×4, first 2 shown]
	s_waitcnt vmcnt(51)
	v_fmac_f32_e32 v22, v15, v182
	s_waitcnt vmcnt(50)
	v_fmac_f32_e32 v23, v17, v183
	v_add_f32_e32 v22, 0, v22
	s_waitcnt vmcnt(49)
	v_fmac_f32_e32 v24, v7, v184
	v_add_f32_e32 v22, v22, v23
	;; [unrolled: 3-line block ×6, first 2 shown]
	v_add_f32_e32 v26, v22, v28
	ds_read2_b64 v[22:25], v20 offset0:55 offset1:56
	s_waitcnt vmcnt(44)
	v_fmac_f32_e32 v29, v5, v189
	buffer_load_dword v232, off, s[0:3], 0 offset:256
	buffer_load_dword v233, off, s[0:3], 0 offset:260
	v_add_f32_e32 v30, v26, v29
	buffer_load_dword v234, off, s[0:3], 0 offset:264
	buffer_load_dword v235, off, s[0:3], 0 offset:268
	ds_read2_b64 v[26:29], v20 offset0:57 offset1:58
	s_waitcnt vmcnt(47) lgkmcnt(1)
	v_mul_f32_e32 v31, v22, v190
	s_waitcnt vmcnt(46)
	v_fmac_f32_e32 v31, v23, v191
	v_add_f32_e32 v30, v30, v31
	s_waitcnt vmcnt(45)
	v_mul_f32_e32 v31, v24, v192
	s_waitcnt vmcnt(44)
	v_fmac_f32_e32 v31, v25, v193
	v_add_f32_e32 v30, v30, v31
	s_waitcnt vmcnt(41) lgkmcnt(0)
	v_mul_f32_e32 v31, v26, v194
	s_waitcnt vmcnt(40)
	v_fmac_f32_e32 v31, v27, v195
	buffer_load_dword v236, off, s[0:3], 0 offset:272
	buffer_load_dword v237, off, s[0:3], 0 offset:276
	v_add_f32_e32 v34, v30, v31
	ds_read2_b64 v[30:33], v20 offset0:59 offset1:60
	s_waitcnt vmcnt(40)
	v_mul_f32_e32 v35, v28, v197
	v_fmac_f32_e32 v35, v29, v196
	v_add_f32_e32 v38, v34, v35
	ds_read2_b64 v[34:37], v20 offset0:61 offset1:62
	s_waitcnt vmcnt(38) lgkmcnt(1)
	v_mul_f32_e32 v39, v30, v199
	v_fmac_f32_e32 v39, v31, v198
	v_add_f32_e32 v38, v38, v39
	s_waitcnt vmcnt(36)
	v_mul_f32_e32 v39, v32, v201
	v_fmac_f32_e32 v39, v33, v200
	v_add_f32_e32 v38, v38, v39
	s_waitcnt vmcnt(34) lgkmcnt(0)
	v_mul_f32_e32 v39, v34, v203
	v_fmac_f32_e32 v39, v35, v202
	v_add_f32_e32 v42, v38, v39
	ds_read2_b64 v[38:41], v20 offset0:63 offset1:64
	s_waitcnt vmcnt(32)
	v_mul_f32_e32 v43, v36, v205
	v_fmac_f32_e32 v43, v37, v204
	v_add_f32_e32 v46, v42, v43
	ds_read2_b64 v[42:45], v20 offset0:65 offset1:66
	s_waitcnt vmcnt(30) lgkmcnt(1)
	v_mul_f32_e32 v47, v38, v207
	v_fmac_f32_e32 v47, v39, v206
	v_add_f32_e32 v46, v46, v47
	s_waitcnt vmcnt(28)
	v_mul_f32_e32 v47, v40, v209
	v_fmac_f32_e32 v47, v41, v208
	v_add_f32_e32 v46, v46, v47
	s_waitcnt vmcnt(26) lgkmcnt(0)
	v_mul_f32_e32 v47, v42, v211
	v_fmac_f32_e32 v47, v43, v210
	v_add_f32_e32 v50, v46, v47
	ds_read2_b64 v[46:49], v20 offset0:67 offset1:68
	s_waitcnt vmcnt(24)
	v_mul_f32_e32 v51, v44, v213
	v_fmac_f32_e32 v51, v45, v212
	v_add_f32_e32 v54, v50, v51
	ds_read2_b64 v[50:53], v20 offset0:69 offset1:70
	s_waitcnt vmcnt(22) lgkmcnt(1)
	v_mul_f32_e32 v55, v46, v215
	v_fmac_f32_e32 v55, v47, v214
	v_add_f32_e32 v54, v54, v55
	s_waitcnt vmcnt(20)
	v_mul_f32_e32 v55, v48, v217
	v_fmac_f32_e32 v55, v49, v216
	v_add_f32_e32 v54, v54, v55
	s_waitcnt vmcnt(18) lgkmcnt(0)
	v_mul_f32_e32 v55, v50, v219
	v_fmac_f32_e32 v55, v51, v218
	v_add_f32_e32 v58, v54, v55
	ds_read2_b64 v[54:57], v20 offset0:71 offset1:72
	s_waitcnt vmcnt(16)
	v_mul_f32_e32 v59, v52, v221
	v_fmac_f32_e32 v59, v53, v220
	v_add_f32_e32 v62, v58, v59
	ds_read2_b64 v[58:61], v20 offset0:73 offset1:74
	s_waitcnt vmcnt(14) lgkmcnt(1)
	v_mul_f32_e32 v63, v54, v223
	v_fmac_f32_e32 v63, v55, v222
	v_add_f32_e32 v62, v62, v63
	s_waitcnt vmcnt(12)
	v_mul_f32_e32 v63, v56, v225
	v_fmac_f32_e32 v63, v57, v224
	v_add_f32_e32 v62, v62, v63
	s_waitcnt vmcnt(10) lgkmcnt(0)
	v_mul_f32_e32 v63, v58, v227
	v_fmac_f32_e32 v63, v59, v226
	s_waitcnt vmcnt(8)
	v_mul_f32_e32 v153, v60, v229
	v_add_f32_e32 v152, v62, v63
	v_fmac_f32_e32 v153, v61, v228
	ds_read2_b64 v[62:65], v20 offset0:75 offset1:76
	v_add_f32_e32 v157, v152, v153
	ds_read2_b64 v[152:155], v20 offset0:77 offset1:78
	buffer_load_dword v161, off, s[0:3], 0 offset:300
	buffer_load_dword v160, off, s[0:3], 0 offset:296
	;; [unrolled: 1-line block ×16, first 2 shown]
	v_mul_f32_e32 v15, v15, v21
	v_fma_f32 v14, v14, v182, -v15
	v_mul_f32_e32 v15, v17, v156
	v_add_f32_e32 v14, 0, v14
	v_fma_f32 v15, v16, v183, -v15
	v_mul_f32_e32 v7, v7, v158
	v_add_f32_e32 v14, v14, v15
	v_fma_f32 v6, v6, v184, -v7
	v_mul_f32_e32 v7, v9, v166
	v_add_f32_e32 v6, v14, v6
	v_fma_f32 v7, v8, v185, -v7
	v_add_f32_e32 v6, v6, v7
	v_mul_f32_e32 v7, v11, v178
	v_fma_f32 v7, v10, v186, -v7
	v_add_f32_e32 v6, v6, v7
	v_mul_f32_e32 v7, v13, v179
	v_fma_f32 v7, v12, v187, -v7
	v_mul_f32_e32 v3, v3, v180
	v_add_f32_e32 v6, v6, v7
	v_fma_f32 v2, v2, v188, -v3
	v_mul_f32_e32 v3, v5, v181
	v_add_f32_e32 v2, v6, v2
	v_fma_f32 v3, v4, v189, -v3
	v_add_f32_e32 v2, v2, v3
	v_mul_f32_e32 v3, v23, v190
	v_fma_f32 v3, v22, v191, -v3
	v_add_f32_e32 v2, v2, v3
	v_mul_f32_e32 v3, v25, v192
	;; [unrolled: 3-line block ×20, first 2 shown]
	v_fma_f32 v3, v60, v228, -v3
	v_add_f32_e32 v2, v2, v3
	s_waitcnt vmcnt(22) lgkmcnt(1)
	v_mul_f32_e32 v3, v63, v231
	v_fma_f32 v3, v62, v230, -v3
	v_add_f32_e32 v2, v2, v3
	s_waitcnt vmcnt(20)
	v_mul_f32_e32 v3, v65, v233
	v_mul_f32_e32 v159, v62, v231
	v_fma_f32 v3, v64, v232, -v3
	v_fmac_f32_e32 v159, v63, v230
	v_add_f32_e32 v156, v2, v3
	s_waitcnt vmcnt(18) lgkmcnt(0)
	v_mul_f32_e32 v2, v153, v235
	v_add_f32_e32 v157, v157, v159
	v_mul_f32_e32 v159, v64, v233
	v_fma_f32 v158, v152, v234, -v2
	s_waitcnt vmcnt(16)
	v_mul_f32_e32 v2, v155, v237
	v_fmac_f32_e32 v159, v65, v232
	v_fma_f32 v166, v154, v236, -v2
	ds_read2_b64 v[2:5], v20 offset0:79 offset1:80
	ds_read2_b64 v[6:9], v20 offset0:81 offset1:82
	;; [unrolled: 1-line block ×4, first 2 shown]
	v_add_f32_e32 v157, v157, v159
	v_mul_f32_e32 v159, v152, v235
	s_waitcnt vmcnt(11)
	v_mov_b32_e32 v22, v165
	v_fmac_f32_e32 v159, v153, v234
	v_mul_f32_e32 v167, v154, v237
	s_waitcnt lgkmcnt(3)
	v_pk_mul_f32 v[22:23], v[2:3], v[22:23] op_sel_hi:[1,0]
	v_fmac_f32_e32 v167, v155, v236
	v_pk_add_f32 v[20:21], v[156:157], v[158:159]
	s_waitcnt vmcnt(10)
	v_pk_fma_f32 v[24:25], v[2:3], v[164:165], v[22:23] op_sel:[0,0,1] op_sel_hi:[1,1,0] neg_lo:[0,0,1] neg_hi:[0,0,1]
	v_pk_fma_f32 v[2:3], v[2:3], v[164:165], v[22:23] op_sel:[0,0,1] op_sel_hi:[1,0,0]
	v_pk_add_f32 v[20:21], v[20:21], v[166:167]
	v_mov_b32_e32 v25, v3
	v_pk_add_f32 v[2:3], v[20:21], v[24:25]
	v_mov_b32_e32 v20, v163
	v_pk_mul_f32 v[20:21], v[4:5], v[20:21] op_sel_hi:[1,0]
	v_pk_fma_f32 v[22:23], v[4:5], v[162:163], v[20:21] op_sel:[0,0,1] op_sel_hi:[1,1,0] neg_lo:[0,0,1] neg_hi:[0,0,1]
	v_pk_fma_f32 v[4:5], v[4:5], v[162:163], v[20:21] op_sel:[0,0,1] op_sel_hi:[1,0,0]
	v_mov_b32_e32 v4, v161
	v_mov_b32_e32 v23, v5
	s_waitcnt lgkmcnt(2)
	v_pk_mul_f32 v[4:5], v[6:7], v[4:5] op_sel_hi:[1,0]
	v_pk_fma_f32 v[20:21], v[6:7], v[160:161], v[4:5] op_sel:[0,0,1] op_sel_hi:[1,1,0] neg_lo:[0,0,1] neg_hi:[0,0,1]
	v_pk_fma_f32 v[4:5], v[6:7], v[160:161], v[4:5] op_sel:[0,0,1] op_sel_hi:[1,0,0]
	s_waitcnt vmcnt(3)
	v_mov_b32_e32 v4, v175
	v_mov_b32_e32 v21, v5
	v_pk_mul_f32 v[4:5], v[8:9], v[4:5] op_sel_hi:[1,0]
	s_waitcnt vmcnt(2)
	v_pk_fma_f32 v[6:7], v[8:9], v[174:175], v[4:5] op_sel:[0,0,1] op_sel_hi:[1,1,0] neg_lo:[0,0,1] neg_hi:[0,0,1]
	v_pk_fma_f32 v[4:5], v[8:9], v[174:175], v[4:5] op_sel:[0,0,1] op_sel_hi:[1,0,0]
	v_pk_add_f32 v[2:3], v[2:3], v[22:23]
	v_mov_b32_e32 v4, v173
	v_pk_add_f32 v[2:3], v[2:3], v[20:21]
	v_mov_b32_e32 v7, v5
	s_waitcnt lgkmcnt(1)
	v_pk_mul_f32 v[4:5], v[10:11], v[4:5] op_sel_hi:[1,0]
	v_pk_add_f32 v[2:3], v[2:3], v[6:7]
	v_pk_fma_f32 v[6:7], v[10:11], v[172:173], v[4:5] op_sel:[0,0,1] op_sel_hi:[1,1,0] neg_lo:[0,0,1] neg_hi:[0,0,1]
	v_pk_fma_f32 v[4:5], v[10:11], v[172:173], v[4:5] op_sel:[0,0,1] op_sel_hi:[1,0,0]
	v_mov_b32_e32 v4, v171
	v_mov_b32_e32 v7, v5
	v_pk_mul_f32 v[4:5], v[12:13], v[4:5] op_sel_hi:[1,0]
	v_pk_add_f32 v[2:3], v[2:3], v[6:7]
	v_pk_fma_f32 v[6:7], v[12:13], v[170:171], v[4:5] op_sel:[0,0,1] op_sel_hi:[1,1,0] neg_lo:[0,0,1] neg_hi:[0,0,1]
	v_pk_fma_f32 v[4:5], v[12:13], v[170:171], v[4:5] op_sel:[0,0,1] op_sel_hi:[1,0,0]
	v_mov_b32_e32 v4, v169
	v_mov_b32_e32 v7, v5
	s_waitcnt lgkmcnt(0)
	v_pk_mul_f32 v[4:5], v[14:15], v[4:5] op_sel_hi:[1,0]
	v_pk_add_f32 v[2:3], v[2:3], v[6:7]
	v_pk_fma_f32 v[6:7], v[14:15], v[168:169], v[4:5] op_sel:[0,0,1] op_sel_hi:[1,1,0] neg_lo:[0,0,1] neg_hi:[0,0,1]
	v_pk_fma_f32 v[4:5], v[14:15], v[168:169], v[4:5] op_sel:[0,0,1] op_sel_hi:[1,0,0]
	s_waitcnt vmcnt(1)
	v_mov_b32_e32 v4, v177
	v_mov_b32_e32 v7, v5
	v_pk_mul_f32 v[4:5], v[16:17], v[4:5] op_sel_hi:[1,0]
	v_pk_add_f32 v[2:3], v[2:3], v[6:7]
	s_waitcnt vmcnt(0)
	v_pk_fma_f32 v[6:7], v[16:17], v[176:177], v[4:5] op_sel:[0,0,1] op_sel_hi:[1,1,0] neg_lo:[0,0,1] neg_hi:[0,0,1]
	v_pk_fma_f32 v[4:5], v[16:17], v[176:177], v[4:5] op_sel:[0,0,1] op_sel_hi:[1,0,0]
	v_mov_b32_e32 v7, v5
	v_pk_add_f32 v[2:3], v[2:3], v[6:7]
	v_pk_add_f32 v[2:3], v[18:19], v[2:3] neg_lo:[0,1] neg_hi:[0,1]
	buffer_store_dword v3, off, s[0:3], 0 offset:20
	buffer_store_dword v2, off, s[0:3], 0 offset:16
	s_and_saveexec_b64 s[4:5], vcc
	s_cbranch_execz .LBB106_269
; %bb.268:
	buffer_load_dword v2, off, s[0:3], 0 offset:8
	buffer_load_dword v3, off, s[0:3], 0 offset:12
	v_mov_b32_e32 v4, 0
	buffer_store_dword v4, off, s[0:3], 0 offset:8
	buffer_store_dword v4, off, s[0:3], 0 offset:12
	s_waitcnt vmcnt(2)
	ds_write_b64 v1, v[2:3]
.LBB106_269:
	s_or_b64 exec, exec, s[4:5]
	s_waitcnt lgkmcnt(0)
	; wave barrier
	s_waitcnt lgkmcnt(0)
	buffer_load_dword v156, off, s[0:3], 0 offset:20
	buffer_load_dword v161, off, s[0:3], 0 offset:28
	;; [unrolled: 1-line block ×24, first 2 shown]
	v_mov_b32_e32 v160, 0
	buffer_load_dword v204, off, s[0:3], 0 offset:104
	buffer_load_dword v205, off, s[0:3], 0 offset:108
	;; [unrolled: 1-line block ×32, first 2 shown]
	ds_read_b128 v[18:21], v160 offset:368
	ds_read_b128 v[14:17], v160 offset:384
	;; [unrolled: 1-line block ×5, first 2 shown]
	buffer_load_dword v236, off, s[0:3], 0 offset:232
	buffer_load_dword v237, off, s[0:3], 0 offset:236
	;; [unrolled: 1-line block ×4, first 2 shown]
	v_cmp_ne_u32_e32 vcc, 0, v0
	s_waitcnt vmcnt(59) lgkmcnt(4)
	v_mul_f32_e32 v22, v18, v156
	s_waitcnt vmcnt(58)
	v_mul_f32_e32 v23, v20, v161
	s_waitcnt vmcnt(57) lgkmcnt(3)
	v_mul_f32_e32 v24, v14, v170
	s_waitcnt vmcnt(56)
	v_mul_f32_e32 v25, v16, v172
	;; [unrolled: 4-line block ×4, first 2 shown]
	s_waitcnt vmcnt(51)
	v_fmac_f32_e32 v22, v19, v190
	s_waitcnt vmcnt(50)
	v_fmac_f32_e32 v23, v21, v191
	v_add_f32_e32 v22, 0, v22
	s_waitcnt vmcnt(49)
	v_fmac_f32_e32 v24, v15, v192
	v_add_f32_e32 v22, v22, v23
	;; [unrolled: 3-line block ×7, first 2 shown]
	v_add_f32_e32 v26, v22, v29
	ds_read_b128 v[22:25], v160 offset:448
	buffer_load_dword v240, off, s[0:3], 0 offset:248
	buffer_load_dword v241, off, s[0:3], 0 offset:252
	;; [unrolled: 1-line block ×4, first 2 shown]
	s_waitcnt vmcnt(47) lgkmcnt(1)
	v_mul_f32_e32 v27, v2, v198
	s_waitcnt vmcnt(46)
	v_fmac_f32_e32 v27, v3, v199
	v_add_f32_e32 v26, v26, v27
	s_waitcnt vmcnt(45)
	v_mul_f32_e32 v27, v4, v200
	s_waitcnt vmcnt(44)
	v_fmac_f32_e32 v27, v5, v201
	buffer_load_dword v244, off, s[0:3], 0 offset:264
	buffer_load_dword v245, off, s[0:3], 0 offset:268
	;; [unrolled: 1-line block ×4, first 2 shown]
	ds_read_b128 v[34:37], v160 offset:464
	ds_read_b128 v[30:33], v160 offset:480
	v_add_f32_e32 v26, v26, v27
	s_waitcnt vmcnt(47) lgkmcnt(2)
	v_mul_f32_e32 v27, v22, v202
	s_waitcnt vmcnt(44)
	v_fmac_f32_e32 v27, v23, v203
	v_add_f32_e32 v26, v26, v27
	s_waitcnt vmcnt(42)
	v_mul_f32_e32 v27, v24, v205
	v_fmac_f32_e32 v27, v25, v204
	v_add_f32_e32 v26, v26, v27
	s_waitcnt vmcnt(40) lgkmcnt(1)
	v_mul_f32_e32 v27, v34, v207
	v_fmac_f32_e32 v27, v35, v206
	v_add_f32_e32 v26, v26, v27
	s_waitcnt vmcnt(38)
	v_mul_f32_e32 v27, v36, v209
	v_fmac_f32_e32 v27, v37, v208
	ds_read_b128 v[42:45], v160 offset:496
	ds_read_b128 v[38:41], v160 offset:512
	v_add_f32_e32 v26, v26, v27
	s_waitcnt vmcnt(36) lgkmcnt(2)
	v_mul_f32_e32 v27, v30, v211
	v_fmac_f32_e32 v27, v31, v210
	v_add_f32_e32 v26, v26, v27
	s_waitcnt vmcnt(34)
	v_mul_f32_e32 v27, v32, v213
	v_fmac_f32_e32 v27, v33, v212
	v_add_f32_e32 v26, v26, v27
	s_waitcnt vmcnt(32) lgkmcnt(1)
	v_mul_f32_e32 v27, v42, v215
	v_fmac_f32_e32 v27, v43, v214
	v_add_f32_e32 v26, v26, v27
	s_waitcnt vmcnt(30)
	v_mul_f32_e32 v27, v44, v217
	v_fmac_f32_e32 v27, v45, v216
	ds_read_b128 v[50:53], v160 offset:528
	ds_read_b128 v[46:49], v160 offset:544
	v_add_f32_e32 v26, v26, v27
	s_waitcnt vmcnt(28) lgkmcnt(2)
	v_mul_f32_e32 v27, v38, v219
	;; [unrolled: 18-line block ×4, first 2 shown]
	v_fmac_f32_e32 v27, v55, v234
	v_add_f32_e32 v26, v26, v27
	s_waitcnt vmcnt(10)
	v_mul_f32_e32 v27, v56, v237
	v_fmac_f32_e32 v27, v57, v236
	v_add_f32_e32 v26, v26, v27
	s_waitcnt vmcnt(8) lgkmcnt(1)
	v_mul_f32_e32 v27, v162, v239
	v_fmac_f32_e32 v27, v163, v238
	v_add_f32_e32 v26, v26, v27
	v_mul_f32_e32 v19, v19, v156
	v_fma_f32 v18, v18, v190, -v19
	v_mul_f32_e32 v19, v21, v161
	s_waitcnt vmcnt(6)
	v_mul_f32_e32 v27, v164, v241
	v_fmac_f32_e32 v27, v165, v240
	v_add_f32_e32 v26, v26, v27
	s_waitcnt vmcnt(4) lgkmcnt(0)
	v_mul_f32_e32 v27, v62, v243
	v_fmac_f32_e32 v27, v63, v242
	v_add_f32_e32 v157, v26, v27
	ds_read_b128 v[26:29], v160 offset:624
	buffer_load_dword v155, off, s[0:3], 0 offset:292
	buffer_load_dword v154, off, s[0:3], 0 offset:288
	;; [unrolled: 1-line block ×4, first 2 shown]
	ds_read_b128 v[166:169], v160 offset:640
	buffer_load_dword v175, off, s[0:3], 0 offset:324
	buffer_load_dword v174, off, s[0:3], 0 offset:320
	;; [unrolled: 1-line block ×12, first 2 shown]
	v_add_f32_e32 v18, 0, v18
	v_fma_f32 v19, v20, v191, -v19
	v_mul_f32_e32 v15, v15, v170
	v_add_f32_e32 v18, v18, v19
	v_fma_f32 v14, v14, v192, -v15
	v_mul_f32_e32 v15, v17, v172
	;; [unrolled: 3-line block ×8, first 2 shown]
	v_add_f32_e32 v2, v6, v2
	v_fma_f32 v3, v4, v201, -v3
	v_add_f32_e32 v2, v2, v3
	v_mul_f32_e32 v3, v23, v202
	v_fma_f32 v3, v22, v203, -v3
	v_add_f32_e32 v2, v2, v3
	v_mul_f32_e32 v3, v25, v205
	;; [unrolled: 3-line block ×21, first 2 shown]
	v_fma_f32 v3, v62, v242, -v3
	s_waitcnt vmcnt(13)
	v_mov_b32_e32 v14, v159
	v_mul_f32_e32 v171, v64, v245
	v_add_f32_e32 v156, v2, v3
	v_mul_f32_e32 v2, v65, v245
	s_waitcnt lgkmcnt(1)
	v_pk_mul_f32 v[14:15], v[28:29], v[14:15] op_sel_hi:[1,0]
	v_fmac_f32_e32 v171, v65, v244
	v_mul_f32_e32 v173, v26, v247
	v_fma_f32 v170, v64, v244, -v2
	v_mul_f32_e32 v2, v27, v247
	s_waitcnt vmcnt(12)
	v_pk_fma_f32 v[16:17], v[28:29], v[158:159], v[14:15] op_sel:[0,0,1] op_sel_hi:[1,1,0] neg_lo:[0,0,1] neg_hi:[0,0,1]
	v_pk_fma_f32 v[14:15], v[28:29], v[158:159], v[14:15] op_sel:[0,0,1] op_sel_hi:[1,0,0]
	v_fmac_f32_e32 v173, v27, v246
	v_fma_f32 v172, v26, v246, -v2
	v_pk_add_f32 v[12:13], v[156:157], v[170:171]
	v_mov_b32_e32 v14, v155
	v_pk_add_f32 v[12:13], v[12:13], v[172:173]
	v_mov_b32_e32 v17, v15
	s_waitcnt lgkmcnt(0)
	v_pk_mul_f32 v[14:15], v[166:167], v[14:15] op_sel_hi:[1,0]
	v_pk_add_f32 v[12:13], v[12:13], v[16:17]
	v_pk_fma_f32 v[16:17], v[166:167], v[154:155], v[14:15] op_sel:[0,0,1] op_sel_hi:[1,1,0] neg_lo:[0,0,1] neg_hi:[0,0,1]
	v_pk_fma_f32 v[14:15], v[166:167], v[154:155], v[14:15] op_sel:[0,0,1] op_sel_hi:[1,0,0]
	s_waitcnt vmcnt(5)
	v_mov_b32_e32 v14, v181
	ds_read_b128 v[2:5], v160 offset:656
	ds_read_b128 v[6:9], v160 offset:672
	ds_read_b64 v[10:11], v160 offset:688
	v_mov_b32_e32 v17, v15
	v_pk_mul_f32 v[14:15], v[168:169], v[14:15] op_sel_hi:[1,0]
	v_pk_add_f32 v[12:13], v[12:13], v[16:17]
	s_waitcnt vmcnt(4)
	v_pk_fma_f32 v[16:17], v[168:169], v[180:181], v[14:15] op_sel:[0,0,1] op_sel_hi:[1,1,0] neg_lo:[0,0,1] neg_hi:[0,0,1]
	v_pk_fma_f32 v[14:15], v[168:169], v[180:181], v[14:15] op_sel:[0,0,1] op_sel_hi:[1,0,0]
	v_mov_b32_e32 v14, v179
	v_mov_b32_e32 v17, v15
	s_waitcnt lgkmcnt(2)
	v_pk_mul_f32 v[14:15], v[2:3], v[14:15] op_sel_hi:[1,0]
	v_pk_add_f32 v[12:13], v[12:13], v[16:17]
	v_pk_fma_f32 v[16:17], v[2:3], v[178:179], v[14:15] op_sel:[0,0,1] op_sel_hi:[1,1,0] neg_lo:[0,0,1] neg_hi:[0,0,1]
	v_pk_fma_f32 v[2:3], v[2:3], v[178:179], v[14:15] op_sel:[0,0,1] op_sel_hi:[1,0,0]
	v_mov_b32_e32 v17, v3
	v_pk_add_f32 v[2:3], v[12:13], v[16:17]
	v_mov_b32_e32 v12, v177
	v_pk_mul_f32 v[12:13], v[4:5], v[12:13] op_sel_hi:[1,0]
	v_pk_fma_f32 v[14:15], v[4:5], v[176:177], v[12:13] op_sel:[0,0,1] op_sel_hi:[1,1,0] neg_lo:[0,0,1] neg_hi:[0,0,1]
	v_pk_fma_f32 v[4:5], v[4:5], v[176:177], v[12:13] op_sel:[0,0,1] op_sel_hi:[1,0,0]
	v_mov_b32_e32 v4, v175
	v_mov_b32_e32 v15, v5
	s_waitcnt lgkmcnt(1)
	v_pk_mul_f32 v[4:5], v[6:7], v[4:5] op_sel_hi:[1,0]
	v_pk_fma_f32 v[12:13], v[6:7], v[174:175], v[4:5] op_sel:[0,0,1] op_sel_hi:[1,1,0] neg_lo:[0,0,1] neg_hi:[0,0,1]
	v_pk_fma_f32 v[4:5], v[6:7], v[174:175], v[4:5] op_sel:[0,0,1] op_sel_hi:[1,0,0]
	s_waitcnt vmcnt(1)
	v_mov_b32_e32 v4, v185
	v_mov_b32_e32 v13, v5
	v_pk_mul_f32 v[4:5], v[8:9], v[4:5] op_sel_hi:[1,0]
	s_waitcnt vmcnt(0)
	v_pk_fma_f32 v[6:7], v[8:9], v[184:185], v[4:5] op_sel:[0,0,1] op_sel_hi:[1,1,0] neg_lo:[0,0,1] neg_hi:[0,0,1]
	v_pk_fma_f32 v[4:5], v[8:9], v[184:185], v[4:5] op_sel:[0,0,1] op_sel_hi:[1,0,0]
	v_pk_add_f32 v[2:3], v[2:3], v[14:15]
	v_mov_b32_e32 v4, v183
	v_pk_add_f32 v[2:3], v[2:3], v[12:13]
	v_mov_b32_e32 v7, v5
	s_waitcnt lgkmcnt(0)
	v_pk_mul_f32 v[4:5], v[10:11], v[4:5] op_sel_hi:[1,0]
	v_pk_add_f32 v[2:3], v[2:3], v[6:7]
	v_pk_fma_f32 v[6:7], v[10:11], v[182:183], v[4:5] op_sel:[0,0,1] op_sel_hi:[1,1,0] neg_lo:[0,0,1] neg_hi:[0,0,1]
	v_pk_fma_f32 v[4:5], v[10:11], v[182:183], v[4:5] op_sel:[0,0,1] op_sel_hi:[1,0,0]
	v_mov_b32_e32 v7, v5
	v_pk_add_f32 v[2:3], v[2:3], v[6:7]
	v_pk_add_f32 v[2:3], v[152:153], v[2:3] neg_lo:[0,1] neg_hi:[0,1]
	buffer_store_dword v3, off, s[0:3], 0 offset:12
	buffer_store_dword v2, off, s[0:3], 0 offset:8
	s_and_saveexec_b64 s[4:5], vcc
	s_cbranch_execz .LBB106_271
; %bb.270:
	buffer_load_dword v2, off, s[0:3], 0
	buffer_load_dword v3, off, s[0:3], 0 offset:4
	s_waitcnt vmcnt(0)
	ds_write_b64 v1, v[2:3]
	buffer_store_dword v160, off, s[0:3], 0
	buffer_store_dword v160, off, s[0:3], 0 offset:4
.LBB106_271:
	s_or_b64 exec, exec, s[4:5]
	s_waitcnt lgkmcnt(0)
	; wave barrier
	s_waitcnt lgkmcnt(0)
	buffer_load_dword v161, off, s[0:3], 0 offset:12
	buffer_load_dword v164, off, s[0:3], 0 offset:20
	;; [unrolled: 1-line block ×21, first 2 shown]
	buffer_load_dword v24, off, s[0:3], 0
	buffer_load_dword v25, off, s[0:3], 0 offset:4
	buffer_load_dword v201, off, s[0:3], 0 offset:88
	ds_read2_b64 v[20:23], v160 offset0:45 offset1:46
	ds_read2_b64 v[16:19], v160 offset0:47 offset1:48
	;; [unrolled: 1-line block ×4, first 2 shown]
	buffer_load_dword v202, off, s[0:3], 0 offset:96
	buffer_load_dword v203, off, s[0:3], 0 offset:100
	ds_read2_b64 v[8:11], v160 offset0:53 offset1:54
	ds_read2_b64 v[0:3], v160 offset0:55 offset1:56
	buffer_load_dword v204, off, s[0:3], 0 offset:104
	buffer_load_dword v205, off, s[0:3], 0 offset:108
	;; [unrolled: 1-line block ×44, first 2 shown]
	s_and_b64 vcc, exec, s[16:17]
	s_waitcnt vmcnt(62) lgkmcnt(5)
	v_mul_f32_e32 v26, v20, v161
	v_mul_f32_e32 v27, v22, v164
	s_waitcnt lgkmcnt(4)
	v_mul_f32_e32 v28, v16, v166
	v_mul_f32_e32 v29, v18, v168
	s_waitcnt lgkmcnt(3)
	v_mul_f32_e32 v30, v12, v184
	v_mul_f32_e32 v31, v14, v185
	s_waitcnt lgkmcnt(2)
	v_mul_f32_e32 v32, v4, v186
	v_mul_f32_e32 v33, v6, v187
	s_waitcnt vmcnt(61)
	v_fmac_f32_e32 v26, v21, v188
	s_waitcnt vmcnt(60)
	v_fmac_f32_e32 v27, v23, v189
	v_add_f32_e32 v26, 0, v26
	s_waitcnt vmcnt(59)
	v_fmac_f32_e32 v28, v17, v190
	v_add_f32_e32 v26, v26, v27
	s_waitcnt vmcnt(58)
	v_fmac_f32_e32 v29, v19, v191
	v_add_f32_e32 v26, v26, v28
	s_waitcnt vmcnt(57)
	v_fmac_f32_e32 v30, v13, v192
	v_add_f32_e32 v26, v26, v29
	s_waitcnt vmcnt(56)
	v_fmac_f32_e32 v31, v15, v193
	v_add_f32_e32 v26, v26, v30
	s_waitcnt vmcnt(55)
	v_fmac_f32_e32 v32, v5, v194
	v_add_f32_e32 v26, v26, v31
	s_waitcnt vmcnt(54)
	v_fmac_f32_e32 v33, v7, v195
	v_add_f32_e32 v26, v26, v32
	s_waitcnt vmcnt(53) lgkmcnt(1)
	v_mul_f32_e32 v27, v8, v196
	v_add_f32_e32 v26, v26, v33
	s_waitcnt vmcnt(52)
	v_fmac_f32_e32 v27, v9, v197
	v_add_f32_e32 v26, v26, v27
	s_waitcnt vmcnt(51)
	v_mul_f32_e32 v27, v10, v198
	s_waitcnt vmcnt(50)
	v_fmac_f32_e32 v27, v11, v199
	v_add_f32_e32 v26, v26, v27
	s_waitcnt vmcnt(49) lgkmcnt(0)
	v_mul_f32_e32 v27, v0, v200
	s_waitcnt vmcnt(46)
	v_fmac_f32_e32 v27, v1, v201
	v_add_f32_e32 v30, v26, v27
	ds_read2_b64 v[26:29], v160 offset0:57 offset1:58
	s_waitcnt vmcnt(44)
	v_mul_f32_e32 v31, v2, v203
	v_fmac_f32_e32 v31, v3, v202
	v_add_f32_e32 v34, v30, v31
	ds_read2_b64 v[30:33], v160 offset0:59 offset1:60
	s_waitcnt vmcnt(42) lgkmcnt(1)
	v_mul_f32_e32 v35, v26, v205
	v_fmac_f32_e32 v35, v27, v204
	v_add_f32_e32 v34, v34, v35
	s_waitcnt vmcnt(40)
	v_mul_f32_e32 v35, v28, v207
	v_fmac_f32_e32 v35, v29, v206
	v_add_f32_e32 v34, v34, v35
	s_waitcnt vmcnt(38) lgkmcnt(0)
	v_mul_f32_e32 v35, v30, v209
	v_fmac_f32_e32 v35, v31, v208
	v_add_f32_e32 v38, v34, v35
	ds_read2_b64 v[34:37], v160 offset0:61 offset1:62
	s_waitcnt vmcnt(36)
	v_mul_f32_e32 v39, v32, v211
	v_fmac_f32_e32 v39, v33, v210
	v_add_f32_e32 v42, v38, v39
	ds_read2_b64 v[38:41], v160 offset0:63 offset1:64
	s_waitcnt vmcnt(34) lgkmcnt(1)
	v_mul_f32_e32 v43, v34, v213
	v_fmac_f32_e32 v43, v35, v212
	v_add_f32_e32 v42, v42, v43
	s_waitcnt vmcnt(32)
	v_mul_f32_e32 v43, v36, v215
	v_fmac_f32_e32 v43, v37, v214
	v_add_f32_e32 v42, v42, v43
	s_waitcnt vmcnt(30) lgkmcnt(0)
	v_mul_f32_e32 v43, v38, v217
	;; [unrolled: 18-line block ×4, first 2 shown]
	v_fmac_f32_e32 v59, v55, v232
	v_add_f32_e32 v62, v58, v59
	ds_read2_b64 v[58:61], v160 offset0:73 offset1:74
	s_waitcnt vmcnt(12)
	v_mul_f32_e32 v63, v56, v235
	v_fmac_f32_e32 v63, v57, v234
	v_add_f32_e32 v152, v62, v63
	ds_read2_b64 v[62:65], v160 offset0:75 offset1:76
	buffer_load_dword v163, off, s[0:3], 0 offset:284
	buffer_load_dword v162, off, s[0:3], 0 offset:280
	s_waitcnt vmcnt(12) lgkmcnt(1)
	v_mul_f32_e32 v153, v58, v237
	v_fmac_f32_e32 v153, v59, v236
	v_add_f32_e32 v152, v152, v153
	s_waitcnt vmcnt(10)
	v_mul_f32_e32 v153, v60, v239
	v_fmac_f32_e32 v153, v61, v238
	v_add_f32_e32 v152, v152, v153
	s_waitcnt vmcnt(8) lgkmcnt(0)
	v_mul_f32_e32 v153, v62, v241
	v_fmac_f32_e32 v153, v63, v240
	s_waitcnt vmcnt(6)
	v_mul_f32_e32 v157, v64, v243
	v_add_f32_e32 v156, v152, v153
	v_fmac_f32_e32 v157, v65, v242
	ds_read2_b64 v[152:155], v160 offset0:77 offset1:78
	v_add_f32_e32 v165, v156, v157
	ds_read2_b64 v[156:159], v160 offset0:79 offset1:80
	buffer_load_dword v171, off, s[0:3], 0 offset:316
	buffer_load_dword v170, off, s[0:3], 0 offset:312
	;; [unrolled: 1-line block ×14, first 2 shown]
	v_mul_f32_e32 v21, v21, v161
	v_fma_f32 v20, v20, v188, -v21
	v_mul_f32_e32 v21, v23, v164
	v_add_f32_e32 v20, 0, v20
	v_fma_f32 v21, v22, v189, -v21
	v_mul_f32_e32 v17, v17, v166
	v_add_f32_e32 v20, v20, v21
	;; [unrolled: 3-line block ×7, first 2 shown]
	v_fma_f32 v5, v6, v195, -v5
	v_add_f32_e32 v4, v4, v5
	v_mul_f32_e32 v5, v9, v196
	v_fma_f32 v5, v8, v197, -v5
	v_add_f32_e32 v4, v4, v5
	v_mul_f32_e32 v5, v11, v198
	v_fma_f32 v5, v10, v199, -v5
	v_mul_f32_e32 v1, v1, v200
	v_add_f32_e32 v4, v4, v5
	v_fma_f32 v0, v0, v201, -v1
	v_mul_f32_e32 v1, v3, v203
	v_add_f32_e32 v0, v4, v0
	v_fma_f32 v1, v2, v202, -v1
	v_add_f32_e32 v0, v0, v1
	v_mul_f32_e32 v1, v27, v205
	v_fma_f32 v1, v26, v204, -v1
	v_add_f32_e32 v0, v0, v1
	v_mul_f32_e32 v1, v29, v207
	;; [unrolled: 3-line block ×20, first 2 shown]
	v_fma_f32 v1, v64, v242, -v1
	s_waitcnt vmcnt(15)
	v_mov_b32_e32 v14, v163
	s_waitcnt lgkmcnt(1)
	v_mul_f32_e32 v167, v152, v245
	v_add_f32_e32 v164, v0, v1
	v_mul_f32_e32 v0, v153, v245
	s_waitcnt lgkmcnt(0)
	v_pk_mul_f32 v[14:15], v[156:157], v[14:15] op_sel_hi:[1,0]
	v_fmac_f32_e32 v167, v153, v244
	v_mul_f32_e32 v169, v154, v247
	v_fma_f32 v166, v152, v244, -v0
	v_mul_f32_e32 v0, v155, v247
	s_waitcnt vmcnt(14)
	v_pk_fma_f32 v[16:17], v[156:157], v[162:163], v[14:15] op_sel:[0,0,1] op_sel_hi:[1,1,0] neg_lo:[0,0,1] neg_hi:[0,0,1]
	v_pk_fma_f32 v[14:15], v[156:157], v[162:163], v[14:15] op_sel:[0,0,1] op_sel_hi:[1,0,0]
	v_fmac_f32_e32 v169, v155, v246
	v_fma_f32 v168, v154, v246, -v0
	v_pk_add_f32 v[12:13], v[164:165], v[166:167]
	s_waitcnt vmcnt(7)
	v_mov_b32_e32 v14, v177
	ds_read2_b64 v[0:3], v160 offset0:81 offset1:82
	ds_read2_b64 v[4:7], v160 offset0:83 offset1:84
	;; [unrolled: 1-line block ×3, first 2 shown]
	v_pk_add_f32 v[12:13], v[12:13], v[168:169]
	v_mov_b32_e32 v17, v15
	v_pk_mul_f32 v[14:15], v[158:159], v[14:15] op_sel_hi:[1,0]
	v_pk_add_f32 v[12:13], v[12:13], v[16:17]
	s_waitcnt vmcnt(6)
	v_pk_fma_f32 v[16:17], v[158:159], v[176:177], v[14:15] op_sel:[0,0,1] op_sel_hi:[1,1,0] neg_lo:[0,0,1] neg_hi:[0,0,1]
	v_pk_fma_f32 v[14:15], v[158:159], v[176:177], v[14:15] op_sel:[0,0,1] op_sel_hi:[1,0,0]
	v_mov_b32_e32 v14, v175
	v_mov_b32_e32 v17, v15
	s_waitcnt lgkmcnt(2)
	v_pk_mul_f32 v[14:15], v[0:1], v[14:15] op_sel_hi:[1,0]
	v_pk_add_f32 v[12:13], v[12:13], v[16:17]
	v_pk_fma_f32 v[16:17], v[0:1], v[174:175], v[14:15] op_sel:[0,0,1] op_sel_hi:[1,1,0] neg_lo:[0,0,1] neg_hi:[0,0,1]
	v_pk_fma_f32 v[0:1], v[0:1], v[174:175], v[14:15] op_sel:[0,0,1] op_sel_hi:[1,0,0]
	v_mov_b32_e32 v17, v1
	v_pk_add_f32 v[0:1], v[12:13], v[16:17]
	v_mov_b32_e32 v12, v173
	v_pk_mul_f32 v[12:13], v[2:3], v[12:13] op_sel_hi:[1,0]
	v_pk_fma_f32 v[14:15], v[2:3], v[172:173], v[12:13] op_sel:[0,0,1] op_sel_hi:[1,1,0] neg_lo:[0,0,1] neg_hi:[0,0,1]
	v_pk_fma_f32 v[2:3], v[2:3], v[172:173], v[12:13] op_sel:[0,0,1] op_sel_hi:[1,0,0]
	v_mov_b32_e32 v2, v171
	v_mov_b32_e32 v15, v3
	s_waitcnt lgkmcnt(1)
	v_pk_mul_f32 v[2:3], v[4:5], v[2:3] op_sel_hi:[1,0]
	v_pk_fma_f32 v[12:13], v[4:5], v[170:171], v[2:3] op_sel:[0,0,1] op_sel_hi:[1,1,0] neg_lo:[0,0,1] neg_hi:[0,0,1]
	v_pk_fma_f32 v[2:3], v[4:5], v[170:171], v[2:3] op_sel:[0,0,1] op_sel_hi:[1,0,0]
	s_waitcnt vmcnt(1)
	v_mov_b32_e32 v2, v183
	v_mov_b32_e32 v13, v3
	v_pk_mul_f32 v[2:3], v[6:7], v[2:3] op_sel_hi:[1,0]
	s_waitcnt vmcnt(0)
	v_pk_fma_f32 v[4:5], v[6:7], v[182:183], v[2:3] op_sel:[0,0,1] op_sel_hi:[1,1,0] neg_lo:[0,0,1] neg_hi:[0,0,1]
	v_pk_fma_f32 v[2:3], v[6:7], v[182:183], v[2:3] op_sel:[0,0,1] op_sel_hi:[1,0,0]
	v_pk_add_f32 v[0:1], v[0:1], v[14:15]
	v_mov_b32_e32 v2, v181
	v_pk_add_f32 v[0:1], v[0:1], v[12:13]
	v_mov_b32_e32 v5, v3
	s_waitcnt lgkmcnt(0)
	v_pk_mul_f32 v[2:3], v[8:9], v[2:3] op_sel_hi:[1,0]
	v_pk_add_f32 v[0:1], v[0:1], v[4:5]
	v_pk_fma_f32 v[4:5], v[8:9], v[180:181], v[2:3] op_sel:[0,0,1] op_sel_hi:[1,1,0] neg_lo:[0,0,1] neg_hi:[0,0,1]
	v_pk_fma_f32 v[2:3], v[8:9], v[180:181], v[2:3] op_sel:[0,0,1] op_sel_hi:[1,0,0]
	v_mov_b32_e32 v2, v179
	v_mov_b32_e32 v5, v3
	v_pk_mul_f32 v[2:3], v[10:11], v[2:3] op_sel_hi:[1,0]
	v_pk_add_f32 v[0:1], v[0:1], v[4:5]
	v_pk_fma_f32 v[4:5], v[10:11], v[178:179], v[2:3] op_sel:[0,0,1] op_sel_hi:[1,1,0] neg_lo:[0,0,1] neg_hi:[0,0,1]
	v_pk_fma_f32 v[2:3], v[10:11], v[178:179], v[2:3] op_sel:[0,0,1] op_sel_hi:[1,0,0]
	v_mov_b32_e32 v5, v3
	v_pk_add_f32 v[0:1], v[0:1], v[4:5]
	v_pk_add_f32 v[0:1], v[24:25], v[0:1] neg_lo:[0,1] neg_hi:[0,1]
	buffer_store_dword v1, off, s[0:3], 0 offset:4
	buffer_store_dword v0, off, s[0:3], 0
	s_cbranch_vccz .LBB106_357
; %bb.272:
	v_pk_mov_b32 v[0:1], s[10:11], s[10:11] op_sel:[0,1]
	flat_load_dword v0, v[0:1] offset:164
	s_waitcnt vmcnt(0) lgkmcnt(0)
	v_add_u32_e32 v0, -1, v0
	v_cmp_ne_u32_e32 vcc, 41, v0
	s_and_saveexec_b64 s[4:5], vcc
	s_cbranch_execz .LBB106_274
; %bb.273:
	v_mov_b32_e32 v1, 0
	v_lshl_add_u32 v0, v0, 3, v1
	buffer_load_dword v1, v0, s[0:3], 0 offen
	buffer_load_dword v2, v0, s[0:3], 0 offen offset:4
	buffer_load_dword v3, off, s[0:3], 0 offset:328
	buffer_load_dword v4, off, s[0:3], 0 offset:332
	s_waitcnt vmcnt(3)
	buffer_store_dword v1, off, s[0:3], 0 offset:328
	s_waitcnt vmcnt(3)
	buffer_store_dword v2, off, s[0:3], 0 offset:332
	s_waitcnt vmcnt(3)
	buffer_store_dword v3, v0, s[0:3], 0 offen
	s_waitcnt vmcnt(3)
	buffer_store_dword v4, v0, s[0:3], 0 offen offset:4
.LBB106_274:
	s_or_b64 exec, exec, s[4:5]
	v_pk_mov_b32 v[0:1], s[10:11], s[10:11] op_sel:[0,1]
	flat_load_dword v0, v[0:1] offset:160
	s_waitcnt vmcnt(0) lgkmcnt(0)
	v_add_u32_e32 v0, -1, v0
	v_cmp_ne_u32_e32 vcc, 40, v0
	s_and_saveexec_b64 s[4:5], vcc
	s_cbranch_execz .LBB106_276
; %bb.275:
	v_mov_b32_e32 v1, 0
	v_lshl_add_u32 v0, v0, 3, v1
	buffer_load_dword v1, v0, s[0:3], 0 offen
	buffer_load_dword v2, v0, s[0:3], 0 offen offset:4
	buffer_load_dword v3, off, s[0:3], 0 offset:324
	buffer_load_dword v4, off, s[0:3], 0 offset:320
	s_waitcnt vmcnt(3)
	buffer_store_dword v1, off, s[0:3], 0 offset:320
	s_waitcnt vmcnt(3)
	buffer_store_dword v2, off, s[0:3], 0 offset:324
	s_waitcnt vmcnt(3)
	buffer_store_dword v3, v0, s[0:3], 0 offen offset:4
	s_waitcnt vmcnt(3)
	buffer_store_dword v4, v0, s[0:3], 0 offen
.LBB106_276:
	s_or_b64 exec, exec, s[4:5]
	v_pk_mov_b32 v[0:1], s[10:11], s[10:11] op_sel:[0,1]
	flat_load_dword v0, v[0:1] offset:156
	s_waitcnt vmcnt(0) lgkmcnt(0)
	v_add_u32_e32 v0, -1, v0
	v_cmp_ne_u32_e32 vcc, 39, v0
	s_and_saveexec_b64 s[4:5], vcc
	s_cbranch_execz .LBB106_278
; %bb.277:
	v_mov_b32_e32 v1, 0
	v_lshl_add_u32 v0, v0, 3, v1
	buffer_load_dword v1, v0, s[0:3], 0 offen
	buffer_load_dword v2, v0, s[0:3], 0 offen offset:4
	buffer_load_dword v3, off, s[0:3], 0 offset:312
	buffer_load_dword v4, off, s[0:3], 0 offset:316
	s_waitcnt vmcnt(3)
	buffer_store_dword v1, off, s[0:3], 0 offset:312
	s_waitcnt vmcnt(3)
	buffer_store_dword v2, off, s[0:3], 0 offset:316
	s_waitcnt vmcnt(3)
	buffer_store_dword v3, v0, s[0:3], 0 offen
	s_waitcnt vmcnt(3)
	buffer_store_dword v4, v0, s[0:3], 0 offen offset:4
.LBB106_278:
	s_or_b64 exec, exec, s[4:5]
	v_pk_mov_b32 v[0:1], s[10:11], s[10:11] op_sel:[0,1]
	flat_load_dword v0, v[0:1] offset:152
	s_waitcnt vmcnt(0) lgkmcnt(0)
	v_add_u32_e32 v0, -1, v0
	v_cmp_ne_u32_e32 vcc, 38, v0
	s_and_saveexec_b64 s[4:5], vcc
	s_cbranch_execz .LBB106_280
; %bb.279:
	v_mov_b32_e32 v1, 0
	v_lshl_add_u32 v0, v0, 3, v1
	buffer_load_dword v1, v0, s[0:3], 0 offen
	buffer_load_dword v2, v0, s[0:3], 0 offen offset:4
	buffer_load_dword v3, off, s[0:3], 0 offset:308
	buffer_load_dword v4, off, s[0:3], 0 offset:304
	s_waitcnt vmcnt(3)
	buffer_store_dword v1, off, s[0:3], 0 offset:304
	s_waitcnt vmcnt(3)
	buffer_store_dword v2, off, s[0:3], 0 offset:308
	s_waitcnt vmcnt(3)
	buffer_store_dword v3, v0, s[0:3], 0 offen offset:4
	s_waitcnt vmcnt(3)
	buffer_store_dword v4, v0, s[0:3], 0 offen
.LBB106_280:
	s_or_b64 exec, exec, s[4:5]
	v_pk_mov_b32 v[0:1], s[10:11], s[10:11] op_sel:[0,1]
	flat_load_dword v0, v[0:1] offset:148
	s_waitcnt vmcnt(0) lgkmcnt(0)
	v_add_u32_e32 v0, -1, v0
	v_cmp_ne_u32_e32 vcc, 37, v0
	s_and_saveexec_b64 s[4:5], vcc
	s_cbranch_execz .LBB106_282
; %bb.281:
	v_mov_b32_e32 v1, 0
	v_lshl_add_u32 v0, v0, 3, v1
	buffer_load_dword v1, v0, s[0:3], 0 offen
	buffer_load_dword v2, v0, s[0:3], 0 offen offset:4
	buffer_load_dword v3, off, s[0:3], 0 offset:296
	buffer_load_dword v4, off, s[0:3], 0 offset:300
	s_waitcnt vmcnt(3)
	buffer_store_dword v1, off, s[0:3], 0 offset:296
	s_waitcnt vmcnt(3)
	buffer_store_dword v2, off, s[0:3], 0 offset:300
	s_waitcnt vmcnt(3)
	buffer_store_dword v3, v0, s[0:3], 0 offen
	s_waitcnt vmcnt(3)
	buffer_store_dword v4, v0, s[0:3], 0 offen offset:4
.LBB106_282:
	s_or_b64 exec, exec, s[4:5]
	v_pk_mov_b32 v[0:1], s[10:11], s[10:11] op_sel:[0,1]
	flat_load_dword v0, v[0:1] offset:144
	s_waitcnt vmcnt(0) lgkmcnt(0)
	v_add_u32_e32 v0, -1, v0
	v_cmp_ne_u32_e32 vcc, 36, v0
	s_and_saveexec_b64 s[4:5], vcc
	s_cbranch_execz .LBB106_284
; %bb.283:
	v_mov_b32_e32 v1, 0
	v_lshl_add_u32 v0, v0, 3, v1
	buffer_load_dword v1, v0, s[0:3], 0 offen
	buffer_load_dword v2, v0, s[0:3], 0 offen offset:4
	buffer_load_dword v3, off, s[0:3], 0 offset:292
	buffer_load_dword v4, off, s[0:3], 0 offset:288
	s_waitcnt vmcnt(3)
	buffer_store_dword v1, off, s[0:3], 0 offset:288
	s_waitcnt vmcnt(3)
	buffer_store_dword v2, off, s[0:3], 0 offset:292
	s_waitcnt vmcnt(3)
	buffer_store_dword v3, v0, s[0:3], 0 offen offset:4
	s_waitcnt vmcnt(3)
	buffer_store_dword v4, v0, s[0:3], 0 offen
.LBB106_284:
	s_or_b64 exec, exec, s[4:5]
	v_pk_mov_b32 v[0:1], s[10:11], s[10:11] op_sel:[0,1]
	flat_load_dword v0, v[0:1] offset:140
	s_waitcnt vmcnt(0) lgkmcnt(0)
	v_add_u32_e32 v0, -1, v0
	v_cmp_ne_u32_e32 vcc, 35, v0
	s_and_saveexec_b64 s[4:5], vcc
	s_cbranch_execz .LBB106_286
; %bb.285:
	v_mov_b32_e32 v1, 0
	v_lshl_add_u32 v0, v0, 3, v1
	buffer_load_dword v1, v0, s[0:3], 0 offen
	buffer_load_dword v2, v0, s[0:3], 0 offen offset:4
	buffer_load_dword v3, off, s[0:3], 0 offset:280
	buffer_load_dword v4, off, s[0:3], 0 offset:284
	s_waitcnt vmcnt(3)
	buffer_store_dword v1, off, s[0:3], 0 offset:280
	s_waitcnt vmcnt(3)
	buffer_store_dword v2, off, s[0:3], 0 offset:284
	s_waitcnt vmcnt(3)
	buffer_store_dword v3, v0, s[0:3], 0 offen
	s_waitcnt vmcnt(3)
	buffer_store_dword v4, v0, s[0:3], 0 offen offset:4
.LBB106_286:
	s_or_b64 exec, exec, s[4:5]
	v_pk_mov_b32 v[0:1], s[10:11], s[10:11] op_sel:[0,1]
	flat_load_dword v0, v[0:1] offset:136
	s_waitcnt vmcnt(0) lgkmcnt(0)
	v_add_u32_e32 v0, -1, v0
	v_cmp_ne_u32_e32 vcc, 34, v0
	s_and_saveexec_b64 s[4:5], vcc
	s_cbranch_execz .LBB106_288
; %bb.287:
	v_mov_b32_e32 v1, 0
	v_lshl_add_u32 v0, v0, 3, v1
	buffer_load_dword v1, v0, s[0:3], 0 offen
	buffer_load_dword v2, v0, s[0:3], 0 offen offset:4
	buffer_load_dword v3, off, s[0:3], 0 offset:276
	buffer_load_dword v4, off, s[0:3], 0 offset:272
	s_waitcnt vmcnt(3)
	buffer_store_dword v1, off, s[0:3], 0 offset:272
	s_waitcnt vmcnt(3)
	buffer_store_dword v2, off, s[0:3], 0 offset:276
	s_waitcnt vmcnt(3)
	buffer_store_dword v3, v0, s[0:3], 0 offen offset:4
	s_waitcnt vmcnt(3)
	buffer_store_dword v4, v0, s[0:3], 0 offen
.LBB106_288:
	s_or_b64 exec, exec, s[4:5]
	v_pk_mov_b32 v[0:1], s[10:11], s[10:11] op_sel:[0,1]
	flat_load_dword v0, v[0:1] offset:132
	s_waitcnt vmcnt(0) lgkmcnt(0)
	v_add_u32_e32 v0, -1, v0
	v_cmp_ne_u32_e32 vcc, 33, v0
	s_and_saveexec_b64 s[4:5], vcc
	s_cbranch_execz .LBB106_290
; %bb.289:
	v_mov_b32_e32 v1, 0
	v_lshl_add_u32 v0, v0, 3, v1
	buffer_load_dword v1, v0, s[0:3], 0 offen
	buffer_load_dword v2, v0, s[0:3], 0 offen offset:4
	buffer_load_dword v3, off, s[0:3], 0 offset:264
	buffer_load_dword v4, off, s[0:3], 0 offset:268
	s_waitcnt vmcnt(3)
	buffer_store_dword v1, off, s[0:3], 0 offset:264
	s_waitcnt vmcnt(3)
	buffer_store_dword v2, off, s[0:3], 0 offset:268
	s_waitcnt vmcnt(3)
	buffer_store_dword v3, v0, s[0:3], 0 offen
	s_waitcnt vmcnt(3)
	buffer_store_dword v4, v0, s[0:3], 0 offen offset:4
.LBB106_290:
	s_or_b64 exec, exec, s[4:5]
	v_pk_mov_b32 v[0:1], s[10:11], s[10:11] op_sel:[0,1]
	flat_load_dword v0, v[0:1] offset:128
	s_waitcnt vmcnt(0) lgkmcnt(0)
	v_add_u32_e32 v0, -1, v0
	v_cmp_ne_u32_e32 vcc, 32, v0
	s_and_saveexec_b64 s[4:5], vcc
	s_cbranch_execz .LBB106_292
; %bb.291:
	v_mov_b32_e32 v1, 0
	v_lshl_add_u32 v0, v0, 3, v1
	buffer_load_dword v1, v0, s[0:3], 0 offen
	buffer_load_dword v2, v0, s[0:3], 0 offen offset:4
	buffer_load_dword v3, off, s[0:3], 0 offset:260
	buffer_load_dword v4, off, s[0:3], 0 offset:256
	s_waitcnt vmcnt(3)
	buffer_store_dword v1, off, s[0:3], 0 offset:256
	s_waitcnt vmcnt(3)
	buffer_store_dword v2, off, s[0:3], 0 offset:260
	s_waitcnt vmcnt(3)
	buffer_store_dword v3, v0, s[0:3], 0 offen offset:4
	s_waitcnt vmcnt(3)
	buffer_store_dword v4, v0, s[0:3], 0 offen
.LBB106_292:
	s_or_b64 exec, exec, s[4:5]
	v_pk_mov_b32 v[0:1], s[10:11], s[10:11] op_sel:[0,1]
	flat_load_dword v0, v[0:1] offset:124
	s_waitcnt vmcnt(0) lgkmcnt(0)
	v_add_u32_e32 v0, -1, v0
	v_cmp_ne_u32_e32 vcc, 31, v0
	s_and_saveexec_b64 s[4:5], vcc
	s_cbranch_execz .LBB106_294
; %bb.293:
	v_mov_b32_e32 v1, 0
	v_lshl_add_u32 v0, v0, 3, v1
	buffer_load_dword v1, v0, s[0:3], 0 offen
	buffer_load_dword v2, v0, s[0:3], 0 offen offset:4
	buffer_load_dword v3, off, s[0:3], 0 offset:248
	buffer_load_dword v4, off, s[0:3], 0 offset:252
	s_waitcnt vmcnt(3)
	buffer_store_dword v1, off, s[0:3], 0 offset:248
	s_waitcnt vmcnt(3)
	buffer_store_dword v2, off, s[0:3], 0 offset:252
	s_waitcnt vmcnt(3)
	buffer_store_dword v3, v0, s[0:3], 0 offen
	s_waitcnt vmcnt(3)
	buffer_store_dword v4, v0, s[0:3], 0 offen offset:4
.LBB106_294:
	s_or_b64 exec, exec, s[4:5]
	v_pk_mov_b32 v[0:1], s[10:11], s[10:11] op_sel:[0,1]
	flat_load_dword v0, v[0:1] offset:120
	s_waitcnt vmcnt(0) lgkmcnt(0)
	v_add_u32_e32 v0, -1, v0
	v_cmp_ne_u32_e32 vcc, 30, v0
	s_and_saveexec_b64 s[4:5], vcc
	s_cbranch_execz .LBB106_296
; %bb.295:
	v_mov_b32_e32 v1, 0
	v_lshl_add_u32 v0, v0, 3, v1
	buffer_load_dword v1, v0, s[0:3], 0 offen
	buffer_load_dword v2, v0, s[0:3], 0 offen offset:4
	buffer_load_dword v3, off, s[0:3], 0 offset:244
	buffer_load_dword v4, off, s[0:3], 0 offset:240
	s_waitcnt vmcnt(3)
	buffer_store_dword v1, off, s[0:3], 0 offset:240
	s_waitcnt vmcnt(3)
	buffer_store_dword v2, off, s[0:3], 0 offset:244
	s_waitcnt vmcnt(3)
	buffer_store_dword v3, v0, s[0:3], 0 offen offset:4
	s_waitcnt vmcnt(3)
	buffer_store_dword v4, v0, s[0:3], 0 offen
.LBB106_296:
	s_or_b64 exec, exec, s[4:5]
	v_pk_mov_b32 v[0:1], s[10:11], s[10:11] op_sel:[0,1]
	flat_load_dword v0, v[0:1] offset:116
	s_waitcnt vmcnt(0) lgkmcnt(0)
	v_add_u32_e32 v0, -1, v0
	v_cmp_ne_u32_e32 vcc, 29, v0
	s_and_saveexec_b64 s[4:5], vcc
	s_cbranch_execz .LBB106_298
; %bb.297:
	v_mov_b32_e32 v1, 0
	v_lshl_add_u32 v0, v0, 3, v1
	buffer_load_dword v1, v0, s[0:3], 0 offen
	buffer_load_dword v2, v0, s[0:3], 0 offen offset:4
	buffer_load_dword v3, off, s[0:3], 0 offset:232
	buffer_load_dword v4, off, s[0:3], 0 offset:236
	s_waitcnt vmcnt(3)
	buffer_store_dword v1, off, s[0:3], 0 offset:232
	s_waitcnt vmcnt(3)
	buffer_store_dword v2, off, s[0:3], 0 offset:236
	s_waitcnt vmcnt(3)
	buffer_store_dword v3, v0, s[0:3], 0 offen
	s_waitcnt vmcnt(3)
	buffer_store_dword v4, v0, s[0:3], 0 offen offset:4
.LBB106_298:
	s_or_b64 exec, exec, s[4:5]
	v_pk_mov_b32 v[0:1], s[10:11], s[10:11] op_sel:[0,1]
	flat_load_dword v0, v[0:1] offset:112
	s_waitcnt vmcnt(0) lgkmcnt(0)
	v_add_u32_e32 v0, -1, v0
	v_cmp_ne_u32_e32 vcc, 28, v0
	s_and_saveexec_b64 s[4:5], vcc
	s_cbranch_execz .LBB106_300
; %bb.299:
	v_mov_b32_e32 v1, 0
	v_lshl_add_u32 v0, v0, 3, v1
	buffer_load_dword v1, v0, s[0:3], 0 offen
	buffer_load_dword v2, v0, s[0:3], 0 offen offset:4
	buffer_load_dword v3, off, s[0:3], 0 offset:228
	buffer_load_dword v4, off, s[0:3], 0 offset:224
	s_waitcnt vmcnt(3)
	buffer_store_dword v1, off, s[0:3], 0 offset:224
	s_waitcnt vmcnt(3)
	buffer_store_dword v2, off, s[0:3], 0 offset:228
	s_waitcnt vmcnt(3)
	buffer_store_dword v3, v0, s[0:3], 0 offen offset:4
	s_waitcnt vmcnt(3)
	buffer_store_dword v4, v0, s[0:3], 0 offen
.LBB106_300:
	s_or_b64 exec, exec, s[4:5]
	v_pk_mov_b32 v[0:1], s[10:11], s[10:11] op_sel:[0,1]
	flat_load_dword v0, v[0:1] offset:108
	s_waitcnt vmcnt(0) lgkmcnt(0)
	v_add_u32_e32 v0, -1, v0
	v_cmp_ne_u32_e32 vcc, 27, v0
	s_and_saveexec_b64 s[4:5], vcc
	s_cbranch_execz .LBB106_302
; %bb.301:
	v_mov_b32_e32 v1, 0
	v_lshl_add_u32 v0, v0, 3, v1
	buffer_load_dword v1, v0, s[0:3], 0 offen
	buffer_load_dword v2, v0, s[0:3], 0 offen offset:4
	buffer_load_dword v3, off, s[0:3], 0 offset:216
	buffer_load_dword v4, off, s[0:3], 0 offset:220
	s_waitcnt vmcnt(3)
	buffer_store_dword v1, off, s[0:3], 0 offset:216
	s_waitcnt vmcnt(3)
	buffer_store_dword v2, off, s[0:3], 0 offset:220
	s_waitcnt vmcnt(3)
	buffer_store_dword v3, v0, s[0:3], 0 offen
	s_waitcnt vmcnt(3)
	buffer_store_dword v4, v0, s[0:3], 0 offen offset:4
.LBB106_302:
	s_or_b64 exec, exec, s[4:5]
	v_pk_mov_b32 v[0:1], s[10:11], s[10:11] op_sel:[0,1]
	flat_load_dword v0, v[0:1] offset:104
	s_waitcnt vmcnt(0) lgkmcnt(0)
	v_add_u32_e32 v0, -1, v0
	v_cmp_ne_u32_e32 vcc, 26, v0
	s_and_saveexec_b64 s[4:5], vcc
	s_cbranch_execz .LBB106_304
; %bb.303:
	v_mov_b32_e32 v1, 0
	v_lshl_add_u32 v0, v0, 3, v1
	buffer_load_dword v1, v0, s[0:3], 0 offen
	buffer_load_dword v2, v0, s[0:3], 0 offen offset:4
	buffer_load_dword v3, off, s[0:3], 0 offset:212
	buffer_load_dword v4, off, s[0:3], 0 offset:208
	s_waitcnt vmcnt(3)
	buffer_store_dword v1, off, s[0:3], 0 offset:208
	s_waitcnt vmcnt(3)
	buffer_store_dword v2, off, s[0:3], 0 offset:212
	s_waitcnt vmcnt(3)
	buffer_store_dword v3, v0, s[0:3], 0 offen offset:4
	s_waitcnt vmcnt(3)
	buffer_store_dword v4, v0, s[0:3], 0 offen
.LBB106_304:
	s_or_b64 exec, exec, s[4:5]
	v_pk_mov_b32 v[0:1], s[10:11], s[10:11] op_sel:[0,1]
	flat_load_dword v0, v[0:1] offset:100
	s_waitcnt vmcnt(0) lgkmcnt(0)
	v_add_u32_e32 v0, -1, v0
	v_cmp_ne_u32_e32 vcc, 25, v0
	s_and_saveexec_b64 s[4:5], vcc
	s_cbranch_execz .LBB106_306
; %bb.305:
	v_mov_b32_e32 v1, 0
	v_lshl_add_u32 v0, v0, 3, v1
	buffer_load_dword v1, v0, s[0:3], 0 offen
	buffer_load_dword v2, v0, s[0:3], 0 offen offset:4
	buffer_load_dword v3, off, s[0:3], 0 offset:200
	buffer_load_dword v4, off, s[0:3], 0 offset:204
	s_waitcnt vmcnt(3)
	buffer_store_dword v1, off, s[0:3], 0 offset:200
	s_waitcnt vmcnt(3)
	buffer_store_dword v2, off, s[0:3], 0 offset:204
	s_waitcnt vmcnt(3)
	buffer_store_dword v3, v0, s[0:3], 0 offen
	s_waitcnt vmcnt(3)
	buffer_store_dword v4, v0, s[0:3], 0 offen offset:4
.LBB106_306:
	s_or_b64 exec, exec, s[4:5]
	v_pk_mov_b32 v[0:1], s[10:11], s[10:11] op_sel:[0,1]
	flat_load_dword v0, v[0:1] offset:96
	s_waitcnt vmcnt(0) lgkmcnt(0)
	v_add_u32_e32 v0, -1, v0
	v_cmp_ne_u32_e32 vcc, 24, v0
	s_and_saveexec_b64 s[4:5], vcc
	s_cbranch_execz .LBB106_308
; %bb.307:
	v_mov_b32_e32 v1, 0
	v_lshl_add_u32 v0, v0, 3, v1
	buffer_load_dword v1, v0, s[0:3], 0 offen
	buffer_load_dword v2, v0, s[0:3], 0 offen offset:4
	buffer_load_dword v3, off, s[0:3], 0 offset:196
	buffer_load_dword v4, off, s[0:3], 0 offset:192
	s_waitcnt vmcnt(3)
	buffer_store_dword v1, off, s[0:3], 0 offset:192
	s_waitcnt vmcnt(3)
	buffer_store_dword v2, off, s[0:3], 0 offset:196
	s_waitcnt vmcnt(3)
	buffer_store_dword v3, v0, s[0:3], 0 offen offset:4
	s_waitcnt vmcnt(3)
	buffer_store_dword v4, v0, s[0:3], 0 offen
.LBB106_308:
	s_or_b64 exec, exec, s[4:5]
	v_pk_mov_b32 v[0:1], s[10:11], s[10:11] op_sel:[0,1]
	flat_load_dword v0, v[0:1] offset:92
	s_waitcnt vmcnt(0) lgkmcnt(0)
	v_add_u32_e32 v0, -1, v0
	v_cmp_ne_u32_e32 vcc, 23, v0
	s_and_saveexec_b64 s[4:5], vcc
	s_cbranch_execz .LBB106_310
; %bb.309:
	v_mov_b32_e32 v1, 0
	v_lshl_add_u32 v0, v0, 3, v1
	buffer_load_dword v1, v0, s[0:3], 0 offen
	buffer_load_dword v2, v0, s[0:3], 0 offen offset:4
	buffer_load_dword v3, off, s[0:3], 0 offset:184
	buffer_load_dword v4, off, s[0:3], 0 offset:188
	s_waitcnt vmcnt(3)
	buffer_store_dword v1, off, s[0:3], 0 offset:184
	s_waitcnt vmcnt(3)
	buffer_store_dword v2, off, s[0:3], 0 offset:188
	s_waitcnt vmcnt(3)
	buffer_store_dword v3, v0, s[0:3], 0 offen
	s_waitcnt vmcnt(3)
	buffer_store_dword v4, v0, s[0:3], 0 offen offset:4
.LBB106_310:
	s_or_b64 exec, exec, s[4:5]
	v_pk_mov_b32 v[0:1], s[10:11], s[10:11] op_sel:[0,1]
	flat_load_dword v0, v[0:1] offset:88
	s_waitcnt vmcnt(0) lgkmcnt(0)
	v_add_u32_e32 v0, -1, v0
	v_cmp_ne_u32_e32 vcc, 22, v0
	s_and_saveexec_b64 s[4:5], vcc
	s_cbranch_execz .LBB106_312
; %bb.311:
	v_mov_b32_e32 v1, 0
	v_lshl_add_u32 v0, v0, 3, v1
	buffer_load_dword v1, v0, s[0:3], 0 offen
	buffer_load_dword v2, v0, s[0:3], 0 offen offset:4
	buffer_load_dword v3, off, s[0:3], 0 offset:180
	buffer_load_dword v4, off, s[0:3], 0 offset:176
	s_waitcnt vmcnt(3)
	buffer_store_dword v1, off, s[0:3], 0 offset:176
	s_waitcnt vmcnt(3)
	buffer_store_dword v2, off, s[0:3], 0 offset:180
	s_waitcnt vmcnt(3)
	buffer_store_dword v3, v0, s[0:3], 0 offen offset:4
	s_waitcnt vmcnt(3)
	buffer_store_dword v4, v0, s[0:3], 0 offen
.LBB106_312:
	s_or_b64 exec, exec, s[4:5]
	v_pk_mov_b32 v[0:1], s[10:11], s[10:11] op_sel:[0,1]
	flat_load_dword v0, v[0:1] offset:84
	s_waitcnt vmcnt(0) lgkmcnt(0)
	v_add_u32_e32 v0, -1, v0
	v_cmp_ne_u32_e32 vcc, 21, v0
	s_and_saveexec_b64 s[4:5], vcc
	s_cbranch_execz .LBB106_314
; %bb.313:
	v_mov_b32_e32 v1, 0
	v_lshl_add_u32 v0, v0, 3, v1
	buffer_load_dword v1, v0, s[0:3], 0 offen
	buffer_load_dword v2, v0, s[0:3], 0 offen offset:4
	buffer_load_dword v3, off, s[0:3], 0 offset:168
	buffer_load_dword v4, off, s[0:3], 0 offset:172
	s_waitcnt vmcnt(3)
	buffer_store_dword v1, off, s[0:3], 0 offset:168
	s_waitcnt vmcnt(3)
	buffer_store_dword v2, off, s[0:3], 0 offset:172
	s_waitcnt vmcnt(3)
	buffer_store_dword v3, v0, s[0:3], 0 offen
	s_waitcnt vmcnt(3)
	buffer_store_dword v4, v0, s[0:3], 0 offen offset:4
.LBB106_314:
	s_or_b64 exec, exec, s[4:5]
	v_pk_mov_b32 v[0:1], s[10:11], s[10:11] op_sel:[0,1]
	flat_load_dword v0, v[0:1] offset:80
	s_waitcnt vmcnt(0) lgkmcnt(0)
	v_add_u32_e32 v0, -1, v0
	v_cmp_ne_u32_e32 vcc, 20, v0
	s_and_saveexec_b64 s[4:5], vcc
	s_cbranch_execz .LBB106_316
; %bb.315:
	v_mov_b32_e32 v1, 0
	v_lshl_add_u32 v0, v0, 3, v1
	buffer_load_dword v1, v0, s[0:3], 0 offen
	buffer_load_dword v2, v0, s[0:3], 0 offen offset:4
	buffer_load_dword v3, off, s[0:3], 0 offset:164
	buffer_load_dword v4, off, s[0:3], 0 offset:160
	s_waitcnt vmcnt(3)
	buffer_store_dword v1, off, s[0:3], 0 offset:160
	s_waitcnt vmcnt(3)
	buffer_store_dword v2, off, s[0:3], 0 offset:164
	s_waitcnt vmcnt(3)
	buffer_store_dword v3, v0, s[0:3], 0 offen offset:4
	s_waitcnt vmcnt(3)
	buffer_store_dword v4, v0, s[0:3], 0 offen
.LBB106_316:
	s_or_b64 exec, exec, s[4:5]
	v_pk_mov_b32 v[0:1], s[10:11], s[10:11] op_sel:[0,1]
	flat_load_dword v0, v[0:1] offset:76
	s_waitcnt vmcnt(0) lgkmcnt(0)
	v_add_u32_e32 v0, -1, v0
	v_cmp_ne_u32_e32 vcc, 19, v0
	s_and_saveexec_b64 s[4:5], vcc
	s_cbranch_execz .LBB106_318
; %bb.317:
	v_mov_b32_e32 v1, 0
	v_lshl_add_u32 v0, v0, 3, v1
	buffer_load_dword v1, v0, s[0:3], 0 offen
	buffer_load_dword v2, v0, s[0:3], 0 offen offset:4
	buffer_load_dword v3, off, s[0:3], 0 offset:152
	buffer_load_dword v4, off, s[0:3], 0 offset:156
	s_waitcnt vmcnt(3)
	buffer_store_dword v1, off, s[0:3], 0 offset:152
	s_waitcnt vmcnt(3)
	buffer_store_dword v2, off, s[0:3], 0 offset:156
	s_waitcnt vmcnt(3)
	buffer_store_dword v3, v0, s[0:3], 0 offen
	s_waitcnt vmcnt(3)
	buffer_store_dword v4, v0, s[0:3], 0 offen offset:4
.LBB106_318:
	s_or_b64 exec, exec, s[4:5]
	v_pk_mov_b32 v[0:1], s[10:11], s[10:11] op_sel:[0,1]
	flat_load_dword v0, v[0:1] offset:72
	s_waitcnt vmcnt(0) lgkmcnt(0)
	v_add_u32_e32 v0, -1, v0
	v_cmp_ne_u32_e32 vcc, 18, v0
	s_and_saveexec_b64 s[4:5], vcc
	s_cbranch_execz .LBB106_320
; %bb.319:
	v_mov_b32_e32 v1, 0
	v_lshl_add_u32 v0, v0, 3, v1
	buffer_load_dword v1, v0, s[0:3], 0 offen
	buffer_load_dword v2, v0, s[0:3], 0 offen offset:4
	buffer_load_dword v3, off, s[0:3], 0 offset:148
	buffer_load_dword v4, off, s[0:3], 0 offset:144
	s_waitcnt vmcnt(3)
	buffer_store_dword v1, off, s[0:3], 0 offset:144
	s_waitcnt vmcnt(3)
	buffer_store_dword v2, off, s[0:3], 0 offset:148
	s_waitcnt vmcnt(3)
	buffer_store_dword v3, v0, s[0:3], 0 offen offset:4
	s_waitcnt vmcnt(3)
	buffer_store_dword v4, v0, s[0:3], 0 offen
.LBB106_320:
	s_or_b64 exec, exec, s[4:5]
	v_pk_mov_b32 v[0:1], s[10:11], s[10:11] op_sel:[0,1]
	flat_load_dword v0, v[0:1] offset:68
	s_waitcnt vmcnt(0) lgkmcnt(0)
	v_add_u32_e32 v0, -1, v0
	v_cmp_ne_u32_e32 vcc, 17, v0
	s_and_saveexec_b64 s[4:5], vcc
	s_cbranch_execz .LBB106_322
; %bb.321:
	v_mov_b32_e32 v1, 0
	v_lshl_add_u32 v0, v0, 3, v1
	buffer_load_dword v1, v0, s[0:3], 0 offen
	buffer_load_dword v2, v0, s[0:3], 0 offen offset:4
	buffer_load_dword v3, off, s[0:3], 0 offset:136
	buffer_load_dword v4, off, s[0:3], 0 offset:140
	s_waitcnt vmcnt(3)
	buffer_store_dword v1, off, s[0:3], 0 offset:136
	s_waitcnt vmcnt(3)
	buffer_store_dword v2, off, s[0:3], 0 offset:140
	s_waitcnt vmcnt(3)
	buffer_store_dword v3, v0, s[0:3], 0 offen
	s_waitcnt vmcnt(3)
	buffer_store_dword v4, v0, s[0:3], 0 offen offset:4
.LBB106_322:
	s_or_b64 exec, exec, s[4:5]
	v_pk_mov_b32 v[0:1], s[10:11], s[10:11] op_sel:[0,1]
	flat_load_dword v0, v[0:1] offset:64
	s_waitcnt vmcnt(0) lgkmcnt(0)
	v_add_u32_e32 v0, -1, v0
	v_cmp_ne_u32_e32 vcc, 16, v0
	s_and_saveexec_b64 s[4:5], vcc
	s_cbranch_execz .LBB106_324
; %bb.323:
	v_mov_b32_e32 v1, 0
	v_lshl_add_u32 v0, v0, 3, v1
	buffer_load_dword v1, v0, s[0:3], 0 offen
	buffer_load_dword v2, v0, s[0:3], 0 offen offset:4
	buffer_load_dword v3, off, s[0:3], 0 offset:132
	buffer_load_dword v4, off, s[0:3], 0 offset:128
	s_waitcnt vmcnt(3)
	buffer_store_dword v1, off, s[0:3], 0 offset:128
	s_waitcnt vmcnt(3)
	buffer_store_dword v2, off, s[0:3], 0 offset:132
	s_waitcnt vmcnt(3)
	buffer_store_dword v3, v0, s[0:3], 0 offen offset:4
	s_waitcnt vmcnt(3)
	buffer_store_dword v4, v0, s[0:3], 0 offen
.LBB106_324:
	s_or_b64 exec, exec, s[4:5]
	v_pk_mov_b32 v[0:1], s[10:11], s[10:11] op_sel:[0,1]
	flat_load_dword v0, v[0:1] offset:60
	s_waitcnt vmcnt(0) lgkmcnt(0)
	v_add_u32_e32 v0, -1, v0
	v_cmp_ne_u32_e32 vcc, 15, v0
	s_and_saveexec_b64 s[4:5], vcc
	s_cbranch_execz .LBB106_326
; %bb.325:
	v_mov_b32_e32 v1, 0
	v_lshl_add_u32 v0, v0, 3, v1
	buffer_load_dword v1, v0, s[0:3], 0 offen
	buffer_load_dword v2, v0, s[0:3], 0 offen offset:4
	buffer_load_dword v3, off, s[0:3], 0 offset:120
	buffer_load_dword v4, off, s[0:3], 0 offset:124
	s_waitcnt vmcnt(3)
	buffer_store_dword v1, off, s[0:3], 0 offset:120
	s_waitcnt vmcnt(3)
	buffer_store_dword v2, off, s[0:3], 0 offset:124
	s_waitcnt vmcnt(3)
	buffer_store_dword v3, v0, s[0:3], 0 offen
	s_waitcnt vmcnt(3)
	buffer_store_dword v4, v0, s[0:3], 0 offen offset:4
.LBB106_326:
	s_or_b64 exec, exec, s[4:5]
	v_pk_mov_b32 v[0:1], s[10:11], s[10:11] op_sel:[0,1]
	flat_load_dword v0, v[0:1] offset:56
	s_waitcnt vmcnt(0) lgkmcnt(0)
	v_add_u32_e32 v0, -1, v0
	v_cmp_ne_u32_e32 vcc, 14, v0
	s_and_saveexec_b64 s[4:5], vcc
	s_cbranch_execz .LBB106_328
; %bb.327:
	v_mov_b32_e32 v1, 0
	v_lshl_add_u32 v0, v0, 3, v1
	buffer_load_dword v1, v0, s[0:3], 0 offen
	buffer_load_dword v2, v0, s[0:3], 0 offen offset:4
	buffer_load_dword v3, off, s[0:3], 0 offset:116
	buffer_load_dword v4, off, s[0:3], 0 offset:112
	s_waitcnt vmcnt(3)
	buffer_store_dword v1, off, s[0:3], 0 offset:112
	s_waitcnt vmcnt(3)
	buffer_store_dword v2, off, s[0:3], 0 offset:116
	s_waitcnt vmcnt(3)
	buffer_store_dword v3, v0, s[0:3], 0 offen offset:4
	s_waitcnt vmcnt(3)
	buffer_store_dword v4, v0, s[0:3], 0 offen
.LBB106_328:
	s_or_b64 exec, exec, s[4:5]
	v_pk_mov_b32 v[0:1], s[10:11], s[10:11] op_sel:[0,1]
	flat_load_dword v0, v[0:1] offset:52
	s_waitcnt vmcnt(0) lgkmcnt(0)
	v_add_u32_e32 v0, -1, v0
	v_cmp_ne_u32_e32 vcc, 13, v0
	s_and_saveexec_b64 s[4:5], vcc
	s_cbranch_execz .LBB106_330
; %bb.329:
	v_mov_b32_e32 v1, 0
	v_lshl_add_u32 v0, v0, 3, v1
	buffer_load_dword v1, v0, s[0:3], 0 offen
	buffer_load_dword v2, v0, s[0:3], 0 offen offset:4
	buffer_load_dword v3, off, s[0:3], 0 offset:104
	buffer_load_dword v4, off, s[0:3], 0 offset:108
	s_waitcnt vmcnt(3)
	buffer_store_dword v1, off, s[0:3], 0 offset:104
	s_waitcnt vmcnt(3)
	buffer_store_dword v2, off, s[0:3], 0 offset:108
	s_waitcnt vmcnt(3)
	buffer_store_dword v3, v0, s[0:3], 0 offen
	s_waitcnt vmcnt(3)
	buffer_store_dword v4, v0, s[0:3], 0 offen offset:4
.LBB106_330:
	s_or_b64 exec, exec, s[4:5]
	v_pk_mov_b32 v[0:1], s[10:11], s[10:11] op_sel:[0,1]
	flat_load_dword v0, v[0:1] offset:48
	s_waitcnt vmcnt(0) lgkmcnt(0)
	v_add_u32_e32 v0, -1, v0
	v_cmp_ne_u32_e32 vcc, 12, v0
	s_and_saveexec_b64 s[4:5], vcc
	s_cbranch_execz .LBB106_332
; %bb.331:
	v_mov_b32_e32 v1, 0
	v_lshl_add_u32 v0, v0, 3, v1
	buffer_load_dword v1, v0, s[0:3], 0 offen
	buffer_load_dword v2, v0, s[0:3], 0 offen offset:4
	buffer_load_dword v3, off, s[0:3], 0 offset:100
	buffer_load_dword v4, off, s[0:3], 0 offset:96
	s_waitcnt vmcnt(3)
	buffer_store_dword v1, off, s[0:3], 0 offset:96
	s_waitcnt vmcnt(3)
	buffer_store_dword v2, off, s[0:3], 0 offset:100
	s_waitcnt vmcnt(3)
	buffer_store_dword v3, v0, s[0:3], 0 offen offset:4
	s_waitcnt vmcnt(3)
	buffer_store_dword v4, v0, s[0:3], 0 offen
.LBB106_332:
	s_or_b64 exec, exec, s[4:5]
	v_pk_mov_b32 v[0:1], s[10:11], s[10:11] op_sel:[0,1]
	flat_load_dword v0, v[0:1] offset:44
	s_waitcnt vmcnt(0) lgkmcnt(0)
	v_add_u32_e32 v0, -1, v0
	v_cmp_ne_u32_e32 vcc, 11, v0
	s_and_saveexec_b64 s[4:5], vcc
	s_cbranch_execz .LBB106_334
; %bb.333:
	v_mov_b32_e32 v1, 0
	v_lshl_add_u32 v0, v0, 3, v1
	buffer_load_dword v1, v0, s[0:3], 0 offen
	buffer_load_dword v2, v0, s[0:3], 0 offen offset:4
	buffer_load_dword v3, off, s[0:3], 0 offset:88
	buffer_load_dword v4, off, s[0:3], 0 offset:92
	s_waitcnt vmcnt(3)
	buffer_store_dword v1, off, s[0:3], 0 offset:88
	s_waitcnt vmcnt(3)
	buffer_store_dword v2, off, s[0:3], 0 offset:92
	s_waitcnt vmcnt(3)
	buffer_store_dword v3, v0, s[0:3], 0 offen
	s_waitcnt vmcnt(3)
	buffer_store_dword v4, v0, s[0:3], 0 offen offset:4
.LBB106_334:
	s_or_b64 exec, exec, s[4:5]
	v_pk_mov_b32 v[0:1], s[10:11], s[10:11] op_sel:[0,1]
	flat_load_dword v0, v[0:1] offset:40
	s_waitcnt vmcnt(0) lgkmcnt(0)
	v_add_u32_e32 v0, -1, v0
	v_cmp_ne_u32_e32 vcc, 10, v0
	s_and_saveexec_b64 s[4:5], vcc
	s_cbranch_execz .LBB106_336
; %bb.335:
	v_mov_b32_e32 v1, 0
	v_lshl_add_u32 v0, v0, 3, v1
	buffer_load_dword v1, v0, s[0:3], 0 offen
	buffer_load_dword v2, v0, s[0:3], 0 offen offset:4
	buffer_load_dword v3, off, s[0:3], 0 offset:84
	buffer_load_dword v4, off, s[0:3], 0 offset:80
	s_waitcnt vmcnt(3)
	buffer_store_dword v1, off, s[0:3], 0 offset:80
	s_waitcnt vmcnt(3)
	buffer_store_dword v2, off, s[0:3], 0 offset:84
	s_waitcnt vmcnt(3)
	buffer_store_dword v3, v0, s[0:3], 0 offen offset:4
	s_waitcnt vmcnt(3)
	buffer_store_dword v4, v0, s[0:3], 0 offen
.LBB106_336:
	s_or_b64 exec, exec, s[4:5]
	v_pk_mov_b32 v[0:1], s[10:11], s[10:11] op_sel:[0,1]
	flat_load_dword v0, v[0:1] offset:36
	s_waitcnt vmcnt(0) lgkmcnt(0)
	v_add_u32_e32 v0, -1, v0
	v_cmp_ne_u32_e32 vcc, 9, v0
	s_and_saveexec_b64 s[4:5], vcc
	s_cbranch_execz .LBB106_338
; %bb.337:
	v_mov_b32_e32 v1, 0
	v_lshl_add_u32 v0, v0, 3, v1
	buffer_load_dword v1, v0, s[0:3], 0 offen
	buffer_load_dword v2, v0, s[0:3], 0 offen offset:4
	buffer_load_dword v3, off, s[0:3], 0 offset:72
	buffer_load_dword v4, off, s[0:3], 0 offset:76
	s_waitcnt vmcnt(3)
	buffer_store_dword v1, off, s[0:3], 0 offset:72
	s_waitcnt vmcnt(3)
	buffer_store_dword v2, off, s[0:3], 0 offset:76
	s_waitcnt vmcnt(3)
	buffer_store_dword v3, v0, s[0:3], 0 offen
	s_waitcnt vmcnt(3)
	buffer_store_dword v4, v0, s[0:3], 0 offen offset:4
.LBB106_338:
	s_or_b64 exec, exec, s[4:5]
	v_pk_mov_b32 v[0:1], s[10:11], s[10:11] op_sel:[0,1]
	flat_load_dword v0, v[0:1] offset:32
	s_waitcnt vmcnt(0) lgkmcnt(0)
	v_add_u32_e32 v0, -1, v0
	v_cmp_ne_u32_e32 vcc, 8, v0
	s_and_saveexec_b64 s[4:5], vcc
	s_cbranch_execz .LBB106_340
; %bb.339:
	v_mov_b32_e32 v1, 0
	v_lshl_add_u32 v0, v0, 3, v1
	buffer_load_dword v1, v0, s[0:3], 0 offen
	buffer_load_dword v2, v0, s[0:3], 0 offen offset:4
	buffer_load_dword v3, off, s[0:3], 0 offset:68
	buffer_load_dword v4, off, s[0:3], 0 offset:64
	s_waitcnt vmcnt(3)
	buffer_store_dword v1, off, s[0:3], 0 offset:64
	s_waitcnt vmcnt(3)
	buffer_store_dword v2, off, s[0:3], 0 offset:68
	s_waitcnt vmcnt(3)
	buffer_store_dword v3, v0, s[0:3], 0 offen offset:4
	s_waitcnt vmcnt(3)
	buffer_store_dword v4, v0, s[0:3], 0 offen
.LBB106_340:
	s_or_b64 exec, exec, s[4:5]
	v_pk_mov_b32 v[0:1], s[10:11], s[10:11] op_sel:[0,1]
	flat_load_dword v0, v[0:1] offset:28
	s_waitcnt vmcnt(0) lgkmcnt(0)
	v_add_u32_e32 v0, -1, v0
	v_cmp_ne_u32_e32 vcc, 7, v0
	s_and_saveexec_b64 s[4:5], vcc
	s_cbranch_execz .LBB106_342
; %bb.341:
	v_mov_b32_e32 v1, 0
	v_lshl_add_u32 v0, v0, 3, v1
	buffer_load_dword v1, v0, s[0:3], 0 offen
	buffer_load_dword v2, v0, s[0:3], 0 offen offset:4
	buffer_load_dword v3, off, s[0:3], 0 offset:56
	buffer_load_dword v4, off, s[0:3], 0 offset:60
	s_waitcnt vmcnt(3)
	buffer_store_dword v1, off, s[0:3], 0 offset:56
	s_waitcnt vmcnt(3)
	buffer_store_dword v2, off, s[0:3], 0 offset:60
	s_waitcnt vmcnt(3)
	buffer_store_dword v3, v0, s[0:3], 0 offen
	s_waitcnt vmcnt(3)
	buffer_store_dword v4, v0, s[0:3], 0 offen offset:4
.LBB106_342:
	s_or_b64 exec, exec, s[4:5]
	v_pk_mov_b32 v[0:1], s[10:11], s[10:11] op_sel:[0,1]
	flat_load_dword v0, v[0:1] offset:24
	s_waitcnt vmcnt(0) lgkmcnt(0)
	v_add_u32_e32 v0, -1, v0
	v_cmp_ne_u32_e32 vcc, 6, v0
	s_and_saveexec_b64 s[4:5], vcc
	s_cbranch_execz .LBB106_344
; %bb.343:
	v_mov_b32_e32 v1, 0
	v_lshl_add_u32 v0, v0, 3, v1
	buffer_load_dword v1, v0, s[0:3], 0 offen
	buffer_load_dword v2, v0, s[0:3], 0 offen offset:4
	buffer_load_dword v3, off, s[0:3], 0 offset:52
	buffer_load_dword v4, off, s[0:3], 0 offset:48
	s_waitcnt vmcnt(3)
	buffer_store_dword v1, off, s[0:3], 0 offset:48
	s_waitcnt vmcnt(3)
	buffer_store_dword v2, off, s[0:3], 0 offset:52
	s_waitcnt vmcnt(3)
	buffer_store_dword v3, v0, s[0:3], 0 offen offset:4
	s_waitcnt vmcnt(3)
	buffer_store_dword v4, v0, s[0:3], 0 offen
.LBB106_344:
	s_or_b64 exec, exec, s[4:5]
	v_pk_mov_b32 v[0:1], s[10:11], s[10:11] op_sel:[0,1]
	flat_load_dword v0, v[0:1] offset:20
	s_waitcnt vmcnt(0) lgkmcnt(0)
	v_add_u32_e32 v0, -1, v0
	v_cmp_ne_u32_e32 vcc, 5, v0
	s_and_saveexec_b64 s[4:5], vcc
	s_cbranch_execz .LBB106_346
; %bb.345:
	v_mov_b32_e32 v1, 0
	v_lshl_add_u32 v0, v0, 3, v1
	buffer_load_dword v1, v0, s[0:3], 0 offen
	buffer_load_dword v2, v0, s[0:3], 0 offen offset:4
	buffer_load_dword v3, off, s[0:3], 0 offset:40
	buffer_load_dword v4, off, s[0:3], 0 offset:44
	s_waitcnt vmcnt(3)
	buffer_store_dword v1, off, s[0:3], 0 offset:40
	s_waitcnt vmcnt(3)
	buffer_store_dword v2, off, s[0:3], 0 offset:44
	s_waitcnt vmcnt(3)
	buffer_store_dword v3, v0, s[0:3], 0 offen
	s_waitcnt vmcnt(3)
	buffer_store_dword v4, v0, s[0:3], 0 offen offset:4
.LBB106_346:
	s_or_b64 exec, exec, s[4:5]
	v_pk_mov_b32 v[0:1], s[10:11], s[10:11] op_sel:[0,1]
	flat_load_dword v0, v[0:1] offset:16
	s_waitcnt vmcnt(0) lgkmcnt(0)
	v_add_u32_e32 v0, -1, v0
	v_cmp_ne_u32_e32 vcc, 4, v0
	s_and_saveexec_b64 s[4:5], vcc
	s_cbranch_execz .LBB106_348
; %bb.347:
	v_mov_b32_e32 v1, 0
	v_lshl_add_u32 v0, v0, 3, v1
	buffer_load_dword v1, v0, s[0:3], 0 offen
	buffer_load_dword v2, v0, s[0:3], 0 offen offset:4
	buffer_load_dword v3, off, s[0:3], 0 offset:36
	buffer_load_dword v4, off, s[0:3], 0 offset:32
	s_waitcnt vmcnt(3)
	buffer_store_dword v1, off, s[0:3], 0 offset:32
	s_waitcnt vmcnt(3)
	buffer_store_dword v2, off, s[0:3], 0 offset:36
	s_waitcnt vmcnt(3)
	buffer_store_dword v3, v0, s[0:3], 0 offen offset:4
	s_waitcnt vmcnt(3)
	buffer_store_dword v4, v0, s[0:3], 0 offen
.LBB106_348:
	s_or_b64 exec, exec, s[4:5]
	v_pk_mov_b32 v[0:1], s[10:11], s[10:11] op_sel:[0,1]
	flat_load_dword v0, v[0:1] offset:12
	s_waitcnt vmcnt(0) lgkmcnt(0)
	v_add_u32_e32 v0, -1, v0
	v_cmp_ne_u32_e32 vcc, 3, v0
	s_and_saveexec_b64 s[4:5], vcc
	s_cbranch_execz .LBB106_350
; %bb.349:
	v_mov_b32_e32 v1, 0
	v_lshl_add_u32 v0, v0, 3, v1
	buffer_load_dword v1, v0, s[0:3], 0 offen
	buffer_load_dword v2, v0, s[0:3], 0 offen offset:4
	buffer_load_dword v3, off, s[0:3], 0 offset:24
	buffer_load_dword v4, off, s[0:3], 0 offset:28
	s_waitcnt vmcnt(3)
	buffer_store_dword v1, off, s[0:3], 0 offset:24
	s_waitcnt vmcnt(3)
	buffer_store_dword v2, off, s[0:3], 0 offset:28
	s_waitcnt vmcnt(3)
	buffer_store_dword v3, v0, s[0:3], 0 offen
	s_waitcnt vmcnt(3)
	buffer_store_dword v4, v0, s[0:3], 0 offen offset:4
.LBB106_350:
	s_or_b64 exec, exec, s[4:5]
	v_pk_mov_b32 v[0:1], s[10:11], s[10:11] op_sel:[0,1]
	flat_load_dword v0, v[0:1] offset:8
	s_waitcnt vmcnt(0) lgkmcnt(0)
	v_add_u32_e32 v0, -1, v0
	v_cmp_ne_u32_e32 vcc, 2, v0
	s_and_saveexec_b64 s[4:5], vcc
	s_cbranch_execz .LBB106_352
; %bb.351:
	v_mov_b32_e32 v1, 0
	v_lshl_add_u32 v0, v0, 3, v1
	buffer_load_dword v1, v0, s[0:3], 0 offen
	buffer_load_dword v2, v0, s[0:3], 0 offen offset:4
	buffer_load_dword v3, off, s[0:3], 0 offset:20
	buffer_load_dword v4, off, s[0:3], 0 offset:16
	s_waitcnt vmcnt(3)
	buffer_store_dword v1, off, s[0:3], 0 offset:16
	s_waitcnt vmcnt(3)
	buffer_store_dword v2, off, s[0:3], 0 offset:20
	s_waitcnt vmcnt(3)
	buffer_store_dword v3, v0, s[0:3], 0 offen offset:4
	s_waitcnt vmcnt(3)
	buffer_store_dword v4, v0, s[0:3], 0 offen
.LBB106_352:
	s_or_b64 exec, exec, s[4:5]
	v_pk_mov_b32 v[0:1], s[10:11], s[10:11] op_sel:[0,1]
	flat_load_dword v0, v[0:1] offset:4
	s_waitcnt vmcnt(0) lgkmcnt(0)
	v_add_u32_e32 v0, -1, v0
	v_cmp_ne_u32_e32 vcc, 1, v0
	s_and_saveexec_b64 s[4:5], vcc
	s_cbranch_execz .LBB106_354
; %bb.353:
	v_mov_b32_e32 v1, 0
	v_lshl_add_u32 v0, v0, 3, v1
	buffer_load_dword v1, v0, s[0:3], 0 offen
	buffer_load_dword v2, v0, s[0:3], 0 offen offset:4
	buffer_load_dword v3, off, s[0:3], 0 offset:8
	buffer_load_dword v4, off, s[0:3], 0 offset:12
	s_waitcnt vmcnt(3)
	buffer_store_dword v1, off, s[0:3], 0 offset:8
	s_waitcnt vmcnt(3)
	buffer_store_dword v2, off, s[0:3], 0 offset:12
	s_waitcnt vmcnt(3)
	buffer_store_dword v3, v0, s[0:3], 0 offen
	s_waitcnt vmcnt(3)
	buffer_store_dword v4, v0, s[0:3], 0 offen offset:4
.LBB106_354:
	s_or_b64 exec, exec, s[4:5]
	v_pk_mov_b32 v[0:1], s[10:11], s[10:11] op_sel:[0,1]
	flat_load_dword v2, v[0:1]
	s_nop 0
	buffer_load_dword v0, off, s[0:3], 0
	buffer_load_dword v1, off, s[0:3], 0 offset:4
	s_waitcnt vmcnt(0) lgkmcnt(0)
	v_add_u32_e32 v2, -1, v2
	v_cmp_ne_u32_e32 vcc, 0, v2
	s_and_saveexec_b64 s[4:5], vcc
	s_cbranch_execz .LBB106_356
; %bb.355:
	v_mov_b32_e32 v3, 0
	v_lshl_add_u32 v2, v2, 3, v3
	buffer_load_dword v3, v2, s[0:3], 0 offen offset:4
	buffer_load_dword v4, v2, s[0:3], 0 offen
	s_waitcnt vmcnt(1)
	buffer_store_dword v3, off, s[0:3], 0 offset:4
	s_waitcnt vmcnt(1)
	buffer_store_dword v4, off, s[0:3], 0
	buffer_store_dword v1, v2, s[0:3], 0 offen offset:4
	buffer_store_dword v0, v2, s[0:3], 0 offen
	buffer_load_dword v0, off, s[0:3], 0
	s_nop 0
	buffer_load_dword v1, off, s[0:3], 0 offset:4
.LBB106_356:
	s_or_b64 exec, exec, s[4:5]
.LBB106_357:
	buffer_load_dword v2, off, s[0:3], 0 offset:8
	buffer_load_dword v3, off, s[0:3], 0 offset:12
	;; [unrolled: 1-line block ×84, first 2 shown]
	s_waitcnt vmcnt(62)
	global_store_dwordx2 v[140:141], v[0:1], off
	global_store_dwordx2 v[144:145], v[2:3], off
	;; [unrolled: 1-line block ×12, first 2 shown]
	s_waitcnt vmcnt(62)
	global_store_dwordx2 v[86:87], v[24:25], off
	global_store_dwordx2 v[88:89], v[26:27], off
	;; [unrolled: 1-line block ×6, first 2 shown]
	s_waitcnt vmcnt(62)
	global_store_dwordx2 v[98:99], v[36:37], off
	global_store_dwordx2 v[100:101], v[38:39], off
	;; [unrolled: 1-line block ×3, first 2 shown]
	s_waitcnt vmcnt(62)
	global_store_dwordx2 v[104:105], v[42:43], off
	s_waitcnt vmcnt(62)
	global_store_dwordx2 v[106:107], v[44:45], off
	;; [unrolled: 2-line block ×22, first 2 shown]
	s_endpgm
	.section	.rodata,"a",@progbits
	.p2align	6, 0x0
	.amdhsa_kernel _ZN9rocsolver6v33100L18getri_kernel_smallILi43E19rocblas_complex_numIfEPKPS3_EEvT1_iilPiilS8_bb
		.amdhsa_group_segment_fixed_size 696
		.amdhsa_private_segment_fixed_size 352
		.amdhsa_kernarg_size 60
		.amdhsa_user_sgpr_count 8
		.amdhsa_user_sgpr_private_segment_buffer 1
		.amdhsa_user_sgpr_dispatch_ptr 0
		.amdhsa_user_sgpr_queue_ptr 0
		.amdhsa_user_sgpr_kernarg_segment_ptr 1
		.amdhsa_user_sgpr_dispatch_id 0
		.amdhsa_user_sgpr_flat_scratch_init 1
		.amdhsa_user_sgpr_kernarg_preload_length 0
		.amdhsa_user_sgpr_kernarg_preload_offset 0
		.amdhsa_user_sgpr_private_segment_size 0
		.amdhsa_uses_dynamic_stack 0
		.amdhsa_system_sgpr_private_segment_wavefront_offset 1
		.amdhsa_system_sgpr_workgroup_id_x 1
		.amdhsa_system_sgpr_workgroup_id_y 0
		.amdhsa_system_sgpr_workgroup_id_z 0
		.amdhsa_system_sgpr_workgroup_info 0
		.amdhsa_system_vgpr_workitem_id 0
		.amdhsa_next_free_vgpr 248
		.amdhsa_next_free_sgpr 22
		.amdhsa_accum_offset 248
		.amdhsa_reserve_vcc 1
		.amdhsa_reserve_flat_scratch 1
		.amdhsa_float_round_mode_32 0
		.amdhsa_float_round_mode_16_64 0
		.amdhsa_float_denorm_mode_32 3
		.amdhsa_float_denorm_mode_16_64 3
		.amdhsa_dx10_clamp 1
		.amdhsa_ieee_mode 1
		.amdhsa_fp16_overflow 0
		.amdhsa_tg_split 0
		.amdhsa_exception_fp_ieee_invalid_op 0
		.amdhsa_exception_fp_denorm_src 0
		.amdhsa_exception_fp_ieee_div_zero 0
		.amdhsa_exception_fp_ieee_overflow 0
		.amdhsa_exception_fp_ieee_underflow 0
		.amdhsa_exception_fp_ieee_inexact 0
		.amdhsa_exception_int_div_zero 0
	.end_amdhsa_kernel
	.section	.text._ZN9rocsolver6v33100L18getri_kernel_smallILi43E19rocblas_complex_numIfEPKPS3_EEvT1_iilPiilS8_bb,"axG",@progbits,_ZN9rocsolver6v33100L18getri_kernel_smallILi43E19rocblas_complex_numIfEPKPS3_EEvT1_iilPiilS8_bb,comdat
.Lfunc_end106:
	.size	_ZN9rocsolver6v33100L18getri_kernel_smallILi43E19rocblas_complex_numIfEPKPS3_EEvT1_iilPiilS8_bb, .Lfunc_end106-_ZN9rocsolver6v33100L18getri_kernel_smallILi43E19rocblas_complex_numIfEPKPS3_EEvT1_iilPiilS8_bb
                                        ; -- End function
	.section	.AMDGPU.csdata,"",@progbits
; Kernel info:
; codeLenInByte = 76832
; NumSgprs: 28
; NumVgprs: 248
; NumAgprs: 0
; TotalNumVgprs: 248
; ScratchSize: 352
; MemoryBound: 0
; FloatMode: 240
; IeeeMode: 1
; LDSByteSize: 696 bytes/workgroup (compile time only)
; SGPRBlocks: 3
; VGPRBlocks: 30
; NumSGPRsForWavesPerEU: 28
; NumVGPRsForWavesPerEU: 248
; AccumOffset: 248
; Occupancy: 2
; WaveLimiterHint : 1
; COMPUTE_PGM_RSRC2:SCRATCH_EN: 1
; COMPUTE_PGM_RSRC2:USER_SGPR: 8
; COMPUTE_PGM_RSRC2:TRAP_HANDLER: 0
; COMPUTE_PGM_RSRC2:TGID_X_EN: 1
; COMPUTE_PGM_RSRC2:TGID_Y_EN: 0
; COMPUTE_PGM_RSRC2:TGID_Z_EN: 0
; COMPUTE_PGM_RSRC2:TIDIG_COMP_CNT: 0
; COMPUTE_PGM_RSRC3_GFX90A:ACCUM_OFFSET: 61
; COMPUTE_PGM_RSRC3_GFX90A:TG_SPLIT: 0
	.section	.text._ZN9rocsolver6v33100L18getri_kernel_smallILi44E19rocblas_complex_numIfEPKPS3_EEvT1_iilPiilS8_bb,"axG",@progbits,_ZN9rocsolver6v33100L18getri_kernel_smallILi44E19rocblas_complex_numIfEPKPS3_EEvT1_iilPiilS8_bb,comdat
	.globl	_ZN9rocsolver6v33100L18getri_kernel_smallILi44E19rocblas_complex_numIfEPKPS3_EEvT1_iilPiilS8_bb ; -- Begin function _ZN9rocsolver6v33100L18getri_kernel_smallILi44E19rocblas_complex_numIfEPKPS3_EEvT1_iilPiilS8_bb
	.p2align	8
	.type	_ZN9rocsolver6v33100L18getri_kernel_smallILi44E19rocblas_complex_numIfEPKPS3_EEvT1_iilPiilS8_bb,@function
_ZN9rocsolver6v33100L18getri_kernel_smallILi44E19rocblas_complex_numIfEPKPS3_EEvT1_iilPiilS8_bb: ; @_ZN9rocsolver6v33100L18getri_kernel_smallILi44E19rocblas_complex_numIfEPKPS3_EEvT1_iilPiilS8_bb
; %bb.0:
	s_add_u32 flat_scratch_lo, s6, s9
	s_addc_u32 flat_scratch_hi, s7, 0
	s_add_u32 s0, s0, s9
	s_addc_u32 s1, s1, 0
	v_cmp_gt_u32_e32 vcc, 44, v0
	s_and_saveexec_b64 s[6:7], vcc
	s_cbranch_execz .LBB107_190
; %bb.1:
	s_load_dword s20, s[4:5], 0x38
	s_load_dwordx2 s[6:7], s[4:5], 0x0
	s_load_dwordx4 s[12:15], s[4:5], 0x28
	s_waitcnt lgkmcnt(0)
	s_bitcmp1_b32 s20, 8
	s_cselect_b64 s[16:17], -1, 0
	s_ashr_i32 s9, s8, 31
	s_lshl_b64 s[10:11], s[8:9], 3
	s_add_u32 s6, s6, s10
	s_addc_u32 s7, s7, s11
	s_load_dwordx2 s[18:19], s[6:7], 0x0
	s_bfe_u32 s6, s20, 0x10008
	s_cmp_eq_u32 s6, 0
                                        ; implicit-def: $sgpr10_sgpr11
	s_cbranch_scc1 .LBB107_3
; %bb.2:
	s_load_dword s6, s[4:5], 0x20
	s_load_dwordx2 s[10:11], s[4:5], 0x18
	s_mul_i32 s7, s8, s13
	s_mul_hi_u32 s13, s8, s12
	s_add_i32 s13, s13, s7
	s_mul_i32 s21, s9, s12
	s_add_i32 s13, s13, s21
	s_mul_i32 s12, s8, s12
	s_waitcnt lgkmcnt(0)
	s_ashr_i32 s7, s6, 31
	s_lshl_b64 s[12:13], s[12:13], 2
	s_add_u32 s10, s10, s12
	s_addc_u32 s11, s11, s13
	s_lshl_b64 s[6:7], s[6:7], 2
	s_add_u32 s10, s10, s6
	s_addc_u32 s11, s11, s7
.LBB107_3:
	s_load_dwordx2 s[6:7], s[4:5], 0x8
	v_lshlrev_b32_e32 v6, 3, v0
	s_waitcnt lgkmcnt(0)
	s_ashr_i32 s5, s6, 31
	s_mov_b32 s4, s6
	s_lshl_b64 s[4:5], s[4:5], 3
	s_add_u32 s4, s18, s4
	s_addc_u32 s5, s19, s5
	s_add_i32 s6, s7, s7
	v_add_u32_e32 v2, s6, v0
	v_ashrrev_i32_e32 v3, 31, v2
	v_lshlrev_b64 v[4:5], 3, v[2:3]
	v_add_u32_e32 v2, s7, v2
	v_mov_b32_e32 v1, s5
	v_add_co_u32_e32 v66, vcc, s4, v4
	v_ashrrev_i32_e32 v3, 31, v2
	v_addc_co_u32_e32 v67, vcc, v1, v5, vcc
	v_lshlrev_b64 v[4:5], 3, v[2:3]
	v_add_u32_e32 v2, s7, v2
	v_add_co_u32_e32 v68, vcc, s4, v4
	v_ashrrev_i32_e32 v3, 31, v2
	v_addc_co_u32_e32 v69, vcc, v1, v5, vcc
	v_lshlrev_b64 v[4:5], 3, v[2:3]
	v_add_u32_e32 v2, s7, v2
	;; [unrolled: 5-line block ×35, first 2 shown]
	v_add_co_u32_e32 v136, vcc, s4, v4
	v_ashrrev_i32_e32 v3, 31, v2
	v_addc_co_u32_e32 v137, vcc, v1, v5, vcc
	v_lshlrev_b64 v[4:5], 3, v[2:3]
	v_add_co_u32_e32 v138, vcc, s4, v4
	v_addc_co_u32_e32 v139, vcc, v1, v5, vcc
	v_add_co_u32_e32 v142, vcc, s4, v6
	s_ashr_i32 s13, s7, 31
	s_mov_b32 s12, s7
	v_add_u32_e32 v2, s7, v2
	v_addc_co_u32_e32 v143, vcc, 0, v1, vcc
	s_lshl_b64 s[12:13], s[12:13], 3
	v_ashrrev_i32_e32 v3, 31, v2
	v_mov_b32_e32 v1, s13
	v_add_co_u32_e32 v146, vcc, s12, v142
	v_addc_co_u32_e32 v147, vcc, v143, v1, vcc
	v_lshlrev_b64 v[10:11], 3, v[2:3]
	v_add_u32_e32 v2, s7, v2
	v_mov_b32_e32 v1, s5
	v_add_co_u32_e32 v140, vcc, s4, v10
	v_ashrrev_i32_e32 v3, 31, v2
	v_addc_co_u32_e32 v141, vcc, v1, v11, vcc
	v_lshlrev_b64 v[22:23], 3, v[2:3]
	v_add_u32_e32 v2, s7, v2
	global_load_dwordx2 v[4:5], v6, s[4:5]
	global_load_dwordx2 v[8:9], v[146:147], off
	v_add_co_u32_e32 v144, vcc, s4, v22
	v_ashrrev_i32_e32 v3, 31, v2
	v_addc_co_u32_e32 v145, vcc, v1, v23, vcc
	v_lshlrev_b64 v[38:39], 3, v[2:3]
	v_add_u32_e32 v2, s7, v2
	v_add_co_u32_e32 v148, vcc, s4, v38
	v_ashrrev_i32_e32 v3, 31, v2
	v_addc_co_u32_e32 v149, vcc, v1, v39, vcc
	v_lshlrev_b64 v[54:55], 3, v[2:3]
	v_add_u32_e32 v2, s7, v2
	v_add_co_u32_e32 v150, vcc, s4, v54
	v_ashrrev_i32_e32 v3, 31, v2
	v_addc_co_u32_e32 v151, vcc, v1, v55, vcc
	v_lshlrev_b64 v[2:3], 3, v[2:3]
	v_add_co_u32_e32 v152, vcc, s4, v2
	global_load_dwordx2 v[12:13], v[66:67], off
	global_load_dwordx2 v[14:15], v[68:69], off
	;; [unrolled: 1-line block ×34, first 2 shown]
	v_addc_co_u32_e32 v153, vcc, v1, v3, vcc
	global_load_dwordx2 v[2:3], v[134:135], off
	global_load_dwordx2 v[166:167], v[152:153], off
	;; [unrolled: 1-line block ×6, first 2 shown]
	s_bitcmp0_b32 s20, 0
	s_mov_b64 s[6:7], -1
	s_waitcnt vmcnt(41)
	buffer_store_dword v5, off, s[0:3], 0 offset:4
	buffer_store_dword v4, off, s[0:3], 0
	global_load_dwordx2 v[4:5], v[140:141], off
	s_waitcnt vmcnt(43)
	buffer_store_dword v9, off, s[0:3], 0 offset:12
	buffer_store_dword v8, off, s[0:3], 0 offset:8
	global_load_dwordx2 v[8:9], v[148:149], off
	s_waitcnt vmcnt(45)
	buffer_store_dword v13, off, s[0:3], 0 offset:20
	buffer_store_dword v12, off, s[0:3], 0 offset:16
	s_waitcnt vmcnt(46)
	buffer_store_dword v15, off, s[0:3], 0 offset:28
	buffer_store_dword v14, off, s[0:3], 0 offset:24
	;; [unrolled: 3-line block ×19, first 2 shown]
	buffer_store_dword v48, off, s[0:3], 0 offset:168
	buffer_store_dword v49, off, s[0:3], 0 offset:172
	s_waitcnt vmcnt(62)
	buffer_store_dword v50, off, s[0:3], 0 offset:176
	buffer_store_dword v51, off, s[0:3], 0 offset:180
	buffer_store_dword v52, off, s[0:3], 0 offset:184
	buffer_store_dword v53, off, s[0:3], 0 offset:188
	buffer_store_dword v56, off, s[0:3], 0 offset:192
	buffer_store_dword v57, off, s[0:3], 0 offset:196
	buffer_store_dword v59, off, s[0:3], 0 offset:204
	buffer_store_dword v58, off, s[0:3], 0 offset:200
	s_waitcnt vmcnt(62)
	buffer_store_dword v61, off, s[0:3], 0 offset:212
	buffer_store_dword v60, off, s[0:3], 0 offset:208
	;; [unrolled: 1-line block ×16, first 2 shown]
	s_waitcnt vmcnt(62)
	buffer_store_dword v162, off, s[0:3], 0 offset:272
	buffer_store_dword v163, off, s[0:3], 0 offset:276
	;; [unrolled: 1-line block ×20, first 2 shown]
	s_cbranch_scc1 .LBB107_188
; %bb.4:
	v_cmp_eq_u32_e64 s[4:5], 0, v0
	s_and_saveexec_b64 s[6:7], s[4:5]
	s_cbranch_execz .LBB107_6
; %bb.5:
	v_mov_b32_e32 v1, 0
	ds_write_b32 v1, v1 offset:704
.LBB107_6:
	s_or_b64 exec, exec, s[6:7]
	v_mov_b32_e32 v1, 0
	v_lshl_add_u32 v7, v0, 3, v1
	s_waitcnt lgkmcnt(0)
	; wave barrier
	s_waitcnt lgkmcnt(0)
	buffer_load_dword v1, v7, s[0:3], 0 offen
	buffer_load_dword v2, v7, s[0:3], 0 offen offset:4
	s_waitcnt vmcnt(1)
	v_cmp_eq_f32_e32 vcc, 0, v1
	s_waitcnt vmcnt(0)
	v_cmp_eq_f32_e64 s[6:7], 0, v2
	s_and_b64 s[6:7], vcc, s[6:7]
	s_and_saveexec_b64 s[12:13], s[6:7]
	s_cbranch_execz .LBB107_10
; %bb.7:
	v_mov_b32_e32 v1, 0
	ds_read_b32 v3, v1 offset:704
	v_add_u32_e32 v2, 1, v0
	s_waitcnt lgkmcnt(0)
	v_readfirstlane_b32 s6, v3
	s_cmp_eq_u32 s6, 0
	s_cselect_b64 s[18:19], -1, 0
	v_cmp_gt_i32_e32 vcc, s6, v2
	s_or_b64 s[18:19], s[18:19], vcc
	s_and_b64 exec, exec, s[18:19]
	s_cbranch_execz .LBB107_10
; %bb.8:
	s_mov_b64 s[18:19], 0
	v_mov_b32_e32 v3, s6
.LBB107_9:                              ; =>This Inner Loop Header: Depth=1
	ds_cmpst_rtn_b32 v3, v1, v3, v2 offset:704
	s_waitcnt lgkmcnt(0)
	v_cmp_ne_u32_e32 vcc, 0, v3
	v_cmp_le_i32_e64 s[6:7], v3, v2
	s_and_b64 s[6:7], vcc, s[6:7]
	s_and_b64 s[6:7], exec, s[6:7]
	s_or_b64 s[18:19], s[6:7], s[18:19]
	s_andn2_b64 exec, exec, s[18:19]
	s_cbranch_execnz .LBB107_9
.LBB107_10:
	s_or_b64 exec, exec, s[12:13]
	v_mov_b32_e32 v2, 0
	s_waitcnt lgkmcnt(0)
	; wave barrier
	ds_read_b32 v1, v2 offset:704
	s_and_saveexec_b64 s[6:7], s[4:5]
	s_cbranch_execz .LBB107_12
; %bb.11:
	s_lshl_b64 s[12:13], s[8:9], 2
	s_add_u32 s12, s14, s12
	s_addc_u32 s13, s15, s13
	s_waitcnt lgkmcnt(0)
	global_store_dword v2, v1, s[12:13]
.LBB107_12:
	s_or_b64 exec, exec, s[6:7]
	s_waitcnt lgkmcnt(0)
	v_cmp_ne_u32_e32 vcc, 0, v1
	s_mov_b64 s[6:7], 0
	s_cbranch_vccnz .LBB107_188
; %bb.13:
	buffer_load_dword v8, v7, s[0:3], 0 offen offset:4
	buffer_load_dword v3, v7, s[0:3], 0 offen
	s_waitcnt vmcnt(1)
	v_cmp_gt_f32_e32 vcc, 0, v8
	v_cndmask_b32_e64 v1, v8, -v8, vcc
	s_waitcnt vmcnt(0)
	v_cmp_gt_f32_e32 vcc, 0, v3
	v_cndmask_b32_e64 v2, v3, -v3, vcc
	v_cmp_ngt_f32_e32 vcc, v2, v1
                                        ; implicit-def: $vgpr1
                                        ; implicit-def: $vgpr2
	s_and_saveexec_b64 s[6:7], vcc
	s_xor_b64 s[6:7], exec, s[6:7]
                                        ; implicit-def: $vgpr4_vgpr5
	s_cbranch_execz .LBB107_15
; %bb.14:
	v_div_scale_f32 v1, s[12:13], v8, v8, v3
	v_rcp_f32_e32 v2, v1
	v_div_scale_f32 v4, vcc, v3, v8, v3
	v_fma_f32 v5, -v1, v2, 1.0
	v_fmac_f32_e32 v2, v5, v2
	v_mul_f32_e32 v5, v4, v2
	v_fma_f32 v9, -v1, v5, v4
	v_fmac_f32_e32 v5, v9, v2
	v_fma_f32 v1, -v1, v5, v4
	v_div_fmas_f32 v1, v1, v2, v5
	v_div_fixup_f32 v2, v1, v8, v3
	v_fmac_f32_e32 v8, v3, v2
	v_div_scale_f32 v1, s[12:13], v8, v8, -1.0
	v_rcp_f32_e32 v3, v1
	v_fma_f32 v4, -v1, v3, 1.0
	v_fmac_f32_e32 v3, v4, v3
	v_div_scale_f32 v4, vcc, -1.0, v8, -1.0
	v_mul_f32_e32 v5, v4, v3
	v_fma_f32 v9, -v1, v5, v4
	v_fmac_f32_e32 v5, v9, v3
	v_fma_f32 v1, -v1, v5, v4
	v_div_fmas_f32 v1, v1, v3, v5
	v_div_fixup_f32 v1, v1, v8, -1.0
	v_mul_f32_e32 v2, v2, v1
	v_xor_b32_e32 v4, 0x80000000, v2
                                        ; implicit-def: $vgpr3
                                        ; implicit-def: $vgpr8
.LBB107_15:
	s_andn2_saveexec_b64 s[6:7], s[6:7]
	s_cbranch_execz .LBB107_17
; %bb.16:
	v_div_scale_f32 v1, s[12:13], v3, v3, v8
	v_rcp_f32_e32 v2, v1
	v_div_scale_f32 v4, vcc, v8, v3, v8
	v_fma_f32 v5, -v1, v2, 1.0
	v_fmac_f32_e32 v2, v5, v2
	v_mul_f32_e32 v5, v4, v2
	v_fma_f32 v9, -v1, v5, v4
	v_fmac_f32_e32 v5, v9, v2
	v_fma_f32 v1, -v1, v5, v4
	v_div_fmas_f32 v1, v1, v2, v5
	v_div_fixup_f32 v1, v1, v3, v8
	v_fmac_f32_e32 v3, v8, v1
	v_div_scale_f32 v2, s[12:13], v3, v3, 1.0
	v_rcp_f32_e32 v4, v2
	v_fma_f32 v5, -v2, v4, 1.0
	v_fmac_f32_e32 v4, v5, v4
	v_div_scale_f32 v5, vcc, 1.0, v3, 1.0
	v_mul_f32_e32 v8, v5, v4
	v_fma_f32 v9, -v2, v8, v5
	v_fmac_f32_e32 v8, v9, v4
	v_fma_f32 v2, -v2, v8, v5
	v_div_fmas_f32 v2, v2, v4, v8
	v_div_fixup_f32 v4, v2, v3, 1.0
	v_xor_b32_e32 v2, 0x80000000, v4
	v_mul_f32_e64 v1, v1, -v4
.LBB107_17:
	s_or_b64 exec, exec, s[6:7]
	buffer_store_dword v1, v7, s[0:3], 0 offen offset:4
	buffer_store_dword v4, v7, s[0:3], 0 offen
	buffer_load_dword v5, off, s[0:3], 0 offset:12
	s_nop 0
	buffer_load_dword v4, off, s[0:3], 0 offset:8
	v_xor_b32_e32 v3, 0x80000000, v1
	v_add_u32_e32 v1, 0x160, v6
	s_waitcnt vmcnt(0)
	ds_write2_b64 v6, v[2:3], v[4:5] offset1:44
	s_waitcnt lgkmcnt(0)
	; wave barrier
	s_waitcnt lgkmcnt(0)
	s_and_saveexec_b64 s[6:7], s[4:5]
	s_cbranch_execz .LBB107_19
; %bb.18:
	buffer_load_dword v8, v7, s[0:3], 0 offen offset:4
	buffer_load_dword v9, v7, s[0:3], 0 offen
	ds_read_b64 v[2:3], v1
	v_mov_b32_e32 v4, 0
	ds_read_b64 v[4:5], v4 offset:8
	s_waitcnt vmcnt(1) lgkmcnt(1)
	v_mul_f32_e32 v10, v3, v8
	v_mul_f32_e32 v8, v2, v8
	s_waitcnt vmcnt(0)
	v_fmac_f32_e32 v8, v3, v9
	v_fma_f32 v2, v2, v9, -v10
	v_add_f32_e32 v3, 0, v8
	v_add_f32_e32 v2, 0, v2
	s_waitcnt lgkmcnt(0)
	v_mul_f32_e32 v8, v3, v5
	v_mul_f32_e32 v5, v2, v5
	v_fma_f32 v2, v2, v4, -v8
	v_fmac_f32_e32 v5, v3, v4
	buffer_store_dword v2, off, s[0:3], 0 offset:8
	buffer_store_dword v5, off, s[0:3], 0 offset:12
.LBB107_19:
	s_or_b64 exec, exec, s[6:7]
	s_waitcnt lgkmcnt(0)
	; wave barrier
	buffer_load_dword v2, off, s[0:3], 0 offset:16
	buffer_load_dword v3, off, s[0:3], 0 offset:20
	v_cmp_gt_u32_e32 vcc, 2, v0
	s_waitcnt vmcnt(0)
	ds_write_b64 v1, v[2:3]
	s_waitcnt lgkmcnt(0)
	; wave barrier
	s_waitcnt lgkmcnt(0)
	s_and_saveexec_b64 s[6:7], vcc
	s_cbranch_execz .LBB107_23
; %bb.20:
	buffer_load_dword v4, v7, s[0:3], 0 offen offset:4
	buffer_load_dword v5, v7, s[0:3], 0 offen
	ds_read_b64 v[2:3], v1
	s_waitcnt vmcnt(1) lgkmcnt(0)
	v_mul_f32_e32 v7, v3, v4
	v_mul_f32_e32 v4, v2, v4
	s_waitcnt vmcnt(0)
	v_fma_f32 v2, v2, v5, -v7
	v_fmac_f32_e32 v4, v3, v5
	v_add_f32_e32 v3, 0, v2
	v_add_f32_e32 v2, 0, v4
	s_and_saveexec_b64 s[12:13], s[4:5]
	s_cbranch_execz .LBB107_22
; %bb.21:
	buffer_load_dword v7, off, s[0:3], 0 offset:12
	buffer_load_dword v8, off, s[0:3], 0 offset:8
	v_mov_b32_e32 v4, 0
	ds_read_b64 v[4:5], v4 offset:360
	s_waitcnt vmcnt(1) lgkmcnt(0)
	v_mul_f32_e32 v9, v4, v7
	v_mul_f32_e32 v7, v5, v7
	s_waitcnt vmcnt(0)
	v_fmac_f32_e32 v9, v5, v8
	v_fma_f32 v4, v4, v8, -v7
	v_add_f32_e32 v2, v2, v9
	v_add_f32_e32 v3, v3, v4
.LBB107_22:
	s_or_b64 exec, exec, s[12:13]
	v_mov_b32_e32 v4, 0
	ds_read_b64 v[4:5], v4 offset:16
	s_waitcnt lgkmcnt(0)
	v_mul_f32_e32 v7, v2, v5
	v_mul_f32_e32 v5, v3, v5
	v_fma_f32 v3, v3, v4, -v7
	v_fmac_f32_e32 v5, v2, v4
	buffer_store_dword v3, off, s[0:3], 0 offset:16
	buffer_store_dword v5, off, s[0:3], 0 offset:20
.LBB107_23:
	s_or_b64 exec, exec, s[6:7]
	s_waitcnt lgkmcnt(0)
	; wave barrier
	buffer_load_dword v2, off, s[0:3], 0 offset:24
	buffer_load_dword v3, off, s[0:3], 0 offset:28
	v_cmp_gt_u32_e32 vcc, 3, v0
	s_waitcnt vmcnt(0)
	ds_write_b64 v1, v[2:3]
	v_add_u32_e32 v2, -1, v0
	s_waitcnt lgkmcnt(0)
	; wave barrier
	s_waitcnt lgkmcnt(0)
	s_and_saveexec_b64 s[4:5], vcc
	s_cbranch_execz .LBB107_27
; %bb.24:
	v_add_u32_e32 v4, -1, v0
	v_add_u32_e32 v5, 0x160, v6
	v_add_u32_e32 v7, 0, v6
	s_mov_b64 s[6:7], 0
	v_mov_b32_e32 v3, 0
	v_mov_b32_e32 v8, 0
.LBB107_25:                             ; =>This Inner Loop Header: Depth=1
	buffer_load_dword v9, v7, s[0:3], 0 offen offset:4
	buffer_load_dword v12, v7, s[0:3], 0 offen
	ds_read_b64 v[10:11], v5
	v_add_u32_e32 v4, 1, v4
	v_cmp_lt_u32_e32 vcc, 1, v4
	v_add_u32_e32 v5, 8, v5
	v_add_u32_e32 v7, 8, v7
	s_or_b64 s[6:7], vcc, s[6:7]
	s_waitcnt vmcnt(1) lgkmcnt(0)
	v_mul_f32_e32 v13, v11, v9
	v_mul_f32_e32 v9, v10, v9
	s_waitcnt vmcnt(0)
	v_fma_f32 v10, v10, v12, -v13
	v_fmac_f32_e32 v9, v11, v12
	v_add_f32_e32 v8, v8, v10
	v_add_f32_e32 v3, v3, v9
	s_andn2_b64 exec, exec, s[6:7]
	s_cbranch_execnz .LBB107_25
; %bb.26:
	s_or_b64 exec, exec, s[6:7]
	v_mov_b32_e32 v4, 0
	ds_read_b64 v[4:5], v4 offset:24
	s_waitcnt lgkmcnt(0)
	v_mul_f32_e32 v7, v3, v5
	v_mul_f32_e32 v5, v8, v5
	v_fma_f32 v7, v8, v4, -v7
	v_fmac_f32_e32 v5, v3, v4
	buffer_store_dword v7, off, s[0:3], 0 offset:24
	buffer_store_dword v5, off, s[0:3], 0 offset:28
.LBB107_27:
	s_or_b64 exec, exec, s[4:5]
	s_waitcnt lgkmcnt(0)
	; wave barrier
	buffer_load_dword v4, off, s[0:3], 0 offset:32
	buffer_load_dword v5, off, s[0:3], 0 offset:36
	v_cmp_gt_u32_e32 vcc, 4, v0
	s_waitcnt vmcnt(0)
	ds_write_b64 v1, v[4:5]
	s_waitcnt lgkmcnt(0)
	; wave barrier
	s_waitcnt lgkmcnt(0)
	s_and_saveexec_b64 s[4:5], vcc
	s_cbranch_execz .LBB107_31
; %bb.28:
	v_add_u32_e32 v4, -1, v0
	v_add_u32_e32 v5, 0x160, v6
	v_add_u32_e32 v7, 0, v6
	s_mov_b64 s[6:7], 0
	v_mov_b32_e32 v3, 0
	v_mov_b32_e32 v8, 0
.LBB107_29:                             ; =>This Inner Loop Header: Depth=1
	buffer_load_dword v9, v7, s[0:3], 0 offen offset:4
	buffer_load_dword v12, v7, s[0:3], 0 offen
	ds_read_b64 v[10:11], v5
	v_add_u32_e32 v4, 1, v4
	v_cmp_lt_u32_e32 vcc, 2, v4
	v_add_u32_e32 v5, 8, v5
	v_add_u32_e32 v7, 8, v7
	s_or_b64 s[6:7], vcc, s[6:7]
	s_waitcnt vmcnt(1) lgkmcnt(0)
	v_mul_f32_e32 v13, v11, v9
	v_mul_f32_e32 v9, v10, v9
	s_waitcnt vmcnt(0)
	v_fma_f32 v10, v10, v12, -v13
	v_fmac_f32_e32 v9, v11, v12
	v_add_f32_e32 v8, v8, v10
	v_add_f32_e32 v3, v3, v9
	s_andn2_b64 exec, exec, s[6:7]
	s_cbranch_execnz .LBB107_29
; %bb.30:
	s_or_b64 exec, exec, s[6:7]
	v_mov_b32_e32 v4, 0
	ds_read_b64 v[4:5], v4 offset:32
	s_waitcnt lgkmcnt(0)
	v_mul_f32_e32 v7, v3, v5
	v_mul_f32_e32 v5, v8, v5
	v_fma_f32 v7, v8, v4, -v7
	v_fmac_f32_e32 v5, v3, v4
	buffer_store_dword v7, off, s[0:3], 0 offset:32
	buffer_store_dword v5, off, s[0:3], 0 offset:36
.LBB107_31:
	s_or_b64 exec, exec, s[4:5]
	s_waitcnt lgkmcnt(0)
	; wave barrier
	buffer_load_dword v4, off, s[0:3], 0 offset:40
	buffer_load_dword v5, off, s[0:3], 0 offset:44
	v_cmp_gt_u32_e32 vcc, 5, v0
	s_waitcnt vmcnt(0)
	ds_write_b64 v1, v[4:5]
	;; [unrolled: 51-line block ×19, first 2 shown]
	s_waitcnt lgkmcnt(0)
	; wave barrier
	s_waitcnt lgkmcnt(0)
	s_and_saveexec_b64 s[4:5], vcc
	s_cbranch_execz .LBB107_103
; %bb.100:
	v_add_u32_e32 v4, -1, v0
	v_add_u32_e32 v5, 0x160, v6
	v_add_u32_e32 v7, 0, v6
	s_mov_b64 s[6:7], 0
	v_mov_b32_e32 v3, 0
	v_mov_b32_e32 v8, 0
.LBB107_101:                            ; =>This Inner Loop Header: Depth=1
	buffer_load_dword v9, v7, s[0:3], 0 offen offset:4
	buffer_load_dword v12, v7, s[0:3], 0 offen
	ds_read_b64 v[10:11], v5
	v_add_u32_e32 v4, 1, v4
	v_cmp_lt_u32_e32 vcc, 20, v4
	v_add_u32_e32 v5, 8, v5
	v_add_u32_e32 v7, 8, v7
	s_or_b64 s[6:7], vcc, s[6:7]
	s_waitcnt vmcnt(1) lgkmcnt(0)
	v_mul_f32_e32 v13, v11, v9
	v_mul_f32_e32 v9, v10, v9
	s_waitcnt vmcnt(0)
	v_fma_f32 v10, v10, v12, -v13
	v_fmac_f32_e32 v9, v11, v12
	v_add_f32_e32 v8, v8, v10
	v_add_f32_e32 v3, v3, v9
	s_andn2_b64 exec, exec, s[6:7]
	s_cbranch_execnz .LBB107_101
; %bb.102:
	s_or_b64 exec, exec, s[6:7]
	v_mov_b32_e32 v4, 0
	ds_read_b64 v[4:5], v4 offset:176
	s_waitcnt lgkmcnt(0)
	v_mul_f32_e32 v7, v3, v5
	v_mul_f32_e32 v5, v8, v5
	v_fma_f32 v7, v8, v4, -v7
	v_fmac_f32_e32 v5, v3, v4
	buffer_store_dword v7, off, s[0:3], 0 offset:176
	buffer_store_dword v5, off, s[0:3], 0 offset:180
.LBB107_103:
	s_or_b64 exec, exec, s[4:5]
	s_waitcnt lgkmcnt(0)
	; wave barrier
	buffer_load_dword v4, off, s[0:3], 0 offset:184
	buffer_load_dword v5, off, s[0:3], 0 offset:188
	v_cmp_gt_u32_e32 vcc, 23, v0
	s_waitcnt vmcnt(0)
	ds_write_b64 v1, v[4:5]
	s_waitcnt lgkmcnt(0)
	; wave barrier
	s_waitcnt lgkmcnt(0)
	s_and_saveexec_b64 s[4:5], vcc
	s_cbranch_execz .LBB107_107
; %bb.104:
	v_add_u32_e32 v4, -1, v0
	v_add_u32_e32 v5, 0x160, v6
	v_add_u32_e32 v7, 0, v6
	s_mov_b64 s[6:7], 0
	v_mov_b32_e32 v3, 0
	v_mov_b32_e32 v8, 0
.LBB107_105:                            ; =>This Inner Loop Header: Depth=1
	buffer_load_dword v9, v7, s[0:3], 0 offen offset:4
	buffer_load_dword v12, v7, s[0:3], 0 offen
	ds_read_b64 v[10:11], v5
	v_add_u32_e32 v4, 1, v4
	v_cmp_lt_u32_e32 vcc, 21, v4
	v_add_u32_e32 v5, 8, v5
	v_add_u32_e32 v7, 8, v7
	s_or_b64 s[6:7], vcc, s[6:7]
	s_waitcnt vmcnt(1) lgkmcnt(0)
	v_mul_f32_e32 v13, v11, v9
	v_mul_f32_e32 v9, v10, v9
	s_waitcnt vmcnt(0)
	v_fma_f32 v10, v10, v12, -v13
	v_fmac_f32_e32 v9, v11, v12
	v_add_f32_e32 v8, v8, v10
	v_add_f32_e32 v3, v3, v9
	s_andn2_b64 exec, exec, s[6:7]
	s_cbranch_execnz .LBB107_105
; %bb.106:
	s_or_b64 exec, exec, s[6:7]
	v_mov_b32_e32 v4, 0
	ds_read_b64 v[4:5], v4 offset:184
	s_waitcnt lgkmcnt(0)
	v_mul_f32_e32 v7, v3, v5
	v_mul_f32_e32 v5, v8, v5
	v_fma_f32 v7, v8, v4, -v7
	v_fmac_f32_e32 v5, v3, v4
	buffer_store_dword v7, off, s[0:3], 0 offset:184
	buffer_store_dword v5, off, s[0:3], 0 offset:188
.LBB107_107:
	s_or_b64 exec, exec, s[4:5]
	s_waitcnt lgkmcnt(0)
	; wave barrier
	buffer_load_dword v4, off, s[0:3], 0 offset:192
	buffer_load_dword v5, off, s[0:3], 0 offset:196
	v_cmp_gt_u32_e32 vcc, 24, v0
	s_waitcnt vmcnt(0)
	ds_write_b64 v1, v[4:5]
	;; [unrolled: 51-line block ×20, first 2 shown]
	s_waitcnt lgkmcnt(0)
	; wave barrier
	s_waitcnt lgkmcnt(0)
	s_and_saveexec_b64 s[4:5], vcc
	s_cbranch_execz .LBB107_183
; %bb.180:
	v_add_u32_e32 v4, -1, v0
	v_add_u32_e32 v5, 0x160, v6
	v_add_u32_e32 v7, 0, v6
	s_mov_b64 s[6:7], 0
	v_mov_b32_e32 v3, 0
	v_mov_b32_e32 v8, 0
.LBB107_181:                            ; =>This Inner Loop Header: Depth=1
	buffer_load_dword v9, v7, s[0:3], 0 offen offset:4
	buffer_load_dword v12, v7, s[0:3], 0 offen
	ds_read_b64 v[10:11], v5
	v_add_u32_e32 v4, 1, v4
	v_cmp_lt_u32_e32 vcc, 40, v4
	v_add_u32_e32 v5, 8, v5
	v_add_u32_e32 v7, 8, v7
	s_or_b64 s[6:7], vcc, s[6:7]
	s_waitcnt vmcnt(1) lgkmcnt(0)
	v_mul_f32_e32 v13, v11, v9
	v_mul_f32_e32 v9, v10, v9
	s_waitcnt vmcnt(0)
	v_fma_f32 v10, v10, v12, -v13
	v_fmac_f32_e32 v9, v11, v12
	v_add_f32_e32 v8, v8, v10
	v_add_f32_e32 v3, v3, v9
	s_andn2_b64 exec, exec, s[6:7]
	s_cbranch_execnz .LBB107_181
; %bb.182:
	s_or_b64 exec, exec, s[6:7]
	v_mov_b32_e32 v4, 0
	ds_read_b64 v[4:5], v4 offset:336
	s_waitcnt lgkmcnt(0)
	v_mul_f32_e32 v7, v3, v5
	v_mul_f32_e32 v5, v8, v5
	v_fma_f32 v7, v8, v4, -v7
	v_fmac_f32_e32 v5, v3, v4
	buffer_store_dword v7, off, s[0:3], 0 offset:336
	buffer_store_dword v5, off, s[0:3], 0 offset:340
.LBB107_183:
	s_or_b64 exec, exec, s[4:5]
	s_waitcnt lgkmcnt(0)
	; wave barrier
	buffer_load_dword v4, off, s[0:3], 0 offset:344
	buffer_load_dword v5, off, s[0:3], 0 offset:348
	v_cmp_ne_u32_e32 vcc, 43, v0
	s_waitcnt vmcnt(0)
	ds_write_b64 v1, v[4:5]
	s_waitcnt lgkmcnt(0)
	; wave barrier
	s_waitcnt lgkmcnt(0)
	s_and_saveexec_b64 s[4:5], vcc
	s_cbranch_execz .LBB107_187
; %bb.184:
	v_add_u32_e32 v3, 0x160, v6
	v_add_u32_e32 v4, 0, v6
	s_mov_b64 s[6:7], 0
	v_mov_b32_e32 v1, 0
	v_mov_b32_e32 v5, 0
.LBB107_185:                            ; =>This Inner Loop Header: Depth=1
	buffer_load_dword v8, v4, s[0:3], 0 offen offset:4
	buffer_load_dword v9, v4, s[0:3], 0 offen
	ds_read_b64 v[6:7], v3
	v_add_u32_e32 v2, 1, v2
	v_cmp_lt_u32_e32 vcc, 41, v2
	v_add_u32_e32 v3, 8, v3
	v_add_u32_e32 v4, 8, v4
	s_or_b64 s[6:7], vcc, s[6:7]
	s_waitcnt vmcnt(1) lgkmcnt(0)
	v_mul_f32_e32 v10, v7, v8
	v_mul_f32_e32 v8, v6, v8
	s_waitcnt vmcnt(0)
	v_fma_f32 v6, v6, v9, -v10
	v_fmac_f32_e32 v8, v7, v9
	v_add_f32_e32 v5, v5, v6
	v_add_f32_e32 v1, v1, v8
	s_andn2_b64 exec, exec, s[6:7]
	s_cbranch_execnz .LBB107_185
; %bb.186:
	s_or_b64 exec, exec, s[6:7]
	v_mov_b32_e32 v2, 0
	ds_read_b64 v[2:3], v2 offset:344
	s_waitcnt lgkmcnt(0)
	v_mul_f32_e32 v4, v1, v3
	v_mul_f32_e32 v3, v5, v3
	v_fma_f32 v4, v5, v2, -v4
	v_fmac_f32_e32 v3, v1, v2
	buffer_store_dword v4, off, s[0:3], 0 offset:344
	buffer_store_dword v3, off, s[0:3], 0 offset:348
.LBB107_187:
	s_or_b64 exec, exec, s[4:5]
	s_mov_b64 s[6:7], -1
	s_waitcnt lgkmcnt(0)
	; wave barrier
.LBB107_188:
	s_and_b64 vcc, exec, s[6:7]
	s_cbranch_vccz .LBB107_190
; %bb.189:
	s_lshl_b64 s[4:5], s[8:9], 2
	s_add_u32 s4, s14, s4
	s_addc_u32 s5, s15, s5
	v_mov_b32_e32 v1, 0
	global_load_dword v1, v1, s[4:5]
	s_waitcnt vmcnt(0)
	v_cmp_ne_u32_e32 vcc, 0, v1
	s_cbranch_vccz .LBB107_191
.LBB107_190:
	s_endpgm
.LBB107_191:
	v_mov_b32_e32 v1, 0x160
	v_lshl_add_u32 v1, v0, 3, v1
	v_cmp_eq_u32_e32 vcc, 43, v0
	s_and_saveexec_b64 s[4:5], vcc
	s_cbranch_execz .LBB107_193
; %bb.192:
	buffer_load_dword v2, off, s[0:3], 0 offset:336
	buffer_load_dword v3, off, s[0:3], 0 offset:340
	v_mov_b32_e32 v4, 0
	buffer_store_dword v4, off, s[0:3], 0 offset:336
	buffer_store_dword v4, off, s[0:3], 0 offset:340
	s_waitcnt vmcnt(2)
	ds_write_b64 v1, v[2:3]
.LBB107_193:
	s_or_b64 exec, exec, s[4:5]
	s_waitcnt lgkmcnt(0)
	; wave barrier
	s_waitcnt lgkmcnt(0)
	buffer_load_dword v5, off, s[0:3], 0 offset:348
	buffer_load_dword v4, off, s[0:3], 0 offset:344
	;; [unrolled: 1-line block ×4, first 2 shown]
	v_mov_b32_e32 v2, 0
	ds_read_b64 v[8:9], v2 offset:696
	v_cmp_lt_u32_e32 vcc, 41, v0
	s_waitcnt vmcnt(3)
	v_mov_b32_e32 v10, v5
	s_waitcnt lgkmcnt(0)
	v_pk_mul_f32 v[10:11], v[8:9], v[10:11] op_sel_hi:[1,0]
	s_waitcnt vmcnt(2)
	v_pk_fma_f32 v[12:13], v[8:9], v[4:5], v[10:11] op_sel:[0,0,1] op_sel_hi:[1,1,0] neg_lo:[0,0,1] neg_hi:[0,0,1]
	v_pk_fma_f32 v[4:5], v[8:9], v[4:5], v[10:11] op_sel:[0,0,1] op_sel_hi:[1,0,0]
	v_mov_b32_e32 v13, v5
	v_pk_add_f32 v[4:5], v[12:13], 0 op_sel_hi:[1,0]
	s_waitcnt vmcnt(0)
	v_pk_add_f32 v[4:5], v[6:7], v[4:5] neg_lo:[0,1] neg_hi:[0,1]
	buffer_store_dword v4, off, s[0:3], 0 offset:336
	buffer_store_dword v5, off, s[0:3], 0 offset:340
	s_and_saveexec_b64 s[4:5], vcc
	s_cbranch_execz .LBB107_195
; %bb.194:
	buffer_load_dword v4, off, s[0:3], 0 offset:328
	buffer_load_dword v5, off, s[0:3], 0 offset:332
	s_waitcnt vmcnt(0)
	ds_write_b64 v1, v[4:5]
	buffer_store_dword v2, off, s[0:3], 0 offset:328
	buffer_store_dword v2, off, s[0:3], 0 offset:332
.LBB107_195:
	s_or_b64 exec, exec, s[4:5]
	s_waitcnt lgkmcnt(0)
	; wave barrier
	s_waitcnt lgkmcnt(0)
	buffer_load_dword v7, off, s[0:3], 0 offset:340
	buffer_load_dword v9, off, s[0:3], 0 offset:348
	;; [unrolled: 1-line block ×6, first 2 shown]
	ds_read_b128 v[2:5], v2 offset:688
	v_cmp_lt_u32_e32 vcc, 40, v0
	s_waitcnt vmcnt(5)
	v_mov_b32_e32 v12, v7
	s_waitcnt vmcnt(4)
	v_mov_b32_e32 v14, v9
	s_waitcnt lgkmcnt(0)
	v_pk_mul_f32 v[12:13], v[2:3], v[12:13] op_sel_hi:[1,0]
	v_pk_mul_f32 v[14:15], v[4:5], v[14:15] op_sel_hi:[1,0]
	s_waitcnt vmcnt(3)
	v_pk_fma_f32 v[16:17], v[2:3], v[6:7], v[12:13] op_sel:[0,0,1] op_sel_hi:[1,1,0] neg_lo:[0,0,1] neg_hi:[0,0,1]
	v_pk_fma_f32 v[2:3], v[2:3], v[6:7], v[12:13] op_sel:[0,0,1] op_sel_hi:[1,0,0]
	s_waitcnt vmcnt(2)
	v_pk_fma_f32 v[6:7], v[4:5], v[8:9], v[14:15] op_sel:[0,0,1] op_sel_hi:[1,1,0] neg_lo:[0,0,1] neg_hi:[0,0,1]
	v_pk_fma_f32 v[4:5], v[4:5], v[8:9], v[14:15] op_sel:[0,0,1] op_sel_hi:[1,0,0]
	v_mov_b32_e32 v17, v3
	v_mov_b32_e32 v7, v5
	v_pk_add_f32 v[2:3], v[16:17], 0 op_sel_hi:[1,0]
	v_pk_add_f32 v[2:3], v[2:3], v[6:7]
	s_waitcnt vmcnt(0)
	v_pk_add_f32 v[2:3], v[10:11], v[2:3] neg_lo:[0,1] neg_hi:[0,1]
	buffer_store_dword v2, off, s[0:3], 0 offset:328
	buffer_store_dword v3, off, s[0:3], 0 offset:332
	s_and_saveexec_b64 s[4:5], vcc
	s_cbranch_execz .LBB107_197
; %bb.196:
	buffer_load_dword v2, off, s[0:3], 0 offset:320
	buffer_load_dword v3, off, s[0:3], 0 offset:324
	v_mov_b32_e32 v4, 0
	buffer_store_dword v4, off, s[0:3], 0 offset:320
	buffer_store_dword v4, off, s[0:3], 0 offset:324
	s_waitcnt vmcnt(2)
	ds_write_b64 v1, v[2:3]
.LBB107_197:
	s_or_b64 exec, exec, s[4:5]
	s_waitcnt lgkmcnt(0)
	; wave barrier
	s_waitcnt lgkmcnt(0)
	buffer_load_dword v9, off, s[0:3], 0 offset:332
	buffer_load_dword v11, off, s[0:3], 0 offset:340
	buffer_load_dword v13, off, s[0:3], 0 offset:348
	buffer_load_dword v8, off, s[0:3], 0 offset:328
	buffer_load_dword v10, off, s[0:3], 0 offset:336
	buffer_load_dword v12, off, s[0:3], 0 offset:344
	buffer_load_dword v14, off, s[0:3], 0 offset:320
	buffer_load_dword v15, off, s[0:3], 0 offset:324
	v_mov_b32_e32 v2, 0
	ds_read2_b64 v[4:7], v2 offset0:85 offset1:86
	ds_read_b64 v[16:17], v2 offset:696
	v_cmp_lt_u32_e32 vcc, 39, v0
	s_waitcnt vmcnt(7)
	v_mov_b32_e32 v18, v9
	s_waitcnt vmcnt(6)
	v_mov_b32_e32 v20, v11
	s_waitcnt lgkmcnt(1)
	v_pk_mul_f32 v[18:19], v[4:5], v[18:19] op_sel_hi:[1,0]
	s_waitcnt vmcnt(5)
	v_mov_b32_e32 v22, v13
	v_pk_mul_f32 v[20:21], v[6:7], v[20:21] op_sel_hi:[1,0]
	s_waitcnt vmcnt(4)
	v_pk_fma_f32 v[24:25], v[4:5], v[8:9], v[18:19] op_sel:[0,0,1] op_sel_hi:[1,1,0] neg_lo:[0,0,1] neg_hi:[0,0,1]
	v_pk_fma_f32 v[4:5], v[4:5], v[8:9], v[18:19] op_sel:[0,0,1] op_sel_hi:[1,0,0]
	s_waitcnt lgkmcnt(0)
	v_pk_mul_f32 v[22:23], v[16:17], v[22:23] op_sel_hi:[1,0]
	s_waitcnt vmcnt(3)
	v_pk_fma_f32 v[8:9], v[6:7], v[10:11], v[20:21] op_sel:[0,0,1] op_sel_hi:[1,1,0] neg_lo:[0,0,1] neg_hi:[0,0,1]
	v_pk_fma_f32 v[6:7], v[6:7], v[10:11], v[20:21] op_sel:[0,0,1] op_sel_hi:[1,0,0]
	v_mov_b32_e32 v25, v5
	s_waitcnt vmcnt(2)
	v_pk_fma_f32 v[10:11], v[16:17], v[12:13], v[22:23] op_sel:[0,0,1] op_sel_hi:[1,1,0] neg_lo:[0,0,1] neg_hi:[0,0,1]
	v_pk_fma_f32 v[12:13], v[16:17], v[12:13], v[22:23] op_sel:[0,0,1] op_sel_hi:[1,0,0]
	v_mov_b32_e32 v9, v7
	v_pk_add_f32 v[4:5], v[24:25], 0 op_sel_hi:[1,0]
	v_mov_b32_e32 v11, v13
	v_pk_add_f32 v[4:5], v[4:5], v[8:9]
	v_pk_add_f32 v[4:5], v[4:5], v[10:11]
	s_waitcnt vmcnt(0)
	v_pk_add_f32 v[4:5], v[14:15], v[4:5] neg_lo:[0,1] neg_hi:[0,1]
	buffer_store_dword v4, off, s[0:3], 0 offset:320
	buffer_store_dword v5, off, s[0:3], 0 offset:324
	s_and_saveexec_b64 s[4:5], vcc
	s_cbranch_execz .LBB107_199
; %bb.198:
	buffer_load_dword v4, off, s[0:3], 0 offset:312
	buffer_load_dword v5, off, s[0:3], 0 offset:316
	s_waitcnt vmcnt(0)
	ds_write_b64 v1, v[4:5]
	buffer_store_dword v2, off, s[0:3], 0 offset:312
	buffer_store_dword v2, off, s[0:3], 0 offset:316
.LBB107_199:
	s_or_b64 exec, exec, s[4:5]
	s_waitcnt lgkmcnt(0)
	; wave barrier
	s_waitcnt lgkmcnt(0)
	buffer_load_dword v13, off, s[0:3], 0 offset:324
	buffer_load_dword v15, off, s[0:3], 0 offset:332
	buffer_load_dword v17, off, s[0:3], 0 offset:340
	buffer_load_dword v19, off, s[0:3], 0 offset:348
	buffer_load_dword v12, off, s[0:3], 0 offset:320
	buffer_load_dword v14, off, s[0:3], 0 offset:328
	buffer_load_dword v16, off, s[0:3], 0 offset:336
	buffer_load_dword v18, off, s[0:3], 0 offset:344
	buffer_load_dword v20, off, s[0:3], 0 offset:312
	buffer_load_dword v21, off, s[0:3], 0 offset:316
	ds_read_b128 v[4:7], v2 offset:672
	ds_read_b128 v[8:11], v2 offset:688
	v_cmp_lt_u32_e32 vcc, 38, v0
	s_waitcnt vmcnt(9)
	v_mov_b32_e32 v2, v13
	s_waitcnt vmcnt(8)
	v_mov_b32_e32 v22, v15
	s_waitcnt lgkmcnt(1)
	v_pk_mul_f32 v[2:3], v[4:5], v[2:3] op_sel_hi:[1,0]
	s_waitcnt vmcnt(7)
	v_mov_b32_e32 v24, v17
	v_pk_mul_f32 v[22:23], v[6:7], v[22:23] op_sel_hi:[1,0]
	s_waitcnt vmcnt(5)
	v_pk_fma_f32 v[28:29], v[4:5], v[12:13], v[2:3] op_sel:[0,0,1] op_sel_hi:[1,1,0] neg_lo:[0,0,1] neg_hi:[0,0,1]
	v_pk_fma_f32 v[2:3], v[4:5], v[12:13], v[2:3] op_sel:[0,0,1] op_sel_hi:[1,0,0]
	v_mov_b32_e32 v26, v19
	s_waitcnt lgkmcnt(0)
	v_pk_mul_f32 v[24:25], v[8:9], v[24:25] op_sel_hi:[1,0]
	s_waitcnt vmcnt(4)
	v_pk_fma_f32 v[4:5], v[6:7], v[14:15], v[22:23] op_sel:[0,0,1] op_sel_hi:[1,1,0] neg_lo:[0,0,1] neg_hi:[0,0,1]
	v_pk_fma_f32 v[6:7], v[6:7], v[14:15], v[22:23] op_sel:[0,0,1] op_sel_hi:[1,0,0]
	v_mov_b32_e32 v29, v3
	v_pk_mul_f32 v[26:27], v[10:11], v[26:27] op_sel_hi:[1,0]
	s_waitcnt vmcnt(3)
	v_pk_fma_f32 v[12:13], v[8:9], v[16:17], v[24:25] op_sel:[0,0,1] op_sel_hi:[1,1,0] neg_lo:[0,0,1] neg_hi:[0,0,1]
	v_pk_fma_f32 v[8:9], v[8:9], v[16:17], v[24:25] op_sel:[0,0,1] op_sel_hi:[1,0,0]
	v_mov_b32_e32 v5, v7
	v_pk_add_f32 v[2:3], v[28:29], 0 op_sel_hi:[1,0]
	s_waitcnt vmcnt(2)
	v_pk_fma_f32 v[14:15], v[10:11], v[18:19], v[26:27] op_sel:[0,0,1] op_sel_hi:[1,1,0] neg_lo:[0,0,1] neg_hi:[0,0,1]
	v_pk_fma_f32 v[10:11], v[10:11], v[18:19], v[26:27] op_sel:[0,0,1] op_sel_hi:[1,0,0]
	v_mov_b32_e32 v13, v9
	v_pk_add_f32 v[2:3], v[2:3], v[4:5]
	v_mov_b32_e32 v15, v11
	v_pk_add_f32 v[2:3], v[2:3], v[12:13]
	v_pk_add_f32 v[2:3], v[2:3], v[14:15]
	s_waitcnt vmcnt(0)
	v_pk_add_f32 v[2:3], v[20:21], v[2:3] neg_lo:[0,1] neg_hi:[0,1]
	buffer_store_dword v2, off, s[0:3], 0 offset:312
	buffer_store_dword v3, off, s[0:3], 0 offset:316
	s_and_saveexec_b64 s[4:5], vcc
	s_cbranch_execz .LBB107_201
; %bb.200:
	buffer_load_dword v2, off, s[0:3], 0 offset:304
	buffer_load_dword v3, off, s[0:3], 0 offset:308
	v_mov_b32_e32 v4, 0
	buffer_store_dword v4, off, s[0:3], 0 offset:304
	buffer_store_dword v4, off, s[0:3], 0 offset:308
	s_waitcnt vmcnt(2)
	ds_write_b64 v1, v[2:3]
.LBB107_201:
	s_or_b64 exec, exec, s[4:5]
	s_waitcnt lgkmcnt(0)
	; wave barrier
	s_waitcnt lgkmcnt(0)
	buffer_load_dword v13, off, s[0:3], 0 offset:316
	buffer_load_dword v15, off, s[0:3], 0 offset:324
	;; [unrolled: 1-line block ×12, first 2 shown]
	v_mov_b32_e32 v2, 0
	ds_read2_b64 v[4:7], v2 offset0:83 offset1:84
	ds_read2_b64 v[8:11], v2 offset0:85 offset1:86
	ds_read_b64 v[24:25], v2 offset:696
	v_cmp_lt_u32_e32 vcc, 37, v0
	s_waitcnt vmcnt(11)
	v_mov_b32_e32 v26, v13
	s_waitcnt vmcnt(10)
	v_mov_b32_e32 v28, v15
	s_waitcnt lgkmcnt(2)
	v_pk_mul_f32 v[26:27], v[4:5], v[26:27] op_sel_hi:[1,0]
	s_waitcnt vmcnt(9)
	v_mov_b32_e32 v30, v17
	v_pk_mul_f32 v[28:29], v[6:7], v[28:29] op_sel_hi:[1,0]
	s_waitcnt vmcnt(6)
	v_pk_fma_f32 v[36:37], v[4:5], v[12:13], v[26:27] op_sel:[0,0,1] op_sel_hi:[1,1,0] neg_lo:[0,0,1] neg_hi:[0,0,1]
	v_pk_fma_f32 v[4:5], v[4:5], v[12:13], v[26:27] op_sel:[0,0,1] op_sel_hi:[1,0,0]
	v_mov_b32_e32 v32, v19
	s_waitcnt lgkmcnt(1)
	v_pk_mul_f32 v[30:31], v[8:9], v[30:31] op_sel_hi:[1,0]
	s_waitcnt vmcnt(5)
	v_pk_fma_f32 v[12:13], v[6:7], v[14:15], v[28:29] op_sel:[0,0,1] op_sel_hi:[1,1,0] neg_lo:[0,0,1] neg_hi:[0,0,1]
	v_pk_fma_f32 v[6:7], v[6:7], v[14:15], v[28:29] op_sel:[0,0,1] op_sel_hi:[1,0,0]
	v_mov_b32_e32 v37, v5
	v_mov_b32_e32 v34, v21
	v_pk_mul_f32 v[32:33], v[10:11], v[32:33] op_sel_hi:[1,0]
	s_waitcnt vmcnt(4)
	v_pk_fma_f32 v[14:15], v[8:9], v[16:17], v[30:31] op_sel:[0,0,1] op_sel_hi:[1,1,0] neg_lo:[0,0,1] neg_hi:[0,0,1]
	v_pk_fma_f32 v[8:9], v[8:9], v[16:17], v[30:31] op_sel:[0,0,1] op_sel_hi:[1,0,0]
	v_mov_b32_e32 v13, v7
	v_pk_add_f32 v[4:5], v[36:37], 0 op_sel_hi:[1,0]
	s_waitcnt lgkmcnt(0)
	v_pk_mul_f32 v[34:35], v[24:25], v[34:35] op_sel_hi:[1,0]
	s_waitcnt vmcnt(3)
	v_pk_fma_f32 v[16:17], v[10:11], v[18:19], v[32:33] op_sel:[0,0,1] op_sel_hi:[1,1,0] neg_lo:[0,0,1] neg_hi:[0,0,1]
	v_pk_fma_f32 v[10:11], v[10:11], v[18:19], v[32:33] op_sel:[0,0,1] op_sel_hi:[1,0,0]
	v_mov_b32_e32 v15, v9
	v_pk_add_f32 v[4:5], v[4:5], v[12:13]
	s_waitcnt vmcnt(2)
	v_pk_fma_f32 v[18:19], v[24:25], v[20:21], v[34:35] op_sel:[0,0,1] op_sel_hi:[1,1,0] neg_lo:[0,0,1] neg_hi:[0,0,1]
	v_pk_fma_f32 v[20:21], v[24:25], v[20:21], v[34:35] op_sel:[0,0,1] op_sel_hi:[1,0,0]
	v_mov_b32_e32 v17, v11
	v_pk_add_f32 v[4:5], v[4:5], v[14:15]
	v_mov_b32_e32 v19, v21
	v_pk_add_f32 v[4:5], v[4:5], v[16:17]
	v_pk_add_f32 v[4:5], v[4:5], v[18:19]
	s_waitcnt vmcnt(0)
	v_pk_add_f32 v[4:5], v[22:23], v[4:5] neg_lo:[0,1] neg_hi:[0,1]
	buffer_store_dword v4, off, s[0:3], 0 offset:304
	buffer_store_dword v5, off, s[0:3], 0 offset:308
	s_and_saveexec_b64 s[4:5], vcc
	s_cbranch_execz .LBB107_203
; %bb.202:
	buffer_load_dword v4, off, s[0:3], 0 offset:296
	buffer_load_dword v5, off, s[0:3], 0 offset:300
	s_waitcnt vmcnt(0)
	ds_write_b64 v1, v[4:5]
	buffer_store_dword v2, off, s[0:3], 0 offset:296
	buffer_store_dword v2, off, s[0:3], 0 offset:300
.LBB107_203:
	s_or_b64 exec, exec, s[4:5]
	s_waitcnt lgkmcnt(0)
	; wave barrier
	s_waitcnt lgkmcnt(0)
	buffer_load_dword v16, off, s[0:3], 0 offset:296
	buffer_load_dword v17, off, s[0:3], 0 offset:300
	buffer_load_dword v18, off, s[0:3], 0 offset:304
	buffer_load_dword v19, off, s[0:3], 0 offset:308
	buffer_load_dword v20, off, s[0:3], 0 offset:312
	buffer_load_dword v21, off, s[0:3], 0 offset:316
	buffer_load_dword v22, off, s[0:3], 0 offset:320
	buffer_load_dword v23, off, s[0:3], 0 offset:324
	buffer_load_dword v24, off, s[0:3], 0 offset:328
	buffer_load_dword v25, off, s[0:3], 0 offset:332
	buffer_load_dword v26, off, s[0:3], 0 offset:336
	buffer_load_dword v27, off, s[0:3], 0 offset:340
	buffer_load_dword v28, off, s[0:3], 0 offset:344
	buffer_load_dword v29, off, s[0:3], 0 offset:348
	ds_read_b128 v[4:7], v2 offset:656
	ds_read_b128 v[8:11], v2 offset:672
	;; [unrolled: 1-line block ×3, first 2 shown]
	v_cmp_lt_u32_e32 vcc, 36, v0
	s_waitcnt vmcnt(10)
	v_mov_b32_e32 v2, v19
	s_waitcnt lgkmcnt(2)
	v_pk_mul_f32 v[2:3], v[4:5], v[2:3] op_sel_hi:[1,0]
	v_pk_fma_f32 v[30:31], v[4:5], v[18:19], v[2:3] op_sel:[0,0,1] op_sel_hi:[1,1,0] neg_lo:[0,0,1] neg_hi:[0,0,1]
	v_pk_fma_f32 v[2:3], v[4:5], v[18:19], v[2:3] op_sel:[0,0,1] op_sel_hi:[1,0,0]
	s_waitcnt vmcnt(8)
	v_mov_b32_e32 v4, v21
	v_pk_mul_f32 v[4:5], v[6:7], v[4:5] op_sel_hi:[1,0]
	v_pk_fma_f32 v[18:19], v[6:7], v[20:21], v[4:5] op_sel:[0,0,1] op_sel_hi:[1,1,0] neg_lo:[0,0,1] neg_hi:[0,0,1]
	v_pk_fma_f32 v[4:5], v[6:7], v[20:21], v[4:5] op_sel:[0,0,1] op_sel_hi:[1,0,0]
	s_waitcnt vmcnt(6)
	v_mov_b32_e32 v4, v23
	v_mov_b32_e32 v19, v5
	s_waitcnt lgkmcnt(1)
	v_pk_mul_f32 v[4:5], v[8:9], v[4:5] op_sel_hi:[1,0]
	v_mov_b32_e32 v31, v3
	v_pk_fma_f32 v[6:7], v[8:9], v[22:23], v[4:5] op_sel:[0,0,1] op_sel_hi:[1,1,0] neg_lo:[0,0,1] neg_hi:[0,0,1]
	v_pk_fma_f32 v[4:5], v[8:9], v[22:23], v[4:5] op_sel:[0,0,1] op_sel_hi:[1,0,0]
	v_pk_add_f32 v[2:3], v[30:31], 0 op_sel_hi:[1,0]
	s_waitcnt vmcnt(4)
	v_mov_b32_e32 v4, v25
	v_pk_add_f32 v[2:3], v[2:3], v[18:19]
	v_mov_b32_e32 v7, v5
	v_pk_mul_f32 v[4:5], v[10:11], v[4:5] op_sel_hi:[1,0]
	v_pk_add_f32 v[2:3], v[2:3], v[6:7]
	v_pk_fma_f32 v[6:7], v[10:11], v[24:25], v[4:5] op_sel:[0,0,1] op_sel_hi:[1,1,0] neg_lo:[0,0,1] neg_hi:[0,0,1]
	v_pk_fma_f32 v[4:5], v[10:11], v[24:25], v[4:5] op_sel:[0,0,1] op_sel_hi:[1,0,0]
	s_waitcnt vmcnt(2)
	v_mov_b32_e32 v4, v27
	v_mov_b32_e32 v7, v5
	s_waitcnt lgkmcnt(0)
	v_pk_mul_f32 v[4:5], v[12:13], v[4:5] op_sel_hi:[1,0]
	v_pk_add_f32 v[2:3], v[2:3], v[6:7]
	v_pk_fma_f32 v[6:7], v[12:13], v[26:27], v[4:5] op_sel:[0,0,1] op_sel_hi:[1,1,0] neg_lo:[0,0,1] neg_hi:[0,0,1]
	v_pk_fma_f32 v[4:5], v[12:13], v[26:27], v[4:5] op_sel:[0,0,1] op_sel_hi:[1,0,0]
	s_waitcnt vmcnt(0)
	v_mov_b32_e32 v4, v29
	v_mov_b32_e32 v7, v5
	v_pk_mul_f32 v[4:5], v[14:15], v[4:5] op_sel_hi:[1,0]
	v_pk_add_f32 v[2:3], v[2:3], v[6:7]
	v_pk_fma_f32 v[6:7], v[14:15], v[28:29], v[4:5] op_sel:[0,0,1] op_sel_hi:[1,1,0] neg_lo:[0,0,1] neg_hi:[0,0,1]
	v_pk_fma_f32 v[4:5], v[14:15], v[28:29], v[4:5] op_sel:[0,0,1] op_sel_hi:[1,0,0]
	v_mov_b32_e32 v7, v5
	v_pk_add_f32 v[2:3], v[2:3], v[6:7]
	v_pk_add_f32 v[2:3], v[16:17], v[2:3] neg_lo:[0,1] neg_hi:[0,1]
	buffer_store_dword v2, off, s[0:3], 0 offset:296
	buffer_store_dword v3, off, s[0:3], 0 offset:300
	s_and_saveexec_b64 s[4:5], vcc
	s_cbranch_execz .LBB107_205
; %bb.204:
	buffer_load_dword v2, off, s[0:3], 0 offset:288
	buffer_load_dword v3, off, s[0:3], 0 offset:292
	v_mov_b32_e32 v4, 0
	buffer_store_dword v4, off, s[0:3], 0 offset:288
	buffer_store_dword v4, off, s[0:3], 0 offset:292
	s_waitcnt vmcnt(2)
	ds_write_b64 v1, v[2:3]
.LBB107_205:
	s_or_b64 exec, exec, s[4:5]
	s_waitcnt lgkmcnt(0)
	; wave barrier
	s_waitcnt lgkmcnt(0)
	buffer_load_dword v16, off, s[0:3], 0 offset:288
	buffer_load_dword v17, off, s[0:3], 0 offset:292
	;; [unrolled: 1-line block ×16, first 2 shown]
	v_mov_b32_e32 v2, 0
	ds_read2_b64 v[4:7], v2 offset0:81 offset1:82
	ds_read2_b64 v[8:11], v2 offset0:83 offset1:84
	;; [unrolled: 1-line block ×3, first 2 shown]
	ds_read_b64 v[32:33], v2 offset:696
	v_cmp_lt_u32_e32 vcc, 35, v0
	s_waitcnt vmcnt(12)
	v_mov_b32_e32 v34, v19
	s_waitcnt lgkmcnt(3)
	v_pk_mul_f32 v[34:35], v[4:5], v[34:35] op_sel_hi:[1,0]
	v_pk_fma_f32 v[36:37], v[4:5], v[18:19], v[34:35] op_sel:[0,0,1] op_sel_hi:[1,1,0] neg_lo:[0,0,1] neg_hi:[0,0,1]
	v_pk_fma_f32 v[4:5], v[4:5], v[18:19], v[34:35] op_sel:[0,0,1] op_sel_hi:[1,0,0]
	s_waitcnt vmcnt(10)
	v_mov_b32_e32 v18, v21
	v_pk_mul_f32 v[18:19], v[6:7], v[18:19] op_sel_hi:[1,0]
	v_pk_fma_f32 v[34:35], v[6:7], v[20:21], v[18:19] op_sel:[0,0,1] op_sel_hi:[1,1,0] neg_lo:[0,0,1] neg_hi:[0,0,1]
	v_pk_fma_f32 v[6:7], v[6:7], v[20:21], v[18:19] op_sel:[0,0,1] op_sel_hi:[1,0,0]
	s_waitcnt vmcnt(8)
	v_mov_b32_e32 v6, v23
	v_mov_b32_e32 v35, v7
	s_waitcnt lgkmcnt(2)
	v_pk_mul_f32 v[6:7], v[8:9], v[6:7] op_sel_hi:[1,0]
	v_pk_fma_f32 v[18:19], v[8:9], v[22:23], v[6:7] op_sel:[0,0,1] op_sel_hi:[1,1,0] neg_lo:[0,0,1] neg_hi:[0,0,1]
	v_pk_fma_f32 v[6:7], v[8:9], v[22:23], v[6:7] op_sel:[0,0,1] op_sel_hi:[1,0,0]
	s_waitcnt vmcnt(6)
	v_mov_b32_e32 v6, v25
	v_mov_b32_e32 v37, v5
	v_mov_b32_e32 v19, v7
	v_pk_mul_f32 v[6:7], v[10:11], v[6:7] op_sel_hi:[1,0]
	v_pk_add_f32 v[4:5], v[36:37], 0 op_sel_hi:[1,0]
	v_pk_fma_f32 v[8:9], v[10:11], v[24:25], v[6:7] op_sel:[0,0,1] op_sel_hi:[1,1,0] neg_lo:[0,0,1] neg_hi:[0,0,1]
	v_pk_fma_f32 v[6:7], v[10:11], v[24:25], v[6:7] op_sel:[0,0,1] op_sel_hi:[1,0,0]
	v_pk_add_f32 v[4:5], v[4:5], v[34:35]
	s_waitcnt vmcnt(4)
	v_mov_b32_e32 v6, v27
	v_pk_add_f32 v[4:5], v[4:5], v[18:19]
	v_mov_b32_e32 v9, v7
	s_waitcnt lgkmcnt(1)
	v_pk_mul_f32 v[6:7], v[12:13], v[6:7] op_sel_hi:[1,0]
	v_pk_add_f32 v[4:5], v[4:5], v[8:9]
	v_pk_fma_f32 v[8:9], v[12:13], v[26:27], v[6:7] op_sel:[0,0,1] op_sel_hi:[1,1,0] neg_lo:[0,0,1] neg_hi:[0,0,1]
	v_pk_fma_f32 v[6:7], v[12:13], v[26:27], v[6:7] op_sel:[0,0,1] op_sel_hi:[1,0,0]
	s_waitcnt vmcnt(2)
	v_mov_b32_e32 v6, v29
	v_mov_b32_e32 v9, v7
	v_pk_mul_f32 v[6:7], v[14:15], v[6:7] op_sel_hi:[1,0]
	v_pk_add_f32 v[4:5], v[4:5], v[8:9]
	v_pk_fma_f32 v[8:9], v[14:15], v[28:29], v[6:7] op_sel:[0,0,1] op_sel_hi:[1,1,0] neg_lo:[0,0,1] neg_hi:[0,0,1]
	v_pk_fma_f32 v[6:7], v[14:15], v[28:29], v[6:7] op_sel:[0,0,1] op_sel_hi:[1,0,0]
	s_waitcnt vmcnt(0)
	v_mov_b32_e32 v6, v31
	v_mov_b32_e32 v9, v7
	s_waitcnt lgkmcnt(0)
	v_pk_mul_f32 v[6:7], v[32:33], v[6:7] op_sel_hi:[1,0]
	v_pk_add_f32 v[4:5], v[4:5], v[8:9]
	v_pk_fma_f32 v[8:9], v[32:33], v[30:31], v[6:7] op_sel:[0,0,1] op_sel_hi:[1,1,0] neg_lo:[0,0,1] neg_hi:[0,0,1]
	v_pk_fma_f32 v[6:7], v[32:33], v[30:31], v[6:7] op_sel:[0,0,1] op_sel_hi:[1,0,0]
	v_mov_b32_e32 v9, v7
	v_pk_add_f32 v[4:5], v[4:5], v[8:9]
	v_pk_add_f32 v[4:5], v[16:17], v[4:5] neg_lo:[0,1] neg_hi:[0,1]
	buffer_store_dword v4, off, s[0:3], 0 offset:288
	buffer_store_dword v5, off, s[0:3], 0 offset:292
	s_and_saveexec_b64 s[4:5], vcc
	s_cbranch_execz .LBB107_207
; %bb.206:
	buffer_load_dword v4, off, s[0:3], 0 offset:280
	buffer_load_dword v5, off, s[0:3], 0 offset:284
	s_waitcnt vmcnt(0)
	ds_write_b64 v1, v[4:5]
	buffer_store_dword v2, off, s[0:3], 0 offset:280
	buffer_store_dword v2, off, s[0:3], 0 offset:284
.LBB107_207:
	s_or_b64 exec, exec, s[4:5]
	s_waitcnt lgkmcnt(0)
	; wave barrier
	s_waitcnt lgkmcnt(0)
	buffer_load_dword v20, off, s[0:3], 0 offset:280
	buffer_load_dword v21, off, s[0:3], 0 offset:284
	;; [unrolled: 1-line block ×16, first 2 shown]
	ds_read_b128 v[4:7], v2 offset:640
	ds_read_b128 v[8:11], v2 offset:656
	;; [unrolled: 1-line block ×4, first 2 shown]
	buffer_load_dword v3, off, s[0:3], 0 offset:348
	buffer_load_dword v2, off, s[0:3], 0 offset:344
	v_cmp_lt_u32_e32 vcc, 34, v0
	s_waitcnt vmcnt(14)
	v_mov_b32_e32 v36, v23
	s_waitcnt lgkmcnt(3)
	v_pk_mul_f32 v[36:37], v[4:5], v[36:37] op_sel_hi:[1,0]
	v_pk_fma_f32 v[38:39], v[4:5], v[22:23], v[36:37] op_sel:[0,0,1] op_sel_hi:[1,1,0] neg_lo:[0,0,1] neg_hi:[0,0,1]
	v_pk_fma_f32 v[4:5], v[4:5], v[22:23], v[36:37] op_sel:[0,0,1] op_sel_hi:[1,0,0]
	s_waitcnt vmcnt(12)
	v_mov_b32_e32 v22, v25
	v_pk_mul_f32 v[22:23], v[6:7], v[22:23] op_sel_hi:[1,0]
	v_pk_fma_f32 v[36:37], v[6:7], v[24:25], v[22:23] op_sel:[0,0,1] op_sel_hi:[1,1,0] neg_lo:[0,0,1] neg_hi:[0,0,1]
	v_pk_fma_f32 v[6:7], v[6:7], v[24:25], v[22:23] op_sel:[0,0,1] op_sel_hi:[1,0,0]
	s_waitcnt vmcnt(10)
	v_mov_b32_e32 v6, v27
	v_mov_b32_e32 v37, v7
	s_waitcnt lgkmcnt(2)
	v_pk_mul_f32 v[6:7], v[8:9], v[6:7] op_sel_hi:[1,0]
	v_pk_fma_f32 v[22:23], v[8:9], v[26:27], v[6:7] op_sel:[0,0,1] op_sel_hi:[1,1,0] neg_lo:[0,0,1] neg_hi:[0,0,1]
	v_pk_fma_f32 v[6:7], v[8:9], v[26:27], v[6:7] op_sel:[0,0,1] op_sel_hi:[1,0,0]
	s_waitcnt vmcnt(8)
	v_mov_b32_e32 v6, v29
	v_mov_b32_e32 v39, v5
	;; [unrolled: 1-line block ×3, first 2 shown]
	v_pk_mul_f32 v[6:7], v[10:11], v[6:7] op_sel_hi:[1,0]
	v_pk_add_f32 v[4:5], v[38:39], 0 op_sel_hi:[1,0]
	v_pk_fma_f32 v[8:9], v[10:11], v[28:29], v[6:7] op_sel:[0,0,1] op_sel_hi:[1,1,0] neg_lo:[0,0,1] neg_hi:[0,0,1]
	v_pk_fma_f32 v[6:7], v[10:11], v[28:29], v[6:7] op_sel:[0,0,1] op_sel_hi:[1,0,0]
	v_pk_add_f32 v[4:5], v[4:5], v[36:37]
	s_waitcnt vmcnt(6)
	v_mov_b32_e32 v6, v31
	v_pk_add_f32 v[4:5], v[4:5], v[22:23]
	v_mov_b32_e32 v9, v7
	s_waitcnt lgkmcnt(1)
	v_pk_mul_f32 v[6:7], v[12:13], v[6:7] op_sel_hi:[1,0]
	v_pk_add_f32 v[4:5], v[4:5], v[8:9]
	v_pk_fma_f32 v[8:9], v[12:13], v[30:31], v[6:7] op_sel:[0,0,1] op_sel_hi:[1,1,0] neg_lo:[0,0,1] neg_hi:[0,0,1]
	v_pk_fma_f32 v[6:7], v[12:13], v[30:31], v[6:7] op_sel:[0,0,1] op_sel_hi:[1,0,0]
	s_waitcnt vmcnt(4)
	v_mov_b32_e32 v6, v33
	v_mov_b32_e32 v9, v7
	v_pk_mul_f32 v[6:7], v[14:15], v[6:7] op_sel_hi:[1,0]
	v_pk_add_f32 v[4:5], v[4:5], v[8:9]
	v_pk_fma_f32 v[8:9], v[14:15], v[32:33], v[6:7] op_sel:[0,0,1] op_sel_hi:[1,1,0] neg_lo:[0,0,1] neg_hi:[0,0,1]
	v_pk_fma_f32 v[6:7], v[14:15], v[32:33], v[6:7] op_sel:[0,0,1] op_sel_hi:[1,0,0]
	s_waitcnt vmcnt(2)
	v_mov_b32_e32 v6, v35
	v_mov_b32_e32 v9, v7
	s_waitcnt lgkmcnt(0)
	v_pk_mul_f32 v[6:7], v[16:17], v[6:7] op_sel_hi:[1,0]
	v_pk_add_f32 v[4:5], v[4:5], v[8:9]
	v_pk_fma_f32 v[8:9], v[16:17], v[34:35], v[6:7] op_sel:[0,0,1] op_sel_hi:[1,1,0] neg_lo:[0,0,1] neg_hi:[0,0,1]
	v_pk_fma_f32 v[6:7], v[16:17], v[34:35], v[6:7] op_sel:[0,0,1] op_sel_hi:[1,0,0]
	s_waitcnt vmcnt(1)
	v_mov_b32_e32 v6, v3
	v_mov_b32_e32 v9, v7
	v_pk_mul_f32 v[6:7], v[18:19], v[6:7] op_sel_hi:[1,0]
	v_pk_add_f32 v[4:5], v[4:5], v[8:9]
	s_waitcnt vmcnt(0)
	v_pk_fma_f32 v[8:9], v[18:19], v[2:3], v[6:7] op_sel:[0,0,1] op_sel_hi:[1,1,0] neg_lo:[0,0,1] neg_hi:[0,0,1]
	v_pk_fma_f32 v[2:3], v[18:19], v[2:3], v[6:7] op_sel:[0,0,1] op_sel_hi:[1,0,0]
	v_mov_b32_e32 v9, v3
	v_pk_add_f32 v[2:3], v[4:5], v[8:9]
	v_pk_add_f32 v[2:3], v[20:21], v[2:3] neg_lo:[0,1] neg_hi:[0,1]
	buffer_store_dword v2, off, s[0:3], 0 offset:280
	buffer_store_dword v3, off, s[0:3], 0 offset:284
	s_and_saveexec_b64 s[4:5], vcc
	s_cbranch_execz .LBB107_209
; %bb.208:
	buffer_load_dword v2, off, s[0:3], 0 offset:272
	buffer_load_dword v3, off, s[0:3], 0 offset:276
	v_mov_b32_e32 v4, 0
	buffer_store_dword v4, off, s[0:3], 0 offset:272
	buffer_store_dword v4, off, s[0:3], 0 offset:276
	s_waitcnt vmcnt(2)
	ds_write_b64 v1, v[2:3]
.LBB107_209:
	s_or_b64 exec, exec, s[4:5]
	s_waitcnt lgkmcnt(0)
	; wave barrier
	s_waitcnt lgkmcnt(0)
	buffer_load_dword v3, off, s[0:3], 0 offset:284
	buffer_load_dword v21, off, s[0:3], 0 offset:292
	;; [unrolled: 1-line block ×20, first 2 shown]
	v_mov_b32_e32 v2, 0
	ds_read2_b64 v[4:7], v2 offset0:79 offset1:80
	ds_read2_b64 v[8:11], v2 offset0:81 offset1:82
	ds_read2_b64 v[12:15], v2 offset0:83 offset1:84
	ds_read2_b64 v[16:19], v2 offset0:85 offset1:86
	ds_read_b64 v[38:39], v2 offset:696
	v_cmp_lt_u32_e32 vcc, 33, v0
	s_waitcnt vmcnt(19) lgkmcnt(4)
	v_mul_f32_e32 v41, v4, v3
	v_mul_f32_e32 v3, v5, v3
	s_waitcnt vmcnt(18)
	v_mov_b32_e32 v42, v21
	s_waitcnt vmcnt(17)
	v_mov_b32_e32 v44, v23
	;; [unrolled: 2-line block ×8, first 2 shown]
	s_waitcnt vmcnt(10)
	v_fmac_f32_e32 v41, v5, v40
	v_fma_f32 v40, v4, v40, -v3
	v_pk_mul_f32 v[4:5], v[6:7], v[42:43] op_sel_hi:[1,0]
	s_waitcnt lgkmcnt(3)
	v_pk_mul_f32 v[42:43], v[8:9], v[44:45] op_sel_hi:[1,0]
	v_pk_mul_f32 v[44:45], v[10:11], v[46:47] op_sel_hi:[1,0]
	s_waitcnt lgkmcnt(2)
	v_pk_mul_f32 v[46:47], v[12:13], v[48:49] op_sel_hi:[1,0]
	;; [unrolled: 3-line block ×4, first 2 shown]
	s_waitcnt vmcnt(9)
	v_pk_fma_f32 v[56:57], v[6:7], v[20:21], v[4:5] op_sel:[0,0,1] op_sel_hi:[1,1,0] neg_lo:[0,0,1] neg_hi:[0,0,1]
	v_pk_fma_f32 v[4:5], v[6:7], v[20:21], v[4:5] op_sel:[0,0,1] op_sel_hi:[1,0,0]
	v_pk_add_f32 v[40:41], v[40:41], 0 op_sel_hi:[1,0]
	s_waitcnt vmcnt(8)
	v_pk_fma_f32 v[6:7], v[8:9], v[22:23], v[42:43] op_sel:[0,0,1] op_sel_hi:[1,1,0] neg_lo:[0,0,1] neg_hi:[0,0,1]
	v_pk_fma_f32 v[8:9], v[8:9], v[22:23], v[42:43] op_sel:[0,0,1] op_sel_hi:[1,0,0]
	v_mov_b32_e32 v57, v5
	s_waitcnt vmcnt(7)
	v_pk_fma_f32 v[20:21], v[10:11], v[24:25], v[44:45] op_sel:[0,0,1] op_sel_hi:[1,1,0] neg_lo:[0,0,1] neg_hi:[0,0,1]
	v_pk_fma_f32 v[10:11], v[10:11], v[24:25], v[44:45] op_sel:[0,0,1] op_sel_hi:[1,0,0]
	v_mov_b32_e32 v7, v9
	v_pk_add_f32 v[4:5], v[40:41], v[56:57]
	s_waitcnt vmcnt(6)
	v_pk_fma_f32 v[22:23], v[12:13], v[26:27], v[46:47] op_sel:[0,0,1] op_sel_hi:[1,1,0] neg_lo:[0,0,1] neg_hi:[0,0,1]
	v_pk_fma_f32 v[12:13], v[12:13], v[26:27], v[46:47] op_sel:[0,0,1] op_sel_hi:[1,0,0]
	v_mov_b32_e32 v21, v11
	v_pk_add_f32 v[4:5], v[4:5], v[6:7]
	;; [unrolled: 5-line block ×5, first 2 shown]
	v_pk_fma_f32 v[30:31], v[38:39], v[34:35], v[54:55] op_sel:[0,0,1] op_sel_hi:[1,1,0] neg_lo:[0,0,1] neg_hi:[0,0,1]
	v_pk_fma_f32 v[32:33], v[38:39], v[34:35], v[54:55] op_sel:[0,0,1] op_sel_hi:[1,0,0]
	v_mov_b32_e32 v29, v19
	v_pk_add_f32 v[4:5], v[4:5], v[26:27]
	v_mov_b32_e32 v31, v33
	v_pk_add_f32 v[4:5], v[4:5], v[28:29]
	v_pk_add_f32 v[4:5], v[4:5], v[30:31]
	s_waitcnt vmcnt(0)
	v_pk_add_f32 v[4:5], v[36:37], v[4:5] neg_lo:[0,1] neg_hi:[0,1]
	buffer_store_dword v4, off, s[0:3], 0 offset:272
	buffer_store_dword v5, off, s[0:3], 0 offset:276
	s_and_saveexec_b64 s[4:5], vcc
	s_cbranch_execz .LBB107_211
; %bb.210:
	buffer_load_dword v4, off, s[0:3], 0 offset:264
	buffer_load_dword v5, off, s[0:3], 0 offset:268
	s_waitcnt vmcnt(0)
	ds_write_b64 v1, v[4:5]
	buffer_store_dword v2, off, s[0:3], 0 offset:264
	buffer_store_dword v2, off, s[0:3], 0 offset:268
.LBB107_211:
	s_or_b64 exec, exec, s[4:5]
	s_waitcnt lgkmcnt(0)
	; wave barrier
	s_waitcnt lgkmcnt(0)
	buffer_load_dword v42, off, s[0:3], 0 offset:276
	buffer_load_dword v44, off, s[0:3], 0 offset:284
	;; [unrolled: 1-line block ×22, first 2 shown]
	ds_read_b128 v[4:7], v2 offset:624
	ds_read_b128 v[8:11], v2 offset:640
	;; [unrolled: 1-line block ×5, first 2 shown]
	v_cmp_lt_u32_e32 vcc, 32, v0
	s_waitcnt vmcnt(21) lgkmcnt(4)
	v_mul_f32_e32 v3, v4, v42
	s_waitcnt vmcnt(20)
	v_mul_f32_e32 v43, v6, v44
	v_mul_f32_e32 v2, v5, v42
	;; [unrolled: 1-line block ×3, first 2 shown]
	s_waitcnt vmcnt(19)
	v_mov_b32_e32 v44, v25
	s_waitcnt vmcnt(18)
	v_mov_b32_e32 v46, v27
	;; [unrolled: 2-line block ×5, first 2 shown]
	v_mov_b32_e32 v50, v31
	s_waitcnt vmcnt(11)
	v_fmac_f32_e32 v3, v5, v45
	v_fma_f32 v2, v4, v45, -v2
	s_waitcnt lgkmcnt(3)
	v_pk_mul_f32 v[4:5], v[8:9], v[44:45] op_sel_hi:[1,0]
	s_waitcnt vmcnt(10)
	v_fmac_f32_e32 v43, v7, v47
	v_fma_f32 v42, v6, v47, -v42
	v_pk_mul_f32 v[6:7], v[10:11], v[46:47] op_sel_hi:[1,0]
	s_waitcnt lgkmcnt(2)
	v_pk_mul_f32 v[44:45], v[12:13], v[48:49] op_sel_hi:[1,0]
	s_waitcnt lgkmcnt(1)
	;; [unrolled: 2-line block ×3, first 2 shown]
	v_pk_mul_f32 v[52:53], v[20:21], v[56:57] op_sel_hi:[1,0]
	v_pk_add_f32 v[2:3], v[2:3], 0 op_sel_hi:[1,0]
	s_waitcnt vmcnt(9)
	v_pk_fma_f32 v[56:57], v[8:9], v[24:25], v[4:5] op_sel:[0,0,1] op_sel_hi:[1,1,0] neg_lo:[0,0,1] neg_hi:[0,0,1]
	v_pk_fma_f32 v[4:5], v[8:9], v[24:25], v[4:5] op_sel:[0,0,1] op_sel_hi:[1,0,0]
	s_waitcnt vmcnt(8)
	v_pk_fma_f32 v[8:9], v[10:11], v[26:27], v[6:7] op_sel:[0,0,1] op_sel_hi:[1,1,0] neg_lo:[0,0,1] neg_hi:[0,0,1]
	v_pk_fma_f32 v[6:7], v[10:11], v[26:27], v[6:7] op_sel:[0,0,1] op_sel_hi:[1,0,0]
	v_pk_add_f32 v[2:3], v[2:3], v[42:43]
	v_mov_b32_e32 v57, v5
	v_pk_mul_f32 v[46:47], v[14:15], v[50:51] op_sel_hi:[1,0]
	s_waitcnt vmcnt(7)
	v_pk_fma_f32 v[10:11], v[12:13], v[28:29], v[44:45] op_sel:[0,0,1] op_sel_hi:[1,1,0] neg_lo:[0,0,1] neg_hi:[0,0,1]
	v_pk_fma_f32 v[12:13], v[12:13], v[28:29], v[44:45] op_sel:[0,0,1] op_sel_hi:[1,0,0]
	v_mov_b32_e32 v9, v7
	v_pk_add_f32 v[2:3], v[2:3], v[56:57]
	v_mov_b32_e32 v54, v35
	s_waitcnt vmcnt(6)
	v_pk_fma_f32 v[24:25], v[14:15], v[30:31], v[46:47] op_sel:[0,0,1] op_sel_hi:[1,1,0] neg_lo:[0,0,1] neg_hi:[0,0,1]
	v_pk_fma_f32 v[14:15], v[14:15], v[30:31], v[46:47] op_sel:[0,0,1] op_sel_hi:[1,0,0]
	v_mov_b32_e32 v11, v13
	v_pk_add_f32 v[2:3], v[2:3], v[8:9]
	v_pk_mul_f32 v[50:51], v[18:19], v[54:55] op_sel_hi:[1,0]
	s_waitcnt vmcnt(5)
	v_pk_fma_f32 v[26:27], v[16:17], v[32:33], v[48:49] op_sel:[0,0,1] op_sel_hi:[1,1,0] neg_lo:[0,0,1] neg_hi:[0,0,1]
	v_pk_fma_f32 v[16:17], v[16:17], v[32:33], v[48:49] op_sel:[0,0,1] op_sel_hi:[1,0,0]
	v_mov_b32_e32 v25, v15
	v_pk_add_f32 v[2:3], v[2:3], v[10:11]
	v_mov_b32_e32 v58, v39
	s_waitcnt vmcnt(2)
	v_pk_fma_f32 v[28:29], v[18:19], v[34:35], v[50:51] op_sel:[0,0,1] op_sel_hi:[1,1,0] neg_lo:[0,0,1] neg_hi:[0,0,1]
	v_pk_fma_f32 v[18:19], v[18:19], v[34:35], v[50:51] op_sel:[0,0,1] op_sel_hi:[1,0,0]
	v_mov_b32_e32 v27, v17
	v_pk_add_f32 v[2:3], v[2:3], v[24:25]
	v_pk_mul_f32 v[54:55], v[22:23], v[58:59] op_sel_hi:[1,0]
	v_pk_fma_f32 v[30:31], v[20:21], v[36:37], v[52:53] op_sel:[0,0,1] op_sel_hi:[1,1,0] neg_lo:[0,0,1] neg_hi:[0,0,1]
	v_pk_fma_f32 v[20:21], v[20:21], v[36:37], v[52:53] op_sel:[0,0,1] op_sel_hi:[1,0,0]
	v_mov_b32_e32 v29, v19
	v_pk_add_f32 v[2:3], v[2:3], v[26:27]
	v_pk_fma_f32 v[32:33], v[22:23], v[38:39], v[54:55] op_sel:[0,0,1] op_sel_hi:[1,1,0] neg_lo:[0,0,1] neg_hi:[0,0,1]
	v_pk_fma_f32 v[22:23], v[22:23], v[38:39], v[54:55] op_sel:[0,0,1] op_sel_hi:[1,0,0]
	v_mov_b32_e32 v31, v21
	v_pk_add_f32 v[2:3], v[2:3], v[28:29]
	v_mov_b32_e32 v33, v23
	v_pk_add_f32 v[2:3], v[2:3], v[30:31]
	v_pk_add_f32 v[2:3], v[2:3], v[32:33]
	s_waitcnt vmcnt(0)
	v_pk_add_f32 v[2:3], v[40:41], v[2:3] neg_lo:[0,1] neg_hi:[0,1]
	buffer_store_dword v2, off, s[0:3], 0 offset:264
	buffer_store_dword v3, off, s[0:3], 0 offset:268
	s_and_saveexec_b64 s[4:5], vcc
	s_cbranch_execz .LBB107_213
; %bb.212:
	buffer_load_dword v2, off, s[0:3], 0 offset:256
	buffer_load_dword v3, off, s[0:3], 0 offset:260
	v_mov_b32_e32 v4, 0
	buffer_store_dword v4, off, s[0:3], 0 offset:256
	buffer_store_dword v4, off, s[0:3], 0 offset:260
	s_waitcnt vmcnt(2)
	ds_write_b64 v1, v[2:3]
.LBB107_213:
	s_or_b64 exec, exec, s[4:5]
	s_waitcnt lgkmcnt(0)
	; wave barrier
	s_waitcnt lgkmcnt(0)
	buffer_load_dword v3, off, s[0:3], 0 offset:268
	buffer_load_dword v44, off, s[0:3], 0 offset:276
	buffer_load_dword v46, off, s[0:3], 0 offset:284
	buffer_load_dword v25, off, s[0:3], 0 offset:292
	buffer_load_dword v27, off, s[0:3], 0 offset:300
	buffer_load_dword v29, off, s[0:3], 0 offset:308
	buffer_load_dword v31, off, s[0:3], 0 offset:316
	buffer_load_dword v33, off, s[0:3], 0 offset:324
	buffer_load_dword v35, off, s[0:3], 0 offset:332
	buffer_load_dword v37, off, s[0:3], 0 offset:340
	buffer_load_dword v39, off, s[0:3], 0 offset:348
	buffer_load_dword v49, off, s[0:3], 0 offset:264
	buffer_load_dword v51, off, s[0:3], 0 offset:272
	buffer_load_dword v53, off, s[0:3], 0 offset:280
	buffer_load_dword v24, off, s[0:3], 0 offset:288
	buffer_load_dword v26, off, s[0:3], 0 offset:296
	buffer_load_dword v28, off, s[0:3], 0 offset:304
	buffer_load_dword v30, off, s[0:3], 0 offset:312
	buffer_load_dword v38, off, s[0:3], 0 offset:344
	buffer_load_dword v36, off, s[0:3], 0 offset:336
	buffer_load_dword v34, off, s[0:3], 0 offset:328
	buffer_load_dword v32, off, s[0:3], 0 offset:320
	buffer_load_dword v40, off, s[0:3], 0 offset:256
	buffer_load_dword v41, off, s[0:3], 0 offset:260
	v_mov_b32_e32 v2, 0
	ds_read2_b64 v[4:7], v2 offset0:77 offset1:78
	ds_read2_b64 v[8:11], v2 offset0:79 offset1:80
	ds_read2_b64 v[12:15], v2 offset0:81 offset1:82
	ds_read2_b64 v[16:19], v2 offset0:83 offset1:84
	ds_read2_b64 v[20:23], v2 offset0:85 offset1:86
	ds_read_b64 v[42:43], v2 offset:696
	v_cmp_lt_u32_e32 vcc, 31, v0
	s_waitcnt vmcnt(23) lgkmcnt(5)
	v_mul_f32_e32 v57, v4, v3
	v_mul_f32_e32 v3, v5, v3
	s_waitcnt vmcnt(22)
	v_mul_f32_e32 v45, v6, v44
	s_waitcnt vmcnt(21) lgkmcnt(4)
	v_mul_f32_e32 v47, v8, v46
	v_mul_f32_e32 v44, v7, v44
	;; [unrolled: 1-line block ×3, first 2 shown]
	s_waitcnt vmcnt(20)
	v_mov_b32_e32 v48, v25
	s_waitcnt vmcnt(19)
	v_mov_b32_e32 v50, v27
	;; [unrolled: 2-line block ×5, first 2 shown]
	s_waitcnt vmcnt(12)
	v_fmac_f32_e32 v57, v5, v49
	v_fma_f32 v3, v4, v49, -v3
	v_mov_b32_e32 v58, v35
	s_waitcnt vmcnt(11)
	v_fmac_f32_e32 v45, v7, v51
	s_waitcnt vmcnt(10)
	v_fmac_f32_e32 v47, v9, v53
	v_fma_f32 v44, v6, v51, -v44
	v_fma_f32 v46, v8, v53, -v46
	v_pk_mul_f32 v[4:5], v[10:11], v[48:49] op_sel_hi:[1,0]
	s_waitcnt lgkmcnt(3)
	v_pk_mul_f32 v[6:7], v[12:13], v[50:51] op_sel_hi:[1,0]
	v_pk_mul_f32 v[8:9], v[14:15], v[52:53] op_sel_hi:[1,0]
	s_waitcnt lgkmcnt(2)
	v_pk_mul_f32 v[48:49], v[16:17], v[54:55] op_sel_hi:[1,0]
	v_pk_mul_f32 v[50:51], v[18:19], v[56:57] op_sel_hi:[1,0]
	v_add_f32_e32 v57, 0, v57
	v_add_f32_e32 v56, 0, v3
	s_waitcnt lgkmcnt(1)
	v_pk_mul_f32 v[52:53], v[20:21], v[58:59] op_sel_hi:[1,0]
	s_waitcnt vmcnt(9)
	v_pk_fma_f32 v[58:59], v[10:11], v[24:25], v[4:5] op_sel:[0,0,1] op_sel_hi:[1,1,0] neg_lo:[0,0,1] neg_hi:[0,0,1]
	v_pk_fma_f32 v[4:5], v[10:11], v[24:25], v[4:5] op_sel:[0,0,1] op_sel_hi:[1,0,0]
	s_waitcnt vmcnt(8)
	v_pk_fma_f32 v[10:11], v[12:13], v[26:27], v[6:7] op_sel:[0,0,1] op_sel_hi:[1,1,0] neg_lo:[0,0,1] neg_hi:[0,0,1]
	v_pk_fma_f32 v[6:7], v[12:13], v[26:27], v[6:7] op_sel:[0,0,1] op_sel_hi:[1,0,0]
	;; [unrolled: 3-line block ×4, first 2 shown]
	v_pk_add_f32 v[30:31], v[56:57], v[44:45]
	v_mov_b32_e32 v59, v5
	v_pk_add_f32 v[4:5], v[30:31], v[46:47]
	v_mov_b32_e32 v11, v7
	v_pk_add_f32 v[4:5], v[4:5], v[58:59]
	v_mov_b32_e32 v13, v9
	v_pk_add_f32 v[4:5], v[4:5], v[10:11]
	v_mov_b32_e32 v60, v37
	s_waitcnt vmcnt(2)
	v_pk_fma_f32 v[24:25], v[18:19], v[32:33], v[50:51] op_sel:[0,0,1] op_sel_hi:[1,1,0] neg_lo:[0,0,1] neg_hi:[0,0,1]
	v_pk_fma_f32 v[18:19], v[18:19], v[32:33], v[50:51] op_sel:[0,0,1] op_sel_hi:[1,0,0]
	v_mov_b32_e32 v15, v17
	v_pk_add_f32 v[4:5], v[4:5], v[12:13]
	v_mov_b32_e32 v62, v39
	v_pk_mul_f32 v[54:55], v[22:23], v[60:61] op_sel_hi:[1,0]
	v_pk_fma_f32 v[26:27], v[20:21], v[34:35], v[52:53] op_sel:[0,0,1] op_sel_hi:[1,1,0] neg_lo:[0,0,1] neg_hi:[0,0,1]
	v_pk_fma_f32 v[20:21], v[20:21], v[34:35], v[52:53] op_sel:[0,0,1] op_sel_hi:[1,0,0]
	v_mov_b32_e32 v25, v19
	v_pk_add_f32 v[4:5], v[4:5], v[14:15]
	v_pk_fma_f32 v[28:29], v[22:23], v[36:37], v[54:55] op_sel:[0,0,1] op_sel_hi:[1,1,0] neg_lo:[0,0,1] neg_hi:[0,0,1]
	v_pk_fma_f32 v[22:23], v[22:23], v[36:37], v[54:55] op_sel:[0,0,1] op_sel_hi:[1,0,0]
	v_mov_b32_e32 v27, v21
	v_pk_add_f32 v[4:5], v[4:5], v[24:25]
	s_waitcnt lgkmcnt(0)
	v_pk_mul_f32 v[6:7], v[42:43], v[62:63] op_sel_hi:[1,0]
	v_mov_b32_e32 v29, v23
	v_pk_add_f32 v[4:5], v[4:5], v[26:27]
	v_pk_fma_f32 v[8:9], v[42:43], v[38:39], v[6:7] op_sel:[0,0,1] op_sel_hi:[1,1,0] neg_lo:[0,0,1] neg_hi:[0,0,1]
	v_pk_fma_f32 v[6:7], v[42:43], v[38:39], v[6:7] op_sel:[0,0,1] op_sel_hi:[1,0,0]
	v_pk_add_f32 v[4:5], v[4:5], v[28:29]
	v_mov_b32_e32 v9, v7
	v_pk_add_f32 v[4:5], v[4:5], v[8:9]
	s_waitcnt vmcnt(0)
	v_pk_add_f32 v[4:5], v[40:41], v[4:5] neg_lo:[0,1] neg_hi:[0,1]
	buffer_store_dword v5, off, s[0:3], 0 offset:260
	buffer_store_dword v4, off, s[0:3], 0 offset:256
	s_and_saveexec_b64 s[4:5], vcc
	s_cbranch_execz .LBB107_215
; %bb.214:
	buffer_load_dword v4, off, s[0:3], 0 offset:248
	buffer_load_dword v5, off, s[0:3], 0 offset:252
	s_waitcnt vmcnt(0)
	ds_write_b64 v1, v[4:5]
	buffer_store_dword v2, off, s[0:3], 0 offset:248
	buffer_store_dword v2, off, s[0:3], 0 offset:252
.LBB107_215:
	s_or_b64 exec, exec, s[4:5]
	s_waitcnt lgkmcnt(0)
	; wave barrier
	s_waitcnt lgkmcnt(0)
	buffer_load_dword v46, off, s[0:3], 0 offset:260
	buffer_load_dword v48, off, s[0:3], 0 offset:268
	;; [unrolled: 1-line block ×26, first 2 shown]
	ds_read_b128 v[4:7], v2 offset:608
	ds_read_b128 v[8:11], v2 offset:624
	;; [unrolled: 1-line block ×6, first 2 shown]
	v_cmp_lt_u32_e32 vcc, 30, v0
	s_waitcnt vmcnt(25) lgkmcnt(5)
	v_mul_f32_e32 v59, v4, v46
	v_mul_f32_e32 v2, v5, v46
	s_waitcnt vmcnt(24)
	v_mul_f32_e32 v60, v6, v48
	s_waitcnt vmcnt(23) lgkmcnt(4)
	v_mul_f32_e32 v3, v8, v49
	s_waitcnt vmcnt(22)
	v_mul_f32_e32 v47, v10, v50
	v_mul_f32_e32 v46, v7, v48
	;; [unrolled: 1-line block ×4, first 2 shown]
	s_waitcnt vmcnt(21)
	v_mov_b32_e32 v48, v29
	s_waitcnt vmcnt(20)
	v_mov_b32_e32 v50, v31
	;; [unrolled: 2-line block ×3, first 2 shown]
	s_waitcnt vmcnt(15)
	v_fmac_f32_e32 v59, v5, v51
	v_fma_f32 v62, v4, v51, -v2
	v_mov_b32_e32 v52, v33
	s_waitcnt vmcnt(14)
	v_fmac_f32_e32 v60, v7, v53
	s_waitcnt vmcnt(13)
	v_fmac_f32_e32 v3, v9, v55
	;; [unrolled: 2-line block ×3, first 2 shown]
	v_fma_f32 v63, v6, v53, -v46
	v_fma_f32 v2, v8, v55, -v49
	;; [unrolled: 1-line block ×3, first 2 shown]
	s_waitcnt lgkmcnt(3)
	v_pk_mul_f32 v[4:5], v[12:13], v[48:49] op_sel_hi:[1,0]
	v_pk_mul_f32 v[6:7], v[14:15], v[50:51] op_sel_hi:[1,0]
	s_waitcnt lgkmcnt(2)
	v_pk_mul_f32 v[10:11], v[18:19], v[54:55] op_sel_hi:[1,0]
	v_add_f32_e32 v54, 0, v59
	v_add_f32_e32 v55, 0, v62
	v_pk_mul_f32 v[8:9], v[16:17], v[52:53] op_sel_hi:[1,0]
	s_waitcnt vmcnt(11)
	v_pk_fma_f32 v[52:53], v[12:13], v[28:29], v[4:5] op_sel:[0,0,1] op_sel_hi:[1,1,0] neg_lo:[0,0,1] neg_hi:[0,0,1]
	v_pk_fma_f32 v[4:5], v[12:13], v[28:29], v[4:5] op_sel:[0,0,1] op_sel_hi:[1,0,0]
	s_waitcnt vmcnt(10)
	v_pk_fma_f32 v[12:13], v[14:15], v[30:31], v[6:7] op_sel:[0,0,1] op_sel_hi:[1,1,0] neg_lo:[0,0,1] neg_hi:[0,0,1]
	v_pk_fma_f32 v[6:7], v[14:15], v[30:31], v[6:7] op_sel:[0,0,1] op_sel_hi:[1,0,0]
	v_add_f32_e32 v31, v54, v60
	v_add_f32_e32 v30, v55, v63
	v_pk_add_f32 v[2:3], v[30:31], v[2:3]
	v_mov_b32_e32 v53, v5
	v_pk_add_f32 v[2:3], v[2:3], v[46:47]
	v_mov_b32_e32 v56, v37
	s_waitcnt vmcnt(9)
	v_pk_fma_f32 v[14:15], v[16:17], v[32:33], v[8:9] op_sel:[0,0,1] op_sel_hi:[1,1,0] neg_lo:[0,0,1] neg_hi:[0,0,1]
	v_pk_fma_f32 v[8:9], v[16:17], v[32:33], v[8:9] op_sel:[0,0,1] op_sel_hi:[1,0,0]
	v_mov_b32_e32 v13, v7
	v_pk_add_f32 v[2:3], v[2:3], v[52:53]
	v_mov_b32_e32 v58, v39
	s_waitcnt lgkmcnt(1)
	v_pk_mul_f32 v[48:49], v[20:21], v[56:57] op_sel_hi:[1,0]
	s_waitcnt vmcnt(5)
	v_pk_fma_f32 v[16:17], v[18:19], v[34:35], v[10:11] op_sel:[0,0,1] op_sel_hi:[1,1,0] neg_lo:[0,0,1] neg_hi:[0,0,1]
	v_pk_fma_f32 v[10:11], v[18:19], v[34:35], v[10:11] op_sel:[0,0,1] op_sel_hi:[1,0,0]
	v_mov_b32_e32 v15, v9
	v_pk_add_f32 v[2:3], v[2:3], v[12:13]
	s_waitcnt vmcnt(4)
	v_mov_b32_e32 v4, v41
	v_pk_mul_f32 v[50:51], v[22:23], v[58:59] op_sel_hi:[1,0]
	v_pk_fma_f32 v[18:19], v[20:21], v[36:37], v[48:49] op_sel:[0,0,1] op_sel_hi:[1,1,0] neg_lo:[0,0,1] neg_hi:[0,0,1]
	v_pk_fma_f32 v[20:21], v[20:21], v[36:37], v[48:49] op_sel:[0,0,1] op_sel_hi:[1,0,0]
	v_mov_b32_e32 v17, v11
	v_pk_add_f32 v[2:3], v[2:3], v[14:15]
	s_waitcnt lgkmcnt(0)
	v_pk_mul_f32 v[4:5], v[24:25], v[4:5] op_sel_hi:[1,0]
	v_pk_fma_f32 v[28:29], v[22:23], v[38:39], v[50:51] op_sel:[0,0,1] op_sel_hi:[1,1,0] neg_lo:[0,0,1] neg_hi:[0,0,1]
	v_pk_fma_f32 v[22:23], v[22:23], v[38:39], v[50:51] op_sel:[0,0,1] op_sel_hi:[1,0,0]
	v_mov_b32_e32 v19, v21
	v_pk_add_f32 v[2:3], v[2:3], v[16:17]
	v_pk_fma_f32 v[6:7], v[24:25], v[40:41], v[4:5] op_sel:[0,0,1] op_sel_hi:[1,1,0] neg_lo:[0,0,1] neg_hi:[0,0,1]
	v_pk_fma_f32 v[4:5], v[24:25], v[40:41], v[4:5] op_sel:[0,0,1] op_sel_hi:[1,0,0]
	v_mov_b32_e32 v29, v23
	v_pk_add_f32 v[2:3], v[2:3], v[18:19]
	s_waitcnt vmcnt(3)
	v_mov_b32_e32 v4, v43
	v_pk_add_f32 v[2:3], v[2:3], v[28:29]
	v_mov_b32_e32 v7, v5
	v_pk_mul_f32 v[4:5], v[26:27], v[4:5] op_sel_hi:[1,0]
	v_pk_add_f32 v[2:3], v[2:3], v[6:7]
	s_waitcnt vmcnt(2)
	v_pk_fma_f32 v[6:7], v[26:27], v[42:43], v[4:5] op_sel:[0,0,1] op_sel_hi:[1,1,0] neg_lo:[0,0,1] neg_hi:[0,0,1]
	v_pk_fma_f32 v[4:5], v[26:27], v[42:43], v[4:5] op_sel:[0,0,1] op_sel_hi:[1,0,0]
	v_mov_b32_e32 v7, v5
	v_pk_add_f32 v[2:3], v[2:3], v[6:7]
	s_waitcnt vmcnt(0)
	v_pk_add_f32 v[2:3], v[44:45], v[2:3] neg_lo:[0,1] neg_hi:[0,1]
	buffer_store_dword v3, off, s[0:3], 0 offset:252
	buffer_store_dword v2, off, s[0:3], 0 offset:248
	s_and_saveexec_b64 s[4:5], vcc
	s_cbranch_execz .LBB107_217
; %bb.216:
	buffer_load_dword v2, off, s[0:3], 0 offset:240
	buffer_load_dword v3, off, s[0:3], 0 offset:244
	v_mov_b32_e32 v4, 0
	buffer_store_dword v4, off, s[0:3], 0 offset:240
	buffer_store_dword v4, off, s[0:3], 0 offset:244
	s_waitcnt vmcnt(2)
	ds_write_b64 v1, v[2:3]
.LBB107_217:
	s_or_b64 exec, exec, s[4:5]
	s_waitcnt lgkmcnt(0)
	; wave barrier
	s_waitcnt lgkmcnt(0)
	buffer_load_dword v3, off, s[0:3], 0 offset:252
	buffer_load_dword v48, off, s[0:3], 0 offset:260
	;; [unrolled: 1-line block ×28, first 2 shown]
	v_mov_b32_e32 v2, 0
	ds_read2_b64 v[4:7], v2 offset0:75 offset1:76
	ds_read2_b64 v[8:11], v2 offset0:77 offset1:78
	;; [unrolled: 1-line block ×6, first 2 shown]
	ds_read_b64 v[46:47], v2 offset:696
	v_cmp_lt_u32_e32 vcc, 29, v0
	s_waitcnt vmcnt(27) lgkmcnt(6)
	v_mul_f32_e32 v63, v4, v3
	v_mul_f32_e32 v3, v5, v3
	s_waitcnt vmcnt(26)
	v_mul_f32_e32 v64, v6, v48
	s_waitcnt vmcnt(24) lgkmcnt(5)
	v_mul_f32_e32 v49, v10, v52
	s_waitcnt vmcnt(23) lgkmcnt(4)
	v_mul_f32_e32 v51, v12, v53
	v_mul_f32_e32 v154, v11, v52
	;; [unrolled: 1-line block ×3, first 2 shown]
	s_waitcnt vmcnt(22)
	v_mov_b32_e32 v52, v29
	v_mul_f32_e32 v65, v8, v50
	v_mul_f32_e32 v48, v7, v48
	;; [unrolled: 1-line block ×3, first 2 shown]
	s_waitcnt vmcnt(17)
	v_fmac_f32_e32 v63, v5, v55
	v_fma_f32 v3, v4, v55, -v3
	v_pk_mul_f32 v[4:5], v[14:15], v[52:53] op_sel_hi:[1,0]
	s_waitcnt vmcnt(16)
	v_fmac_f32_e32 v64, v7, v57
	s_waitcnt vmcnt(13)
	v_fmac_f32_e32 v51, v13, v62
	v_fma_f32 v55, v6, v57, -v48
	v_fma_f32 v57, v8, v59, -v50
	;; [unrolled: 1-line block ×3, first 2 shown]
	v_add_f32_e32 v52, 0, v63
	v_add_f32_e32 v3, 0, v3
	s_waitcnt vmcnt(12)
	v_pk_fma_f32 v[12:13], v[14:15], v[28:29], v[4:5] op_sel:[0,0,1] op_sel_hi:[1,1,0] neg_lo:[0,0,1] neg_hi:[0,0,1]
	v_pk_fma_f32 v[4:5], v[14:15], v[28:29], v[4:5] op_sel:[0,0,1] op_sel_hi:[1,0,0]
	v_fmac_f32_e32 v65, v9, v59
	v_add_f32_e32 v4, v52, v64
	v_add_f32_e32 v3, v3, v55
	v_mov_b32_e32 v54, v31
	v_fmac_f32_e32 v49, v11, v61
	v_fma_f32 v48, v10, v61, -v154
	v_mov_b32_e32 v13, v5
	v_add_f32_e32 v5, v4, v65
	v_add_f32_e32 v4, v3, v57
	v_mov_b32_e32 v56, v33
	s_waitcnt lgkmcnt(3)
	v_pk_mul_f32 v[6:7], v[16:17], v[54:55] op_sel_hi:[1,0]
	v_pk_add_f32 v[4:5], v[4:5], v[48:49]
	v_mov_b32_e32 v58, v35
	v_mov_b32_e32 v60, v37
	v_pk_mul_f32 v[8:9], v[18:19], v[56:57] op_sel_hi:[1,0]
	s_waitcnt vmcnt(11)
	v_pk_fma_f32 v[14:15], v[16:17], v[30:31], v[6:7] op_sel:[0,0,1] op_sel_hi:[1,1,0] neg_lo:[0,0,1] neg_hi:[0,0,1]
	v_pk_fma_f32 v[6:7], v[16:17], v[30:31], v[6:7] op_sel:[0,0,1] op_sel_hi:[1,0,0]
	v_pk_add_f32 v[4:5], v[4:5], v[50:51]
	s_waitcnt lgkmcnt(2)
	v_pk_mul_f32 v[10:11], v[20:21], v[58:59] op_sel_hi:[1,0]
	s_waitcnt vmcnt(7)
	v_pk_fma_f32 v[16:17], v[18:19], v[32:33], v[8:9] op_sel:[0,0,1] op_sel_hi:[1,1,0] neg_lo:[0,0,1] neg_hi:[0,0,1]
	v_pk_fma_f32 v[8:9], v[18:19], v[32:33], v[8:9] op_sel:[0,0,1] op_sel_hi:[1,0,0]
	v_mov_b32_e32 v15, v7
	v_pk_add_f32 v[4:5], v[4:5], v[12:13]
	v_pk_mul_f32 v[6:7], v[22:23], v[60:61] op_sel_hi:[1,0]
	v_pk_fma_f32 v[18:19], v[20:21], v[34:35], v[10:11] op_sel:[0,0,1] op_sel_hi:[1,1,0] neg_lo:[0,0,1] neg_hi:[0,0,1]
	v_pk_fma_f32 v[10:11], v[20:21], v[34:35], v[10:11] op_sel:[0,0,1] op_sel_hi:[1,0,0]
	v_mov_b32_e32 v17, v9
	v_pk_add_f32 v[4:5], v[4:5], v[14:15]
	v_pk_fma_f32 v[8:9], v[22:23], v[36:37], v[6:7] op_sel:[0,0,1] op_sel_hi:[1,1,0] neg_lo:[0,0,1] neg_hi:[0,0,1]
	v_pk_fma_f32 v[6:7], v[22:23], v[36:37], v[6:7] op_sel:[0,0,1] op_sel_hi:[1,0,0]
	v_mov_b32_e32 v19, v11
	v_pk_add_f32 v[4:5], v[4:5], v[16:17]
	s_waitcnt vmcnt(6)
	v_mov_b32_e32 v6, v39
	v_pk_add_f32 v[4:5], v[4:5], v[18:19]
	v_mov_b32_e32 v9, v7
	s_waitcnt lgkmcnt(1)
	v_pk_mul_f32 v[6:7], v[24:25], v[6:7] op_sel_hi:[1,0]
	v_pk_add_f32 v[4:5], v[4:5], v[8:9]
	v_pk_fma_f32 v[8:9], v[24:25], v[38:39], v[6:7] op_sel:[0,0,1] op_sel_hi:[1,1,0] neg_lo:[0,0,1] neg_hi:[0,0,1]
	v_pk_fma_f32 v[6:7], v[24:25], v[38:39], v[6:7] op_sel:[0,0,1] op_sel_hi:[1,0,0]
	s_waitcnt vmcnt(5)
	v_mov_b32_e32 v6, v41
	v_mov_b32_e32 v9, v7
	v_pk_mul_f32 v[6:7], v[26:27], v[6:7] op_sel_hi:[1,0]
	v_pk_add_f32 v[4:5], v[4:5], v[8:9]
	s_waitcnt vmcnt(3)
	v_pk_fma_f32 v[8:9], v[26:27], v[40:41], v[6:7] op_sel:[0,0,1] op_sel_hi:[1,1,0] neg_lo:[0,0,1] neg_hi:[0,0,1]
	v_pk_fma_f32 v[6:7], v[26:27], v[40:41], v[6:7] op_sel:[0,0,1] op_sel_hi:[1,0,0]
	s_waitcnt vmcnt(2)
	v_mov_b32_e32 v6, v43
	v_mov_b32_e32 v9, v7
	s_waitcnt lgkmcnt(0)
	v_pk_mul_f32 v[6:7], v[46:47], v[6:7] op_sel_hi:[1,0]
	v_pk_add_f32 v[4:5], v[4:5], v[8:9]
	v_pk_fma_f32 v[8:9], v[46:47], v[42:43], v[6:7] op_sel:[0,0,1] op_sel_hi:[1,1,0] neg_lo:[0,0,1] neg_hi:[0,0,1]
	v_pk_fma_f32 v[6:7], v[46:47], v[42:43], v[6:7] op_sel:[0,0,1] op_sel_hi:[1,0,0]
	v_mov_b32_e32 v9, v7
	v_pk_add_f32 v[4:5], v[4:5], v[8:9]
	s_waitcnt vmcnt(0)
	v_pk_add_f32 v[4:5], v[44:45], v[4:5] neg_lo:[0,1] neg_hi:[0,1]
	buffer_store_dword v5, off, s[0:3], 0 offset:244
	buffer_store_dword v4, off, s[0:3], 0 offset:240
	s_and_saveexec_b64 s[4:5], vcc
	s_cbranch_execz .LBB107_219
; %bb.218:
	buffer_load_dword v4, off, s[0:3], 0 offset:232
	buffer_load_dword v5, off, s[0:3], 0 offset:236
	s_waitcnt vmcnt(0)
	ds_write_b64 v1, v[4:5]
	buffer_store_dword v2, off, s[0:3], 0 offset:232
	buffer_store_dword v2, off, s[0:3], 0 offset:236
.LBB107_219:
	s_or_b64 exec, exec, s[4:5]
	s_waitcnt lgkmcnt(0)
	; wave barrier
	s_waitcnt lgkmcnt(0)
	buffer_load_dword v50, off, s[0:3], 0 offset:244
	buffer_load_dword v52, off, s[0:3], 0 offset:252
	;; [unrolled: 1-line block ×30, first 2 shown]
	ds_read_b128 v[4:7], v2 offset:592
	ds_read_b128 v[8:11], v2 offset:608
	;; [unrolled: 1-line block ×7, first 2 shown]
	v_cmp_lt_u32_e32 vcc, 28, v0
	s_waitcnt vmcnt(29) lgkmcnt(6)
	v_mul_f32_e32 v63, v4, v50
	s_waitcnt vmcnt(28)
	v_mul_f32_e32 v64, v6, v52
	s_waitcnt vmcnt(27) lgkmcnt(5)
	v_mul_f32_e32 v65, v8, v53
	v_mul_f32_e32 v53, v9, v53
	s_waitcnt vmcnt(26)
	v_mul_f32_e32 v154, v10, v54
	s_waitcnt vmcnt(25) lgkmcnt(4)
	v_mul_f32_e32 v3, v12, v55
	v_mul_f32_e32 v2, v5, v50
	;; [unrolled: 1-line block ×5, first 2 shown]
	s_waitcnt vmcnt(23)
	v_mov_b32_e32 v52, v33
	s_waitcnt vmcnt(22)
	v_mov_b32_e32 v54, v35
	s_waitcnt vmcnt(18)
	v_fma_f32 v53, v8, v59, -v53
	v_fmac_f32_e32 v63, v5, v57
	v_fmac_f32_e32 v64, v7, v58
	s_waitcnt vmcnt(17)
	v_fmac_f32_e32 v154, v11, v60
	v_fma_f32 v11, v4, v57, -v2
	v_fma_f32 v57, v6, v58, -v50
	s_waitcnt lgkmcnt(3)
	v_pk_mul_f32 v[4:5], v[16:17], v[52:53] op_sel_hi:[1,0]
	v_pk_mul_f32 v[6:7], v[18:19], v[54:55] op_sel_hi:[1,0]
	s_waitcnt vmcnt(16)
	v_fmac_f32_e32 v3, v13, v61
	v_fma_f32 v58, v10, v60, -v155
	v_fma_f32 v2, v12, v61, -v55
	v_add_f32_e32 v52, 0, v63
	v_add_f32_e32 v54, 0, v11
	s_waitcnt vmcnt(14)
	v_pk_fma_f32 v[10:11], v[16:17], v[32:33], v[4:5] op_sel:[0,0,1] op_sel_hi:[1,1,0] neg_lo:[0,0,1] neg_hi:[0,0,1]
	v_pk_fma_f32 v[4:5], v[16:17], v[32:33], v[4:5] op_sel:[0,0,1] op_sel_hi:[1,0,0]
	s_waitcnt vmcnt(10)
	v_pk_fma_f32 v[12:13], v[18:19], v[34:35], v[6:7] op_sel:[0,0,1] op_sel_hi:[1,1,0] neg_lo:[0,0,1] neg_hi:[0,0,1]
	v_pk_fma_f32 v[6:7], v[18:19], v[34:35], v[6:7] op_sel:[0,0,1] op_sel_hi:[1,0,0]
	v_fmac_f32_e32 v65, v9, v59
	v_add_f32_e32 v4, v52, v64
	v_add_f32_e32 v6, v54, v57
	;; [unrolled: 1-line block ×4, first 2 shown]
	v_mul_f32_e32 v51, v14, v56
	v_mul_f32_e32 v156, v15, v56
	v_mov_b32_e32 v11, v5
	v_add_f32_e32 v5, v4, v154
	v_add_f32_e32 v4, v6, v58
	v_mov_b32_e32 v56, v37
	v_fmac_f32_e32 v51, v15, v62
	v_fma_f32 v50, v14, v62, -v156
	v_pk_add_f32 v[2:3], v[4:5], v[2:3]
	s_waitcnt vmcnt(9)
	v_mov_b32_e32 v4, v41
	s_waitcnt lgkmcnt(2)
	v_pk_mul_f32 v[8:9], v[20:21], v[56:57] op_sel_hi:[1,0]
	v_pk_add_f32 v[2:3], v[2:3], v[50:51]
	v_pk_mul_f32 v[4:5], v[22:23], v[4:5] op_sel_hi:[1,0]
	v_pk_fma_f32 v[14:15], v[20:21], v[36:37], v[8:9] op_sel:[0,0,1] op_sel_hi:[1,1,0] neg_lo:[0,0,1] neg_hi:[0,0,1]
	v_pk_fma_f32 v[8:9], v[20:21], v[36:37], v[8:9] op_sel:[0,0,1] op_sel_hi:[1,0,0]
	v_mov_b32_e32 v13, v7
	v_pk_add_f32 v[2:3], v[2:3], v[10:11]
	v_pk_fma_f32 v[6:7], v[22:23], v[40:41], v[4:5] op_sel:[0,0,1] op_sel_hi:[1,1,0] neg_lo:[0,0,1] neg_hi:[0,0,1]
	v_pk_fma_f32 v[4:5], v[22:23], v[40:41], v[4:5] op_sel:[0,0,1] op_sel_hi:[1,0,0]
	v_mov_b32_e32 v15, v9
	v_pk_add_f32 v[2:3], v[2:3], v[12:13]
	s_waitcnt vmcnt(8)
	v_mov_b32_e32 v4, v39
	v_pk_add_f32 v[2:3], v[2:3], v[14:15]
	v_mov_b32_e32 v7, v5
	s_waitcnt lgkmcnt(1)
	v_pk_mul_f32 v[4:5], v[24:25], v[4:5] op_sel_hi:[1,0]
	v_pk_add_f32 v[2:3], v[2:3], v[6:7]
	v_pk_fma_f32 v[6:7], v[24:25], v[38:39], v[4:5] op_sel:[0,0,1] op_sel_hi:[1,1,0] neg_lo:[0,0,1] neg_hi:[0,0,1]
	v_pk_fma_f32 v[4:5], v[24:25], v[38:39], v[4:5] op_sel:[0,0,1] op_sel_hi:[1,0,0]
	s_waitcnt vmcnt(7)
	v_mov_b32_e32 v4, v43
	v_mov_b32_e32 v7, v5
	v_pk_mul_f32 v[4:5], v[26:27], v[4:5] op_sel_hi:[1,0]
	v_pk_add_f32 v[2:3], v[2:3], v[6:7]
	s_waitcnt vmcnt(4)
	v_pk_fma_f32 v[6:7], v[26:27], v[42:43], v[4:5] op_sel:[0,0,1] op_sel_hi:[1,1,0] neg_lo:[0,0,1] neg_hi:[0,0,1]
	v_pk_fma_f32 v[4:5], v[26:27], v[42:43], v[4:5] op_sel:[0,0,1] op_sel_hi:[1,0,0]
	s_waitcnt vmcnt(3)
	v_mov_b32_e32 v4, v47
	v_mov_b32_e32 v7, v5
	s_waitcnt lgkmcnt(0)
	v_pk_mul_f32 v[4:5], v[28:29], v[4:5] op_sel_hi:[1,0]
	v_pk_add_f32 v[2:3], v[2:3], v[6:7]
	v_pk_fma_f32 v[6:7], v[28:29], v[46:47], v[4:5] op_sel:[0,0,1] op_sel_hi:[1,1,0] neg_lo:[0,0,1] neg_hi:[0,0,1]
	v_pk_fma_f32 v[4:5], v[28:29], v[46:47], v[4:5] op_sel:[0,0,1] op_sel_hi:[1,0,0]
	s_waitcnt vmcnt(0)
	v_mov_b32_e32 v4, v45
	v_mov_b32_e32 v7, v5
	v_pk_mul_f32 v[4:5], v[30:31], v[4:5] op_sel_hi:[1,0]
	v_pk_add_f32 v[2:3], v[2:3], v[6:7]
	v_pk_fma_f32 v[6:7], v[30:31], v[44:45], v[4:5] op_sel:[0,0,1] op_sel_hi:[1,1,0] neg_lo:[0,0,1] neg_hi:[0,0,1]
	v_pk_fma_f32 v[4:5], v[30:31], v[44:45], v[4:5] op_sel:[0,0,1] op_sel_hi:[1,0,0]
	v_mov_b32_e32 v7, v5
	v_pk_add_f32 v[2:3], v[2:3], v[6:7]
	v_pk_add_f32 v[2:3], v[48:49], v[2:3] neg_lo:[0,1] neg_hi:[0,1]
	buffer_store_dword v3, off, s[0:3], 0 offset:236
	buffer_store_dword v2, off, s[0:3], 0 offset:232
	s_and_saveexec_b64 s[4:5], vcc
	s_cbranch_execz .LBB107_221
; %bb.220:
	buffer_load_dword v2, off, s[0:3], 0 offset:224
	buffer_load_dword v3, off, s[0:3], 0 offset:228
	v_mov_b32_e32 v4, 0
	buffer_store_dword v4, off, s[0:3], 0 offset:224
	buffer_store_dword v4, off, s[0:3], 0 offset:228
	s_waitcnt vmcnt(2)
	ds_write_b64 v1, v[2:3]
.LBB107_221:
	s_or_b64 exec, exec, s[4:5]
	s_waitcnt lgkmcnt(0)
	; wave barrier
	s_waitcnt lgkmcnt(0)
	buffer_load_dword v3, off, s[0:3], 0 offset:236
	buffer_load_dword v52, off, s[0:3], 0 offset:244
	;; [unrolled: 1-line block ×32, first 2 shown]
	v_mov_b32_e32 v2, 0
	ds_read2_b64 v[4:7], v2 offset0:73 offset1:74
	ds_read2_b64 v[8:11], v2 offset0:75 offset1:76
	;; [unrolled: 1-line block ×7, first 2 shown]
	ds_read_b64 v[50:51], v2 offset:696
	v_cmp_lt_u32_e32 vcc, 27, v0
	s_waitcnt vmcnt(31) lgkmcnt(7)
	v_mul_f32_e32 v155, v4, v3
	v_mul_f32_e32 v3, v5, v3
	s_waitcnt vmcnt(30)
	v_mul_f32_e32 v156, v6, v52
	s_waitcnt vmcnt(28) lgkmcnt(6)
	v_mul_f32_e32 v158, v10, v56
	s_waitcnt vmcnt(27) lgkmcnt(5)
	v_mul_f32_e32 v159, v12, v57
	v_mul_f32_e32 v160, v11, v56
	;; [unrolled: 1-line block ×3, first 2 shown]
	s_waitcnt vmcnt(24)
	v_mov_b32_e32 v56, v33
	v_mul_f32_e32 v157, v8, v54
	v_mul_f32_e32 v52, v7, v52
	s_waitcnt vmcnt(22)
	v_fmac_f32_e32 v155, v5, v60
	v_fma_f32 v3, v4, v60, -v3
	s_waitcnt lgkmcnt(4)
	v_pk_mul_f32 v[4:5], v[18:19], v[56:57] op_sel_hi:[1,0]
	v_mul_f32_e32 v54, v9, v54
	s_waitcnt vmcnt(21)
	v_fmac_f32_e32 v156, v7, v61
	s_waitcnt vmcnt(20)
	v_fmac_f32_e32 v157, v9, v62
	;; [unrolled: 2-line block ×3, first 2 shown]
	v_fma_f32 v9, v6, v61, -v52
	s_waitcnt vmcnt(18)
	v_fma_f32 v11, v12, v64, -v57
	v_add_f32_e32 v12, 0, v155
	v_add_f32_e32 v3, 0, v3
	s_waitcnt vmcnt(12)
	v_pk_fma_f32 v[6:7], v[18:19], v[32:33], v[4:5] op_sel:[0,0,1] op_sel_hi:[1,1,0] neg_lo:[0,0,1] neg_hi:[0,0,1]
	v_pk_fma_f32 v[4:5], v[18:19], v[32:33], v[4:5] op_sel:[0,0,1] op_sel_hi:[1,0,0]
	v_fma_f32 v8, v8, v62, -v54
	v_add_f32_e32 v4, v12, v156
	v_add_f32_e32 v3, v3, v9
	v_fma_f32 v10, v10, v63, -v160
	v_add_f32_e32 v4, v4, v157
	v_add_f32_e32 v3, v3, v8
	v_mul_f32_e32 v53, v14, v58
	v_mul_f32_e32 v161, v15, v58
	v_fmac_f32_e32 v159, v13, v64
	v_add_f32_e32 v4, v4, v158
	v_add_f32_e32 v3, v3, v10
	v_mul_f32_e32 v55, v16, v59
	v_mul_f32_e32 v59, v17, v59
	v_fmac_f32_e32 v53, v15, v65
	v_fma_f32 v52, v14, v65, -v161
	v_mov_b32_e32 v7, v5
	v_add_f32_e32 v5, v4, v159
	v_add_f32_e32 v4, v3, v11
	v_fmac_f32_e32 v55, v17, v154
	v_fma_f32 v54, v16, v154, -v59
	v_pk_add_f32 v[4:5], v[4:5], v[52:53]
	v_mov_b32_e32 v58, v35
	v_pk_add_f32 v[4:5], v[4:5], v[54:55]
	v_pk_add_f32 v[4:5], v[4:5], v[6:7]
	s_waitcnt lgkmcnt(3)
	v_pk_mul_f32 v[6:7], v[20:21], v[58:59] op_sel_hi:[1,0]
	v_pk_fma_f32 v[8:9], v[20:21], v[34:35], v[6:7] op_sel:[0,0,1] op_sel_hi:[1,1,0] neg_lo:[0,0,1] neg_hi:[0,0,1]
	v_pk_fma_f32 v[6:7], v[20:21], v[34:35], v[6:7] op_sel:[0,0,1] op_sel_hi:[1,0,0]
	s_waitcnt vmcnt(11)
	v_mov_b32_e32 v6, v39
	v_mov_b32_e32 v9, v7
	v_pk_mul_f32 v[6:7], v[22:23], v[6:7] op_sel_hi:[1,0]
	v_pk_add_f32 v[4:5], v[4:5], v[8:9]
	v_pk_fma_f32 v[8:9], v[22:23], v[38:39], v[6:7] op_sel:[0,0,1] op_sel_hi:[1,1,0] neg_lo:[0,0,1] neg_hi:[0,0,1]
	v_pk_fma_f32 v[6:7], v[22:23], v[38:39], v[6:7] op_sel:[0,0,1] op_sel_hi:[1,0,0]
	s_waitcnt vmcnt(10)
	v_mov_b32_e32 v6, v37
	v_mov_b32_e32 v9, v7
	s_waitcnt lgkmcnt(2)
	v_pk_mul_f32 v[6:7], v[24:25], v[6:7] op_sel_hi:[1,0]
	v_pk_add_f32 v[4:5], v[4:5], v[8:9]
	v_pk_fma_f32 v[8:9], v[24:25], v[36:37], v[6:7] op_sel:[0,0,1] op_sel_hi:[1,1,0] neg_lo:[0,0,1] neg_hi:[0,0,1]
	v_pk_fma_f32 v[6:7], v[24:25], v[36:37], v[6:7] op_sel:[0,0,1] op_sel_hi:[1,0,0]
	s_waitcnt vmcnt(9)
	v_mov_b32_e32 v6, v41
	v_mov_b32_e32 v9, v7
	v_pk_mul_f32 v[6:7], v[26:27], v[6:7] op_sel_hi:[1,0]
	v_pk_add_f32 v[4:5], v[4:5], v[8:9]
	s_waitcnt vmcnt(4)
	v_pk_fma_f32 v[8:9], v[26:27], v[40:41], v[6:7] op_sel:[0,0,1] op_sel_hi:[1,1,0] neg_lo:[0,0,1] neg_hi:[0,0,1]
	v_pk_fma_f32 v[6:7], v[26:27], v[40:41], v[6:7] op_sel:[0,0,1] op_sel_hi:[1,0,0]
	v_mov_b32_e32 v6, v47
	v_mov_b32_e32 v9, v7
	s_waitcnt lgkmcnt(1)
	v_pk_mul_f32 v[6:7], v[28:29], v[6:7] op_sel_hi:[1,0]
	v_pk_add_f32 v[4:5], v[4:5], v[8:9]
	v_pk_fma_f32 v[8:9], v[28:29], v[46:47], v[6:7] op_sel:[0,0,1] op_sel_hi:[1,1,0] neg_lo:[0,0,1] neg_hi:[0,0,1]
	v_pk_fma_f32 v[6:7], v[28:29], v[46:47], v[6:7] op_sel:[0,0,1] op_sel_hi:[1,0,0]
	s_waitcnt vmcnt(3)
	v_mov_b32_e32 v6, v45
	v_mov_b32_e32 v9, v7
	v_pk_mul_f32 v[6:7], v[30:31], v[6:7] op_sel_hi:[1,0]
	v_pk_add_f32 v[4:5], v[4:5], v[8:9]
	v_pk_fma_f32 v[8:9], v[30:31], v[44:45], v[6:7] op_sel:[0,0,1] op_sel_hi:[1,1,0] neg_lo:[0,0,1] neg_hi:[0,0,1]
	v_pk_fma_f32 v[6:7], v[30:31], v[44:45], v[6:7] op_sel:[0,0,1] op_sel_hi:[1,0,0]
	s_waitcnt vmcnt(0)
	v_mov_b32_e32 v6, v43
	v_mov_b32_e32 v9, v7
	s_waitcnt lgkmcnt(0)
	v_pk_mul_f32 v[6:7], v[50:51], v[6:7] op_sel_hi:[1,0]
	v_pk_add_f32 v[4:5], v[4:5], v[8:9]
	v_pk_fma_f32 v[8:9], v[50:51], v[42:43], v[6:7] op_sel:[0,0,1] op_sel_hi:[1,1,0] neg_lo:[0,0,1] neg_hi:[0,0,1]
	v_pk_fma_f32 v[6:7], v[50:51], v[42:43], v[6:7] op_sel:[0,0,1] op_sel_hi:[1,0,0]
	v_mov_b32_e32 v9, v7
	v_pk_add_f32 v[4:5], v[4:5], v[8:9]
	v_pk_add_f32 v[4:5], v[48:49], v[4:5] neg_lo:[0,1] neg_hi:[0,1]
	buffer_store_dword v5, off, s[0:3], 0 offset:228
	buffer_store_dword v4, off, s[0:3], 0 offset:224
	s_and_saveexec_b64 s[4:5], vcc
	s_cbranch_execz .LBB107_223
; %bb.222:
	buffer_load_dword v4, off, s[0:3], 0 offset:216
	buffer_load_dword v5, off, s[0:3], 0 offset:220
	s_waitcnt vmcnt(0)
	ds_write_b64 v1, v[4:5]
	buffer_store_dword v2, off, s[0:3], 0 offset:216
	buffer_store_dword v2, off, s[0:3], 0 offset:220
.LBB107_223:
	s_or_b64 exec, exec, s[4:5]
	s_waitcnt lgkmcnt(0)
	; wave barrier
	s_waitcnt lgkmcnt(0)
	buffer_load_dword v54, off, s[0:3], 0 offset:228
	buffer_load_dword v56, off, s[0:3], 0 offset:236
	;; [unrolled: 1-line block ×32, first 2 shown]
	ds_read_b128 v[4:7], v2 offset:576
	ds_read_b128 v[8:11], v2 offset:592
	ds_read_b128 v[12:15], v2 offset:608
	ds_read_b128 v[16:19], v2 offset:624
	buffer_load_dword v53, off, s[0:3], 0 offset:348
	buffer_load_dword v52, off, s[0:3], 0 offset:344
	ds_read_b128 v[20:23], v2 offset:640
	ds_read_b128 v[24:27], v2 offset:656
	ds_read_b128 v[28:31], v2 offset:672
	ds_read_b128 v[32:35], v2 offset:688
	v_cmp_lt_u32_e32 vcc, 26, v0
	s_waitcnt vmcnt(33) lgkmcnt(7)
	v_mul_f32_e32 v159, v4, v54
	v_mul_f32_e32 v2, v5, v54
	s_waitcnt vmcnt(32)
	v_mul_f32_e32 v160, v6, v56
	s_waitcnt vmcnt(31) lgkmcnt(6)
	v_mul_f32_e32 v161, v8, v57
	v_mul_f32_e32 v54, v7, v56
	;; [unrolled: 1-line block ×3, first 2 shown]
	s_waitcnt vmcnt(30)
	v_mul_f32_e32 v57, v11, v58
	v_mul_f32_e32 v162, v10, v58
	s_waitcnt vmcnt(25)
	v_fmac_f32_e32 v159, v5, v63
	v_fma_f32 v4, v4, v63, -v2
	s_waitcnt vmcnt(24)
	v_fmac_f32_e32 v160, v7, v64
	v_fma_f32 v5, v6, v64, -v54
	s_waitcnt vmcnt(22)
	v_fma_f32 v7, v10, v154, -v57
	v_add_f32_e32 v10, 0, v159
	v_add_f32_e32 v4, 0, v4
	v_fmac_f32_e32 v161, v9, v65
	v_fma_f32 v6, v8, v65, -v56
	v_add_f32_e32 v10, v10, v160
	v_add_f32_e32 v4, v4, v5
	s_waitcnt lgkmcnt(5)
	v_mul_f32_e32 v163, v12, v59
	v_mul_f32_e32 v58, v13, v59
	v_fmac_f32_e32 v162, v11, v154
	v_add_f32_e32 v5, v10, v161
	v_add_f32_e32 v4, v4, v6
	v_mul_f32_e32 v164, v14, v60
	v_mul_f32_e32 v59, v15, v60
	s_waitcnt vmcnt(21)
	v_fmac_f32_e32 v163, v13, v155
	v_fma_f32 v8, v12, v155, -v58
	v_add_f32_e32 v5, v5, v162
	v_add_f32_e32 v4, v4, v7
	s_waitcnt lgkmcnt(4)
	v_mul_f32_e32 v3, v16, v61
	v_mul_f32_e32 v60, v17, v61
	s_waitcnt vmcnt(20)
	v_fmac_f32_e32 v164, v15, v156
	v_fma_f32 v9, v14, v156, -v59
	v_add_f32_e32 v5, v5, v163
	v_add_f32_e32 v4, v4, v8
	s_waitcnt vmcnt(19)
	v_fmac_f32_e32 v3, v17, v157
	v_fma_f32 v2, v16, v157, -v60
	v_add_f32_e32 v5, v5, v164
	v_add_f32_e32 v4, v4, v9
	v_pk_add_f32 v[2:3], v[4:5], v[2:3]
	s_waitcnt vmcnt(17)
	v_mov_b32_e32 v4, v37
	s_waitcnt lgkmcnt(3)
	v_pk_mul_f32 v[4:5], v[20:21], v[4:5] op_sel_hi:[1,0]
	v_mul_f32_e32 v55, v18, v62
	v_mul_f32_e32 v61, v19, v62
	s_waitcnt vmcnt(14)
	v_pk_fma_f32 v[6:7], v[20:21], v[36:37], v[4:5] op_sel:[0,0,1] op_sel_hi:[1,1,0] neg_lo:[0,0,1] neg_hi:[0,0,1]
	v_pk_fma_f32 v[4:5], v[20:21], v[36:37], v[4:5] op_sel:[0,0,1] op_sel_hi:[1,0,0]
	v_fmac_f32_e32 v55, v19, v158
	v_fma_f32 v54, v18, v158, -v61
	s_waitcnt vmcnt(13)
	v_mov_b32_e32 v4, v41
	v_pk_add_f32 v[2:3], v[2:3], v[54:55]
	v_mov_b32_e32 v7, v5
	v_pk_mul_f32 v[4:5], v[22:23], v[4:5] op_sel_hi:[1,0]
	v_pk_add_f32 v[2:3], v[2:3], v[6:7]
	v_pk_fma_f32 v[6:7], v[22:23], v[40:41], v[4:5] op_sel:[0,0,1] op_sel_hi:[1,1,0] neg_lo:[0,0,1] neg_hi:[0,0,1]
	v_pk_fma_f32 v[4:5], v[22:23], v[40:41], v[4:5] op_sel:[0,0,1] op_sel_hi:[1,0,0]
	s_waitcnt vmcnt(12)
	v_mov_b32_e32 v4, v39
	v_mov_b32_e32 v7, v5
	s_waitcnt lgkmcnt(2)
	v_pk_mul_f32 v[4:5], v[24:25], v[4:5] op_sel_hi:[1,0]
	v_pk_add_f32 v[2:3], v[2:3], v[6:7]
	v_pk_fma_f32 v[6:7], v[24:25], v[38:39], v[4:5] op_sel:[0,0,1] op_sel_hi:[1,1,0] neg_lo:[0,0,1] neg_hi:[0,0,1]
	v_pk_fma_f32 v[4:5], v[24:25], v[38:39], v[4:5] op_sel:[0,0,1] op_sel_hi:[1,0,0]
	s_waitcnt vmcnt(11)
	v_mov_b32_e32 v4, v43
	v_mov_b32_e32 v7, v5
	v_pk_mul_f32 v[4:5], v[26:27], v[4:5] op_sel_hi:[1,0]
	v_pk_add_f32 v[2:3], v[2:3], v[6:7]
	s_waitcnt vmcnt(5)
	v_pk_fma_f32 v[6:7], v[26:27], v[42:43], v[4:5] op_sel:[0,0,1] op_sel_hi:[1,1,0] neg_lo:[0,0,1] neg_hi:[0,0,1]
	v_pk_fma_f32 v[4:5], v[26:27], v[42:43], v[4:5] op_sel:[0,0,1] op_sel_hi:[1,0,0]
	v_mov_b32_e32 v4, v49
	v_mov_b32_e32 v7, v5
	s_waitcnt lgkmcnt(1)
	v_pk_mul_f32 v[4:5], v[28:29], v[4:5] op_sel_hi:[1,0]
	v_pk_add_f32 v[2:3], v[2:3], v[6:7]
	v_pk_fma_f32 v[6:7], v[28:29], v[48:49], v[4:5] op_sel:[0,0,1] op_sel_hi:[1,1,0] neg_lo:[0,0,1] neg_hi:[0,0,1]
	v_pk_fma_f32 v[4:5], v[28:29], v[48:49], v[4:5] op_sel:[0,0,1] op_sel_hi:[1,0,0]
	v_mov_b32_e32 v4, v47
	v_mov_b32_e32 v7, v5
	v_pk_mul_f32 v[4:5], v[30:31], v[4:5] op_sel_hi:[1,0]
	v_pk_add_f32 v[2:3], v[2:3], v[6:7]
	v_pk_fma_f32 v[6:7], v[30:31], v[46:47], v[4:5] op_sel:[0,0,1] op_sel_hi:[1,1,0] neg_lo:[0,0,1] neg_hi:[0,0,1]
	v_pk_fma_f32 v[4:5], v[30:31], v[46:47], v[4:5] op_sel:[0,0,1] op_sel_hi:[1,0,0]
	s_waitcnt vmcnt(2)
	v_mov_b32_e32 v4, v45
	v_mov_b32_e32 v7, v5
	s_waitcnt lgkmcnt(0)
	v_pk_mul_f32 v[4:5], v[32:33], v[4:5] op_sel_hi:[1,0]
	v_pk_add_f32 v[2:3], v[2:3], v[6:7]
	v_pk_fma_f32 v[6:7], v[32:33], v[44:45], v[4:5] op_sel:[0,0,1] op_sel_hi:[1,1,0] neg_lo:[0,0,1] neg_hi:[0,0,1]
	v_pk_fma_f32 v[4:5], v[32:33], v[44:45], v[4:5] op_sel:[0,0,1] op_sel_hi:[1,0,0]
	s_waitcnt vmcnt(1)
	v_mov_b32_e32 v4, v53
	v_mov_b32_e32 v7, v5
	v_pk_mul_f32 v[4:5], v[34:35], v[4:5] op_sel_hi:[1,0]
	v_pk_add_f32 v[2:3], v[2:3], v[6:7]
	s_waitcnt vmcnt(0)
	v_pk_fma_f32 v[6:7], v[34:35], v[52:53], v[4:5] op_sel:[0,0,1] op_sel_hi:[1,1,0] neg_lo:[0,0,1] neg_hi:[0,0,1]
	v_pk_fma_f32 v[4:5], v[34:35], v[52:53], v[4:5] op_sel:[0,0,1] op_sel_hi:[1,0,0]
	v_mov_b32_e32 v7, v5
	v_pk_add_f32 v[2:3], v[2:3], v[6:7]
	v_pk_add_f32 v[2:3], v[50:51], v[2:3] neg_lo:[0,1] neg_hi:[0,1]
	buffer_store_dword v3, off, s[0:3], 0 offset:220
	buffer_store_dword v2, off, s[0:3], 0 offset:216
	s_and_saveexec_b64 s[4:5], vcc
	s_cbranch_execz .LBB107_225
; %bb.224:
	buffer_load_dword v2, off, s[0:3], 0 offset:208
	buffer_load_dword v3, off, s[0:3], 0 offset:212
	v_mov_b32_e32 v4, 0
	buffer_store_dword v4, off, s[0:3], 0 offset:208
	buffer_store_dword v4, off, s[0:3], 0 offset:212
	s_waitcnt vmcnt(2)
	ds_write_b64 v1, v[2:3]
.LBB107_225:
	s_or_b64 exec, exec, s[4:5]
	s_waitcnt lgkmcnt(0)
	; wave barrier
	s_waitcnt lgkmcnt(0)
	buffer_load_dword v3, off, s[0:3], 0 offset:220
	buffer_load_dword v46, off, s[0:3], 0 offset:228
	;; [unrolled: 1-line block ×36, first 2 shown]
	v_mov_b32_e32 v2, 0
	ds_read2_b64 v[4:7], v2 offset0:71 offset1:72
	ds_read2_b64 v[8:11], v2 offset0:73 offset1:74
	;; [unrolled: 1-line block ×6, first 2 shown]
	v_cmp_lt_u32_e32 vcc, 25, v0
	s_waitcnt vmcnt(35) lgkmcnt(5)
	v_mul_f32_e32 v65, v4, v3
	s_waitcnt vmcnt(34)
	v_mul_f32_e32 v154, v6, v46
	s_waitcnt vmcnt(33) lgkmcnt(4)
	v_mul_f32_e32 v155, v8, v48
	v_mul_f32_e32 v3, v5, v3
	;; [unrolled: 1-line block ×4, first 2 shown]
	s_waitcnt vmcnt(32)
	v_mul_f32_e32 v156, v10, v50
	s_waitcnt vmcnt(31) lgkmcnt(3)
	v_mul_f32_e32 v157, v12, v51
	v_mul_f32_e32 v50, v11, v50
	s_waitcnt vmcnt(26)
	v_fmac_f32_e32 v65, v5, v56
	s_waitcnt vmcnt(25)
	v_fmac_f32_e32 v154, v7, v57
	;; [unrolled: 2-line block ×3, first 2 shown]
	v_fma_f32 v3, v4, v56, -v3
	v_add_f32_e32 v9, 0, v65
	v_fma_f32 v4, v6, v57, -v46
	v_add_f32_e32 v3, 0, v3
	v_add_f32_e32 v9, v9, v154
	s_waitcnt vmcnt(23)
	v_fmac_f32_e32 v156, v11, v59
	v_fma_f32 v5, v8, v58, -v48
	v_add_f32_e32 v3, v3, v4
	v_add_f32_e32 v4, v9, v155
	v_mul_f32_e32 v158, v14, v52
	v_mul_f32_e32 v51, v13, v51
	s_waitcnt vmcnt(22)
	v_fmac_f32_e32 v157, v13, v60
	v_fma_f32 v6, v10, v59, -v50
	v_add_f32_e32 v3, v3, v5
	v_add_f32_e32 v4, v4, v156
	s_waitcnt lgkmcnt(2)
	v_mul_f32_e32 v159, v16, v53
	v_mul_f32_e32 v52, v15, v52
	s_waitcnt vmcnt(21)
	v_fmac_f32_e32 v158, v15, v61
	v_fma_f32 v7, v12, v60, -v51
	v_add_f32_e32 v3, v3, v6
	v_add_f32_e32 v4, v4, v157
	v_mul_f32_e32 v53, v17, v53
	s_waitcnt vmcnt(20)
	v_fmac_f32_e32 v159, v17, v62
	v_fma_f32 v8, v14, v61, -v52
	v_add_f32_e32 v3, v3, v7
	v_add_f32_e32 v4, v4, v158
	;; [unrolled: 1-line block ×4, first 2 shown]
	v_fma_f32 v4, v16, v62, -v53
	s_waitcnt vmcnt(17)
	v_mov_b32_e32 v16, v29
	v_mul_f32_e32 v47, v18, v54
	v_add_f32_e32 v12, v3, v4
	v_mul_f32_e32 v3, v19, v54
	s_waitcnt lgkmcnt(1)
	v_pk_mul_f32 v[16:17], v[22:23], v[16:17] op_sel_hi:[1,0]
	v_mul_f32_e32 v49, v20, v55
	v_fmac_f32_e32 v47, v19, v63
	v_fma_f32 v46, v18, v63, -v3
	v_mul_f32_e32 v3, v21, v55
	s_waitcnt vmcnt(15)
	v_pk_fma_f32 v[18:19], v[22:23], v[28:29], v[16:17] op_sel:[0,0,1] op_sel_hi:[1,1,0] neg_lo:[0,0,1] neg_hi:[0,0,1]
	v_pk_fma_f32 v[16:17], v[22:23], v[28:29], v[16:17] op_sel:[0,0,1] op_sel_hi:[1,0,0]
	v_fmac_f32_e32 v49, v21, v64
	v_fma_f32 v48, v20, v64, -v3
	v_pk_add_f32 v[12:13], v[12:13], v[46:47]
	s_waitcnt vmcnt(12)
	v_mov_b32_e32 v16, v31
	v_pk_add_f32 v[12:13], v[12:13], v[48:49]
	v_mov_b32_e32 v19, v17
	s_waitcnt lgkmcnt(0)
	v_pk_mul_f32 v[16:17], v[24:25], v[16:17] op_sel_hi:[1,0]
	v_pk_add_f32 v[12:13], v[12:13], v[18:19]
	v_pk_fma_f32 v[18:19], v[24:25], v[30:31], v[16:17] op_sel:[0,0,1] op_sel_hi:[1,1,0] neg_lo:[0,0,1] neg_hi:[0,0,1]
	v_pk_fma_f32 v[16:17], v[24:25], v[30:31], v[16:17] op_sel:[0,0,1] op_sel_hi:[1,0,0]
	s_waitcnt vmcnt(11)
	v_mov_b32_e32 v16, v35
	ds_read2_b64 v[4:7], v2 offset0:83 offset1:84
	ds_read2_b64 v[8:11], v2 offset0:85 offset1:86
	ds_read_b64 v[14:15], v2 offset:696
	v_mov_b32_e32 v19, v17
	v_pk_mul_f32 v[16:17], v[26:27], v[16:17] op_sel_hi:[1,0]
	v_pk_add_f32 v[12:13], v[12:13], v[18:19]
	s_waitcnt vmcnt(4)
	v_pk_fma_f32 v[18:19], v[26:27], v[34:35], v[16:17] op_sel:[0,0,1] op_sel_hi:[1,1,0] neg_lo:[0,0,1] neg_hi:[0,0,1]
	v_pk_fma_f32 v[16:17], v[26:27], v[34:35], v[16:17] op_sel:[0,0,1] op_sel_hi:[1,0,0]
	v_mov_b32_e32 v16, v41
	v_mov_b32_e32 v19, v17
	s_waitcnt lgkmcnt(2)
	v_pk_mul_f32 v[16:17], v[4:5], v[16:17] op_sel_hi:[1,0]
	v_pk_add_f32 v[12:13], v[12:13], v[18:19]
	v_pk_fma_f32 v[18:19], v[4:5], v[40:41], v[16:17] op_sel:[0,0,1] op_sel_hi:[1,1,0] neg_lo:[0,0,1] neg_hi:[0,0,1]
	v_pk_fma_f32 v[4:5], v[4:5], v[40:41], v[16:17] op_sel:[0,0,1] op_sel_hi:[1,0,0]
	v_mov_b32_e32 v19, v5
	v_pk_add_f32 v[4:5], v[12:13], v[18:19]
	v_mov_b32_e32 v12, v39
	v_pk_mul_f32 v[12:13], v[6:7], v[12:13] op_sel_hi:[1,0]
	v_pk_fma_f32 v[16:17], v[6:7], v[38:39], v[12:13] op_sel:[0,0,1] op_sel_hi:[1,1,0] neg_lo:[0,0,1] neg_hi:[0,0,1]
	v_pk_fma_f32 v[6:7], v[6:7], v[38:39], v[12:13] op_sel:[0,0,1] op_sel_hi:[1,0,0]
	v_mov_b32_e32 v6, v37
	v_mov_b32_e32 v17, v7
	s_waitcnt lgkmcnt(1)
	v_pk_mul_f32 v[6:7], v[8:9], v[6:7] op_sel_hi:[1,0]
	v_pk_fma_f32 v[12:13], v[8:9], v[36:37], v[6:7] op_sel:[0,0,1] op_sel_hi:[1,1,0] neg_lo:[0,0,1] neg_hi:[0,0,1]
	v_pk_fma_f32 v[6:7], v[8:9], v[36:37], v[6:7] op_sel:[0,0,1] op_sel_hi:[1,0,0]
	s_waitcnt vmcnt(1)
	v_mov_b32_e32 v6, v45
	v_mov_b32_e32 v13, v7
	v_pk_mul_f32 v[6:7], v[10:11], v[6:7] op_sel_hi:[1,0]
	s_waitcnt vmcnt(0)
	v_pk_fma_f32 v[8:9], v[10:11], v[44:45], v[6:7] op_sel:[0,0,1] op_sel_hi:[1,1,0] neg_lo:[0,0,1] neg_hi:[0,0,1]
	v_pk_fma_f32 v[6:7], v[10:11], v[44:45], v[6:7] op_sel:[0,0,1] op_sel_hi:[1,0,0]
	v_pk_add_f32 v[4:5], v[4:5], v[16:17]
	v_mov_b32_e32 v6, v43
	v_pk_add_f32 v[4:5], v[4:5], v[12:13]
	v_mov_b32_e32 v9, v7
	s_waitcnt lgkmcnt(0)
	v_pk_mul_f32 v[6:7], v[14:15], v[6:7] op_sel_hi:[1,0]
	v_pk_add_f32 v[4:5], v[4:5], v[8:9]
	v_pk_fma_f32 v[8:9], v[14:15], v[42:43], v[6:7] op_sel:[0,0,1] op_sel_hi:[1,1,0] neg_lo:[0,0,1] neg_hi:[0,0,1]
	v_pk_fma_f32 v[6:7], v[14:15], v[42:43], v[6:7] op_sel:[0,0,1] op_sel_hi:[1,0,0]
	v_mov_b32_e32 v9, v7
	v_pk_add_f32 v[4:5], v[4:5], v[8:9]
	v_pk_add_f32 v[4:5], v[32:33], v[4:5] neg_lo:[0,1] neg_hi:[0,1]
	buffer_store_dword v5, off, s[0:3], 0 offset:212
	buffer_store_dword v4, off, s[0:3], 0 offset:208
	s_and_saveexec_b64 s[4:5], vcc
	s_cbranch_execz .LBB107_227
; %bb.226:
	buffer_load_dword v4, off, s[0:3], 0 offset:200
	buffer_load_dword v5, off, s[0:3], 0 offset:204
	s_waitcnt vmcnt(0)
	ds_write_b64 v1, v[4:5]
	buffer_store_dword v2, off, s[0:3], 0 offset:200
	buffer_store_dword v2, off, s[0:3], 0 offset:204
.LBB107_227:
	s_or_b64 exec, exec, s[4:5]
	s_waitcnt lgkmcnt(0)
	; wave barrier
	s_waitcnt lgkmcnt(0)
	buffer_load_dword v3, off, s[0:3], 0 offset:212
	buffer_load_dword v46, off, s[0:3], 0 offset:220
	;; [unrolled: 1-line block ×22, first 2 shown]
	ds_read_b128 v[4:7], v2 offset:560
	ds_read_b128 v[8:11], v2 offset:576
	buffer_load_dword v31, off, s[0:3], 0 offset:292
	buffer_load_dword v30, off, s[0:3], 0 offset:288
	;; [unrolled: 1-line block ×10, first 2 shown]
	ds_read_b128 v[12:15], v2 offset:592
	ds_read_b128 v[16:19], v2 offset:608
	;; [unrolled: 1-line block ×4, first 2 shown]
	buffer_load_dword v41, off, s[0:3], 0 offset:348
	buffer_load_dword v40, off, s[0:3], 0 offset:344
	;; [unrolled: 1-line block ×6, first 2 shown]
	v_cmp_lt_u32_e32 vcc, 24, v0
	s_waitcnt vmcnt(37) lgkmcnt(5)
	v_mul_f32_e32 v155, v4, v3
	s_waitcnt vmcnt(36)
	v_mul_f32_e32 v156, v6, v46
	s_waitcnt vmcnt(35) lgkmcnt(4)
	v_mul_f32_e32 v157, v8, v48
	v_mul_f32_e32 v3, v5, v3
	;; [unrolled: 1-line block ×4, first 2 shown]
	s_waitcnt vmcnt(34)
	v_mul_f32_e32 v158, v10, v50
	s_waitcnt vmcnt(33) lgkmcnt(3)
	v_mul_f32_e32 v159, v12, v51
	s_waitcnt vmcnt(32)
	v_mul_f32_e32 v160, v14, v52
	s_waitcnt vmcnt(31) lgkmcnt(2)
	v_mul_f32_e32 v161, v16, v53
	s_waitcnt vmcnt(27)
	v_fmac_f32_e32 v155, v5, v57
	s_waitcnt vmcnt(26)
	v_fmac_f32_e32 v156, v7, v58
	v_fma_f32 v3, v4, v57, -v3
	s_waitcnt vmcnt(25)
	v_fma_f32 v5, v8, v59, -v48
	v_add_f32_e32 v8, 0, v155
	v_fmac_f32_e32 v157, v9, v59
	v_fma_f32 v4, v6, v58, -v46
	v_add_f32_e32 v3, 0, v3
	v_add_f32_e32 v8, v8, v156
	s_waitcnt vmcnt(24)
	v_fmac_f32_e32 v158, v11, v60
	v_add_f32_e32 v3, v3, v4
	v_add_f32_e32 v4, v8, v157
	s_waitcnt vmcnt(23)
	v_fmac_f32_e32 v159, v13, v61
	v_add_f32_e32 v4, v4, v158
	v_mul_f32_e32 v50, v11, v50
	s_waitcnt vmcnt(22)
	v_fmac_f32_e32 v160, v15, v62
	v_add_f32_e32 v4, v4, v159
	v_mul_f32_e32 v162, v18, v54
	v_mul_f32_e32 v51, v13, v51
	s_waitcnt vmcnt(21)
	v_fmac_f32_e32 v161, v17, v63
	v_fma_f32 v6, v10, v60, -v50
	v_add_f32_e32 v3, v3, v5
	v_add_f32_e32 v4, v4, v160
	v_mul_f32_e32 v52, v15, v52
	s_waitcnt vmcnt(20)
	v_fmac_f32_e32 v162, v19, v64
	v_fma_f32 v7, v12, v61, -v51
	v_add_f32_e32 v3, v3, v6
	v_add_f32_e32 v4, v4, v161
	;; [unrolled: 1-line block ×4, first 2 shown]
	v_fma_f32 v4, v14, v62, -v52
	v_add_f32_e32 v3, v3, v4
	v_mul_f32_e32 v4, v17, v53
	v_fma_f32 v4, v16, v63, -v4
	v_add_f32_e32 v3, v3, v4
	v_mul_f32_e32 v4, v19, v54
	v_fma_f32 v4, v18, v64, -v4
	s_waitcnt vmcnt(15)
	v_mov_b32_e32 v16, v31
	s_waitcnt lgkmcnt(1)
	v_mul_f32_e32 v47, v20, v55
	v_add_f32_e32 v50, v3, v4
	v_mul_f32_e32 v3, v21, v55
	s_waitcnt lgkmcnt(0)
	v_pk_mul_f32 v[16:17], v[24:25], v[16:17] op_sel_hi:[1,0]
	v_mul_f32_e32 v49, v22, v56
	v_fmac_f32_e32 v47, v21, v65
	v_fma_f32 v46, v20, v65, -v3
	v_mul_f32_e32 v3, v23, v56
	s_waitcnt vmcnt(14)
	v_pk_fma_f32 v[18:19], v[24:25], v[30:31], v[16:17] op_sel:[0,0,1] op_sel_hi:[1,1,0] neg_lo:[0,0,1] neg_hi:[0,0,1]
	v_pk_fma_f32 v[16:17], v[24:25], v[30:31], v[16:17] op_sel:[0,0,1] op_sel_hi:[1,0,0]
	v_fmac_f32_e32 v49, v23, v154
	v_fma_f32 v48, v22, v154, -v3
	ds_read_b128 v[4:7], v2 offset:656
	ds_read_b128 v[8:11], v2 offset:672
	;; [unrolled: 1-line block ×3, first 2 shown]
	v_pk_add_f32 v[2:3], v[50:51], v[46:47]
	s_waitcnt vmcnt(13)
	v_mov_b32_e32 v16, v33
	v_pk_add_f32 v[2:3], v[2:3], v[48:49]
	v_mov_b32_e32 v19, v17
	v_pk_mul_f32 v[16:17], v[26:27], v[16:17] op_sel_hi:[1,0]
	v_pk_add_f32 v[2:3], v[2:3], v[18:19]
	s_waitcnt vmcnt(6)
	v_pk_fma_f32 v[18:19], v[26:27], v[32:33], v[16:17] op_sel:[0,0,1] op_sel_hi:[1,1,0] neg_lo:[0,0,1] neg_hi:[0,0,1]
	v_pk_fma_f32 v[16:17], v[26:27], v[32:33], v[16:17] op_sel:[0,0,1] op_sel_hi:[1,0,0]
	v_mov_b32_e32 v16, v39
	v_mov_b32_e32 v19, v17
	s_waitcnt lgkmcnt(2)
	v_pk_mul_f32 v[16:17], v[4:5], v[16:17] op_sel_hi:[1,0]
	v_pk_add_f32 v[2:3], v[2:3], v[18:19]
	v_pk_fma_f32 v[18:19], v[4:5], v[38:39], v[16:17] op_sel:[0,0,1] op_sel_hi:[1,1,0] neg_lo:[0,0,1] neg_hi:[0,0,1]
	v_pk_fma_f32 v[4:5], v[4:5], v[38:39], v[16:17] op_sel:[0,0,1] op_sel_hi:[1,0,0]
	v_mov_b32_e32 v4, v37
	v_mov_b32_e32 v19, v5
	v_pk_mul_f32 v[4:5], v[6:7], v[4:5] op_sel_hi:[1,0]
	v_pk_fma_f32 v[16:17], v[6:7], v[36:37], v[4:5] op_sel:[0,0,1] op_sel_hi:[1,1,0] neg_lo:[0,0,1] neg_hi:[0,0,1]
	v_pk_fma_f32 v[4:5], v[6:7], v[36:37], v[4:5] op_sel:[0,0,1] op_sel_hi:[1,0,0]
	v_mov_b32_e32 v4, v35
	v_mov_b32_e32 v17, v5
	s_waitcnt lgkmcnt(1)
	v_pk_mul_f32 v[4:5], v[8:9], v[4:5] op_sel_hi:[1,0]
	v_pk_fma_f32 v[6:7], v[8:9], v[34:35], v[4:5] op_sel:[0,0,1] op_sel_hi:[1,1,0] neg_lo:[0,0,1] neg_hi:[0,0,1]
	v_pk_fma_f32 v[4:5], v[8:9], v[34:35], v[4:5] op_sel:[0,0,1] op_sel_hi:[1,0,0]
	v_pk_add_f32 v[2:3], v[2:3], v[18:19]
	s_waitcnt vmcnt(1)
	v_mov_b32_e32 v4, v45
	v_pk_add_f32 v[2:3], v[2:3], v[16:17]
	v_mov_b32_e32 v7, v5
	v_pk_mul_f32 v[4:5], v[10:11], v[4:5] op_sel_hi:[1,0]
	v_pk_add_f32 v[2:3], v[2:3], v[6:7]
	s_waitcnt vmcnt(0)
	v_pk_fma_f32 v[6:7], v[10:11], v[44:45], v[4:5] op_sel:[0,0,1] op_sel_hi:[1,1,0] neg_lo:[0,0,1] neg_hi:[0,0,1]
	v_pk_fma_f32 v[4:5], v[10:11], v[44:45], v[4:5] op_sel:[0,0,1] op_sel_hi:[1,0,0]
	v_mov_b32_e32 v4, v43
	v_mov_b32_e32 v7, v5
	s_waitcnt lgkmcnt(0)
	v_pk_mul_f32 v[4:5], v[12:13], v[4:5] op_sel_hi:[1,0]
	v_pk_add_f32 v[2:3], v[2:3], v[6:7]
	v_pk_fma_f32 v[6:7], v[12:13], v[42:43], v[4:5] op_sel:[0,0,1] op_sel_hi:[1,1,0] neg_lo:[0,0,1] neg_hi:[0,0,1]
	v_pk_fma_f32 v[4:5], v[12:13], v[42:43], v[4:5] op_sel:[0,0,1] op_sel_hi:[1,0,0]
	v_mov_b32_e32 v4, v41
	v_mov_b32_e32 v7, v5
	v_pk_mul_f32 v[4:5], v[14:15], v[4:5] op_sel_hi:[1,0]
	v_pk_add_f32 v[2:3], v[2:3], v[6:7]
	v_pk_fma_f32 v[6:7], v[14:15], v[40:41], v[4:5] op_sel:[0,0,1] op_sel_hi:[1,1,0] neg_lo:[0,0,1] neg_hi:[0,0,1]
	v_pk_fma_f32 v[4:5], v[14:15], v[40:41], v[4:5] op_sel:[0,0,1] op_sel_hi:[1,0,0]
	v_mov_b32_e32 v7, v5
	v_pk_add_f32 v[2:3], v[2:3], v[6:7]
	v_pk_add_f32 v[2:3], v[28:29], v[2:3] neg_lo:[0,1] neg_hi:[0,1]
	buffer_store_dword v3, off, s[0:3], 0 offset:204
	buffer_store_dword v2, off, s[0:3], 0 offset:200
	s_and_saveexec_b64 s[4:5], vcc
	s_cbranch_execz .LBB107_229
; %bb.228:
	buffer_load_dword v2, off, s[0:3], 0 offset:192
	buffer_load_dword v3, off, s[0:3], 0 offset:196
	v_mov_b32_e32 v4, 0
	buffer_store_dword v4, off, s[0:3], 0 offset:192
	buffer_store_dword v4, off, s[0:3], 0 offset:196
	s_waitcnt vmcnt(2)
	ds_write_b64 v1, v[2:3]
.LBB107_229:
	s_or_b64 exec, exec, s[4:5]
	s_waitcnt lgkmcnt(0)
	; wave barrier
	s_waitcnt lgkmcnt(0)
	buffer_load_dword v17, off, s[0:3], 0 offset:204
	buffer_load_dword v46, off, s[0:3], 0 offset:212
	;; [unrolled: 1-line block ×40, first 2 shown]
	v_mov_b32_e32 v16, 0
	ds_read2_b64 v[2:5], v16 offset0:69 offset1:70
	ds_read2_b64 v[6:9], v16 offset0:71 offset1:72
	;; [unrolled: 1-line block ×6, first 2 shown]
	v_cmp_lt_u32_e32 vcc, 23, v0
	s_waitcnt vmcnt(39) lgkmcnt(5)
	v_mul_f32_e32 v157, v2, v17
	s_waitcnt vmcnt(38)
	v_mul_f32_e32 v158, v4, v46
	s_waitcnt vmcnt(37) lgkmcnt(4)
	v_mul_f32_e32 v159, v6, v48
	v_mul_f32_e32 v17, v3, v17
	;; [unrolled: 1-line block ×4, first 2 shown]
	s_waitcnt vmcnt(36)
	v_mul_f32_e32 v160, v8, v50
	s_waitcnt vmcnt(35) lgkmcnt(3)
	v_mul_f32_e32 v161, v10, v52
	s_waitcnt vmcnt(34)
	v_mul_f32_e32 v162, v12, v53
	s_waitcnt vmcnt(33) lgkmcnt(2)
	v_mul_f32_e32 v163, v18, v54
	s_waitcnt vmcnt(32)
	v_mul_f32_e32 v164, v20, v55
	s_waitcnt vmcnt(28)
	v_fmac_f32_e32 v157, v3, v51
	s_waitcnt vmcnt(27)
	v_fmac_f32_e32 v158, v5, v59
	v_fma_f32 v2, v2, v51, -v17
	v_fma_f32 v3, v4, v59, -v46
	s_waitcnt vmcnt(26)
	v_fma_f32 v4, v6, v60, -v48
	v_add_f32_e32 v6, 0, v157
	v_fmac_f32_e32 v159, v7, v60
	v_add_f32_e32 v2, 0, v2
	v_add_f32_e32 v6, v6, v158
	s_waitcnt vmcnt(25)
	v_fmac_f32_e32 v160, v9, v61
	v_add_f32_e32 v2, v2, v3
	v_add_f32_e32 v3, v6, v159
	s_waitcnt vmcnt(24)
	v_fmac_f32_e32 v161, v11, v62
	v_add_f32_e32 v3, v3, v160
	s_waitcnt vmcnt(23)
	v_fmac_f32_e32 v162, v13, v63
	;; [unrolled: 3-line block ×3, first 2 shown]
	v_add_f32_e32 v3, v3, v162
	s_waitcnt lgkmcnt(1)
	v_mul_f32_e32 v165, v22, v56
	s_waitcnt vmcnt(21)
	v_fmac_f32_e32 v164, v21, v65
	v_add_f32_e32 v3, v3, v163
	v_mul_f32_e32 v50, v9, v50
	s_waitcnt vmcnt(20)
	v_fmac_f32_e32 v165, v23, v154
	v_add_f32_e32 v3, v3, v164
	v_fma_f32 v5, v8, v61, -v50
	v_add_f32_e32 v2, v2, v4
	v_add_f32_e32 v51, v3, v165
	v_mul_f32_e32 v3, v11, v52
	v_add_f32_e32 v2, v2, v5
	v_fma_f32 v3, v10, v62, -v3
	v_add_f32_e32 v2, v2, v3
	v_mul_f32_e32 v3, v13, v53
	v_fma_f32 v3, v12, v63, -v3
	v_add_f32_e32 v2, v2, v3
	v_mul_f32_e32 v3, v19, v54
	;; [unrolled: 3-line block ×5, first 2 shown]
	s_waitcnt vmcnt(9)
	v_mov_b32_e32 v22, v37
	v_mul_f32_e32 v47, v24, v57
	v_fma_f32 v46, v24, v155, -v2
	s_waitcnt lgkmcnt(0)
	v_mul_f32_e32 v2, v27, v58
	v_pk_mul_f32 v[22:23], v[28:29], v[22:23] op_sel_hi:[1,0]
	v_mul_f32_e32 v49, v26, v58
	v_fmac_f32_e32 v47, v25, v155
	v_fma_f32 v48, v26, v156, -v2
	ds_read2_b64 v[2:5], v16 offset0:81 offset1:82
	ds_read2_b64 v[6:9], v16 offset0:83 offset1:84
	;; [unrolled: 1-line block ×3, first 2 shown]
	ds_read_b64 v[18:19], v16 offset:696
	s_waitcnt vmcnt(8)
	v_pk_fma_f32 v[24:25], v[28:29], v[36:37], v[22:23] op_sel:[0,0,1] op_sel_hi:[1,1,0] neg_lo:[0,0,1] neg_hi:[0,0,1]
	v_pk_fma_f32 v[22:23], v[28:29], v[36:37], v[22:23] op_sel:[0,0,1] op_sel_hi:[1,0,0]
	v_fmac_f32_e32 v49, v27, v156
	v_pk_add_f32 v[20:21], v[50:51], v[46:47]
	v_mov_b32_e32 v22, v35
	v_pk_add_f32 v[20:21], v[20:21], v[48:49]
	v_mov_b32_e32 v25, v23
	s_waitcnt lgkmcnt(3)
	v_pk_mul_f32 v[22:23], v[2:3], v[22:23] op_sel_hi:[1,0]
	v_pk_add_f32 v[20:21], v[20:21], v[24:25]
	v_pk_fma_f32 v[24:25], v[2:3], v[34:35], v[22:23] op_sel:[0,0,1] op_sel_hi:[1,1,0] neg_lo:[0,0,1] neg_hi:[0,0,1]
	v_pk_fma_f32 v[2:3], v[2:3], v[34:35], v[22:23] op_sel:[0,0,1] op_sel_hi:[1,0,0]
	v_mov_b32_e32 v25, v3
	v_pk_add_f32 v[2:3], v[20:21], v[24:25]
	v_mov_b32_e32 v20, v33
	v_pk_mul_f32 v[20:21], v[4:5], v[20:21] op_sel_hi:[1,0]
	v_pk_fma_f32 v[22:23], v[4:5], v[32:33], v[20:21] op_sel:[0,0,1] op_sel_hi:[1,1,0] neg_lo:[0,0,1] neg_hi:[0,0,1]
	v_pk_fma_f32 v[4:5], v[4:5], v[32:33], v[20:21] op_sel:[0,0,1] op_sel_hi:[1,0,0]
	v_mov_b32_e32 v4, v31
	v_mov_b32_e32 v23, v5
	s_waitcnt lgkmcnt(2)
	v_pk_mul_f32 v[4:5], v[6:7], v[4:5] op_sel_hi:[1,0]
	v_pk_fma_f32 v[20:21], v[6:7], v[30:31], v[4:5] op_sel:[0,0,1] op_sel_hi:[1,1,0] neg_lo:[0,0,1] neg_hi:[0,0,1]
	v_pk_fma_f32 v[4:5], v[6:7], v[30:31], v[4:5] op_sel:[0,0,1] op_sel_hi:[1,0,0]
	s_waitcnt vmcnt(1)
	v_mov_b32_e32 v4, v45
	v_mov_b32_e32 v21, v5
	v_pk_mul_f32 v[4:5], v[8:9], v[4:5] op_sel_hi:[1,0]
	s_waitcnt vmcnt(0)
	v_pk_fma_f32 v[6:7], v[8:9], v[44:45], v[4:5] op_sel:[0,0,1] op_sel_hi:[1,1,0] neg_lo:[0,0,1] neg_hi:[0,0,1]
	v_pk_fma_f32 v[4:5], v[8:9], v[44:45], v[4:5] op_sel:[0,0,1] op_sel_hi:[1,0,0]
	v_pk_add_f32 v[2:3], v[2:3], v[22:23]
	v_mov_b32_e32 v4, v43
	v_pk_add_f32 v[2:3], v[2:3], v[20:21]
	v_mov_b32_e32 v7, v5
	s_waitcnt lgkmcnt(1)
	v_pk_mul_f32 v[4:5], v[10:11], v[4:5] op_sel_hi:[1,0]
	v_pk_add_f32 v[2:3], v[2:3], v[6:7]
	v_pk_fma_f32 v[6:7], v[10:11], v[42:43], v[4:5] op_sel:[0,0,1] op_sel_hi:[1,1,0] neg_lo:[0,0,1] neg_hi:[0,0,1]
	v_pk_fma_f32 v[4:5], v[10:11], v[42:43], v[4:5] op_sel:[0,0,1] op_sel_hi:[1,0,0]
	v_mov_b32_e32 v4, v41
	v_mov_b32_e32 v7, v5
	v_pk_mul_f32 v[4:5], v[12:13], v[4:5] op_sel_hi:[1,0]
	v_pk_add_f32 v[2:3], v[2:3], v[6:7]
	v_pk_fma_f32 v[6:7], v[12:13], v[40:41], v[4:5] op_sel:[0,0,1] op_sel_hi:[1,1,0] neg_lo:[0,0,1] neg_hi:[0,0,1]
	v_pk_fma_f32 v[4:5], v[12:13], v[40:41], v[4:5] op_sel:[0,0,1] op_sel_hi:[1,0,0]
	v_mov_b32_e32 v4, v39
	v_mov_b32_e32 v7, v5
	s_waitcnt lgkmcnt(0)
	v_pk_mul_f32 v[4:5], v[18:19], v[4:5] op_sel_hi:[1,0]
	v_pk_add_f32 v[2:3], v[2:3], v[6:7]
	v_pk_fma_f32 v[6:7], v[18:19], v[38:39], v[4:5] op_sel:[0,0,1] op_sel_hi:[1,1,0] neg_lo:[0,0,1] neg_hi:[0,0,1]
	v_pk_fma_f32 v[4:5], v[18:19], v[38:39], v[4:5] op_sel:[0,0,1] op_sel_hi:[1,0,0]
	v_mov_b32_e32 v7, v5
	v_pk_add_f32 v[2:3], v[2:3], v[6:7]
	v_pk_add_f32 v[2:3], v[14:15], v[2:3] neg_lo:[0,1] neg_hi:[0,1]
	buffer_store_dword v3, off, s[0:3], 0 offset:196
	buffer_store_dword v2, off, s[0:3], 0 offset:192
	s_and_saveexec_b64 s[4:5], vcc
	s_cbranch_execz .LBB107_231
; %bb.230:
	buffer_load_dword v2, off, s[0:3], 0 offset:184
	buffer_load_dword v3, off, s[0:3], 0 offset:188
	s_waitcnt vmcnt(0)
	ds_write_b64 v1, v[2:3]
	buffer_store_dword v16, off, s[0:3], 0 offset:184
	buffer_store_dword v16, off, s[0:3], 0 offset:188
.LBB107_231:
	s_or_b64 exec, exec, s[4:5]
	s_waitcnt lgkmcnt(0)
	; wave barrier
	s_waitcnt lgkmcnt(0)
	ds_read_b128 v[18:21], v16 offset:544
	ds_read_b128 v[10:13], v16 offset:560
	;; [unrolled: 1-line block ×4, first 2 shown]
	buffer_load_dword v14, off, s[0:3], 0 offset:184
	buffer_load_dword v15, off, s[0:3], 0 offset:188
	;; [unrolled: 1-line block ×18, first 2 shown]
	v_cmp_lt_u32_e32 vcc, 22, v0
	s_waitcnt vmcnt(14) lgkmcnt(3)
	v_mul_f32_e32 v22, v18, v34
	v_fmac_f32_e32 v22, v19, v17
	s_waitcnt vmcnt(12)
	v_mul_f32_e32 v23, v20, v38
	v_add_f32_e32 v22, 0, v22
	v_fmac_f32_e32 v23, v21, v36
	v_add_f32_e32 v22, v22, v23
	s_waitcnt vmcnt(10) lgkmcnt(2)
	v_mul_f32_e32 v23, v10, v57
	v_fmac_f32_e32 v23, v11, v56
	v_add_f32_e32 v22, v22, v23
	s_waitcnt vmcnt(8)
	v_mul_f32_e32 v23, v12, v59
	v_fmac_f32_e32 v23, v13, v58
	v_add_f32_e32 v22, v22, v23
	s_waitcnt vmcnt(6) lgkmcnt(1)
	v_mul_f32_e32 v23, v6, v61
	v_fmac_f32_e32 v23, v7, v60
	v_add_f32_e32 v22, v22, v23
	s_waitcnt vmcnt(4)
	v_mul_f32_e32 v23, v8, v63
	;; [unrolled: 8-line block ×3, first 2 shown]
	v_fmac_f32_e32 v23, v5, v154
	v_add_f32_e32 v26, v22, v23
	ds_read_b128 v[22:25], v16 offset:608
	buffer_load_dword v156, off, s[0:3], 0 offset:256
	buffer_load_dword v157, off, s[0:3], 0 offset:260
	;; [unrolled: 1-line block ×4, first 2 shown]
	v_mul_f32_e32 v19, v19, v34
	v_fma_f32 v17, v18, v17, -v19
	v_mul_f32_e32 v18, v21, v38
	v_add_f32_e32 v17, 0, v17
	v_fma_f32 v18, v20, v36, -v18
	v_mul_f32_e32 v11, v11, v57
	v_add_f32_e32 v17, v17, v18
	;; [unrolled: 3-line block ×7, first 2 shown]
	v_fma_f32 v3, v4, v154, -v3
	v_add_f32_e32 v2, v2, v3
	s_waitcnt vmcnt(2) lgkmcnt(0)
	v_mul_f32_e32 v27, v22, v157
	v_fmac_f32_e32 v27, v23, v156
	v_add_f32_e32 v26, v26, v27
	s_waitcnt vmcnt(0)
	v_mul_f32_e32 v27, v24, v159
	v_fmac_f32_e32 v27, v25, v158
	v_add_f32_e32 v35, v26, v27
	ds_read_b128 v[26:29], v16 offset:624
	buffer_load_dword v160, off, s[0:3], 0 offset:272
	buffer_load_dword v161, off, s[0:3], 0 offset:276
	;; [unrolled: 1-line block ×6, first 2 shown]
	ds_read_b128 v[30:33], v16 offset:640
	buffer_load_dword v43, off, s[0:3], 0 offset:300
	buffer_load_dword v42, off, s[0:3], 0 offset:296
	;; [unrolled: 1-line block ×14, first 2 shown]
	v_mul_f32_e32 v3, v23, v157
	v_fma_f32 v3, v22, v156, -v3
	v_add_f32_e32 v2, v2, v3
	v_mul_f32_e32 v3, v25, v159
	v_fma_f32 v3, v24, v158, -v3
	v_add_f32_e32 v34, v2, v3
	s_waitcnt vmcnt(18) lgkmcnt(1)
	v_mul_f32_e32 v37, v26, v161
	s_waitcnt vmcnt(15)
	v_mov_b32_e32 v18, v41
	v_mul_f32_e32 v2, v27, v161
	s_waitcnt lgkmcnt(0)
	v_pk_mul_f32 v[18:19], v[30:31], v[18:19] op_sel_hi:[1,0]
	v_fmac_f32_e32 v37, v27, v160
	v_mul_f32_e32 v39, v28, v163
	v_fma_f32 v36, v26, v160, -v2
	v_mul_f32_e32 v2, v29, v163
	s_waitcnt vmcnt(14)
	v_pk_fma_f32 v[20:21], v[30:31], v[40:41], v[18:19] op_sel:[0,0,1] op_sel_hi:[1,1,0] neg_lo:[0,0,1] neg_hi:[0,0,1]
	v_pk_fma_f32 v[18:19], v[30:31], v[40:41], v[18:19] op_sel:[0,0,1] op_sel_hi:[1,0,0]
	v_fmac_f32_e32 v39, v29, v162
	v_fma_f32 v38, v28, v162, -v2
	ds_read_b128 v[2:5], v16 offset:656
	ds_read_b128 v[6:9], v16 offset:672
	;; [unrolled: 1-line block ×3, first 2 shown]
	v_pk_add_f32 v[16:17], v[34:35], v[36:37]
	s_waitcnt vmcnt(13)
	v_mov_b32_e32 v18, v43
	v_pk_add_f32 v[16:17], v[16:17], v[38:39]
	v_mov_b32_e32 v21, v19
	v_pk_mul_f32 v[18:19], v[32:33], v[18:19] op_sel_hi:[1,0]
	v_pk_add_f32 v[16:17], v[16:17], v[20:21]
	s_waitcnt vmcnt(12)
	v_pk_fma_f32 v[20:21], v[32:33], v[42:43], v[18:19] op_sel:[0,0,1] op_sel_hi:[1,1,0] neg_lo:[0,0,1] neg_hi:[0,0,1]
	v_pk_fma_f32 v[18:19], v[32:33], v[42:43], v[18:19] op_sel:[0,0,1] op_sel_hi:[1,0,0]
	s_waitcnt vmcnt(11)
	v_mov_b32_e32 v18, v45
	v_mov_b32_e32 v21, v19
	s_waitcnt lgkmcnt(2)
	v_pk_mul_f32 v[18:19], v[2:3], v[18:19] op_sel_hi:[1,0]
	v_pk_add_f32 v[16:17], v[16:17], v[20:21]
	s_waitcnt vmcnt(10)
	v_pk_fma_f32 v[20:21], v[2:3], v[44:45], v[18:19] op_sel:[0,0,1] op_sel_hi:[1,1,0] neg_lo:[0,0,1] neg_hi:[0,0,1]
	v_pk_fma_f32 v[2:3], v[2:3], v[44:45], v[18:19] op_sel:[0,0,1] op_sel_hi:[1,0,0]
	v_mov_b32_e32 v21, v3
	v_pk_add_f32 v[2:3], v[16:17], v[20:21]
	s_waitcnt vmcnt(9)
	v_mov_b32_e32 v16, v47
	v_pk_mul_f32 v[16:17], v[4:5], v[16:17] op_sel_hi:[1,0]
	s_waitcnt vmcnt(8)
	v_pk_fma_f32 v[18:19], v[4:5], v[46:47], v[16:17] op_sel:[0,0,1] op_sel_hi:[1,1,0] neg_lo:[0,0,1] neg_hi:[0,0,1]
	v_pk_fma_f32 v[4:5], v[4:5], v[46:47], v[16:17] op_sel:[0,0,1] op_sel_hi:[1,0,0]
	s_waitcnt vmcnt(7)
	v_mov_b32_e32 v4, v49
	v_mov_b32_e32 v19, v5
	s_waitcnt lgkmcnt(1)
	v_pk_mul_f32 v[4:5], v[6:7], v[4:5] op_sel_hi:[1,0]
	s_waitcnt vmcnt(6)
	v_pk_fma_f32 v[16:17], v[6:7], v[48:49], v[4:5] op_sel:[0,0,1] op_sel_hi:[1,1,0] neg_lo:[0,0,1] neg_hi:[0,0,1]
	v_pk_fma_f32 v[4:5], v[6:7], v[48:49], v[4:5] op_sel:[0,0,1] op_sel_hi:[1,0,0]
	s_waitcnt vmcnt(5)
	v_mov_b32_e32 v4, v51
	v_mov_b32_e32 v17, v5
	v_pk_mul_f32 v[4:5], v[8:9], v[4:5] op_sel_hi:[1,0]
	s_waitcnt vmcnt(4)
	v_pk_fma_f32 v[6:7], v[8:9], v[50:51], v[4:5] op_sel:[0,0,1] op_sel_hi:[1,1,0] neg_lo:[0,0,1] neg_hi:[0,0,1]
	v_pk_fma_f32 v[4:5], v[8:9], v[50:51], v[4:5] op_sel:[0,0,1] op_sel_hi:[1,0,0]
	v_pk_add_f32 v[2:3], v[2:3], v[18:19]
	s_waitcnt vmcnt(3)
	v_mov_b32_e32 v4, v53
	v_pk_add_f32 v[2:3], v[2:3], v[16:17]
	v_mov_b32_e32 v7, v5
	s_waitcnt lgkmcnt(0)
	v_pk_mul_f32 v[4:5], v[10:11], v[4:5] op_sel_hi:[1,0]
	v_pk_add_f32 v[2:3], v[2:3], v[6:7]
	s_waitcnt vmcnt(2)
	v_pk_fma_f32 v[6:7], v[10:11], v[52:53], v[4:5] op_sel:[0,0,1] op_sel_hi:[1,1,0] neg_lo:[0,0,1] neg_hi:[0,0,1]
	v_pk_fma_f32 v[4:5], v[10:11], v[52:53], v[4:5] op_sel:[0,0,1] op_sel_hi:[1,0,0]
	s_waitcnt vmcnt(1)
	v_mov_b32_e32 v4, v55
	v_mov_b32_e32 v7, v5
	v_pk_mul_f32 v[4:5], v[12:13], v[4:5] op_sel_hi:[1,0]
	v_pk_add_f32 v[2:3], v[2:3], v[6:7]
	s_waitcnt vmcnt(0)
	v_pk_fma_f32 v[6:7], v[12:13], v[54:55], v[4:5] op_sel:[0,0,1] op_sel_hi:[1,1,0] neg_lo:[0,0,1] neg_hi:[0,0,1]
	v_pk_fma_f32 v[4:5], v[12:13], v[54:55], v[4:5] op_sel:[0,0,1] op_sel_hi:[1,0,0]
	v_mov_b32_e32 v7, v5
	v_pk_add_f32 v[2:3], v[2:3], v[6:7]
	v_pk_add_f32 v[2:3], v[14:15], v[2:3] neg_lo:[0,1] neg_hi:[0,1]
	buffer_store_dword v3, off, s[0:3], 0 offset:188
	buffer_store_dword v2, off, s[0:3], 0 offset:184
	s_and_saveexec_b64 s[4:5], vcc
	s_cbranch_execz .LBB107_233
; %bb.232:
	buffer_load_dword v2, off, s[0:3], 0 offset:176
	buffer_load_dword v3, off, s[0:3], 0 offset:180
	v_mov_b32_e32 v4, 0
	buffer_store_dword v4, off, s[0:3], 0 offset:176
	buffer_store_dword v4, off, s[0:3], 0 offset:180
	s_waitcnt vmcnt(2)
	ds_write_b64 v1, v[2:3]
.LBB107_233:
	s_or_b64 exec, exec, s[4:5]
	v_mov_b32_e32 v12, 0
	s_waitcnt lgkmcnt(0)
	; wave barrier
	s_waitcnt lgkmcnt(0)
	ds_read2_b64 v[14:17], v12 offset0:67 offset1:68
	buffer_load_dword v6, off, s[0:3], 0 offset:176
	buffer_load_dword v7, off, s[0:3], 0 offset:180
	;; [unrolled: 1-line block ×16, first 2 shown]
	ds_read2_b64 v[18:21], v12 offset0:69 offset1:70
	ds_read2_b64 v[22:25], v12 offset0:71 offset1:72
	;; [unrolled: 1-line block ×3, first 2 shown]
	buffer_load_dword v154, off, s[0:3], 0 offset:240
	buffer_load_dword v155, off, s[0:3], 0 offset:244
	ds_read2_b64 v[30:33], v12 offset0:75 offset1:76
	buffer_load_dword v156, off, s[0:3], 0 offset:248
	buffer_load_dword v157, off, s[0:3], 0 offset:252
	;; [unrolled: 1-line block ×4, first 2 shown]
	ds_read2_b64 v[34:37], v12 offset0:77 offset1:78
	buffer_load_dword v160, off, s[0:3], 0 offset:264
	buffer_load_dword v161, off, s[0:3], 0 offset:268
	;; [unrolled: 1-line block ×4, first 2 shown]
	v_cmp_lt_u32_e32 vcc, 21, v0
	s_waitcnt vmcnt(22) lgkmcnt(5)
	v_mul_f32_e32 v2, v14, v10
	v_fmac_f32_e32 v2, v15, v8
	s_waitcnt vmcnt(20)
	v_mul_f32_e32 v3, v16, v38
	v_add_f32_e32 v2, 0, v2
	v_fmac_f32_e32 v3, v17, v13
	v_add_f32_e32 v2, v2, v3
	s_waitcnt vmcnt(18) lgkmcnt(4)
	v_mul_f32_e32 v3, v18, v57
	v_fmac_f32_e32 v3, v19, v56
	v_add_f32_e32 v2, v2, v3
	s_waitcnt vmcnt(16)
	v_mul_f32_e32 v3, v20, v59
	v_fmac_f32_e32 v3, v21, v58
	v_add_f32_e32 v2, v2, v3
	s_waitcnt vmcnt(14) lgkmcnt(3)
	v_mul_f32_e32 v3, v22, v61
	v_fmac_f32_e32 v3, v23, v60
	v_add_f32_e32 v2, v2, v3
	s_waitcnt vmcnt(12)
	v_mul_f32_e32 v3, v24, v63
	;; [unrolled: 8-line block ×4, first 2 shown]
	v_fmac_f32_e32 v3, v33, v158
	v_add_f32_e32 v2, v2, v3
	s_waitcnt vmcnt(2) lgkmcnt(0)
	v_mul_f32_e32 v3, v34, v161
	v_fmac_f32_e32 v3, v35, v160
	v_add_f32_e32 v9, v2, v3
	ds_read2_b64 v[2:5], v12 offset0:79 offset1:80
	buffer_load_dword v164, off, s[0:3], 0 offset:280
	buffer_load_dword v165, off, s[0:3], 0 offset:284
	;; [unrolled: 1-line block ×18, first 2 shown]
	v_mul_f32_e32 v10, v15, v10
	v_fma_f32 v8, v14, v8, -v10
	v_mul_f32_e32 v10, v17, v38
	v_add_f32_e32 v8, 0, v8
	v_fma_f32 v10, v16, v13, -v10
	v_add_f32_e32 v8, v8, v10
	v_mul_f32_e32 v10, v19, v57
	v_fma_f32 v10, v18, v56, -v10
	v_add_f32_e32 v8, v8, v10
	v_mul_f32_e32 v10, v21, v59
	;; [unrolled: 3-line block ×9, first 2 shown]
	v_fma_f32 v10, v34, v160, -v10
	s_waitcnt vmcnt(18)
	v_mul_f32_e32 v11, v36, v163
	v_add_f32_e32 v8, v8, v10
	v_mul_f32_e32 v10, v37, v163
	v_fmac_f32_e32 v11, v37, v162
	v_fma_f32 v10, v36, v162, -v10
	v_pk_add_f32 v[8:9], v[8:9], v[10:11]
	s_waitcnt vmcnt(15)
	v_mov_b32_e32 v10, v41
	s_waitcnt lgkmcnt(0)
	v_pk_mul_f32 v[10:11], v[4:5], v[10:11] op_sel_hi:[1,0]
	s_waitcnt vmcnt(14)
	v_pk_fma_f32 v[26:27], v[4:5], v[40:41], v[10:11] op_sel:[0,0,1] op_sel_hi:[1,1,0] neg_lo:[0,0,1] neg_hi:[0,0,1]
	v_pk_fma_f32 v[4:5], v[4:5], v[40:41], v[10:11] op_sel:[0,0,1] op_sel_hi:[1,0,0]
	v_mov_b32_e32 v27, v5
	v_mul_f32_e32 v39, v2, v165
	v_fmac_f32_e32 v39, v3, v164
	v_mul_f32_e32 v3, v3, v165
	v_fma_f32 v38, v2, v164, -v3
	ds_read2_b64 v[14:17], v12 offset0:81 offset1:82
	ds_read2_b64 v[18:21], v12 offset0:83 offset1:84
	;; [unrolled: 1-line block ×3, first 2 shown]
	ds_read_b64 v[2:3], v12 offset:696
	v_pk_add_f32 v[8:9], v[8:9], v[38:39]
	v_pk_add_f32 v[4:5], v[8:9], v[26:27]
	s_waitcnt vmcnt(13)
	v_mov_b32_e32 v8, v43
	s_waitcnt lgkmcnt(3)
	v_pk_mul_f32 v[8:9], v[14:15], v[8:9] op_sel_hi:[1,0]
	s_waitcnt vmcnt(12)
	v_pk_fma_f32 v[10:11], v[14:15], v[42:43], v[8:9] op_sel:[0,0,1] op_sel_hi:[1,1,0] neg_lo:[0,0,1] neg_hi:[0,0,1]
	v_pk_fma_f32 v[8:9], v[14:15], v[42:43], v[8:9] op_sel:[0,0,1] op_sel_hi:[1,0,0]
	s_waitcnt vmcnt(11)
	v_mov_b32_e32 v8, v45
	v_mov_b32_e32 v11, v9
	v_pk_mul_f32 v[8:9], v[16:17], v[8:9] op_sel_hi:[1,0]
	v_pk_add_f32 v[4:5], v[4:5], v[10:11]
	s_waitcnt vmcnt(10)
	v_pk_fma_f32 v[10:11], v[16:17], v[44:45], v[8:9] op_sel:[0,0,1] op_sel_hi:[1,1,0] neg_lo:[0,0,1] neg_hi:[0,0,1]
	v_pk_fma_f32 v[8:9], v[16:17], v[44:45], v[8:9] op_sel:[0,0,1] op_sel_hi:[1,0,0]
	s_waitcnt vmcnt(9)
	v_mov_b32_e32 v8, v47
	v_mov_b32_e32 v11, v9
	s_waitcnt lgkmcnt(2)
	v_pk_mul_f32 v[8:9], v[18:19], v[8:9] op_sel_hi:[1,0]
	v_pk_add_f32 v[4:5], v[4:5], v[10:11]
	s_waitcnt vmcnt(8)
	v_pk_fma_f32 v[10:11], v[18:19], v[46:47], v[8:9] op_sel:[0,0,1] op_sel_hi:[1,1,0] neg_lo:[0,0,1] neg_hi:[0,0,1]
	v_pk_fma_f32 v[8:9], v[18:19], v[46:47], v[8:9] op_sel:[0,0,1] op_sel_hi:[1,0,0]
	s_waitcnt vmcnt(7)
	v_mov_b32_e32 v8, v49
	v_mov_b32_e32 v11, v9
	v_pk_mul_f32 v[8:9], v[20:21], v[8:9] op_sel_hi:[1,0]
	v_pk_add_f32 v[4:5], v[4:5], v[10:11]
	s_waitcnt vmcnt(6)
	v_pk_fma_f32 v[10:11], v[20:21], v[48:49], v[8:9] op_sel:[0,0,1] op_sel_hi:[1,1,0] neg_lo:[0,0,1] neg_hi:[0,0,1]
	v_pk_fma_f32 v[8:9], v[20:21], v[48:49], v[8:9] op_sel:[0,0,1] op_sel_hi:[1,0,0]
	s_waitcnt vmcnt(5)
	v_mov_b32_e32 v8, v51
	v_mov_b32_e32 v11, v9
	s_waitcnt lgkmcnt(1)
	v_pk_mul_f32 v[8:9], v[22:23], v[8:9] op_sel_hi:[1,0]
	v_pk_add_f32 v[4:5], v[4:5], v[10:11]
	;; [unrolled: 17-line block ×3, first 2 shown]
	s_waitcnt vmcnt(0)
	v_pk_fma_f32 v[10:11], v[2:3], v[54:55], v[8:9] op_sel:[0,0,1] op_sel_hi:[1,1,0] neg_lo:[0,0,1] neg_hi:[0,0,1]
	v_pk_fma_f32 v[2:3], v[2:3], v[54:55], v[8:9] op_sel:[0,0,1] op_sel_hi:[1,0,0]
	v_mov_b32_e32 v11, v3
	v_pk_add_f32 v[2:3], v[4:5], v[10:11]
	v_pk_add_f32 v[2:3], v[6:7], v[2:3] neg_lo:[0,1] neg_hi:[0,1]
	buffer_store_dword v3, off, s[0:3], 0 offset:180
	buffer_store_dword v2, off, s[0:3], 0 offset:176
	s_and_saveexec_b64 s[4:5], vcc
	s_cbranch_execz .LBB107_235
; %bb.234:
	buffer_load_dword v2, off, s[0:3], 0 offset:168
	buffer_load_dword v3, off, s[0:3], 0 offset:172
	s_waitcnt vmcnt(0)
	ds_write_b64 v1, v[2:3]
	buffer_store_dword v12, off, s[0:3], 0 offset:168
	buffer_store_dword v12, off, s[0:3], 0 offset:172
.LBB107_235:
	s_or_b64 exec, exec, s[4:5]
	s_waitcnt lgkmcnt(0)
	; wave barrier
	s_waitcnt lgkmcnt(0)
	buffer_load_dword v10, off, s[0:3], 0 offset:180
	buffer_load_dword v11, off, s[0:3], 0 offset:188
	;; [unrolled: 1-line block ×30, first 2 shown]
	ds_read_b128 v[2:5], v12 offset:528
	ds_read_b128 v[6:9], v12 offset:544
	;; [unrolled: 1-line block ×6, first 2 shown]
	buffer_load_dword v41, off, s[0:3], 0 offset:292
	buffer_load_dword v40, off, s[0:3], 0 offset:288
	ds_read_b128 v[30:33], v12 offset:624
	ds_read_b128 v[34:37], v12 offset:640
	buffer_load_dword v43, off, s[0:3], 0 offset:324
	buffer_load_dword v42, off, s[0:3], 0 offset:320
	;; [unrolled: 1-line block ×14, first 2 shown]
	v_cmp_lt_u32_e32 vcc, 20, v0
	s_waitcnt vmcnt(45) lgkmcnt(7)
	v_mul_f32_e32 v59, v2, v10
	s_waitcnt vmcnt(44)
	v_mul_f32_e32 v61, v4, v11
	s_waitcnt vmcnt(43) lgkmcnt(6)
	v_mul_f32_e32 v172, v6, v13
	s_waitcnt vmcnt(42)
	v_mul_f32_e32 v173, v8, v56
	s_waitcnt vmcnt(41) lgkmcnt(5)
	v_mul_f32_e32 v174, v14, v58
	s_waitcnt vmcnt(40)
	v_mul_f32_e32 v175, v16, v60
	s_waitcnt vmcnt(39) lgkmcnt(4)
	v_mul_f32_e32 v176, v18, v62
	s_waitcnt vmcnt(38)
	v_mul_f32_e32 v177, v20, v63
	s_waitcnt vmcnt(37) lgkmcnt(3)
	v_mul_f32_e32 v178, v22, v64
	s_waitcnt vmcnt(36)
	v_mul_f32_e32 v179, v24, v65
	s_waitcnt vmcnt(35) lgkmcnt(2)
	v_mul_f32_e32 v180, v26, v154
	s_waitcnt vmcnt(34)
	v_mul_f32_e32 v181, v28, v155
	s_waitcnt vmcnt(33) lgkmcnt(1)
	v_mul_f32_e32 v57, v30, v156
	s_waitcnt vmcnt(32)
	v_fmac_f32_e32 v59, v3, v157
	v_mul_f32_e32 v3, v3, v10
	v_fma_f32 v2, v2, v157, -v3
	v_mul_f32_e32 v3, v5, v11
	v_add_f32_e32 v2, 0, v2
	s_waitcnt vmcnt(31)
	v_fma_f32 v3, v4, v158, -v3
	v_add_f32_e32 v2, v2, v3
	v_mul_f32_e32 v3, v7, v13
	s_waitcnt vmcnt(30)
	v_fma_f32 v3, v6, v159, -v3
	v_add_f32_e32 v2, v2, v3
	v_mul_f32_e32 v3, v9, v56
	;; [unrolled: 4-line block ×5, first 2 shown]
	s_waitcnt vmcnt(26)
	v_fma_f32 v3, v18, v163, -v3
	v_fmac_f32_e32 v61, v5, v158
	v_add_f32_e32 v59, 0, v59
	v_add_f32_e32 v2, v2, v3
	v_mul_f32_e32 v3, v21, v63
	v_fmac_f32_e32 v172, v7, v159
	v_add_f32_e32 v59, v59, v61
	s_waitcnt vmcnt(25)
	v_fma_f32 v3, v20, v164, -v3
	v_fmac_f32_e32 v173, v9, v160
	v_add_f32_e32 v59, v59, v172
	v_add_f32_e32 v2, v2, v3
	v_mul_f32_e32 v3, v23, v64
	v_fmac_f32_e32 v174, v15, v161
	v_add_f32_e32 v59, v59, v173
	;; [unrolled: 8-line block ×5, first 2 shown]
	s_waitcnt vmcnt(21)
	v_fma_f32 v3, v28, v168, -v3
	s_waitcnt vmcnt(15)
	v_mov_b32_e32 v16, v41
	v_fmac_f32_e32 v181, v29, v168
	v_add_f32_e32 v59, v59, v180
	v_add_f32_e32 v58, v2, v3
	v_mul_f32_e32 v2, v31, v156
	s_waitcnt lgkmcnt(0)
	v_pk_mul_f32 v[16:17], v[34:35], v[16:17] op_sel_hi:[1,0]
	v_fmac_f32_e32 v57, v31, v169
	v_add_f32_e32 v59, v59, v181
	v_mul_f32_e32 v61, v32, v170
	v_fma_f32 v56, v30, v169, -v2
	v_mul_f32_e32 v2, v33, v170
	s_waitcnt vmcnt(14)
	v_pk_fma_f32 v[18:19], v[34:35], v[40:41], v[16:17] op_sel:[0,0,1] op_sel_hi:[1,1,0] neg_lo:[0,0,1] neg_hi:[0,0,1]
	v_pk_fma_f32 v[16:17], v[34:35], v[40:41], v[16:17] op_sel:[0,0,1] op_sel_hi:[1,0,0]
	v_fmac_f32_e32 v61, v33, v171
	v_fma_f32 v60, v32, v171, -v2
	v_pk_add_f32 v[14:15], v[58:59], v[56:57]
	s_waitcnt vmcnt(7)
	v_mov_b32_e32 v16, v49
	ds_read_b128 v[2:5], v12 offset:656
	ds_read_b128 v[6:9], v12 offset:672
	;; [unrolled: 1-line block ×3, first 2 shown]
	v_pk_add_f32 v[14:15], v[14:15], v[60:61]
	v_mov_b32_e32 v19, v17
	v_pk_mul_f32 v[16:17], v[36:37], v[16:17] op_sel_hi:[1,0]
	v_pk_add_f32 v[14:15], v[14:15], v[18:19]
	s_waitcnt vmcnt(6)
	v_pk_fma_f32 v[18:19], v[36:37], v[48:49], v[16:17] op_sel:[0,0,1] op_sel_hi:[1,1,0] neg_lo:[0,0,1] neg_hi:[0,0,1]
	v_pk_fma_f32 v[16:17], v[36:37], v[48:49], v[16:17] op_sel:[0,0,1] op_sel_hi:[1,0,0]
	v_mov_b32_e32 v16, v47
	v_mov_b32_e32 v19, v17
	s_waitcnt lgkmcnt(2)
	v_pk_mul_f32 v[16:17], v[2:3], v[16:17] op_sel_hi:[1,0]
	v_pk_add_f32 v[14:15], v[14:15], v[18:19]
	v_pk_fma_f32 v[18:19], v[2:3], v[46:47], v[16:17] op_sel:[0,0,1] op_sel_hi:[1,1,0] neg_lo:[0,0,1] neg_hi:[0,0,1]
	v_pk_fma_f32 v[2:3], v[2:3], v[46:47], v[16:17] op_sel:[0,0,1] op_sel_hi:[1,0,0]
	v_mov_b32_e32 v19, v3
	v_pk_add_f32 v[2:3], v[14:15], v[18:19]
	v_mov_b32_e32 v14, v45
	v_pk_mul_f32 v[14:15], v[4:5], v[14:15] op_sel_hi:[1,0]
	v_pk_fma_f32 v[16:17], v[4:5], v[44:45], v[14:15] op_sel:[0,0,1] op_sel_hi:[1,1,0] neg_lo:[0,0,1] neg_hi:[0,0,1]
	v_pk_fma_f32 v[4:5], v[4:5], v[44:45], v[14:15] op_sel:[0,0,1] op_sel_hi:[1,0,0]
	v_mov_b32_e32 v4, v43
	v_mov_b32_e32 v17, v5
	s_waitcnt lgkmcnt(1)
	v_pk_mul_f32 v[4:5], v[6:7], v[4:5] op_sel_hi:[1,0]
	v_pk_fma_f32 v[14:15], v[6:7], v[42:43], v[4:5] op_sel:[0,0,1] op_sel_hi:[1,1,0] neg_lo:[0,0,1] neg_hi:[0,0,1]
	v_pk_fma_f32 v[4:5], v[6:7], v[42:43], v[4:5] op_sel:[0,0,1] op_sel_hi:[1,0,0]
	s_waitcnt vmcnt(1)
	v_mov_b32_e32 v4, v55
	v_mov_b32_e32 v15, v5
	v_pk_mul_f32 v[4:5], v[8:9], v[4:5] op_sel_hi:[1,0]
	s_waitcnt vmcnt(0)
	v_pk_fma_f32 v[6:7], v[8:9], v[54:55], v[4:5] op_sel:[0,0,1] op_sel_hi:[1,1,0] neg_lo:[0,0,1] neg_hi:[0,0,1]
	v_pk_fma_f32 v[4:5], v[8:9], v[54:55], v[4:5] op_sel:[0,0,1] op_sel_hi:[1,0,0]
	v_pk_add_f32 v[2:3], v[2:3], v[16:17]
	v_mov_b32_e32 v4, v53
	v_pk_add_f32 v[2:3], v[2:3], v[14:15]
	v_mov_b32_e32 v7, v5
	s_waitcnt lgkmcnt(0)
	v_pk_mul_f32 v[4:5], v[10:11], v[4:5] op_sel_hi:[1,0]
	v_pk_add_f32 v[2:3], v[2:3], v[6:7]
	v_pk_fma_f32 v[6:7], v[10:11], v[52:53], v[4:5] op_sel:[0,0,1] op_sel_hi:[1,1,0] neg_lo:[0,0,1] neg_hi:[0,0,1]
	v_pk_fma_f32 v[4:5], v[10:11], v[52:53], v[4:5] op_sel:[0,0,1] op_sel_hi:[1,0,0]
	v_mov_b32_e32 v4, v51
	v_mov_b32_e32 v7, v5
	v_pk_mul_f32 v[4:5], v[12:13], v[4:5] op_sel_hi:[1,0]
	v_pk_add_f32 v[2:3], v[2:3], v[6:7]
	v_pk_fma_f32 v[6:7], v[12:13], v[50:51], v[4:5] op_sel:[0,0,1] op_sel_hi:[1,1,0] neg_lo:[0,0,1] neg_hi:[0,0,1]
	v_pk_fma_f32 v[4:5], v[12:13], v[50:51], v[4:5] op_sel:[0,0,1] op_sel_hi:[1,0,0]
	v_mov_b32_e32 v7, v5
	v_pk_add_f32 v[2:3], v[2:3], v[6:7]
	v_pk_add_f32 v[2:3], v[38:39], v[2:3] neg_lo:[0,1] neg_hi:[0,1]
	buffer_store_dword v3, off, s[0:3], 0 offset:172
	buffer_store_dword v2, off, s[0:3], 0 offset:168
	s_and_saveexec_b64 s[4:5], vcc
	s_cbranch_execz .LBB107_237
; %bb.236:
	buffer_load_dword v2, off, s[0:3], 0 offset:160
	buffer_load_dword v3, off, s[0:3], 0 offset:164
	v_mov_b32_e32 v4, 0
	buffer_store_dword v4, off, s[0:3], 0 offset:160
	buffer_store_dword v4, off, s[0:3], 0 offset:164
	s_waitcnt vmcnt(2)
	ds_write_b64 v1, v[2:3]
.LBB107_237:
	s_or_b64 exec, exec, s[4:5]
	s_waitcnt lgkmcnt(0)
	; wave barrier
	s_waitcnt lgkmcnt(0)
	buffer_load_dword v3, off, s[0:3], 0 offset:172
	buffer_load_dword v52, off, s[0:3], 0 offset:180
	;; [unrolled: 1-line block ×32, first 2 shown]
	v_mov_b32_e32 v2, 0
	buffer_load_dword v39, off, s[0:3], 0 offset:316
	buffer_load_dword v38, off, s[0:3], 0 offset:312
	;; [unrolled: 1-line block ×13, first 2 shown]
	ds_read2_b64 v[4:7], v2 offset0:65 offset1:66
	ds_read2_b64 v[8:11], v2 offset0:67 offset1:68
	;; [unrolled: 1-line block ×8, first 2 shown]
	v_cmp_lt_u32_e32 vcc, 19, v0
	s_waitcnt vmcnt(44) lgkmcnt(7)
	v_mul_f32_e32 v46, v4, v3
	s_waitcnt vmcnt(43)
	v_mul_f32_e32 v53, v6, v52
	s_waitcnt vmcnt(42) lgkmcnt(6)
	v_mul_f32_e32 v54, v8, v56
	s_waitcnt vmcnt(41)
	v_mul_f32_e32 v55, v10, v58
	;; [unrolled: 4-line block ×6, first 2 shown]
	s_waitcnt vmcnt(32) lgkmcnt(1)
	v_mul_f32_e32 v180, v28, v156
	s_waitcnt vmcnt(31)
	v_fmac_f32_e32 v46, v5, v157
	s_waitcnt vmcnt(30)
	v_fmac_f32_e32 v53, v7, v158
	v_add_f32_e32 v46, 0, v46
	s_waitcnt vmcnt(29)
	v_fmac_f32_e32 v54, v9, v159
	v_add_f32_e32 v46, v46, v53
	;; [unrolled: 3-line block ×12, first 2 shown]
	v_add_f32_e32 v53, v46, v180
	buffer_load_dword v55, off, s[0:3], 0 offset:332
	buffer_load_dword v54, off, s[0:3], 0 offset:328
	;; [unrolled: 1-line block ×3, first 2 shown]
	v_mul_f32_e32 v3, v5, v3
	v_fma_f32 v3, v4, v157, -v3
	v_mul_f32_e32 v4, v7, v52
	v_add_f32_e32 v3, 0, v3
	v_fma_f32 v4, v6, v158, -v4
	v_add_f32_e32 v3, v3, v4
	v_mul_f32_e32 v4, v9, v56
	v_fma_f32 v4, v8, v159, -v4
	v_add_f32_e32 v3, v3, v4
	v_mul_f32_e32 v4, v11, v58
	;; [unrolled: 3-line block ×11, first 2 shown]
	v_fma_f32 v4, v28, v169, -v4
	s_waitcnt vmcnt(9)
	v_mov_b32_e32 v20, v45
	v_mul_f32_e32 v57, v30, v170
	v_add_f32_e32 v52, v3, v4
	v_mul_f32_e32 v3, v31, v170
	s_waitcnt lgkmcnt(0)
	v_pk_mul_f32 v[20:21], v[34:35], v[20:21] op_sel_hi:[1,0]
	v_fmac_f32_e32 v57, v31, v171
	v_mul_f32_e32 v59, v32, v172
	v_fma_f32 v56, v30, v171, -v3
	v_mul_f32_e32 v3, v33, v172
	ds_read2_b64 v[4:7], v2 offset0:81 offset1:82
	ds_read2_b64 v[8:11], v2 offset0:83 offset1:84
	;; [unrolled: 1-line block ×3, first 2 shown]
	ds_read_b64 v[16:17], v2 offset:696
	s_waitcnt vmcnt(8)
	v_pk_fma_f32 v[22:23], v[34:35], v[44:45], v[20:21] op_sel:[0,0,1] op_sel_hi:[1,1,0] neg_lo:[0,0,1] neg_hi:[0,0,1]
	v_pk_fma_f32 v[20:21], v[34:35], v[44:45], v[20:21] op_sel:[0,0,1] op_sel_hi:[1,0,0]
	v_fmac_f32_e32 v59, v33, v173
	v_fma_f32 v58, v32, v173, -v3
	v_pk_add_f32 v[18:19], v[52:53], v[56:57]
	v_mov_b32_e32 v20, v43
	v_pk_add_f32 v[18:19], v[18:19], v[58:59]
	v_mov_b32_e32 v23, v21
	s_waitcnt lgkmcnt(3)
	v_pk_mul_f32 v[20:21], v[4:5], v[20:21] op_sel_hi:[1,0]
	v_pk_add_f32 v[18:19], v[18:19], v[22:23]
	v_pk_fma_f32 v[22:23], v[4:5], v[42:43], v[20:21] op_sel:[0,0,1] op_sel_hi:[1,1,0] neg_lo:[0,0,1] neg_hi:[0,0,1]
	v_pk_fma_f32 v[4:5], v[4:5], v[42:43], v[20:21] op_sel:[0,0,1] op_sel_hi:[1,0,0]
	v_mov_b32_e32 v23, v5
	v_pk_add_f32 v[4:5], v[18:19], v[22:23]
	v_mov_b32_e32 v18, v41
	v_pk_mul_f32 v[18:19], v[6:7], v[18:19] op_sel_hi:[1,0]
	v_pk_fma_f32 v[20:21], v[6:7], v[40:41], v[18:19] op_sel:[0,0,1] op_sel_hi:[1,1,0] neg_lo:[0,0,1] neg_hi:[0,0,1]
	v_pk_fma_f32 v[6:7], v[6:7], v[40:41], v[18:19] op_sel:[0,0,1] op_sel_hi:[1,0,0]
	v_mov_b32_e32 v6, v39
	v_mov_b32_e32 v21, v7
	s_waitcnt lgkmcnt(2)
	v_pk_mul_f32 v[6:7], v[8:9], v[6:7] op_sel_hi:[1,0]
	v_pk_fma_f32 v[18:19], v[8:9], v[38:39], v[6:7] op_sel:[0,0,1] op_sel_hi:[1,1,0] neg_lo:[0,0,1] neg_hi:[0,0,1]
	v_pk_fma_f32 v[6:7], v[8:9], v[38:39], v[6:7] op_sel:[0,0,1] op_sel_hi:[1,0,0]
	s_waitcnt vmcnt(7)
	v_mov_b32_e32 v6, v47
	v_mov_b32_e32 v19, v7
	v_pk_mul_f32 v[6:7], v[10:11], v[6:7] op_sel_hi:[1,0]
	v_pk_add_f32 v[4:5], v[4:5], v[20:21]
	v_pk_add_f32 v[4:5], v[4:5], v[18:19]
	s_waitcnt vmcnt(0)
	v_pk_fma_f32 v[8:9], v[10:11], v[46:47], v[6:7] op_sel:[0,0,1] op_sel_hi:[1,1,0] neg_lo:[0,0,1] neg_hi:[0,0,1]
	v_pk_fma_f32 v[6:7], v[10:11], v[46:47], v[6:7] op_sel:[0,0,1] op_sel_hi:[1,0,0]
	v_mov_b32_e32 v6, v55
	v_mov_b32_e32 v9, v7
	s_waitcnt lgkmcnt(1)
	v_pk_mul_f32 v[6:7], v[12:13], v[6:7] op_sel_hi:[1,0]
	v_pk_add_f32 v[4:5], v[4:5], v[8:9]
	v_pk_fma_f32 v[8:9], v[12:13], v[54:55], v[6:7] op_sel:[0,0,1] op_sel_hi:[1,1,0] neg_lo:[0,0,1] neg_hi:[0,0,1]
	v_pk_fma_f32 v[6:7], v[12:13], v[54:55], v[6:7] op_sel:[0,0,1] op_sel_hi:[1,0,0]
	v_mov_b32_e32 v6, v51
	v_mov_b32_e32 v9, v7
	v_pk_mul_f32 v[6:7], v[14:15], v[6:7] op_sel_hi:[1,0]
	v_pk_add_f32 v[4:5], v[4:5], v[8:9]
	v_pk_fma_f32 v[8:9], v[14:15], v[50:51], v[6:7] op_sel:[0,0,1] op_sel_hi:[1,1,0] neg_lo:[0,0,1] neg_hi:[0,0,1]
	v_pk_fma_f32 v[6:7], v[14:15], v[50:51], v[6:7] op_sel:[0,0,1] op_sel_hi:[1,0,0]
	v_mov_b32_e32 v6, v49
	v_mov_b32_e32 v9, v7
	s_waitcnt lgkmcnt(0)
	v_pk_mul_f32 v[6:7], v[16:17], v[6:7] op_sel_hi:[1,0]
	v_pk_add_f32 v[4:5], v[4:5], v[8:9]
	v_pk_fma_f32 v[8:9], v[16:17], v[48:49], v[6:7] op_sel:[0,0,1] op_sel_hi:[1,1,0] neg_lo:[0,0,1] neg_hi:[0,0,1]
	v_pk_fma_f32 v[6:7], v[16:17], v[48:49], v[6:7] op_sel:[0,0,1] op_sel_hi:[1,0,0]
	v_mov_b32_e32 v9, v7
	v_pk_add_f32 v[4:5], v[4:5], v[8:9]
	v_pk_add_f32 v[4:5], v[36:37], v[4:5] neg_lo:[0,1] neg_hi:[0,1]
	buffer_store_dword v5, off, s[0:3], 0 offset:164
	buffer_store_dword v4, off, s[0:3], 0 offset:160
	s_and_saveexec_b64 s[4:5], vcc
	s_cbranch_execz .LBB107_239
; %bb.238:
	buffer_load_dword v4, off, s[0:3], 0 offset:152
	buffer_load_dword v5, off, s[0:3], 0 offset:156
	s_waitcnt vmcnt(0)
	ds_write_b64 v1, v[4:5]
	buffer_store_dword v2, off, s[0:3], 0 offset:152
	buffer_store_dword v2, off, s[0:3], 0 offset:156
.LBB107_239:
	s_or_b64 exec, exec, s[4:5]
	s_waitcnt lgkmcnt(0)
	; wave barrier
	s_waitcnt lgkmcnt(0)
	buffer_load_dword v3, off, s[0:3], 0 offset:164
	buffer_load_dword v52, off, s[0:3], 0 offset:172
	;; [unrolled: 1-line block ×34, first 2 shown]
	ds_read_b128 v[4:7], v2 offset:512
	ds_read_b128 v[8:11], v2 offset:528
	;; [unrolled: 1-line block ×8, first 2 shown]
	buffer_load_dword v39, off, s[0:3], 0 offset:308
	buffer_load_dword v38, off, s[0:3], 0 offset:304
	;; [unrolled: 1-line block ×9, first 2 shown]
	v_cmp_lt_u32_e32 vcc, 18, v0
	s_waitcnt vmcnt(42) lgkmcnt(7)
	v_mul_f32_e32 v44, v4, v3
	s_waitcnt vmcnt(41)
	v_mul_f32_e32 v48, v6, v52
	s_waitcnt vmcnt(40) lgkmcnt(6)
	v_mul_f32_e32 v49, v8, v54
	s_waitcnt vmcnt(39)
	v_mul_f32_e32 v50, v10, v56
	;; [unrolled: 4-line block ×6, first 2 shown]
	s_waitcnt vmcnt(30) lgkmcnt(1)
	v_mul_f32_e32 v178, v28, v156
	v_mul_f32_e32 v3, v5, v3
	s_waitcnt vmcnt(28)
	v_fmac_f32_e32 v44, v5, v158
	s_waitcnt vmcnt(27)
	v_fmac_f32_e32 v48, v7, v159
	v_add_f32_e32 v44, 0, v44
	s_waitcnt vmcnt(26)
	v_fmac_f32_e32 v49, v9, v160
	v_add_f32_e32 v44, v44, v48
	;; [unrolled: 3-line block ×12, first 2 shown]
	v_add_f32_e32 v53, v44, v178
	buffer_load_dword v49, off, s[0:3], 0 offset:332
	buffer_load_dword v48, off, s[0:3], 0 offset:328
	buffer_load_dword v51, off, s[0:3], 0 offset:324
	buffer_load_dword v50, off, s[0:3], 0 offset:320
	buffer_load_dword v44, off, s[0:3], 0 offset:312
	buffer_load_dword v59, off, s[0:3], 0 offset:348
	buffer_load_dword v58, off, s[0:3], 0 offset:344
	v_fma_f32 v3, v4, v158, -v3
	v_mul_f32_e32 v4, v7, v52
	v_add_f32_e32 v3, 0, v3
	v_fma_f32 v4, v6, v159, -v4
	v_add_f32_e32 v3, v3, v4
	v_mul_f32_e32 v4, v9, v54
	v_fma_f32 v4, v8, v160, -v4
	v_add_f32_e32 v3, v3, v4
	v_mul_f32_e32 v4, v11, v56
	;; [unrolled: 3-line block ×12, first 2 shown]
	s_waitcnt vmcnt(22)
	v_fma_f32 v4, v30, v171, -v4
	v_add_f32_e32 v52, v3, v4
	ds_read_b128 v[4:7], v2 offset:640
	ds_read_b128 v[8:11], v2 offset:656
	;; [unrolled: 1-line block ×4, first 2 shown]
	s_waitcnt vmcnt(11)
	v_mov_b32_e32 v20, v43
	s_waitcnt lgkmcnt(3)
	v_pk_mul_f32 v[20:21], v[4:5], v[20:21] op_sel_hi:[1,0]
	s_waitcnt vmcnt(10)
	v_pk_fma_f32 v[22:23], v[4:5], v[42:43], v[20:21] op_sel:[0,0,1] op_sel_hi:[1,1,0] neg_lo:[0,0,1] neg_hi:[0,0,1]
	v_pk_fma_f32 v[4:5], v[4:5], v[42:43], v[20:21] op_sel:[0,0,1] op_sel_hi:[1,0,0]
	v_mov_b32_e32 v4, v41
	v_mul_f32_e32 v179, v30, v157
	v_mov_b32_e32 v23, v5
	v_pk_mul_f32 v[4:5], v[6:7], v[4:5] op_sel_hi:[1,0]
	v_fmac_f32_e32 v179, v31, v171
	v_mul_f32_e32 v55, v32, v172
	v_mul_f32_e32 v3, v33, v172
	v_pk_fma_f32 v[20:21], v[6:7], v[40:41], v[4:5] op_sel:[0,0,1] op_sel_hi:[1,1,0] neg_lo:[0,0,1] neg_hi:[0,0,1]
	v_pk_fma_f32 v[4:5], v[6:7], v[40:41], v[4:5] op_sel:[0,0,1] op_sel_hi:[1,0,0]
	v_add_f32_e32 v53, v53, v179
	v_fmac_f32_e32 v55, v33, v173
	v_mul_f32_e32 v57, v34, v174
	v_fma_f32 v54, v32, v173, -v3
	v_mul_f32_e32 v3, v35, v174
	v_mov_b32_e32 v4, v39
	v_fmac_f32_e32 v57, v35, v175
	v_fma_f32 v56, v34, v175, -v3
	v_pk_add_f32 v[2:3], v[52:53], v[54:55]
	v_mov_b32_e32 v21, v5
	s_waitcnt lgkmcnt(2)
	v_pk_mul_f32 v[4:5], v[8:9], v[4:5] op_sel_hi:[1,0]
	v_pk_add_f32 v[2:3], v[2:3], v[56:57]
	v_pk_fma_f32 v[6:7], v[8:9], v[38:39], v[4:5] op_sel:[0,0,1] op_sel_hi:[1,1,0] neg_lo:[0,0,1] neg_hi:[0,0,1]
	v_pk_fma_f32 v[4:5], v[8:9], v[38:39], v[4:5] op_sel:[0,0,1] op_sel_hi:[1,0,0]
	v_pk_add_f32 v[2:3], v[2:3], v[22:23]
	s_waitcnt vmcnt(9)
	v_mov_b32_e32 v4, v45
	v_pk_add_f32 v[2:3], v[2:3], v[20:21]
	v_mov_b32_e32 v7, v5
	v_pk_mul_f32 v[4:5], v[10:11], v[4:5] op_sel_hi:[1,0]
	v_pk_add_f32 v[2:3], v[2:3], v[6:7]
	s_waitcnt vmcnt(2)
	v_pk_fma_f32 v[6:7], v[10:11], v[44:45], v[4:5] op_sel:[0,0,1] op_sel_hi:[1,1,0] neg_lo:[0,0,1] neg_hi:[0,0,1]
	v_pk_fma_f32 v[4:5], v[10:11], v[44:45], v[4:5] op_sel:[0,0,1] op_sel_hi:[1,0,0]
	v_mov_b32_e32 v4, v51
	v_mov_b32_e32 v7, v5
	s_waitcnt lgkmcnt(1)
	v_pk_mul_f32 v[4:5], v[12:13], v[4:5] op_sel_hi:[1,0]
	v_pk_add_f32 v[2:3], v[2:3], v[6:7]
	v_pk_fma_f32 v[6:7], v[12:13], v[50:51], v[4:5] op_sel:[0,0,1] op_sel_hi:[1,1,0] neg_lo:[0,0,1] neg_hi:[0,0,1]
	v_pk_fma_f32 v[4:5], v[12:13], v[50:51], v[4:5] op_sel:[0,0,1] op_sel_hi:[1,0,0]
	v_mov_b32_e32 v4, v49
	v_mov_b32_e32 v7, v5
	v_pk_mul_f32 v[4:5], v[14:15], v[4:5] op_sel_hi:[1,0]
	v_pk_add_f32 v[2:3], v[2:3], v[6:7]
	v_pk_fma_f32 v[6:7], v[14:15], v[48:49], v[4:5] op_sel:[0,0,1] op_sel_hi:[1,1,0] neg_lo:[0,0,1] neg_hi:[0,0,1]
	v_pk_fma_f32 v[4:5], v[14:15], v[48:49], v[4:5] op_sel:[0,0,1] op_sel_hi:[1,0,0]
	v_mov_b32_e32 v4, v47
	v_mov_b32_e32 v7, v5
	s_waitcnt lgkmcnt(0)
	v_pk_mul_f32 v[4:5], v[16:17], v[4:5] op_sel_hi:[1,0]
	v_pk_add_f32 v[2:3], v[2:3], v[6:7]
	v_pk_fma_f32 v[6:7], v[16:17], v[46:47], v[4:5] op_sel:[0,0,1] op_sel_hi:[1,1,0] neg_lo:[0,0,1] neg_hi:[0,0,1]
	v_pk_fma_f32 v[4:5], v[16:17], v[46:47], v[4:5] op_sel:[0,0,1] op_sel_hi:[1,0,0]
	s_waitcnt vmcnt(1)
	v_mov_b32_e32 v4, v59
	v_mov_b32_e32 v7, v5
	v_pk_mul_f32 v[4:5], v[18:19], v[4:5] op_sel_hi:[1,0]
	v_pk_add_f32 v[2:3], v[2:3], v[6:7]
	s_waitcnt vmcnt(0)
	v_pk_fma_f32 v[6:7], v[18:19], v[58:59], v[4:5] op_sel:[0,0,1] op_sel_hi:[1,1,0] neg_lo:[0,0,1] neg_hi:[0,0,1]
	v_pk_fma_f32 v[4:5], v[18:19], v[58:59], v[4:5] op_sel:[0,0,1] op_sel_hi:[1,0,0]
	v_mov_b32_e32 v7, v5
	v_pk_add_f32 v[2:3], v[2:3], v[6:7]
	v_pk_add_f32 v[2:3], v[36:37], v[2:3] neg_lo:[0,1] neg_hi:[0,1]
	buffer_store_dword v3, off, s[0:3], 0 offset:156
	buffer_store_dword v2, off, s[0:3], 0 offset:152
	s_and_saveexec_b64 s[4:5], vcc
	s_cbranch_execz .LBB107_241
; %bb.240:
	buffer_load_dword v2, off, s[0:3], 0 offset:144
	buffer_load_dword v3, off, s[0:3], 0 offset:148
	v_mov_b32_e32 v4, 0
	buffer_store_dword v4, off, s[0:3], 0 offset:144
	buffer_store_dword v4, off, s[0:3], 0 offset:148
	s_waitcnt vmcnt(2)
	ds_write_b64 v1, v[2:3]
.LBB107_241:
	s_or_b64 exec, exec, s[4:5]
	s_waitcnt lgkmcnt(0)
	; wave barrier
	s_waitcnt lgkmcnt(0)
	buffer_load_dword v5, off, s[0:3], 0 offset:156
	buffer_load_dword v58, off, s[0:3], 0 offset:164
	buffer_load_dword v60, off, s[0:3], 0 offset:172
	buffer_load_dword v62, off, s[0:3], 0 offset:180
	buffer_load_dword v156, off, s[0:3], 0 offset:188
	buffer_load_dword v157, off, s[0:3], 0 offset:196
	buffer_load_dword v158, off, s[0:3], 0 offset:204
	buffer_load_dword v159, off, s[0:3], 0 offset:212
	buffer_load_dword v160, off, s[0:3], 0 offset:220
	buffer_load_dword v161, off, s[0:3], 0 offset:228
	buffer_load_dword v162, off, s[0:3], 0 offset:236
	buffer_load_dword v163, off, s[0:3], 0 offset:244
	buffer_load_dword v164, off, s[0:3], 0 offset:252
	buffer_load_dword v165, off, s[0:3], 0 offset:260
	buffer_load_dword v166, off, s[0:3], 0 offset:268
	buffer_load_dword v167, off, s[0:3], 0 offset:152
	buffer_load_dword v168, off, s[0:3], 0 offset:160
	buffer_load_dword v169, off, s[0:3], 0 offset:168
	buffer_load_dword v170, off, s[0:3], 0 offset:176
	buffer_load_dword v171, off, s[0:3], 0 offset:184
	buffer_load_dword v172, off, s[0:3], 0 offset:192
	buffer_load_dword v173, off, s[0:3], 0 offset:200
	buffer_load_dword v174, off, s[0:3], 0 offset:208
	buffer_load_dword v175, off, s[0:3], 0 offset:216
	buffer_load_dword v176, off, s[0:3], 0 offset:224
	buffer_load_dword v177, off, s[0:3], 0 offset:232
	buffer_load_dword v178, off, s[0:3], 0 offset:240
	buffer_load_dword v179, off, s[0:3], 0 offset:248
	buffer_load_dword v180, off, s[0:3], 0 offset:256
	buffer_load_dword v181, off, s[0:3], 0 offset:264
	buffer_load_dword v182, off, s[0:3], 0 offset:276
	buffer_load_dword v183, off, s[0:3], 0 offset:272
	buffer_load_dword v184, off, s[0:3], 0 offset:284
	buffer_load_dword v185, off, s[0:3], 0 offset:280
	buffer_load_dword v2, off, s[0:3], 0 offset:144
	buffer_load_dword v3, off, s[0:3], 0 offset:148
	v_mov_b32_e32 v4, 0
	buffer_load_dword v47, off, s[0:3], 0 offset:300
	buffer_load_dword v46, off, s[0:3], 0 offset:296
	;; [unrolled: 1-line block ×5, first 2 shown]
	ds_read2_b64 v[6:9], v4 offset0:63 offset1:64
	ds_read2_b64 v[10:13], v4 offset0:65 offset1:66
	;; [unrolled: 1-line block ×8, first 2 shown]
	v_cmp_lt_u32_e32 vcc, 17, v0
	s_waitcnt vmcnt(40) lgkmcnt(7)
	v_mul_f32_e32 v38, v6, v5
	s_waitcnt vmcnt(39)
	v_mul_f32_e32 v39, v8, v58
	s_waitcnt vmcnt(38) lgkmcnt(6)
	v_mul_f32_e32 v40, v10, v60
	s_waitcnt vmcnt(37)
	v_mul_f32_e32 v41, v12, v62
	;; [unrolled: 4-line block ×7, first 2 shown]
	s_waitcnt vmcnt(26) lgkmcnt(0)
	v_mul_f32_e32 v59, v34, v166
	s_waitcnt vmcnt(25)
	v_fmac_f32_e32 v38, v7, v167
	s_waitcnt vmcnt(24)
	v_fmac_f32_e32 v39, v9, v168
	v_add_f32_e32 v38, 0, v38
	s_waitcnt vmcnt(23)
	v_fmac_f32_e32 v40, v11, v169
	v_add_f32_e32 v38, v38, v39
	;; [unrolled: 3-line block ×13, first 2 shown]
	v_add_f32_e32 v42, v38, v56
	buffer_load_dword v53, off, s[0:3], 0 offset:332
	buffer_load_dword v52, off, s[0:3], 0 offset:328
	;; [unrolled: 1-line block ×7, first 2 shown]
	s_waitcnt vmcnt(18)
	v_fmac_f32_e32 v59, v35, v181
	ds_read2_b64 v[38:41], v4 offset0:79 offset1:80
	v_add_f32_e32 v59, v42, v59
	ds_read2_b64 v[42:45], v4 offset0:81 offset1:82
	buffer_load_dword v65, off, s[0:3], 0 offset:348
	buffer_load_dword v64, off, s[0:3], 0 offset:344
	;; [unrolled: 1-line block ×4, first 2 shown]
	v_mul_f32_e32 v5, v7, v5
	v_fma_f32 v5, v6, v167, -v5
	v_mul_f32_e32 v6, v9, v58
	v_add_f32_e32 v5, 0, v5
	v_fma_f32 v6, v8, v168, -v6
	v_add_f32_e32 v5, v5, v6
	v_mul_f32_e32 v6, v11, v60
	v_fma_f32 v6, v10, v169, -v6
	v_add_f32_e32 v5, v5, v6
	v_mul_f32_e32 v6, v13, v62
	;; [unrolled: 3-line block ×13, first 2 shown]
	v_fma_f32 v6, v34, v181, -v6
	s_waitcnt vmcnt(13)
	v_mov_b32_e32 v18, v49
	v_mul_f32_e32 v61, v36, v182
	v_add_f32_e32 v58, v5, v6
	v_mul_f32_e32 v5, v37, v182
	s_waitcnt lgkmcnt(1)
	v_pk_mul_f32 v[18:19], v[40:41], v[18:19] op_sel_hi:[1,0]
	v_fmac_f32_e32 v61, v37, v183
	v_mul_f32_e32 v63, v38, v184
	v_fma_f32 v60, v36, v183, -v5
	v_mul_f32_e32 v5, v39, v184
	s_waitcnt vmcnt(12)
	v_pk_fma_f32 v[20:21], v[40:41], v[48:49], v[18:19] op_sel:[0,0,1] op_sel_hi:[1,1,0] neg_lo:[0,0,1] neg_hi:[0,0,1]
	v_pk_fma_f32 v[18:19], v[40:41], v[48:49], v[18:19] op_sel:[0,0,1] op_sel_hi:[1,0,0]
	v_fmac_f32_e32 v63, v39, v185
	v_fma_f32 v62, v38, v185, -v5
	v_pk_add_f32 v[16:17], v[58:59], v[60:61]
	v_mov_b32_e32 v18, v47
	v_pk_add_f32 v[16:17], v[16:17], v[62:63]
	v_mov_b32_e32 v21, v19
	s_waitcnt lgkmcnt(0)
	v_pk_mul_f32 v[18:19], v[42:43], v[18:19] op_sel_hi:[1,0]
	v_pk_add_f32 v[16:17], v[16:17], v[20:21]
	v_pk_fma_f32 v[20:21], v[42:43], v[46:47], v[18:19] op_sel:[0,0,1] op_sel_hi:[1,1,0] neg_lo:[0,0,1] neg_hi:[0,0,1]
	v_pk_fma_f32 v[18:19], v[42:43], v[46:47], v[18:19] op_sel:[0,0,1] op_sel_hi:[1,0,0]
	s_waitcnt vmcnt(11)
	v_mov_b32_e32 v18, v51
	ds_read2_b64 v[6:9], v4 offset0:83 offset1:84
	ds_read2_b64 v[10:13], v4 offset0:85 offset1:86
	ds_read_b64 v[14:15], v4 offset:696
	v_mov_b32_e32 v21, v19
	v_pk_mul_f32 v[18:19], v[44:45], v[18:19] op_sel_hi:[1,0]
	v_pk_add_f32 v[16:17], v[16:17], v[20:21]
	s_waitcnt vmcnt(4)
	v_pk_fma_f32 v[20:21], v[44:45], v[50:51], v[18:19] op_sel:[0,0,1] op_sel_hi:[1,1,0] neg_lo:[0,0,1] neg_hi:[0,0,1]
	v_pk_fma_f32 v[18:19], v[44:45], v[50:51], v[18:19] op_sel:[0,0,1] op_sel_hi:[1,0,0]
	v_mov_b32_e32 v18, v57
	v_mov_b32_e32 v21, v19
	s_waitcnt lgkmcnt(2)
	v_pk_mul_f32 v[18:19], v[6:7], v[18:19] op_sel_hi:[1,0]
	v_pk_add_f32 v[16:17], v[16:17], v[20:21]
	v_pk_fma_f32 v[20:21], v[6:7], v[56:57], v[18:19] op_sel:[0,0,1] op_sel_hi:[1,1,0] neg_lo:[0,0,1] neg_hi:[0,0,1]
	v_pk_fma_f32 v[6:7], v[6:7], v[56:57], v[18:19] op_sel:[0,0,1] op_sel_hi:[1,0,0]
	v_mov_b32_e32 v21, v7
	v_pk_add_f32 v[6:7], v[16:17], v[20:21]
	v_mov_b32_e32 v16, v55
	v_pk_mul_f32 v[16:17], v[8:9], v[16:17] op_sel_hi:[1,0]
	v_pk_fma_f32 v[18:19], v[8:9], v[54:55], v[16:17] op_sel:[0,0,1] op_sel_hi:[1,1,0] neg_lo:[0,0,1] neg_hi:[0,0,1]
	v_pk_fma_f32 v[8:9], v[8:9], v[54:55], v[16:17] op_sel:[0,0,1] op_sel_hi:[1,0,0]
	v_mov_b32_e32 v8, v53
	v_mov_b32_e32 v19, v9
	s_waitcnt lgkmcnt(1)
	v_pk_mul_f32 v[8:9], v[10:11], v[8:9] op_sel_hi:[1,0]
	v_pk_fma_f32 v[16:17], v[10:11], v[52:53], v[8:9] op_sel:[0,0,1] op_sel_hi:[1,1,0] neg_lo:[0,0,1] neg_hi:[0,0,1]
	v_pk_fma_f32 v[8:9], v[10:11], v[52:53], v[8:9] op_sel:[0,0,1] op_sel_hi:[1,0,0]
	s_waitcnt vmcnt(1)
	v_mov_b32_e32 v8, v155
	v_mov_b32_e32 v17, v9
	v_pk_mul_f32 v[8:9], v[12:13], v[8:9] op_sel_hi:[1,0]
	s_waitcnt vmcnt(0)
	v_pk_fma_f32 v[10:11], v[12:13], v[154:155], v[8:9] op_sel:[0,0,1] op_sel_hi:[1,1,0] neg_lo:[0,0,1] neg_hi:[0,0,1]
	v_pk_fma_f32 v[8:9], v[12:13], v[154:155], v[8:9] op_sel:[0,0,1] op_sel_hi:[1,0,0]
	v_pk_add_f32 v[6:7], v[6:7], v[18:19]
	v_mov_b32_e32 v8, v65
	v_pk_add_f32 v[6:7], v[6:7], v[16:17]
	v_mov_b32_e32 v11, v9
	s_waitcnt lgkmcnt(0)
	v_pk_mul_f32 v[8:9], v[14:15], v[8:9] op_sel_hi:[1,0]
	v_pk_add_f32 v[6:7], v[6:7], v[10:11]
	v_pk_fma_f32 v[10:11], v[14:15], v[64:65], v[8:9] op_sel:[0,0,1] op_sel_hi:[1,1,0] neg_lo:[0,0,1] neg_hi:[0,0,1]
	v_pk_fma_f32 v[8:9], v[14:15], v[64:65], v[8:9] op_sel:[0,0,1] op_sel_hi:[1,0,0]
	v_mov_b32_e32 v11, v9
	v_pk_add_f32 v[6:7], v[6:7], v[10:11]
	v_pk_add_f32 v[2:3], v[2:3], v[6:7] neg_lo:[0,1] neg_hi:[0,1]
	buffer_store_dword v3, off, s[0:3], 0 offset:148
	buffer_store_dword v2, off, s[0:3], 0 offset:144
	s_and_saveexec_b64 s[4:5], vcc
	s_cbranch_execz .LBB107_243
; %bb.242:
	buffer_load_dword v2, off, s[0:3], 0 offset:136
	buffer_load_dword v3, off, s[0:3], 0 offset:140
	s_waitcnt vmcnt(0)
	ds_write_b64 v1, v[2:3]
	buffer_store_dword v4, off, s[0:3], 0 offset:136
	buffer_store_dword v4, off, s[0:3], 0 offset:140
.LBB107_243:
	s_or_b64 exec, exec, s[4:5]
	s_waitcnt lgkmcnt(0)
	; wave barrier
	s_waitcnt lgkmcnt(0)
	buffer_load_dword v2, off, s[0:3], 0 offset:148
	buffer_load_dword v3, off, s[0:3], 0 offset:156
	;; [unrolled: 1-line block ×38, first 2 shown]
	ds_read_b128 v[6:9], v4 offset:496
	ds_read_b128 v[10:13], v4 offset:512
	;; [unrolled: 1-line block ×8, first 2 shown]
	buffer_load_dword v49, off, s[0:3], 0 offset:292
	buffer_load_dword v48, off, s[0:3], 0 offset:288
	buffer_load_dword v51, off, s[0:3], 0 offset:324
	buffer_load_dword v50, off, s[0:3], 0 offset:320
	v_cmp_lt_u32_e32 vcc, 16, v0
	s_waitcnt vmcnt(41) lgkmcnt(7)
	v_mul_f32_e32 v38, v6, v2
	s_waitcnt vmcnt(40)
	v_mul_f32_e32 v39, v8, v3
	s_waitcnt vmcnt(39) lgkmcnt(6)
	v_mul_f32_e32 v40, v10, v5
	s_waitcnt vmcnt(38)
	v_mul_f32_e32 v41, v12, v58
	;; [unrolled: 4-line block ×7, first 2 shown]
	s_waitcnt vmcnt(27) lgkmcnt(0)
	v_mul_f32_e32 v59, v34, v166
	s_waitcnt vmcnt(26)
	v_fmac_f32_e32 v38, v7, v167
	s_waitcnt vmcnt(25)
	v_fmac_f32_e32 v39, v9, v168
	v_add_f32_e32 v38, 0, v38
	s_waitcnt vmcnt(24)
	v_fmac_f32_e32 v40, v11, v169
	v_add_f32_e32 v38, v38, v39
	;; [unrolled: 3-line block ×13, first 2 shown]
	v_add_f32_e32 v38, v38, v57
	buffer_load_dword v53, off, s[0:3], 0 offset:316
	buffer_load_dword v52, off, s[0:3], 0 offset:312
	buffer_load_dword v55, off, s[0:3], 0 offset:308
	buffer_load_dword v54, off, s[0:3], 0 offset:304
	buffer_load_dword v57, off, s[0:3], 0 offset:300
	buffer_load_dword v56, off, s[0:3], 0 offset:296
	s_waitcnt vmcnt(18)
	v_fmac_f32_e32 v59, v35, v181
	s_waitcnt vmcnt(17)
	v_mul_f32_e32 v43, v36, v182
	v_add_f32_e32 v42, v38, v59
	s_waitcnt vmcnt(16)
	v_fmac_f32_e32 v43, v37, v183
	ds_read_b128 v[38:41], v4 offset:624
	v_add_f32_e32 v59, v42, v43
	ds_read_b128 v[42:45], v4 offset:640
	buffer_load_dword v65, off, s[0:3], 0 offset:348
	buffer_load_dword v64, off, s[0:3], 0 offset:344
	;; [unrolled: 1-line block ×6, first 2 shown]
	v_mul_f32_e32 v2, v7, v2
	v_fma_f32 v2, v6, v167, -v2
	v_mul_f32_e32 v3, v9, v3
	v_add_f32_e32 v2, 0, v2
	v_fma_f32 v3, v8, v168, -v3
	v_add_f32_e32 v2, v2, v3
	v_mul_f32_e32 v3, v11, v5
	v_fma_f32 v3, v10, v169, -v3
	v_add_f32_e32 v2, v2, v3
	v_mul_f32_e32 v3, v13, v58
	;; [unrolled: 3-line block ×14, first 2 shown]
	v_fma_f32 v3, v36, v183, -v3
	s_waitcnt vmcnt(15)
	v_mov_b32_e32 v16, v49
	s_waitcnt lgkmcnt(1)
	v_mul_f32_e32 v61, v38, v184
	v_add_f32_e32 v58, v2, v3
	v_mul_f32_e32 v2, v39, v184
	s_waitcnt lgkmcnt(0)
	v_pk_mul_f32 v[16:17], v[42:43], v[16:17] op_sel_hi:[1,0]
	v_fmac_f32_e32 v61, v39, v185
	v_mul_f32_e32 v63, v40, v186
	v_fma_f32 v60, v38, v185, -v2
	v_mul_f32_e32 v2, v41, v186
	s_waitcnt vmcnt(14)
	v_pk_fma_f32 v[18:19], v[42:43], v[48:49], v[16:17] op_sel:[0,0,1] op_sel_hi:[1,1,0] neg_lo:[0,0,1] neg_hi:[0,0,1]
	v_pk_fma_f32 v[16:17], v[42:43], v[48:49], v[16:17] op_sel:[0,0,1] op_sel_hi:[1,0,0]
	v_fmac_f32_e32 v63, v41, v187
	v_fma_f32 v62, v40, v187, -v2
	v_pk_add_f32 v[14:15], v[58:59], v[60:61]
	ds_read_b128 v[6:9], v4 offset:656
	ds_read_b128 v[10:13], v4 offset:672
	;; [unrolled: 1-line block ×3, first 2 shown]
	v_pk_add_f32 v[14:15], v[14:15], v[62:63]
	v_mov_b32_e32 v19, v17
	v_pk_add_f32 v[14:15], v[14:15], v[18:19]
	s_waitcnt vmcnt(7)
	v_mov_b32_e32 v16, v57
	v_pk_mul_f32 v[16:17], v[44:45], v[16:17] op_sel_hi:[1,0]
	s_waitcnt vmcnt(6)
	v_pk_fma_f32 v[18:19], v[44:45], v[56:57], v[16:17] op_sel:[0,0,1] op_sel_hi:[1,1,0] neg_lo:[0,0,1] neg_hi:[0,0,1]
	v_pk_fma_f32 v[16:17], v[44:45], v[56:57], v[16:17] op_sel:[0,0,1] op_sel_hi:[1,0,0]
	v_mov_b32_e32 v16, v55
	v_mov_b32_e32 v19, v17
	s_waitcnt lgkmcnt(2)
	v_pk_mul_f32 v[16:17], v[6:7], v[16:17] op_sel_hi:[1,0]
	v_pk_add_f32 v[14:15], v[14:15], v[18:19]
	v_pk_fma_f32 v[18:19], v[6:7], v[54:55], v[16:17] op_sel:[0,0,1] op_sel_hi:[1,1,0] neg_lo:[0,0,1] neg_hi:[0,0,1]
	v_pk_fma_f32 v[6:7], v[6:7], v[54:55], v[16:17] op_sel:[0,0,1] op_sel_hi:[1,0,0]
	v_mov_b32_e32 v19, v7
	v_pk_add_f32 v[6:7], v[14:15], v[18:19]
	v_mov_b32_e32 v14, v53
	v_pk_mul_f32 v[14:15], v[8:9], v[14:15] op_sel_hi:[1,0]
	v_pk_fma_f32 v[16:17], v[8:9], v[52:53], v[14:15] op_sel:[0,0,1] op_sel_hi:[1,1,0] neg_lo:[0,0,1] neg_hi:[0,0,1]
	v_pk_fma_f32 v[8:9], v[8:9], v[52:53], v[14:15] op_sel:[0,0,1] op_sel_hi:[1,0,0]
	v_mov_b32_e32 v8, v51
	v_mov_b32_e32 v17, v9
	s_waitcnt lgkmcnt(1)
	v_pk_mul_f32 v[8:9], v[10:11], v[8:9] op_sel_hi:[1,0]
	v_pk_fma_f32 v[14:15], v[10:11], v[50:51], v[8:9] op_sel:[0,0,1] op_sel_hi:[1,1,0] neg_lo:[0,0,1] neg_hi:[0,0,1]
	v_pk_fma_f32 v[8:9], v[10:11], v[50:51], v[8:9] op_sel:[0,0,1] op_sel_hi:[1,0,0]
	s_waitcnt vmcnt(1)
	v_mov_b32_e32 v8, v157
	v_mov_b32_e32 v15, v9
	v_pk_mul_f32 v[8:9], v[12:13], v[8:9] op_sel_hi:[1,0]
	s_waitcnt vmcnt(0)
	v_pk_fma_f32 v[10:11], v[12:13], v[156:157], v[8:9] op_sel:[0,0,1] op_sel_hi:[1,1,0] neg_lo:[0,0,1] neg_hi:[0,0,1]
	v_pk_fma_f32 v[8:9], v[12:13], v[156:157], v[8:9] op_sel:[0,0,1] op_sel_hi:[1,0,0]
	v_pk_add_f32 v[6:7], v[6:7], v[16:17]
	v_mov_b32_e32 v8, v155
	v_pk_add_f32 v[6:7], v[6:7], v[14:15]
	v_mov_b32_e32 v11, v9
	s_waitcnt lgkmcnt(0)
	v_pk_mul_f32 v[8:9], v[2:3], v[8:9] op_sel_hi:[1,0]
	v_pk_add_f32 v[6:7], v[6:7], v[10:11]
	v_pk_fma_f32 v[10:11], v[2:3], v[154:155], v[8:9] op_sel:[0,0,1] op_sel_hi:[1,1,0] neg_lo:[0,0,1] neg_hi:[0,0,1]
	v_pk_fma_f32 v[2:3], v[2:3], v[154:155], v[8:9] op_sel:[0,0,1] op_sel_hi:[1,0,0]
	v_mov_b32_e32 v11, v3
	v_pk_add_f32 v[2:3], v[6:7], v[10:11]
	v_mov_b32_e32 v6, v65
	v_pk_mul_f32 v[6:7], v[4:5], v[6:7] op_sel_hi:[1,0]
	v_pk_fma_f32 v[8:9], v[4:5], v[64:65], v[6:7] op_sel:[0,0,1] op_sel_hi:[1,1,0] neg_lo:[0,0,1] neg_hi:[0,0,1]
	v_pk_fma_f32 v[4:5], v[4:5], v[64:65], v[6:7] op_sel:[0,0,1] op_sel_hi:[1,0,0]
	v_mov_b32_e32 v9, v5
	v_pk_add_f32 v[2:3], v[2:3], v[8:9]
	v_pk_add_f32 v[2:3], v[46:47], v[2:3] neg_lo:[0,1] neg_hi:[0,1]
	buffer_store_dword v3, off, s[0:3], 0 offset:140
	buffer_store_dword v2, off, s[0:3], 0 offset:136
	s_and_saveexec_b64 s[4:5], vcc
	s_cbranch_execz .LBB107_245
; %bb.244:
	buffer_load_dword v2, off, s[0:3], 0 offset:128
	buffer_load_dword v3, off, s[0:3], 0 offset:132
	v_mov_b32_e32 v4, 0
	buffer_store_dword v4, off, s[0:3], 0 offset:128
	buffer_store_dword v4, off, s[0:3], 0 offset:132
	s_waitcnt vmcnt(2)
	ds_write_b64 v1, v[2:3]
.LBB107_245:
	s_or_b64 exec, exec, s[4:5]
	s_waitcnt lgkmcnt(0)
	; wave barrier
	s_waitcnt lgkmcnt(0)
	buffer_load_dword v5, off, s[0:3], 0 offset:140
	buffer_load_dword v54, off, s[0:3], 0 offset:148
	;; [unrolled: 1-line block ×40, first 2 shown]
	v_mov_b32_e32 v4, 0
	ds_read2_b64 v[6:9], v4 offset0:61 offset1:62
	ds_read2_b64 v[10:13], v4 offset0:63 offset1:64
	;; [unrolled: 1-line block ×8, first 2 shown]
	v_cmp_lt_u32_e32 vcc, 15, v0
	s_waitcnt vmcnt(39) lgkmcnt(7)
	v_mul_f32_e32 v38, v6, v5
	s_waitcnt vmcnt(38)
	v_mul_f32_e32 v39, v8, v54
	s_waitcnt vmcnt(37) lgkmcnt(6)
	v_mul_f32_e32 v40, v10, v56
	s_waitcnt vmcnt(36)
	v_mul_f32_e32 v41, v12, v58
	;; [unrolled: 4-line block ×8, first 2 shown]
	s_waitcnt vmcnt(23)
	v_fmac_f32_e32 v38, v7, v168
	s_waitcnt vmcnt(22)
	v_fmac_f32_e32 v39, v9, v169
	v_add_f32_e32 v38, 0, v38
	s_waitcnt vmcnt(21)
	v_fmac_f32_e32 v40, v11, v170
	v_add_f32_e32 v38, v38, v39
	;; [unrolled: 3-line block ×14, first 2 shown]
	v_add_f32_e32 v38, v38, v52
	s_waitcnt vmcnt(8)
	v_fmac_f32_e32 v53, v37, v183
	v_add_f32_e32 v55, v38, v53
	ds_read2_b64 v[38:41], v4 offset0:77 offset1:78
	buffer_load_dword v47, off, s[0:3], 0 offset:292
	buffer_load_dword v49, off, s[0:3], 0 offset:316
	;; [unrolled: 1-line block ×8, first 2 shown]
	ds_read2_b64 v[42:45], v4 offset0:79 offset1:80
	buffer_load_dword v61, off, s[0:3], 0 offset:348
	buffer_load_dword v60, off, s[0:3], 0 offset:344
	;; [unrolled: 1-line block ×8, first 2 shown]
	v_mul_f32_e32 v5, v7, v5
	v_fma_f32 v5, v6, v168, -v5
	v_mul_f32_e32 v6, v9, v54
	v_add_f32_e32 v5, 0, v5
	v_fma_f32 v6, v8, v169, -v6
	v_add_f32_e32 v5, v5, v6
	v_mul_f32_e32 v6, v11, v56
	v_fma_f32 v6, v10, v170, -v6
	v_add_f32_e32 v5, v5, v6
	v_mul_f32_e32 v6, v13, v58
	;; [unrolled: 3-line block ×14, first 2 shown]
	v_fma_f32 v6, v36, v183, -v6
	s_waitcnt vmcnt(23) lgkmcnt(1)
	v_mul_f32_e32 v57, v38, v184
	v_add_f32_e32 v5, v5, v6
	v_mul_f32_e32 v6, v39, v184
	s_waitcnt vmcnt(22)
	v_fmac_f32_e32 v57, v39, v185
	v_fma_f32 v6, v38, v185, -v6
	v_add_f32_e32 v55, v55, v57
	s_waitcnt vmcnt(21)
	v_mul_f32_e32 v57, v40, v186
	v_add_f32_e32 v54, v5, v6
	v_mul_f32_e32 v5, v41, v186
	s_waitcnt vmcnt(20)
	v_fmac_f32_e32 v57, v41, v187
	s_waitcnt vmcnt(19) lgkmcnt(0)
	v_mul_f32_e32 v59, v42, v188
	v_fma_f32 v56, v40, v187, -v5
	v_mul_f32_e32 v5, v43, v188
	ds_read2_b64 v[6:9], v4 offset0:81 offset1:82
	ds_read2_b64 v[10:13], v4 offset0:83 offset1:84
	;; [unrolled: 1-line block ×3, first 2 shown]
	ds_read_b64 v[18:19], v4 offset:696
	s_waitcnt vmcnt(18)
	v_fmac_f32_e32 v59, v43, v189
	v_fma_f32 v58, v42, v189, -v5
	v_pk_add_f32 v[20:21], v[54:55], v[56:57]
	v_pk_add_f32 v[20:21], v[20:21], v[58:59]
	s_waitcnt vmcnt(15)
	v_mov_b32_e32 v22, v47
	v_pk_mul_f32 v[22:23], v[44:45], v[22:23] op_sel_hi:[1,0]
	s_waitcnt vmcnt(8)
	v_pk_fma_f32 v[24:25], v[44:45], v[46:47], v[22:23] op_sel:[0,0,1] op_sel_hi:[1,1,0] neg_lo:[0,0,1] neg_hi:[0,0,1]
	v_pk_fma_f32 v[22:23], v[44:45], v[46:47], v[22:23] op_sel:[0,0,1] op_sel_hi:[1,0,0]
	v_mov_b32_e32 v22, v53
	v_mov_b32_e32 v25, v23
	s_waitcnt lgkmcnt(3)
	v_pk_mul_f32 v[22:23], v[6:7], v[22:23] op_sel_hi:[1,0]
	v_pk_add_f32 v[20:21], v[20:21], v[24:25]
	v_pk_fma_f32 v[24:25], v[6:7], v[52:53], v[22:23] op_sel:[0,0,1] op_sel_hi:[1,1,0] neg_lo:[0,0,1] neg_hi:[0,0,1]
	v_pk_fma_f32 v[6:7], v[6:7], v[52:53], v[22:23] op_sel:[0,0,1] op_sel_hi:[1,0,0]
	v_mov_b32_e32 v25, v7
	v_pk_add_f32 v[6:7], v[20:21], v[24:25]
	v_mov_b32_e32 v20, v51
	v_pk_mul_f32 v[20:21], v[8:9], v[20:21] op_sel_hi:[1,0]
	v_pk_fma_f32 v[22:23], v[8:9], v[50:51], v[20:21] op_sel:[0,0,1] op_sel_hi:[1,1,0] neg_lo:[0,0,1] neg_hi:[0,0,1]
	v_pk_fma_f32 v[8:9], v[8:9], v[50:51], v[20:21] op_sel:[0,0,1] op_sel_hi:[1,0,0]
	v_mov_b32_e32 v8, v49
	v_mov_b32_e32 v23, v9
	s_waitcnt lgkmcnt(2)
	v_pk_mul_f32 v[8:9], v[10:11], v[8:9] op_sel_hi:[1,0]
	v_pk_fma_f32 v[20:21], v[10:11], v[48:49], v[8:9] op_sel:[0,0,1] op_sel_hi:[1,1,0] neg_lo:[0,0,1] neg_hi:[0,0,1]
	v_pk_fma_f32 v[8:9], v[10:11], v[48:49], v[8:9] op_sel:[0,0,1] op_sel_hi:[1,0,0]
	s_waitcnt vmcnt(1)
	v_mov_b32_e32 v8, v155
	v_mov_b32_e32 v21, v9
	v_pk_mul_f32 v[8:9], v[12:13], v[8:9] op_sel_hi:[1,0]
	s_waitcnt vmcnt(0)
	v_pk_fma_f32 v[10:11], v[12:13], v[154:155], v[8:9] op_sel:[0,0,1] op_sel_hi:[1,1,0] neg_lo:[0,0,1] neg_hi:[0,0,1]
	v_pk_fma_f32 v[8:9], v[12:13], v[154:155], v[8:9] op_sel:[0,0,1] op_sel_hi:[1,0,0]
	v_pk_add_f32 v[6:7], v[6:7], v[22:23]
	v_mov_b32_e32 v8, v65
	v_pk_add_f32 v[6:7], v[6:7], v[20:21]
	v_mov_b32_e32 v11, v9
	s_waitcnt lgkmcnt(1)
	v_pk_mul_f32 v[8:9], v[14:15], v[8:9] op_sel_hi:[1,0]
	v_pk_add_f32 v[6:7], v[6:7], v[10:11]
	v_pk_fma_f32 v[10:11], v[14:15], v[64:65], v[8:9] op_sel:[0,0,1] op_sel_hi:[1,1,0] neg_lo:[0,0,1] neg_hi:[0,0,1]
	v_pk_fma_f32 v[8:9], v[14:15], v[64:65], v[8:9] op_sel:[0,0,1] op_sel_hi:[1,0,0]
	v_mov_b32_e32 v8, v63
	v_mov_b32_e32 v11, v9
	v_pk_mul_f32 v[8:9], v[16:17], v[8:9] op_sel_hi:[1,0]
	v_pk_add_f32 v[6:7], v[6:7], v[10:11]
	v_pk_fma_f32 v[10:11], v[16:17], v[62:63], v[8:9] op_sel:[0,0,1] op_sel_hi:[1,1,0] neg_lo:[0,0,1] neg_hi:[0,0,1]
	v_pk_fma_f32 v[8:9], v[16:17], v[62:63], v[8:9] op_sel:[0,0,1] op_sel_hi:[1,0,0]
	v_mov_b32_e32 v8, v61
	v_mov_b32_e32 v11, v9
	s_waitcnt lgkmcnt(0)
	v_pk_mul_f32 v[8:9], v[18:19], v[8:9] op_sel_hi:[1,0]
	v_pk_add_f32 v[6:7], v[6:7], v[10:11]
	v_pk_fma_f32 v[10:11], v[18:19], v[60:61], v[8:9] op_sel:[0,0,1] op_sel_hi:[1,1,0] neg_lo:[0,0,1] neg_hi:[0,0,1]
	v_pk_fma_f32 v[8:9], v[18:19], v[60:61], v[8:9] op_sel:[0,0,1] op_sel_hi:[1,0,0]
	v_mov_b32_e32 v11, v9
	v_pk_add_f32 v[6:7], v[6:7], v[10:11]
	v_pk_add_f32 v[2:3], v[2:3], v[6:7] neg_lo:[0,1] neg_hi:[0,1]
	buffer_store_dword v3, off, s[0:3], 0 offset:132
	buffer_store_dword v2, off, s[0:3], 0 offset:128
	s_and_saveexec_b64 s[4:5], vcc
	s_cbranch_execz .LBB107_247
; %bb.246:
	buffer_load_dword v2, off, s[0:3], 0 offset:120
	buffer_load_dword v3, off, s[0:3], 0 offset:124
	s_waitcnt vmcnt(0)
	ds_write_b64 v1, v[2:3]
	buffer_store_dword v4, off, s[0:3], 0 offset:120
	buffer_store_dword v4, off, s[0:3], 0 offset:124
.LBB107_247:
	s_or_b64 exec, exec, s[4:5]
	s_waitcnt lgkmcnt(0)
	; wave barrier
	s_waitcnt lgkmcnt(0)
	buffer_load_dword v5, off, s[0:3], 0 offset:132
	buffer_load_dword v46, off, s[0:3], 0 offset:140
	;; [unrolled: 1-line block ×42, first 2 shown]
	ds_read_b128 v[6:9], v4 offset:480
	ds_read_b128 v[10:13], v4 offset:496
	;; [unrolled: 1-line block ×8, first 2 shown]
	v_cmp_lt_u32_e32 vcc, 14, v0
	s_waitcnt vmcnt(41) lgkmcnt(7)
	v_mul_f32_e32 v38, v6, v5
	s_waitcnt vmcnt(40)
	v_mul_f32_e32 v39, v8, v46
	s_waitcnt vmcnt(39) lgkmcnt(6)
	v_mul_f32_e32 v40, v10, v48
	s_waitcnt vmcnt(38)
	v_mul_f32_e32 v41, v12, v56
	;; [unrolled: 4-line block ×7, first 2 shown]
	s_waitcnt vmcnt(27) lgkmcnt(0)
	v_mul_f32_e32 v54, v34, v166
	s_waitcnt vmcnt(26)
	v_fmac_f32_e32 v38, v7, v167
	s_waitcnt vmcnt(25)
	v_fmac_f32_e32 v39, v9, v168
	v_add_f32_e32 v38, 0, v38
	s_waitcnt vmcnt(24)
	v_fmac_f32_e32 v40, v11, v169
	v_add_f32_e32 v38, v38, v39
	;; [unrolled: 3-line block ×14, first 2 shown]
	s_waitcnt vmcnt(11)
	v_mul_f32_e32 v43, v36, v182
	v_add_f32_e32 v42, v38, v54
	s_waitcnt vmcnt(10)
	v_fmac_f32_e32 v43, v37, v183
	ds_read_b128 v[38:41], v4 offset:608
	v_add_f32_e32 v47, v42, v43
	ds_read_b128 v[42:45], v4 offset:624
	buffer_load_dword v51, off, s[0:3], 0 offset:292
	buffer_load_dword v53, off, s[0:3], 0 offset:308
	;; [unrolled: 1-line block ×16, first 2 shown]
	v_mul_f32_e32 v5, v7, v5
	v_fma_f32 v5, v6, v167, -v5
	v_mul_f32_e32 v6, v9, v46
	v_add_f32_e32 v5, 0, v5
	v_fma_f32 v6, v8, v168, -v6
	v_add_f32_e32 v5, v5, v6
	v_mul_f32_e32 v6, v11, v48
	v_fma_f32 v6, v10, v169, -v6
	v_add_f32_e32 v5, v5, v6
	v_mul_f32_e32 v6, v13, v56
	;; [unrolled: 3-line block ×14, first 2 shown]
	v_fma_f32 v6, v36, v183, -v6
	v_add_f32_e32 v5, v5, v6
	s_waitcnt vmcnt(25) lgkmcnt(1)
	v_mul_f32_e32 v6, v39, v184
	s_waitcnt vmcnt(24)
	v_fma_f32 v6, v38, v185, -v6
	v_add_f32_e32 v5, v5, v6
	s_waitcnt vmcnt(23)
	v_mul_f32_e32 v6, v41, v186
	s_waitcnt vmcnt(22)
	v_fma_f32 v6, v40, v187, -v6
	v_add_f32_e32 v46, v5, v6
	ds_read_b128 v[6:9], v4 offset:640
	ds_read_b128 v[10:13], v4 offset:656
	;; [unrolled: 1-line block ×4, first 2 shown]
	v_mul_f32_e32 v49, v38, v184
	v_fmac_f32_e32 v49, v39, v185
	v_add_f32_e32 v47, v47, v49
	v_mul_f32_e32 v49, v40, v186
	v_fmac_f32_e32 v49, v41, v187
	v_add_f32_e32 v47, v47, v49
	s_waitcnt vmcnt(21) lgkmcnt(4)
	v_mul_f32_e32 v49, v42, v188
	v_mul_f32_e32 v5, v43, v188
	s_waitcnt vmcnt(20)
	v_fmac_f32_e32 v49, v43, v189
	s_waitcnt vmcnt(19)
	v_mul_f32_e32 v57, v44, v190
	v_fma_f32 v48, v42, v189, -v5
	v_mul_f32_e32 v5, v45, v190
	s_waitcnt vmcnt(18)
	v_fmac_f32_e32 v57, v45, v191
	v_fma_f32 v56, v44, v191, -v5
	v_pk_add_f32 v[4:5], v[46:47], v[48:49]
	v_pk_add_f32 v[4:5], v[4:5], v[56:57]
	s_waitcnt vmcnt(15)
	v_mov_b32_e32 v22, v51
	s_waitcnt lgkmcnt(3)
	v_pk_mul_f32 v[22:23], v[6:7], v[22:23] op_sel_hi:[1,0]
	s_waitcnt vmcnt(10)
	v_pk_fma_f32 v[24:25], v[6:7], v[50:51], v[22:23] op_sel:[0,0,1] op_sel_hi:[1,1,0] neg_lo:[0,0,1] neg_hi:[0,0,1]
	v_pk_fma_f32 v[6:7], v[6:7], v[50:51], v[22:23] op_sel:[0,0,1] op_sel_hi:[1,0,0]
	v_mov_b32_e32 v6, v55
	v_mov_b32_e32 v25, v7
	v_pk_mul_f32 v[6:7], v[8:9], v[6:7] op_sel_hi:[1,0]
	v_pk_fma_f32 v[22:23], v[8:9], v[54:55], v[6:7] op_sel:[0,0,1] op_sel_hi:[1,1,0] neg_lo:[0,0,1] neg_hi:[0,0,1]
	v_pk_fma_f32 v[6:7], v[8:9], v[54:55], v[6:7] op_sel:[0,0,1] op_sel_hi:[1,0,0]
	v_mov_b32_e32 v6, v53
	v_mov_b32_e32 v23, v7
	s_waitcnt lgkmcnt(2)
	v_pk_mul_f32 v[6:7], v[10:11], v[6:7] op_sel_hi:[1,0]
	v_pk_fma_f32 v[8:9], v[10:11], v[52:53], v[6:7] op_sel:[0,0,1] op_sel_hi:[1,1,0] neg_lo:[0,0,1] neg_hi:[0,0,1]
	v_pk_fma_f32 v[6:7], v[10:11], v[52:53], v[6:7] op_sel:[0,0,1] op_sel_hi:[1,0,0]
	v_pk_add_f32 v[4:5], v[4:5], v[24:25]
	s_waitcnt vmcnt(3)
	v_mov_b32_e32 v6, v65
	v_pk_add_f32 v[4:5], v[4:5], v[22:23]
	v_mov_b32_e32 v9, v7
	v_pk_mul_f32 v[6:7], v[12:13], v[6:7] op_sel_hi:[1,0]
	v_pk_add_f32 v[4:5], v[4:5], v[8:9]
	s_waitcnt vmcnt(2)
	v_pk_fma_f32 v[8:9], v[12:13], v[64:65], v[6:7] op_sel:[0,0,1] op_sel_hi:[1,1,0] neg_lo:[0,0,1] neg_hi:[0,0,1]
	v_pk_fma_f32 v[6:7], v[12:13], v[64:65], v[6:7] op_sel:[0,0,1] op_sel_hi:[1,0,0]
	v_mov_b32_e32 v6, v63
	v_mov_b32_e32 v9, v7
	s_waitcnt lgkmcnt(1)
	v_pk_mul_f32 v[6:7], v[14:15], v[6:7] op_sel_hi:[1,0]
	v_pk_add_f32 v[4:5], v[4:5], v[8:9]
	v_pk_fma_f32 v[8:9], v[14:15], v[62:63], v[6:7] op_sel:[0,0,1] op_sel_hi:[1,1,0] neg_lo:[0,0,1] neg_hi:[0,0,1]
	v_pk_fma_f32 v[6:7], v[14:15], v[62:63], v[6:7] op_sel:[0,0,1] op_sel_hi:[1,0,0]
	v_mov_b32_e32 v6, v61
	v_mov_b32_e32 v9, v7
	v_pk_mul_f32 v[6:7], v[16:17], v[6:7] op_sel_hi:[1,0]
	v_pk_add_f32 v[4:5], v[4:5], v[8:9]
	v_pk_fma_f32 v[8:9], v[16:17], v[60:61], v[6:7] op_sel:[0,0,1] op_sel_hi:[1,1,0] neg_lo:[0,0,1] neg_hi:[0,0,1]
	v_pk_fma_f32 v[6:7], v[16:17], v[60:61], v[6:7] op_sel:[0,0,1] op_sel_hi:[1,0,0]
	v_mov_b32_e32 v6, v59
	v_mov_b32_e32 v9, v7
	s_waitcnt lgkmcnt(0)
	v_pk_mul_f32 v[6:7], v[18:19], v[6:7] op_sel_hi:[1,0]
	v_pk_add_f32 v[4:5], v[4:5], v[8:9]
	v_pk_fma_f32 v[8:9], v[18:19], v[58:59], v[6:7] op_sel:[0,0,1] op_sel_hi:[1,1,0] neg_lo:[0,0,1] neg_hi:[0,0,1]
	v_pk_fma_f32 v[6:7], v[18:19], v[58:59], v[6:7] op_sel:[0,0,1] op_sel_hi:[1,0,0]
	s_waitcnt vmcnt(1)
	v_mov_b32_e32 v6, v155
	v_mov_b32_e32 v9, v7
	v_pk_mul_f32 v[6:7], v[20:21], v[6:7] op_sel_hi:[1,0]
	v_pk_add_f32 v[4:5], v[4:5], v[8:9]
	s_waitcnt vmcnt(0)
	v_pk_fma_f32 v[8:9], v[20:21], v[154:155], v[6:7] op_sel:[0,0,1] op_sel_hi:[1,1,0] neg_lo:[0,0,1] neg_hi:[0,0,1]
	v_pk_fma_f32 v[6:7], v[20:21], v[154:155], v[6:7] op_sel:[0,0,1] op_sel_hi:[1,0,0]
	v_mov_b32_e32 v9, v7
	v_pk_add_f32 v[4:5], v[4:5], v[8:9]
	v_pk_add_f32 v[2:3], v[2:3], v[4:5] neg_lo:[0,1] neg_hi:[0,1]
	buffer_store_dword v3, off, s[0:3], 0 offset:124
	buffer_store_dword v2, off, s[0:3], 0 offset:120
	s_and_saveexec_b64 s[4:5], vcc
	s_cbranch_execz .LBB107_249
; %bb.248:
	buffer_load_dword v2, off, s[0:3], 0 offset:112
	buffer_load_dword v3, off, s[0:3], 0 offset:116
	v_mov_b32_e32 v4, 0
	buffer_store_dword v4, off, s[0:3], 0 offset:112
	buffer_store_dword v4, off, s[0:3], 0 offset:116
	s_waitcnt vmcnt(2)
	ds_write_b64 v1, v[2:3]
.LBB107_249:
	s_or_b64 exec, exec, s[4:5]
	s_waitcnt lgkmcnt(0)
	; wave barrier
	s_waitcnt lgkmcnt(0)
	buffer_load_dword v5, off, s[0:3], 0 offset:124
	buffer_load_dword v54, off, s[0:3], 0 offset:132
	;; [unrolled: 1-line block ×44, first 2 shown]
	v_mov_b32_e32 v4, 0
	ds_read2_b64 v[6:9], v4 offset0:59 offset1:60
	ds_read2_b64 v[10:13], v4 offset0:61 offset1:62
	;; [unrolled: 1-line block ×8, first 2 shown]
	v_cmp_lt_u32_e32 vcc, 13, v0
	s_waitcnt vmcnt(43) lgkmcnt(7)
	v_mul_f32_e32 v38, v6, v5
	s_waitcnt vmcnt(42)
	v_mul_f32_e32 v39, v8, v54
	s_waitcnt vmcnt(41) lgkmcnt(6)
	v_mul_f32_e32 v40, v10, v60
	s_waitcnt vmcnt(40)
	v_mul_f32_e32 v41, v12, v62
	;; [unrolled: 4-line block ×7, first 2 shown]
	s_waitcnt vmcnt(29)
	v_fmac_f32_e32 v38, v7, v174
	s_waitcnt vmcnt(28)
	v_fmac_f32_e32 v39, v9, v175
	v_add_f32_e32 v38, 0, v38
	s_waitcnt vmcnt(27)
	v_fmac_f32_e32 v40, v11, v176
	v_add_f32_e32 v38, v38, v39
	;; [unrolled: 3-line block ×12, first 2 shown]
	v_add_f32_e32 v38, v38, v50
	s_waitcnt vmcnt(16)
	v_fmac_f32_e32 v51, v33, v187
	s_waitcnt vmcnt(15) lgkmcnt(0)
	v_mul_f32_e32 v39, v34, v188
	v_add_f32_e32 v38, v38, v51
	s_waitcnt vmcnt(14)
	v_fmac_f32_e32 v39, v35, v189
	v_add_f32_e32 v42, v38, v39
	ds_read2_b64 v[38:41], v4 offset0:75 offset1:76
	s_waitcnt vmcnt(13)
	v_mul_f32_e32 v43, v36, v190
	s_waitcnt vmcnt(12)
	v_fmac_f32_e32 v43, v37, v191
	v_add_f32_e32 v46, v42, v43
	ds_read2_b64 v[42:45], v4 offset0:77 offset1:78
	s_waitcnt vmcnt(11) lgkmcnt(1)
	v_mul_f32_e32 v47, v38, v192
	s_waitcnt vmcnt(10)
	v_fmac_f32_e32 v47, v39, v193
	v_add_f32_e32 v46, v46, v47
	s_waitcnt vmcnt(9)
	v_mul_f32_e32 v47, v40, v194
	s_waitcnt vmcnt(8)
	v_fmac_f32_e32 v47, v41, v195
	v_add_f32_e32 v46, v46, v47
	s_waitcnt vmcnt(7) lgkmcnt(0)
	v_mul_f32_e32 v47, v42, v196
	s_waitcnt vmcnt(6)
	v_fmac_f32_e32 v47, v43, v197
	v_add_f32_e32 v55, v46, v47
	ds_read2_b64 v[46:49], v4 offset0:79 offset1:80
	buffer_load_dword v57, off, s[0:3], 0 offset:300
	buffer_load_dword v56, off, s[0:3], 0 offset:296
	;; [unrolled: 1-line block ×4, first 2 shown]
	ds_read2_b64 v[50:53], v4 offset0:81 offset1:82
	buffer_load_dword v65, off, s[0:3], 0 offset:332
	buffer_load_dword v64, off, s[0:3], 0 offset:328
	buffer_load_dword v155, off, s[0:3], 0 offset:324
	buffer_load_dword v154, off, s[0:3], 0 offset:320
	buffer_load_dword v157, off, s[0:3], 0 offset:316
	buffer_load_dword v156, off, s[0:3], 0 offset:312
	buffer_load_dword v159, off, s[0:3], 0 offset:308
	buffer_load_dword v158, off, s[0:3], 0 offset:304
	buffer_load_dword v161, off, s[0:3], 0 offset:348
	buffer_load_dword v160, off, s[0:3], 0 offset:344
	buffer_load_dword v163, off, s[0:3], 0 offset:340
	buffer_load_dword v162, off, s[0:3], 0 offset:336
	v_mul_f32_e32 v5, v7, v5
	v_fma_f32 v5, v6, v174, -v5
	v_mul_f32_e32 v6, v9, v54
	v_add_f32_e32 v5, 0, v5
	v_fma_f32 v6, v8, v175, -v6
	v_add_f32_e32 v5, v5, v6
	v_mul_f32_e32 v6, v11, v60
	v_fma_f32 v6, v10, v176, -v6
	v_add_f32_e32 v5, v5, v6
	v_mul_f32_e32 v6, v13, v62
	;; [unrolled: 3-line block ×17, first 2 shown]
	v_fma_f32 v6, v42, v197, -v6
	s_waitcnt vmcnt(21)
	v_mul_f32_e32 v61, v44, v198
	v_add_f32_e32 v54, v5, v6
	v_mul_f32_e32 v5, v45, v198
	s_waitcnt vmcnt(20)
	v_fmac_f32_e32 v61, v45, v199
	s_waitcnt vmcnt(19) lgkmcnt(1)
	v_mul_f32_e32 v63, v46, v200
	v_fma_f32 v60, v44, v199, -v5
	v_mul_f32_e32 v5, v47, v200
	s_waitcnt vmcnt(18)
	v_fmac_f32_e32 v63, v47, v201
	v_fma_f32 v62, v46, v201, -v5
	v_pk_add_f32 v[16:17], v[54:55], v[60:61]
	v_pk_add_f32 v[16:17], v[16:17], v[62:63]
	ds_read2_b64 v[6:9], v4 offset0:83 offset1:84
	ds_read2_b64 v[10:13], v4 offset0:85 offset1:86
	ds_read_b64 v[14:15], v4 offset:696
	s_waitcnt vmcnt(13)
	v_mov_b32_e32 v18, v59
	v_pk_mul_f32 v[18:19], v[48:49], v[18:19] op_sel_hi:[1,0]
	s_waitcnt vmcnt(12)
	v_pk_fma_f32 v[20:21], v[48:49], v[58:59], v[18:19] op_sel:[0,0,1] op_sel_hi:[1,1,0] neg_lo:[0,0,1] neg_hi:[0,0,1]
	v_pk_fma_f32 v[18:19], v[48:49], v[58:59], v[18:19] op_sel:[0,0,1] op_sel_hi:[1,0,0]
	v_mov_b32_e32 v18, v57
	v_mov_b32_e32 v21, v19
	s_waitcnt lgkmcnt(3)
	v_pk_mul_f32 v[18:19], v[50:51], v[18:19] op_sel_hi:[1,0]
	v_pk_add_f32 v[16:17], v[16:17], v[20:21]
	v_pk_fma_f32 v[20:21], v[50:51], v[56:57], v[18:19] op_sel:[0,0,1] op_sel_hi:[1,1,0] neg_lo:[0,0,1] neg_hi:[0,0,1]
	v_pk_fma_f32 v[18:19], v[50:51], v[56:57], v[18:19] op_sel:[0,0,1] op_sel_hi:[1,0,0]
	s_waitcnt vmcnt(5)
	v_mov_b32_e32 v18, v159
	v_mov_b32_e32 v21, v19
	v_pk_mul_f32 v[18:19], v[52:53], v[18:19] op_sel_hi:[1,0]
	v_pk_add_f32 v[16:17], v[16:17], v[20:21]
	s_waitcnt vmcnt(4)
	v_pk_fma_f32 v[20:21], v[52:53], v[158:159], v[18:19] op_sel:[0,0,1] op_sel_hi:[1,1,0] neg_lo:[0,0,1] neg_hi:[0,0,1]
	v_pk_fma_f32 v[18:19], v[52:53], v[158:159], v[18:19] op_sel:[0,0,1] op_sel_hi:[1,0,0]
	v_mov_b32_e32 v18, v157
	v_mov_b32_e32 v21, v19
	s_waitcnt lgkmcnt(2)
	v_pk_mul_f32 v[18:19], v[6:7], v[18:19] op_sel_hi:[1,0]
	v_pk_add_f32 v[16:17], v[16:17], v[20:21]
	v_pk_fma_f32 v[20:21], v[6:7], v[156:157], v[18:19] op_sel:[0,0,1] op_sel_hi:[1,1,0] neg_lo:[0,0,1] neg_hi:[0,0,1]
	v_pk_fma_f32 v[6:7], v[6:7], v[156:157], v[18:19] op_sel:[0,0,1] op_sel_hi:[1,0,0]
	v_mov_b32_e32 v21, v7
	v_pk_add_f32 v[6:7], v[16:17], v[20:21]
	v_mov_b32_e32 v16, v155
	v_pk_mul_f32 v[16:17], v[8:9], v[16:17] op_sel_hi:[1,0]
	v_pk_fma_f32 v[18:19], v[8:9], v[154:155], v[16:17] op_sel:[0,0,1] op_sel_hi:[1,1,0] neg_lo:[0,0,1] neg_hi:[0,0,1]
	v_pk_fma_f32 v[8:9], v[8:9], v[154:155], v[16:17] op_sel:[0,0,1] op_sel_hi:[1,0,0]
	v_mov_b32_e32 v8, v65
	v_mov_b32_e32 v19, v9
	s_waitcnt lgkmcnt(1)
	v_pk_mul_f32 v[8:9], v[10:11], v[8:9] op_sel_hi:[1,0]
	v_pk_fma_f32 v[16:17], v[10:11], v[64:65], v[8:9] op_sel:[0,0,1] op_sel_hi:[1,1,0] neg_lo:[0,0,1] neg_hi:[0,0,1]
	v_pk_fma_f32 v[8:9], v[10:11], v[64:65], v[8:9] op_sel:[0,0,1] op_sel_hi:[1,0,0]
	s_waitcnt vmcnt(1)
	v_mov_b32_e32 v8, v163
	v_mov_b32_e32 v17, v9
	v_pk_mul_f32 v[8:9], v[12:13], v[8:9] op_sel_hi:[1,0]
	s_waitcnt vmcnt(0)
	v_pk_fma_f32 v[10:11], v[12:13], v[162:163], v[8:9] op_sel:[0,0,1] op_sel_hi:[1,1,0] neg_lo:[0,0,1] neg_hi:[0,0,1]
	v_pk_fma_f32 v[8:9], v[12:13], v[162:163], v[8:9] op_sel:[0,0,1] op_sel_hi:[1,0,0]
	v_pk_add_f32 v[6:7], v[6:7], v[18:19]
	v_mov_b32_e32 v8, v161
	v_pk_add_f32 v[6:7], v[6:7], v[16:17]
	v_mov_b32_e32 v11, v9
	s_waitcnt lgkmcnt(0)
	v_pk_mul_f32 v[8:9], v[14:15], v[8:9] op_sel_hi:[1,0]
	v_pk_add_f32 v[6:7], v[6:7], v[10:11]
	v_pk_fma_f32 v[10:11], v[14:15], v[160:161], v[8:9] op_sel:[0,0,1] op_sel_hi:[1,1,0] neg_lo:[0,0,1] neg_hi:[0,0,1]
	v_pk_fma_f32 v[8:9], v[14:15], v[160:161], v[8:9] op_sel:[0,0,1] op_sel_hi:[1,0,0]
	v_mov_b32_e32 v11, v9
	v_pk_add_f32 v[6:7], v[6:7], v[10:11]
	v_pk_add_f32 v[2:3], v[2:3], v[6:7] neg_lo:[0,1] neg_hi:[0,1]
	buffer_store_dword v3, off, s[0:3], 0 offset:116
	buffer_store_dword v2, off, s[0:3], 0 offset:112
	s_and_saveexec_b64 s[4:5], vcc
	s_cbranch_execz .LBB107_251
; %bb.250:
	buffer_load_dword v2, off, s[0:3], 0 offset:104
	buffer_load_dword v3, off, s[0:3], 0 offset:108
	s_waitcnt vmcnt(0)
	ds_write_b64 v1, v[2:3]
	buffer_store_dword v4, off, s[0:3], 0 offset:104
	buffer_store_dword v4, off, s[0:3], 0 offset:108
.LBB107_251:
	s_or_b64 exec, exec, s[4:5]
	s_waitcnt lgkmcnt(0)
	; wave barrier
	s_waitcnt lgkmcnt(0)
	buffer_load_dword v5, off, s[0:3], 0 offset:116
	buffer_load_dword v56, off, s[0:3], 0 offset:124
	;; [unrolled: 1-line block ×46, first 2 shown]
	ds_read_b128 v[6:9], v4 offset:464
	ds_read_b128 v[10:13], v4 offset:480
	;; [unrolled: 1-line block ×8, first 2 shown]
	v_cmp_lt_u32_e32 vcc, 12, v0
	s_waitcnt vmcnt(45) lgkmcnt(7)
	v_mul_f32_e32 v38, v6, v5
	s_waitcnt vmcnt(44)
	v_mul_f32_e32 v39, v8, v56
	s_waitcnt vmcnt(43) lgkmcnt(6)
	v_mul_f32_e32 v40, v10, v58
	s_waitcnt vmcnt(42)
	v_mul_f32_e32 v41, v12, v60
	;; [unrolled: 4-line block ×6, first 2 shown]
	s_waitcnt vmcnt(33) lgkmcnt(1)
	v_mul_f32_e32 v50, v30, v172
	s_waitcnt vmcnt(32)
	v_fmac_f32_e32 v38, v7, v173
	s_waitcnt vmcnt(31)
	v_fmac_f32_e32 v39, v9, v174
	v_add_f32_e32 v38, 0, v38
	s_waitcnt vmcnt(30)
	v_fmac_f32_e32 v40, v11, v175
	v_add_f32_e32 v38, v38, v39
	;; [unrolled: 3-line block ×12, first 2 shown]
	s_waitcnt vmcnt(19)
	v_mul_f32_e32 v39, v32, v186
	v_add_f32_e32 v38, v38, v50
	s_waitcnt vmcnt(18)
	v_fmac_f32_e32 v39, v33, v187
	v_add_f32_e32 v38, v38, v39
	s_waitcnt vmcnt(17) lgkmcnt(0)
	v_mul_f32_e32 v39, v34, v188
	s_waitcnt vmcnt(16)
	v_fmac_f32_e32 v39, v35, v189
	v_add_f32_e32 v42, v38, v39
	ds_read_b128 v[38:41], v4 offset:592
	s_waitcnt vmcnt(15)
	v_mul_f32_e32 v43, v36, v190
	s_waitcnt vmcnt(14)
	v_fmac_f32_e32 v43, v37, v191
	v_add_f32_e32 v46, v42, v43
	ds_read_b128 v[42:45], v4 offset:608
	buffer_load_dword v55, off, s[0:3], 0 offset:292
	buffer_load_dword v54, off, s[0:3], 0 offset:288
	s_waitcnt vmcnt(15) lgkmcnt(1)
	v_mul_f32_e32 v47, v38, v192
	s_waitcnt vmcnt(14)
	v_fmac_f32_e32 v47, v39, v193
	v_add_f32_e32 v46, v46, v47
	s_waitcnt vmcnt(13)
	v_mul_f32_e32 v47, v40, v194
	s_waitcnt vmcnt(12)
	v_fmac_f32_e32 v47, v41, v195
	v_add_f32_e32 v46, v46, v47
	s_waitcnt vmcnt(11) lgkmcnt(0)
	v_mul_f32_e32 v47, v42, v196
	s_waitcnt vmcnt(10)
	v_fmac_f32_e32 v47, v43, v197
	s_waitcnt vmcnt(9)
	v_mul_f32_e32 v51, v44, v198
	v_add_f32_e32 v50, v46, v47
	s_waitcnt vmcnt(8)
	v_fmac_f32_e32 v51, v45, v199
	ds_read_b128 v[46:49], v4 offset:624
	v_add_f32_e32 v57, v50, v51
	ds_read_b128 v[50:53], v4 offset:640
	buffer_load_dword v63, off, s[0:3], 0 offset:324
	buffer_load_dword v62, off, s[0:3], 0 offset:320
	;; [unrolled: 1-line block ×14, first 2 shown]
	v_mul_f32_e32 v5, v7, v5
	v_fma_f32 v5, v6, v173, -v5
	v_mul_f32_e32 v6, v9, v56
	v_add_f32_e32 v5, 0, v5
	v_fma_f32 v6, v8, v174, -v6
	v_add_f32_e32 v5, v5, v6
	v_mul_f32_e32 v6, v11, v58
	v_fma_f32 v6, v10, v175, -v6
	v_add_f32_e32 v5, v5, v6
	v_mul_f32_e32 v6, v13, v60
	;; [unrolled: 3-line block ×18, first 2 shown]
	v_fma_f32 v6, v44, v199, -v6
	s_waitcnt vmcnt(21) lgkmcnt(1)
	v_mul_f32_e32 v59, v46, v200
	v_add_f32_e32 v56, v5, v6
	v_mul_f32_e32 v5, v47, v200
	s_waitcnt vmcnt(20)
	v_fmac_f32_e32 v59, v47, v201
	s_waitcnt vmcnt(15)
	v_mov_b32_e32 v18, v55
	s_waitcnt lgkmcnt(0)
	v_pk_mul_f32 v[18:19], v[50:51], v[18:19] op_sel_hi:[1,0]
	v_mul_f32_e32 v61, v48, v202
	v_fma_f32 v58, v46, v201, -v5
	v_mul_f32_e32 v5, v49, v202
	s_waitcnt vmcnt(14)
	v_pk_fma_f32 v[20:21], v[50:51], v[54:55], v[18:19] op_sel:[0,0,1] op_sel_hi:[1,1,0] neg_lo:[0,0,1] neg_hi:[0,0,1]
	v_pk_fma_f32 v[18:19], v[50:51], v[54:55], v[18:19] op_sel:[0,0,1] op_sel_hi:[1,0,0]
	v_fmac_f32_e32 v61, v49, v203
	v_fma_f32 v60, v48, v203, -v5
	ds_read_b128 v[6:9], v4 offset:656
	ds_read_b128 v[10:13], v4 offset:672
	;; [unrolled: 1-line block ×3, first 2 shown]
	v_pk_add_f32 v[4:5], v[56:57], v[58:59]
	s_waitcnt vmcnt(7)
	v_mov_b32_e32 v18, v157
	v_pk_add_f32 v[4:5], v[4:5], v[60:61]
	v_mov_b32_e32 v21, v19
	v_pk_mul_f32 v[18:19], v[52:53], v[18:19] op_sel_hi:[1,0]
	v_pk_add_f32 v[4:5], v[4:5], v[20:21]
	s_waitcnt vmcnt(6)
	v_pk_fma_f32 v[20:21], v[52:53], v[156:157], v[18:19] op_sel:[0,0,1] op_sel_hi:[1,1,0] neg_lo:[0,0,1] neg_hi:[0,0,1]
	v_pk_fma_f32 v[18:19], v[52:53], v[156:157], v[18:19] op_sel:[0,0,1] op_sel_hi:[1,0,0]
	v_mov_b32_e32 v18, v155
	v_mov_b32_e32 v21, v19
	s_waitcnt lgkmcnt(2)
	v_pk_mul_f32 v[18:19], v[6:7], v[18:19] op_sel_hi:[1,0]
	v_pk_add_f32 v[4:5], v[4:5], v[20:21]
	v_pk_fma_f32 v[20:21], v[6:7], v[154:155], v[18:19] op_sel:[0,0,1] op_sel_hi:[1,1,0] neg_lo:[0,0,1] neg_hi:[0,0,1]
	v_pk_fma_f32 v[6:7], v[6:7], v[154:155], v[18:19] op_sel:[0,0,1] op_sel_hi:[1,0,0]
	v_mov_b32_e32 v6, v65
	v_mov_b32_e32 v21, v7
	v_pk_mul_f32 v[6:7], v[8:9], v[6:7] op_sel_hi:[1,0]
	v_pk_fma_f32 v[18:19], v[8:9], v[64:65], v[6:7] op_sel:[0,0,1] op_sel_hi:[1,1,0] neg_lo:[0,0,1] neg_hi:[0,0,1]
	v_pk_fma_f32 v[6:7], v[8:9], v[64:65], v[6:7] op_sel:[0,0,1] op_sel_hi:[1,0,0]
	v_mov_b32_e32 v6, v63
	v_mov_b32_e32 v19, v7
	s_waitcnt lgkmcnt(1)
	v_pk_mul_f32 v[6:7], v[10:11], v[6:7] op_sel_hi:[1,0]
	v_pk_fma_f32 v[8:9], v[10:11], v[62:63], v[6:7] op_sel:[0,0,1] op_sel_hi:[1,1,0] neg_lo:[0,0,1] neg_hi:[0,0,1]
	v_pk_fma_f32 v[6:7], v[10:11], v[62:63], v[6:7] op_sel:[0,0,1] op_sel_hi:[1,0,0]
	v_pk_add_f32 v[4:5], v[4:5], v[20:21]
	s_waitcnt vmcnt(1)
	v_mov_b32_e32 v6, v163
	v_pk_add_f32 v[4:5], v[4:5], v[18:19]
	v_mov_b32_e32 v9, v7
	v_pk_mul_f32 v[6:7], v[12:13], v[6:7] op_sel_hi:[1,0]
	v_pk_add_f32 v[4:5], v[4:5], v[8:9]
	s_waitcnt vmcnt(0)
	v_pk_fma_f32 v[8:9], v[12:13], v[162:163], v[6:7] op_sel:[0,0,1] op_sel_hi:[1,1,0] neg_lo:[0,0,1] neg_hi:[0,0,1]
	v_pk_fma_f32 v[6:7], v[12:13], v[162:163], v[6:7] op_sel:[0,0,1] op_sel_hi:[1,0,0]
	v_mov_b32_e32 v6, v161
	v_mov_b32_e32 v9, v7
	s_waitcnt lgkmcnt(0)
	v_pk_mul_f32 v[6:7], v[14:15], v[6:7] op_sel_hi:[1,0]
	v_pk_add_f32 v[4:5], v[4:5], v[8:9]
	v_pk_fma_f32 v[8:9], v[14:15], v[160:161], v[6:7] op_sel:[0,0,1] op_sel_hi:[1,1,0] neg_lo:[0,0,1] neg_hi:[0,0,1]
	v_pk_fma_f32 v[6:7], v[14:15], v[160:161], v[6:7] op_sel:[0,0,1] op_sel_hi:[1,0,0]
	v_mov_b32_e32 v6, v159
	v_mov_b32_e32 v9, v7
	v_pk_mul_f32 v[6:7], v[16:17], v[6:7] op_sel_hi:[1,0]
	v_pk_add_f32 v[4:5], v[4:5], v[8:9]
	v_pk_fma_f32 v[8:9], v[16:17], v[158:159], v[6:7] op_sel:[0,0,1] op_sel_hi:[1,1,0] neg_lo:[0,0,1] neg_hi:[0,0,1]
	v_pk_fma_f32 v[6:7], v[16:17], v[158:159], v[6:7] op_sel:[0,0,1] op_sel_hi:[1,0,0]
	v_mov_b32_e32 v9, v7
	v_pk_add_f32 v[4:5], v[4:5], v[8:9]
	v_pk_add_f32 v[2:3], v[2:3], v[4:5] neg_lo:[0,1] neg_hi:[0,1]
	buffer_store_dword v3, off, s[0:3], 0 offset:108
	buffer_store_dword v2, off, s[0:3], 0 offset:104
	s_and_saveexec_b64 s[4:5], vcc
	s_cbranch_execz .LBB107_253
; %bb.252:
	buffer_load_dword v2, off, s[0:3], 0 offset:96
	buffer_load_dword v3, off, s[0:3], 0 offset:100
	v_mov_b32_e32 v4, 0
	buffer_store_dword v4, off, s[0:3], 0 offset:96
	buffer_store_dword v4, off, s[0:3], 0 offset:100
	s_waitcnt vmcnt(2)
	ds_write_b64 v1, v[2:3]
.LBB107_253:
	s_or_b64 exec, exec, s[4:5]
	s_waitcnt lgkmcnt(0)
	; wave barrier
	s_waitcnt lgkmcnt(0)
	buffer_load_dword v5, off, s[0:3], 0 offset:108
	buffer_load_dword v54, off, s[0:3], 0 offset:116
	;; [unrolled: 1-line block ×48, first 2 shown]
	v_mov_b32_e32 v4, 0
	ds_read2_b64 v[6:9], v4 offset0:57 offset1:58
	ds_read2_b64 v[10:13], v4 offset0:59 offset1:60
	;; [unrolled: 1-line block ×6, first 2 shown]
	v_cmp_lt_u32_e32 vcc, 11, v0
	s_waitcnt vmcnt(47) lgkmcnt(5)
	v_mul_f32_e32 v30, v6, v5
	s_waitcnt vmcnt(46)
	v_mul_f32_e32 v31, v8, v54
	s_waitcnt vmcnt(45) lgkmcnt(4)
	v_mul_f32_e32 v32, v10, v56
	s_waitcnt vmcnt(44)
	v_mul_f32_e32 v33, v12, v58
	s_waitcnt vmcnt(43) lgkmcnt(3)
	v_mul_f32_e32 v34, v14, v164
	s_waitcnt vmcnt(42)
	v_mul_f32_e32 v35, v16, v165
	s_waitcnt vmcnt(41) lgkmcnt(2)
	v_mul_f32_e32 v36, v18, v166
	s_waitcnt vmcnt(40)
	v_mul_f32_e32 v37, v20, v167
	s_waitcnt vmcnt(39) lgkmcnt(1)
	v_mul_f32_e32 v38, v22, v168
	s_waitcnt vmcnt(38)
	v_mul_f32_e32 v39, v24, v169
	s_waitcnt vmcnt(37) lgkmcnt(0)
	v_mul_f32_e32 v40, v26, v170
	s_waitcnt vmcnt(36)
	v_mul_f32_e32 v41, v28, v171
	s_waitcnt vmcnt(35)
	v_fmac_f32_e32 v30, v7, v172
	s_waitcnt vmcnt(34)
	v_fmac_f32_e32 v31, v9, v173
	v_add_f32_e32 v30, 0, v30
	s_waitcnt vmcnt(33)
	v_fmac_f32_e32 v32, v11, v174
	v_add_f32_e32 v30, v30, v31
	;; [unrolled: 3-line block ×8, first 2 shown]
	v_add_f32_e32 v34, v30, v38
	ds_read2_b64 v[30:33], v4 offset0:69 offset1:70
	s_waitcnt vmcnt(26)
	v_fmac_f32_e32 v39, v25, v181
	s_waitcnt vmcnt(25)
	v_fmac_f32_e32 v40, v27, v182
	v_add_f32_e32 v34, v34, v39
	s_waitcnt vmcnt(24)
	v_fmac_f32_e32 v41, v29, v183
	v_add_f32_e32 v34, v34, v40
	v_add_f32_e32 v38, v34, v41
	ds_read2_b64 v[34:37], v4 offset0:71 offset1:72
	s_waitcnt vmcnt(23) lgkmcnt(1)
	v_mul_f32_e32 v39, v30, v184
	s_waitcnt vmcnt(22)
	v_fmac_f32_e32 v39, v31, v185
	v_add_f32_e32 v38, v38, v39
	s_waitcnt vmcnt(21)
	v_mul_f32_e32 v39, v32, v186
	s_waitcnt vmcnt(20)
	v_fmac_f32_e32 v39, v33, v187
	v_add_f32_e32 v38, v38, v39
	s_waitcnt vmcnt(19) lgkmcnt(0)
	v_mul_f32_e32 v39, v34, v188
	s_waitcnt vmcnt(18)
	v_fmac_f32_e32 v39, v35, v189
	v_add_f32_e32 v42, v38, v39
	ds_read2_b64 v[38:41], v4 offset0:73 offset1:74
	s_waitcnt vmcnt(17)
	v_mul_f32_e32 v43, v36, v190
	s_waitcnt vmcnt(16)
	v_fmac_f32_e32 v43, v37, v191
	v_add_f32_e32 v46, v42, v43
	ds_read2_b64 v[42:45], v4 offset0:75 offset1:76
	s_waitcnt vmcnt(15) lgkmcnt(1)
	v_mul_f32_e32 v47, v38, v192
	s_waitcnt vmcnt(14)
	v_fmac_f32_e32 v47, v39, v193
	v_add_f32_e32 v46, v46, v47
	s_waitcnt vmcnt(13)
	v_mul_f32_e32 v47, v40, v194
	s_waitcnt vmcnt(12)
	v_fmac_f32_e32 v47, v41, v195
	v_add_f32_e32 v46, v46, v47
	s_waitcnt vmcnt(11) lgkmcnt(0)
	v_mul_f32_e32 v47, v42, v196
	s_waitcnt vmcnt(10)
	v_fmac_f32_e32 v47, v43, v197
	s_waitcnt vmcnt(9)
	v_mul_f32_e32 v51, v44, v198
	v_add_f32_e32 v50, v46, v47
	s_waitcnt vmcnt(8)
	v_fmac_f32_e32 v51, v45, v199
	ds_read2_b64 v[46:49], v4 offset0:77 offset1:78
	v_add_f32_e32 v55, v50, v51
	ds_read2_b64 v[50:53], v4 offset0:79 offset1:80
	buffer_load_dword v61, off, s[0:3], 0 offset:316
	buffer_load_dword v60, off, s[0:3], 0 offset:312
	;; [unrolled: 1-line block ×16, first 2 shown]
	v_mul_f32_e32 v5, v7, v5
	v_fma_f32 v5, v6, v172, -v5
	v_mul_f32_e32 v6, v9, v54
	v_add_f32_e32 v5, 0, v5
	v_fma_f32 v6, v8, v173, -v6
	v_add_f32_e32 v5, v5, v6
	v_mul_f32_e32 v6, v11, v56
	v_fma_f32 v6, v10, v174, -v6
	v_add_f32_e32 v5, v5, v6
	v_mul_f32_e32 v6, v13, v58
	;; [unrolled: 3-line block ×18, first 2 shown]
	v_fma_f32 v6, v44, v199, -v6
	s_waitcnt vmcnt(22) lgkmcnt(1)
	v_mul_f32_e32 v57, v46, v201
	v_add_f32_e32 v5, v5, v6
	v_mul_f32_e32 v6, v47, v201
	v_fmac_f32_e32 v57, v47, v200
	v_fma_f32 v6, v46, v200, -v6
	v_add_f32_e32 v55, v55, v57
	s_waitcnt vmcnt(19)
	v_mul_f32_e32 v57, v48, v202
	v_add_f32_e32 v54, v5, v6
	v_mul_f32_e32 v5, v49, v202
	s_waitcnt vmcnt(18)
	v_fmac_f32_e32 v57, v49, v203
	s_waitcnt vmcnt(17) lgkmcnt(0)
	v_mul_f32_e32 v59, v50, v204
	s_waitcnt vmcnt(9)
	v_mov_b32_e32 v22, v155
	v_pk_mul_f32 v[22:23], v[52:53], v[22:23] op_sel_hi:[1,0]
	v_fma_f32 v56, v48, v203, -v5
	v_mul_f32_e32 v5, v51, v204
	ds_read2_b64 v[6:9], v4 offset0:81 offset1:82
	ds_read2_b64 v[10:13], v4 offset0:83 offset1:84
	;; [unrolled: 1-line block ×3, first 2 shown]
	ds_read_b64 v[18:19], v4 offset:696
	s_waitcnt vmcnt(8)
	v_pk_fma_f32 v[24:25], v[52:53], v[154:155], v[22:23] op_sel:[0,0,1] op_sel_hi:[1,1,0] neg_lo:[0,0,1] neg_hi:[0,0,1]
	v_pk_fma_f32 v[22:23], v[52:53], v[154:155], v[22:23] op_sel:[0,0,1] op_sel_hi:[1,0,0]
	v_fmac_f32_e32 v59, v51, v205
	v_fma_f32 v58, v50, v205, -v5
	v_pk_add_f32 v[20:21], v[54:55], v[56:57]
	v_mov_b32_e32 v22, v65
	v_pk_add_f32 v[20:21], v[20:21], v[58:59]
	v_mov_b32_e32 v25, v23
	s_waitcnt lgkmcnt(3)
	v_pk_mul_f32 v[22:23], v[6:7], v[22:23] op_sel_hi:[1,0]
	v_pk_add_f32 v[20:21], v[20:21], v[24:25]
	v_pk_fma_f32 v[24:25], v[6:7], v[64:65], v[22:23] op_sel:[0,0,1] op_sel_hi:[1,1,0] neg_lo:[0,0,1] neg_hi:[0,0,1]
	v_pk_fma_f32 v[6:7], v[6:7], v[64:65], v[22:23] op_sel:[0,0,1] op_sel_hi:[1,0,0]
	v_mov_b32_e32 v25, v7
	v_pk_add_f32 v[6:7], v[20:21], v[24:25]
	v_mov_b32_e32 v20, v63
	v_pk_mul_f32 v[20:21], v[8:9], v[20:21] op_sel_hi:[1,0]
	v_pk_fma_f32 v[22:23], v[8:9], v[62:63], v[20:21] op_sel:[0,0,1] op_sel_hi:[1,1,0] neg_lo:[0,0,1] neg_hi:[0,0,1]
	v_pk_fma_f32 v[8:9], v[8:9], v[62:63], v[20:21] op_sel:[0,0,1] op_sel_hi:[1,0,0]
	v_mov_b32_e32 v8, v61
	v_mov_b32_e32 v23, v9
	s_waitcnt lgkmcnt(2)
	v_pk_mul_f32 v[8:9], v[10:11], v[8:9] op_sel_hi:[1,0]
	v_pk_fma_f32 v[20:21], v[10:11], v[60:61], v[8:9] op_sel:[0,0,1] op_sel_hi:[1,1,0] neg_lo:[0,0,1] neg_hi:[0,0,1]
	v_pk_fma_f32 v[8:9], v[10:11], v[60:61], v[8:9] op_sel:[0,0,1] op_sel_hi:[1,0,0]
	s_waitcnt vmcnt(1)
	v_mov_b32_e32 v8, v163
	v_mov_b32_e32 v21, v9
	v_pk_mul_f32 v[8:9], v[12:13], v[8:9] op_sel_hi:[1,0]
	s_waitcnt vmcnt(0)
	v_pk_fma_f32 v[10:11], v[12:13], v[162:163], v[8:9] op_sel:[0,0,1] op_sel_hi:[1,1,0] neg_lo:[0,0,1] neg_hi:[0,0,1]
	v_pk_fma_f32 v[8:9], v[12:13], v[162:163], v[8:9] op_sel:[0,0,1] op_sel_hi:[1,0,0]
	v_pk_add_f32 v[6:7], v[6:7], v[22:23]
	v_mov_b32_e32 v8, v161
	v_pk_add_f32 v[6:7], v[6:7], v[20:21]
	v_mov_b32_e32 v11, v9
	s_waitcnt lgkmcnt(1)
	v_pk_mul_f32 v[8:9], v[14:15], v[8:9] op_sel_hi:[1,0]
	v_pk_add_f32 v[6:7], v[6:7], v[10:11]
	v_pk_fma_f32 v[10:11], v[14:15], v[160:161], v[8:9] op_sel:[0,0,1] op_sel_hi:[1,1,0] neg_lo:[0,0,1] neg_hi:[0,0,1]
	v_pk_fma_f32 v[8:9], v[14:15], v[160:161], v[8:9] op_sel:[0,0,1] op_sel_hi:[1,0,0]
	v_mov_b32_e32 v8, v159
	v_mov_b32_e32 v11, v9
	v_pk_mul_f32 v[8:9], v[16:17], v[8:9] op_sel_hi:[1,0]
	v_pk_add_f32 v[6:7], v[6:7], v[10:11]
	v_pk_fma_f32 v[10:11], v[16:17], v[158:159], v[8:9] op_sel:[0,0,1] op_sel_hi:[1,1,0] neg_lo:[0,0,1] neg_hi:[0,0,1]
	v_pk_fma_f32 v[8:9], v[16:17], v[158:159], v[8:9] op_sel:[0,0,1] op_sel_hi:[1,0,0]
	v_mov_b32_e32 v8, v157
	v_mov_b32_e32 v11, v9
	s_waitcnt lgkmcnt(0)
	v_pk_mul_f32 v[8:9], v[18:19], v[8:9] op_sel_hi:[1,0]
	v_pk_add_f32 v[6:7], v[6:7], v[10:11]
	v_pk_fma_f32 v[10:11], v[18:19], v[156:157], v[8:9] op_sel:[0,0,1] op_sel_hi:[1,1,0] neg_lo:[0,0,1] neg_hi:[0,0,1]
	v_pk_fma_f32 v[8:9], v[18:19], v[156:157], v[8:9] op_sel:[0,0,1] op_sel_hi:[1,0,0]
	v_mov_b32_e32 v11, v9
	v_pk_add_f32 v[6:7], v[6:7], v[10:11]
	v_pk_add_f32 v[2:3], v[2:3], v[6:7] neg_lo:[0,1] neg_hi:[0,1]
	buffer_store_dword v3, off, s[0:3], 0 offset:100
	buffer_store_dword v2, off, s[0:3], 0 offset:96
	s_and_saveexec_b64 s[4:5], vcc
	s_cbranch_execz .LBB107_255
; %bb.254:
	buffer_load_dword v2, off, s[0:3], 0 offset:88
	buffer_load_dword v3, off, s[0:3], 0 offset:92
	s_waitcnt vmcnt(0)
	ds_write_b64 v1, v[2:3]
	buffer_store_dword v4, off, s[0:3], 0 offset:88
	buffer_store_dword v4, off, s[0:3], 0 offset:92
.LBB107_255:
	s_or_b64 exec, exec, s[4:5]
	s_waitcnt lgkmcnt(0)
	; wave barrier
	s_waitcnt lgkmcnt(0)
	buffer_load_dword v5, off, s[0:3], 0 offset:100
	buffer_load_dword v54, off, s[0:3], 0 offset:108
	;; [unrolled: 1-line block ×48, first 2 shown]
	ds_read_b128 v[6:9], v4 offset:448
	ds_read_b128 v[10:13], v4 offset:464
	;; [unrolled: 1-line block ×6, first 2 shown]
	buffer_load_dword v206, off, s[0:3], 0 offset:280
	buffer_load_dword v207, off, s[0:3], 0 offset:284
	v_cmp_lt_u32_e32 vcc, 10, v0
	s_waitcnt vmcnt(49) lgkmcnt(5)
	v_mul_f32_e32 v30, v6, v5
	s_waitcnt vmcnt(48)
	v_mul_f32_e32 v31, v8, v54
	s_waitcnt vmcnt(47) lgkmcnt(4)
	v_mul_f32_e32 v32, v10, v56
	s_waitcnt vmcnt(46)
	v_mul_f32_e32 v33, v12, v64
	;; [unrolled: 4-line block ×6, first 2 shown]
	s_waitcnt vmcnt(37)
	v_fmac_f32_e32 v30, v7, v172
	s_waitcnt vmcnt(36)
	v_fmac_f32_e32 v31, v9, v173
	v_add_f32_e32 v30, 0, v30
	s_waitcnt vmcnt(35)
	v_fmac_f32_e32 v32, v11, v174
	v_add_f32_e32 v30, v30, v31
	;; [unrolled: 3-line block ×9, first 2 shown]
	v_add_f32_e32 v34, v30, v39
	ds_read_b128 v[30:33], v4 offset:544
	s_waitcnt vmcnt(27)
	v_fmac_f32_e32 v40, v27, v182
	v_add_f32_e32 v34, v34, v40
	s_waitcnt vmcnt(26)
	v_fmac_f32_e32 v41, v29, v183
	v_add_f32_e32 v38, v34, v41
	ds_read_b128 v[34:37], v4 offset:560
	s_waitcnt vmcnt(25) lgkmcnt(1)
	v_mul_f32_e32 v39, v30, v184
	s_waitcnt vmcnt(24)
	v_fmac_f32_e32 v39, v31, v185
	v_add_f32_e32 v38, v38, v39
	s_waitcnt vmcnt(23)
	v_mul_f32_e32 v39, v32, v186
	s_waitcnt vmcnt(22)
	v_fmac_f32_e32 v39, v33, v187
	v_add_f32_e32 v38, v38, v39
	s_waitcnt vmcnt(21) lgkmcnt(0)
	v_mul_f32_e32 v39, v34, v188
	s_waitcnt vmcnt(20)
	v_fmac_f32_e32 v39, v35, v189
	v_add_f32_e32 v42, v38, v39
	ds_read_b128 v[38:41], v4 offset:576
	s_waitcnt vmcnt(19)
	v_mul_f32_e32 v43, v36, v190
	s_waitcnt vmcnt(18)
	v_fmac_f32_e32 v43, v37, v191
	v_add_f32_e32 v46, v42, v43
	ds_read_b128 v[42:45], v4 offset:592
	s_waitcnt vmcnt(17) lgkmcnt(1)
	v_mul_f32_e32 v47, v38, v192
	s_waitcnt vmcnt(16)
	v_fmac_f32_e32 v47, v39, v193
	v_add_f32_e32 v46, v46, v47
	s_waitcnt vmcnt(15)
	v_mul_f32_e32 v47, v40, v194
	s_waitcnt vmcnt(14)
	v_fmac_f32_e32 v47, v41, v195
	v_add_f32_e32 v46, v46, v47
	s_waitcnt vmcnt(13) lgkmcnt(0)
	v_mul_f32_e32 v47, v42, v196
	s_waitcnt vmcnt(12)
	v_fmac_f32_e32 v47, v43, v197
	s_waitcnt vmcnt(11)
	v_mul_f32_e32 v51, v44, v198
	v_add_f32_e32 v50, v46, v47
	s_waitcnt vmcnt(10)
	v_fmac_f32_e32 v51, v45, v199
	ds_read_b128 v[46:49], v4 offset:608
	v_add_f32_e32 v55, v50, v51
	ds_read_b128 v[50:53], v4 offset:624
	buffer_load_dword v59, off, s[0:3], 0 offset:308
	buffer_load_dword v58, off, s[0:3], 0 offset:304
	;; [unrolled: 1-line block ×16, first 2 shown]
	v_mul_f32_e32 v5, v7, v5
	v_fma_f32 v5, v6, v172, -v5
	v_mul_f32_e32 v6, v9, v54
	v_add_f32_e32 v5, 0, v5
	v_fma_f32 v6, v8, v173, -v6
	v_add_f32_e32 v5, v5, v6
	v_mul_f32_e32 v6, v11, v56
	v_fma_f32 v6, v10, v174, -v6
	v_add_f32_e32 v5, v5, v6
	v_mul_f32_e32 v6, v13, v64
	v_fma_f32 v6, v12, v175, -v6
	v_add_f32_e32 v5, v5, v6
	v_mul_f32_e32 v6, v15, v164
	v_fma_f32 v6, v14, v176, -v6
	v_add_f32_e32 v5, v5, v6
	v_mul_f32_e32 v6, v17, v165
	v_fma_f32 v6, v16, v177, -v6
	v_add_f32_e32 v5, v5, v6
	v_mul_f32_e32 v6, v19, v166
	v_fma_f32 v6, v18, v178, -v6
	v_add_f32_e32 v5, v5, v6
	v_mul_f32_e32 v6, v21, v167
	v_fma_f32 v6, v20, v179, -v6
	v_add_f32_e32 v5, v5, v6
	v_mul_f32_e32 v6, v23, v168
	v_fma_f32 v6, v22, v180, -v6
	v_add_f32_e32 v5, v5, v6
	v_mul_f32_e32 v6, v25, v169
	v_fma_f32 v6, v24, v181, -v6
	v_add_f32_e32 v5, v5, v6
	v_mul_f32_e32 v6, v27, v170
	v_fma_f32 v6, v26, v182, -v6
	v_add_f32_e32 v5, v5, v6
	v_mul_f32_e32 v6, v29, v171
	v_fma_f32 v6, v28, v183, -v6
	v_add_f32_e32 v5, v5, v6
	v_mul_f32_e32 v6, v31, v184
	v_fma_f32 v6, v30, v185, -v6
	v_add_f32_e32 v5, v5, v6
	v_mul_f32_e32 v6, v33, v186
	v_fma_f32 v6, v32, v187, -v6
	v_add_f32_e32 v5, v5, v6
	v_mul_f32_e32 v6, v35, v188
	v_fma_f32 v6, v34, v189, -v6
	v_add_f32_e32 v5, v5, v6
	v_mul_f32_e32 v6, v37, v190
	v_fma_f32 v6, v36, v191, -v6
	v_add_f32_e32 v5, v5, v6
	v_mul_f32_e32 v6, v39, v192
	v_fma_f32 v6, v38, v193, -v6
	v_add_f32_e32 v5, v5, v6
	v_mul_f32_e32 v6, v41, v194
	v_fma_f32 v6, v40, v195, -v6
	v_add_f32_e32 v5, v5, v6
	v_mul_f32_e32 v6, v43, v196
	v_fma_f32 v6, v42, v197, -v6
	v_add_f32_e32 v5, v5, v6
	v_mul_f32_e32 v6, v45, v198
	v_fma_f32 v6, v44, v199, -v6
	v_add_f32_e32 v5, v5, v6
	s_waitcnt vmcnt(23) lgkmcnt(1)
	v_mul_f32_e32 v6, v47, v200
	s_waitcnt vmcnt(22)
	v_fma_f32 v6, v46, v201, -v6
	v_add_f32_e32 v5, v5, v6
	s_waitcnt vmcnt(20)
	v_mul_f32_e32 v6, v49, v203
	v_fma_f32 v6, v48, v202, -v6
	v_add_f32_e32 v54, v5, v6
	ds_read_b128 v[6:9], v4 offset:640
	ds_read_b128 v[10:13], v4 offset:656
	;; [unrolled: 1-line block ×4, first 2 shown]
	v_mul_f32_e32 v57, v46, v200
	v_fmac_f32_e32 v57, v47, v201
	v_add_f32_e32 v55, v55, v57
	v_mul_f32_e32 v57, v48, v203
	v_fmac_f32_e32 v57, v49, v202
	v_add_f32_e32 v55, v55, v57
	s_waitcnt vmcnt(18) lgkmcnt(4)
	v_mul_f32_e32 v57, v50, v205
	v_mul_f32_e32 v5, v51, v205
	v_fmac_f32_e32 v57, v51, v204
	s_waitcnt vmcnt(16)
	v_mul_f32_e32 v65, v52, v207
	s_waitcnt vmcnt(11)
	v_mov_b32_e32 v22, v63
	s_waitcnt lgkmcnt(3)
	v_pk_mul_f32 v[22:23], v[6:7], v[22:23] op_sel_hi:[1,0]
	s_waitcnt vmcnt(10)
	v_pk_fma_f32 v[24:25], v[6:7], v[62:63], v[22:23] op_sel:[0,0,1] op_sel_hi:[1,1,0] neg_lo:[0,0,1] neg_hi:[0,0,1]
	v_pk_fma_f32 v[6:7], v[6:7], v[62:63], v[22:23] op_sel:[0,0,1] op_sel_hi:[1,0,0]
	v_mov_b32_e32 v6, v61
	v_mov_b32_e32 v25, v7
	v_pk_mul_f32 v[6:7], v[8:9], v[6:7] op_sel_hi:[1,0]
	v_pk_fma_f32 v[22:23], v[8:9], v[60:61], v[6:7] op_sel:[0,0,1] op_sel_hi:[1,1,0] neg_lo:[0,0,1] neg_hi:[0,0,1]
	v_pk_fma_f32 v[6:7], v[8:9], v[60:61], v[6:7] op_sel:[0,0,1] op_sel_hi:[1,0,0]
	v_fma_f32 v56, v50, v204, -v5
	v_mul_f32_e32 v5, v53, v207
	v_mov_b32_e32 v6, v59
	v_fmac_f32_e32 v65, v53, v206
	v_fma_f32 v64, v52, v206, -v5
	v_pk_add_f32 v[4:5], v[54:55], v[56:57]
	v_mov_b32_e32 v23, v7
	s_waitcnt lgkmcnt(2)
	v_pk_mul_f32 v[6:7], v[10:11], v[6:7] op_sel_hi:[1,0]
	v_pk_add_f32 v[4:5], v[4:5], v[64:65]
	v_pk_fma_f32 v[8:9], v[10:11], v[58:59], v[6:7] op_sel:[0,0,1] op_sel_hi:[1,1,0] neg_lo:[0,0,1] neg_hi:[0,0,1]
	v_pk_fma_f32 v[6:7], v[10:11], v[58:59], v[6:7] op_sel:[0,0,1] op_sel_hi:[1,0,0]
	v_pk_add_f32 v[4:5], v[4:5], v[24:25]
	s_waitcnt vmcnt(3)
	v_mov_b32_e32 v6, v161
	v_pk_add_f32 v[4:5], v[4:5], v[22:23]
	v_mov_b32_e32 v9, v7
	v_pk_mul_f32 v[6:7], v[12:13], v[6:7] op_sel_hi:[1,0]
	v_pk_add_f32 v[4:5], v[4:5], v[8:9]
	s_waitcnt vmcnt(2)
	v_pk_fma_f32 v[8:9], v[12:13], v[160:161], v[6:7] op_sel:[0,0,1] op_sel_hi:[1,1,0] neg_lo:[0,0,1] neg_hi:[0,0,1]
	v_pk_fma_f32 v[6:7], v[12:13], v[160:161], v[6:7] op_sel:[0,0,1] op_sel_hi:[1,0,0]
	v_mov_b32_e32 v6, v159
	v_mov_b32_e32 v9, v7
	s_waitcnt lgkmcnt(1)
	v_pk_mul_f32 v[6:7], v[14:15], v[6:7] op_sel_hi:[1,0]
	v_pk_add_f32 v[4:5], v[4:5], v[8:9]
	v_pk_fma_f32 v[8:9], v[14:15], v[158:159], v[6:7] op_sel:[0,0,1] op_sel_hi:[1,1,0] neg_lo:[0,0,1] neg_hi:[0,0,1]
	v_pk_fma_f32 v[6:7], v[14:15], v[158:159], v[6:7] op_sel:[0,0,1] op_sel_hi:[1,0,0]
	v_mov_b32_e32 v6, v157
	v_mov_b32_e32 v9, v7
	v_pk_mul_f32 v[6:7], v[16:17], v[6:7] op_sel_hi:[1,0]
	v_pk_add_f32 v[4:5], v[4:5], v[8:9]
	v_pk_fma_f32 v[8:9], v[16:17], v[156:157], v[6:7] op_sel:[0,0,1] op_sel_hi:[1,1,0] neg_lo:[0,0,1] neg_hi:[0,0,1]
	v_pk_fma_f32 v[6:7], v[16:17], v[156:157], v[6:7] op_sel:[0,0,1] op_sel_hi:[1,0,0]
	v_mov_b32_e32 v6, v155
	v_mov_b32_e32 v9, v7
	s_waitcnt lgkmcnt(0)
	v_pk_mul_f32 v[6:7], v[18:19], v[6:7] op_sel_hi:[1,0]
	v_pk_add_f32 v[4:5], v[4:5], v[8:9]
	v_pk_fma_f32 v[8:9], v[18:19], v[154:155], v[6:7] op_sel:[0,0,1] op_sel_hi:[1,1,0] neg_lo:[0,0,1] neg_hi:[0,0,1]
	v_pk_fma_f32 v[6:7], v[18:19], v[154:155], v[6:7] op_sel:[0,0,1] op_sel_hi:[1,0,0]
	s_waitcnt vmcnt(1)
	v_mov_b32_e32 v6, v163
	v_mov_b32_e32 v9, v7
	v_pk_mul_f32 v[6:7], v[20:21], v[6:7] op_sel_hi:[1,0]
	v_pk_add_f32 v[4:5], v[4:5], v[8:9]
	s_waitcnt vmcnt(0)
	v_pk_fma_f32 v[8:9], v[20:21], v[162:163], v[6:7] op_sel:[0,0,1] op_sel_hi:[1,1,0] neg_lo:[0,0,1] neg_hi:[0,0,1]
	v_pk_fma_f32 v[6:7], v[20:21], v[162:163], v[6:7] op_sel:[0,0,1] op_sel_hi:[1,0,0]
	v_mov_b32_e32 v9, v7
	v_pk_add_f32 v[4:5], v[4:5], v[8:9]
	v_pk_add_f32 v[2:3], v[2:3], v[4:5] neg_lo:[0,1] neg_hi:[0,1]
	buffer_store_dword v3, off, s[0:3], 0 offset:92
	buffer_store_dword v2, off, s[0:3], 0 offset:88
	s_and_saveexec_b64 s[4:5], vcc
	s_cbranch_execz .LBB107_257
; %bb.256:
	buffer_load_dword v2, off, s[0:3], 0 offset:80
	buffer_load_dword v3, off, s[0:3], 0 offset:84
	v_mov_b32_e32 v4, 0
	buffer_store_dword v4, off, s[0:3], 0 offset:80
	buffer_store_dword v4, off, s[0:3], 0 offset:84
	s_waitcnt vmcnt(2)
	ds_write_b64 v1, v[2:3]
.LBB107_257:
	s_or_b64 exec, exec, s[4:5]
	s_waitcnt lgkmcnt(0)
	; wave barrier
	s_waitcnt lgkmcnt(0)
	buffer_load_dword v5, off, s[0:3], 0 offset:92
	buffer_load_dword v62, off, s[0:3], 0 offset:100
	;; [unrolled: 1-line block ×52, first 2 shown]
	v_mov_b32_e32 v4, 0
	ds_read2_b64 v[6:9], v4 offset0:55 offset1:56
	ds_read2_b64 v[10:13], v4 offset0:57 offset1:58
	;; [unrolled: 1-line block ×6, first 2 shown]
	v_cmp_lt_u32_e32 vcc, 9, v0
	s_waitcnt vmcnt(51) lgkmcnt(5)
	v_mul_f32_e32 v30, v6, v5
	s_waitcnt vmcnt(50)
	v_mul_f32_e32 v31, v8, v62
	s_waitcnt vmcnt(49) lgkmcnt(4)
	v_mul_f32_e32 v32, v10, v156
	s_waitcnt vmcnt(48)
	v_mul_f32_e32 v33, v12, v158
	;; [unrolled: 4-line block ×5, first 2 shown]
	s_waitcnt vmcnt(41) lgkmcnt(0)
	v_mul_f32_e32 v40, v26, v178
	s_waitcnt vmcnt(40)
	v_fmac_f32_e32 v30, v7, v179
	s_waitcnt vmcnt(39)
	v_fmac_f32_e32 v31, v9, v180
	v_add_f32_e32 v30, 0, v30
	s_waitcnt vmcnt(38)
	v_fmac_f32_e32 v32, v11, v181
	v_add_f32_e32 v30, v30, v31
	;; [unrolled: 3-line block ×9, first 2 shown]
	v_add_f32_e32 v30, v30, v39
	s_waitcnt vmcnt(30)
	v_fmac_f32_e32 v40, v27, v189
	v_add_f32_e32 v34, v30, v40
	ds_read2_b64 v[30:33], v4 offset0:67 offset1:68
	s_waitcnt vmcnt(29)
	v_mul_f32_e32 v35, v28, v190
	s_waitcnt vmcnt(28)
	v_fmac_f32_e32 v35, v29, v191
	v_add_f32_e32 v38, v34, v35
	ds_read2_b64 v[34:37], v4 offset0:69 offset1:70
	s_waitcnt vmcnt(27) lgkmcnt(1)
	v_mul_f32_e32 v39, v30, v192
	s_waitcnt vmcnt(26)
	v_fmac_f32_e32 v39, v31, v193
	v_add_f32_e32 v38, v38, v39
	s_waitcnt vmcnt(25)
	v_mul_f32_e32 v39, v32, v194
	s_waitcnt vmcnt(24)
	v_fmac_f32_e32 v39, v33, v195
	v_add_f32_e32 v38, v38, v39
	s_waitcnt vmcnt(23) lgkmcnt(0)
	v_mul_f32_e32 v39, v34, v196
	s_waitcnt vmcnt(22)
	v_fmac_f32_e32 v39, v35, v197
	v_add_f32_e32 v42, v38, v39
	ds_read2_b64 v[38:41], v4 offset0:71 offset1:72
	s_waitcnt vmcnt(21)
	v_mul_f32_e32 v43, v36, v198
	s_waitcnt vmcnt(20)
	v_fmac_f32_e32 v43, v37, v199
	v_add_f32_e32 v46, v42, v43
	ds_read2_b64 v[42:45], v4 offset0:73 offset1:74
	s_waitcnt vmcnt(19) lgkmcnt(1)
	v_mul_f32_e32 v47, v38, v200
	s_waitcnt vmcnt(18)
	v_fmac_f32_e32 v47, v39, v201
	v_add_f32_e32 v46, v46, v47
	s_waitcnt vmcnt(17)
	v_mul_f32_e32 v47, v40, v202
	s_waitcnt vmcnt(16)
	v_fmac_f32_e32 v47, v41, v203
	v_add_f32_e32 v46, v46, v47
	s_waitcnt vmcnt(14) lgkmcnt(0)
	v_mul_f32_e32 v47, v42, v205
	v_fmac_f32_e32 v47, v43, v204
	v_add_f32_e32 v50, v46, v47
	ds_read2_b64 v[46:49], v4 offset0:75 offset1:76
	s_waitcnt vmcnt(10)
	v_mul_f32_e32 v51, v44, v207
	v_fmac_f32_e32 v51, v45, v206
	v_add_f32_e32 v54, v50, v51
	ds_read2_b64 v[50:53], v4 offset0:77 offset1:78
	s_waitcnt vmcnt(8) lgkmcnt(1)
	v_mul_f32_e32 v55, v46, v209
	v_fmac_f32_e32 v55, v47, v208
	v_add_f32_e32 v54, v54, v55
	s_waitcnt vmcnt(6)
	v_mul_f32_e32 v55, v48, v211
	v_fmac_f32_e32 v55, v49, v210
	v_add_f32_e32 v54, v54, v55
	s_waitcnt vmcnt(4) lgkmcnt(0)
	v_mul_f32_e32 v55, v50, v213
	v_fmac_f32_e32 v55, v51, v212
	v_add_f32_e32 v63, v54, v55
	ds_read2_b64 v[54:57], v4 offset0:79 offset1:80
	buffer_load_dword v65, off, s[0:3], 0 offset:300
	buffer_load_dword v64, off, s[0:3], 0 offset:296
	;; [unrolled: 1-line block ×4, first 2 shown]
	ds_read2_b64 v[58:61], v4 offset0:81 offset1:82
	buffer_load_dword v161, off, s[0:3], 0 offset:332
	buffer_load_dword v160, off, s[0:3], 0 offset:328
	buffer_load_dword v163, off, s[0:3], 0 offset:324
	buffer_load_dword v162, off, s[0:3], 0 offset:320
	buffer_load_dword v165, off, s[0:3], 0 offset:316
	buffer_load_dword v164, off, s[0:3], 0 offset:312
	buffer_load_dword v167, off, s[0:3], 0 offset:308
	buffer_load_dword v166, off, s[0:3], 0 offset:304
	buffer_load_dword v169, off, s[0:3], 0 offset:348
	buffer_load_dword v168, off, s[0:3], 0 offset:344
	buffer_load_dword v171, off, s[0:3], 0 offset:340
	buffer_load_dword v170, off, s[0:3], 0 offset:336
	v_mul_f32_e32 v5, v7, v5
	v_fma_f32 v5, v6, v179, -v5
	v_mul_f32_e32 v6, v9, v62
	v_add_f32_e32 v5, 0, v5
	v_fma_f32 v6, v8, v180, -v6
	v_add_f32_e32 v5, v5, v6
	v_mul_f32_e32 v6, v11, v156
	v_fma_f32 v6, v10, v181, -v6
	v_add_f32_e32 v5, v5, v6
	v_mul_f32_e32 v6, v13, v158
	;; [unrolled: 3-line block ×21, first 2 shown]
	v_fma_f32 v6, v50, v212, -v6
	s_waitcnt vmcnt(18)
	v_mul_f32_e32 v157, v52, v215
	v_add_f32_e32 v62, v5, v6
	v_mul_f32_e32 v5, v53, v215
	v_fmac_f32_e32 v157, v53, v214
	s_waitcnt vmcnt(16) lgkmcnt(1)
	v_mul_f32_e32 v159, v54, v217
	v_fma_f32 v156, v52, v214, -v5
	v_mul_f32_e32 v5, v55, v217
	v_fmac_f32_e32 v159, v55, v216
	s_waitcnt vmcnt(13)
	v_mov_b32_e32 v18, v155
	v_pk_mul_f32 v[18:19], v[56:57], v[18:19] op_sel_hi:[1,0]
	s_waitcnt vmcnt(12)
	v_pk_fma_f32 v[20:21], v[56:57], v[154:155], v[18:19] op_sel:[0,0,1] op_sel_hi:[1,1,0] neg_lo:[0,0,1] neg_hi:[0,0,1]
	v_pk_fma_f32 v[18:19], v[56:57], v[154:155], v[18:19] op_sel:[0,0,1] op_sel_hi:[1,0,0]
	v_fma_f32 v158, v54, v216, -v5
	v_pk_add_f32 v[16:17], v[62:63], v[156:157]
	v_mov_b32_e32 v18, v65
	v_pk_add_f32 v[16:17], v[16:17], v[158:159]
	v_mov_b32_e32 v21, v19
	s_waitcnt lgkmcnt(0)
	v_pk_mul_f32 v[18:19], v[58:59], v[18:19] op_sel_hi:[1,0]
	v_pk_add_f32 v[16:17], v[16:17], v[20:21]
	v_pk_fma_f32 v[20:21], v[58:59], v[64:65], v[18:19] op_sel:[0,0,1] op_sel_hi:[1,1,0] neg_lo:[0,0,1] neg_hi:[0,0,1]
	v_pk_fma_f32 v[18:19], v[58:59], v[64:65], v[18:19] op_sel:[0,0,1] op_sel_hi:[1,0,0]
	s_waitcnt vmcnt(5)
	v_mov_b32_e32 v18, v167
	ds_read2_b64 v[6:9], v4 offset0:83 offset1:84
	ds_read2_b64 v[10:13], v4 offset0:85 offset1:86
	ds_read_b64 v[14:15], v4 offset:696
	v_mov_b32_e32 v21, v19
	v_pk_mul_f32 v[18:19], v[60:61], v[18:19] op_sel_hi:[1,0]
	v_pk_add_f32 v[16:17], v[16:17], v[20:21]
	s_waitcnt vmcnt(4)
	v_pk_fma_f32 v[20:21], v[60:61], v[166:167], v[18:19] op_sel:[0,0,1] op_sel_hi:[1,1,0] neg_lo:[0,0,1] neg_hi:[0,0,1]
	v_pk_fma_f32 v[18:19], v[60:61], v[166:167], v[18:19] op_sel:[0,0,1] op_sel_hi:[1,0,0]
	v_mov_b32_e32 v18, v165
	v_mov_b32_e32 v21, v19
	s_waitcnt lgkmcnt(2)
	v_pk_mul_f32 v[18:19], v[6:7], v[18:19] op_sel_hi:[1,0]
	v_pk_add_f32 v[16:17], v[16:17], v[20:21]
	v_pk_fma_f32 v[20:21], v[6:7], v[164:165], v[18:19] op_sel:[0,0,1] op_sel_hi:[1,1,0] neg_lo:[0,0,1] neg_hi:[0,0,1]
	v_pk_fma_f32 v[6:7], v[6:7], v[164:165], v[18:19] op_sel:[0,0,1] op_sel_hi:[1,0,0]
	v_mov_b32_e32 v21, v7
	v_pk_add_f32 v[6:7], v[16:17], v[20:21]
	v_mov_b32_e32 v16, v163
	v_pk_mul_f32 v[16:17], v[8:9], v[16:17] op_sel_hi:[1,0]
	v_pk_fma_f32 v[18:19], v[8:9], v[162:163], v[16:17] op_sel:[0,0,1] op_sel_hi:[1,1,0] neg_lo:[0,0,1] neg_hi:[0,0,1]
	v_pk_fma_f32 v[8:9], v[8:9], v[162:163], v[16:17] op_sel:[0,0,1] op_sel_hi:[1,0,0]
	v_mov_b32_e32 v8, v161
	v_mov_b32_e32 v19, v9
	s_waitcnt lgkmcnt(1)
	v_pk_mul_f32 v[8:9], v[10:11], v[8:9] op_sel_hi:[1,0]
	v_pk_fma_f32 v[16:17], v[10:11], v[160:161], v[8:9] op_sel:[0,0,1] op_sel_hi:[1,1,0] neg_lo:[0,0,1] neg_hi:[0,0,1]
	v_pk_fma_f32 v[8:9], v[10:11], v[160:161], v[8:9] op_sel:[0,0,1] op_sel_hi:[1,0,0]
	s_waitcnt vmcnt(1)
	v_mov_b32_e32 v8, v171
	v_mov_b32_e32 v17, v9
	v_pk_mul_f32 v[8:9], v[12:13], v[8:9] op_sel_hi:[1,0]
	s_waitcnt vmcnt(0)
	v_pk_fma_f32 v[10:11], v[12:13], v[170:171], v[8:9] op_sel:[0,0,1] op_sel_hi:[1,1,0] neg_lo:[0,0,1] neg_hi:[0,0,1]
	v_pk_fma_f32 v[8:9], v[12:13], v[170:171], v[8:9] op_sel:[0,0,1] op_sel_hi:[1,0,0]
	v_pk_add_f32 v[6:7], v[6:7], v[18:19]
	v_mov_b32_e32 v8, v169
	v_pk_add_f32 v[6:7], v[6:7], v[16:17]
	v_mov_b32_e32 v11, v9
	s_waitcnt lgkmcnt(0)
	v_pk_mul_f32 v[8:9], v[14:15], v[8:9] op_sel_hi:[1,0]
	v_pk_add_f32 v[6:7], v[6:7], v[10:11]
	v_pk_fma_f32 v[10:11], v[14:15], v[168:169], v[8:9] op_sel:[0,0,1] op_sel_hi:[1,1,0] neg_lo:[0,0,1] neg_hi:[0,0,1]
	v_pk_fma_f32 v[8:9], v[14:15], v[168:169], v[8:9] op_sel:[0,0,1] op_sel_hi:[1,0,0]
	v_mov_b32_e32 v11, v9
	v_pk_add_f32 v[6:7], v[6:7], v[10:11]
	v_pk_add_f32 v[2:3], v[2:3], v[6:7] neg_lo:[0,1] neg_hi:[0,1]
	buffer_store_dword v3, off, s[0:3], 0 offset:84
	buffer_store_dword v2, off, s[0:3], 0 offset:80
	s_and_saveexec_b64 s[4:5], vcc
	s_cbranch_execz .LBB107_259
; %bb.258:
	buffer_load_dword v2, off, s[0:3], 0 offset:72
	buffer_load_dword v3, off, s[0:3], 0 offset:76
	s_waitcnt vmcnt(0)
	ds_write_b64 v1, v[2:3]
	buffer_store_dword v4, off, s[0:3], 0 offset:72
	buffer_store_dword v4, off, s[0:3], 0 offset:76
.LBB107_259:
	s_or_b64 exec, exec, s[4:5]
	s_waitcnt lgkmcnt(0)
	; wave barrier
	s_waitcnt lgkmcnt(0)
	buffer_load_dword v5, off, s[0:3], 0 offset:84
	buffer_load_dword v64, off, s[0:3], 0 offset:92
	;; [unrolled: 1-line block ×42, first 2 shown]
	ds_read_b128 v[6:9], v4 offset:432
	ds_read_b128 v[10:13], v4 offset:448
	buffer_load_dword v208, off, s[0:3], 0 offset:240
	buffer_load_dword v209, off, s[0:3], 0 offset:244
	ds_read_b128 v[14:17], v4 offset:464
	ds_read_b128 v[18:21], v4 offset:480
	buffer_load_dword v210, off, s[0:3], 0 offset:248
	buffer_load_dword v211, off, s[0:3], 0 offset:252
	;; [unrolled: 1-line block ×4, first 2 shown]
	ds_read_b128 v[22:25], v4 offset:496
	ds_read_b128 v[26:29], v4 offset:512
	buffer_load_dword v214, off, s[0:3], 0 offset:264
	buffer_load_dword v215, off, s[0:3], 0 offset:268
	;; [unrolled: 1-line block ×6, first 2 shown]
	v_cmp_lt_u32_e32 vcc, 8, v0
	s_waitcnt vmcnt(53) lgkmcnt(5)
	v_mul_f32_e32 v30, v6, v5
	s_waitcnt vmcnt(52)
	v_mul_f32_e32 v31, v8, v64
	s_waitcnt vmcnt(51) lgkmcnt(4)
	v_mul_f32_e32 v32, v10, v154
	s_waitcnt vmcnt(50)
	v_mul_f32_e32 v33, v12, v156
	;; [unrolled: 4-line block ×5, first 2 shown]
	s_waitcnt vmcnt(43)
	v_fmac_f32_e32 v30, v7, v178
	s_waitcnt vmcnt(42)
	v_fmac_f32_e32 v31, v9, v179
	v_add_f32_e32 v30, 0, v30
	s_waitcnt vmcnt(41)
	v_fmac_f32_e32 v32, v11, v180
	v_add_f32_e32 v30, v30, v31
	;; [unrolled: 3-line block ×9, first 2 shown]
	s_waitcnt vmcnt(33) lgkmcnt(0)
	v_mul_f32_e32 v31, v26, v188
	v_add_f32_e32 v30, v30, v39
	s_waitcnt vmcnt(32)
	v_fmac_f32_e32 v31, v27, v189
	v_add_f32_e32 v34, v30, v31
	ds_read_b128 v[30:33], v4 offset:528
	s_waitcnt vmcnt(31)
	v_mul_f32_e32 v35, v28, v190
	s_waitcnt vmcnt(30)
	v_fmac_f32_e32 v35, v29, v191
	v_add_f32_e32 v38, v34, v35
	ds_read_b128 v[34:37], v4 offset:544
	s_waitcnt vmcnt(29) lgkmcnt(1)
	v_mul_f32_e32 v39, v30, v192
	s_waitcnt vmcnt(28)
	v_fmac_f32_e32 v39, v31, v193
	v_add_f32_e32 v38, v38, v39
	s_waitcnt vmcnt(27)
	v_mul_f32_e32 v39, v32, v194
	s_waitcnt vmcnt(26)
	v_fmac_f32_e32 v39, v33, v195
	v_add_f32_e32 v38, v38, v39
	s_waitcnt vmcnt(25) lgkmcnt(0)
	v_mul_f32_e32 v39, v34, v196
	s_waitcnt vmcnt(24)
	v_fmac_f32_e32 v39, v35, v197
	v_add_f32_e32 v42, v38, v39
	ds_read_b128 v[38:41], v4 offset:560
	s_waitcnt vmcnt(23)
	v_mul_f32_e32 v43, v36, v198
	s_waitcnt vmcnt(22)
	v_fmac_f32_e32 v43, v37, v199
	v_add_f32_e32 v46, v42, v43
	ds_read_b128 v[42:45], v4 offset:576
	s_waitcnt vmcnt(21) lgkmcnt(1)
	v_mul_f32_e32 v47, v38, v200
	s_waitcnt vmcnt(20)
	v_fmac_f32_e32 v47, v39, v201
	v_add_f32_e32 v46, v46, v47
	s_waitcnt vmcnt(18)
	v_mul_f32_e32 v47, v40, v203
	v_fmac_f32_e32 v47, v41, v202
	v_add_f32_e32 v46, v46, v47
	s_waitcnt vmcnt(15) lgkmcnt(0)
	v_mul_f32_e32 v47, v42, v204
	s_waitcnt vmcnt(14)
	v_fmac_f32_e32 v47, v43, v205
	v_add_f32_e32 v50, v46, v47
	ds_read_b128 v[46:49], v4 offset:592
	s_waitcnt vmcnt(12)
	v_mul_f32_e32 v51, v44, v207
	v_fmac_f32_e32 v51, v45, v206
	v_add_f32_e32 v54, v50, v51
	ds_read_b128 v[50:53], v4 offset:608
	buffer_load_dword v63, off, s[0:3], 0 offset:292
	buffer_load_dword v62, off, s[0:3], 0 offset:288
	s_waitcnt vmcnt(12) lgkmcnt(1)
	v_mul_f32_e32 v55, v46, v209
	v_fmac_f32_e32 v55, v47, v208
	v_add_f32_e32 v54, v54, v55
	s_waitcnt vmcnt(10)
	v_mul_f32_e32 v55, v48, v211
	v_fmac_f32_e32 v55, v49, v210
	v_add_f32_e32 v54, v54, v55
	s_waitcnt vmcnt(8) lgkmcnt(0)
	v_mul_f32_e32 v55, v50, v213
	v_fmac_f32_e32 v55, v51, v212
	s_waitcnt vmcnt(6)
	v_mul_f32_e32 v59, v52, v215
	v_add_f32_e32 v58, v54, v55
	v_fmac_f32_e32 v59, v53, v214
	ds_read_b128 v[54:57], v4 offset:624
	v_add_f32_e32 v65, v58, v59
	ds_read_b128 v[58:61], v4 offset:640
	buffer_load_dword v159, off, s[0:3], 0 offset:324
	buffer_load_dword v158, off, s[0:3], 0 offset:320
	;; [unrolled: 1-line block ×14, first 2 shown]
	v_mul_f32_e32 v5, v7, v5
	v_fma_f32 v5, v6, v178, -v5
	v_mul_f32_e32 v6, v9, v64
	v_add_f32_e32 v5, 0, v5
	v_fma_f32 v6, v8, v179, -v6
	v_add_f32_e32 v5, v5, v6
	v_mul_f32_e32 v6, v11, v154
	v_fma_f32 v6, v10, v180, -v6
	v_add_f32_e32 v5, v5, v6
	v_mul_f32_e32 v6, v13, v156
	;; [unrolled: 3-line block ×22, first 2 shown]
	v_fma_f32 v6, v52, v214, -v6
	s_waitcnt vmcnt(15)
	v_mov_b32_e32 v18, v63
	s_waitcnt lgkmcnt(1)
	v_mul_f32_e32 v155, v54, v217
	v_add_f32_e32 v64, v5, v6
	v_mul_f32_e32 v5, v55, v217
	s_waitcnt lgkmcnt(0)
	v_pk_mul_f32 v[18:19], v[58:59], v[18:19] op_sel_hi:[1,0]
	v_fmac_f32_e32 v155, v55, v216
	v_mul_f32_e32 v157, v56, v219
	v_fma_f32 v154, v54, v216, -v5
	v_mul_f32_e32 v5, v57, v219
	s_waitcnt vmcnt(14)
	v_pk_fma_f32 v[20:21], v[58:59], v[62:63], v[18:19] op_sel:[0,0,1] op_sel_hi:[1,1,0] neg_lo:[0,0,1] neg_hi:[0,0,1]
	v_pk_fma_f32 v[18:19], v[58:59], v[62:63], v[18:19] op_sel:[0,0,1] op_sel_hi:[1,0,0]
	v_fmac_f32_e32 v157, v57, v218
	v_fma_f32 v156, v56, v218, -v5
	ds_read_b128 v[6:9], v4 offset:656
	ds_read_b128 v[10:13], v4 offset:672
	;; [unrolled: 1-line block ×3, first 2 shown]
	v_pk_add_f32 v[4:5], v[64:65], v[154:155]
	s_waitcnt vmcnt(7)
	v_mov_b32_e32 v18, v165
	v_pk_add_f32 v[4:5], v[4:5], v[156:157]
	v_mov_b32_e32 v21, v19
	v_pk_mul_f32 v[18:19], v[60:61], v[18:19] op_sel_hi:[1,0]
	v_pk_add_f32 v[4:5], v[4:5], v[20:21]
	s_waitcnt vmcnt(6)
	v_pk_fma_f32 v[20:21], v[60:61], v[164:165], v[18:19] op_sel:[0,0,1] op_sel_hi:[1,1,0] neg_lo:[0,0,1] neg_hi:[0,0,1]
	v_pk_fma_f32 v[18:19], v[60:61], v[164:165], v[18:19] op_sel:[0,0,1] op_sel_hi:[1,0,0]
	v_mov_b32_e32 v18, v163
	v_mov_b32_e32 v21, v19
	s_waitcnt lgkmcnt(2)
	v_pk_mul_f32 v[18:19], v[6:7], v[18:19] op_sel_hi:[1,0]
	v_pk_add_f32 v[4:5], v[4:5], v[20:21]
	v_pk_fma_f32 v[20:21], v[6:7], v[162:163], v[18:19] op_sel:[0,0,1] op_sel_hi:[1,1,0] neg_lo:[0,0,1] neg_hi:[0,0,1]
	v_pk_fma_f32 v[6:7], v[6:7], v[162:163], v[18:19] op_sel:[0,0,1] op_sel_hi:[1,0,0]
	v_mov_b32_e32 v6, v161
	v_mov_b32_e32 v21, v7
	v_pk_mul_f32 v[6:7], v[8:9], v[6:7] op_sel_hi:[1,0]
	v_pk_fma_f32 v[18:19], v[8:9], v[160:161], v[6:7] op_sel:[0,0,1] op_sel_hi:[1,1,0] neg_lo:[0,0,1] neg_hi:[0,0,1]
	v_pk_fma_f32 v[6:7], v[8:9], v[160:161], v[6:7] op_sel:[0,0,1] op_sel_hi:[1,0,0]
	v_mov_b32_e32 v6, v159
	v_mov_b32_e32 v19, v7
	s_waitcnt lgkmcnt(1)
	v_pk_mul_f32 v[6:7], v[10:11], v[6:7] op_sel_hi:[1,0]
	v_pk_fma_f32 v[8:9], v[10:11], v[158:159], v[6:7] op_sel:[0,0,1] op_sel_hi:[1,1,0] neg_lo:[0,0,1] neg_hi:[0,0,1]
	v_pk_fma_f32 v[6:7], v[10:11], v[158:159], v[6:7] op_sel:[0,0,1] op_sel_hi:[1,0,0]
	v_pk_add_f32 v[4:5], v[4:5], v[20:21]
	s_waitcnt vmcnt(1)
	v_mov_b32_e32 v6, v171
	v_pk_add_f32 v[4:5], v[4:5], v[18:19]
	v_mov_b32_e32 v9, v7
	v_pk_mul_f32 v[6:7], v[12:13], v[6:7] op_sel_hi:[1,0]
	v_pk_add_f32 v[4:5], v[4:5], v[8:9]
	s_waitcnt vmcnt(0)
	v_pk_fma_f32 v[8:9], v[12:13], v[170:171], v[6:7] op_sel:[0,0,1] op_sel_hi:[1,1,0] neg_lo:[0,0,1] neg_hi:[0,0,1]
	v_pk_fma_f32 v[6:7], v[12:13], v[170:171], v[6:7] op_sel:[0,0,1] op_sel_hi:[1,0,0]
	v_mov_b32_e32 v6, v169
	v_mov_b32_e32 v9, v7
	s_waitcnt lgkmcnt(0)
	v_pk_mul_f32 v[6:7], v[14:15], v[6:7] op_sel_hi:[1,0]
	v_pk_add_f32 v[4:5], v[4:5], v[8:9]
	v_pk_fma_f32 v[8:9], v[14:15], v[168:169], v[6:7] op_sel:[0,0,1] op_sel_hi:[1,1,0] neg_lo:[0,0,1] neg_hi:[0,0,1]
	v_pk_fma_f32 v[6:7], v[14:15], v[168:169], v[6:7] op_sel:[0,0,1] op_sel_hi:[1,0,0]
	v_mov_b32_e32 v6, v167
	v_mov_b32_e32 v9, v7
	v_pk_mul_f32 v[6:7], v[16:17], v[6:7] op_sel_hi:[1,0]
	v_pk_add_f32 v[4:5], v[4:5], v[8:9]
	v_pk_fma_f32 v[8:9], v[16:17], v[166:167], v[6:7] op_sel:[0,0,1] op_sel_hi:[1,1,0] neg_lo:[0,0,1] neg_hi:[0,0,1]
	v_pk_fma_f32 v[6:7], v[16:17], v[166:167], v[6:7] op_sel:[0,0,1] op_sel_hi:[1,0,0]
	v_mov_b32_e32 v9, v7
	v_pk_add_f32 v[4:5], v[4:5], v[8:9]
	v_pk_add_f32 v[2:3], v[2:3], v[4:5] neg_lo:[0,1] neg_hi:[0,1]
	buffer_store_dword v3, off, s[0:3], 0 offset:76
	buffer_store_dword v2, off, s[0:3], 0 offset:72
	s_and_saveexec_b64 s[4:5], vcc
	s_cbranch_execz .LBB107_261
; %bb.260:
	buffer_load_dword v2, off, s[0:3], 0 offset:64
	buffer_load_dword v3, off, s[0:3], 0 offset:68
	v_mov_b32_e32 v4, 0
	buffer_store_dword v4, off, s[0:3], 0 offset:64
	buffer_store_dword v4, off, s[0:3], 0 offset:68
	s_waitcnt vmcnt(2)
	ds_write_b64 v1, v[2:3]
.LBB107_261:
	s_or_b64 exec, exec, s[4:5]
	s_waitcnt lgkmcnt(0)
	; wave barrier
	s_waitcnt lgkmcnt(0)
	buffer_load_dword v5, off, s[0:3], 0 offset:76
	buffer_load_dword v62, off, s[0:3], 0 offset:84
	;; [unrolled: 1-line block ×56, first 2 shown]
	v_mov_b32_e32 v4, 0
	ds_read2_b64 v[6:9], v4 offset0:53 offset1:54
	ds_read2_b64 v[10:13], v4 offset0:55 offset1:56
	;; [unrolled: 1-line block ×6, first 2 shown]
	v_cmp_lt_u32_e32 vcc, 7, v0
	s_waitcnt vmcnt(55) lgkmcnt(5)
	v_mul_f32_e32 v30, v6, v5
	s_waitcnt vmcnt(54)
	v_mul_f32_e32 v31, v8, v62
	s_waitcnt vmcnt(53) lgkmcnt(4)
	v_mul_f32_e32 v32, v10, v64
	s_waitcnt vmcnt(52)
	v_mul_f32_e32 v33, v12, v154
	;; [unrolled: 4-line block ×4, first 2 shown]
	s_waitcnt vmcnt(47) lgkmcnt(1)
	v_mul_f32_e32 v38, v22, v176
	s_waitcnt vmcnt(46)
	v_fmac_f32_e32 v30, v7, v177
	s_waitcnt vmcnt(45)
	v_fmac_f32_e32 v31, v9, v178
	v_add_f32_e32 v30, 0, v30
	s_waitcnt vmcnt(44)
	v_fmac_f32_e32 v32, v11, v179
	v_add_f32_e32 v30, v30, v31
	;; [unrolled: 3-line block ×7, first 2 shown]
	v_add_f32_e32 v30, v30, v37
	s_waitcnt vmcnt(38)
	v_fmac_f32_e32 v38, v23, v185
	s_waitcnt vmcnt(37)
	v_mul_f32_e32 v31, v24, v186
	v_add_f32_e32 v30, v30, v38
	s_waitcnt vmcnt(36)
	v_fmac_f32_e32 v31, v25, v187
	v_add_f32_e32 v30, v30, v31
	s_waitcnt vmcnt(35) lgkmcnt(0)
	v_mul_f32_e32 v31, v26, v188
	s_waitcnt vmcnt(34)
	v_fmac_f32_e32 v31, v27, v189
	v_add_f32_e32 v34, v30, v31
	ds_read2_b64 v[30:33], v4 offset0:65 offset1:66
	s_waitcnt vmcnt(33)
	v_mul_f32_e32 v35, v28, v190
	s_waitcnt vmcnt(32)
	v_fmac_f32_e32 v35, v29, v191
	v_add_f32_e32 v38, v34, v35
	ds_read2_b64 v[34:37], v4 offset0:67 offset1:68
	s_waitcnt vmcnt(31) lgkmcnt(1)
	v_mul_f32_e32 v39, v30, v192
	s_waitcnt vmcnt(30)
	v_fmac_f32_e32 v39, v31, v193
	v_add_f32_e32 v38, v38, v39
	s_waitcnt vmcnt(29)
	v_mul_f32_e32 v39, v32, v194
	s_waitcnt vmcnt(28)
	v_fmac_f32_e32 v39, v33, v195
	v_add_f32_e32 v38, v38, v39
	s_waitcnt vmcnt(27) lgkmcnt(0)
	v_mul_f32_e32 v39, v34, v196
	s_waitcnt vmcnt(26)
	v_fmac_f32_e32 v39, v35, v197
	v_add_f32_e32 v42, v38, v39
	ds_read2_b64 v[38:41], v4 offset0:69 offset1:70
	s_waitcnt vmcnt(24)
	v_mul_f32_e32 v43, v36, v199
	v_fmac_f32_e32 v43, v37, v198
	v_add_f32_e32 v46, v42, v43
	ds_read2_b64 v[42:45], v4 offset0:71 offset1:72
	s_waitcnt vmcnt(20) lgkmcnt(1)
	v_mul_f32_e32 v47, v38, v201
	v_fmac_f32_e32 v47, v39, v200
	v_add_f32_e32 v46, v46, v47
	s_waitcnt vmcnt(18)
	v_mul_f32_e32 v47, v40, v203
	v_fmac_f32_e32 v47, v41, v202
	v_add_f32_e32 v46, v46, v47
	s_waitcnt vmcnt(16) lgkmcnt(0)
	v_mul_f32_e32 v47, v42, v205
	v_fmac_f32_e32 v47, v43, v204
	v_add_f32_e32 v50, v46, v47
	ds_read2_b64 v[46:49], v4 offset0:73 offset1:74
	s_waitcnt vmcnt(14)
	v_mul_f32_e32 v51, v44, v207
	v_fmac_f32_e32 v51, v45, v206
	v_add_f32_e32 v54, v50, v51
	ds_read2_b64 v[50:53], v4 offset0:75 offset1:76
	s_waitcnt vmcnt(12) lgkmcnt(1)
	v_mul_f32_e32 v55, v46, v209
	v_fmac_f32_e32 v55, v47, v208
	v_add_f32_e32 v54, v54, v55
	s_waitcnt vmcnt(10)
	v_mul_f32_e32 v55, v48, v211
	v_fmac_f32_e32 v55, v49, v210
	v_add_f32_e32 v54, v54, v55
	s_waitcnt vmcnt(8) lgkmcnt(0)
	v_mul_f32_e32 v55, v50, v213
	v_fmac_f32_e32 v55, v51, v212
	s_waitcnt vmcnt(6)
	v_mul_f32_e32 v59, v52, v215
	v_add_f32_e32 v58, v54, v55
	v_fmac_f32_e32 v59, v53, v214
	ds_read2_b64 v[54:57], v4 offset0:77 offset1:78
	v_add_f32_e32 v63, v58, v59
	ds_read2_b64 v[58:61], v4 offset0:79 offset1:80
	buffer_load_dword v157, off, s[0:3], 0 offset:316
	buffer_load_dword v156, off, s[0:3], 0 offset:312
	;; [unrolled: 1-line block ×16, first 2 shown]
	v_mul_f32_e32 v5, v7, v5
	v_fma_f32 v5, v6, v177, -v5
	v_mul_f32_e32 v6, v9, v62
	v_add_f32_e32 v5, 0, v5
	v_fma_f32 v6, v8, v178, -v6
	v_add_f32_e32 v5, v5, v6
	v_mul_f32_e32 v6, v11, v64
	v_fma_f32 v6, v10, v179, -v6
	v_add_f32_e32 v5, v5, v6
	v_mul_f32_e32 v6, v13, v154
	;; [unrolled: 3-line block ×22, first 2 shown]
	v_fma_f32 v6, v52, v214, -v6
	s_waitcnt vmcnt(20) lgkmcnt(1)
	v_mul_f32_e32 v65, v54, v217
	v_add_f32_e32 v5, v5, v6
	v_mul_f32_e32 v6, v55, v217
	v_fmac_f32_e32 v65, v55, v216
	v_fma_f32 v6, v54, v216, -v6
	s_waitcnt vmcnt(9)
	v_mov_b32_e32 v22, v163
	v_add_f32_e32 v63, v63, v65
	v_mul_f32_e32 v65, v56, v219
	v_add_f32_e32 v62, v5, v6
	v_mul_f32_e32 v5, v57, v219
	s_waitcnt lgkmcnt(0)
	v_pk_mul_f32 v[22:23], v[60:61], v[22:23] op_sel_hi:[1,0]
	v_fmac_f32_e32 v65, v57, v218
	v_mul_f32_e32 v155, v58, v221
	v_fma_f32 v64, v56, v218, -v5
	v_mul_f32_e32 v5, v59, v221
	ds_read2_b64 v[6:9], v4 offset0:81 offset1:82
	ds_read2_b64 v[10:13], v4 offset0:83 offset1:84
	;; [unrolled: 1-line block ×3, first 2 shown]
	ds_read_b64 v[18:19], v4 offset:696
	s_waitcnt vmcnt(8)
	v_pk_fma_f32 v[24:25], v[60:61], v[162:163], v[22:23] op_sel:[0,0,1] op_sel_hi:[1,1,0] neg_lo:[0,0,1] neg_hi:[0,0,1]
	v_pk_fma_f32 v[22:23], v[60:61], v[162:163], v[22:23] op_sel:[0,0,1] op_sel_hi:[1,0,0]
	v_fmac_f32_e32 v155, v59, v220
	v_fma_f32 v154, v58, v220, -v5
	v_pk_add_f32 v[20:21], v[62:63], v[64:65]
	v_mov_b32_e32 v22, v161
	v_pk_add_f32 v[20:21], v[20:21], v[154:155]
	v_mov_b32_e32 v25, v23
	s_waitcnt lgkmcnt(3)
	v_pk_mul_f32 v[22:23], v[6:7], v[22:23] op_sel_hi:[1,0]
	v_pk_add_f32 v[20:21], v[20:21], v[24:25]
	v_pk_fma_f32 v[24:25], v[6:7], v[160:161], v[22:23] op_sel:[0,0,1] op_sel_hi:[1,1,0] neg_lo:[0,0,1] neg_hi:[0,0,1]
	v_pk_fma_f32 v[6:7], v[6:7], v[160:161], v[22:23] op_sel:[0,0,1] op_sel_hi:[1,0,0]
	v_mov_b32_e32 v25, v7
	v_pk_add_f32 v[6:7], v[20:21], v[24:25]
	v_mov_b32_e32 v20, v159
	v_pk_mul_f32 v[20:21], v[8:9], v[20:21] op_sel_hi:[1,0]
	v_pk_fma_f32 v[22:23], v[8:9], v[158:159], v[20:21] op_sel:[0,0,1] op_sel_hi:[1,1,0] neg_lo:[0,0,1] neg_hi:[0,0,1]
	v_pk_fma_f32 v[8:9], v[8:9], v[158:159], v[20:21] op_sel:[0,0,1] op_sel_hi:[1,0,0]
	v_mov_b32_e32 v8, v157
	v_mov_b32_e32 v23, v9
	s_waitcnt lgkmcnt(2)
	v_pk_mul_f32 v[8:9], v[10:11], v[8:9] op_sel_hi:[1,0]
	v_pk_fma_f32 v[20:21], v[10:11], v[156:157], v[8:9] op_sel:[0,0,1] op_sel_hi:[1,1,0] neg_lo:[0,0,1] neg_hi:[0,0,1]
	v_pk_fma_f32 v[8:9], v[10:11], v[156:157], v[8:9] op_sel:[0,0,1] op_sel_hi:[1,0,0]
	s_waitcnt vmcnt(1)
	v_mov_b32_e32 v8, v171
	v_mov_b32_e32 v21, v9
	v_pk_mul_f32 v[8:9], v[12:13], v[8:9] op_sel_hi:[1,0]
	s_waitcnt vmcnt(0)
	v_pk_fma_f32 v[10:11], v[12:13], v[170:171], v[8:9] op_sel:[0,0,1] op_sel_hi:[1,1,0] neg_lo:[0,0,1] neg_hi:[0,0,1]
	v_pk_fma_f32 v[8:9], v[12:13], v[170:171], v[8:9] op_sel:[0,0,1] op_sel_hi:[1,0,0]
	v_pk_add_f32 v[6:7], v[6:7], v[22:23]
	v_mov_b32_e32 v8, v169
	v_pk_add_f32 v[6:7], v[6:7], v[20:21]
	v_mov_b32_e32 v11, v9
	s_waitcnt lgkmcnt(1)
	v_pk_mul_f32 v[8:9], v[14:15], v[8:9] op_sel_hi:[1,0]
	v_pk_add_f32 v[6:7], v[6:7], v[10:11]
	v_pk_fma_f32 v[10:11], v[14:15], v[168:169], v[8:9] op_sel:[0,0,1] op_sel_hi:[1,1,0] neg_lo:[0,0,1] neg_hi:[0,0,1]
	v_pk_fma_f32 v[8:9], v[14:15], v[168:169], v[8:9] op_sel:[0,0,1] op_sel_hi:[1,0,0]
	v_mov_b32_e32 v8, v167
	v_mov_b32_e32 v11, v9
	v_pk_mul_f32 v[8:9], v[16:17], v[8:9] op_sel_hi:[1,0]
	v_pk_add_f32 v[6:7], v[6:7], v[10:11]
	v_pk_fma_f32 v[10:11], v[16:17], v[166:167], v[8:9] op_sel:[0,0,1] op_sel_hi:[1,1,0] neg_lo:[0,0,1] neg_hi:[0,0,1]
	v_pk_fma_f32 v[8:9], v[16:17], v[166:167], v[8:9] op_sel:[0,0,1] op_sel_hi:[1,0,0]
	v_mov_b32_e32 v8, v165
	v_mov_b32_e32 v11, v9
	s_waitcnt lgkmcnt(0)
	v_pk_mul_f32 v[8:9], v[18:19], v[8:9] op_sel_hi:[1,0]
	v_pk_add_f32 v[6:7], v[6:7], v[10:11]
	v_pk_fma_f32 v[10:11], v[18:19], v[164:165], v[8:9] op_sel:[0,0,1] op_sel_hi:[1,1,0] neg_lo:[0,0,1] neg_hi:[0,0,1]
	v_pk_fma_f32 v[8:9], v[18:19], v[164:165], v[8:9] op_sel:[0,0,1] op_sel_hi:[1,0,0]
	v_mov_b32_e32 v11, v9
	v_pk_add_f32 v[6:7], v[6:7], v[10:11]
	v_pk_add_f32 v[2:3], v[2:3], v[6:7] neg_lo:[0,1] neg_hi:[0,1]
	buffer_store_dword v3, off, s[0:3], 0 offset:68
	buffer_store_dword v2, off, s[0:3], 0 offset:64
	s_and_saveexec_b64 s[4:5], vcc
	s_cbranch_execz .LBB107_263
; %bb.262:
	buffer_load_dword v2, off, s[0:3], 0 offset:56
	buffer_load_dword v3, off, s[0:3], 0 offset:60
	s_waitcnt vmcnt(0)
	ds_write_b64 v1, v[2:3]
	buffer_store_dword v4, off, s[0:3], 0 offset:56
	buffer_store_dword v4, off, s[0:3], 0 offset:60
.LBB107_263:
	s_or_b64 exec, exec, s[4:5]
	s_waitcnt lgkmcnt(0)
	; wave barrier
	s_waitcnt lgkmcnt(0)
	buffer_load_dword v5, off, s[0:3], 0 offset:68
	buffer_load_dword v62, off, s[0:3], 0 offset:76
	;; [unrolled: 1-line block ×36, first 2 shown]
	ds_read_b128 v[6:9], v4 offset:416
	ds_read_b128 v[10:13], v4 offset:432
	buffer_load_dword v202, off, s[0:3], 0 offset:200
	buffer_load_dword v203, off, s[0:3], 0 offset:204
	;; [unrolled: 1-line block ×4, first 2 shown]
	ds_read_b128 v[14:17], v4 offset:448
	ds_read_b128 v[18:21], v4 offset:464
	buffer_load_dword v206, off, s[0:3], 0 offset:216
	buffer_load_dword v207, off, s[0:3], 0 offset:220
	ds_read_b128 v[22:25], v4 offset:480
	ds_read_b128 v[26:29], v4 offset:496
	buffer_load_dword v208, off, s[0:3], 0 offset:224
	buffer_load_dword v209, off, s[0:3], 0 offset:228
	buffer_load_dword v210, off, s[0:3], 0 offset:232
	buffer_load_dword v211, off, s[0:3], 0 offset:236
	buffer_load_dword v212, off, s[0:3], 0 offset:240
	buffer_load_dword v213, off, s[0:3], 0 offset:244
	buffer_load_dword v214, off, s[0:3], 0 offset:248
	buffer_load_dword v215, off, s[0:3], 0 offset:252
	buffer_load_dword v216, off, s[0:3], 0 offset:256
	buffer_load_dword v217, off, s[0:3], 0 offset:260
	buffer_load_dword v218, off, s[0:3], 0 offset:264
	buffer_load_dword v219, off, s[0:3], 0 offset:268
	buffer_load_dword v220, off, s[0:3], 0 offset:272
	buffer_load_dword v221, off, s[0:3], 0 offset:276
	buffer_load_dword v222, off, s[0:3], 0 offset:280
	buffer_load_dword v223, off, s[0:3], 0 offset:284
	v_cmp_lt_u32_e32 vcc, 6, v0
	s_waitcnt vmcnt(57) lgkmcnt(5)
	v_mul_f32_e32 v30, v6, v5
	s_waitcnt vmcnt(56)
	v_mul_f32_e32 v31, v8, v62
	s_waitcnt vmcnt(55) lgkmcnt(4)
	v_mul_f32_e32 v32, v10, v64
	s_waitcnt vmcnt(54)
	v_mul_f32_e32 v33, v12, v160
	;; [unrolled: 4-line block ×4, first 2 shown]
	s_waitcnt vmcnt(49)
	v_fmac_f32_e32 v30, v7, v176
	s_waitcnt vmcnt(48)
	v_fmac_f32_e32 v31, v9, v177
	v_add_f32_e32 v30, 0, v30
	s_waitcnt vmcnt(47)
	v_fmac_f32_e32 v32, v11, v178
	v_add_f32_e32 v30, v30, v31
	;; [unrolled: 3-line block ×7, first 2 shown]
	s_waitcnt vmcnt(41) lgkmcnt(1)
	v_mul_f32_e32 v31, v22, v184
	v_add_f32_e32 v30, v30, v37
	s_waitcnt vmcnt(40)
	v_fmac_f32_e32 v31, v23, v185
	v_add_f32_e32 v30, v30, v31
	s_waitcnt vmcnt(39)
	v_mul_f32_e32 v31, v24, v186
	s_waitcnt vmcnt(38)
	v_fmac_f32_e32 v31, v25, v187
	v_add_f32_e32 v30, v30, v31
	s_waitcnt vmcnt(37) lgkmcnt(0)
	v_mul_f32_e32 v31, v26, v188
	s_waitcnt vmcnt(36)
	v_fmac_f32_e32 v31, v27, v189
	v_add_f32_e32 v34, v30, v31
	ds_read_b128 v[30:33], v4 offset:512
	s_waitcnt vmcnt(35)
	v_mul_f32_e32 v35, v28, v190
	s_waitcnt vmcnt(34)
	v_fmac_f32_e32 v35, v29, v191
	v_add_f32_e32 v38, v34, v35
	ds_read_b128 v[34:37], v4 offset:528
	s_waitcnt vmcnt(33) lgkmcnt(1)
	v_mul_f32_e32 v39, v30, v192
	s_waitcnt vmcnt(32)
	v_fmac_f32_e32 v39, v31, v193
	v_add_f32_e32 v38, v38, v39
	s_waitcnt vmcnt(31)
	v_mul_f32_e32 v39, v32, v194
	s_waitcnt vmcnt(30)
	v_fmac_f32_e32 v39, v33, v195
	v_add_f32_e32 v38, v38, v39
	s_waitcnt vmcnt(29) lgkmcnt(0)
	v_mul_f32_e32 v39, v34, v196
	s_waitcnt vmcnt(28)
	v_fmac_f32_e32 v39, v35, v197
	v_add_f32_e32 v42, v38, v39
	ds_read_b128 v[38:41], v4 offset:544
	s_waitcnt vmcnt(25)
	v_mul_f32_e32 v43, v36, v198
	s_waitcnt vmcnt(24)
	v_fmac_f32_e32 v43, v37, v199
	v_add_f32_e32 v46, v42, v43
	ds_read_b128 v[42:45], v4 offset:560
	s_waitcnt vmcnt(22) lgkmcnt(1)
	v_mul_f32_e32 v47, v38, v201
	v_fmac_f32_e32 v47, v39, v200
	v_add_f32_e32 v46, v46, v47
	s_waitcnt vmcnt(20)
	v_mul_f32_e32 v47, v40, v203
	v_fmac_f32_e32 v47, v41, v202
	v_add_f32_e32 v46, v46, v47
	s_waitcnt vmcnt(18) lgkmcnt(0)
	v_mul_f32_e32 v47, v42, v205
	v_fmac_f32_e32 v47, v43, v204
	v_add_f32_e32 v50, v46, v47
	ds_read_b128 v[46:49], v4 offset:576
	s_waitcnt vmcnt(16)
	v_mul_f32_e32 v51, v44, v207
	v_fmac_f32_e32 v51, v45, v206
	v_add_f32_e32 v54, v50, v51
	ds_read_b128 v[50:53], v4 offset:592
	s_waitcnt vmcnt(14) lgkmcnt(1)
	v_mul_f32_e32 v55, v46, v209
	v_fmac_f32_e32 v55, v47, v208
	v_add_f32_e32 v54, v54, v55
	s_waitcnt vmcnt(12)
	v_mul_f32_e32 v55, v48, v211
	v_fmac_f32_e32 v55, v49, v210
	v_add_f32_e32 v54, v54, v55
	s_waitcnt vmcnt(10) lgkmcnt(0)
	v_mul_f32_e32 v55, v50, v213
	v_fmac_f32_e32 v55, v51, v212
	s_waitcnt vmcnt(8)
	v_mul_f32_e32 v59, v52, v215
	v_add_f32_e32 v58, v54, v55
	v_fmac_f32_e32 v59, v53, v214
	ds_read_b128 v[54:57], v4 offset:608
	v_add_f32_e32 v63, v58, v59
	ds_read_b128 v[58:61], v4 offset:624
	buffer_load_dword v155, off, s[0:3], 0 offset:308
	buffer_load_dword v154, off, s[0:3], 0 offset:304
	;; [unrolled: 1-line block ×16, first 2 shown]
	v_mul_f32_e32 v5, v7, v5
	v_fma_f32 v5, v6, v176, -v5
	v_mul_f32_e32 v6, v9, v62
	v_add_f32_e32 v5, 0, v5
	v_fma_f32 v6, v8, v177, -v6
	v_add_f32_e32 v5, v5, v6
	v_mul_f32_e32 v6, v11, v64
	v_fma_f32 v6, v10, v178, -v6
	v_add_f32_e32 v5, v5, v6
	v_mul_f32_e32 v6, v13, v160
	;; [unrolled: 3-line block ×22, first 2 shown]
	v_fma_f32 v6, v52, v214, -v6
	v_add_f32_e32 v5, v5, v6
	s_waitcnt vmcnt(22) lgkmcnt(1)
	v_mul_f32_e32 v6, v55, v217
	v_fma_f32 v6, v54, v216, -v6
	v_add_f32_e32 v5, v5, v6
	s_waitcnt vmcnt(20)
	v_mul_f32_e32 v6, v57, v219
	v_fma_f32 v6, v56, v218, -v6
	v_add_f32_e32 v62, v5, v6
	ds_read_b128 v[6:9], v4 offset:640
	ds_read_b128 v[10:13], v4 offset:656
	;; [unrolled: 1-line block ×4, first 2 shown]
	s_waitcnt vmcnt(11)
	v_mov_b32_e32 v22, v159
	v_mul_f32_e32 v65, v54, v217
	s_waitcnt lgkmcnt(3)
	v_pk_mul_f32 v[22:23], v[6:7], v[22:23] op_sel_hi:[1,0]
	v_fmac_f32_e32 v65, v55, v216
	s_waitcnt vmcnt(10)
	v_pk_fma_f32 v[24:25], v[6:7], v[158:159], v[22:23] op_sel:[0,0,1] op_sel_hi:[1,1,0] neg_lo:[0,0,1] neg_hi:[0,0,1]
	v_pk_fma_f32 v[6:7], v[6:7], v[158:159], v[22:23] op_sel:[0,0,1] op_sel_hi:[1,0,0]
	v_add_f32_e32 v63, v63, v65
	v_mul_f32_e32 v65, v56, v219
	v_mov_b32_e32 v6, v157
	v_fmac_f32_e32 v65, v57, v218
	v_mov_b32_e32 v25, v7
	v_pk_mul_f32 v[6:7], v[8:9], v[6:7] op_sel_hi:[1,0]
	v_add_f32_e32 v63, v63, v65
	v_mul_f32_e32 v65, v58, v221
	v_mul_f32_e32 v5, v59, v221
	v_pk_fma_f32 v[22:23], v[8:9], v[156:157], v[6:7] op_sel:[0,0,1] op_sel_hi:[1,1,0] neg_lo:[0,0,1] neg_hi:[0,0,1]
	v_pk_fma_f32 v[6:7], v[8:9], v[156:157], v[6:7] op_sel:[0,0,1] op_sel_hi:[1,0,0]
	v_fmac_f32_e32 v65, v59, v220
	v_mul_f32_e32 v161, v60, v223
	v_fma_f32 v64, v58, v220, -v5
	v_mul_f32_e32 v5, v61, v223
	v_mov_b32_e32 v6, v155
	v_fmac_f32_e32 v161, v61, v222
	v_fma_f32 v160, v60, v222, -v5
	v_pk_add_f32 v[4:5], v[62:63], v[64:65]
	v_mov_b32_e32 v23, v7
	s_waitcnt lgkmcnt(2)
	v_pk_mul_f32 v[6:7], v[10:11], v[6:7] op_sel_hi:[1,0]
	v_pk_add_f32 v[4:5], v[4:5], v[160:161]
	v_pk_fma_f32 v[8:9], v[10:11], v[154:155], v[6:7] op_sel:[0,0,1] op_sel_hi:[1,1,0] neg_lo:[0,0,1] neg_hi:[0,0,1]
	v_pk_fma_f32 v[6:7], v[10:11], v[154:155], v[6:7] op_sel:[0,0,1] op_sel_hi:[1,0,0]
	v_pk_add_f32 v[4:5], v[4:5], v[24:25]
	s_waitcnt vmcnt(3)
	v_mov_b32_e32 v6, v169
	v_pk_add_f32 v[4:5], v[4:5], v[22:23]
	v_mov_b32_e32 v9, v7
	v_pk_mul_f32 v[6:7], v[12:13], v[6:7] op_sel_hi:[1,0]
	v_pk_add_f32 v[4:5], v[4:5], v[8:9]
	s_waitcnt vmcnt(2)
	v_pk_fma_f32 v[8:9], v[12:13], v[168:169], v[6:7] op_sel:[0,0,1] op_sel_hi:[1,1,0] neg_lo:[0,0,1] neg_hi:[0,0,1]
	v_pk_fma_f32 v[6:7], v[12:13], v[168:169], v[6:7] op_sel:[0,0,1] op_sel_hi:[1,0,0]
	v_mov_b32_e32 v6, v167
	v_mov_b32_e32 v9, v7
	s_waitcnt lgkmcnt(1)
	v_pk_mul_f32 v[6:7], v[14:15], v[6:7] op_sel_hi:[1,0]
	v_pk_add_f32 v[4:5], v[4:5], v[8:9]
	v_pk_fma_f32 v[8:9], v[14:15], v[166:167], v[6:7] op_sel:[0,0,1] op_sel_hi:[1,1,0] neg_lo:[0,0,1] neg_hi:[0,0,1]
	v_pk_fma_f32 v[6:7], v[14:15], v[166:167], v[6:7] op_sel:[0,0,1] op_sel_hi:[1,0,0]
	v_mov_b32_e32 v6, v165
	v_mov_b32_e32 v9, v7
	v_pk_mul_f32 v[6:7], v[16:17], v[6:7] op_sel_hi:[1,0]
	v_pk_add_f32 v[4:5], v[4:5], v[8:9]
	v_pk_fma_f32 v[8:9], v[16:17], v[164:165], v[6:7] op_sel:[0,0,1] op_sel_hi:[1,1,0] neg_lo:[0,0,1] neg_hi:[0,0,1]
	v_pk_fma_f32 v[6:7], v[16:17], v[164:165], v[6:7] op_sel:[0,0,1] op_sel_hi:[1,0,0]
	v_mov_b32_e32 v6, v163
	v_mov_b32_e32 v9, v7
	s_waitcnt lgkmcnt(0)
	v_pk_mul_f32 v[6:7], v[18:19], v[6:7] op_sel_hi:[1,0]
	v_pk_add_f32 v[4:5], v[4:5], v[8:9]
	v_pk_fma_f32 v[8:9], v[18:19], v[162:163], v[6:7] op_sel:[0,0,1] op_sel_hi:[1,1,0] neg_lo:[0,0,1] neg_hi:[0,0,1]
	v_pk_fma_f32 v[6:7], v[18:19], v[162:163], v[6:7] op_sel:[0,0,1] op_sel_hi:[1,0,0]
	s_waitcnt vmcnt(1)
	v_mov_b32_e32 v6, v171
	v_mov_b32_e32 v9, v7
	v_pk_mul_f32 v[6:7], v[20:21], v[6:7] op_sel_hi:[1,0]
	v_pk_add_f32 v[4:5], v[4:5], v[8:9]
	s_waitcnt vmcnt(0)
	v_pk_fma_f32 v[8:9], v[20:21], v[170:171], v[6:7] op_sel:[0,0,1] op_sel_hi:[1,1,0] neg_lo:[0,0,1] neg_hi:[0,0,1]
	v_pk_fma_f32 v[6:7], v[20:21], v[170:171], v[6:7] op_sel:[0,0,1] op_sel_hi:[1,0,0]
	v_mov_b32_e32 v9, v7
	v_pk_add_f32 v[4:5], v[4:5], v[8:9]
	v_pk_add_f32 v[2:3], v[2:3], v[4:5] neg_lo:[0,1] neg_hi:[0,1]
	buffer_store_dword v3, off, s[0:3], 0 offset:60
	buffer_store_dword v2, off, s[0:3], 0 offset:56
	s_and_saveexec_b64 s[4:5], vcc
	s_cbranch_execz .LBB107_265
; %bb.264:
	buffer_load_dword v2, off, s[0:3], 0 offset:48
	buffer_load_dword v3, off, s[0:3], 0 offset:52
	v_mov_b32_e32 v4, 0
	buffer_store_dword v4, off, s[0:3], 0 offset:48
	buffer_store_dword v4, off, s[0:3], 0 offset:52
	s_waitcnt vmcnt(2)
	ds_write_b64 v1, v[2:3]
.LBB107_265:
	s_or_b64 exec, exec, s[4:5]
	s_waitcnt lgkmcnt(0)
	; wave barrier
	s_waitcnt lgkmcnt(0)
	buffer_load_dword v17, off, s[0:3], 0 offset:60
	buffer_load_dword v158, off, s[0:3], 0 offset:68
	;; [unrolled: 1-line block ×56, first 2 shown]
	v_mov_b32_e32 v16, 0
	ds_read2_b64 v[2:5], v16 offset0:51 offset1:52
	buffer_load_dword v230, off, s[0:3], 0 offset:272
	buffer_load_dword v231, off, s[0:3], 0 offset:276
	;; [unrolled: 1-line block ×4, first 2 shown]
	ds_read2_b64 v[8:11], v16 offset0:53 offset1:54
	ds_read2_b64 v[12:15], v16 offset0:55 offset1:56
	;; [unrolled: 1-line block ×3, first 2 shown]
	v_cmp_lt_u32_e32 vcc, 5, v0
	s_waitcnt vmcnt(59) lgkmcnt(3)
	v_mul_f32_e32 v22, v2, v17
	s_waitcnt vmcnt(58)
	v_mul_f32_e32 v23, v4, v158
	s_waitcnt vmcnt(57) lgkmcnt(2)
	v_mul_f32_e32 v24, v8, v164
	s_waitcnt vmcnt(56)
	v_mul_f32_e32 v25, v10, v166
	;; [unrolled: 4-line block ×3, first 2 shown]
	s_waitcnt vmcnt(53) lgkmcnt(0)
	v_mul_f32_e32 v28, v18, v182
	s_waitcnt vmcnt(52)
	v_fmac_f32_e32 v22, v3, v183
	s_waitcnt vmcnt(51)
	v_fmac_f32_e32 v23, v5, v184
	v_add_f32_e32 v22, 0, v22
	s_waitcnt vmcnt(50)
	v_fmac_f32_e32 v24, v9, v185
	v_add_f32_e32 v22, v22, v23
	;; [unrolled: 3-line block ×6, first 2 shown]
	v_add_f32_e32 v26, v22, v28
	ds_read2_b64 v[22:25], v16 offset0:59 offset1:60
	s_waitcnt vmcnt(45)
	v_mul_f32_e32 v27, v20, v190
	s_waitcnt vmcnt(44)
	v_fmac_f32_e32 v27, v21, v191
	v_add_f32_e32 v30, v26, v27
	ds_read2_b64 v[26:29], v16 offset0:61 offset1:62
	s_waitcnt vmcnt(43) lgkmcnt(1)
	v_mul_f32_e32 v31, v22, v192
	s_waitcnt vmcnt(42)
	v_fmac_f32_e32 v31, v23, v193
	v_add_f32_e32 v30, v30, v31
	s_waitcnt vmcnt(41)
	v_mul_f32_e32 v31, v24, v194
	s_waitcnt vmcnt(40)
	v_fmac_f32_e32 v31, v25, v195
	v_add_f32_e32 v30, v30, v31
	s_waitcnt vmcnt(39) lgkmcnt(0)
	v_mul_f32_e32 v31, v26, v196
	s_waitcnt vmcnt(38)
	v_fmac_f32_e32 v31, v27, v197
	v_add_f32_e32 v34, v30, v31
	ds_read2_b64 v[30:33], v16 offset0:63 offset1:64
	s_waitcnt vmcnt(37)
	v_mul_f32_e32 v35, v28, v198
	s_waitcnt vmcnt(36)
	v_fmac_f32_e32 v35, v29, v199
	v_add_f32_e32 v38, v34, v35
	ds_read2_b64 v[34:37], v16 offset0:65 offset1:66
	s_waitcnt vmcnt(34) lgkmcnt(1)
	v_mul_f32_e32 v39, v30, v201
	v_fmac_f32_e32 v39, v31, v200
	v_add_f32_e32 v38, v38, v39
	s_waitcnt vmcnt(31)
	v_mul_f32_e32 v39, v32, v202
	s_waitcnt vmcnt(30)
	v_fmac_f32_e32 v39, v33, v203
	v_add_f32_e32 v38, v38, v39
	s_waitcnt vmcnt(28) lgkmcnt(0)
	v_mul_f32_e32 v39, v34, v205
	v_fmac_f32_e32 v39, v35, v204
	v_add_f32_e32 v42, v38, v39
	ds_read2_b64 v[38:41], v16 offset0:67 offset1:68
	s_waitcnt vmcnt(26)
	v_mul_f32_e32 v43, v36, v207
	v_fmac_f32_e32 v43, v37, v206
	v_add_f32_e32 v46, v42, v43
	ds_read2_b64 v[42:45], v16 offset0:69 offset1:70
	s_waitcnt vmcnt(24) lgkmcnt(1)
	v_mul_f32_e32 v47, v38, v209
	v_fmac_f32_e32 v47, v39, v208
	v_add_f32_e32 v46, v46, v47
	s_waitcnt vmcnt(22)
	v_mul_f32_e32 v47, v40, v211
	v_fmac_f32_e32 v47, v41, v210
	v_add_f32_e32 v46, v46, v47
	s_waitcnt vmcnt(20) lgkmcnt(0)
	v_mul_f32_e32 v47, v42, v213
	v_fmac_f32_e32 v47, v43, v212
	v_add_f32_e32 v50, v46, v47
	ds_read2_b64 v[46:49], v16 offset0:71 offset1:72
	s_waitcnt vmcnt(18)
	v_mul_f32_e32 v51, v44, v215
	v_fmac_f32_e32 v51, v45, v214
	v_add_f32_e32 v54, v50, v51
	ds_read2_b64 v[50:53], v16 offset0:73 offset1:74
	s_waitcnt vmcnt(16) lgkmcnt(1)
	v_mul_f32_e32 v55, v46, v217
	v_fmac_f32_e32 v55, v47, v216
	v_add_f32_e32 v54, v54, v55
	s_waitcnt vmcnt(14)
	v_mul_f32_e32 v55, v48, v219
	;; [unrolled: 18-line block ×3, first 2 shown]
	v_fmac_f32_e32 v63, v57, v226
	v_add_f32_e32 v62, v62, v63
	s_waitcnt vmcnt(4) lgkmcnt(0)
	v_mul_f32_e32 v63, v58, v229
	v_fmac_f32_e32 v63, v59, v228
	v_add_f32_e32 v159, v62, v63
	ds_read2_b64 v[62:65], v16 offset0:79 offset1:80
	buffer_load_dword v161, off, s[0:3], 0 offset:300
	buffer_load_dword v160, off, s[0:3], 0 offset:296
	;; [unrolled: 1-line block ×4, first 2 shown]
	ds_read2_b64 v[154:157], v16 offset0:81 offset1:82
	buffer_load_dword v169, off, s[0:3], 0 offset:332
	buffer_load_dword v168, off, s[0:3], 0 offset:328
	;; [unrolled: 1-line block ×12, first 2 shown]
	v_mul_f32_e32 v3, v3, v17
	v_fma_f32 v2, v2, v183, -v3
	v_mul_f32_e32 v3, v5, v158
	v_add_f32_e32 v2, 0, v2
	v_fma_f32 v3, v4, v184, -v3
	v_add_f32_e32 v2, v2, v3
	v_mul_f32_e32 v3, v9, v164
	v_fma_f32 v3, v8, v185, -v3
	v_add_f32_e32 v2, v2, v3
	v_mul_f32_e32 v3, v11, v166
	v_fma_f32 v3, v10, v186, -v3
	v_add_f32_e32 v2, v2, v3
	v_mul_f32_e32 v3, v13, v180
	v_fma_f32 v3, v12, v187, -v3
	v_add_f32_e32 v2, v2, v3
	v_mul_f32_e32 v3, v15, v181
	v_fma_f32 v3, v14, v188, -v3
	v_add_f32_e32 v2, v2, v3
	v_mul_f32_e32 v3, v19, v182
	v_fma_f32 v3, v18, v189, -v3
	v_add_f32_e32 v2, v2, v3
	v_mul_f32_e32 v3, v21, v190
	v_fma_f32 v3, v20, v191, -v3
	v_add_f32_e32 v2, v2, v3
	v_mul_f32_e32 v3, v23, v192
	v_fma_f32 v3, v22, v193, -v3
	v_add_f32_e32 v2, v2, v3
	v_mul_f32_e32 v3, v25, v194
	v_fma_f32 v3, v24, v195, -v3
	v_add_f32_e32 v2, v2, v3
	v_mul_f32_e32 v3, v27, v196
	v_fma_f32 v3, v26, v197, -v3
	v_add_f32_e32 v2, v2, v3
	v_mul_f32_e32 v3, v29, v198
	v_fma_f32 v3, v28, v199, -v3
	v_add_f32_e32 v2, v2, v3
	v_mul_f32_e32 v3, v31, v201
	v_fma_f32 v3, v30, v200, -v3
	v_add_f32_e32 v2, v2, v3
	v_mul_f32_e32 v3, v33, v202
	v_fma_f32 v3, v32, v203, -v3
	v_add_f32_e32 v2, v2, v3
	v_mul_f32_e32 v3, v35, v205
	v_fma_f32 v3, v34, v204, -v3
	v_add_f32_e32 v2, v2, v3
	v_mul_f32_e32 v3, v37, v207
	v_fma_f32 v3, v36, v206, -v3
	v_add_f32_e32 v2, v2, v3
	v_mul_f32_e32 v3, v39, v209
	v_fma_f32 v3, v38, v208, -v3
	v_add_f32_e32 v2, v2, v3
	v_mul_f32_e32 v3, v41, v211
	v_fma_f32 v3, v40, v210, -v3
	v_add_f32_e32 v2, v2, v3
	v_mul_f32_e32 v3, v43, v213
	v_fma_f32 v3, v42, v212, -v3
	v_add_f32_e32 v2, v2, v3
	v_mul_f32_e32 v3, v45, v215
	v_fma_f32 v3, v44, v214, -v3
	v_add_f32_e32 v2, v2, v3
	v_mul_f32_e32 v3, v47, v217
	v_fma_f32 v3, v46, v216, -v3
	v_add_f32_e32 v2, v2, v3
	v_mul_f32_e32 v3, v49, v219
	v_fma_f32 v3, v48, v218, -v3
	v_add_f32_e32 v2, v2, v3
	v_mul_f32_e32 v3, v51, v221
	v_fma_f32 v3, v50, v220, -v3
	v_add_f32_e32 v2, v2, v3
	v_mul_f32_e32 v3, v53, v223
	v_fma_f32 v3, v52, v222, -v3
	v_add_f32_e32 v2, v2, v3
	v_mul_f32_e32 v3, v55, v225
	v_fma_f32 v3, v54, v224, -v3
	v_add_f32_e32 v2, v2, v3
	v_mul_f32_e32 v3, v57, v227
	v_fma_f32 v3, v56, v226, -v3
	v_add_f32_e32 v2, v2, v3
	v_mul_f32_e32 v3, v59, v229
	v_fma_f32 v3, v58, v228, -v3
	s_waitcnt vmcnt(13)
	v_mov_b32_e32 v18, v163
	v_mul_f32_e32 v165, v60, v231
	v_add_f32_e32 v158, v2, v3
	v_mul_f32_e32 v2, v61, v231
	s_waitcnt lgkmcnt(1)
	v_pk_mul_f32 v[18:19], v[64:65], v[18:19] op_sel_hi:[1,0]
	v_fmac_f32_e32 v165, v61, v230
	v_mul_f32_e32 v167, v62, v233
	v_fma_f32 v164, v60, v230, -v2
	v_mul_f32_e32 v2, v63, v233
	s_waitcnt vmcnt(12)
	v_pk_fma_f32 v[20:21], v[64:65], v[162:163], v[18:19] op_sel:[0,0,1] op_sel_hi:[1,1,0] neg_lo:[0,0,1] neg_hi:[0,0,1]
	v_pk_fma_f32 v[18:19], v[64:65], v[162:163], v[18:19] op_sel:[0,0,1] op_sel_hi:[1,0,0]
	v_fmac_f32_e32 v167, v63, v232
	v_fma_f32 v166, v62, v232, -v2
	v_pk_add_f32 v[14:15], v[158:159], v[164:165]
	v_mov_b32_e32 v18, v161
	v_pk_add_f32 v[14:15], v[14:15], v[166:167]
	v_mov_b32_e32 v21, v19
	s_waitcnt lgkmcnt(0)
	v_pk_mul_f32 v[18:19], v[154:155], v[18:19] op_sel_hi:[1,0]
	v_pk_add_f32 v[14:15], v[14:15], v[20:21]
	v_pk_fma_f32 v[20:21], v[154:155], v[160:161], v[18:19] op_sel:[0,0,1] op_sel_hi:[1,1,0] neg_lo:[0,0,1] neg_hi:[0,0,1]
	v_pk_fma_f32 v[18:19], v[154:155], v[160:161], v[18:19] op_sel:[0,0,1] op_sel_hi:[1,0,0]
	s_waitcnt vmcnt(5)
	v_mov_b32_e32 v18, v175
	ds_read2_b64 v[2:5], v16 offset0:83 offset1:84
	ds_read2_b64 v[8:11], v16 offset0:85 offset1:86
	ds_read_b64 v[12:13], v16 offset:696
	v_mov_b32_e32 v21, v19
	v_pk_mul_f32 v[18:19], v[156:157], v[18:19] op_sel_hi:[1,0]
	v_pk_add_f32 v[14:15], v[14:15], v[20:21]
	s_waitcnt vmcnt(4)
	v_pk_fma_f32 v[20:21], v[156:157], v[174:175], v[18:19] op_sel:[0,0,1] op_sel_hi:[1,1,0] neg_lo:[0,0,1] neg_hi:[0,0,1]
	v_pk_fma_f32 v[18:19], v[156:157], v[174:175], v[18:19] op_sel:[0,0,1] op_sel_hi:[1,0,0]
	v_mov_b32_e32 v18, v173
	v_mov_b32_e32 v21, v19
	s_waitcnt lgkmcnt(2)
	v_pk_mul_f32 v[18:19], v[2:3], v[18:19] op_sel_hi:[1,0]
	v_pk_add_f32 v[14:15], v[14:15], v[20:21]
	v_pk_fma_f32 v[20:21], v[2:3], v[172:173], v[18:19] op_sel:[0,0,1] op_sel_hi:[1,1,0] neg_lo:[0,0,1] neg_hi:[0,0,1]
	v_pk_fma_f32 v[2:3], v[2:3], v[172:173], v[18:19] op_sel:[0,0,1] op_sel_hi:[1,0,0]
	v_mov_b32_e32 v21, v3
	v_pk_add_f32 v[2:3], v[14:15], v[20:21]
	v_mov_b32_e32 v14, v171
	v_pk_mul_f32 v[14:15], v[4:5], v[14:15] op_sel_hi:[1,0]
	v_pk_fma_f32 v[18:19], v[4:5], v[170:171], v[14:15] op_sel:[0,0,1] op_sel_hi:[1,1,0] neg_lo:[0,0,1] neg_hi:[0,0,1]
	v_pk_fma_f32 v[4:5], v[4:5], v[170:171], v[14:15] op_sel:[0,0,1] op_sel_hi:[1,0,0]
	v_mov_b32_e32 v4, v169
	v_mov_b32_e32 v19, v5
	s_waitcnt lgkmcnt(1)
	v_pk_mul_f32 v[4:5], v[8:9], v[4:5] op_sel_hi:[1,0]
	v_pk_fma_f32 v[14:15], v[8:9], v[168:169], v[4:5] op_sel:[0,0,1] op_sel_hi:[1,1,0] neg_lo:[0,0,1] neg_hi:[0,0,1]
	v_pk_fma_f32 v[4:5], v[8:9], v[168:169], v[4:5] op_sel:[0,0,1] op_sel_hi:[1,0,0]
	s_waitcnt vmcnt(1)
	v_mov_b32_e32 v4, v179
	v_mov_b32_e32 v15, v5
	v_pk_mul_f32 v[4:5], v[10:11], v[4:5] op_sel_hi:[1,0]
	s_waitcnt vmcnt(0)
	v_pk_fma_f32 v[8:9], v[10:11], v[178:179], v[4:5] op_sel:[0,0,1] op_sel_hi:[1,1,0] neg_lo:[0,0,1] neg_hi:[0,0,1]
	v_pk_fma_f32 v[4:5], v[10:11], v[178:179], v[4:5] op_sel:[0,0,1] op_sel_hi:[1,0,0]
	v_pk_add_f32 v[2:3], v[2:3], v[18:19]
	v_mov_b32_e32 v4, v177
	v_pk_add_f32 v[2:3], v[2:3], v[14:15]
	v_mov_b32_e32 v9, v5
	s_waitcnt lgkmcnt(0)
	v_pk_mul_f32 v[4:5], v[12:13], v[4:5] op_sel_hi:[1,0]
	v_pk_add_f32 v[2:3], v[2:3], v[8:9]
	v_pk_fma_f32 v[8:9], v[12:13], v[176:177], v[4:5] op_sel:[0,0,1] op_sel_hi:[1,1,0] neg_lo:[0,0,1] neg_hi:[0,0,1]
	v_pk_fma_f32 v[4:5], v[12:13], v[176:177], v[4:5] op_sel:[0,0,1] op_sel_hi:[1,0,0]
	v_mov_b32_e32 v9, v5
	v_pk_add_f32 v[2:3], v[2:3], v[8:9]
	v_pk_add_f32 v[2:3], v[6:7], v[2:3] neg_lo:[0,1] neg_hi:[0,1]
	buffer_store_dword v3, off, s[0:3], 0 offset:52
	buffer_store_dword v2, off, s[0:3], 0 offset:48
	s_and_saveexec_b64 s[4:5], vcc
	s_cbranch_execz .LBB107_267
; %bb.266:
	buffer_load_dword v2, off, s[0:3], 0 offset:40
	buffer_load_dword v3, off, s[0:3], 0 offset:44
	s_waitcnt vmcnt(0)
	ds_write_b64 v1, v[2:3]
	buffer_store_dword v16, off, s[0:3], 0 offset:40
	buffer_store_dword v16, off, s[0:3], 0 offset:44
.LBB107_267:
	s_or_b64 exec, exec, s[4:5]
	s_waitcnt lgkmcnt(0)
	; wave barrier
	s_waitcnt lgkmcnt(0)
	buffer_load_dword v17, off, s[0:3], 0 offset:52
	buffer_load_dword v160, off, s[0:3], 0 offset:60
	;; [unrolled: 1-line block ×32, first 2 shown]
	ds_read_b128 v[18:21], v16 offset:400
	ds_read_b128 v[6:9], v16 offset:416
	buffer_load_dword v206, off, s[0:3], 0 offset:168
	buffer_load_dword v207, off, s[0:3], 0 offset:172
	ds_read_b128 v[10:13], v16 offset:432
	ds_read_b128 v[2:5], v16 offset:448
	buffer_load_dword v208, off, s[0:3], 0 offset:176
	buffer_load_dword v209, off, s[0:3], 0 offset:180
	;; [unrolled: 1-line block ×28, first 2 shown]
	v_cmp_lt_u32_e32 vcc, 4, v0
	s_waitcnt vmcnt(61) lgkmcnt(3)
	v_mul_f32_e32 v22, v18, v17
	s_waitcnt vmcnt(60)
	v_mul_f32_e32 v23, v20, v160
	s_waitcnt vmcnt(59) lgkmcnt(2)
	v_mul_f32_e32 v24, v6, v162
	s_waitcnt vmcnt(58)
	v_mul_f32_e32 v25, v8, v164
	;; [unrolled: 4-line block ×3, first 2 shown]
	s_waitcnt vmcnt(55) lgkmcnt(0)
	v_mul_f32_e32 v28, v2, v182
	s_waitcnt vmcnt(54)
	v_fmac_f32_e32 v22, v19, v183
	s_waitcnt vmcnt(53)
	v_fmac_f32_e32 v23, v21, v184
	v_add_f32_e32 v22, 0, v22
	s_waitcnt vmcnt(52)
	v_fmac_f32_e32 v24, v7, v185
	v_add_f32_e32 v22, v22, v23
	;; [unrolled: 3-line block ×6, first 2 shown]
	v_add_f32_e32 v26, v22, v28
	ds_read_b128 v[22:25], v16 offset:464
	s_waitcnt vmcnt(47)
	v_mul_f32_e32 v27, v4, v190
	s_waitcnt vmcnt(46)
	v_fmac_f32_e32 v27, v5, v191
	v_add_f32_e32 v30, v26, v27
	ds_read_b128 v[26:29], v16 offset:480
	s_waitcnt vmcnt(45) lgkmcnt(1)
	v_mul_f32_e32 v31, v22, v192
	s_waitcnt vmcnt(44)
	v_fmac_f32_e32 v31, v23, v193
	v_add_f32_e32 v30, v30, v31
	s_waitcnt vmcnt(43)
	v_mul_f32_e32 v31, v24, v194
	s_waitcnt vmcnt(42)
	v_fmac_f32_e32 v31, v25, v195
	v_add_f32_e32 v30, v30, v31
	s_waitcnt vmcnt(41) lgkmcnt(0)
	v_mul_f32_e32 v31, v26, v196
	s_waitcnt vmcnt(40)
	v_fmac_f32_e32 v31, v27, v197
	v_add_f32_e32 v34, v30, v31
	ds_read_b128 v[30:33], v16 offset:496
	s_waitcnt vmcnt(39)
	v_mul_f32_e32 v35, v28, v198
	s_waitcnt vmcnt(38)
	v_fmac_f32_e32 v35, v29, v199
	v_add_f32_e32 v38, v34, v35
	ds_read_b128 v[34:37], v16 offset:512
	s_waitcnt vmcnt(35) lgkmcnt(1)
	v_mul_f32_e32 v39, v30, v200
	s_waitcnt vmcnt(34)
	v_fmac_f32_e32 v39, v31, v201
	v_add_f32_e32 v38, v38, v39
	s_waitcnt vmcnt(32)
	v_mul_f32_e32 v39, v32, v203
	v_fmac_f32_e32 v39, v33, v202
	v_add_f32_e32 v38, v38, v39
	s_waitcnt vmcnt(30) lgkmcnt(0)
	v_mul_f32_e32 v39, v34, v205
	v_fmac_f32_e32 v39, v35, v204
	v_add_f32_e32 v42, v38, v39
	ds_read_b128 v[38:41], v16 offset:528
	s_waitcnt vmcnt(28)
	v_mul_f32_e32 v43, v36, v207
	v_fmac_f32_e32 v43, v37, v206
	v_add_f32_e32 v46, v42, v43
	ds_read_b128 v[42:45], v16 offset:544
	s_waitcnt vmcnt(26) lgkmcnt(1)
	v_mul_f32_e32 v47, v38, v209
	v_fmac_f32_e32 v47, v39, v208
	v_add_f32_e32 v46, v46, v47
	s_waitcnt vmcnt(24)
	v_mul_f32_e32 v47, v40, v211
	v_fmac_f32_e32 v47, v41, v210
	v_add_f32_e32 v46, v46, v47
	s_waitcnt vmcnt(22) lgkmcnt(0)
	v_mul_f32_e32 v47, v42, v213
	v_fmac_f32_e32 v47, v43, v212
	v_add_f32_e32 v50, v46, v47
	ds_read_b128 v[46:49], v16 offset:560
	s_waitcnt vmcnt(20)
	v_mul_f32_e32 v51, v44, v215
	v_fmac_f32_e32 v51, v45, v214
	v_add_f32_e32 v54, v50, v51
	ds_read_b128 v[50:53], v16 offset:576
	s_waitcnt vmcnt(18) lgkmcnt(1)
	v_mul_f32_e32 v55, v46, v217
	v_fmac_f32_e32 v55, v47, v216
	v_add_f32_e32 v54, v54, v55
	s_waitcnt vmcnt(16)
	v_mul_f32_e32 v55, v48, v219
	v_fmac_f32_e32 v55, v49, v218
	v_add_f32_e32 v54, v54, v55
	s_waitcnt vmcnt(14) lgkmcnt(0)
	v_mul_f32_e32 v55, v50, v221
	v_fmac_f32_e32 v55, v51, v220
	v_add_f32_e32 v58, v54, v55
	ds_read_b128 v[54:57], v16 offset:592
	s_waitcnt vmcnt(12)
	v_mul_f32_e32 v59, v52, v223
	v_fmac_f32_e32 v59, v53, v222
	v_add_f32_e32 v62, v58, v59
	ds_read_b128 v[58:61], v16 offset:608
	buffer_load_dword v159, off, s[0:3], 0 offset:292
	buffer_load_dword v158, off, s[0:3], 0 offset:288
	s_waitcnt vmcnt(12) lgkmcnt(1)
	v_mul_f32_e32 v63, v54, v225
	v_fmac_f32_e32 v63, v55, v224
	v_add_f32_e32 v62, v62, v63
	s_waitcnt vmcnt(10)
	v_mul_f32_e32 v63, v56, v227
	v_fmac_f32_e32 v63, v57, v226
	v_add_f32_e32 v62, v62, v63
	s_waitcnt vmcnt(8) lgkmcnt(0)
	v_mul_f32_e32 v63, v58, v229
	v_fmac_f32_e32 v63, v59, v228
	s_waitcnt vmcnt(6)
	v_mul_f32_e32 v155, v60, v231
	v_add_f32_e32 v154, v62, v63
	v_fmac_f32_e32 v155, v61, v230
	ds_read_b128 v[62:65], v16 offset:624
	v_add_f32_e32 v161, v154, v155
	ds_read_b128 v[154:157], v16 offset:640
	buffer_load_dword v167, off, s[0:3], 0 offset:324
	buffer_load_dword v166, off, s[0:3], 0 offset:320
	;; [unrolled: 1-line block ×14, first 2 shown]
	v_mul_f32_e32 v17, v19, v17
	v_fma_f32 v17, v18, v183, -v17
	v_mul_f32_e32 v18, v21, v160
	v_add_f32_e32 v17, 0, v17
	v_fma_f32 v18, v20, v184, -v18
	v_mul_f32_e32 v7, v7, v162
	v_add_f32_e32 v17, v17, v18
	;; [unrolled: 3-line block ×3, first 2 shown]
	v_fma_f32 v7, v8, v186, -v7
	v_add_f32_e32 v6, v6, v7
	v_mul_f32_e32 v7, v11, v180
	v_fma_f32 v7, v10, v187, -v7
	v_add_f32_e32 v6, v6, v7
	v_mul_f32_e32 v7, v13, v181
	v_fma_f32 v7, v12, v188, -v7
	v_mul_f32_e32 v3, v3, v182
	v_add_f32_e32 v6, v6, v7
	v_fma_f32 v2, v2, v189, -v3
	v_mul_f32_e32 v3, v5, v190
	v_add_f32_e32 v2, v6, v2
	v_fma_f32 v3, v4, v191, -v3
	v_add_f32_e32 v2, v2, v3
	v_mul_f32_e32 v3, v23, v192
	v_fma_f32 v3, v22, v193, -v3
	v_add_f32_e32 v2, v2, v3
	v_mul_f32_e32 v3, v25, v194
	;; [unrolled: 3-line block ×20, first 2 shown]
	v_fma_f32 v3, v60, v230, -v3
	s_waitcnt vmcnt(15)
	v_mov_b32_e32 v18, v159
	s_waitcnt lgkmcnt(1)
	v_mul_f32_e32 v163, v62, v233
	v_add_f32_e32 v160, v2, v3
	v_mul_f32_e32 v2, v63, v233
	s_waitcnt lgkmcnt(0)
	v_pk_mul_f32 v[18:19], v[154:155], v[18:19] op_sel_hi:[1,0]
	v_fmac_f32_e32 v163, v63, v232
	v_mul_f32_e32 v165, v64, v235
	v_fma_f32 v162, v62, v232, -v2
	v_mul_f32_e32 v2, v65, v235
	s_waitcnt vmcnt(14)
	v_pk_fma_f32 v[20:21], v[154:155], v[158:159], v[18:19] op_sel:[0,0,1] op_sel_hi:[1,1,0] neg_lo:[0,0,1] neg_hi:[0,0,1]
	v_pk_fma_f32 v[18:19], v[154:155], v[158:159], v[18:19] op_sel:[0,0,1] op_sel_hi:[1,0,0]
	v_fmac_f32_e32 v165, v65, v234
	v_fma_f32 v164, v64, v234, -v2
	ds_read_b128 v[2:5], v16 offset:656
	ds_read_b128 v[6:9], v16 offset:672
	;; [unrolled: 1-line block ×3, first 2 shown]
	v_pk_add_f32 v[16:17], v[160:161], v[162:163]
	s_waitcnt vmcnt(7)
	v_mov_b32_e32 v18, v173
	v_pk_add_f32 v[16:17], v[16:17], v[164:165]
	v_mov_b32_e32 v21, v19
	v_pk_mul_f32 v[18:19], v[156:157], v[18:19] op_sel_hi:[1,0]
	v_pk_add_f32 v[16:17], v[16:17], v[20:21]
	s_waitcnt vmcnt(6)
	v_pk_fma_f32 v[20:21], v[156:157], v[172:173], v[18:19] op_sel:[0,0,1] op_sel_hi:[1,1,0] neg_lo:[0,0,1] neg_hi:[0,0,1]
	v_pk_fma_f32 v[18:19], v[156:157], v[172:173], v[18:19] op_sel:[0,0,1] op_sel_hi:[1,0,0]
	v_mov_b32_e32 v18, v171
	v_mov_b32_e32 v21, v19
	s_waitcnt lgkmcnt(2)
	v_pk_mul_f32 v[18:19], v[2:3], v[18:19] op_sel_hi:[1,0]
	v_pk_add_f32 v[16:17], v[16:17], v[20:21]
	v_pk_fma_f32 v[20:21], v[2:3], v[170:171], v[18:19] op_sel:[0,0,1] op_sel_hi:[1,1,0] neg_lo:[0,0,1] neg_hi:[0,0,1]
	v_pk_fma_f32 v[2:3], v[2:3], v[170:171], v[18:19] op_sel:[0,0,1] op_sel_hi:[1,0,0]
	v_mov_b32_e32 v21, v3
	v_pk_add_f32 v[2:3], v[16:17], v[20:21]
	v_mov_b32_e32 v16, v169
	v_pk_mul_f32 v[16:17], v[4:5], v[16:17] op_sel_hi:[1,0]
	v_pk_fma_f32 v[18:19], v[4:5], v[168:169], v[16:17] op_sel:[0,0,1] op_sel_hi:[1,1,0] neg_lo:[0,0,1] neg_hi:[0,0,1]
	v_pk_fma_f32 v[4:5], v[4:5], v[168:169], v[16:17] op_sel:[0,0,1] op_sel_hi:[1,0,0]
	v_mov_b32_e32 v4, v167
	v_mov_b32_e32 v19, v5
	s_waitcnt lgkmcnt(1)
	v_pk_mul_f32 v[4:5], v[6:7], v[4:5] op_sel_hi:[1,0]
	v_pk_fma_f32 v[16:17], v[6:7], v[166:167], v[4:5] op_sel:[0,0,1] op_sel_hi:[1,1,0] neg_lo:[0,0,1] neg_hi:[0,0,1]
	v_pk_fma_f32 v[4:5], v[6:7], v[166:167], v[4:5] op_sel:[0,0,1] op_sel_hi:[1,0,0]
	s_waitcnt vmcnt(1)
	v_mov_b32_e32 v4, v179
	v_mov_b32_e32 v17, v5
	v_pk_mul_f32 v[4:5], v[8:9], v[4:5] op_sel_hi:[1,0]
	s_waitcnt vmcnt(0)
	v_pk_fma_f32 v[6:7], v[8:9], v[178:179], v[4:5] op_sel:[0,0,1] op_sel_hi:[1,1,0] neg_lo:[0,0,1] neg_hi:[0,0,1]
	v_pk_fma_f32 v[4:5], v[8:9], v[178:179], v[4:5] op_sel:[0,0,1] op_sel_hi:[1,0,0]
	v_pk_add_f32 v[2:3], v[2:3], v[18:19]
	v_mov_b32_e32 v4, v177
	v_pk_add_f32 v[2:3], v[2:3], v[16:17]
	v_mov_b32_e32 v7, v5
	s_waitcnt lgkmcnt(0)
	v_pk_mul_f32 v[4:5], v[10:11], v[4:5] op_sel_hi:[1,0]
	v_pk_add_f32 v[2:3], v[2:3], v[6:7]
	v_pk_fma_f32 v[6:7], v[10:11], v[176:177], v[4:5] op_sel:[0,0,1] op_sel_hi:[1,1,0] neg_lo:[0,0,1] neg_hi:[0,0,1]
	v_pk_fma_f32 v[4:5], v[10:11], v[176:177], v[4:5] op_sel:[0,0,1] op_sel_hi:[1,0,0]
	v_mov_b32_e32 v4, v175
	v_mov_b32_e32 v7, v5
	v_pk_mul_f32 v[4:5], v[12:13], v[4:5] op_sel_hi:[1,0]
	v_pk_add_f32 v[2:3], v[2:3], v[6:7]
	v_pk_fma_f32 v[6:7], v[12:13], v[174:175], v[4:5] op_sel:[0,0,1] op_sel_hi:[1,1,0] neg_lo:[0,0,1] neg_hi:[0,0,1]
	v_pk_fma_f32 v[4:5], v[12:13], v[174:175], v[4:5] op_sel:[0,0,1] op_sel_hi:[1,0,0]
	v_mov_b32_e32 v7, v5
	v_pk_add_f32 v[2:3], v[2:3], v[6:7]
	v_pk_add_f32 v[2:3], v[14:15], v[2:3] neg_lo:[0,1] neg_hi:[0,1]
	buffer_store_dword v3, off, s[0:3], 0 offset:44
	buffer_store_dword v2, off, s[0:3], 0 offset:40
	s_and_saveexec_b64 s[4:5], vcc
	s_cbranch_execz .LBB107_269
; %bb.268:
	buffer_load_dword v2, off, s[0:3], 0 offset:32
	buffer_load_dword v3, off, s[0:3], 0 offset:36
	v_mov_b32_e32 v4, 0
	buffer_store_dword v4, off, s[0:3], 0 offset:32
	buffer_store_dword v4, off, s[0:3], 0 offset:36
	s_waitcnt vmcnt(2)
	ds_write_b64 v1, v[2:3]
.LBB107_269:
	s_or_b64 exec, exec, s[4:5]
	s_waitcnt lgkmcnt(0)
	; wave barrier
	s_waitcnt lgkmcnt(0)
	buffer_load_dword v21, off, s[0:3], 0 offset:44
	buffer_load_dword v158, off, s[0:3], 0 offset:52
	;; [unrolled: 1-line block ×48, first 2 shown]
	v_mov_b32_e32 v20, 0
	ds_read2_b64 v[4:7], v20 offset0:49 offset1:50
	buffer_load_dword v222, off, s[0:3], 0 offset:224
	buffer_load_dword v223, off, s[0:3], 0 offset:228
	;; [unrolled: 1-line block ×8, first 2 shown]
	ds_read2_b64 v[8:11], v20 offset0:51 offset1:52
	ds_read2_b64 v[12:15], v20 offset0:53 offset1:54
	;; [unrolled: 1-line block ×3, first 2 shown]
	buffer_load_dword v230, off, s[0:3], 0 offset:256
	buffer_load_dword v231, off, s[0:3], 0 offset:260
	buffer_load_dword v232, off, s[0:3], 0 offset:264
	buffer_load_dword v233, off, s[0:3], 0 offset:268
	buffer_load_dword v234, off, s[0:3], 0 offset:272
	buffer_load_dword v235, off, s[0:3], 0 offset:276
	buffer_load_dword v236, off, s[0:3], 0 offset:280
	buffer_load_dword v237, off, s[0:3], 0 offset:284
	v_cmp_lt_u32_e32 vcc, 3, v0
	s_waitcnt vmcnt(62) lgkmcnt(3)
	v_mul_f32_e32 v22, v4, v21
	v_mul_f32_e32 v23, v6, v158
	s_waitcnt vmcnt(61) lgkmcnt(2)
	v_mul_f32_e32 v24, v8, v160
	s_waitcnt vmcnt(60)
	v_mul_f32_e32 v25, v10, v162
	s_waitcnt vmcnt(59) lgkmcnt(1)
	v_mul_f32_e32 v26, v12, v180
	s_waitcnt vmcnt(58)
	v_mul_f32_e32 v27, v14, v181
	s_waitcnt vmcnt(57) lgkmcnt(0)
	v_mul_f32_e32 v28, v16, v182
	s_waitcnt vmcnt(56)
	v_fmac_f32_e32 v22, v5, v183
	s_waitcnt vmcnt(55)
	v_fmac_f32_e32 v23, v7, v184
	v_add_f32_e32 v22, 0, v22
	s_waitcnt vmcnt(54)
	v_fmac_f32_e32 v24, v9, v185
	v_add_f32_e32 v22, v22, v23
	;; [unrolled: 3-line block ×6, first 2 shown]
	v_add_f32_e32 v26, v22, v28
	ds_read2_b64 v[22:25], v20 offset0:57 offset1:58
	s_waitcnt vmcnt(49)
	v_mul_f32_e32 v27, v18, v190
	s_waitcnt vmcnt(48)
	v_fmac_f32_e32 v27, v19, v191
	v_add_f32_e32 v30, v26, v27
	ds_read2_b64 v[26:29], v20 offset0:59 offset1:60
	s_waitcnt vmcnt(47) lgkmcnt(1)
	v_mul_f32_e32 v31, v22, v192
	s_waitcnt vmcnt(46)
	v_fmac_f32_e32 v31, v23, v193
	v_add_f32_e32 v30, v30, v31
	s_waitcnt vmcnt(45)
	v_mul_f32_e32 v31, v24, v194
	s_waitcnt vmcnt(44)
	v_fmac_f32_e32 v31, v25, v195
	v_add_f32_e32 v30, v30, v31
	s_waitcnt vmcnt(42) lgkmcnt(0)
	v_mul_f32_e32 v31, v26, v197
	v_fmac_f32_e32 v31, v27, v196
	v_add_f32_e32 v34, v30, v31
	ds_read2_b64 v[30:33], v20 offset0:61 offset1:62
	s_waitcnt vmcnt(38)
	v_mul_f32_e32 v35, v28, v199
	v_fmac_f32_e32 v35, v29, v198
	v_add_f32_e32 v38, v34, v35
	ds_read2_b64 v[34:37], v20 offset0:63 offset1:64
	s_waitcnt vmcnt(36) lgkmcnt(1)
	v_mul_f32_e32 v39, v30, v201
	v_fmac_f32_e32 v39, v31, v200
	v_add_f32_e32 v38, v38, v39
	s_waitcnt vmcnt(34)
	v_mul_f32_e32 v39, v32, v203
	v_fmac_f32_e32 v39, v33, v202
	v_add_f32_e32 v38, v38, v39
	s_waitcnt vmcnt(32) lgkmcnt(0)
	v_mul_f32_e32 v39, v34, v205
	v_fmac_f32_e32 v39, v35, v204
	v_add_f32_e32 v42, v38, v39
	ds_read2_b64 v[38:41], v20 offset0:65 offset1:66
	s_waitcnt vmcnt(30)
	v_mul_f32_e32 v43, v36, v207
	v_fmac_f32_e32 v43, v37, v206
	v_add_f32_e32 v46, v42, v43
	ds_read2_b64 v[42:45], v20 offset0:67 offset1:68
	s_waitcnt vmcnt(28) lgkmcnt(1)
	v_mul_f32_e32 v47, v38, v209
	v_fmac_f32_e32 v47, v39, v208
	v_add_f32_e32 v46, v46, v47
	s_waitcnt vmcnt(26)
	v_mul_f32_e32 v47, v40, v211
	;; [unrolled: 18-line block ×4, first 2 shown]
	v_fmac_f32_e32 v63, v57, v226
	v_add_f32_e32 v62, v62, v63
	s_waitcnt vmcnt(8) lgkmcnt(0)
	v_mul_f32_e32 v63, v58, v229
	v_fmac_f32_e32 v63, v59, v228
	s_waitcnt vmcnt(6)
	v_mul_f32_e32 v155, v60, v231
	v_add_f32_e32 v154, v62, v63
	v_fmac_f32_e32 v155, v61, v230
	ds_read2_b64 v[62:65], v20 offset0:77 offset1:78
	v_add_f32_e32 v159, v154, v155
	ds_read2_b64 v[154:157], v20 offset0:79 offset1:80
	buffer_load_dword v165, off, s[0:3], 0 offset:316
	buffer_load_dword v164, off, s[0:3], 0 offset:312
	;; [unrolled: 1-line block ×16, first 2 shown]
	v_mul_f32_e32 v5, v5, v21
	v_fma_f32 v4, v4, v183, -v5
	v_mul_f32_e32 v5, v7, v158
	v_add_f32_e32 v4, 0, v4
	v_fma_f32 v5, v6, v184, -v5
	v_add_f32_e32 v4, v4, v5
	v_mul_f32_e32 v5, v9, v160
	v_fma_f32 v5, v8, v185, -v5
	v_add_f32_e32 v4, v4, v5
	v_mul_f32_e32 v5, v11, v162
	v_fma_f32 v5, v10, v186, -v5
	v_add_f32_e32 v4, v4, v5
	v_mul_f32_e32 v5, v13, v180
	v_fma_f32 v5, v12, v187, -v5
	v_add_f32_e32 v4, v4, v5
	v_mul_f32_e32 v5, v15, v181
	v_fma_f32 v5, v14, v188, -v5
	v_add_f32_e32 v4, v4, v5
	v_mul_f32_e32 v5, v17, v182
	v_fma_f32 v5, v16, v189, -v5
	v_add_f32_e32 v4, v4, v5
	v_mul_f32_e32 v5, v19, v190
	v_fma_f32 v5, v18, v191, -v5
	v_add_f32_e32 v4, v4, v5
	v_mul_f32_e32 v5, v23, v192
	v_fma_f32 v5, v22, v193, -v5
	v_add_f32_e32 v4, v4, v5
	v_mul_f32_e32 v5, v25, v194
	v_fma_f32 v5, v24, v195, -v5
	v_add_f32_e32 v4, v4, v5
	v_mul_f32_e32 v5, v27, v197
	v_fma_f32 v5, v26, v196, -v5
	v_add_f32_e32 v4, v4, v5
	v_mul_f32_e32 v5, v29, v199
	v_fma_f32 v5, v28, v198, -v5
	v_add_f32_e32 v4, v4, v5
	v_mul_f32_e32 v5, v31, v201
	v_fma_f32 v5, v30, v200, -v5
	v_add_f32_e32 v4, v4, v5
	v_mul_f32_e32 v5, v33, v203
	v_fma_f32 v5, v32, v202, -v5
	v_add_f32_e32 v4, v4, v5
	v_mul_f32_e32 v5, v35, v205
	v_fma_f32 v5, v34, v204, -v5
	v_add_f32_e32 v4, v4, v5
	v_mul_f32_e32 v5, v37, v207
	v_fma_f32 v5, v36, v206, -v5
	v_add_f32_e32 v4, v4, v5
	v_mul_f32_e32 v5, v39, v209
	v_fma_f32 v5, v38, v208, -v5
	v_add_f32_e32 v4, v4, v5
	v_mul_f32_e32 v5, v41, v211
	v_fma_f32 v5, v40, v210, -v5
	v_add_f32_e32 v4, v4, v5
	v_mul_f32_e32 v5, v43, v213
	v_fma_f32 v5, v42, v212, -v5
	v_add_f32_e32 v4, v4, v5
	v_mul_f32_e32 v5, v45, v215
	v_fma_f32 v5, v44, v214, -v5
	v_add_f32_e32 v4, v4, v5
	v_mul_f32_e32 v5, v47, v217
	v_fma_f32 v5, v46, v216, -v5
	v_add_f32_e32 v4, v4, v5
	v_mul_f32_e32 v5, v49, v219
	v_fma_f32 v5, v48, v218, -v5
	v_add_f32_e32 v4, v4, v5
	v_mul_f32_e32 v5, v51, v221
	v_fma_f32 v5, v50, v220, -v5
	v_add_f32_e32 v4, v4, v5
	v_mul_f32_e32 v5, v53, v223
	v_fma_f32 v5, v52, v222, -v5
	v_add_f32_e32 v4, v4, v5
	v_mul_f32_e32 v5, v55, v225
	v_fma_f32 v5, v54, v224, -v5
	v_add_f32_e32 v4, v4, v5
	v_mul_f32_e32 v5, v57, v227
	v_fma_f32 v5, v56, v226, -v5
	v_add_f32_e32 v4, v4, v5
	v_mul_f32_e32 v5, v59, v229
	v_fma_f32 v5, v58, v228, -v5
	v_add_f32_e32 v4, v4, v5
	v_mul_f32_e32 v5, v61, v231
	v_fma_f32 v5, v60, v230, -v5
	v_add_f32_e32 v4, v4, v5
	s_waitcnt vmcnt(20) lgkmcnt(1)
	v_mul_f32_e32 v5, v63, v233
	v_mul_f32_e32 v161, v62, v233
	v_fma_f32 v5, v62, v232, -v5
	v_fmac_f32_e32 v161, v63, v232
	v_add_f32_e32 v158, v4, v5
	s_waitcnt vmcnt(18)
	v_mul_f32_e32 v4, v65, v235
	s_waitcnt vmcnt(9)
	v_mov_b32_e32 v22, v171
	v_add_f32_e32 v159, v159, v161
	v_mul_f32_e32 v161, v64, v235
	v_fma_f32 v160, v64, v234, -v4
	s_waitcnt lgkmcnt(0)
	v_mul_f32_e32 v4, v155, v237
	v_pk_mul_f32 v[22:23], v[156:157], v[22:23] op_sel_hi:[1,0]
	v_fmac_f32_e32 v161, v65, v234
	v_mul_f32_e32 v163, v154, v237
	v_fma_f32 v162, v154, v236, -v4
	ds_read2_b64 v[4:7], v20 offset0:81 offset1:82
	ds_read2_b64 v[8:11], v20 offset0:83 offset1:84
	;; [unrolled: 1-line block ×3, first 2 shown]
	ds_read_b64 v[16:17], v20 offset:696
	s_waitcnt vmcnt(8)
	v_pk_fma_f32 v[24:25], v[156:157], v[170:171], v[22:23] op_sel:[0,0,1] op_sel_hi:[1,1,0] neg_lo:[0,0,1] neg_hi:[0,0,1]
	v_pk_fma_f32 v[22:23], v[156:157], v[170:171], v[22:23] op_sel:[0,0,1] op_sel_hi:[1,0,0]
	v_fmac_f32_e32 v163, v155, v236
	v_pk_add_f32 v[18:19], v[158:159], v[160:161]
	v_mov_b32_e32 v22, v169
	v_pk_add_f32 v[18:19], v[18:19], v[162:163]
	v_mov_b32_e32 v25, v23
	s_waitcnt lgkmcnt(3)
	v_pk_mul_f32 v[22:23], v[4:5], v[22:23] op_sel_hi:[1,0]
	v_pk_add_f32 v[18:19], v[18:19], v[24:25]
	v_pk_fma_f32 v[24:25], v[4:5], v[168:169], v[22:23] op_sel:[0,0,1] op_sel_hi:[1,1,0] neg_lo:[0,0,1] neg_hi:[0,0,1]
	v_pk_fma_f32 v[4:5], v[4:5], v[168:169], v[22:23] op_sel:[0,0,1] op_sel_hi:[1,0,0]
	v_mov_b32_e32 v25, v5
	v_pk_add_f32 v[4:5], v[18:19], v[24:25]
	v_mov_b32_e32 v18, v167
	v_pk_mul_f32 v[18:19], v[6:7], v[18:19] op_sel_hi:[1,0]
	v_pk_fma_f32 v[22:23], v[6:7], v[166:167], v[18:19] op_sel:[0,0,1] op_sel_hi:[1,1,0] neg_lo:[0,0,1] neg_hi:[0,0,1]
	v_pk_fma_f32 v[6:7], v[6:7], v[166:167], v[18:19] op_sel:[0,0,1] op_sel_hi:[1,0,0]
	v_mov_b32_e32 v6, v165
	v_mov_b32_e32 v23, v7
	s_waitcnt lgkmcnt(2)
	v_pk_mul_f32 v[6:7], v[8:9], v[6:7] op_sel_hi:[1,0]
	v_pk_fma_f32 v[18:19], v[8:9], v[164:165], v[6:7] op_sel:[0,0,1] op_sel_hi:[1,1,0] neg_lo:[0,0,1] neg_hi:[0,0,1]
	v_pk_fma_f32 v[6:7], v[8:9], v[164:165], v[6:7] op_sel:[0,0,1] op_sel_hi:[1,0,0]
	s_waitcnt vmcnt(1)
	v_mov_b32_e32 v6, v179
	v_mov_b32_e32 v19, v7
	v_pk_mul_f32 v[6:7], v[10:11], v[6:7] op_sel_hi:[1,0]
	s_waitcnt vmcnt(0)
	v_pk_fma_f32 v[8:9], v[10:11], v[178:179], v[6:7] op_sel:[0,0,1] op_sel_hi:[1,1,0] neg_lo:[0,0,1] neg_hi:[0,0,1]
	v_pk_fma_f32 v[6:7], v[10:11], v[178:179], v[6:7] op_sel:[0,0,1] op_sel_hi:[1,0,0]
	v_pk_add_f32 v[4:5], v[4:5], v[22:23]
	v_mov_b32_e32 v6, v177
	v_pk_add_f32 v[4:5], v[4:5], v[18:19]
	v_mov_b32_e32 v9, v7
	s_waitcnt lgkmcnt(1)
	v_pk_mul_f32 v[6:7], v[12:13], v[6:7] op_sel_hi:[1,0]
	v_pk_add_f32 v[4:5], v[4:5], v[8:9]
	v_pk_fma_f32 v[8:9], v[12:13], v[176:177], v[6:7] op_sel:[0,0,1] op_sel_hi:[1,1,0] neg_lo:[0,0,1] neg_hi:[0,0,1]
	v_pk_fma_f32 v[6:7], v[12:13], v[176:177], v[6:7] op_sel:[0,0,1] op_sel_hi:[1,0,0]
	v_mov_b32_e32 v6, v175
	v_mov_b32_e32 v9, v7
	v_pk_mul_f32 v[6:7], v[14:15], v[6:7] op_sel_hi:[1,0]
	v_pk_add_f32 v[4:5], v[4:5], v[8:9]
	v_pk_fma_f32 v[8:9], v[14:15], v[174:175], v[6:7] op_sel:[0,0,1] op_sel_hi:[1,1,0] neg_lo:[0,0,1] neg_hi:[0,0,1]
	v_pk_fma_f32 v[6:7], v[14:15], v[174:175], v[6:7] op_sel:[0,0,1] op_sel_hi:[1,0,0]
	v_mov_b32_e32 v6, v173
	v_mov_b32_e32 v9, v7
	s_waitcnt lgkmcnt(0)
	v_pk_mul_f32 v[6:7], v[16:17], v[6:7] op_sel_hi:[1,0]
	v_pk_add_f32 v[4:5], v[4:5], v[8:9]
	v_pk_fma_f32 v[8:9], v[16:17], v[172:173], v[6:7] op_sel:[0,0,1] op_sel_hi:[1,1,0] neg_lo:[0,0,1] neg_hi:[0,0,1]
	v_pk_fma_f32 v[6:7], v[16:17], v[172:173], v[6:7] op_sel:[0,0,1] op_sel_hi:[1,0,0]
	v_mov_b32_e32 v9, v7
	v_pk_add_f32 v[4:5], v[4:5], v[8:9]
	v_pk_add_f32 v[2:3], v[2:3], v[4:5] neg_lo:[0,1] neg_hi:[0,1]
	buffer_store_dword v3, off, s[0:3], 0 offset:36
	buffer_store_dword v2, off, s[0:3], 0 offset:32
	s_and_saveexec_b64 s[4:5], vcc
	s_cbranch_execz .LBB107_271
; %bb.270:
	buffer_load_dword v2, off, s[0:3], 0 offset:24
	buffer_load_dword v3, off, s[0:3], 0 offset:28
	s_waitcnt vmcnt(0)
	ds_write_b64 v1, v[2:3]
	buffer_store_dword v20, off, s[0:3], 0 offset:24
	buffer_store_dword v20, off, s[0:3], 0 offset:28
.LBB107_271:
	s_or_b64 exec, exec, s[4:5]
	s_waitcnt lgkmcnt(0)
	; wave barrier
	s_waitcnt lgkmcnt(0)
	buffer_load_dword v21, off, s[0:3], 0 offset:36
	buffer_load_dword v158, off, s[0:3], 0 offset:44
	;; [unrolled: 1-line block ×26, first 2 shown]
	ds_read_b128 v[14:17], v20 offset:384
	ds_read_b128 v[6:9], v20 offset:400
	buffer_load_dword v200, off, s[0:3], 0 offset:128
	buffer_load_dword v201, off, s[0:3], 0 offset:132
	ds_read_b128 v[10:13], v20 offset:416
	ds_read_b128 v[2:5], v20 offset:432
	buffer_load_dword v202, off, s[0:3], 0 offset:136
	buffer_load_dword v203, off, s[0:3], 0 offset:140
	;; [unrolled: 1-line block ×32, first 2 shown]
	v_cmp_lt_u32_e32 vcc, 2, v0
	s_waitcnt vmcnt(59) lgkmcnt(3)
	v_mul_f32_e32 v22, v14, v21
	s_waitcnt vmcnt(58)
	v_mul_f32_e32 v23, v16, v158
	s_waitcnt vmcnt(57) lgkmcnt(2)
	v_mul_f32_e32 v24, v6, v160
	s_waitcnt vmcnt(56)
	v_mul_f32_e32 v25, v8, v168
	;; [unrolled: 4-line block ×4, first 2 shown]
	s_waitcnt vmcnt(51)
	v_fmac_f32_e32 v22, v15, v184
	s_waitcnt vmcnt(50)
	v_fmac_f32_e32 v23, v17, v185
	v_add_f32_e32 v22, 0, v22
	s_waitcnt vmcnt(49)
	v_fmac_f32_e32 v24, v7, v186
	v_add_f32_e32 v22, v22, v23
	;; [unrolled: 3-line block ×6, first 2 shown]
	v_add_f32_e32 v26, v22, v28
	ds_read_b128 v[22:25], v20 offset:448
	s_waitcnt vmcnt(44)
	v_fmac_f32_e32 v29, v5, v191
	buffer_load_dword v234, off, s[0:3], 0 offset:264
	buffer_load_dword v235, off, s[0:3], 0 offset:268
	v_add_f32_e32 v30, v26, v29
	buffer_load_dword v236, off, s[0:3], 0 offset:272
	buffer_load_dword v237, off, s[0:3], 0 offset:276
	ds_read_b128 v[26:29], v20 offset:464
	s_waitcnt vmcnt(47) lgkmcnt(1)
	v_mul_f32_e32 v31, v22, v192
	s_waitcnt vmcnt(46)
	v_fmac_f32_e32 v31, v23, v193
	v_add_f32_e32 v30, v30, v31
	s_waitcnt vmcnt(45)
	v_mul_f32_e32 v31, v24, v194
	s_waitcnt vmcnt(44)
	v_fmac_f32_e32 v31, v25, v195
	v_add_f32_e32 v30, v30, v31
	s_waitcnt vmcnt(41) lgkmcnt(0)
	v_mul_f32_e32 v31, v26, v196
	s_waitcnt vmcnt(40)
	v_fmac_f32_e32 v31, v27, v197
	buffer_load_dword v238, off, s[0:3], 0 offset:280
	buffer_load_dword v239, off, s[0:3], 0 offset:284
	v_add_f32_e32 v34, v30, v31
	ds_read_b128 v[30:33], v20 offset:480
	s_waitcnt vmcnt(40)
	v_mul_f32_e32 v35, v28, v199
	v_fmac_f32_e32 v35, v29, v198
	v_add_f32_e32 v38, v34, v35
	ds_read_b128 v[34:37], v20 offset:496
	s_waitcnt vmcnt(38) lgkmcnt(1)
	v_mul_f32_e32 v39, v30, v201
	v_fmac_f32_e32 v39, v31, v200
	v_add_f32_e32 v38, v38, v39
	s_waitcnt vmcnt(36)
	v_mul_f32_e32 v39, v32, v203
	v_fmac_f32_e32 v39, v33, v202
	v_add_f32_e32 v38, v38, v39
	s_waitcnt vmcnt(34) lgkmcnt(0)
	v_mul_f32_e32 v39, v34, v205
	v_fmac_f32_e32 v39, v35, v204
	v_add_f32_e32 v42, v38, v39
	ds_read_b128 v[38:41], v20 offset:512
	s_waitcnt vmcnt(32)
	v_mul_f32_e32 v43, v36, v207
	v_fmac_f32_e32 v43, v37, v206
	v_add_f32_e32 v46, v42, v43
	ds_read_b128 v[42:45], v20 offset:528
	s_waitcnt vmcnt(30) lgkmcnt(1)
	v_mul_f32_e32 v47, v38, v209
	v_fmac_f32_e32 v47, v39, v208
	v_add_f32_e32 v46, v46, v47
	s_waitcnt vmcnt(28)
	v_mul_f32_e32 v47, v40, v211
	v_fmac_f32_e32 v47, v41, v210
	v_add_f32_e32 v46, v46, v47
	s_waitcnt vmcnt(26) lgkmcnt(0)
	v_mul_f32_e32 v47, v42, v213
	v_fmac_f32_e32 v47, v43, v212
	;; [unrolled: 18-line block ×4, first 2 shown]
	s_waitcnt vmcnt(8)
	v_mul_f32_e32 v155, v60, v231
	v_add_f32_e32 v154, v62, v63
	v_fmac_f32_e32 v155, v61, v230
	ds_read_b128 v[62:65], v20 offset:608
	v_add_f32_e32 v159, v154, v155
	ds_read_b128 v[154:157], v20 offset:624
	buffer_load_dword v163, off, s[0:3], 0 offset:308
	buffer_load_dword v162, off, s[0:3], 0 offset:304
	;; [unrolled: 1-line block ×16, first 2 shown]
	v_mul_f32_e32 v15, v15, v21
	v_fma_f32 v14, v14, v184, -v15
	v_mul_f32_e32 v15, v17, v158
	v_add_f32_e32 v14, 0, v14
	v_fma_f32 v15, v16, v185, -v15
	v_mul_f32_e32 v7, v7, v160
	v_add_f32_e32 v14, v14, v15
	;; [unrolled: 3-line block ×3, first 2 shown]
	v_fma_f32 v7, v8, v187, -v7
	v_add_f32_e32 v6, v6, v7
	v_mul_f32_e32 v7, v11, v180
	v_fma_f32 v7, v10, v188, -v7
	v_add_f32_e32 v6, v6, v7
	v_mul_f32_e32 v7, v13, v181
	v_fma_f32 v7, v12, v189, -v7
	v_mul_f32_e32 v3, v3, v182
	v_add_f32_e32 v6, v6, v7
	v_fma_f32 v2, v2, v190, -v3
	v_mul_f32_e32 v3, v5, v183
	v_add_f32_e32 v2, v6, v2
	v_fma_f32 v3, v4, v191, -v3
	v_add_f32_e32 v2, v2, v3
	v_mul_f32_e32 v3, v23, v192
	v_fma_f32 v3, v22, v193, -v3
	v_add_f32_e32 v2, v2, v3
	v_mul_f32_e32 v3, v25, v194
	;; [unrolled: 3-line block ×20, first 2 shown]
	v_fma_f32 v3, v60, v230, -v3
	v_add_f32_e32 v2, v2, v3
	s_waitcnt vmcnt(22) lgkmcnt(1)
	v_mul_f32_e32 v3, v63, v233
	v_fma_f32 v3, v62, v232, -v3
	v_add_f32_e32 v2, v2, v3
	s_waitcnt vmcnt(20)
	v_mul_f32_e32 v3, v65, v235
	v_mul_f32_e32 v161, v62, v233
	v_fma_f32 v3, v64, v234, -v3
	v_fmac_f32_e32 v161, v63, v232
	v_add_f32_e32 v158, v2, v3
	s_waitcnt vmcnt(18) lgkmcnt(0)
	v_mul_f32_e32 v2, v155, v237
	v_add_f32_e32 v159, v159, v161
	v_mul_f32_e32 v161, v64, v235
	v_fma_f32 v160, v154, v236, -v2
	s_waitcnt vmcnt(16)
	v_mul_f32_e32 v2, v157, v239
	v_fmac_f32_e32 v161, v65, v234
	v_fma_f32 v168, v156, v238, -v2
	ds_read_b128 v[2:5], v20 offset:640
	ds_read_b128 v[6:9], v20 offset:656
	;; [unrolled: 1-line block ×4, first 2 shown]
	v_add_f32_e32 v159, v159, v161
	v_mul_f32_e32 v161, v154, v237
	s_waitcnt vmcnt(11)
	v_mov_b32_e32 v22, v167
	v_fmac_f32_e32 v161, v155, v236
	v_mul_f32_e32 v169, v156, v239
	s_waitcnt lgkmcnt(3)
	v_pk_mul_f32 v[22:23], v[2:3], v[22:23] op_sel_hi:[1,0]
	v_fmac_f32_e32 v169, v157, v238
	v_pk_add_f32 v[20:21], v[158:159], v[160:161]
	s_waitcnt vmcnt(10)
	v_pk_fma_f32 v[24:25], v[2:3], v[166:167], v[22:23] op_sel:[0,0,1] op_sel_hi:[1,1,0] neg_lo:[0,0,1] neg_hi:[0,0,1]
	v_pk_fma_f32 v[2:3], v[2:3], v[166:167], v[22:23] op_sel:[0,0,1] op_sel_hi:[1,0,0]
	v_pk_add_f32 v[20:21], v[20:21], v[168:169]
	v_mov_b32_e32 v25, v3
	v_pk_add_f32 v[2:3], v[20:21], v[24:25]
	v_mov_b32_e32 v20, v165
	v_pk_mul_f32 v[20:21], v[4:5], v[20:21] op_sel_hi:[1,0]
	v_pk_fma_f32 v[22:23], v[4:5], v[164:165], v[20:21] op_sel:[0,0,1] op_sel_hi:[1,1,0] neg_lo:[0,0,1] neg_hi:[0,0,1]
	v_pk_fma_f32 v[4:5], v[4:5], v[164:165], v[20:21] op_sel:[0,0,1] op_sel_hi:[1,0,0]
	v_mov_b32_e32 v4, v163
	v_mov_b32_e32 v23, v5
	s_waitcnt lgkmcnt(2)
	v_pk_mul_f32 v[4:5], v[6:7], v[4:5] op_sel_hi:[1,0]
	v_pk_fma_f32 v[20:21], v[6:7], v[162:163], v[4:5] op_sel:[0,0,1] op_sel_hi:[1,1,0] neg_lo:[0,0,1] neg_hi:[0,0,1]
	v_pk_fma_f32 v[4:5], v[6:7], v[162:163], v[4:5] op_sel:[0,0,1] op_sel_hi:[1,0,0]
	s_waitcnt vmcnt(3)
	v_mov_b32_e32 v4, v177
	v_mov_b32_e32 v21, v5
	v_pk_mul_f32 v[4:5], v[8:9], v[4:5] op_sel_hi:[1,0]
	s_waitcnt vmcnt(2)
	v_pk_fma_f32 v[6:7], v[8:9], v[176:177], v[4:5] op_sel:[0,0,1] op_sel_hi:[1,1,0] neg_lo:[0,0,1] neg_hi:[0,0,1]
	v_pk_fma_f32 v[4:5], v[8:9], v[176:177], v[4:5] op_sel:[0,0,1] op_sel_hi:[1,0,0]
	v_pk_add_f32 v[2:3], v[2:3], v[22:23]
	v_mov_b32_e32 v4, v175
	v_pk_add_f32 v[2:3], v[2:3], v[20:21]
	v_mov_b32_e32 v7, v5
	s_waitcnt lgkmcnt(1)
	v_pk_mul_f32 v[4:5], v[10:11], v[4:5] op_sel_hi:[1,0]
	v_pk_add_f32 v[2:3], v[2:3], v[6:7]
	v_pk_fma_f32 v[6:7], v[10:11], v[174:175], v[4:5] op_sel:[0,0,1] op_sel_hi:[1,1,0] neg_lo:[0,0,1] neg_hi:[0,0,1]
	v_pk_fma_f32 v[4:5], v[10:11], v[174:175], v[4:5] op_sel:[0,0,1] op_sel_hi:[1,0,0]
	v_mov_b32_e32 v4, v173
	v_mov_b32_e32 v7, v5
	v_pk_mul_f32 v[4:5], v[12:13], v[4:5] op_sel_hi:[1,0]
	v_pk_add_f32 v[2:3], v[2:3], v[6:7]
	v_pk_fma_f32 v[6:7], v[12:13], v[172:173], v[4:5] op_sel:[0,0,1] op_sel_hi:[1,1,0] neg_lo:[0,0,1] neg_hi:[0,0,1]
	v_pk_fma_f32 v[4:5], v[12:13], v[172:173], v[4:5] op_sel:[0,0,1] op_sel_hi:[1,0,0]
	v_mov_b32_e32 v4, v171
	v_mov_b32_e32 v7, v5
	s_waitcnt lgkmcnt(0)
	v_pk_mul_f32 v[4:5], v[14:15], v[4:5] op_sel_hi:[1,0]
	v_pk_add_f32 v[2:3], v[2:3], v[6:7]
	v_pk_fma_f32 v[6:7], v[14:15], v[170:171], v[4:5] op_sel:[0,0,1] op_sel_hi:[1,1,0] neg_lo:[0,0,1] neg_hi:[0,0,1]
	v_pk_fma_f32 v[4:5], v[14:15], v[170:171], v[4:5] op_sel:[0,0,1] op_sel_hi:[1,0,0]
	s_waitcnt vmcnt(1)
	v_mov_b32_e32 v4, v179
	v_mov_b32_e32 v7, v5
	v_pk_mul_f32 v[4:5], v[16:17], v[4:5] op_sel_hi:[1,0]
	v_pk_add_f32 v[2:3], v[2:3], v[6:7]
	s_waitcnt vmcnt(0)
	v_pk_fma_f32 v[6:7], v[16:17], v[178:179], v[4:5] op_sel:[0,0,1] op_sel_hi:[1,1,0] neg_lo:[0,0,1] neg_hi:[0,0,1]
	v_pk_fma_f32 v[4:5], v[16:17], v[178:179], v[4:5] op_sel:[0,0,1] op_sel_hi:[1,0,0]
	v_mov_b32_e32 v7, v5
	v_pk_add_f32 v[2:3], v[2:3], v[6:7]
	v_pk_add_f32 v[2:3], v[18:19], v[2:3] neg_lo:[0,1] neg_hi:[0,1]
	buffer_store_dword v3, off, s[0:3], 0 offset:28
	buffer_store_dword v2, off, s[0:3], 0 offset:24
	s_and_saveexec_b64 s[4:5], vcc
	s_cbranch_execz .LBB107_273
; %bb.272:
	buffer_load_dword v2, off, s[0:3], 0 offset:16
	buffer_load_dword v3, off, s[0:3], 0 offset:20
	v_mov_b32_e32 v4, 0
	buffer_store_dword v4, off, s[0:3], 0 offset:16
	buffer_store_dword v4, off, s[0:3], 0 offset:20
	s_waitcnt vmcnt(2)
	ds_write_b64 v1, v[2:3]
.LBB107_273:
	s_or_b64 exec, exec, s[4:5]
	s_waitcnt lgkmcnt(0)
	; wave barrier
	s_waitcnt lgkmcnt(0)
	buffer_load_dword v158, off, s[0:3], 0 offset:28
	buffer_load_dword v163, off, s[0:3], 0 offset:36
	;; [unrolled: 1-line block ×24, first 2 shown]
	v_mov_b32_e32 v162, 0
	buffer_load_dword v206, off, s[0:3], 0 offset:112
	buffer_load_dword v207, off, s[0:3], 0 offset:116
	;; [unrolled: 1-line block ×32, first 2 shown]
	ds_read2_b64 v[18:21], v162 offset0:47 offset1:48
	ds_read2_b64 v[14:17], v162 offset0:49 offset1:50
	ds_read2_b64 v[10:13], v162 offset0:51 offset1:52
	ds_read2_b64 v[6:9], v162 offset0:53 offset1:54
	ds_read2_b64 v[2:5], v162 offset0:55 offset1:56
	buffer_load_dword v238, off, s[0:3], 0 offset:240
	buffer_load_dword v239, off, s[0:3], 0 offset:244
	buffer_load_dword v240, off, s[0:3], 0 offset:248
	buffer_load_dword v241, off, s[0:3], 0 offset:252
	v_cmp_lt_u32_e32 vcc, 1, v0
	s_waitcnt vmcnt(59) lgkmcnt(4)
	v_mul_f32_e32 v22, v18, v158
	s_waitcnt vmcnt(58)
	v_mul_f32_e32 v23, v20, v163
	s_waitcnt vmcnt(57) lgkmcnt(3)
	v_mul_f32_e32 v24, v14, v172
	s_waitcnt vmcnt(56)
	v_mul_f32_e32 v25, v16, v174
	;; [unrolled: 4-line block ×4, first 2 shown]
	s_waitcnt vmcnt(51)
	v_fmac_f32_e32 v22, v19, v192
	s_waitcnt vmcnt(50)
	v_fmac_f32_e32 v23, v21, v193
	v_add_f32_e32 v22, 0, v22
	s_waitcnt vmcnt(49)
	v_fmac_f32_e32 v24, v15, v194
	v_add_f32_e32 v22, v22, v23
	;; [unrolled: 3-line block ×7, first 2 shown]
	v_add_f32_e32 v26, v22, v29
	ds_read2_b64 v[22:25], v162 offset0:57 offset1:58
	buffer_load_dword v242, off, s[0:3], 0 offset:256
	buffer_load_dword v243, off, s[0:3], 0 offset:260
	;; [unrolled: 1-line block ×4, first 2 shown]
	s_waitcnt vmcnt(47) lgkmcnt(1)
	v_mul_f32_e32 v27, v2, v200
	s_waitcnt vmcnt(46)
	v_fmac_f32_e32 v27, v3, v201
	v_add_f32_e32 v26, v26, v27
	s_waitcnt vmcnt(45)
	v_mul_f32_e32 v27, v4, v202
	s_waitcnt vmcnt(44)
	v_fmac_f32_e32 v27, v5, v203
	buffer_load_dword v246, off, s[0:3], 0 offset:272
	buffer_load_dword v247, off, s[0:3], 0 offset:276
	;; [unrolled: 1-line block ×4, first 2 shown]
	ds_read2_b64 v[34:37], v162 offset0:59 offset1:60
	ds_read2_b64 v[30:33], v162 offset0:61 offset1:62
	v_add_f32_e32 v26, v26, v27
	s_waitcnt vmcnt(47) lgkmcnt(2)
	v_mul_f32_e32 v27, v22, v204
	s_waitcnt vmcnt(44)
	v_fmac_f32_e32 v27, v23, v205
	v_add_f32_e32 v26, v26, v27
	s_waitcnt vmcnt(42)
	v_mul_f32_e32 v27, v24, v207
	v_fmac_f32_e32 v27, v25, v206
	v_add_f32_e32 v26, v26, v27
	s_waitcnt vmcnt(40) lgkmcnt(1)
	v_mul_f32_e32 v27, v34, v209
	v_fmac_f32_e32 v27, v35, v208
	v_add_f32_e32 v26, v26, v27
	s_waitcnt vmcnt(38)
	v_mul_f32_e32 v27, v36, v211
	v_fmac_f32_e32 v27, v37, v210
	ds_read2_b64 v[42:45], v162 offset0:63 offset1:64
	ds_read2_b64 v[38:41], v162 offset0:65 offset1:66
	v_add_f32_e32 v26, v26, v27
	s_waitcnt vmcnt(36) lgkmcnt(2)
	v_mul_f32_e32 v27, v30, v213
	v_fmac_f32_e32 v27, v31, v212
	v_add_f32_e32 v26, v26, v27
	s_waitcnt vmcnt(34)
	v_mul_f32_e32 v27, v32, v215
	v_fmac_f32_e32 v27, v33, v214
	v_add_f32_e32 v26, v26, v27
	s_waitcnt vmcnt(32) lgkmcnt(1)
	v_mul_f32_e32 v27, v42, v217
	v_fmac_f32_e32 v27, v43, v216
	v_add_f32_e32 v26, v26, v27
	s_waitcnt vmcnt(30)
	v_mul_f32_e32 v27, v44, v219
	v_fmac_f32_e32 v27, v45, v218
	ds_read2_b64 v[50:53], v162 offset0:67 offset1:68
	ds_read2_b64 v[46:49], v162 offset0:69 offset1:70
	v_add_f32_e32 v26, v26, v27
	s_waitcnt vmcnt(28) lgkmcnt(2)
	v_mul_f32_e32 v27, v38, v221
	;; [unrolled: 18-line block ×4, first 2 shown]
	v_fmac_f32_e32 v27, v55, v236
	v_add_f32_e32 v26, v26, v27
	s_waitcnt vmcnt(10)
	v_mul_f32_e32 v27, v56, v239
	v_fmac_f32_e32 v27, v57, v238
	v_add_f32_e32 v26, v26, v27
	s_waitcnt vmcnt(8) lgkmcnt(1)
	v_mul_f32_e32 v27, v164, v241
	v_fmac_f32_e32 v27, v165, v240
	v_add_f32_e32 v26, v26, v27
	v_mul_f32_e32 v19, v19, v158
	v_fma_f32 v18, v18, v192, -v19
	v_mul_f32_e32 v19, v21, v163
	s_waitcnt vmcnt(6)
	v_mul_f32_e32 v27, v166, v243
	v_fmac_f32_e32 v27, v167, v242
	v_add_f32_e32 v26, v26, v27
	s_waitcnt vmcnt(4) lgkmcnt(0)
	v_mul_f32_e32 v27, v62, v245
	v_fmac_f32_e32 v27, v63, v244
	v_add_f32_e32 v159, v26, v27
	ds_read2_b64 v[26:29], v162 offset0:79 offset1:80
	buffer_load_dword v157, off, s[0:3], 0 offset:300
	buffer_load_dword v156, off, s[0:3], 0 offset:296
	;; [unrolled: 1-line block ×4, first 2 shown]
	ds_read2_b64 v[168:171], v162 offset0:81 offset1:82
	buffer_load_dword v177, off, s[0:3], 0 offset:332
	buffer_load_dword v176, off, s[0:3], 0 offset:328
	;; [unrolled: 1-line block ×12, first 2 shown]
	v_add_f32_e32 v18, 0, v18
	v_fma_f32 v19, v20, v193, -v19
	v_mul_f32_e32 v15, v15, v172
	v_add_f32_e32 v18, v18, v19
	v_fma_f32 v14, v14, v194, -v15
	v_mul_f32_e32 v15, v17, v174
	;; [unrolled: 3-line block ×8, first 2 shown]
	v_add_f32_e32 v2, v6, v2
	v_fma_f32 v3, v4, v203, -v3
	v_add_f32_e32 v2, v2, v3
	v_mul_f32_e32 v3, v23, v204
	v_fma_f32 v3, v22, v205, -v3
	v_add_f32_e32 v2, v2, v3
	v_mul_f32_e32 v3, v25, v207
	;; [unrolled: 3-line block ×21, first 2 shown]
	v_fma_f32 v3, v62, v244, -v3
	s_waitcnt vmcnt(13)
	v_mov_b32_e32 v14, v161
	v_mul_f32_e32 v173, v64, v247
	v_add_f32_e32 v158, v2, v3
	v_mul_f32_e32 v2, v65, v247
	s_waitcnt lgkmcnt(1)
	v_pk_mul_f32 v[14:15], v[28:29], v[14:15] op_sel_hi:[1,0]
	v_fmac_f32_e32 v173, v65, v246
	v_mul_f32_e32 v175, v26, v249
	v_fma_f32 v172, v64, v246, -v2
	v_mul_f32_e32 v2, v27, v249
	s_waitcnt vmcnt(12)
	v_pk_fma_f32 v[16:17], v[28:29], v[160:161], v[14:15] op_sel:[0,0,1] op_sel_hi:[1,1,0] neg_lo:[0,0,1] neg_hi:[0,0,1]
	v_pk_fma_f32 v[14:15], v[28:29], v[160:161], v[14:15] op_sel:[0,0,1] op_sel_hi:[1,0,0]
	v_fmac_f32_e32 v175, v27, v248
	v_fma_f32 v174, v26, v248, -v2
	v_pk_add_f32 v[12:13], v[158:159], v[172:173]
	v_mov_b32_e32 v14, v157
	v_pk_add_f32 v[12:13], v[12:13], v[174:175]
	v_mov_b32_e32 v17, v15
	s_waitcnt lgkmcnt(0)
	v_pk_mul_f32 v[14:15], v[168:169], v[14:15] op_sel_hi:[1,0]
	v_pk_add_f32 v[12:13], v[12:13], v[16:17]
	v_pk_fma_f32 v[16:17], v[168:169], v[156:157], v[14:15] op_sel:[0,0,1] op_sel_hi:[1,1,0] neg_lo:[0,0,1] neg_hi:[0,0,1]
	v_pk_fma_f32 v[14:15], v[168:169], v[156:157], v[14:15] op_sel:[0,0,1] op_sel_hi:[1,0,0]
	s_waitcnt vmcnt(5)
	v_mov_b32_e32 v14, v183
	ds_read2_b64 v[2:5], v162 offset0:83 offset1:84
	ds_read2_b64 v[6:9], v162 offset0:85 offset1:86
	ds_read_b64 v[10:11], v162 offset:696
	v_mov_b32_e32 v17, v15
	v_pk_mul_f32 v[14:15], v[170:171], v[14:15] op_sel_hi:[1,0]
	v_pk_add_f32 v[12:13], v[12:13], v[16:17]
	s_waitcnt vmcnt(4)
	v_pk_fma_f32 v[16:17], v[170:171], v[182:183], v[14:15] op_sel:[0,0,1] op_sel_hi:[1,1,0] neg_lo:[0,0,1] neg_hi:[0,0,1]
	v_pk_fma_f32 v[14:15], v[170:171], v[182:183], v[14:15] op_sel:[0,0,1] op_sel_hi:[1,0,0]
	v_mov_b32_e32 v14, v181
	v_mov_b32_e32 v17, v15
	s_waitcnt lgkmcnt(2)
	v_pk_mul_f32 v[14:15], v[2:3], v[14:15] op_sel_hi:[1,0]
	v_pk_add_f32 v[12:13], v[12:13], v[16:17]
	v_pk_fma_f32 v[16:17], v[2:3], v[180:181], v[14:15] op_sel:[0,0,1] op_sel_hi:[1,1,0] neg_lo:[0,0,1] neg_hi:[0,0,1]
	v_pk_fma_f32 v[2:3], v[2:3], v[180:181], v[14:15] op_sel:[0,0,1] op_sel_hi:[1,0,0]
	v_mov_b32_e32 v17, v3
	v_pk_add_f32 v[2:3], v[12:13], v[16:17]
	v_mov_b32_e32 v12, v179
	v_pk_mul_f32 v[12:13], v[4:5], v[12:13] op_sel_hi:[1,0]
	v_pk_fma_f32 v[14:15], v[4:5], v[178:179], v[12:13] op_sel:[0,0,1] op_sel_hi:[1,1,0] neg_lo:[0,0,1] neg_hi:[0,0,1]
	v_pk_fma_f32 v[4:5], v[4:5], v[178:179], v[12:13] op_sel:[0,0,1] op_sel_hi:[1,0,0]
	v_mov_b32_e32 v4, v177
	v_mov_b32_e32 v15, v5
	s_waitcnt lgkmcnt(1)
	v_pk_mul_f32 v[4:5], v[6:7], v[4:5] op_sel_hi:[1,0]
	v_pk_fma_f32 v[12:13], v[6:7], v[176:177], v[4:5] op_sel:[0,0,1] op_sel_hi:[1,1,0] neg_lo:[0,0,1] neg_hi:[0,0,1]
	v_pk_fma_f32 v[4:5], v[6:7], v[176:177], v[4:5] op_sel:[0,0,1] op_sel_hi:[1,0,0]
	s_waitcnt vmcnt(1)
	v_mov_b32_e32 v4, v187
	v_mov_b32_e32 v13, v5
	v_pk_mul_f32 v[4:5], v[8:9], v[4:5] op_sel_hi:[1,0]
	s_waitcnt vmcnt(0)
	v_pk_fma_f32 v[6:7], v[8:9], v[186:187], v[4:5] op_sel:[0,0,1] op_sel_hi:[1,1,0] neg_lo:[0,0,1] neg_hi:[0,0,1]
	v_pk_fma_f32 v[4:5], v[8:9], v[186:187], v[4:5] op_sel:[0,0,1] op_sel_hi:[1,0,0]
	v_pk_add_f32 v[2:3], v[2:3], v[14:15]
	v_mov_b32_e32 v4, v185
	v_pk_add_f32 v[2:3], v[2:3], v[12:13]
	v_mov_b32_e32 v7, v5
	s_waitcnt lgkmcnt(0)
	v_pk_mul_f32 v[4:5], v[10:11], v[4:5] op_sel_hi:[1,0]
	v_pk_add_f32 v[2:3], v[2:3], v[6:7]
	v_pk_fma_f32 v[6:7], v[10:11], v[184:185], v[4:5] op_sel:[0,0,1] op_sel_hi:[1,1,0] neg_lo:[0,0,1] neg_hi:[0,0,1]
	v_pk_fma_f32 v[4:5], v[10:11], v[184:185], v[4:5] op_sel:[0,0,1] op_sel_hi:[1,0,0]
	v_mov_b32_e32 v7, v5
	v_pk_add_f32 v[2:3], v[2:3], v[6:7]
	v_pk_add_f32 v[2:3], v[154:155], v[2:3] neg_lo:[0,1] neg_hi:[0,1]
	buffer_store_dword v3, off, s[0:3], 0 offset:20
	buffer_store_dword v2, off, s[0:3], 0 offset:16
	s_and_saveexec_b64 s[4:5], vcc
	s_cbranch_execz .LBB107_275
; %bb.274:
	buffer_load_dword v2, off, s[0:3], 0 offset:8
	buffer_load_dword v3, off, s[0:3], 0 offset:12
	s_waitcnt vmcnt(0)
	ds_write_b64 v1, v[2:3]
	buffer_store_dword v162, off, s[0:3], 0 offset:8
	buffer_store_dword v162, off, s[0:3], 0 offset:12
.LBB107_275:
	s_or_b64 exec, exec, s[4:5]
	s_waitcnt lgkmcnt(0)
	; wave barrier
	s_waitcnt lgkmcnt(0)
	buffer_load_dword v163, off, s[0:3], 0 offset:20
	buffer_load_dword v168, off, s[0:3], 0 offset:28
	;; [unrolled: 1-line block ×24, first 2 shown]
	ds_read_b128 v[22:25], v162 offset:368
	ds_read_b128 v[18:21], v162 offset:384
	;; [unrolled: 1-line block ×4, first 2 shown]
	buffer_load_dword v206, off, s[0:3], 0 offset:104
	buffer_load_dword v207, off, s[0:3], 0 offset:108
	ds_read_b128 v[10:13], v162 offset:432
	ds_read_b128 v[2:5], v162 offset:448
	buffer_load_dword v208, off, s[0:3], 0 offset:112
	buffer_load_dword v209, off, s[0:3], 0 offset:116
	;; [unrolled: 1-line block ×44, first 2 shown]
	v_cmp_ne_u32_e32 vcc, 0, v0
	ds_read_b128 v[154:157], v162 offset:608
	s_waitcnt vmcnt(62) lgkmcnt(6)
	v_mul_f32_e32 v28, v22, v163
	v_mul_f32_e32 v29, v24, v168
	s_waitcnt lgkmcnt(5)
	v_mul_f32_e32 v30, v18, v170
	v_mul_f32_e32 v31, v20, v172
	s_waitcnt lgkmcnt(4)
	;; [unrolled: 3-line block ×3, first 2 shown]
	v_mul_f32_e32 v34, v6, v190
	v_mul_f32_e32 v35, v8, v191
	s_waitcnt vmcnt(61)
	v_fmac_f32_e32 v28, v23, v192
	s_waitcnt vmcnt(60)
	v_fmac_f32_e32 v29, v25, v193
	v_add_f32_e32 v28, 0, v28
	s_waitcnt vmcnt(59)
	v_fmac_f32_e32 v30, v19, v194
	v_add_f32_e32 v28, v28, v29
	;; [unrolled: 3-line block ×7, first 2 shown]
	s_waitcnt vmcnt(53) lgkmcnt(2)
	v_mul_f32_e32 v29, v10, v200
	v_add_f32_e32 v28, v28, v35
	s_waitcnt vmcnt(52)
	v_fmac_f32_e32 v29, v11, v201
	v_add_f32_e32 v28, v28, v29
	s_waitcnt vmcnt(51)
	v_mul_f32_e32 v29, v12, v202
	s_waitcnt vmcnt(50)
	v_fmac_f32_e32 v29, v13, v203
	v_add_f32_e32 v28, v28, v29
	s_waitcnt vmcnt(49) lgkmcnt(1)
	v_mul_f32_e32 v29, v2, v204
	s_waitcnt vmcnt(46)
	v_fmac_f32_e32 v29, v3, v205
	v_add_f32_e32 v32, v28, v29
	ds_read_b128 v[28:31], v162 offset:464
	s_waitcnt vmcnt(44)
	v_mul_f32_e32 v33, v4, v207
	v_fmac_f32_e32 v33, v5, v206
	v_add_f32_e32 v36, v32, v33
	ds_read_b128 v[32:35], v162 offset:480
	s_waitcnt vmcnt(42) lgkmcnt(1)
	v_mul_f32_e32 v37, v28, v209
	v_fmac_f32_e32 v37, v29, v208
	v_add_f32_e32 v36, v36, v37
	s_waitcnt vmcnt(40)
	v_mul_f32_e32 v37, v30, v211
	v_fmac_f32_e32 v37, v31, v210
	v_add_f32_e32 v36, v36, v37
	s_waitcnt vmcnt(38) lgkmcnt(0)
	v_mul_f32_e32 v37, v32, v213
	v_fmac_f32_e32 v37, v33, v212
	v_add_f32_e32 v40, v36, v37
	ds_read_b128 v[36:39], v162 offset:496
	s_waitcnt vmcnt(36)
	v_mul_f32_e32 v41, v34, v215
	v_fmac_f32_e32 v41, v35, v214
	v_add_f32_e32 v44, v40, v41
	ds_read_b128 v[40:43], v162 offset:512
	s_waitcnt vmcnt(34) lgkmcnt(1)
	v_mul_f32_e32 v45, v36, v217
	v_fmac_f32_e32 v45, v37, v216
	v_add_f32_e32 v44, v44, v45
	s_waitcnt vmcnt(32)
	v_mul_f32_e32 v45, v38, v219
	v_fmac_f32_e32 v45, v39, v218
	v_add_f32_e32 v44, v44, v45
	s_waitcnt vmcnt(30) lgkmcnt(0)
	v_mul_f32_e32 v45, v40, v221
	v_fmac_f32_e32 v45, v41, v220
	v_add_f32_e32 v48, v44, v45
	ds_read_b128 v[44:47], v162 offset:528
	s_waitcnt vmcnt(28)
	v_mul_f32_e32 v49, v42, v223
	v_fmac_f32_e32 v49, v43, v222
	v_add_f32_e32 v52, v48, v49
	ds_read_b128 v[48:51], v162 offset:544
	s_waitcnt vmcnt(26) lgkmcnt(1)
	v_mul_f32_e32 v53, v44, v225
	v_fmac_f32_e32 v53, v45, v224
	v_add_f32_e32 v52, v52, v53
	s_waitcnt vmcnt(24)
	v_mul_f32_e32 v53, v46, v227
	v_fmac_f32_e32 v53, v47, v226
	v_add_f32_e32 v52, v52, v53
	s_waitcnt vmcnt(22) lgkmcnt(0)
	v_mul_f32_e32 v53, v48, v229
	v_fmac_f32_e32 v53, v49, v228
	v_add_f32_e32 v56, v52, v53
	ds_read_b128 v[52:55], v162 offset:560
	s_waitcnt vmcnt(20)
	v_mul_f32_e32 v57, v50, v231
	v_fmac_f32_e32 v57, v51, v230
	v_add_f32_e32 v60, v56, v57
	ds_read_b128 v[56:59], v162 offset:576
	s_waitcnt vmcnt(18) lgkmcnt(1)
	v_mul_f32_e32 v61, v52, v233
	v_fmac_f32_e32 v61, v53, v232
	v_add_f32_e32 v60, v60, v61
	s_waitcnt vmcnt(16)
	v_mul_f32_e32 v61, v54, v235
	v_fmac_f32_e32 v61, v55, v234
	v_add_f32_e32 v60, v60, v61
	s_waitcnt vmcnt(14) lgkmcnt(0)
	v_mul_f32_e32 v61, v56, v237
	v_fmac_f32_e32 v61, v57, v236
	v_add_f32_e32 v64, v60, v61
	ds_read_b128 v[60:63], v162 offset:592
	s_waitcnt vmcnt(12)
	v_mul_f32_e32 v65, v58, v239
	v_fmac_f32_e32 v65, v59, v238
	v_add_f32_e32 v64, v64, v65
	s_waitcnt vmcnt(4)
	v_mul_f32_e32 v165, v156, v247
	s_waitcnt lgkmcnt(0)
	v_mul_f32_e32 v65, v60, v241
	v_fmac_f32_e32 v65, v61, v240
	v_add_f32_e32 v64, v64, v65
	v_mul_f32_e32 v65, v62, v243
	v_fmac_f32_e32 v65, v63, v242
	v_add_f32_e32 v64, v64, v65
	;; [unrolled: 3-line block ×3, first 2 shown]
	buffer_load_dword v65, off, s[0:3], 0 offset:292
	buffer_load_dword v64, off, s[0:3], 0 offset:288
	v_fmac_f32_e32 v165, v157, v246
	ds_read_b128 v[158:161], v162 offset:624
	v_add_f32_e32 v169, v164, v165
	ds_read_b128 v[164:167], v162 offset:640
	buffer_load_dword v175, off, s[0:3], 0 offset:324
	buffer_load_dword v174, off, s[0:3], 0 offset:320
	;; [unrolled: 1-line block ×14, first 2 shown]
	v_mul_f32_e32 v23, v23, v163
	v_fma_f32 v22, v22, v192, -v23
	v_mul_f32_e32 v23, v25, v168
	v_add_f32_e32 v22, 0, v22
	v_fma_f32 v23, v24, v193, -v23
	v_mul_f32_e32 v19, v19, v170
	v_add_f32_e32 v22, v22, v23
	;; [unrolled: 3-line block ×7, first 2 shown]
	v_fma_f32 v7, v8, v199, -v7
	v_add_f32_e32 v6, v6, v7
	v_mul_f32_e32 v7, v11, v200
	v_fma_f32 v7, v10, v201, -v7
	v_add_f32_e32 v6, v6, v7
	v_mul_f32_e32 v7, v13, v202
	v_fma_f32 v7, v12, v203, -v7
	v_mul_f32_e32 v3, v3, v204
	v_add_f32_e32 v6, v6, v7
	v_fma_f32 v2, v2, v205, -v3
	v_mul_f32_e32 v3, v5, v207
	v_add_f32_e32 v2, v6, v2
	v_fma_f32 v3, v4, v206, -v3
	v_add_f32_e32 v2, v2, v3
	v_mul_f32_e32 v3, v29, v209
	v_fma_f32 v3, v28, v208, -v3
	v_add_f32_e32 v2, v2, v3
	v_mul_f32_e32 v3, v31, v211
	;; [unrolled: 3-line block ×20, first 2 shown]
	v_fma_f32 v3, v156, v246, -v3
	s_waitcnt vmcnt(15)
	v_mov_b32_e32 v16, v65
	s_waitcnt lgkmcnt(1)
	v_mul_f32_e32 v171, v158, v249
	v_add_f32_e32 v168, v2, v3
	v_mul_f32_e32 v2, v159, v249
	s_waitcnt lgkmcnt(0)
	v_pk_mul_f32 v[16:17], v[164:165], v[16:17] op_sel_hi:[1,0]
	v_fmac_f32_e32 v171, v159, v248
	v_mul_f32_e32 v173, v160, v251
	v_fma_f32 v170, v158, v248, -v2
	v_mul_f32_e32 v2, v161, v251
	s_waitcnt vmcnt(14)
	v_pk_fma_f32 v[18:19], v[164:165], v[64:65], v[16:17] op_sel:[0,0,1] op_sel_hi:[1,1,0] neg_lo:[0,0,1] neg_hi:[0,0,1]
	v_pk_fma_f32 v[16:17], v[164:165], v[64:65], v[16:17] op_sel:[0,0,1] op_sel_hi:[1,0,0]
	v_fmac_f32_e32 v173, v161, v250
	v_fma_f32 v172, v160, v250, -v2
	v_pk_add_f32 v[14:15], v[168:169], v[170:171]
	s_waitcnt vmcnt(7)
	v_mov_b32_e32 v16, v181
	ds_read_b128 v[2:5], v162 offset:656
	ds_read_b128 v[6:9], v162 offset:672
	;; [unrolled: 1-line block ×3, first 2 shown]
	v_pk_add_f32 v[14:15], v[14:15], v[172:173]
	v_mov_b32_e32 v19, v17
	v_pk_mul_f32 v[16:17], v[166:167], v[16:17] op_sel_hi:[1,0]
	v_pk_add_f32 v[14:15], v[14:15], v[18:19]
	s_waitcnt vmcnt(6)
	v_pk_fma_f32 v[18:19], v[166:167], v[180:181], v[16:17] op_sel:[0,0,1] op_sel_hi:[1,1,0] neg_lo:[0,0,1] neg_hi:[0,0,1]
	v_pk_fma_f32 v[16:17], v[166:167], v[180:181], v[16:17] op_sel:[0,0,1] op_sel_hi:[1,0,0]
	v_mov_b32_e32 v16, v179
	v_mov_b32_e32 v19, v17
	s_waitcnt lgkmcnt(2)
	v_pk_mul_f32 v[16:17], v[2:3], v[16:17] op_sel_hi:[1,0]
	v_pk_add_f32 v[14:15], v[14:15], v[18:19]
	v_pk_fma_f32 v[18:19], v[2:3], v[178:179], v[16:17] op_sel:[0,0,1] op_sel_hi:[1,1,0] neg_lo:[0,0,1] neg_hi:[0,0,1]
	v_pk_fma_f32 v[2:3], v[2:3], v[178:179], v[16:17] op_sel:[0,0,1] op_sel_hi:[1,0,0]
	v_mov_b32_e32 v19, v3
	v_pk_add_f32 v[2:3], v[14:15], v[18:19]
	v_mov_b32_e32 v14, v177
	v_pk_mul_f32 v[14:15], v[4:5], v[14:15] op_sel_hi:[1,0]
	v_pk_fma_f32 v[16:17], v[4:5], v[176:177], v[14:15] op_sel:[0,0,1] op_sel_hi:[1,1,0] neg_lo:[0,0,1] neg_hi:[0,0,1]
	v_pk_fma_f32 v[4:5], v[4:5], v[176:177], v[14:15] op_sel:[0,0,1] op_sel_hi:[1,0,0]
	v_mov_b32_e32 v4, v175
	v_mov_b32_e32 v17, v5
	s_waitcnt lgkmcnt(1)
	v_pk_mul_f32 v[4:5], v[6:7], v[4:5] op_sel_hi:[1,0]
	v_pk_fma_f32 v[14:15], v[6:7], v[174:175], v[4:5] op_sel:[0,0,1] op_sel_hi:[1,1,0] neg_lo:[0,0,1] neg_hi:[0,0,1]
	v_pk_fma_f32 v[4:5], v[6:7], v[174:175], v[4:5] op_sel:[0,0,1] op_sel_hi:[1,0,0]
	s_waitcnt vmcnt(1)
	v_mov_b32_e32 v4, v187
	v_mov_b32_e32 v15, v5
	v_pk_mul_f32 v[4:5], v[8:9], v[4:5] op_sel_hi:[1,0]
	s_waitcnt vmcnt(0)
	v_pk_fma_f32 v[6:7], v[8:9], v[186:187], v[4:5] op_sel:[0,0,1] op_sel_hi:[1,1,0] neg_lo:[0,0,1] neg_hi:[0,0,1]
	v_pk_fma_f32 v[4:5], v[8:9], v[186:187], v[4:5] op_sel:[0,0,1] op_sel_hi:[1,0,0]
	v_pk_add_f32 v[2:3], v[2:3], v[16:17]
	v_mov_b32_e32 v4, v185
	v_pk_add_f32 v[2:3], v[2:3], v[14:15]
	v_mov_b32_e32 v7, v5
	s_waitcnt lgkmcnt(0)
	v_pk_mul_f32 v[4:5], v[10:11], v[4:5] op_sel_hi:[1,0]
	v_pk_add_f32 v[2:3], v[2:3], v[6:7]
	v_pk_fma_f32 v[6:7], v[10:11], v[184:185], v[4:5] op_sel:[0,0,1] op_sel_hi:[1,1,0] neg_lo:[0,0,1] neg_hi:[0,0,1]
	v_pk_fma_f32 v[4:5], v[10:11], v[184:185], v[4:5] op_sel:[0,0,1] op_sel_hi:[1,0,0]
	v_mov_b32_e32 v4, v183
	v_mov_b32_e32 v7, v5
	v_pk_mul_f32 v[4:5], v[12:13], v[4:5] op_sel_hi:[1,0]
	v_pk_add_f32 v[2:3], v[2:3], v[6:7]
	v_pk_fma_f32 v[6:7], v[12:13], v[182:183], v[4:5] op_sel:[0,0,1] op_sel_hi:[1,1,0] neg_lo:[0,0,1] neg_hi:[0,0,1]
	v_pk_fma_f32 v[4:5], v[12:13], v[182:183], v[4:5] op_sel:[0,0,1] op_sel_hi:[1,0,0]
	v_mov_b32_e32 v7, v5
	v_pk_add_f32 v[2:3], v[2:3], v[6:7]
	v_pk_add_f32 v[2:3], v[26:27], v[2:3] neg_lo:[0,1] neg_hi:[0,1]
	buffer_store_dword v3, off, s[0:3], 0 offset:12
	buffer_store_dword v2, off, s[0:3], 0 offset:8
	s_and_saveexec_b64 s[4:5], vcc
	s_cbranch_execz .LBB107_277
; %bb.276:
	buffer_load_dword v2, off, s[0:3], 0
	buffer_load_dword v3, off, s[0:3], 0 offset:4
	v_mov_b32_e32 v0, 0
	buffer_store_dword v0, off, s[0:3], 0
	buffer_store_dword v0, off, s[0:3], 0 offset:4
	s_waitcnt vmcnt(2)
	ds_write_b64 v1, v[2:3]
.LBB107_277:
	s_or_b64 exec, exec, s[4:5]
	s_waitcnt lgkmcnt(0)
	; wave barrier
	s_waitcnt lgkmcnt(0)
	buffer_load_dword v162, off, s[0:3], 0 offset:12
	buffer_load_dword v164, off, s[0:3], 0 offset:20
	;; [unrolled: 1-line block ×21, first 2 shown]
	buffer_load_dword v0, off, s[0:3], 0
	buffer_load_dword v1, off, s[0:3], 0 offset:4
	buffer_load_dword v202, off, s[0:3], 0 offset:88
	;; [unrolled: 1-line block ×34, first 2 shown]
	v_mov_b32_e32 v203, 0
	ds_read2_b64 v[2:5], v203 offset0:45 offset1:46
	ds_read2_b64 v[6:9], v203 offset0:47 offset1:48
	;; [unrolled: 1-line block ×6, first 2 shown]
	buffer_load_dword v236, off, s[0:3], 0 offset:224
	buffer_load_dword v237, off, s[0:3], 0 offset:228
	;; [unrolled: 1-line block ×16, first 2 shown]
	s_and_b64 vcc, exec, s[16:17]
	s_waitcnt vmcnt(62) lgkmcnt(5)
	v_mul_f32_e32 v26, v2, v162
	v_mul_f32_e32 v27, v4, v164
	s_waitcnt lgkmcnt(4)
	v_mul_f32_e32 v28, v6, v166
	v_mul_f32_e32 v29, v8, v184
	s_waitcnt lgkmcnt(3)
	;; [unrolled: 3-line block ×4, first 2 shown]
	v_mul_f32_e32 v34, v18, v189
	v_fmac_f32_e32 v26, v3, v190
	s_waitcnt vmcnt(61)
	v_fmac_f32_e32 v27, v5, v191
	v_add_f32_e32 v26, 0, v26
	s_waitcnt vmcnt(60)
	v_fmac_f32_e32 v28, v7, v192
	v_add_f32_e32 v26, v26, v27
	;; [unrolled: 3-line block ×7, first 2 shown]
	v_add_f32_e32 v26, v26, v33
	s_waitcnt vmcnt(54)
	v_fmac_f32_e32 v34, v19, v198
	s_waitcnt vmcnt(53)
	v_mul_f32_e32 v27, v20, v199
	v_add_f32_e32 v26, v26, v34
	s_waitcnt vmcnt(52)
	v_fmac_f32_e32 v27, v21, v200
	v_add_f32_e32 v26, v26, v27
	s_waitcnt vmcnt(51) lgkmcnt(0)
	v_mul_f32_e32 v27, v22, v201
	s_waitcnt vmcnt(48)
	v_fmac_f32_e32 v27, v23, v202
	v_add_f32_e32 v30, v26, v27
	ds_read2_b64 v[26:29], v203 offset0:57 offset1:58
	s_waitcnt vmcnt(46)
	v_mul_f32_e32 v31, v24, v205
	v_fmac_f32_e32 v31, v25, v204
	v_add_f32_e32 v34, v30, v31
	ds_read2_b64 v[30:33], v203 offset0:59 offset1:60
	s_waitcnt vmcnt(44) lgkmcnt(1)
	v_mul_f32_e32 v35, v26, v207
	v_fmac_f32_e32 v35, v27, v206
	v_add_f32_e32 v34, v34, v35
	s_waitcnt vmcnt(42)
	v_mul_f32_e32 v35, v28, v209
	v_fmac_f32_e32 v35, v29, v208
	v_add_f32_e32 v34, v34, v35
	s_waitcnt vmcnt(40) lgkmcnt(0)
	v_mul_f32_e32 v35, v30, v211
	v_fmac_f32_e32 v35, v31, v210
	v_add_f32_e32 v38, v34, v35
	ds_read2_b64 v[34:37], v203 offset0:61 offset1:62
	s_waitcnt vmcnt(38)
	v_mul_f32_e32 v39, v32, v213
	v_fmac_f32_e32 v39, v33, v212
	v_add_f32_e32 v42, v38, v39
	ds_read2_b64 v[38:41], v203 offset0:63 offset1:64
	s_waitcnt vmcnt(36) lgkmcnt(1)
	v_mul_f32_e32 v43, v34, v215
	v_fmac_f32_e32 v43, v35, v214
	v_add_f32_e32 v42, v42, v43
	s_waitcnt vmcnt(34)
	v_mul_f32_e32 v43, v36, v217
	v_fmac_f32_e32 v43, v37, v216
	v_add_f32_e32 v42, v42, v43
	s_waitcnt vmcnt(32) lgkmcnt(0)
	v_mul_f32_e32 v43, v38, v219
	;; [unrolled: 18-line block ×5, first 2 shown]
	v_fmac_f32_e32 v155, v63, v242
	s_waitcnt vmcnt(6)
	v_mul_f32_e32 v159, v64, v245
	v_add_f32_e32 v158, v154, v155
	v_fmac_f32_e32 v159, v65, v244
	ds_read2_b64 v[154:157], v203 offset0:77 offset1:78
	v_add_f32_e32 v163, v158, v159
	ds_read2_b64 v[158:161], v203 offset0:79 offset1:80
	buffer_load_dword v169, off, s[0:3], 0 offset:316
	buffer_load_dword v168, off, s[0:3], 0 offset:312
	;; [unrolled: 1-line block ×16, first 2 shown]
	v_mul_f32_e32 v3, v3, v162
	v_fma_f32 v2, v2, v190, -v3
	v_mul_f32_e32 v3, v5, v164
	v_add_f32_e32 v2, 0, v2
	v_fma_f32 v3, v4, v191, -v3
	v_add_f32_e32 v2, v2, v3
	v_mul_f32_e32 v3, v7, v166
	v_fma_f32 v3, v6, v192, -v3
	v_add_f32_e32 v2, v2, v3
	v_mul_f32_e32 v3, v9, v184
	;; [unrolled: 3-line block ×30, first 2 shown]
	v_fma_f32 v3, v64, v244, -v3
	v_add_f32_e32 v2, v2, v3
	s_waitcnt vmcnt(20) lgkmcnt(1)
	v_mul_f32_e32 v3, v155, v247
	v_mul_f32_e32 v165, v154, v247
	v_fma_f32 v3, v154, v246, -v3
	v_fmac_f32_e32 v165, v155, v246
	v_add_f32_e32 v162, v2, v3
	s_waitcnt vmcnt(18)
	v_mul_f32_e32 v2, v157, v249
	s_waitcnt vmcnt(9)
	v_mov_b32_e32 v18, v175
	v_add_f32_e32 v163, v163, v165
	v_mul_f32_e32 v165, v156, v249
	v_fma_f32 v164, v156, v248, -v2
	s_waitcnt lgkmcnt(0)
	v_mul_f32_e32 v2, v159, v251
	v_pk_mul_f32 v[18:19], v[160:161], v[18:19] op_sel_hi:[1,0]
	v_fmac_f32_e32 v165, v157, v248
	v_mul_f32_e32 v167, v158, v251
	v_fma_f32 v166, v158, v250, -v2
	ds_read2_b64 v[2:5], v203 offset0:81 offset1:82
	ds_read2_b64 v[6:9], v203 offset0:83 offset1:84
	;; [unrolled: 1-line block ×3, first 2 shown]
	ds_read_b64 v[14:15], v203 offset:696
	s_waitcnt vmcnt(8)
	v_pk_fma_f32 v[20:21], v[160:161], v[174:175], v[18:19] op_sel:[0,0,1] op_sel_hi:[1,1,0] neg_lo:[0,0,1] neg_hi:[0,0,1]
	v_pk_fma_f32 v[18:19], v[160:161], v[174:175], v[18:19] op_sel:[0,0,1] op_sel_hi:[1,0,0]
	v_fmac_f32_e32 v167, v159, v250
	v_pk_add_f32 v[16:17], v[162:163], v[164:165]
	v_mov_b32_e32 v18, v173
	v_pk_add_f32 v[16:17], v[16:17], v[166:167]
	v_mov_b32_e32 v21, v19
	s_waitcnt lgkmcnt(3)
	v_pk_mul_f32 v[18:19], v[2:3], v[18:19] op_sel_hi:[1,0]
	v_pk_add_f32 v[16:17], v[16:17], v[20:21]
	v_pk_fma_f32 v[20:21], v[2:3], v[172:173], v[18:19] op_sel:[0,0,1] op_sel_hi:[1,1,0] neg_lo:[0,0,1] neg_hi:[0,0,1]
	v_pk_fma_f32 v[2:3], v[2:3], v[172:173], v[18:19] op_sel:[0,0,1] op_sel_hi:[1,0,0]
	v_mov_b32_e32 v21, v3
	v_pk_add_f32 v[2:3], v[16:17], v[20:21]
	v_mov_b32_e32 v16, v171
	v_pk_mul_f32 v[16:17], v[4:5], v[16:17] op_sel_hi:[1,0]
	v_pk_fma_f32 v[18:19], v[4:5], v[170:171], v[16:17] op_sel:[0,0,1] op_sel_hi:[1,1,0] neg_lo:[0,0,1] neg_hi:[0,0,1]
	v_pk_fma_f32 v[4:5], v[4:5], v[170:171], v[16:17] op_sel:[0,0,1] op_sel_hi:[1,0,0]
	v_mov_b32_e32 v4, v169
	v_mov_b32_e32 v19, v5
	s_waitcnt lgkmcnt(2)
	v_pk_mul_f32 v[4:5], v[6:7], v[4:5] op_sel_hi:[1,0]
	v_pk_fma_f32 v[16:17], v[6:7], v[168:169], v[4:5] op_sel:[0,0,1] op_sel_hi:[1,1,0] neg_lo:[0,0,1] neg_hi:[0,0,1]
	v_pk_fma_f32 v[4:5], v[6:7], v[168:169], v[4:5] op_sel:[0,0,1] op_sel_hi:[1,0,0]
	s_waitcnt vmcnt(1)
	v_mov_b32_e32 v4, v183
	v_mov_b32_e32 v17, v5
	v_pk_mul_f32 v[4:5], v[8:9], v[4:5] op_sel_hi:[1,0]
	s_waitcnt vmcnt(0)
	v_pk_fma_f32 v[6:7], v[8:9], v[182:183], v[4:5] op_sel:[0,0,1] op_sel_hi:[1,1,0] neg_lo:[0,0,1] neg_hi:[0,0,1]
	v_pk_fma_f32 v[4:5], v[8:9], v[182:183], v[4:5] op_sel:[0,0,1] op_sel_hi:[1,0,0]
	v_pk_add_f32 v[2:3], v[2:3], v[18:19]
	v_mov_b32_e32 v4, v181
	v_pk_add_f32 v[2:3], v[2:3], v[16:17]
	v_mov_b32_e32 v7, v5
	s_waitcnt lgkmcnt(1)
	v_pk_mul_f32 v[4:5], v[10:11], v[4:5] op_sel_hi:[1,0]
	v_pk_add_f32 v[2:3], v[2:3], v[6:7]
	v_pk_fma_f32 v[6:7], v[10:11], v[180:181], v[4:5] op_sel:[0,0,1] op_sel_hi:[1,1,0] neg_lo:[0,0,1] neg_hi:[0,0,1]
	v_pk_fma_f32 v[4:5], v[10:11], v[180:181], v[4:5] op_sel:[0,0,1] op_sel_hi:[1,0,0]
	v_mov_b32_e32 v4, v179
	v_mov_b32_e32 v7, v5
	v_pk_mul_f32 v[4:5], v[12:13], v[4:5] op_sel_hi:[1,0]
	v_pk_add_f32 v[2:3], v[2:3], v[6:7]
	v_pk_fma_f32 v[6:7], v[12:13], v[178:179], v[4:5] op_sel:[0,0,1] op_sel_hi:[1,1,0] neg_lo:[0,0,1] neg_hi:[0,0,1]
	v_pk_fma_f32 v[4:5], v[12:13], v[178:179], v[4:5] op_sel:[0,0,1] op_sel_hi:[1,0,0]
	v_mov_b32_e32 v4, v177
	v_mov_b32_e32 v7, v5
	s_waitcnt lgkmcnt(0)
	v_pk_mul_f32 v[4:5], v[14:15], v[4:5] op_sel_hi:[1,0]
	v_pk_add_f32 v[2:3], v[2:3], v[6:7]
	v_pk_fma_f32 v[6:7], v[14:15], v[176:177], v[4:5] op_sel:[0,0,1] op_sel_hi:[1,1,0] neg_lo:[0,0,1] neg_hi:[0,0,1]
	v_pk_fma_f32 v[4:5], v[14:15], v[176:177], v[4:5] op_sel:[0,0,1] op_sel_hi:[1,0,0]
	v_mov_b32_e32 v7, v5
	v_pk_add_f32 v[2:3], v[2:3], v[6:7]
	v_pk_add_f32 v[0:1], v[0:1], v[2:3] neg_lo:[0,1] neg_hi:[0,1]
	buffer_store_dword v1, off, s[0:3], 0 offset:4
	buffer_store_dword v0, off, s[0:3], 0
	s_cbranch_vccz .LBB107_365
; %bb.278:
	v_pk_mov_b32 v[0:1], s[10:11], s[10:11] op_sel:[0,1]
	flat_load_dword v0, v[0:1] offset:168
	s_waitcnt vmcnt(0) lgkmcnt(0)
	v_add_u32_e32 v0, -1, v0
	v_cmp_ne_u32_e32 vcc, 42, v0
	s_and_saveexec_b64 s[4:5], vcc
	s_cbranch_execz .LBB107_280
; %bb.279:
	v_mov_b32_e32 v1, 0
	v_lshl_add_u32 v0, v0, 3, v1
	buffer_load_dword v1, v0, s[0:3], 0 offen
	buffer_load_dword v2, v0, s[0:3], 0 offen offset:4
	buffer_load_dword v3, off, s[0:3], 0 offset:340
	buffer_load_dword v4, off, s[0:3], 0 offset:336
	s_waitcnt vmcnt(3)
	buffer_store_dword v1, off, s[0:3], 0 offset:336
	s_waitcnt vmcnt(3)
	buffer_store_dword v2, off, s[0:3], 0 offset:340
	s_waitcnt vmcnt(3)
	buffer_store_dword v3, v0, s[0:3], 0 offen offset:4
	s_waitcnt vmcnt(3)
	buffer_store_dword v4, v0, s[0:3], 0 offen
.LBB107_280:
	s_or_b64 exec, exec, s[4:5]
	v_pk_mov_b32 v[0:1], s[10:11], s[10:11] op_sel:[0,1]
	flat_load_dword v0, v[0:1] offset:164
	s_waitcnt vmcnt(0) lgkmcnt(0)
	v_add_u32_e32 v0, -1, v0
	v_cmp_ne_u32_e32 vcc, 41, v0
	s_and_saveexec_b64 s[4:5], vcc
	s_cbranch_execz .LBB107_282
; %bb.281:
	v_mov_b32_e32 v1, 0
	v_lshl_add_u32 v0, v0, 3, v1
	buffer_load_dword v1, v0, s[0:3], 0 offen
	buffer_load_dword v2, v0, s[0:3], 0 offen offset:4
	buffer_load_dword v3, off, s[0:3], 0 offset:328
	buffer_load_dword v4, off, s[0:3], 0 offset:332
	s_waitcnt vmcnt(3)
	buffer_store_dword v1, off, s[0:3], 0 offset:328
	s_waitcnt vmcnt(3)
	buffer_store_dword v2, off, s[0:3], 0 offset:332
	s_waitcnt vmcnt(3)
	buffer_store_dword v3, v0, s[0:3], 0 offen
	s_waitcnt vmcnt(3)
	buffer_store_dword v4, v0, s[0:3], 0 offen offset:4
.LBB107_282:
	s_or_b64 exec, exec, s[4:5]
	v_pk_mov_b32 v[0:1], s[10:11], s[10:11] op_sel:[0,1]
	flat_load_dword v0, v[0:1] offset:160
	s_waitcnt vmcnt(0) lgkmcnt(0)
	v_add_u32_e32 v0, -1, v0
	v_cmp_ne_u32_e32 vcc, 40, v0
	s_and_saveexec_b64 s[4:5], vcc
	s_cbranch_execz .LBB107_284
; %bb.283:
	v_mov_b32_e32 v1, 0
	v_lshl_add_u32 v0, v0, 3, v1
	buffer_load_dword v1, v0, s[0:3], 0 offen
	buffer_load_dword v2, v0, s[0:3], 0 offen offset:4
	buffer_load_dword v3, off, s[0:3], 0 offset:324
	buffer_load_dword v4, off, s[0:3], 0 offset:320
	s_waitcnt vmcnt(3)
	buffer_store_dword v1, off, s[0:3], 0 offset:320
	s_waitcnt vmcnt(3)
	buffer_store_dword v2, off, s[0:3], 0 offset:324
	s_waitcnt vmcnt(3)
	buffer_store_dword v3, v0, s[0:3], 0 offen offset:4
	s_waitcnt vmcnt(3)
	buffer_store_dword v4, v0, s[0:3], 0 offen
.LBB107_284:
	s_or_b64 exec, exec, s[4:5]
	v_pk_mov_b32 v[0:1], s[10:11], s[10:11] op_sel:[0,1]
	flat_load_dword v0, v[0:1] offset:156
	s_waitcnt vmcnt(0) lgkmcnt(0)
	v_add_u32_e32 v0, -1, v0
	v_cmp_ne_u32_e32 vcc, 39, v0
	s_and_saveexec_b64 s[4:5], vcc
	s_cbranch_execz .LBB107_286
; %bb.285:
	v_mov_b32_e32 v1, 0
	v_lshl_add_u32 v0, v0, 3, v1
	buffer_load_dword v1, v0, s[0:3], 0 offen
	buffer_load_dword v2, v0, s[0:3], 0 offen offset:4
	buffer_load_dword v3, off, s[0:3], 0 offset:312
	buffer_load_dword v4, off, s[0:3], 0 offset:316
	s_waitcnt vmcnt(3)
	buffer_store_dword v1, off, s[0:3], 0 offset:312
	s_waitcnt vmcnt(3)
	buffer_store_dword v2, off, s[0:3], 0 offset:316
	s_waitcnt vmcnt(3)
	buffer_store_dword v3, v0, s[0:3], 0 offen
	s_waitcnt vmcnt(3)
	buffer_store_dword v4, v0, s[0:3], 0 offen offset:4
.LBB107_286:
	s_or_b64 exec, exec, s[4:5]
	;; [unrolled: 48-line block ×21, first 2 shown]
	v_pk_mov_b32 v[0:1], s[10:11], s[10:11] op_sel:[0,1]
	flat_load_dword v2, v[0:1]
	s_nop 0
	buffer_load_dword v0, off, s[0:3], 0
	buffer_load_dword v1, off, s[0:3], 0 offset:4
	s_waitcnt vmcnt(0) lgkmcnt(0)
	v_add_u32_e32 v2, -1, v2
	v_cmp_ne_u32_e32 vcc, 0, v2
	s_and_saveexec_b64 s[4:5], vcc
	s_cbranch_execz .LBB107_364
; %bb.363:
	v_mov_b32_e32 v3, 0
	v_lshl_add_u32 v2, v2, 3, v3
	buffer_load_dword v3, v2, s[0:3], 0 offen offset:4
	buffer_load_dword v4, v2, s[0:3], 0 offen
	s_waitcnt vmcnt(1)
	buffer_store_dword v3, off, s[0:3], 0 offset:4
	s_waitcnt vmcnt(1)
	buffer_store_dword v4, off, s[0:3], 0
	buffer_store_dword v1, v2, s[0:3], 0 offen offset:4
	buffer_store_dword v0, v2, s[0:3], 0 offen
	buffer_load_dword v0, off, s[0:3], 0
	s_nop 0
	buffer_load_dword v1, off, s[0:3], 0 offset:4
.LBB107_364:
	s_or_b64 exec, exec, s[4:5]
.LBB107_365:
	buffer_load_dword v2, off, s[0:3], 0 offset:8
	buffer_load_dword v3, off, s[0:3], 0 offset:12
	;; [unrolled: 1-line block ×86, first 2 shown]
	s_waitcnt vmcnt(62)
	global_store_dwordx2 v[142:143], v[0:1], off
	global_store_dwordx2 v[146:147], v[2:3], off
	;; [unrolled: 1-line block ×13, first 2 shown]
	s_waitcnt vmcnt(62)
	global_store_dwordx2 v[88:89], v[26:27], off
	global_store_dwordx2 v[90:91], v[28:29], off
	;; [unrolled: 1-line block ×6, first 2 shown]
	s_waitcnt vmcnt(62)
	global_store_dwordx2 v[100:101], v[38:39], off
	global_store_dwordx2 v[102:103], v[40:41], off
	;; [unrolled: 1-line block ×3, first 2 shown]
	s_waitcnt vmcnt(62)
	global_store_dwordx2 v[106:107], v[44:45], off
	global_store_dwordx2 v[108:109], v[46:47], off
	s_waitcnt vmcnt(62)
	global_store_dwordx2 v[110:111], v[48:49], off
	s_waitcnt vmcnt(61)
	;; [unrolled: 2-line block ×20, first 2 shown]
	global_store_dwordx2 v[152:153], v[174:175], off
	s_endpgm
	.section	.rodata,"a",@progbits
	.p2align	6, 0x0
	.amdhsa_kernel _ZN9rocsolver6v33100L18getri_kernel_smallILi44E19rocblas_complex_numIfEPKPS3_EEvT1_iilPiilS8_bb
		.amdhsa_group_segment_fixed_size 708
		.amdhsa_private_segment_fixed_size 368
		.amdhsa_kernarg_size 60
		.amdhsa_user_sgpr_count 8
		.amdhsa_user_sgpr_private_segment_buffer 1
		.amdhsa_user_sgpr_dispatch_ptr 0
		.amdhsa_user_sgpr_queue_ptr 0
		.amdhsa_user_sgpr_kernarg_segment_ptr 1
		.amdhsa_user_sgpr_dispatch_id 0
		.amdhsa_user_sgpr_flat_scratch_init 1
		.amdhsa_user_sgpr_kernarg_preload_length 0
		.amdhsa_user_sgpr_kernarg_preload_offset 0
		.amdhsa_user_sgpr_private_segment_size 0
		.amdhsa_uses_dynamic_stack 0
		.amdhsa_system_sgpr_private_segment_wavefront_offset 1
		.amdhsa_system_sgpr_workgroup_id_x 1
		.amdhsa_system_sgpr_workgroup_id_y 0
		.amdhsa_system_sgpr_workgroup_id_z 0
		.amdhsa_system_sgpr_workgroup_info 0
		.amdhsa_system_vgpr_workitem_id 0
		.amdhsa_next_free_vgpr 252
		.amdhsa_next_free_sgpr 22
		.amdhsa_accum_offset 252
		.amdhsa_reserve_vcc 1
		.amdhsa_reserve_flat_scratch 1
		.amdhsa_float_round_mode_32 0
		.amdhsa_float_round_mode_16_64 0
		.amdhsa_float_denorm_mode_32 3
		.amdhsa_float_denorm_mode_16_64 3
		.amdhsa_dx10_clamp 1
		.amdhsa_ieee_mode 1
		.amdhsa_fp16_overflow 0
		.amdhsa_tg_split 0
		.amdhsa_exception_fp_ieee_invalid_op 0
		.amdhsa_exception_fp_denorm_src 0
		.amdhsa_exception_fp_ieee_div_zero 0
		.amdhsa_exception_fp_ieee_overflow 0
		.amdhsa_exception_fp_ieee_underflow 0
		.amdhsa_exception_fp_ieee_inexact 0
		.amdhsa_exception_int_div_zero 0
	.end_amdhsa_kernel
	.section	.text._ZN9rocsolver6v33100L18getri_kernel_smallILi44E19rocblas_complex_numIfEPKPS3_EEvT1_iilPiilS8_bb,"axG",@progbits,_ZN9rocsolver6v33100L18getri_kernel_smallILi44E19rocblas_complex_numIfEPKPS3_EEvT1_iilPiilS8_bb,comdat
.Lfunc_end107:
	.size	_ZN9rocsolver6v33100L18getri_kernel_smallILi44E19rocblas_complex_numIfEPKPS3_EEvT1_iilPiilS8_bb, .Lfunc_end107-_ZN9rocsolver6v33100L18getri_kernel_smallILi44E19rocblas_complex_numIfEPKPS3_EEvT1_iilPiilS8_bb
                                        ; -- End function
	.section	.AMDGPU.csdata,"",@progbits
; Kernel info:
; codeLenInByte = 79708
; NumSgprs: 28
; NumVgprs: 252
; NumAgprs: 0
; TotalNumVgprs: 252
; ScratchSize: 368
; MemoryBound: 0
; FloatMode: 240
; IeeeMode: 1
; LDSByteSize: 708 bytes/workgroup (compile time only)
; SGPRBlocks: 3
; VGPRBlocks: 31
; NumSGPRsForWavesPerEU: 28
; NumVGPRsForWavesPerEU: 252
; AccumOffset: 252
; Occupancy: 2
; WaveLimiterHint : 1
; COMPUTE_PGM_RSRC2:SCRATCH_EN: 1
; COMPUTE_PGM_RSRC2:USER_SGPR: 8
; COMPUTE_PGM_RSRC2:TRAP_HANDLER: 0
; COMPUTE_PGM_RSRC2:TGID_X_EN: 1
; COMPUTE_PGM_RSRC2:TGID_Y_EN: 0
; COMPUTE_PGM_RSRC2:TGID_Z_EN: 0
; COMPUTE_PGM_RSRC2:TIDIG_COMP_CNT: 0
; COMPUTE_PGM_RSRC3_GFX90A:ACCUM_OFFSET: 62
; COMPUTE_PGM_RSRC3_GFX90A:TG_SPLIT: 0
	.section	.text._ZN9rocsolver6v33100L18getri_kernel_smallILi45E19rocblas_complex_numIfEPKPS3_EEvT1_iilPiilS8_bb,"axG",@progbits,_ZN9rocsolver6v33100L18getri_kernel_smallILi45E19rocblas_complex_numIfEPKPS3_EEvT1_iilPiilS8_bb,comdat
	.globl	_ZN9rocsolver6v33100L18getri_kernel_smallILi45E19rocblas_complex_numIfEPKPS3_EEvT1_iilPiilS8_bb ; -- Begin function _ZN9rocsolver6v33100L18getri_kernel_smallILi45E19rocblas_complex_numIfEPKPS3_EEvT1_iilPiilS8_bb
	.p2align	8
	.type	_ZN9rocsolver6v33100L18getri_kernel_smallILi45E19rocblas_complex_numIfEPKPS3_EEvT1_iilPiilS8_bb,@function
_ZN9rocsolver6v33100L18getri_kernel_smallILi45E19rocblas_complex_numIfEPKPS3_EEvT1_iilPiilS8_bb: ; @_ZN9rocsolver6v33100L18getri_kernel_smallILi45E19rocblas_complex_numIfEPKPS3_EEvT1_iilPiilS8_bb
; %bb.0:
	s_add_u32 flat_scratch_lo, s6, s9
	s_addc_u32 flat_scratch_hi, s7, 0
	s_add_u32 s0, s0, s9
	s_addc_u32 s1, s1, 0
	v_cmp_gt_u32_e32 vcc, 45, v0
	s_and_saveexec_b64 s[6:7], vcc
	s_cbranch_execz .LBB108_194
; %bb.1:
	s_load_dword s20, s[4:5], 0x38
	s_load_dwordx2 s[6:7], s[4:5], 0x0
	s_load_dwordx4 s[12:15], s[4:5], 0x28
	s_waitcnt lgkmcnt(0)
	s_bitcmp1_b32 s20, 8
	s_cselect_b64 s[16:17], -1, 0
	s_ashr_i32 s9, s8, 31
	s_lshl_b64 s[10:11], s[8:9], 3
	s_add_u32 s6, s6, s10
	s_addc_u32 s7, s7, s11
	s_load_dwordx2 s[18:19], s[6:7], 0x0
	s_bfe_u32 s6, s20, 0x10008
	s_cmp_eq_u32 s6, 0
                                        ; implicit-def: $sgpr10_sgpr11
	s_cbranch_scc1 .LBB108_3
; %bb.2:
	s_load_dword s6, s[4:5], 0x20
	s_load_dwordx2 s[10:11], s[4:5], 0x18
	s_mul_i32 s7, s8, s13
	s_mul_hi_u32 s13, s8, s12
	s_add_i32 s13, s13, s7
	s_mul_i32 s21, s9, s12
	s_add_i32 s13, s13, s21
	s_mul_i32 s12, s8, s12
	s_waitcnt lgkmcnt(0)
	s_ashr_i32 s7, s6, 31
	s_lshl_b64 s[12:13], s[12:13], 2
	s_add_u32 s10, s10, s12
	s_addc_u32 s11, s11, s13
	s_lshl_b64 s[6:7], s[6:7], 2
	s_add_u32 s10, s10, s6
	s_addc_u32 s11, s11, s7
.LBB108_3:
	s_load_dwordx2 s[6:7], s[4:5], 0x8
	v_lshlrev_b32_e32 v6, 3, v0
	s_waitcnt lgkmcnt(0)
	s_ashr_i32 s5, s6, 31
	s_mov_b32 s4, s6
	s_lshl_b64 s[4:5], s[4:5], 3
	s_add_u32 s4, s18, s4
	s_addc_u32 s5, s19, s5
	s_add_i32 s6, s7, s7
	v_add_u32_e32 v2, s6, v0
	v_ashrrev_i32_e32 v3, 31, v2
	v_lshlrev_b64 v[4:5], 3, v[2:3]
	v_add_u32_e32 v2, s7, v2
	v_mov_b32_e32 v1, s5
	v_add_co_u32_e32 v66, vcc, s4, v4
	v_ashrrev_i32_e32 v3, 31, v2
	v_addc_co_u32_e32 v67, vcc, v1, v5, vcc
	v_lshlrev_b64 v[4:5], 3, v[2:3]
	v_add_u32_e32 v2, s7, v2
	v_add_co_u32_e32 v68, vcc, s4, v4
	v_ashrrev_i32_e32 v3, 31, v2
	v_addc_co_u32_e32 v69, vcc, v1, v5, vcc
	v_lshlrev_b64 v[4:5], 3, v[2:3]
	v_add_u32_e32 v2, s7, v2
	;; [unrolled: 5-line block ×35, first 2 shown]
	v_add_co_u32_e32 v136, vcc, s4, v4
	v_ashrrev_i32_e32 v3, 31, v2
	v_addc_co_u32_e32 v137, vcc, v1, v5, vcc
	v_lshlrev_b64 v[4:5], 3, v[2:3]
	v_add_co_u32_e32 v138, vcc, s4, v4
	v_add_u32_e32 v2, s7, v2
	v_addc_co_u32_e32 v139, vcc, v1, v5, vcc
	v_ashrrev_i32_e32 v3, 31, v2
	v_lshlrev_b64 v[4:5], 3, v[2:3]
	global_load_dwordx2 v[8:9], v6, s[4:5]
	v_mov_b32_e32 v3, s5
	v_add_co_u32_e32 v144, vcc, s4, v6
	s_ashr_i32 s13, s7, 31
	s_mov_b32 s12, s7
	v_addc_co_u32_e32 v145, vcc, 0, v3, vcc
	s_lshl_b64 s[12:13], s[12:13], 3
	v_mov_b32_e32 v3, s13
	v_add_co_u32_e32 v146, vcc, s12, v144
	v_addc_co_u32_e32 v147, vcc, v145, v3, vcc
	global_load_dwordx2 v[10:11], v[146:147], off
	v_add_u32_e32 v2, s7, v2
	v_add_co_u32_e32 v140, vcc, s4, v4
	v_ashrrev_i32_e32 v3, 31, v2
	v_addc_co_u32_e32 v141, vcc, v1, v5, vcc
	global_load_dwordx2 v[4:5], v[66:67], off
	global_load_dwordx2 v[14:15], v[68:69], off
	v_lshlrev_b64 v[12:13], 3, v[2:3]
	v_add_u32_e32 v2, s7, v2
	v_add_co_u32_e32 v142, vcc, s4, v12
	v_ashrrev_i32_e32 v3, 31, v2
	v_addc_co_u32_e32 v143, vcc, v1, v13, vcc
	global_load_dwordx2 v[12:13], v[70:71], off
	v_lshlrev_b64 v[20:21], 3, v[2:3]
	v_add_u32_e32 v2, s7, v2
	v_add_co_u32_e32 v148, vcc, s4, v20
	v_ashrrev_i32_e32 v3, 31, v2
	v_addc_co_u32_e32 v149, vcc, v1, v21, vcc
	v_lshlrev_b64 v[36:37], 3, v[2:3]
	v_add_u32_e32 v2, s7, v2
	v_add_co_u32_e32 v150, vcc, s4, v36
	v_ashrrev_i32_e32 v3, 31, v2
	v_addc_co_u32_e32 v151, vcc, v1, v37, vcc
	v_lshlrev_b64 v[52:53], 3, v[2:3]
	v_add_co_u32_e32 v152, vcc, s4, v52
	global_load_dwordx2 v[16:17], v[72:73], off
	global_load_dwordx2 v[18:19], v[74:75], off
	;; [unrolled: 1-line block ×22, first 2 shown]
	v_addc_co_u32_e32 v153, vcc, v1, v53, vcc
	global_load_dwordx2 v[52:53], v[116:117], off
	global_load_dwordx2 v[62:63], v[118:119], off
	;; [unrolled: 1-line block ×8, first 2 shown]
	v_add_u32_e32 v2, s7, v2
	v_ashrrev_i32_e32 v3, 31, v2
	v_lshlrev_b64 v[2:3], 3, v[2:3]
	v_add_co_u32_e32 v154, vcc, s4, v2
	v_addc_co_u32_e32 v155, vcc, v1, v3, vcc
	global_load_dwordx2 v[2:3], v[132:133], off
	global_load_dwordx2 v[166:167], v[134:135], off
	;; [unrolled: 1-line block ×6, first 2 shown]
	s_bitcmp0_b32 s20, 0
	s_mov_b64 s[6:7], -1
	s_waitcnt vmcnt(40)
	buffer_store_dword v9, off, s[0:3], 0 offset:4
	buffer_store_dword v8, off, s[0:3], 0
	global_load_dwordx2 v[8:9], v[136:137], off
	s_waitcnt vmcnt(42)
	buffer_store_dword v11, off, s[0:3], 0 offset:12
	buffer_store_dword v10, off, s[0:3], 0 offset:8
	global_load_dwordx2 v[10:11], v[140:141], off
	s_waitcnt vmcnt(44)
	buffer_store_dword v5, off, s[0:3], 0 offset:20
	buffer_store_dword v4, off, s[0:3], 0 offset:16
	;; [unrolled: 4-line block ×4, first 2 shown]
	s_waitcnt vmcnt(49)
	buffer_store_dword v17, off, s[0:3], 0 offset:44
	buffer_store_dword v16, off, s[0:3], 0 offset:40
	s_waitcnt vmcnt(50)
	buffer_store_dword v19, off, s[0:3], 0 offset:52
	buffer_store_dword v18, off, s[0:3], 0 offset:48
	;; [unrolled: 3-line block ×15, first 2 shown]
	buffer_store_dword v47, off, s[0:3], 0 offset:164
	buffer_store_dword v46, off, s[0:3], 0 offset:160
	s_waitcnt vmcnt(62)
	buffer_store_dword v48, off, s[0:3], 0 offset:168
	buffer_store_dword v49, off, s[0:3], 0 offset:172
	buffer_store_dword v50, off, s[0:3], 0 offset:176
	buffer_store_dword v51, off, s[0:3], 0 offset:180
	buffer_store_dword v54, off, s[0:3], 0 offset:184
	buffer_store_dword v55, off, s[0:3], 0 offset:188
	buffer_store_dword v56, off, s[0:3], 0 offset:192
	buffer_store_dword v57, off, s[0:3], 0 offset:196
	s_waitcnt vmcnt(62)
	buffer_store_dword v59, off, s[0:3], 0 offset:204
	buffer_store_dword v58, off, s[0:3], 0 offset:200
	buffer_store_dword v61, off, s[0:3], 0 offset:212
	buffer_store_dword v60, off, s[0:3], 0 offset:208
	buffer_store_dword v52, off, s[0:3], 0 offset:216
	buffer_store_dword v53, off, s[0:3], 0 offset:220
	buffer_store_dword v62, off, s[0:3], 0 offset:224
	buffer_store_dword v63, off, s[0:3], 0 offset:228
	buffer_store_dword v64, off, s[0:3], 0 offset:232
	buffer_store_dword v65, off, s[0:3], 0 offset:236
	buffer_store_dword v156, off, s[0:3], 0 offset:240
	buffer_store_dword v157, off, s[0:3], 0 offset:244
	buffer_store_dword v159, off, s[0:3], 0 offset:252
	buffer_store_dword v158, off, s[0:3], 0 offset:248
	buffer_store_dword v161, off, s[0:3], 0 offset:260
	buffer_store_dword v160, off, s[0:3], 0 offset:256
	s_waitcnt vmcnt(62)
	buffer_store_dword v162, off, s[0:3], 0 offset:264
	buffer_store_dword v163, off, s[0:3], 0 offset:268
	buffer_store_dword v164, off, s[0:3], 0 offset:272
	buffer_store_dword v165, off, s[0:3], 0 offset:276
	buffer_store_dword v2, off, s[0:3], 0 offset:280
	buffer_store_dword v3, off, s[0:3], 0 offset:284
	buffer_store_dword v166, off, s[0:3], 0 offset:288
	buffer_store_dword v167, off, s[0:3], 0 offset:292
	;; [unrolled: 17-line block ×3, first 2 shown]
	s_cbranch_scc1 .LBB108_192
; %bb.4:
	v_cmp_eq_u32_e64 s[4:5], 0, v0
	s_and_saveexec_b64 s[6:7], s[4:5]
	s_cbranch_execz .LBB108_6
; %bb.5:
	v_mov_b32_e32 v1, 0
	ds_write_b32 v1, v1 offset:360
.LBB108_6:
	s_or_b64 exec, exec, s[6:7]
	v_mov_b32_e32 v1, 0
	v_lshl_add_u32 v7, v0, 3, v1
	s_waitcnt lgkmcnt(0)
	; wave barrier
	s_waitcnt lgkmcnt(0)
	buffer_load_dword v1, v7, s[0:3], 0 offen
	buffer_load_dword v2, v7, s[0:3], 0 offen offset:4
	s_waitcnt vmcnt(1)
	v_cmp_eq_f32_e32 vcc, 0, v1
	s_waitcnt vmcnt(0)
	v_cmp_eq_f32_e64 s[6:7], 0, v2
	s_and_b64 s[6:7], vcc, s[6:7]
	s_and_saveexec_b64 s[12:13], s[6:7]
	s_cbranch_execz .LBB108_10
; %bb.7:
	v_mov_b32_e32 v1, 0
	ds_read_b32 v3, v1 offset:360
	v_add_u32_e32 v2, 1, v0
	s_waitcnt lgkmcnt(0)
	v_readfirstlane_b32 s6, v3
	s_cmp_eq_u32 s6, 0
	s_cselect_b64 s[18:19], -1, 0
	v_cmp_gt_i32_e32 vcc, s6, v2
	s_or_b64 s[18:19], s[18:19], vcc
	s_and_b64 exec, exec, s[18:19]
	s_cbranch_execz .LBB108_10
; %bb.8:
	s_mov_b64 s[18:19], 0
	v_mov_b32_e32 v3, s6
.LBB108_9:                              ; =>This Inner Loop Header: Depth=1
	ds_cmpst_rtn_b32 v3, v1, v3, v2 offset:360
	s_waitcnt lgkmcnt(0)
	v_cmp_ne_u32_e32 vcc, 0, v3
	v_cmp_le_i32_e64 s[6:7], v3, v2
	s_and_b64 s[6:7], vcc, s[6:7]
	s_and_b64 s[6:7], exec, s[6:7]
	s_or_b64 s[18:19], s[6:7], s[18:19]
	s_andn2_b64 exec, exec, s[18:19]
	s_cbranch_execnz .LBB108_9
.LBB108_10:
	s_or_b64 exec, exec, s[12:13]
	v_mov_b32_e32 v2, 0
	s_waitcnt lgkmcnt(0)
	; wave barrier
	ds_read_b32 v1, v2 offset:360
	s_and_saveexec_b64 s[6:7], s[4:5]
	s_cbranch_execz .LBB108_12
; %bb.11:
	s_lshl_b64 s[12:13], s[8:9], 2
	s_add_u32 s12, s14, s12
	s_addc_u32 s13, s15, s13
	s_waitcnt lgkmcnt(0)
	global_store_dword v2, v1, s[12:13]
.LBB108_12:
	s_or_b64 exec, exec, s[6:7]
	s_waitcnt lgkmcnt(0)
	v_cmp_ne_u32_e32 vcc, 0, v1
	s_mov_b64 s[6:7], 0
	s_cbranch_vccnz .LBB108_192
; %bb.13:
	buffer_load_dword v8, v7, s[0:3], 0 offen offset:4
	buffer_load_dword v3, v7, s[0:3], 0 offen
	s_waitcnt vmcnt(1)
	v_cmp_gt_f32_e32 vcc, 0, v8
	v_cndmask_b32_e64 v1, v8, -v8, vcc
	s_waitcnt vmcnt(0)
	v_cmp_gt_f32_e32 vcc, 0, v3
	v_cndmask_b32_e64 v2, v3, -v3, vcc
	v_cmp_ngt_f32_e32 vcc, v2, v1
                                        ; implicit-def: $vgpr1
                                        ; implicit-def: $vgpr2
	s_and_saveexec_b64 s[6:7], vcc
	s_xor_b64 s[6:7], exec, s[6:7]
                                        ; implicit-def: $vgpr4_vgpr5
	s_cbranch_execz .LBB108_15
; %bb.14:
	v_div_scale_f32 v1, s[12:13], v8, v8, v3
	v_rcp_f32_e32 v2, v1
	v_div_scale_f32 v4, vcc, v3, v8, v3
	v_fma_f32 v5, -v1, v2, 1.0
	v_fmac_f32_e32 v2, v5, v2
	v_mul_f32_e32 v5, v4, v2
	v_fma_f32 v9, -v1, v5, v4
	v_fmac_f32_e32 v5, v9, v2
	v_fma_f32 v1, -v1, v5, v4
	v_div_fmas_f32 v1, v1, v2, v5
	v_div_fixup_f32 v2, v1, v8, v3
	v_fmac_f32_e32 v8, v3, v2
	v_div_scale_f32 v1, s[12:13], v8, v8, -1.0
	v_rcp_f32_e32 v3, v1
	v_fma_f32 v4, -v1, v3, 1.0
	v_fmac_f32_e32 v3, v4, v3
	v_div_scale_f32 v4, vcc, -1.0, v8, -1.0
	v_mul_f32_e32 v5, v4, v3
	v_fma_f32 v9, -v1, v5, v4
	v_fmac_f32_e32 v5, v9, v3
	v_fma_f32 v1, -v1, v5, v4
	v_div_fmas_f32 v1, v1, v3, v5
	v_div_fixup_f32 v1, v1, v8, -1.0
	v_mul_f32_e32 v2, v2, v1
	v_xor_b32_e32 v4, 0x80000000, v2
                                        ; implicit-def: $vgpr3
                                        ; implicit-def: $vgpr8
.LBB108_15:
	s_andn2_saveexec_b64 s[6:7], s[6:7]
	s_cbranch_execz .LBB108_17
; %bb.16:
	v_div_scale_f32 v1, s[12:13], v3, v3, v8
	v_rcp_f32_e32 v2, v1
	v_div_scale_f32 v4, vcc, v8, v3, v8
	v_fma_f32 v5, -v1, v2, 1.0
	v_fmac_f32_e32 v2, v5, v2
	v_mul_f32_e32 v5, v4, v2
	v_fma_f32 v9, -v1, v5, v4
	v_fmac_f32_e32 v5, v9, v2
	v_fma_f32 v1, -v1, v5, v4
	v_div_fmas_f32 v1, v1, v2, v5
	v_div_fixup_f32 v1, v1, v3, v8
	v_fmac_f32_e32 v3, v8, v1
	v_div_scale_f32 v2, s[12:13], v3, v3, 1.0
	v_rcp_f32_e32 v4, v2
	v_fma_f32 v5, -v2, v4, 1.0
	v_fmac_f32_e32 v4, v5, v4
	v_div_scale_f32 v5, vcc, 1.0, v3, 1.0
	v_mul_f32_e32 v8, v5, v4
	v_fma_f32 v9, -v2, v8, v5
	v_fmac_f32_e32 v8, v9, v4
	v_fma_f32 v2, -v2, v8, v5
	v_div_fmas_f32 v2, v2, v4, v8
	v_div_fixup_f32 v4, v2, v3, 1.0
	v_xor_b32_e32 v2, 0x80000000, v4
	v_mul_f32_e64 v1, v1, -v4
.LBB108_17:
	s_or_b64 exec, exec, s[6:7]
	buffer_store_dword v1, v7, s[0:3], 0 offen offset:4
	buffer_store_dword v4, v7, s[0:3], 0 offen
	buffer_load_dword v5, off, s[0:3], 0 offset:12
	s_nop 0
	buffer_load_dword v4, off, s[0:3], 0 offset:8
	v_xor_b32_e32 v3, 0x80000000, v1
	v_add_u32_e32 v1, 0x170, v6
	s_waitcnt vmcnt(0)
	ds_write2_b64 v6, v[2:3], v[4:5] offset1:46
	s_waitcnt lgkmcnt(0)
	; wave barrier
	s_waitcnt lgkmcnt(0)
	s_and_saveexec_b64 s[6:7], s[4:5]
	s_cbranch_execz .LBB108_19
; %bb.18:
	buffer_load_dword v8, v7, s[0:3], 0 offen offset:4
	buffer_load_dword v9, v7, s[0:3], 0 offen
	ds_read_b64 v[2:3], v1
	v_mov_b32_e32 v4, 0
	ds_read_b64 v[4:5], v4 offset:8
	s_waitcnt vmcnt(1) lgkmcnt(1)
	v_mul_f32_e32 v10, v3, v8
	v_mul_f32_e32 v8, v2, v8
	s_waitcnt vmcnt(0)
	v_fmac_f32_e32 v8, v3, v9
	v_fma_f32 v2, v2, v9, -v10
	v_add_f32_e32 v3, 0, v8
	v_add_f32_e32 v2, 0, v2
	s_waitcnt lgkmcnt(0)
	v_mul_f32_e32 v8, v3, v5
	v_mul_f32_e32 v5, v2, v5
	v_fma_f32 v2, v2, v4, -v8
	v_fmac_f32_e32 v5, v3, v4
	buffer_store_dword v2, off, s[0:3], 0 offset:8
	buffer_store_dword v5, off, s[0:3], 0 offset:12
.LBB108_19:
	s_or_b64 exec, exec, s[6:7]
	s_waitcnt lgkmcnt(0)
	; wave barrier
	buffer_load_dword v2, off, s[0:3], 0 offset:16
	buffer_load_dword v3, off, s[0:3], 0 offset:20
	v_cmp_gt_u32_e32 vcc, 2, v0
	s_waitcnt vmcnt(0)
	ds_write_b64 v1, v[2:3]
	s_waitcnt lgkmcnt(0)
	; wave barrier
	s_waitcnt lgkmcnt(0)
	s_and_saveexec_b64 s[6:7], vcc
	s_cbranch_execz .LBB108_23
; %bb.20:
	buffer_load_dword v4, v7, s[0:3], 0 offen offset:4
	buffer_load_dword v5, v7, s[0:3], 0 offen
	ds_read_b64 v[2:3], v1
	s_waitcnt vmcnt(1) lgkmcnt(0)
	v_mul_f32_e32 v7, v3, v4
	v_mul_f32_e32 v4, v2, v4
	s_waitcnt vmcnt(0)
	v_fma_f32 v2, v2, v5, -v7
	v_fmac_f32_e32 v4, v3, v5
	v_add_f32_e32 v3, 0, v2
	v_add_f32_e32 v2, 0, v4
	s_and_saveexec_b64 s[12:13], s[4:5]
	s_cbranch_execz .LBB108_22
; %bb.21:
	buffer_load_dword v7, off, s[0:3], 0 offset:12
	buffer_load_dword v8, off, s[0:3], 0 offset:8
	v_mov_b32_e32 v4, 0
	ds_read_b64 v[4:5], v4 offset:376
	s_waitcnt vmcnt(1) lgkmcnt(0)
	v_mul_f32_e32 v9, v4, v7
	v_mul_f32_e32 v7, v5, v7
	s_waitcnt vmcnt(0)
	v_fmac_f32_e32 v9, v5, v8
	v_fma_f32 v4, v4, v8, -v7
	v_add_f32_e32 v2, v2, v9
	v_add_f32_e32 v3, v3, v4
.LBB108_22:
	s_or_b64 exec, exec, s[12:13]
	v_mov_b32_e32 v4, 0
	ds_read_b64 v[4:5], v4 offset:16
	s_waitcnt lgkmcnt(0)
	v_mul_f32_e32 v7, v2, v5
	v_mul_f32_e32 v5, v3, v5
	v_fma_f32 v3, v3, v4, -v7
	v_fmac_f32_e32 v5, v2, v4
	buffer_store_dword v3, off, s[0:3], 0 offset:16
	buffer_store_dword v5, off, s[0:3], 0 offset:20
.LBB108_23:
	s_or_b64 exec, exec, s[6:7]
	s_waitcnt lgkmcnt(0)
	; wave barrier
	buffer_load_dword v2, off, s[0:3], 0 offset:24
	buffer_load_dword v3, off, s[0:3], 0 offset:28
	v_cmp_gt_u32_e32 vcc, 3, v0
	s_waitcnt vmcnt(0)
	ds_write_b64 v1, v[2:3]
	v_add_u32_e32 v2, -1, v0
	s_waitcnt lgkmcnt(0)
	; wave barrier
	s_waitcnt lgkmcnt(0)
	s_and_saveexec_b64 s[4:5], vcc
	s_cbranch_execz .LBB108_27
; %bb.24:
	v_add_u32_e32 v4, -1, v0
	v_add_u32_e32 v5, 0x170, v6
	v_add_u32_e32 v7, 0, v6
	s_mov_b64 s[6:7], 0
	v_mov_b32_e32 v3, 0
	v_mov_b32_e32 v8, 0
.LBB108_25:                             ; =>This Inner Loop Header: Depth=1
	buffer_load_dword v9, v7, s[0:3], 0 offen offset:4
	buffer_load_dword v12, v7, s[0:3], 0 offen
	ds_read_b64 v[10:11], v5
	v_add_u32_e32 v4, 1, v4
	v_cmp_lt_u32_e32 vcc, 1, v4
	v_add_u32_e32 v5, 8, v5
	v_add_u32_e32 v7, 8, v7
	s_or_b64 s[6:7], vcc, s[6:7]
	s_waitcnt vmcnt(1) lgkmcnt(0)
	v_mul_f32_e32 v13, v11, v9
	v_mul_f32_e32 v9, v10, v9
	s_waitcnt vmcnt(0)
	v_fma_f32 v10, v10, v12, -v13
	v_fmac_f32_e32 v9, v11, v12
	v_add_f32_e32 v8, v8, v10
	v_add_f32_e32 v3, v3, v9
	s_andn2_b64 exec, exec, s[6:7]
	s_cbranch_execnz .LBB108_25
; %bb.26:
	s_or_b64 exec, exec, s[6:7]
	v_mov_b32_e32 v4, 0
	ds_read_b64 v[4:5], v4 offset:24
	s_waitcnt lgkmcnt(0)
	v_mul_f32_e32 v7, v3, v5
	v_mul_f32_e32 v5, v8, v5
	v_fma_f32 v7, v8, v4, -v7
	v_fmac_f32_e32 v5, v3, v4
	buffer_store_dword v7, off, s[0:3], 0 offset:24
	buffer_store_dword v5, off, s[0:3], 0 offset:28
.LBB108_27:
	s_or_b64 exec, exec, s[4:5]
	s_waitcnt lgkmcnt(0)
	; wave barrier
	buffer_load_dword v4, off, s[0:3], 0 offset:32
	buffer_load_dword v5, off, s[0:3], 0 offset:36
	v_cmp_gt_u32_e32 vcc, 4, v0
	s_waitcnt vmcnt(0)
	ds_write_b64 v1, v[4:5]
	s_waitcnt lgkmcnt(0)
	; wave barrier
	s_waitcnt lgkmcnt(0)
	s_and_saveexec_b64 s[4:5], vcc
	s_cbranch_execz .LBB108_31
; %bb.28:
	v_add_u32_e32 v4, -1, v0
	v_add_u32_e32 v5, 0x170, v6
	v_add_u32_e32 v7, 0, v6
	s_mov_b64 s[6:7], 0
	v_mov_b32_e32 v3, 0
	v_mov_b32_e32 v8, 0
.LBB108_29:                             ; =>This Inner Loop Header: Depth=1
	buffer_load_dword v9, v7, s[0:3], 0 offen offset:4
	buffer_load_dword v12, v7, s[0:3], 0 offen
	ds_read_b64 v[10:11], v5
	v_add_u32_e32 v4, 1, v4
	v_cmp_lt_u32_e32 vcc, 2, v4
	v_add_u32_e32 v5, 8, v5
	v_add_u32_e32 v7, 8, v7
	s_or_b64 s[6:7], vcc, s[6:7]
	s_waitcnt vmcnt(1) lgkmcnt(0)
	v_mul_f32_e32 v13, v11, v9
	v_mul_f32_e32 v9, v10, v9
	s_waitcnt vmcnt(0)
	v_fma_f32 v10, v10, v12, -v13
	v_fmac_f32_e32 v9, v11, v12
	v_add_f32_e32 v8, v8, v10
	v_add_f32_e32 v3, v3, v9
	s_andn2_b64 exec, exec, s[6:7]
	s_cbranch_execnz .LBB108_29
; %bb.30:
	s_or_b64 exec, exec, s[6:7]
	v_mov_b32_e32 v4, 0
	ds_read_b64 v[4:5], v4 offset:32
	s_waitcnt lgkmcnt(0)
	v_mul_f32_e32 v7, v3, v5
	v_mul_f32_e32 v5, v8, v5
	v_fma_f32 v7, v8, v4, -v7
	v_fmac_f32_e32 v5, v3, v4
	buffer_store_dword v7, off, s[0:3], 0 offset:32
	buffer_store_dword v5, off, s[0:3], 0 offset:36
.LBB108_31:
	s_or_b64 exec, exec, s[4:5]
	s_waitcnt lgkmcnt(0)
	; wave barrier
	buffer_load_dword v4, off, s[0:3], 0 offset:40
	buffer_load_dword v5, off, s[0:3], 0 offset:44
	v_cmp_gt_u32_e32 vcc, 5, v0
	s_waitcnt vmcnt(0)
	ds_write_b64 v1, v[4:5]
	;; [unrolled: 51-line block ×19, first 2 shown]
	s_waitcnt lgkmcnt(0)
	; wave barrier
	s_waitcnt lgkmcnt(0)
	s_and_saveexec_b64 s[4:5], vcc
	s_cbranch_execz .LBB108_103
; %bb.100:
	v_add_u32_e32 v4, -1, v0
	v_add_u32_e32 v5, 0x170, v6
	v_add_u32_e32 v7, 0, v6
	s_mov_b64 s[6:7], 0
	v_mov_b32_e32 v3, 0
	v_mov_b32_e32 v8, 0
.LBB108_101:                            ; =>This Inner Loop Header: Depth=1
	buffer_load_dword v9, v7, s[0:3], 0 offen offset:4
	buffer_load_dword v12, v7, s[0:3], 0 offen
	ds_read_b64 v[10:11], v5
	v_add_u32_e32 v4, 1, v4
	v_cmp_lt_u32_e32 vcc, 20, v4
	v_add_u32_e32 v5, 8, v5
	v_add_u32_e32 v7, 8, v7
	s_or_b64 s[6:7], vcc, s[6:7]
	s_waitcnt vmcnt(1) lgkmcnt(0)
	v_mul_f32_e32 v13, v11, v9
	v_mul_f32_e32 v9, v10, v9
	s_waitcnt vmcnt(0)
	v_fma_f32 v10, v10, v12, -v13
	v_fmac_f32_e32 v9, v11, v12
	v_add_f32_e32 v8, v8, v10
	v_add_f32_e32 v3, v3, v9
	s_andn2_b64 exec, exec, s[6:7]
	s_cbranch_execnz .LBB108_101
; %bb.102:
	s_or_b64 exec, exec, s[6:7]
	v_mov_b32_e32 v4, 0
	ds_read_b64 v[4:5], v4 offset:176
	s_waitcnt lgkmcnt(0)
	v_mul_f32_e32 v7, v3, v5
	v_mul_f32_e32 v5, v8, v5
	v_fma_f32 v7, v8, v4, -v7
	v_fmac_f32_e32 v5, v3, v4
	buffer_store_dword v7, off, s[0:3], 0 offset:176
	buffer_store_dword v5, off, s[0:3], 0 offset:180
.LBB108_103:
	s_or_b64 exec, exec, s[4:5]
	s_waitcnt lgkmcnt(0)
	; wave barrier
	buffer_load_dword v4, off, s[0:3], 0 offset:184
	buffer_load_dword v5, off, s[0:3], 0 offset:188
	v_cmp_gt_u32_e32 vcc, 23, v0
	s_waitcnt vmcnt(0)
	ds_write_b64 v1, v[4:5]
	s_waitcnt lgkmcnt(0)
	; wave barrier
	s_waitcnt lgkmcnt(0)
	s_and_saveexec_b64 s[4:5], vcc
	s_cbranch_execz .LBB108_107
; %bb.104:
	v_add_u32_e32 v4, -1, v0
	v_add_u32_e32 v5, 0x170, v6
	v_add_u32_e32 v7, 0, v6
	s_mov_b64 s[6:7], 0
	v_mov_b32_e32 v3, 0
	v_mov_b32_e32 v8, 0
.LBB108_105:                            ; =>This Inner Loop Header: Depth=1
	buffer_load_dword v9, v7, s[0:3], 0 offen offset:4
	buffer_load_dword v12, v7, s[0:3], 0 offen
	ds_read_b64 v[10:11], v5
	v_add_u32_e32 v4, 1, v4
	v_cmp_lt_u32_e32 vcc, 21, v4
	v_add_u32_e32 v5, 8, v5
	v_add_u32_e32 v7, 8, v7
	s_or_b64 s[6:7], vcc, s[6:7]
	s_waitcnt vmcnt(1) lgkmcnt(0)
	v_mul_f32_e32 v13, v11, v9
	v_mul_f32_e32 v9, v10, v9
	s_waitcnt vmcnt(0)
	v_fma_f32 v10, v10, v12, -v13
	v_fmac_f32_e32 v9, v11, v12
	v_add_f32_e32 v8, v8, v10
	v_add_f32_e32 v3, v3, v9
	s_andn2_b64 exec, exec, s[6:7]
	s_cbranch_execnz .LBB108_105
; %bb.106:
	s_or_b64 exec, exec, s[6:7]
	v_mov_b32_e32 v4, 0
	ds_read_b64 v[4:5], v4 offset:184
	s_waitcnt lgkmcnt(0)
	v_mul_f32_e32 v7, v3, v5
	v_mul_f32_e32 v5, v8, v5
	v_fma_f32 v7, v8, v4, -v7
	v_fmac_f32_e32 v5, v3, v4
	buffer_store_dword v7, off, s[0:3], 0 offset:184
	buffer_store_dword v5, off, s[0:3], 0 offset:188
.LBB108_107:
	s_or_b64 exec, exec, s[4:5]
	s_waitcnt lgkmcnt(0)
	; wave barrier
	buffer_load_dword v4, off, s[0:3], 0 offset:192
	buffer_load_dword v5, off, s[0:3], 0 offset:196
	v_cmp_gt_u32_e32 vcc, 24, v0
	s_waitcnt vmcnt(0)
	ds_write_b64 v1, v[4:5]
	;; [unrolled: 51-line block ×21, first 2 shown]
	s_waitcnt lgkmcnt(0)
	; wave barrier
	s_waitcnt lgkmcnt(0)
	s_and_saveexec_b64 s[4:5], vcc
	s_cbranch_execz .LBB108_187
; %bb.184:
	v_add_u32_e32 v4, -1, v0
	v_add_u32_e32 v5, 0x170, v6
	v_add_u32_e32 v7, 0, v6
	s_mov_b64 s[6:7], 0
	v_mov_b32_e32 v3, 0
	v_mov_b32_e32 v8, 0
.LBB108_185:                            ; =>This Inner Loop Header: Depth=1
	buffer_load_dword v9, v7, s[0:3], 0 offen offset:4
	buffer_load_dword v12, v7, s[0:3], 0 offen
	ds_read_b64 v[10:11], v5
	v_add_u32_e32 v4, 1, v4
	v_cmp_lt_u32_e32 vcc, 41, v4
	v_add_u32_e32 v5, 8, v5
	v_add_u32_e32 v7, 8, v7
	s_or_b64 s[6:7], vcc, s[6:7]
	s_waitcnt vmcnt(1) lgkmcnt(0)
	v_mul_f32_e32 v13, v11, v9
	v_mul_f32_e32 v9, v10, v9
	s_waitcnt vmcnt(0)
	v_fma_f32 v10, v10, v12, -v13
	v_fmac_f32_e32 v9, v11, v12
	v_add_f32_e32 v8, v8, v10
	v_add_f32_e32 v3, v3, v9
	s_andn2_b64 exec, exec, s[6:7]
	s_cbranch_execnz .LBB108_185
; %bb.186:
	s_or_b64 exec, exec, s[6:7]
	v_mov_b32_e32 v4, 0
	ds_read_b64 v[4:5], v4 offset:344
	s_waitcnt lgkmcnt(0)
	v_mul_f32_e32 v7, v3, v5
	v_mul_f32_e32 v5, v8, v5
	v_fma_f32 v7, v8, v4, -v7
	v_fmac_f32_e32 v5, v3, v4
	buffer_store_dword v7, off, s[0:3], 0 offset:344
	buffer_store_dword v5, off, s[0:3], 0 offset:348
.LBB108_187:
	s_or_b64 exec, exec, s[4:5]
	s_waitcnt lgkmcnt(0)
	; wave barrier
	buffer_load_dword v4, off, s[0:3], 0 offset:352
	buffer_load_dword v5, off, s[0:3], 0 offset:356
	v_cmp_ne_u32_e32 vcc, 44, v0
	s_waitcnt vmcnt(0)
	ds_write_b64 v1, v[4:5]
	s_waitcnt lgkmcnt(0)
	; wave barrier
	s_waitcnt lgkmcnt(0)
	s_and_saveexec_b64 s[4:5], vcc
	s_cbranch_execz .LBB108_191
; %bb.188:
	v_add_u32_e32 v3, 0x170, v6
	v_add_u32_e32 v4, 0, v6
	s_mov_b64 s[6:7], 0
	v_mov_b32_e32 v1, 0
	v_mov_b32_e32 v5, 0
.LBB108_189:                            ; =>This Inner Loop Header: Depth=1
	buffer_load_dword v8, v4, s[0:3], 0 offen offset:4
	buffer_load_dword v9, v4, s[0:3], 0 offen
	ds_read_b64 v[6:7], v3
	v_add_u32_e32 v2, 1, v2
	v_cmp_lt_u32_e32 vcc, 42, v2
	v_add_u32_e32 v3, 8, v3
	v_add_u32_e32 v4, 8, v4
	s_or_b64 s[6:7], vcc, s[6:7]
	s_waitcnt vmcnt(1) lgkmcnt(0)
	v_mul_f32_e32 v10, v7, v8
	v_mul_f32_e32 v8, v6, v8
	s_waitcnt vmcnt(0)
	v_fma_f32 v6, v6, v9, -v10
	v_fmac_f32_e32 v8, v7, v9
	v_add_f32_e32 v5, v5, v6
	v_add_f32_e32 v1, v1, v8
	s_andn2_b64 exec, exec, s[6:7]
	s_cbranch_execnz .LBB108_189
; %bb.190:
	s_or_b64 exec, exec, s[6:7]
	v_mov_b32_e32 v2, 0
	ds_read_b64 v[2:3], v2 offset:352
	s_waitcnt lgkmcnt(0)
	v_mul_f32_e32 v4, v1, v3
	v_mul_f32_e32 v3, v5, v3
	v_fma_f32 v4, v5, v2, -v4
	v_fmac_f32_e32 v3, v1, v2
	buffer_store_dword v4, off, s[0:3], 0 offset:352
	buffer_store_dword v3, off, s[0:3], 0 offset:356
.LBB108_191:
	s_or_b64 exec, exec, s[4:5]
	s_mov_b64 s[6:7], -1
	s_waitcnt lgkmcnt(0)
	; wave barrier
.LBB108_192:
	s_and_b64 vcc, exec, s[6:7]
	s_cbranch_vccz .LBB108_194
; %bb.193:
	s_lshl_b64 s[4:5], s[8:9], 2
	s_add_u32 s4, s14, s4
	s_addc_u32 s5, s15, s5
	v_mov_b32_e32 v1, 0
	global_load_dword v1, v1, s[4:5]
	s_waitcnt vmcnt(0)
	v_cmp_ne_u32_e32 vcc, 0, v1
	s_cbranch_vccz .LBB108_195
.LBB108_194:
	s_endpgm
.LBB108_195:
	v_mov_b32_e32 v1, 0x170
	v_lshl_add_u32 v1, v0, 3, v1
	v_cmp_eq_u32_e32 vcc, 44, v0
	s_and_saveexec_b64 s[4:5], vcc
	s_cbranch_execz .LBB108_197
; %bb.196:
	buffer_load_dword v2, off, s[0:3], 0 offset:344
	buffer_load_dword v3, off, s[0:3], 0 offset:348
	v_mov_b32_e32 v4, 0
	buffer_store_dword v4, off, s[0:3], 0 offset:344
	buffer_store_dword v4, off, s[0:3], 0 offset:348
	s_waitcnt vmcnt(2)
	ds_write_b64 v1, v[2:3]
.LBB108_197:
	s_or_b64 exec, exec, s[4:5]
	s_waitcnt lgkmcnt(0)
	; wave barrier
	s_waitcnt lgkmcnt(0)
	buffer_load_dword v5, off, s[0:3], 0 offset:356
	buffer_load_dword v4, off, s[0:3], 0 offset:352
	;; [unrolled: 1-line block ×4, first 2 shown]
	v_mov_b32_e32 v2, 0
	ds_read_b64 v[8:9], v2 offset:720
	v_cmp_lt_u32_e32 vcc, 42, v0
	s_waitcnt vmcnt(3)
	v_mov_b32_e32 v10, v5
	s_waitcnt lgkmcnt(0)
	v_pk_mul_f32 v[10:11], v[8:9], v[10:11] op_sel_hi:[1,0]
	s_waitcnt vmcnt(2)
	v_pk_fma_f32 v[12:13], v[8:9], v[4:5], v[10:11] op_sel:[0,0,1] op_sel_hi:[1,1,0] neg_lo:[0,0,1] neg_hi:[0,0,1]
	v_pk_fma_f32 v[4:5], v[8:9], v[4:5], v[10:11] op_sel:[0,0,1] op_sel_hi:[1,0,0]
	v_mov_b32_e32 v13, v5
	v_pk_add_f32 v[4:5], v[12:13], 0 op_sel_hi:[1,0]
	s_waitcnt vmcnt(0)
	v_pk_add_f32 v[4:5], v[6:7], v[4:5] neg_lo:[0,1] neg_hi:[0,1]
	buffer_store_dword v4, off, s[0:3], 0 offset:344
	buffer_store_dword v5, off, s[0:3], 0 offset:348
	s_and_saveexec_b64 s[4:5], vcc
	s_cbranch_execz .LBB108_199
; %bb.198:
	buffer_load_dword v4, off, s[0:3], 0 offset:336
	buffer_load_dword v5, off, s[0:3], 0 offset:340
	s_waitcnt vmcnt(0)
	ds_write_b64 v1, v[4:5]
	buffer_store_dword v2, off, s[0:3], 0 offset:336
	buffer_store_dword v2, off, s[0:3], 0 offset:340
.LBB108_199:
	s_or_b64 exec, exec, s[4:5]
	s_waitcnt lgkmcnt(0)
	; wave barrier
	s_waitcnt lgkmcnt(0)
	buffer_load_dword v7, off, s[0:3], 0 offset:348
	buffer_load_dword v9, off, s[0:3], 0 offset:356
	;; [unrolled: 1-line block ×6, first 2 shown]
	ds_read2_b64 v[2:5], v2 offset0:89 offset1:90
	v_cmp_lt_u32_e32 vcc, 41, v0
	s_waitcnt vmcnt(5)
	v_mov_b32_e32 v12, v7
	s_waitcnt vmcnt(4)
	v_mov_b32_e32 v14, v9
	s_waitcnt lgkmcnt(0)
	v_pk_mul_f32 v[12:13], v[2:3], v[12:13] op_sel_hi:[1,0]
	v_pk_mul_f32 v[14:15], v[4:5], v[14:15] op_sel_hi:[1,0]
	s_waitcnt vmcnt(3)
	v_pk_fma_f32 v[16:17], v[2:3], v[6:7], v[12:13] op_sel:[0,0,1] op_sel_hi:[1,1,0] neg_lo:[0,0,1] neg_hi:[0,0,1]
	v_pk_fma_f32 v[2:3], v[2:3], v[6:7], v[12:13] op_sel:[0,0,1] op_sel_hi:[1,0,0]
	s_waitcnt vmcnt(2)
	v_pk_fma_f32 v[6:7], v[4:5], v[8:9], v[14:15] op_sel:[0,0,1] op_sel_hi:[1,1,0] neg_lo:[0,0,1] neg_hi:[0,0,1]
	v_pk_fma_f32 v[4:5], v[4:5], v[8:9], v[14:15] op_sel:[0,0,1] op_sel_hi:[1,0,0]
	v_mov_b32_e32 v17, v3
	v_mov_b32_e32 v7, v5
	v_pk_add_f32 v[2:3], v[16:17], 0 op_sel_hi:[1,0]
	v_pk_add_f32 v[2:3], v[2:3], v[6:7]
	s_waitcnt vmcnt(0)
	v_pk_add_f32 v[2:3], v[10:11], v[2:3] neg_lo:[0,1] neg_hi:[0,1]
	buffer_store_dword v2, off, s[0:3], 0 offset:336
	buffer_store_dword v3, off, s[0:3], 0 offset:340
	s_and_saveexec_b64 s[4:5], vcc
	s_cbranch_execz .LBB108_201
; %bb.200:
	buffer_load_dword v2, off, s[0:3], 0 offset:328
	buffer_load_dword v3, off, s[0:3], 0 offset:332
	v_mov_b32_e32 v4, 0
	buffer_store_dword v4, off, s[0:3], 0 offset:328
	buffer_store_dword v4, off, s[0:3], 0 offset:332
	s_waitcnt vmcnt(2)
	ds_write_b64 v1, v[2:3]
.LBB108_201:
	s_or_b64 exec, exec, s[4:5]
	s_waitcnt lgkmcnt(0)
	; wave barrier
	s_waitcnt lgkmcnt(0)
	buffer_load_dword v9, off, s[0:3], 0 offset:340
	buffer_load_dword v11, off, s[0:3], 0 offset:348
	;; [unrolled: 1-line block ×8, first 2 shown]
	v_mov_b32_e32 v2, 0
	ds_read_b128 v[4:7], v2 offset:704
	ds_read_b64 v[16:17], v2 offset:720
	v_cmp_lt_u32_e32 vcc, 40, v0
	s_waitcnt vmcnt(7)
	v_mov_b32_e32 v18, v9
	s_waitcnt vmcnt(6)
	v_mov_b32_e32 v20, v11
	s_waitcnt lgkmcnt(1)
	v_pk_mul_f32 v[18:19], v[4:5], v[18:19] op_sel_hi:[1,0]
	s_waitcnt vmcnt(5)
	v_mov_b32_e32 v22, v13
	v_pk_mul_f32 v[20:21], v[6:7], v[20:21] op_sel_hi:[1,0]
	s_waitcnt vmcnt(4)
	v_pk_fma_f32 v[24:25], v[4:5], v[8:9], v[18:19] op_sel:[0,0,1] op_sel_hi:[1,1,0] neg_lo:[0,0,1] neg_hi:[0,0,1]
	v_pk_fma_f32 v[4:5], v[4:5], v[8:9], v[18:19] op_sel:[0,0,1] op_sel_hi:[1,0,0]
	s_waitcnt lgkmcnt(0)
	v_pk_mul_f32 v[22:23], v[16:17], v[22:23] op_sel_hi:[1,0]
	s_waitcnt vmcnt(3)
	v_pk_fma_f32 v[8:9], v[6:7], v[10:11], v[20:21] op_sel:[0,0,1] op_sel_hi:[1,1,0] neg_lo:[0,0,1] neg_hi:[0,0,1]
	v_pk_fma_f32 v[6:7], v[6:7], v[10:11], v[20:21] op_sel:[0,0,1] op_sel_hi:[1,0,0]
	v_mov_b32_e32 v25, v5
	s_waitcnt vmcnt(2)
	v_pk_fma_f32 v[10:11], v[16:17], v[12:13], v[22:23] op_sel:[0,0,1] op_sel_hi:[1,1,0] neg_lo:[0,0,1] neg_hi:[0,0,1]
	v_pk_fma_f32 v[12:13], v[16:17], v[12:13], v[22:23] op_sel:[0,0,1] op_sel_hi:[1,0,0]
	v_mov_b32_e32 v9, v7
	v_pk_add_f32 v[4:5], v[24:25], 0 op_sel_hi:[1,0]
	v_mov_b32_e32 v11, v13
	v_pk_add_f32 v[4:5], v[4:5], v[8:9]
	v_pk_add_f32 v[4:5], v[4:5], v[10:11]
	s_waitcnt vmcnt(0)
	v_pk_add_f32 v[4:5], v[14:15], v[4:5] neg_lo:[0,1] neg_hi:[0,1]
	buffer_store_dword v4, off, s[0:3], 0 offset:328
	buffer_store_dword v5, off, s[0:3], 0 offset:332
	s_and_saveexec_b64 s[4:5], vcc
	s_cbranch_execz .LBB108_203
; %bb.202:
	buffer_load_dword v4, off, s[0:3], 0 offset:320
	buffer_load_dword v5, off, s[0:3], 0 offset:324
	s_waitcnt vmcnt(0)
	ds_write_b64 v1, v[4:5]
	buffer_store_dword v2, off, s[0:3], 0 offset:320
	buffer_store_dword v2, off, s[0:3], 0 offset:324
.LBB108_203:
	s_or_b64 exec, exec, s[4:5]
	s_waitcnt lgkmcnt(0)
	; wave barrier
	s_waitcnt lgkmcnt(0)
	buffer_load_dword v13, off, s[0:3], 0 offset:332
	buffer_load_dword v15, off, s[0:3], 0 offset:340
	;; [unrolled: 1-line block ×10, first 2 shown]
	ds_read2_b64 v[4:7], v2 offset0:87 offset1:88
	ds_read2_b64 v[8:11], v2 offset0:89 offset1:90
	v_cmp_lt_u32_e32 vcc, 39, v0
	s_waitcnt vmcnt(9)
	v_mov_b32_e32 v2, v13
	s_waitcnt vmcnt(8)
	v_mov_b32_e32 v22, v15
	s_waitcnt lgkmcnt(1)
	v_pk_mul_f32 v[2:3], v[4:5], v[2:3] op_sel_hi:[1,0]
	s_waitcnt vmcnt(7)
	v_mov_b32_e32 v24, v17
	v_pk_mul_f32 v[22:23], v[6:7], v[22:23] op_sel_hi:[1,0]
	s_waitcnt vmcnt(5)
	v_pk_fma_f32 v[28:29], v[4:5], v[12:13], v[2:3] op_sel:[0,0,1] op_sel_hi:[1,1,0] neg_lo:[0,0,1] neg_hi:[0,0,1]
	v_pk_fma_f32 v[2:3], v[4:5], v[12:13], v[2:3] op_sel:[0,0,1] op_sel_hi:[1,0,0]
	v_mov_b32_e32 v26, v19
	s_waitcnt lgkmcnt(0)
	v_pk_mul_f32 v[24:25], v[8:9], v[24:25] op_sel_hi:[1,0]
	s_waitcnt vmcnt(4)
	v_pk_fma_f32 v[4:5], v[6:7], v[14:15], v[22:23] op_sel:[0,0,1] op_sel_hi:[1,1,0] neg_lo:[0,0,1] neg_hi:[0,0,1]
	v_pk_fma_f32 v[6:7], v[6:7], v[14:15], v[22:23] op_sel:[0,0,1] op_sel_hi:[1,0,0]
	v_mov_b32_e32 v29, v3
	v_pk_mul_f32 v[26:27], v[10:11], v[26:27] op_sel_hi:[1,0]
	s_waitcnt vmcnt(3)
	v_pk_fma_f32 v[12:13], v[8:9], v[16:17], v[24:25] op_sel:[0,0,1] op_sel_hi:[1,1,0] neg_lo:[0,0,1] neg_hi:[0,0,1]
	v_pk_fma_f32 v[8:9], v[8:9], v[16:17], v[24:25] op_sel:[0,0,1] op_sel_hi:[1,0,0]
	v_mov_b32_e32 v5, v7
	v_pk_add_f32 v[2:3], v[28:29], 0 op_sel_hi:[1,0]
	s_waitcnt vmcnt(2)
	v_pk_fma_f32 v[14:15], v[10:11], v[18:19], v[26:27] op_sel:[0,0,1] op_sel_hi:[1,1,0] neg_lo:[0,0,1] neg_hi:[0,0,1]
	v_pk_fma_f32 v[10:11], v[10:11], v[18:19], v[26:27] op_sel:[0,0,1] op_sel_hi:[1,0,0]
	v_mov_b32_e32 v13, v9
	v_pk_add_f32 v[2:3], v[2:3], v[4:5]
	v_mov_b32_e32 v15, v11
	v_pk_add_f32 v[2:3], v[2:3], v[12:13]
	v_pk_add_f32 v[2:3], v[2:3], v[14:15]
	s_waitcnt vmcnt(0)
	v_pk_add_f32 v[2:3], v[20:21], v[2:3] neg_lo:[0,1] neg_hi:[0,1]
	buffer_store_dword v2, off, s[0:3], 0 offset:320
	buffer_store_dword v3, off, s[0:3], 0 offset:324
	s_and_saveexec_b64 s[4:5], vcc
	s_cbranch_execz .LBB108_205
; %bb.204:
	buffer_load_dword v2, off, s[0:3], 0 offset:312
	buffer_load_dword v3, off, s[0:3], 0 offset:316
	v_mov_b32_e32 v4, 0
	buffer_store_dword v4, off, s[0:3], 0 offset:312
	buffer_store_dword v4, off, s[0:3], 0 offset:316
	s_waitcnt vmcnt(2)
	ds_write_b64 v1, v[2:3]
.LBB108_205:
	s_or_b64 exec, exec, s[4:5]
	s_waitcnt lgkmcnt(0)
	; wave barrier
	s_waitcnt lgkmcnt(0)
	buffer_load_dword v13, off, s[0:3], 0 offset:324
	buffer_load_dword v15, off, s[0:3], 0 offset:332
	;; [unrolled: 1-line block ×12, first 2 shown]
	v_mov_b32_e32 v2, 0
	ds_read_b128 v[4:7], v2 offset:688
	ds_read_b128 v[8:11], v2 offset:704
	ds_read_b64 v[24:25], v2 offset:720
	v_cmp_lt_u32_e32 vcc, 38, v0
	s_waitcnt vmcnt(11)
	v_mov_b32_e32 v26, v13
	s_waitcnt vmcnt(10)
	v_mov_b32_e32 v28, v15
	s_waitcnt lgkmcnt(2)
	v_pk_mul_f32 v[26:27], v[4:5], v[26:27] op_sel_hi:[1,0]
	s_waitcnt vmcnt(9)
	v_mov_b32_e32 v30, v17
	v_pk_mul_f32 v[28:29], v[6:7], v[28:29] op_sel_hi:[1,0]
	s_waitcnt vmcnt(6)
	v_pk_fma_f32 v[36:37], v[4:5], v[12:13], v[26:27] op_sel:[0,0,1] op_sel_hi:[1,1,0] neg_lo:[0,0,1] neg_hi:[0,0,1]
	v_pk_fma_f32 v[4:5], v[4:5], v[12:13], v[26:27] op_sel:[0,0,1] op_sel_hi:[1,0,0]
	v_mov_b32_e32 v32, v19
	s_waitcnt lgkmcnt(1)
	v_pk_mul_f32 v[30:31], v[8:9], v[30:31] op_sel_hi:[1,0]
	s_waitcnt vmcnt(5)
	v_pk_fma_f32 v[12:13], v[6:7], v[14:15], v[28:29] op_sel:[0,0,1] op_sel_hi:[1,1,0] neg_lo:[0,0,1] neg_hi:[0,0,1]
	v_pk_fma_f32 v[6:7], v[6:7], v[14:15], v[28:29] op_sel:[0,0,1] op_sel_hi:[1,0,0]
	v_mov_b32_e32 v37, v5
	v_mov_b32_e32 v34, v21
	v_pk_mul_f32 v[32:33], v[10:11], v[32:33] op_sel_hi:[1,0]
	s_waitcnt vmcnt(4)
	v_pk_fma_f32 v[14:15], v[8:9], v[16:17], v[30:31] op_sel:[0,0,1] op_sel_hi:[1,1,0] neg_lo:[0,0,1] neg_hi:[0,0,1]
	v_pk_fma_f32 v[8:9], v[8:9], v[16:17], v[30:31] op_sel:[0,0,1] op_sel_hi:[1,0,0]
	v_mov_b32_e32 v13, v7
	v_pk_add_f32 v[4:5], v[36:37], 0 op_sel_hi:[1,0]
	s_waitcnt lgkmcnt(0)
	v_pk_mul_f32 v[34:35], v[24:25], v[34:35] op_sel_hi:[1,0]
	s_waitcnt vmcnt(3)
	v_pk_fma_f32 v[16:17], v[10:11], v[18:19], v[32:33] op_sel:[0,0,1] op_sel_hi:[1,1,0] neg_lo:[0,0,1] neg_hi:[0,0,1]
	v_pk_fma_f32 v[10:11], v[10:11], v[18:19], v[32:33] op_sel:[0,0,1] op_sel_hi:[1,0,0]
	v_mov_b32_e32 v15, v9
	v_pk_add_f32 v[4:5], v[4:5], v[12:13]
	s_waitcnt vmcnt(2)
	v_pk_fma_f32 v[18:19], v[24:25], v[20:21], v[34:35] op_sel:[0,0,1] op_sel_hi:[1,1,0] neg_lo:[0,0,1] neg_hi:[0,0,1]
	v_pk_fma_f32 v[20:21], v[24:25], v[20:21], v[34:35] op_sel:[0,0,1] op_sel_hi:[1,0,0]
	v_mov_b32_e32 v17, v11
	v_pk_add_f32 v[4:5], v[4:5], v[14:15]
	v_mov_b32_e32 v19, v21
	v_pk_add_f32 v[4:5], v[4:5], v[16:17]
	v_pk_add_f32 v[4:5], v[4:5], v[18:19]
	s_waitcnt vmcnt(0)
	v_pk_add_f32 v[4:5], v[22:23], v[4:5] neg_lo:[0,1] neg_hi:[0,1]
	buffer_store_dword v4, off, s[0:3], 0 offset:312
	buffer_store_dword v5, off, s[0:3], 0 offset:316
	s_and_saveexec_b64 s[4:5], vcc
	s_cbranch_execz .LBB108_207
; %bb.206:
	buffer_load_dword v4, off, s[0:3], 0 offset:304
	buffer_load_dword v5, off, s[0:3], 0 offset:308
	s_waitcnt vmcnt(0)
	ds_write_b64 v1, v[4:5]
	buffer_store_dword v2, off, s[0:3], 0 offset:304
	buffer_store_dword v2, off, s[0:3], 0 offset:308
.LBB108_207:
	s_or_b64 exec, exec, s[4:5]
	s_waitcnt lgkmcnt(0)
	; wave barrier
	s_waitcnt lgkmcnt(0)
	buffer_load_dword v16, off, s[0:3], 0 offset:304
	buffer_load_dword v17, off, s[0:3], 0 offset:308
	;; [unrolled: 1-line block ×14, first 2 shown]
	ds_read2_b64 v[4:7], v2 offset0:85 offset1:86
	ds_read2_b64 v[8:11], v2 offset0:87 offset1:88
	;; [unrolled: 1-line block ×3, first 2 shown]
	v_cmp_lt_u32_e32 vcc, 37, v0
	s_waitcnt vmcnt(10)
	v_mov_b32_e32 v2, v19
	s_waitcnt lgkmcnt(2)
	v_pk_mul_f32 v[2:3], v[4:5], v[2:3] op_sel_hi:[1,0]
	v_pk_fma_f32 v[30:31], v[4:5], v[18:19], v[2:3] op_sel:[0,0,1] op_sel_hi:[1,1,0] neg_lo:[0,0,1] neg_hi:[0,0,1]
	v_pk_fma_f32 v[2:3], v[4:5], v[18:19], v[2:3] op_sel:[0,0,1] op_sel_hi:[1,0,0]
	s_waitcnt vmcnt(8)
	v_mov_b32_e32 v4, v21
	v_pk_mul_f32 v[4:5], v[6:7], v[4:5] op_sel_hi:[1,0]
	v_pk_fma_f32 v[18:19], v[6:7], v[20:21], v[4:5] op_sel:[0,0,1] op_sel_hi:[1,1,0] neg_lo:[0,0,1] neg_hi:[0,0,1]
	v_pk_fma_f32 v[4:5], v[6:7], v[20:21], v[4:5] op_sel:[0,0,1] op_sel_hi:[1,0,0]
	s_waitcnt vmcnt(6)
	v_mov_b32_e32 v4, v23
	v_mov_b32_e32 v19, v5
	s_waitcnt lgkmcnt(1)
	v_pk_mul_f32 v[4:5], v[8:9], v[4:5] op_sel_hi:[1,0]
	v_mov_b32_e32 v31, v3
	v_pk_fma_f32 v[6:7], v[8:9], v[22:23], v[4:5] op_sel:[0,0,1] op_sel_hi:[1,1,0] neg_lo:[0,0,1] neg_hi:[0,0,1]
	v_pk_fma_f32 v[4:5], v[8:9], v[22:23], v[4:5] op_sel:[0,0,1] op_sel_hi:[1,0,0]
	v_pk_add_f32 v[2:3], v[30:31], 0 op_sel_hi:[1,0]
	s_waitcnt vmcnt(4)
	v_mov_b32_e32 v4, v25
	v_pk_add_f32 v[2:3], v[2:3], v[18:19]
	v_mov_b32_e32 v7, v5
	v_pk_mul_f32 v[4:5], v[10:11], v[4:5] op_sel_hi:[1,0]
	v_pk_add_f32 v[2:3], v[2:3], v[6:7]
	v_pk_fma_f32 v[6:7], v[10:11], v[24:25], v[4:5] op_sel:[0,0,1] op_sel_hi:[1,1,0] neg_lo:[0,0,1] neg_hi:[0,0,1]
	v_pk_fma_f32 v[4:5], v[10:11], v[24:25], v[4:5] op_sel:[0,0,1] op_sel_hi:[1,0,0]
	s_waitcnt vmcnt(2)
	v_mov_b32_e32 v4, v27
	v_mov_b32_e32 v7, v5
	s_waitcnt lgkmcnt(0)
	v_pk_mul_f32 v[4:5], v[12:13], v[4:5] op_sel_hi:[1,0]
	v_pk_add_f32 v[2:3], v[2:3], v[6:7]
	v_pk_fma_f32 v[6:7], v[12:13], v[26:27], v[4:5] op_sel:[0,0,1] op_sel_hi:[1,1,0] neg_lo:[0,0,1] neg_hi:[0,0,1]
	v_pk_fma_f32 v[4:5], v[12:13], v[26:27], v[4:5] op_sel:[0,0,1] op_sel_hi:[1,0,0]
	s_waitcnt vmcnt(0)
	v_mov_b32_e32 v4, v29
	v_mov_b32_e32 v7, v5
	v_pk_mul_f32 v[4:5], v[14:15], v[4:5] op_sel_hi:[1,0]
	v_pk_add_f32 v[2:3], v[2:3], v[6:7]
	v_pk_fma_f32 v[6:7], v[14:15], v[28:29], v[4:5] op_sel:[0,0,1] op_sel_hi:[1,1,0] neg_lo:[0,0,1] neg_hi:[0,0,1]
	v_pk_fma_f32 v[4:5], v[14:15], v[28:29], v[4:5] op_sel:[0,0,1] op_sel_hi:[1,0,0]
	v_mov_b32_e32 v7, v5
	v_pk_add_f32 v[2:3], v[2:3], v[6:7]
	v_pk_add_f32 v[2:3], v[16:17], v[2:3] neg_lo:[0,1] neg_hi:[0,1]
	buffer_store_dword v2, off, s[0:3], 0 offset:304
	buffer_store_dword v3, off, s[0:3], 0 offset:308
	s_and_saveexec_b64 s[4:5], vcc
	s_cbranch_execz .LBB108_209
; %bb.208:
	buffer_load_dword v2, off, s[0:3], 0 offset:296
	buffer_load_dword v3, off, s[0:3], 0 offset:300
	v_mov_b32_e32 v4, 0
	buffer_store_dword v4, off, s[0:3], 0 offset:296
	buffer_store_dword v4, off, s[0:3], 0 offset:300
	s_waitcnt vmcnt(2)
	ds_write_b64 v1, v[2:3]
.LBB108_209:
	s_or_b64 exec, exec, s[4:5]
	s_waitcnt lgkmcnt(0)
	; wave barrier
	s_waitcnt lgkmcnt(0)
	buffer_load_dword v16, off, s[0:3], 0 offset:296
	buffer_load_dword v17, off, s[0:3], 0 offset:300
	;; [unrolled: 1-line block ×16, first 2 shown]
	v_mov_b32_e32 v2, 0
	ds_read_b128 v[4:7], v2 offset:672
	ds_read_b128 v[8:11], v2 offset:688
	;; [unrolled: 1-line block ×3, first 2 shown]
	ds_read_b64 v[32:33], v2 offset:720
	v_cmp_lt_u32_e32 vcc, 36, v0
	s_waitcnt vmcnt(12)
	v_mov_b32_e32 v34, v19
	s_waitcnt lgkmcnt(3)
	v_pk_mul_f32 v[34:35], v[4:5], v[34:35] op_sel_hi:[1,0]
	v_pk_fma_f32 v[36:37], v[4:5], v[18:19], v[34:35] op_sel:[0,0,1] op_sel_hi:[1,1,0] neg_lo:[0,0,1] neg_hi:[0,0,1]
	v_pk_fma_f32 v[4:5], v[4:5], v[18:19], v[34:35] op_sel:[0,0,1] op_sel_hi:[1,0,0]
	s_waitcnt vmcnt(10)
	v_mov_b32_e32 v18, v21
	v_pk_mul_f32 v[18:19], v[6:7], v[18:19] op_sel_hi:[1,0]
	v_pk_fma_f32 v[34:35], v[6:7], v[20:21], v[18:19] op_sel:[0,0,1] op_sel_hi:[1,1,0] neg_lo:[0,0,1] neg_hi:[0,0,1]
	v_pk_fma_f32 v[6:7], v[6:7], v[20:21], v[18:19] op_sel:[0,0,1] op_sel_hi:[1,0,0]
	s_waitcnt vmcnt(8)
	v_mov_b32_e32 v6, v23
	v_mov_b32_e32 v35, v7
	s_waitcnt lgkmcnt(2)
	v_pk_mul_f32 v[6:7], v[8:9], v[6:7] op_sel_hi:[1,0]
	v_pk_fma_f32 v[18:19], v[8:9], v[22:23], v[6:7] op_sel:[0,0,1] op_sel_hi:[1,1,0] neg_lo:[0,0,1] neg_hi:[0,0,1]
	v_pk_fma_f32 v[6:7], v[8:9], v[22:23], v[6:7] op_sel:[0,0,1] op_sel_hi:[1,0,0]
	s_waitcnt vmcnt(6)
	v_mov_b32_e32 v6, v25
	v_mov_b32_e32 v37, v5
	;; [unrolled: 1-line block ×3, first 2 shown]
	v_pk_mul_f32 v[6:7], v[10:11], v[6:7] op_sel_hi:[1,0]
	v_pk_add_f32 v[4:5], v[36:37], 0 op_sel_hi:[1,0]
	v_pk_fma_f32 v[8:9], v[10:11], v[24:25], v[6:7] op_sel:[0,0,1] op_sel_hi:[1,1,0] neg_lo:[0,0,1] neg_hi:[0,0,1]
	v_pk_fma_f32 v[6:7], v[10:11], v[24:25], v[6:7] op_sel:[0,0,1] op_sel_hi:[1,0,0]
	v_pk_add_f32 v[4:5], v[4:5], v[34:35]
	s_waitcnt vmcnt(4)
	v_mov_b32_e32 v6, v27
	v_pk_add_f32 v[4:5], v[4:5], v[18:19]
	v_mov_b32_e32 v9, v7
	s_waitcnt lgkmcnt(1)
	v_pk_mul_f32 v[6:7], v[12:13], v[6:7] op_sel_hi:[1,0]
	v_pk_add_f32 v[4:5], v[4:5], v[8:9]
	v_pk_fma_f32 v[8:9], v[12:13], v[26:27], v[6:7] op_sel:[0,0,1] op_sel_hi:[1,1,0] neg_lo:[0,0,1] neg_hi:[0,0,1]
	v_pk_fma_f32 v[6:7], v[12:13], v[26:27], v[6:7] op_sel:[0,0,1] op_sel_hi:[1,0,0]
	s_waitcnt vmcnt(2)
	v_mov_b32_e32 v6, v29
	v_mov_b32_e32 v9, v7
	v_pk_mul_f32 v[6:7], v[14:15], v[6:7] op_sel_hi:[1,0]
	v_pk_add_f32 v[4:5], v[4:5], v[8:9]
	v_pk_fma_f32 v[8:9], v[14:15], v[28:29], v[6:7] op_sel:[0,0,1] op_sel_hi:[1,1,0] neg_lo:[0,0,1] neg_hi:[0,0,1]
	v_pk_fma_f32 v[6:7], v[14:15], v[28:29], v[6:7] op_sel:[0,0,1] op_sel_hi:[1,0,0]
	s_waitcnt vmcnt(0)
	v_mov_b32_e32 v6, v31
	v_mov_b32_e32 v9, v7
	s_waitcnt lgkmcnt(0)
	v_pk_mul_f32 v[6:7], v[32:33], v[6:7] op_sel_hi:[1,0]
	v_pk_add_f32 v[4:5], v[4:5], v[8:9]
	v_pk_fma_f32 v[8:9], v[32:33], v[30:31], v[6:7] op_sel:[0,0,1] op_sel_hi:[1,1,0] neg_lo:[0,0,1] neg_hi:[0,0,1]
	v_pk_fma_f32 v[6:7], v[32:33], v[30:31], v[6:7] op_sel:[0,0,1] op_sel_hi:[1,0,0]
	v_mov_b32_e32 v9, v7
	v_pk_add_f32 v[4:5], v[4:5], v[8:9]
	v_pk_add_f32 v[4:5], v[16:17], v[4:5] neg_lo:[0,1] neg_hi:[0,1]
	buffer_store_dword v4, off, s[0:3], 0 offset:296
	buffer_store_dword v5, off, s[0:3], 0 offset:300
	s_and_saveexec_b64 s[4:5], vcc
	s_cbranch_execz .LBB108_211
; %bb.210:
	buffer_load_dword v4, off, s[0:3], 0 offset:288
	buffer_load_dword v5, off, s[0:3], 0 offset:292
	s_waitcnt vmcnt(0)
	ds_write_b64 v1, v[4:5]
	buffer_store_dword v2, off, s[0:3], 0 offset:288
	buffer_store_dword v2, off, s[0:3], 0 offset:292
.LBB108_211:
	s_or_b64 exec, exec, s[4:5]
	s_waitcnt lgkmcnt(0)
	; wave barrier
	s_waitcnt lgkmcnt(0)
	buffer_load_dword v21, off, s[0:3], 0 offset:300
	buffer_load_dword v23, off, s[0:3], 0 offset:308
	buffer_load_dword v25, off, s[0:3], 0 offset:316
	buffer_load_dword v27, off, s[0:3], 0 offset:324
	buffer_load_dword v29, off, s[0:3], 0 offset:332
	buffer_load_dword v31, off, s[0:3], 0 offset:340
	buffer_load_dword v33, off, s[0:3], 0 offset:348
	buffer_load_dword v35, off, s[0:3], 0 offset:356
	buffer_load_dword v20, off, s[0:3], 0 offset:296
	buffer_load_dword v22, off, s[0:3], 0 offset:304
	buffer_load_dword v24, off, s[0:3], 0 offset:312
	buffer_load_dword v26, off, s[0:3], 0 offset:320
	buffer_load_dword v28, off, s[0:3], 0 offset:328
	buffer_load_dword v30, off, s[0:3], 0 offset:336
	buffer_load_dword v32, off, s[0:3], 0 offset:344
	buffer_load_dword v34, off, s[0:3], 0 offset:352
	buffer_load_dword v36, off, s[0:3], 0 offset:288
	buffer_load_dword v37, off, s[0:3], 0 offset:292
	ds_read2_b64 v[4:7], v2 offset0:83 offset1:84
	ds_read2_b64 v[8:11], v2 offset0:85 offset1:86
	;; [unrolled: 1-line block ×4, first 2 shown]
	v_cmp_lt_u32_e32 vcc, 35, v0
	s_waitcnt vmcnt(17)
	v_mov_b32_e32 v2, v21
	s_waitcnt vmcnt(16)
	v_mov_b32_e32 v38, v23
	s_waitcnt lgkmcnt(3)
	v_pk_mul_f32 v[2:3], v[4:5], v[2:3] op_sel_hi:[1,0]
	s_waitcnt vmcnt(15)
	v_mov_b32_e32 v40, v25
	v_pk_mul_f32 v[38:39], v[6:7], v[38:39] op_sel_hi:[1,0]
	s_waitcnt vmcnt(14)
	v_mov_b32_e32 v42, v27
	s_waitcnt lgkmcnt(2)
	v_pk_mul_f32 v[40:41], v[8:9], v[40:41] op_sel_hi:[1,0]
	s_waitcnt vmcnt(13)
	v_mov_b32_e32 v44, v29
	s_waitcnt vmcnt(9)
	v_pk_fma_f32 v[52:53], v[4:5], v[20:21], v[2:3] op_sel:[0,0,1] op_sel_hi:[1,1,0] neg_lo:[0,0,1] neg_hi:[0,0,1]
	v_pk_fma_f32 v[2:3], v[4:5], v[20:21], v[2:3] op_sel:[0,0,1] op_sel_hi:[1,0,0]
	s_waitcnt vmcnt(8)
	v_pk_fma_f32 v[4:5], v[6:7], v[22:23], v[38:39] op_sel:[0,0,1] op_sel_hi:[1,1,0] neg_lo:[0,0,1] neg_hi:[0,0,1]
	v_pk_fma_f32 v[6:7], v[6:7], v[22:23], v[38:39] op_sel:[0,0,1] op_sel_hi:[1,0,0]
	v_mov_b32_e32 v53, v3
	v_pk_mul_f32 v[42:43], v[10:11], v[42:43] op_sel_hi:[1,0]
	s_waitcnt vmcnt(7)
	v_pk_fma_f32 v[20:21], v[8:9], v[24:25], v[40:41] op_sel:[0,0,1] op_sel_hi:[1,1,0] neg_lo:[0,0,1] neg_hi:[0,0,1]
	v_pk_fma_f32 v[8:9], v[8:9], v[24:25], v[40:41] op_sel:[0,0,1] op_sel_hi:[1,0,0]
	v_mov_b32_e32 v5, v7
	v_pk_add_f32 v[2:3], v[52:53], 0 op_sel_hi:[1,0]
	v_mov_b32_e32 v46, v31
	s_waitcnt lgkmcnt(1)
	v_pk_mul_f32 v[44:45], v[12:13], v[44:45] op_sel_hi:[1,0]
	s_waitcnt vmcnt(6)
	v_pk_fma_f32 v[22:23], v[10:11], v[26:27], v[42:43] op_sel:[0,0,1] op_sel_hi:[1,1,0] neg_lo:[0,0,1] neg_hi:[0,0,1]
	v_pk_fma_f32 v[10:11], v[10:11], v[26:27], v[42:43] op_sel:[0,0,1] op_sel_hi:[1,0,0]
	v_mov_b32_e32 v21, v9
	v_pk_add_f32 v[2:3], v[2:3], v[4:5]
	v_mov_b32_e32 v48, v33
	v_pk_mul_f32 v[46:47], v[14:15], v[46:47] op_sel_hi:[1,0]
	s_waitcnt vmcnt(5)
	v_pk_fma_f32 v[24:25], v[12:13], v[28:29], v[44:45] op_sel:[0,0,1] op_sel_hi:[1,1,0] neg_lo:[0,0,1] neg_hi:[0,0,1]
	v_pk_fma_f32 v[12:13], v[12:13], v[28:29], v[44:45] op_sel:[0,0,1] op_sel_hi:[1,0,0]
	v_mov_b32_e32 v23, v11
	v_pk_add_f32 v[2:3], v[2:3], v[20:21]
	v_mov_b32_e32 v50, v35
	s_waitcnt lgkmcnt(0)
	v_pk_mul_f32 v[48:49], v[16:17], v[48:49] op_sel_hi:[1,0]
	s_waitcnt vmcnt(4)
	v_pk_fma_f32 v[26:27], v[14:15], v[30:31], v[46:47] op_sel:[0,0,1] op_sel_hi:[1,1,0] neg_lo:[0,0,1] neg_hi:[0,0,1]
	v_pk_fma_f32 v[14:15], v[14:15], v[30:31], v[46:47] op_sel:[0,0,1] op_sel_hi:[1,0,0]
	v_mov_b32_e32 v25, v13
	v_pk_add_f32 v[2:3], v[2:3], v[22:23]
	v_pk_mul_f32 v[50:51], v[18:19], v[50:51] op_sel_hi:[1,0]
	s_waitcnt vmcnt(3)
	v_pk_fma_f32 v[28:29], v[16:17], v[32:33], v[48:49] op_sel:[0,0,1] op_sel_hi:[1,1,0] neg_lo:[0,0,1] neg_hi:[0,0,1]
	v_pk_fma_f32 v[16:17], v[16:17], v[32:33], v[48:49] op_sel:[0,0,1] op_sel_hi:[1,0,0]
	v_mov_b32_e32 v27, v15
	v_pk_add_f32 v[2:3], v[2:3], v[24:25]
	s_waitcnt vmcnt(2)
	v_pk_fma_f32 v[30:31], v[18:19], v[34:35], v[50:51] op_sel:[0,0,1] op_sel_hi:[1,1,0] neg_lo:[0,0,1] neg_hi:[0,0,1]
	v_pk_fma_f32 v[18:19], v[18:19], v[34:35], v[50:51] op_sel:[0,0,1] op_sel_hi:[1,0,0]
	v_mov_b32_e32 v29, v17
	v_pk_add_f32 v[2:3], v[2:3], v[26:27]
	v_mov_b32_e32 v31, v19
	v_pk_add_f32 v[2:3], v[2:3], v[28:29]
	v_pk_add_f32 v[2:3], v[2:3], v[30:31]
	s_waitcnt vmcnt(0)
	v_pk_add_f32 v[2:3], v[36:37], v[2:3] neg_lo:[0,1] neg_hi:[0,1]
	buffer_store_dword v2, off, s[0:3], 0 offset:288
	buffer_store_dword v3, off, s[0:3], 0 offset:292
	s_and_saveexec_b64 s[4:5], vcc
	s_cbranch_execz .LBB108_213
; %bb.212:
	buffer_load_dword v2, off, s[0:3], 0 offset:280
	buffer_load_dword v3, off, s[0:3], 0 offset:284
	v_mov_b32_e32 v4, 0
	buffer_store_dword v4, off, s[0:3], 0 offset:280
	buffer_store_dword v4, off, s[0:3], 0 offset:284
	s_waitcnt vmcnt(2)
	ds_write_b64 v1, v[2:3]
.LBB108_213:
	s_or_b64 exec, exec, s[4:5]
	s_waitcnt lgkmcnt(0)
	; wave barrier
	s_waitcnt lgkmcnt(0)
	buffer_load_dword v3, off, s[0:3], 0 offset:292
	buffer_load_dword v21, off, s[0:3], 0 offset:300
	;; [unrolled: 1-line block ×20, first 2 shown]
	v_mov_b32_e32 v2, 0
	ds_read_b128 v[4:7], v2 offset:656
	ds_read_b128 v[8:11], v2 offset:672
	;; [unrolled: 1-line block ×4, first 2 shown]
	ds_read_b64 v[38:39], v2 offset:720
	v_cmp_lt_u32_e32 vcc, 34, v0
	s_waitcnt vmcnt(19) lgkmcnt(4)
	v_mul_f32_e32 v41, v4, v3
	v_mul_f32_e32 v3, v5, v3
	s_waitcnt vmcnt(18)
	v_mov_b32_e32 v42, v21
	s_waitcnt vmcnt(17)
	v_mov_b32_e32 v44, v23
	;; [unrolled: 2-line block ×8, first 2 shown]
	s_waitcnt vmcnt(10)
	v_fmac_f32_e32 v41, v5, v40
	v_fma_f32 v40, v4, v40, -v3
	v_pk_mul_f32 v[4:5], v[6:7], v[42:43] op_sel_hi:[1,0]
	s_waitcnt lgkmcnt(3)
	v_pk_mul_f32 v[42:43], v[8:9], v[44:45] op_sel_hi:[1,0]
	v_pk_mul_f32 v[44:45], v[10:11], v[46:47] op_sel_hi:[1,0]
	s_waitcnt lgkmcnt(2)
	v_pk_mul_f32 v[46:47], v[12:13], v[48:49] op_sel_hi:[1,0]
	;; [unrolled: 3-line block ×4, first 2 shown]
	s_waitcnt vmcnt(9)
	v_pk_fma_f32 v[56:57], v[6:7], v[20:21], v[4:5] op_sel:[0,0,1] op_sel_hi:[1,1,0] neg_lo:[0,0,1] neg_hi:[0,0,1]
	v_pk_fma_f32 v[4:5], v[6:7], v[20:21], v[4:5] op_sel:[0,0,1] op_sel_hi:[1,0,0]
	v_pk_add_f32 v[40:41], v[40:41], 0 op_sel_hi:[1,0]
	s_waitcnt vmcnt(8)
	v_pk_fma_f32 v[6:7], v[8:9], v[22:23], v[42:43] op_sel:[0,0,1] op_sel_hi:[1,1,0] neg_lo:[0,0,1] neg_hi:[0,0,1]
	v_pk_fma_f32 v[8:9], v[8:9], v[22:23], v[42:43] op_sel:[0,0,1] op_sel_hi:[1,0,0]
	v_mov_b32_e32 v57, v5
	s_waitcnt vmcnt(7)
	v_pk_fma_f32 v[20:21], v[10:11], v[24:25], v[44:45] op_sel:[0,0,1] op_sel_hi:[1,1,0] neg_lo:[0,0,1] neg_hi:[0,0,1]
	v_pk_fma_f32 v[10:11], v[10:11], v[24:25], v[44:45] op_sel:[0,0,1] op_sel_hi:[1,0,0]
	v_mov_b32_e32 v7, v9
	v_pk_add_f32 v[4:5], v[40:41], v[56:57]
	s_waitcnt vmcnt(6)
	v_pk_fma_f32 v[22:23], v[12:13], v[26:27], v[46:47] op_sel:[0,0,1] op_sel_hi:[1,1,0] neg_lo:[0,0,1] neg_hi:[0,0,1]
	v_pk_fma_f32 v[12:13], v[12:13], v[26:27], v[46:47] op_sel:[0,0,1] op_sel_hi:[1,0,0]
	v_mov_b32_e32 v21, v11
	v_pk_add_f32 v[4:5], v[4:5], v[6:7]
	;; [unrolled: 5-line block ×5, first 2 shown]
	v_pk_fma_f32 v[30:31], v[38:39], v[34:35], v[54:55] op_sel:[0,0,1] op_sel_hi:[1,1,0] neg_lo:[0,0,1] neg_hi:[0,0,1]
	v_pk_fma_f32 v[32:33], v[38:39], v[34:35], v[54:55] op_sel:[0,0,1] op_sel_hi:[1,0,0]
	v_mov_b32_e32 v29, v19
	v_pk_add_f32 v[4:5], v[4:5], v[26:27]
	v_mov_b32_e32 v31, v33
	v_pk_add_f32 v[4:5], v[4:5], v[28:29]
	v_pk_add_f32 v[4:5], v[4:5], v[30:31]
	s_waitcnt vmcnt(0)
	v_pk_add_f32 v[4:5], v[36:37], v[4:5] neg_lo:[0,1] neg_hi:[0,1]
	buffer_store_dword v4, off, s[0:3], 0 offset:280
	buffer_store_dword v5, off, s[0:3], 0 offset:284
	s_and_saveexec_b64 s[4:5], vcc
	s_cbranch_execz .LBB108_215
; %bb.214:
	buffer_load_dword v4, off, s[0:3], 0 offset:272
	buffer_load_dword v5, off, s[0:3], 0 offset:276
	s_waitcnt vmcnt(0)
	ds_write_b64 v1, v[4:5]
	buffer_store_dword v2, off, s[0:3], 0 offset:272
	buffer_store_dword v2, off, s[0:3], 0 offset:276
.LBB108_215:
	s_or_b64 exec, exec, s[4:5]
	s_waitcnt lgkmcnt(0)
	; wave barrier
	s_waitcnt lgkmcnt(0)
	buffer_load_dword v42, off, s[0:3], 0 offset:284
	buffer_load_dword v44, off, s[0:3], 0 offset:292
	;; [unrolled: 1-line block ×22, first 2 shown]
	ds_read2_b64 v[4:7], v2 offset0:81 offset1:82
	ds_read2_b64 v[8:11], v2 offset0:83 offset1:84
	;; [unrolled: 1-line block ×5, first 2 shown]
	v_cmp_lt_u32_e32 vcc, 33, v0
	s_waitcnt vmcnt(21) lgkmcnt(4)
	v_mul_f32_e32 v3, v4, v42
	s_waitcnt vmcnt(20)
	v_mul_f32_e32 v43, v6, v44
	v_mul_f32_e32 v2, v5, v42
	;; [unrolled: 1-line block ×3, first 2 shown]
	s_waitcnt vmcnt(19)
	v_mov_b32_e32 v44, v25
	s_waitcnt vmcnt(18)
	v_mov_b32_e32 v46, v27
	;; [unrolled: 2-line block ×5, first 2 shown]
	v_mov_b32_e32 v50, v31
	s_waitcnt vmcnt(11)
	v_fmac_f32_e32 v3, v5, v45
	v_fma_f32 v2, v4, v45, -v2
	s_waitcnt lgkmcnt(3)
	v_pk_mul_f32 v[4:5], v[8:9], v[44:45] op_sel_hi:[1,0]
	s_waitcnt vmcnt(10)
	v_fmac_f32_e32 v43, v7, v47
	v_fma_f32 v42, v6, v47, -v42
	v_pk_mul_f32 v[6:7], v[10:11], v[46:47] op_sel_hi:[1,0]
	s_waitcnt lgkmcnt(2)
	v_pk_mul_f32 v[44:45], v[12:13], v[48:49] op_sel_hi:[1,0]
	s_waitcnt lgkmcnt(1)
	;; [unrolled: 2-line block ×3, first 2 shown]
	v_pk_mul_f32 v[52:53], v[20:21], v[56:57] op_sel_hi:[1,0]
	v_pk_add_f32 v[2:3], v[2:3], 0 op_sel_hi:[1,0]
	s_waitcnt vmcnt(9)
	v_pk_fma_f32 v[56:57], v[8:9], v[24:25], v[4:5] op_sel:[0,0,1] op_sel_hi:[1,1,0] neg_lo:[0,0,1] neg_hi:[0,0,1]
	v_pk_fma_f32 v[4:5], v[8:9], v[24:25], v[4:5] op_sel:[0,0,1] op_sel_hi:[1,0,0]
	s_waitcnt vmcnt(8)
	v_pk_fma_f32 v[8:9], v[10:11], v[26:27], v[6:7] op_sel:[0,0,1] op_sel_hi:[1,1,0] neg_lo:[0,0,1] neg_hi:[0,0,1]
	v_pk_fma_f32 v[6:7], v[10:11], v[26:27], v[6:7] op_sel:[0,0,1] op_sel_hi:[1,0,0]
	v_pk_add_f32 v[2:3], v[2:3], v[42:43]
	v_mov_b32_e32 v57, v5
	v_pk_mul_f32 v[46:47], v[14:15], v[50:51] op_sel_hi:[1,0]
	s_waitcnt vmcnt(7)
	v_pk_fma_f32 v[10:11], v[12:13], v[28:29], v[44:45] op_sel:[0,0,1] op_sel_hi:[1,1,0] neg_lo:[0,0,1] neg_hi:[0,0,1]
	v_pk_fma_f32 v[12:13], v[12:13], v[28:29], v[44:45] op_sel:[0,0,1] op_sel_hi:[1,0,0]
	v_mov_b32_e32 v9, v7
	v_pk_add_f32 v[2:3], v[2:3], v[56:57]
	v_mov_b32_e32 v54, v35
	s_waitcnt vmcnt(6)
	v_pk_fma_f32 v[24:25], v[14:15], v[30:31], v[46:47] op_sel:[0,0,1] op_sel_hi:[1,1,0] neg_lo:[0,0,1] neg_hi:[0,0,1]
	v_pk_fma_f32 v[14:15], v[14:15], v[30:31], v[46:47] op_sel:[0,0,1] op_sel_hi:[1,0,0]
	v_mov_b32_e32 v11, v13
	v_pk_add_f32 v[2:3], v[2:3], v[8:9]
	v_pk_mul_f32 v[50:51], v[18:19], v[54:55] op_sel_hi:[1,0]
	s_waitcnt vmcnt(5)
	v_pk_fma_f32 v[26:27], v[16:17], v[32:33], v[48:49] op_sel:[0,0,1] op_sel_hi:[1,1,0] neg_lo:[0,0,1] neg_hi:[0,0,1]
	v_pk_fma_f32 v[16:17], v[16:17], v[32:33], v[48:49] op_sel:[0,0,1] op_sel_hi:[1,0,0]
	v_mov_b32_e32 v25, v15
	v_pk_add_f32 v[2:3], v[2:3], v[10:11]
	v_mov_b32_e32 v58, v39
	s_waitcnt vmcnt(2)
	v_pk_fma_f32 v[28:29], v[18:19], v[34:35], v[50:51] op_sel:[0,0,1] op_sel_hi:[1,1,0] neg_lo:[0,0,1] neg_hi:[0,0,1]
	v_pk_fma_f32 v[18:19], v[18:19], v[34:35], v[50:51] op_sel:[0,0,1] op_sel_hi:[1,0,0]
	v_mov_b32_e32 v27, v17
	v_pk_add_f32 v[2:3], v[2:3], v[24:25]
	v_pk_mul_f32 v[54:55], v[22:23], v[58:59] op_sel_hi:[1,0]
	v_pk_fma_f32 v[30:31], v[20:21], v[36:37], v[52:53] op_sel:[0,0,1] op_sel_hi:[1,1,0] neg_lo:[0,0,1] neg_hi:[0,0,1]
	v_pk_fma_f32 v[20:21], v[20:21], v[36:37], v[52:53] op_sel:[0,0,1] op_sel_hi:[1,0,0]
	v_mov_b32_e32 v29, v19
	v_pk_add_f32 v[2:3], v[2:3], v[26:27]
	v_pk_fma_f32 v[32:33], v[22:23], v[38:39], v[54:55] op_sel:[0,0,1] op_sel_hi:[1,1,0] neg_lo:[0,0,1] neg_hi:[0,0,1]
	v_pk_fma_f32 v[22:23], v[22:23], v[38:39], v[54:55] op_sel:[0,0,1] op_sel_hi:[1,0,0]
	v_mov_b32_e32 v31, v21
	v_pk_add_f32 v[2:3], v[2:3], v[28:29]
	v_mov_b32_e32 v33, v23
	v_pk_add_f32 v[2:3], v[2:3], v[30:31]
	v_pk_add_f32 v[2:3], v[2:3], v[32:33]
	s_waitcnt vmcnt(0)
	v_pk_add_f32 v[2:3], v[40:41], v[2:3] neg_lo:[0,1] neg_hi:[0,1]
	buffer_store_dword v2, off, s[0:3], 0 offset:272
	buffer_store_dword v3, off, s[0:3], 0 offset:276
	s_and_saveexec_b64 s[4:5], vcc
	s_cbranch_execz .LBB108_217
; %bb.216:
	buffer_load_dword v2, off, s[0:3], 0 offset:264
	buffer_load_dword v3, off, s[0:3], 0 offset:268
	v_mov_b32_e32 v4, 0
	buffer_store_dword v4, off, s[0:3], 0 offset:264
	buffer_store_dword v4, off, s[0:3], 0 offset:268
	s_waitcnt vmcnt(2)
	ds_write_b64 v1, v[2:3]
.LBB108_217:
	s_or_b64 exec, exec, s[4:5]
	s_waitcnt lgkmcnt(0)
	; wave barrier
	s_waitcnt lgkmcnt(0)
	buffer_load_dword v3, off, s[0:3], 0 offset:276
	buffer_load_dword v44, off, s[0:3], 0 offset:284
	buffer_load_dword v46, off, s[0:3], 0 offset:292
	buffer_load_dword v25, off, s[0:3], 0 offset:300
	buffer_load_dword v27, off, s[0:3], 0 offset:308
	buffer_load_dword v29, off, s[0:3], 0 offset:316
	buffer_load_dword v31, off, s[0:3], 0 offset:324
	buffer_load_dword v33, off, s[0:3], 0 offset:332
	buffer_load_dword v35, off, s[0:3], 0 offset:340
	buffer_load_dword v37, off, s[0:3], 0 offset:348
	buffer_load_dword v39, off, s[0:3], 0 offset:356
	buffer_load_dword v49, off, s[0:3], 0 offset:272
	buffer_load_dword v51, off, s[0:3], 0 offset:280
	buffer_load_dword v53, off, s[0:3], 0 offset:288
	buffer_load_dword v24, off, s[0:3], 0 offset:296
	buffer_load_dword v26, off, s[0:3], 0 offset:304
	buffer_load_dword v28, off, s[0:3], 0 offset:312
	buffer_load_dword v30, off, s[0:3], 0 offset:320
	buffer_load_dword v38, off, s[0:3], 0 offset:352
	buffer_load_dword v36, off, s[0:3], 0 offset:344
	buffer_load_dword v34, off, s[0:3], 0 offset:336
	buffer_load_dword v32, off, s[0:3], 0 offset:328
	buffer_load_dword v40, off, s[0:3], 0 offset:264
	buffer_load_dword v41, off, s[0:3], 0 offset:268
	v_mov_b32_e32 v2, 0
	ds_read_b128 v[4:7], v2 offset:640
	ds_read_b128 v[8:11], v2 offset:656
	;; [unrolled: 1-line block ×5, first 2 shown]
	ds_read_b64 v[42:43], v2 offset:720
	v_cmp_lt_u32_e32 vcc, 32, v0
	s_waitcnt vmcnt(23) lgkmcnt(5)
	v_mul_f32_e32 v57, v4, v3
	v_mul_f32_e32 v3, v5, v3
	s_waitcnt vmcnt(22)
	v_mul_f32_e32 v45, v6, v44
	s_waitcnt vmcnt(21) lgkmcnt(4)
	v_mul_f32_e32 v47, v8, v46
	v_mul_f32_e32 v44, v7, v44
	;; [unrolled: 1-line block ×3, first 2 shown]
	s_waitcnt vmcnt(20)
	v_mov_b32_e32 v48, v25
	s_waitcnt vmcnt(19)
	v_mov_b32_e32 v50, v27
	;; [unrolled: 2-line block ×5, first 2 shown]
	s_waitcnt vmcnt(12)
	v_fmac_f32_e32 v57, v5, v49
	v_fma_f32 v3, v4, v49, -v3
	v_mov_b32_e32 v58, v35
	s_waitcnt vmcnt(11)
	v_fmac_f32_e32 v45, v7, v51
	s_waitcnt vmcnt(10)
	v_fmac_f32_e32 v47, v9, v53
	v_fma_f32 v44, v6, v51, -v44
	v_fma_f32 v46, v8, v53, -v46
	v_pk_mul_f32 v[4:5], v[10:11], v[48:49] op_sel_hi:[1,0]
	s_waitcnt lgkmcnt(3)
	v_pk_mul_f32 v[6:7], v[12:13], v[50:51] op_sel_hi:[1,0]
	v_pk_mul_f32 v[8:9], v[14:15], v[52:53] op_sel_hi:[1,0]
	s_waitcnt lgkmcnt(2)
	v_pk_mul_f32 v[48:49], v[16:17], v[54:55] op_sel_hi:[1,0]
	v_pk_mul_f32 v[50:51], v[18:19], v[56:57] op_sel_hi:[1,0]
	v_add_f32_e32 v57, 0, v57
	v_add_f32_e32 v56, 0, v3
	s_waitcnt lgkmcnt(1)
	v_pk_mul_f32 v[52:53], v[20:21], v[58:59] op_sel_hi:[1,0]
	s_waitcnt vmcnt(9)
	v_pk_fma_f32 v[58:59], v[10:11], v[24:25], v[4:5] op_sel:[0,0,1] op_sel_hi:[1,1,0] neg_lo:[0,0,1] neg_hi:[0,0,1]
	v_pk_fma_f32 v[4:5], v[10:11], v[24:25], v[4:5] op_sel:[0,0,1] op_sel_hi:[1,0,0]
	s_waitcnt vmcnt(8)
	v_pk_fma_f32 v[10:11], v[12:13], v[26:27], v[6:7] op_sel:[0,0,1] op_sel_hi:[1,1,0] neg_lo:[0,0,1] neg_hi:[0,0,1]
	v_pk_fma_f32 v[6:7], v[12:13], v[26:27], v[6:7] op_sel:[0,0,1] op_sel_hi:[1,0,0]
	;; [unrolled: 3-line block ×4, first 2 shown]
	v_pk_add_f32 v[30:31], v[56:57], v[44:45]
	v_mov_b32_e32 v59, v5
	v_pk_add_f32 v[4:5], v[30:31], v[46:47]
	v_mov_b32_e32 v11, v7
	;; [unrolled: 2-line block ×4, first 2 shown]
	s_waitcnt vmcnt(2)
	v_pk_fma_f32 v[24:25], v[18:19], v[32:33], v[50:51] op_sel:[0,0,1] op_sel_hi:[1,1,0] neg_lo:[0,0,1] neg_hi:[0,0,1]
	v_pk_fma_f32 v[18:19], v[18:19], v[32:33], v[50:51] op_sel:[0,0,1] op_sel_hi:[1,0,0]
	v_mov_b32_e32 v15, v17
	v_pk_add_f32 v[4:5], v[4:5], v[12:13]
	v_mov_b32_e32 v62, v39
	v_pk_mul_f32 v[54:55], v[22:23], v[60:61] op_sel_hi:[1,0]
	v_pk_fma_f32 v[26:27], v[20:21], v[34:35], v[52:53] op_sel:[0,0,1] op_sel_hi:[1,1,0] neg_lo:[0,0,1] neg_hi:[0,0,1]
	v_pk_fma_f32 v[20:21], v[20:21], v[34:35], v[52:53] op_sel:[0,0,1] op_sel_hi:[1,0,0]
	v_mov_b32_e32 v25, v19
	v_pk_add_f32 v[4:5], v[4:5], v[14:15]
	v_pk_fma_f32 v[28:29], v[22:23], v[36:37], v[54:55] op_sel:[0,0,1] op_sel_hi:[1,1,0] neg_lo:[0,0,1] neg_hi:[0,0,1]
	v_pk_fma_f32 v[22:23], v[22:23], v[36:37], v[54:55] op_sel:[0,0,1] op_sel_hi:[1,0,0]
	v_mov_b32_e32 v27, v21
	v_pk_add_f32 v[4:5], v[4:5], v[24:25]
	s_waitcnt lgkmcnt(0)
	v_pk_mul_f32 v[6:7], v[42:43], v[62:63] op_sel_hi:[1,0]
	v_mov_b32_e32 v29, v23
	v_pk_add_f32 v[4:5], v[4:5], v[26:27]
	v_pk_fma_f32 v[8:9], v[42:43], v[38:39], v[6:7] op_sel:[0,0,1] op_sel_hi:[1,1,0] neg_lo:[0,0,1] neg_hi:[0,0,1]
	v_pk_fma_f32 v[6:7], v[42:43], v[38:39], v[6:7] op_sel:[0,0,1] op_sel_hi:[1,0,0]
	v_pk_add_f32 v[4:5], v[4:5], v[28:29]
	v_mov_b32_e32 v9, v7
	v_pk_add_f32 v[4:5], v[4:5], v[8:9]
	s_waitcnt vmcnt(0)
	v_pk_add_f32 v[4:5], v[40:41], v[4:5] neg_lo:[0,1] neg_hi:[0,1]
	buffer_store_dword v5, off, s[0:3], 0 offset:268
	buffer_store_dword v4, off, s[0:3], 0 offset:264
	s_and_saveexec_b64 s[4:5], vcc
	s_cbranch_execz .LBB108_219
; %bb.218:
	buffer_load_dword v4, off, s[0:3], 0 offset:256
	buffer_load_dword v5, off, s[0:3], 0 offset:260
	s_waitcnt vmcnt(0)
	ds_write_b64 v1, v[4:5]
	buffer_store_dword v2, off, s[0:3], 0 offset:256
	buffer_store_dword v2, off, s[0:3], 0 offset:260
.LBB108_219:
	s_or_b64 exec, exec, s[4:5]
	s_waitcnt lgkmcnt(0)
	; wave barrier
	s_waitcnt lgkmcnt(0)
	buffer_load_dword v46, off, s[0:3], 0 offset:268
	buffer_load_dword v48, off, s[0:3], 0 offset:276
	;; [unrolled: 1-line block ×26, first 2 shown]
	ds_read2_b64 v[4:7], v2 offset0:79 offset1:80
	ds_read2_b64 v[8:11], v2 offset0:81 offset1:82
	;; [unrolled: 1-line block ×6, first 2 shown]
	v_cmp_lt_u32_e32 vcc, 31, v0
	s_waitcnt vmcnt(25) lgkmcnt(5)
	v_mul_f32_e32 v59, v4, v46
	v_mul_f32_e32 v2, v5, v46
	s_waitcnt vmcnt(24)
	v_mul_f32_e32 v60, v6, v48
	s_waitcnt vmcnt(23) lgkmcnt(4)
	v_mul_f32_e32 v3, v8, v49
	s_waitcnt vmcnt(22)
	v_mul_f32_e32 v47, v10, v50
	v_mul_f32_e32 v46, v7, v48
	;; [unrolled: 1-line block ×4, first 2 shown]
	s_waitcnt vmcnt(21)
	v_mov_b32_e32 v48, v29
	s_waitcnt vmcnt(20)
	v_mov_b32_e32 v50, v31
	;; [unrolled: 2-line block ×3, first 2 shown]
	s_waitcnt vmcnt(15)
	v_fmac_f32_e32 v59, v5, v51
	v_fma_f32 v62, v4, v51, -v2
	v_mov_b32_e32 v52, v33
	s_waitcnt vmcnt(14)
	v_fmac_f32_e32 v60, v7, v53
	s_waitcnt vmcnt(13)
	v_fmac_f32_e32 v3, v9, v55
	;; [unrolled: 2-line block ×3, first 2 shown]
	v_fma_f32 v63, v6, v53, -v46
	v_fma_f32 v2, v8, v55, -v49
	;; [unrolled: 1-line block ×3, first 2 shown]
	s_waitcnt lgkmcnt(3)
	v_pk_mul_f32 v[4:5], v[12:13], v[48:49] op_sel_hi:[1,0]
	v_pk_mul_f32 v[6:7], v[14:15], v[50:51] op_sel_hi:[1,0]
	s_waitcnt lgkmcnt(2)
	v_pk_mul_f32 v[10:11], v[18:19], v[54:55] op_sel_hi:[1,0]
	v_add_f32_e32 v54, 0, v59
	v_add_f32_e32 v55, 0, v62
	v_pk_mul_f32 v[8:9], v[16:17], v[52:53] op_sel_hi:[1,0]
	s_waitcnt vmcnt(11)
	v_pk_fma_f32 v[52:53], v[12:13], v[28:29], v[4:5] op_sel:[0,0,1] op_sel_hi:[1,1,0] neg_lo:[0,0,1] neg_hi:[0,0,1]
	v_pk_fma_f32 v[4:5], v[12:13], v[28:29], v[4:5] op_sel:[0,0,1] op_sel_hi:[1,0,0]
	s_waitcnt vmcnt(10)
	v_pk_fma_f32 v[12:13], v[14:15], v[30:31], v[6:7] op_sel:[0,0,1] op_sel_hi:[1,1,0] neg_lo:[0,0,1] neg_hi:[0,0,1]
	v_pk_fma_f32 v[6:7], v[14:15], v[30:31], v[6:7] op_sel:[0,0,1] op_sel_hi:[1,0,0]
	v_add_f32_e32 v31, v54, v60
	v_add_f32_e32 v30, v55, v63
	v_pk_add_f32 v[2:3], v[30:31], v[2:3]
	v_mov_b32_e32 v53, v5
	v_pk_add_f32 v[2:3], v[2:3], v[46:47]
	v_mov_b32_e32 v56, v37
	s_waitcnt vmcnt(9)
	v_pk_fma_f32 v[14:15], v[16:17], v[32:33], v[8:9] op_sel:[0,0,1] op_sel_hi:[1,1,0] neg_lo:[0,0,1] neg_hi:[0,0,1]
	v_pk_fma_f32 v[8:9], v[16:17], v[32:33], v[8:9] op_sel:[0,0,1] op_sel_hi:[1,0,0]
	v_mov_b32_e32 v13, v7
	v_pk_add_f32 v[2:3], v[2:3], v[52:53]
	v_mov_b32_e32 v58, v39
	s_waitcnt lgkmcnt(1)
	v_pk_mul_f32 v[48:49], v[20:21], v[56:57] op_sel_hi:[1,0]
	s_waitcnt vmcnt(5)
	v_pk_fma_f32 v[16:17], v[18:19], v[34:35], v[10:11] op_sel:[0,0,1] op_sel_hi:[1,1,0] neg_lo:[0,0,1] neg_hi:[0,0,1]
	v_pk_fma_f32 v[10:11], v[18:19], v[34:35], v[10:11] op_sel:[0,0,1] op_sel_hi:[1,0,0]
	v_mov_b32_e32 v15, v9
	v_pk_add_f32 v[2:3], v[2:3], v[12:13]
	s_waitcnt vmcnt(4)
	v_mov_b32_e32 v4, v41
	v_pk_mul_f32 v[50:51], v[22:23], v[58:59] op_sel_hi:[1,0]
	v_pk_fma_f32 v[18:19], v[20:21], v[36:37], v[48:49] op_sel:[0,0,1] op_sel_hi:[1,1,0] neg_lo:[0,0,1] neg_hi:[0,0,1]
	v_pk_fma_f32 v[20:21], v[20:21], v[36:37], v[48:49] op_sel:[0,0,1] op_sel_hi:[1,0,0]
	v_mov_b32_e32 v17, v11
	v_pk_add_f32 v[2:3], v[2:3], v[14:15]
	s_waitcnt lgkmcnt(0)
	v_pk_mul_f32 v[4:5], v[24:25], v[4:5] op_sel_hi:[1,0]
	v_pk_fma_f32 v[28:29], v[22:23], v[38:39], v[50:51] op_sel:[0,0,1] op_sel_hi:[1,1,0] neg_lo:[0,0,1] neg_hi:[0,0,1]
	v_pk_fma_f32 v[22:23], v[22:23], v[38:39], v[50:51] op_sel:[0,0,1] op_sel_hi:[1,0,0]
	v_mov_b32_e32 v19, v21
	v_pk_add_f32 v[2:3], v[2:3], v[16:17]
	v_pk_fma_f32 v[6:7], v[24:25], v[40:41], v[4:5] op_sel:[0,0,1] op_sel_hi:[1,1,0] neg_lo:[0,0,1] neg_hi:[0,0,1]
	v_pk_fma_f32 v[4:5], v[24:25], v[40:41], v[4:5] op_sel:[0,0,1] op_sel_hi:[1,0,0]
	v_mov_b32_e32 v29, v23
	v_pk_add_f32 v[2:3], v[2:3], v[18:19]
	s_waitcnt vmcnt(3)
	v_mov_b32_e32 v4, v43
	v_pk_add_f32 v[2:3], v[2:3], v[28:29]
	v_mov_b32_e32 v7, v5
	v_pk_mul_f32 v[4:5], v[26:27], v[4:5] op_sel_hi:[1,0]
	v_pk_add_f32 v[2:3], v[2:3], v[6:7]
	s_waitcnt vmcnt(2)
	v_pk_fma_f32 v[6:7], v[26:27], v[42:43], v[4:5] op_sel:[0,0,1] op_sel_hi:[1,1,0] neg_lo:[0,0,1] neg_hi:[0,0,1]
	v_pk_fma_f32 v[4:5], v[26:27], v[42:43], v[4:5] op_sel:[0,0,1] op_sel_hi:[1,0,0]
	v_mov_b32_e32 v7, v5
	v_pk_add_f32 v[2:3], v[2:3], v[6:7]
	s_waitcnt vmcnt(0)
	v_pk_add_f32 v[2:3], v[44:45], v[2:3] neg_lo:[0,1] neg_hi:[0,1]
	buffer_store_dword v3, off, s[0:3], 0 offset:260
	buffer_store_dword v2, off, s[0:3], 0 offset:256
	s_and_saveexec_b64 s[4:5], vcc
	s_cbranch_execz .LBB108_221
; %bb.220:
	buffer_load_dword v2, off, s[0:3], 0 offset:248
	buffer_load_dword v3, off, s[0:3], 0 offset:252
	v_mov_b32_e32 v4, 0
	buffer_store_dword v4, off, s[0:3], 0 offset:248
	buffer_store_dword v4, off, s[0:3], 0 offset:252
	s_waitcnt vmcnt(2)
	ds_write_b64 v1, v[2:3]
.LBB108_221:
	s_or_b64 exec, exec, s[4:5]
	s_waitcnt lgkmcnt(0)
	; wave barrier
	s_waitcnt lgkmcnt(0)
	buffer_load_dword v3, off, s[0:3], 0 offset:260
	buffer_load_dword v48, off, s[0:3], 0 offset:268
	;; [unrolled: 1-line block ×28, first 2 shown]
	v_mov_b32_e32 v2, 0
	ds_read_b128 v[4:7], v2 offset:624
	ds_read_b128 v[8:11], v2 offset:640
	;; [unrolled: 1-line block ×6, first 2 shown]
	ds_read_b64 v[46:47], v2 offset:720
	v_cmp_lt_u32_e32 vcc, 30, v0
	s_waitcnt vmcnt(27) lgkmcnt(6)
	v_mul_f32_e32 v63, v4, v3
	v_mul_f32_e32 v3, v5, v3
	s_waitcnt vmcnt(26)
	v_mul_f32_e32 v64, v6, v48
	s_waitcnt vmcnt(24) lgkmcnt(5)
	v_mul_f32_e32 v49, v10, v52
	s_waitcnt vmcnt(23) lgkmcnt(4)
	v_mul_f32_e32 v51, v12, v53
	v_mul_f32_e32 v156, v11, v52
	;; [unrolled: 1-line block ×3, first 2 shown]
	s_waitcnt vmcnt(22)
	v_mov_b32_e32 v52, v29
	v_mul_f32_e32 v65, v8, v50
	v_mul_f32_e32 v48, v7, v48
	;; [unrolled: 1-line block ×3, first 2 shown]
	s_waitcnt vmcnt(17)
	v_fmac_f32_e32 v63, v5, v55
	v_fma_f32 v3, v4, v55, -v3
	v_pk_mul_f32 v[4:5], v[14:15], v[52:53] op_sel_hi:[1,0]
	s_waitcnt vmcnt(16)
	v_fmac_f32_e32 v64, v7, v57
	s_waitcnt vmcnt(13)
	v_fmac_f32_e32 v51, v13, v62
	v_fma_f32 v55, v6, v57, -v48
	v_fma_f32 v57, v8, v59, -v50
	;; [unrolled: 1-line block ×3, first 2 shown]
	v_add_f32_e32 v52, 0, v63
	v_add_f32_e32 v3, 0, v3
	s_waitcnt vmcnt(12)
	v_pk_fma_f32 v[12:13], v[14:15], v[28:29], v[4:5] op_sel:[0,0,1] op_sel_hi:[1,1,0] neg_lo:[0,0,1] neg_hi:[0,0,1]
	v_pk_fma_f32 v[4:5], v[14:15], v[28:29], v[4:5] op_sel:[0,0,1] op_sel_hi:[1,0,0]
	v_fmac_f32_e32 v65, v9, v59
	v_add_f32_e32 v4, v52, v64
	v_add_f32_e32 v3, v3, v55
	v_mov_b32_e32 v54, v31
	v_fmac_f32_e32 v49, v11, v61
	v_fma_f32 v48, v10, v61, -v156
	v_mov_b32_e32 v13, v5
	v_add_f32_e32 v5, v4, v65
	v_add_f32_e32 v4, v3, v57
	v_mov_b32_e32 v56, v33
	s_waitcnt lgkmcnt(3)
	v_pk_mul_f32 v[6:7], v[16:17], v[54:55] op_sel_hi:[1,0]
	v_pk_add_f32 v[4:5], v[4:5], v[48:49]
	v_mov_b32_e32 v58, v35
	v_mov_b32_e32 v60, v37
	v_pk_mul_f32 v[8:9], v[18:19], v[56:57] op_sel_hi:[1,0]
	s_waitcnt vmcnt(11)
	v_pk_fma_f32 v[14:15], v[16:17], v[30:31], v[6:7] op_sel:[0,0,1] op_sel_hi:[1,1,0] neg_lo:[0,0,1] neg_hi:[0,0,1]
	v_pk_fma_f32 v[6:7], v[16:17], v[30:31], v[6:7] op_sel:[0,0,1] op_sel_hi:[1,0,0]
	v_pk_add_f32 v[4:5], v[4:5], v[50:51]
	s_waitcnt lgkmcnt(2)
	v_pk_mul_f32 v[10:11], v[20:21], v[58:59] op_sel_hi:[1,0]
	s_waitcnt vmcnt(7)
	v_pk_fma_f32 v[16:17], v[18:19], v[32:33], v[8:9] op_sel:[0,0,1] op_sel_hi:[1,1,0] neg_lo:[0,0,1] neg_hi:[0,0,1]
	v_pk_fma_f32 v[8:9], v[18:19], v[32:33], v[8:9] op_sel:[0,0,1] op_sel_hi:[1,0,0]
	v_mov_b32_e32 v15, v7
	v_pk_add_f32 v[4:5], v[4:5], v[12:13]
	v_pk_mul_f32 v[6:7], v[22:23], v[60:61] op_sel_hi:[1,0]
	v_pk_fma_f32 v[18:19], v[20:21], v[34:35], v[10:11] op_sel:[0,0,1] op_sel_hi:[1,1,0] neg_lo:[0,0,1] neg_hi:[0,0,1]
	v_pk_fma_f32 v[10:11], v[20:21], v[34:35], v[10:11] op_sel:[0,0,1] op_sel_hi:[1,0,0]
	v_mov_b32_e32 v17, v9
	v_pk_add_f32 v[4:5], v[4:5], v[14:15]
	v_pk_fma_f32 v[8:9], v[22:23], v[36:37], v[6:7] op_sel:[0,0,1] op_sel_hi:[1,1,0] neg_lo:[0,0,1] neg_hi:[0,0,1]
	v_pk_fma_f32 v[6:7], v[22:23], v[36:37], v[6:7] op_sel:[0,0,1] op_sel_hi:[1,0,0]
	v_mov_b32_e32 v19, v11
	v_pk_add_f32 v[4:5], v[4:5], v[16:17]
	s_waitcnt vmcnt(6)
	v_mov_b32_e32 v6, v39
	v_pk_add_f32 v[4:5], v[4:5], v[18:19]
	v_mov_b32_e32 v9, v7
	s_waitcnt lgkmcnt(1)
	v_pk_mul_f32 v[6:7], v[24:25], v[6:7] op_sel_hi:[1,0]
	v_pk_add_f32 v[4:5], v[4:5], v[8:9]
	v_pk_fma_f32 v[8:9], v[24:25], v[38:39], v[6:7] op_sel:[0,0,1] op_sel_hi:[1,1,0] neg_lo:[0,0,1] neg_hi:[0,0,1]
	v_pk_fma_f32 v[6:7], v[24:25], v[38:39], v[6:7] op_sel:[0,0,1] op_sel_hi:[1,0,0]
	s_waitcnt vmcnt(5)
	v_mov_b32_e32 v6, v41
	v_mov_b32_e32 v9, v7
	v_pk_mul_f32 v[6:7], v[26:27], v[6:7] op_sel_hi:[1,0]
	v_pk_add_f32 v[4:5], v[4:5], v[8:9]
	s_waitcnt vmcnt(3)
	v_pk_fma_f32 v[8:9], v[26:27], v[40:41], v[6:7] op_sel:[0,0,1] op_sel_hi:[1,1,0] neg_lo:[0,0,1] neg_hi:[0,0,1]
	v_pk_fma_f32 v[6:7], v[26:27], v[40:41], v[6:7] op_sel:[0,0,1] op_sel_hi:[1,0,0]
	s_waitcnt vmcnt(2)
	v_mov_b32_e32 v6, v43
	v_mov_b32_e32 v9, v7
	s_waitcnt lgkmcnt(0)
	v_pk_mul_f32 v[6:7], v[46:47], v[6:7] op_sel_hi:[1,0]
	v_pk_add_f32 v[4:5], v[4:5], v[8:9]
	v_pk_fma_f32 v[8:9], v[46:47], v[42:43], v[6:7] op_sel:[0,0,1] op_sel_hi:[1,1,0] neg_lo:[0,0,1] neg_hi:[0,0,1]
	v_pk_fma_f32 v[6:7], v[46:47], v[42:43], v[6:7] op_sel:[0,0,1] op_sel_hi:[1,0,0]
	v_mov_b32_e32 v9, v7
	v_pk_add_f32 v[4:5], v[4:5], v[8:9]
	s_waitcnt vmcnt(0)
	v_pk_add_f32 v[4:5], v[44:45], v[4:5] neg_lo:[0,1] neg_hi:[0,1]
	buffer_store_dword v5, off, s[0:3], 0 offset:252
	buffer_store_dword v4, off, s[0:3], 0 offset:248
	s_and_saveexec_b64 s[4:5], vcc
	s_cbranch_execz .LBB108_223
; %bb.222:
	buffer_load_dword v4, off, s[0:3], 0 offset:240
	buffer_load_dword v5, off, s[0:3], 0 offset:244
	s_waitcnt vmcnt(0)
	ds_write_b64 v1, v[4:5]
	buffer_store_dword v2, off, s[0:3], 0 offset:240
	buffer_store_dword v2, off, s[0:3], 0 offset:244
.LBB108_223:
	s_or_b64 exec, exec, s[4:5]
	s_waitcnt lgkmcnt(0)
	; wave barrier
	s_waitcnt lgkmcnt(0)
	buffer_load_dword v50, off, s[0:3], 0 offset:252
	buffer_load_dword v52, off, s[0:3], 0 offset:260
	;; [unrolled: 1-line block ×30, first 2 shown]
	ds_read2_b64 v[4:7], v2 offset0:77 offset1:78
	ds_read2_b64 v[8:11], v2 offset0:79 offset1:80
	;; [unrolled: 1-line block ×7, first 2 shown]
	v_cmp_lt_u32_e32 vcc, 29, v0
	s_waitcnt vmcnt(29) lgkmcnt(6)
	v_mul_f32_e32 v63, v4, v50
	s_waitcnt vmcnt(28)
	v_mul_f32_e32 v64, v6, v52
	s_waitcnt vmcnt(27) lgkmcnt(5)
	v_mul_f32_e32 v65, v8, v53
	v_mul_f32_e32 v53, v9, v53
	s_waitcnt vmcnt(26)
	v_mul_f32_e32 v156, v10, v54
	s_waitcnt vmcnt(25) lgkmcnt(4)
	v_mul_f32_e32 v3, v12, v55
	v_mul_f32_e32 v2, v5, v50
	;; [unrolled: 1-line block ×5, first 2 shown]
	s_waitcnt vmcnt(23)
	v_mov_b32_e32 v52, v33
	s_waitcnt vmcnt(22)
	v_mov_b32_e32 v54, v35
	s_waitcnt vmcnt(18)
	v_fma_f32 v53, v8, v59, -v53
	v_fmac_f32_e32 v63, v5, v57
	v_fmac_f32_e32 v64, v7, v58
	s_waitcnt vmcnt(17)
	v_fmac_f32_e32 v156, v11, v60
	v_fma_f32 v11, v4, v57, -v2
	v_fma_f32 v57, v6, v58, -v50
	s_waitcnt lgkmcnt(3)
	v_pk_mul_f32 v[4:5], v[16:17], v[52:53] op_sel_hi:[1,0]
	v_pk_mul_f32 v[6:7], v[18:19], v[54:55] op_sel_hi:[1,0]
	s_waitcnt vmcnt(16)
	v_fmac_f32_e32 v3, v13, v61
	v_fma_f32 v58, v10, v60, -v157
	v_fma_f32 v2, v12, v61, -v55
	v_add_f32_e32 v52, 0, v63
	v_add_f32_e32 v54, 0, v11
	s_waitcnt vmcnt(14)
	v_pk_fma_f32 v[10:11], v[16:17], v[32:33], v[4:5] op_sel:[0,0,1] op_sel_hi:[1,1,0] neg_lo:[0,0,1] neg_hi:[0,0,1]
	v_pk_fma_f32 v[4:5], v[16:17], v[32:33], v[4:5] op_sel:[0,0,1] op_sel_hi:[1,0,0]
	s_waitcnt vmcnt(10)
	v_pk_fma_f32 v[12:13], v[18:19], v[34:35], v[6:7] op_sel:[0,0,1] op_sel_hi:[1,1,0] neg_lo:[0,0,1] neg_hi:[0,0,1]
	v_pk_fma_f32 v[6:7], v[18:19], v[34:35], v[6:7] op_sel:[0,0,1] op_sel_hi:[1,0,0]
	v_fmac_f32_e32 v65, v9, v59
	v_add_f32_e32 v4, v52, v64
	v_add_f32_e32 v6, v54, v57
	;; [unrolled: 1-line block ×4, first 2 shown]
	v_mul_f32_e32 v51, v14, v56
	v_mul_f32_e32 v158, v15, v56
	v_mov_b32_e32 v11, v5
	v_add_f32_e32 v5, v4, v156
	v_add_f32_e32 v4, v6, v58
	v_mov_b32_e32 v56, v37
	v_fmac_f32_e32 v51, v15, v62
	v_fma_f32 v50, v14, v62, -v158
	v_pk_add_f32 v[2:3], v[4:5], v[2:3]
	s_waitcnt vmcnt(9)
	v_mov_b32_e32 v4, v41
	s_waitcnt lgkmcnt(2)
	v_pk_mul_f32 v[8:9], v[20:21], v[56:57] op_sel_hi:[1,0]
	v_pk_add_f32 v[2:3], v[2:3], v[50:51]
	v_pk_mul_f32 v[4:5], v[22:23], v[4:5] op_sel_hi:[1,0]
	v_pk_fma_f32 v[14:15], v[20:21], v[36:37], v[8:9] op_sel:[0,0,1] op_sel_hi:[1,1,0] neg_lo:[0,0,1] neg_hi:[0,0,1]
	v_pk_fma_f32 v[8:9], v[20:21], v[36:37], v[8:9] op_sel:[0,0,1] op_sel_hi:[1,0,0]
	v_mov_b32_e32 v13, v7
	v_pk_add_f32 v[2:3], v[2:3], v[10:11]
	v_pk_fma_f32 v[6:7], v[22:23], v[40:41], v[4:5] op_sel:[0,0,1] op_sel_hi:[1,1,0] neg_lo:[0,0,1] neg_hi:[0,0,1]
	v_pk_fma_f32 v[4:5], v[22:23], v[40:41], v[4:5] op_sel:[0,0,1] op_sel_hi:[1,0,0]
	v_mov_b32_e32 v15, v9
	v_pk_add_f32 v[2:3], v[2:3], v[12:13]
	s_waitcnt vmcnt(8)
	v_mov_b32_e32 v4, v39
	v_pk_add_f32 v[2:3], v[2:3], v[14:15]
	v_mov_b32_e32 v7, v5
	s_waitcnt lgkmcnt(1)
	v_pk_mul_f32 v[4:5], v[24:25], v[4:5] op_sel_hi:[1,0]
	v_pk_add_f32 v[2:3], v[2:3], v[6:7]
	v_pk_fma_f32 v[6:7], v[24:25], v[38:39], v[4:5] op_sel:[0,0,1] op_sel_hi:[1,1,0] neg_lo:[0,0,1] neg_hi:[0,0,1]
	v_pk_fma_f32 v[4:5], v[24:25], v[38:39], v[4:5] op_sel:[0,0,1] op_sel_hi:[1,0,0]
	s_waitcnt vmcnt(7)
	v_mov_b32_e32 v4, v43
	v_mov_b32_e32 v7, v5
	v_pk_mul_f32 v[4:5], v[26:27], v[4:5] op_sel_hi:[1,0]
	v_pk_add_f32 v[2:3], v[2:3], v[6:7]
	s_waitcnt vmcnt(4)
	v_pk_fma_f32 v[6:7], v[26:27], v[42:43], v[4:5] op_sel:[0,0,1] op_sel_hi:[1,1,0] neg_lo:[0,0,1] neg_hi:[0,0,1]
	v_pk_fma_f32 v[4:5], v[26:27], v[42:43], v[4:5] op_sel:[0,0,1] op_sel_hi:[1,0,0]
	s_waitcnt vmcnt(3)
	v_mov_b32_e32 v4, v47
	v_mov_b32_e32 v7, v5
	s_waitcnt lgkmcnt(0)
	v_pk_mul_f32 v[4:5], v[28:29], v[4:5] op_sel_hi:[1,0]
	v_pk_add_f32 v[2:3], v[2:3], v[6:7]
	v_pk_fma_f32 v[6:7], v[28:29], v[46:47], v[4:5] op_sel:[0,0,1] op_sel_hi:[1,1,0] neg_lo:[0,0,1] neg_hi:[0,0,1]
	v_pk_fma_f32 v[4:5], v[28:29], v[46:47], v[4:5] op_sel:[0,0,1] op_sel_hi:[1,0,0]
	s_waitcnt vmcnt(0)
	v_mov_b32_e32 v4, v45
	v_mov_b32_e32 v7, v5
	v_pk_mul_f32 v[4:5], v[30:31], v[4:5] op_sel_hi:[1,0]
	v_pk_add_f32 v[2:3], v[2:3], v[6:7]
	v_pk_fma_f32 v[6:7], v[30:31], v[44:45], v[4:5] op_sel:[0,0,1] op_sel_hi:[1,1,0] neg_lo:[0,0,1] neg_hi:[0,0,1]
	v_pk_fma_f32 v[4:5], v[30:31], v[44:45], v[4:5] op_sel:[0,0,1] op_sel_hi:[1,0,0]
	v_mov_b32_e32 v7, v5
	v_pk_add_f32 v[2:3], v[2:3], v[6:7]
	v_pk_add_f32 v[2:3], v[48:49], v[2:3] neg_lo:[0,1] neg_hi:[0,1]
	buffer_store_dword v3, off, s[0:3], 0 offset:244
	buffer_store_dword v2, off, s[0:3], 0 offset:240
	s_and_saveexec_b64 s[4:5], vcc
	s_cbranch_execz .LBB108_225
; %bb.224:
	buffer_load_dword v2, off, s[0:3], 0 offset:232
	buffer_load_dword v3, off, s[0:3], 0 offset:236
	v_mov_b32_e32 v4, 0
	buffer_store_dword v4, off, s[0:3], 0 offset:232
	buffer_store_dword v4, off, s[0:3], 0 offset:236
	s_waitcnt vmcnt(2)
	ds_write_b64 v1, v[2:3]
.LBB108_225:
	s_or_b64 exec, exec, s[4:5]
	s_waitcnt lgkmcnt(0)
	; wave barrier
	s_waitcnt lgkmcnt(0)
	buffer_load_dword v3, off, s[0:3], 0 offset:244
	buffer_load_dword v52, off, s[0:3], 0 offset:252
	;; [unrolled: 1-line block ×32, first 2 shown]
	v_mov_b32_e32 v2, 0
	ds_read_b128 v[4:7], v2 offset:608
	ds_read_b128 v[8:11], v2 offset:624
	;; [unrolled: 1-line block ×7, first 2 shown]
	ds_read_b64 v[50:51], v2 offset:720
	v_cmp_lt_u32_e32 vcc, 28, v0
	s_waitcnt vmcnt(31) lgkmcnt(7)
	v_mul_f32_e32 v157, v4, v3
	v_mul_f32_e32 v3, v5, v3
	s_waitcnt vmcnt(30)
	v_mul_f32_e32 v158, v6, v52
	s_waitcnt vmcnt(28) lgkmcnt(6)
	v_mul_f32_e32 v160, v10, v56
	s_waitcnt vmcnt(27) lgkmcnt(5)
	v_mul_f32_e32 v161, v12, v57
	v_mul_f32_e32 v162, v11, v56
	;; [unrolled: 1-line block ×3, first 2 shown]
	s_waitcnt vmcnt(24)
	v_mov_b32_e32 v56, v33
	v_mul_f32_e32 v159, v8, v54
	v_mul_f32_e32 v52, v7, v52
	s_waitcnt vmcnt(22)
	v_fmac_f32_e32 v157, v5, v60
	v_fma_f32 v3, v4, v60, -v3
	s_waitcnt lgkmcnt(4)
	v_pk_mul_f32 v[4:5], v[18:19], v[56:57] op_sel_hi:[1,0]
	v_mul_f32_e32 v54, v9, v54
	s_waitcnt vmcnt(21)
	v_fmac_f32_e32 v158, v7, v61
	s_waitcnt vmcnt(20)
	v_fmac_f32_e32 v159, v9, v62
	;; [unrolled: 2-line block ×3, first 2 shown]
	v_fma_f32 v9, v6, v61, -v52
	s_waitcnt vmcnt(18)
	v_fma_f32 v11, v12, v64, -v57
	v_add_f32_e32 v12, 0, v157
	v_add_f32_e32 v3, 0, v3
	s_waitcnt vmcnt(12)
	v_pk_fma_f32 v[6:7], v[18:19], v[32:33], v[4:5] op_sel:[0,0,1] op_sel_hi:[1,1,0] neg_lo:[0,0,1] neg_hi:[0,0,1]
	v_pk_fma_f32 v[4:5], v[18:19], v[32:33], v[4:5] op_sel:[0,0,1] op_sel_hi:[1,0,0]
	v_fma_f32 v8, v8, v62, -v54
	v_add_f32_e32 v4, v12, v158
	v_add_f32_e32 v3, v3, v9
	v_fma_f32 v10, v10, v63, -v162
	v_add_f32_e32 v4, v4, v159
	v_add_f32_e32 v3, v3, v8
	v_mul_f32_e32 v53, v14, v58
	v_mul_f32_e32 v163, v15, v58
	v_fmac_f32_e32 v161, v13, v64
	v_add_f32_e32 v4, v4, v160
	v_add_f32_e32 v3, v3, v10
	v_mul_f32_e32 v55, v16, v59
	v_mul_f32_e32 v59, v17, v59
	v_fmac_f32_e32 v53, v15, v65
	v_fma_f32 v52, v14, v65, -v163
	v_mov_b32_e32 v7, v5
	v_add_f32_e32 v5, v4, v161
	v_add_f32_e32 v4, v3, v11
	v_fmac_f32_e32 v55, v17, v156
	v_fma_f32 v54, v16, v156, -v59
	v_pk_add_f32 v[4:5], v[4:5], v[52:53]
	v_mov_b32_e32 v58, v35
	v_pk_add_f32 v[4:5], v[4:5], v[54:55]
	v_pk_add_f32 v[4:5], v[4:5], v[6:7]
	s_waitcnt lgkmcnt(3)
	v_pk_mul_f32 v[6:7], v[20:21], v[58:59] op_sel_hi:[1,0]
	v_pk_fma_f32 v[8:9], v[20:21], v[34:35], v[6:7] op_sel:[0,0,1] op_sel_hi:[1,1,0] neg_lo:[0,0,1] neg_hi:[0,0,1]
	v_pk_fma_f32 v[6:7], v[20:21], v[34:35], v[6:7] op_sel:[0,0,1] op_sel_hi:[1,0,0]
	s_waitcnt vmcnt(11)
	v_mov_b32_e32 v6, v39
	v_mov_b32_e32 v9, v7
	v_pk_mul_f32 v[6:7], v[22:23], v[6:7] op_sel_hi:[1,0]
	v_pk_add_f32 v[4:5], v[4:5], v[8:9]
	v_pk_fma_f32 v[8:9], v[22:23], v[38:39], v[6:7] op_sel:[0,0,1] op_sel_hi:[1,1,0] neg_lo:[0,0,1] neg_hi:[0,0,1]
	v_pk_fma_f32 v[6:7], v[22:23], v[38:39], v[6:7] op_sel:[0,0,1] op_sel_hi:[1,0,0]
	s_waitcnt vmcnt(10)
	v_mov_b32_e32 v6, v37
	v_mov_b32_e32 v9, v7
	s_waitcnt lgkmcnt(2)
	v_pk_mul_f32 v[6:7], v[24:25], v[6:7] op_sel_hi:[1,0]
	v_pk_add_f32 v[4:5], v[4:5], v[8:9]
	v_pk_fma_f32 v[8:9], v[24:25], v[36:37], v[6:7] op_sel:[0,0,1] op_sel_hi:[1,1,0] neg_lo:[0,0,1] neg_hi:[0,0,1]
	v_pk_fma_f32 v[6:7], v[24:25], v[36:37], v[6:7] op_sel:[0,0,1] op_sel_hi:[1,0,0]
	s_waitcnt vmcnt(9)
	v_mov_b32_e32 v6, v41
	v_mov_b32_e32 v9, v7
	v_pk_mul_f32 v[6:7], v[26:27], v[6:7] op_sel_hi:[1,0]
	v_pk_add_f32 v[4:5], v[4:5], v[8:9]
	s_waitcnt vmcnt(4)
	v_pk_fma_f32 v[8:9], v[26:27], v[40:41], v[6:7] op_sel:[0,0,1] op_sel_hi:[1,1,0] neg_lo:[0,0,1] neg_hi:[0,0,1]
	v_pk_fma_f32 v[6:7], v[26:27], v[40:41], v[6:7] op_sel:[0,0,1] op_sel_hi:[1,0,0]
	v_mov_b32_e32 v6, v47
	v_mov_b32_e32 v9, v7
	s_waitcnt lgkmcnt(1)
	v_pk_mul_f32 v[6:7], v[28:29], v[6:7] op_sel_hi:[1,0]
	v_pk_add_f32 v[4:5], v[4:5], v[8:9]
	v_pk_fma_f32 v[8:9], v[28:29], v[46:47], v[6:7] op_sel:[0,0,1] op_sel_hi:[1,1,0] neg_lo:[0,0,1] neg_hi:[0,0,1]
	v_pk_fma_f32 v[6:7], v[28:29], v[46:47], v[6:7] op_sel:[0,0,1] op_sel_hi:[1,0,0]
	s_waitcnt vmcnt(3)
	v_mov_b32_e32 v6, v45
	v_mov_b32_e32 v9, v7
	v_pk_mul_f32 v[6:7], v[30:31], v[6:7] op_sel_hi:[1,0]
	v_pk_add_f32 v[4:5], v[4:5], v[8:9]
	v_pk_fma_f32 v[8:9], v[30:31], v[44:45], v[6:7] op_sel:[0,0,1] op_sel_hi:[1,1,0] neg_lo:[0,0,1] neg_hi:[0,0,1]
	v_pk_fma_f32 v[6:7], v[30:31], v[44:45], v[6:7] op_sel:[0,0,1] op_sel_hi:[1,0,0]
	s_waitcnt vmcnt(0)
	v_mov_b32_e32 v6, v43
	v_mov_b32_e32 v9, v7
	s_waitcnt lgkmcnt(0)
	v_pk_mul_f32 v[6:7], v[50:51], v[6:7] op_sel_hi:[1,0]
	v_pk_add_f32 v[4:5], v[4:5], v[8:9]
	v_pk_fma_f32 v[8:9], v[50:51], v[42:43], v[6:7] op_sel:[0,0,1] op_sel_hi:[1,1,0] neg_lo:[0,0,1] neg_hi:[0,0,1]
	v_pk_fma_f32 v[6:7], v[50:51], v[42:43], v[6:7] op_sel:[0,0,1] op_sel_hi:[1,0,0]
	v_mov_b32_e32 v9, v7
	v_pk_add_f32 v[4:5], v[4:5], v[8:9]
	v_pk_add_f32 v[4:5], v[48:49], v[4:5] neg_lo:[0,1] neg_hi:[0,1]
	buffer_store_dword v5, off, s[0:3], 0 offset:236
	buffer_store_dword v4, off, s[0:3], 0 offset:232
	s_and_saveexec_b64 s[4:5], vcc
	s_cbranch_execz .LBB108_227
; %bb.226:
	buffer_load_dword v4, off, s[0:3], 0 offset:224
	buffer_load_dword v5, off, s[0:3], 0 offset:228
	s_waitcnt vmcnt(0)
	ds_write_b64 v1, v[4:5]
	buffer_store_dword v2, off, s[0:3], 0 offset:224
	buffer_store_dword v2, off, s[0:3], 0 offset:228
.LBB108_227:
	s_or_b64 exec, exec, s[4:5]
	s_waitcnt lgkmcnt(0)
	; wave barrier
	s_waitcnt lgkmcnt(0)
	buffer_load_dword v54, off, s[0:3], 0 offset:236
	buffer_load_dword v56, off, s[0:3], 0 offset:244
	;; [unrolled: 1-line block ×32, first 2 shown]
	ds_read2_b64 v[4:7], v2 offset0:75 offset1:76
	ds_read2_b64 v[8:11], v2 offset0:77 offset1:78
	;; [unrolled: 1-line block ×4, first 2 shown]
	buffer_load_dword v53, off, s[0:3], 0 offset:356
	buffer_load_dword v52, off, s[0:3], 0 offset:352
	ds_read2_b64 v[20:23], v2 offset0:83 offset1:84
	ds_read2_b64 v[24:27], v2 offset0:85 offset1:86
	;; [unrolled: 1-line block ×4, first 2 shown]
	v_cmp_lt_u32_e32 vcc, 27, v0
	s_waitcnt vmcnt(33) lgkmcnt(7)
	v_mul_f32_e32 v161, v4, v54
	v_mul_f32_e32 v2, v5, v54
	s_waitcnt vmcnt(32)
	v_mul_f32_e32 v162, v6, v56
	s_waitcnt vmcnt(31) lgkmcnt(6)
	v_mul_f32_e32 v163, v8, v57
	v_mul_f32_e32 v54, v7, v56
	v_mul_f32_e32 v56, v9, v57
	s_waitcnt vmcnt(30)
	v_mul_f32_e32 v57, v11, v58
	v_mul_f32_e32 v164, v10, v58
	s_waitcnt vmcnt(25)
	v_fmac_f32_e32 v161, v5, v63
	v_fma_f32 v4, v4, v63, -v2
	s_waitcnt vmcnt(24)
	v_fmac_f32_e32 v162, v7, v64
	v_fma_f32 v5, v6, v64, -v54
	s_waitcnt vmcnt(22)
	v_fma_f32 v7, v10, v156, -v57
	v_add_f32_e32 v10, 0, v161
	v_add_f32_e32 v4, 0, v4
	v_fmac_f32_e32 v163, v9, v65
	v_fma_f32 v6, v8, v65, -v56
	v_add_f32_e32 v10, v10, v162
	v_add_f32_e32 v4, v4, v5
	s_waitcnt lgkmcnt(5)
	v_mul_f32_e32 v165, v12, v59
	v_mul_f32_e32 v58, v13, v59
	v_fmac_f32_e32 v164, v11, v156
	v_add_f32_e32 v5, v10, v163
	v_add_f32_e32 v4, v4, v6
	v_mul_f32_e32 v166, v14, v60
	v_mul_f32_e32 v59, v15, v60
	s_waitcnt vmcnt(21)
	v_fmac_f32_e32 v165, v13, v157
	v_fma_f32 v8, v12, v157, -v58
	v_add_f32_e32 v5, v5, v164
	v_add_f32_e32 v4, v4, v7
	s_waitcnt lgkmcnt(4)
	v_mul_f32_e32 v3, v16, v61
	v_mul_f32_e32 v60, v17, v61
	s_waitcnt vmcnt(20)
	v_fmac_f32_e32 v166, v15, v158
	v_fma_f32 v9, v14, v158, -v59
	v_add_f32_e32 v5, v5, v165
	v_add_f32_e32 v4, v4, v8
	s_waitcnt vmcnt(19)
	v_fmac_f32_e32 v3, v17, v159
	v_fma_f32 v2, v16, v159, -v60
	v_add_f32_e32 v5, v5, v166
	v_add_f32_e32 v4, v4, v9
	v_pk_add_f32 v[2:3], v[4:5], v[2:3]
	s_waitcnt vmcnt(17)
	v_mov_b32_e32 v4, v37
	s_waitcnt lgkmcnt(3)
	v_pk_mul_f32 v[4:5], v[20:21], v[4:5] op_sel_hi:[1,0]
	v_mul_f32_e32 v55, v18, v62
	v_mul_f32_e32 v61, v19, v62
	s_waitcnt vmcnt(14)
	v_pk_fma_f32 v[6:7], v[20:21], v[36:37], v[4:5] op_sel:[0,0,1] op_sel_hi:[1,1,0] neg_lo:[0,0,1] neg_hi:[0,0,1]
	v_pk_fma_f32 v[4:5], v[20:21], v[36:37], v[4:5] op_sel:[0,0,1] op_sel_hi:[1,0,0]
	v_fmac_f32_e32 v55, v19, v160
	v_fma_f32 v54, v18, v160, -v61
	s_waitcnt vmcnt(13)
	v_mov_b32_e32 v4, v41
	v_pk_add_f32 v[2:3], v[2:3], v[54:55]
	v_mov_b32_e32 v7, v5
	v_pk_mul_f32 v[4:5], v[22:23], v[4:5] op_sel_hi:[1,0]
	v_pk_add_f32 v[2:3], v[2:3], v[6:7]
	v_pk_fma_f32 v[6:7], v[22:23], v[40:41], v[4:5] op_sel:[0,0,1] op_sel_hi:[1,1,0] neg_lo:[0,0,1] neg_hi:[0,0,1]
	v_pk_fma_f32 v[4:5], v[22:23], v[40:41], v[4:5] op_sel:[0,0,1] op_sel_hi:[1,0,0]
	s_waitcnt vmcnt(12)
	v_mov_b32_e32 v4, v39
	v_mov_b32_e32 v7, v5
	s_waitcnt lgkmcnt(2)
	v_pk_mul_f32 v[4:5], v[24:25], v[4:5] op_sel_hi:[1,0]
	v_pk_add_f32 v[2:3], v[2:3], v[6:7]
	v_pk_fma_f32 v[6:7], v[24:25], v[38:39], v[4:5] op_sel:[0,0,1] op_sel_hi:[1,1,0] neg_lo:[0,0,1] neg_hi:[0,0,1]
	v_pk_fma_f32 v[4:5], v[24:25], v[38:39], v[4:5] op_sel:[0,0,1] op_sel_hi:[1,0,0]
	s_waitcnt vmcnt(11)
	v_mov_b32_e32 v4, v43
	v_mov_b32_e32 v7, v5
	v_pk_mul_f32 v[4:5], v[26:27], v[4:5] op_sel_hi:[1,0]
	v_pk_add_f32 v[2:3], v[2:3], v[6:7]
	s_waitcnt vmcnt(5)
	v_pk_fma_f32 v[6:7], v[26:27], v[42:43], v[4:5] op_sel:[0,0,1] op_sel_hi:[1,1,0] neg_lo:[0,0,1] neg_hi:[0,0,1]
	v_pk_fma_f32 v[4:5], v[26:27], v[42:43], v[4:5] op_sel:[0,0,1] op_sel_hi:[1,0,0]
	v_mov_b32_e32 v4, v49
	v_mov_b32_e32 v7, v5
	s_waitcnt lgkmcnt(1)
	v_pk_mul_f32 v[4:5], v[28:29], v[4:5] op_sel_hi:[1,0]
	v_pk_add_f32 v[2:3], v[2:3], v[6:7]
	v_pk_fma_f32 v[6:7], v[28:29], v[48:49], v[4:5] op_sel:[0,0,1] op_sel_hi:[1,1,0] neg_lo:[0,0,1] neg_hi:[0,0,1]
	v_pk_fma_f32 v[4:5], v[28:29], v[48:49], v[4:5] op_sel:[0,0,1] op_sel_hi:[1,0,0]
	v_mov_b32_e32 v4, v47
	v_mov_b32_e32 v7, v5
	v_pk_mul_f32 v[4:5], v[30:31], v[4:5] op_sel_hi:[1,0]
	v_pk_add_f32 v[2:3], v[2:3], v[6:7]
	v_pk_fma_f32 v[6:7], v[30:31], v[46:47], v[4:5] op_sel:[0,0,1] op_sel_hi:[1,1,0] neg_lo:[0,0,1] neg_hi:[0,0,1]
	v_pk_fma_f32 v[4:5], v[30:31], v[46:47], v[4:5] op_sel:[0,0,1] op_sel_hi:[1,0,0]
	s_waitcnt vmcnt(2)
	v_mov_b32_e32 v4, v45
	v_mov_b32_e32 v7, v5
	s_waitcnt lgkmcnt(0)
	v_pk_mul_f32 v[4:5], v[32:33], v[4:5] op_sel_hi:[1,0]
	v_pk_add_f32 v[2:3], v[2:3], v[6:7]
	v_pk_fma_f32 v[6:7], v[32:33], v[44:45], v[4:5] op_sel:[0,0,1] op_sel_hi:[1,1,0] neg_lo:[0,0,1] neg_hi:[0,0,1]
	v_pk_fma_f32 v[4:5], v[32:33], v[44:45], v[4:5] op_sel:[0,0,1] op_sel_hi:[1,0,0]
	s_waitcnt vmcnt(1)
	v_mov_b32_e32 v4, v53
	v_mov_b32_e32 v7, v5
	v_pk_mul_f32 v[4:5], v[34:35], v[4:5] op_sel_hi:[1,0]
	v_pk_add_f32 v[2:3], v[2:3], v[6:7]
	s_waitcnt vmcnt(0)
	v_pk_fma_f32 v[6:7], v[34:35], v[52:53], v[4:5] op_sel:[0,0,1] op_sel_hi:[1,1,0] neg_lo:[0,0,1] neg_hi:[0,0,1]
	v_pk_fma_f32 v[4:5], v[34:35], v[52:53], v[4:5] op_sel:[0,0,1] op_sel_hi:[1,0,0]
	v_mov_b32_e32 v7, v5
	v_pk_add_f32 v[2:3], v[2:3], v[6:7]
	v_pk_add_f32 v[2:3], v[50:51], v[2:3] neg_lo:[0,1] neg_hi:[0,1]
	buffer_store_dword v3, off, s[0:3], 0 offset:228
	buffer_store_dword v2, off, s[0:3], 0 offset:224
	s_and_saveexec_b64 s[4:5], vcc
	s_cbranch_execz .LBB108_229
; %bb.228:
	buffer_load_dword v2, off, s[0:3], 0 offset:216
	buffer_load_dword v3, off, s[0:3], 0 offset:220
	v_mov_b32_e32 v4, 0
	buffer_store_dword v4, off, s[0:3], 0 offset:216
	buffer_store_dword v4, off, s[0:3], 0 offset:220
	s_waitcnt vmcnt(2)
	ds_write_b64 v1, v[2:3]
.LBB108_229:
	s_or_b64 exec, exec, s[4:5]
	s_waitcnt lgkmcnt(0)
	; wave barrier
	s_waitcnt lgkmcnt(0)
	buffer_load_dword v3, off, s[0:3], 0 offset:228
	buffer_load_dword v46, off, s[0:3], 0 offset:236
	;; [unrolled: 1-line block ×36, first 2 shown]
	v_mov_b32_e32 v2, 0
	ds_read_b128 v[4:7], v2 offset:592
	ds_read_b128 v[8:11], v2 offset:608
	;; [unrolled: 1-line block ×6, first 2 shown]
	v_cmp_lt_u32_e32 vcc, 26, v0
	s_waitcnt vmcnt(35) lgkmcnt(5)
	v_mul_f32_e32 v65, v4, v3
	s_waitcnt vmcnt(34)
	v_mul_f32_e32 v156, v6, v46
	s_waitcnt vmcnt(33) lgkmcnt(4)
	v_mul_f32_e32 v157, v8, v48
	v_mul_f32_e32 v3, v5, v3
	;; [unrolled: 1-line block ×4, first 2 shown]
	s_waitcnt vmcnt(32)
	v_mul_f32_e32 v158, v10, v50
	s_waitcnt vmcnt(31) lgkmcnt(3)
	v_mul_f32_e32 v159, v12, v51
	v_mul_f32_e32 v50, v11, v50
	s_waitcnt vmcnt(26)
	v_fmac_f32_e32 v65, v5, v56
	s_waitcnt vmcnt(25)
	v_fmac_f32_e32 v156, v7, v57
	;; [unrolled: 2-line block ×3, first 2 shown]
	v_fma_f32 v3, v4, v56, -v3
	v_add_f32_e32 v9, 0, v65
	v_fma_f32 v4, v6, v57, -v46
	v_add_f32_e32 v3, 0, v3
	v_add_f32_e32 v9, v9, v156
	s_waitcnt vmcnt(23)
	v_fmac_f32_e32 v158, v11, v59
	v_fma_f32 v5, v8, v58, -v48
	v_add_f32_e32 v3, v3, v4
	v_add_f32_e32 v4, v9, v157
	v_mul_f32_e32 v160, v14, v52
	v_mul_f32_e32 v51, v13, v51
	s_waitcnt vmcnt(22)
	v_fmac_f32_e32 v159, v13, v60
	v_fma_f32 v6, v10, v59, -v50
	v_add_f32_e32 v3, v3, v5
	v_add_f32_e32 v4, v4, v158
	s_waitcnt lgkmcnt(2)
	v_mul_f32_e32 v161, v16, v53
	v_mul_f32_e32 v52, v15, v52
	s_waitcnt vmcnt(21)
	v_fmac_f32_e32 v160, v15, v61
	v_fma_f32 v7, v12, v60, -v51
	v_add_f32_e32 v3, v3, v6
	v_add_f32_e32 v4, v4, v159
	v_mul_f32_e32 v53, v17, v53
	s_waitcnt vmcnt(20)
	v_fmac_f32_e32 v161, v17, v62
	v_fma_f32 v8, v14, v61, -v52
	v_add_f32_e32 v3, v3, v7
	v_add_f32_e32 v4, v4, v160
	;; [unrolled: 1-line block ×4, first 2 shown]
	v_fma_f32 v4, v16, v62, -v53
	s_waitcnt vmcnt(17)
	v_mov_b32_e32 v16, v29
	v_mul_f32_e32 v47, v18, v54
	v_add_f32_e32 v12, v3, v4
	v_mul_f32_e32 v3, v19, v54
	s_waitcnt lgkmcnt(1)
	v_pk_mul_f32 v[16:17], v[22:23], v[16:17] op_sel_hi:[1,0]
	v_mul_f32_e32 v49, v20, v55
	v_fmac_f32_e32 v47, v19, v63
	v_fma_f32 v46, v18, v63, -v3
	v_mul_f32_e32 v3, v21, v55
	s_waitcnt vmcnt(15)
	v_pk_fma_f32 v[18:19], v[22:23], v[28:29], v[16:17] op_sel:[0,0,1] op_sel_hi:[1,1,0] neg_lo:[0,0,1] neg_hi:[0,0,1]
	v_pk_fma_f32 v[16:17], v[22:23], v[28:29], v[16:17] op_sel:[0,0,1] op_sel_hi:[1,0,0]
	v_fmac_f32_e32 v49, v21, v64
	v_fma_f32 v48, v20, v64, -v3
	v_pk_add_f32 v[12:13], v[12:13], v[46:47]
	s_waitcnt vmcnt(12)
	v_mov_b32_e32 v16, v31
	v_pk_add_f32 v[12:13], v[12:13], v[48:49]
	v_mov_b32_e32 v19, v17
	s_waitcnt lgkmcnt(0)
	v_pk_mul_f32 v[16:17], v[24:25], v[16:17] op_sel_hi:[1,0]
	v_pk_add_f32 v[12:13], v[12:13], v[18:19]
	v_pk_fma_f32 v[18:19], v[24:25], v[30:31], v[16:17] op_sel:[0,0,1] op_sel_hi:[1,1,0] neg_lo:[0,0,1] neg_hi:[0,0,1]
	v_pk_fma_f32 v[16:17], v[24:25], v[30:31], v[16:17] op_sel:[0,0,1] op_sel_hi:[1,0,0]
	s_waitcnt vmcnt(11)
	v_mov_b32_e32 v16, v35
	ds_read_b128 v[4:7], v2 offset:688
	ds_read_b128 v[8:11], v2 offset:704
	ds_read_b64 v[14:15], v2 offset:720
	v_mov_b32_e32 v19, v17
	v_pk_mul_f32 v[16:17], v[26:27], v[16:17] op_sel_hi:[1,0]
	v_pk_add_f32 v[12:13], v[12:13], v[18:19]
	s_waitcnt vmcnt(4)
	v_pk_fma_f32 v[18:19], v[26:27], v[34:35], v[16:17] op_sel:[0,0,1] op_sel_hi:[1,1,0] neg_lo:[0,0,1] neg_hi:[0,0,1]
	v_pk_fma_f32 v[16:17], v[26:27], v[34:35], v[16:17] op_sel:[0,0,1] op_sel_hi:[1,0,0]
	v_mov_b32_e32 v16, v41
	v_mov_b32_e32 v19, v17
	s_waitcnt lgkmcnt(2)
	v_pk_mul_f32 v[16:17], v[4:5], v[16:17] op_sel_hi:[1,0]
	v_pk_add_f32 v[12:13], v[12:13], v[18:19]
	v_pk_fma_f32 v[18:19], v[4:5], v[40:41], v[16:17] op_sel:[0,0,1] op_sel_hi:[1,1,0] neg_lo:[0,0,1] neg_hi:[0,0,1]
	v_pk_fma_f32 v[4:5], v[4:5], v[40:41], v[16:17] op_sel:[0,0,1] op_sel_hi:[1,0,0]
	v_mov_b32_e32 v19, v5
	v_pk_add_f32 v[4:5], v[12:13], v[18:19]
	v_mov_b32_e32 v12, v39
	v_pk_mul_f32 v[12:13], v[6:7], v[12:13] op_sel_hi:[1,0]
	v_pk_fma_f32 v[16:17], v[6:7], v[38:39], v[12:13] op_sel:[0,0,1] op_sel_hi:[1,1,0] neg_lo:[0,0,1] neg_hi:[0,0,1]
	v_pk_fma_f32 v[6:7], v[6:7], v[38:39], v[12:13] op_sel:[0,0,1] op_sel_hi:[1,0,0]
	v_mov_b32_e32 v6, v37
	v_mov_b32_e32 v17, v7
	s_waitcnt lgkmcnt(1)
	v_pk_mul_f32 v[6:7], v[8:9], v[6:7] op_sel_hi:[1,0]
	v_pk_fma_f32 v[12:13], v[8:9], v[36:37], v[6:7] op_sel:[0,0,1] op_sel_hi:[1,1,0] neg_lo:[0,0,1] neg_hi:[0,0,1]
	v_pk_fma_f32 v[6:7], v[8:9], v[36:37], v[6:7] op_sel:[0,0,1] op_sel_hi:[1,0,0]
	s_waitcnt vmcnt(1)
	v_mov_b32_e32 v6, v45
	v_mov_b32_e32 v13, v7
	v_pk_mul_f32 v[6:7], v[10:11], v[6:7] op_sel_hi:[1,0]
	s_waitcnt vmcnt(0)
	v_pk_fma_f32 v[8:9], v[10:11], v[44:45], v[6:7] op_sel:[0,0,1] op_sel_hi:[1,1,0] neg_lo:[0,0,1] neg_hi:[0,0,1]
	v_pk_fma_f32 v[6:7], v[10:11], v[44:45], v[6:7] op_sel:[0,0,1] op_sel_hi:[1,0,0]
	v_pk_add_f32 v[4:5], v[4:5], v[16:17]
	v_mov_b32_e32 v6, v43
	v_pk_add_f32 v[4:5], v[4:5], v[12:13]
	v_mov_b32_e32 v9, v7
	s_waitcnt lgkmcnt(0)
	v_pk_mul_f32 v[6:7], v[14:15], v[6:7] op_sel_hi:[1,0]
	v_pk_add_f32 v[4:5], v[4:5], v[8:9]
	v_pk_fma_f32 v[8:9], v[14:15], v[42:43], v[6:7] op_sel:[0,0,1] op_sel_hi:[1,1,0] neg_lo:[0,0,1] neg_hi:[0,0,1]
	v_pk_fma_f32 v[6:7], v[14:15], v[42:43], v[6:7] op_sel:[0,0,1] op_sel_hi:[1,0,0]
	v_mov_b32_e32 v9, v7
	v_pk_add_f32 v[4:5], v[4:5], v[8:9]
	v_pk_add_f32 v[4:5], v[32:33], v[4:5] neg_lo:[0,1] neg_hi:[0,1]
	buffer_store_dword v5, off, s[0:3], 0 offset:220
	buffer_store_dword v4, off, s[0:3], 0 offset:216
	s_and_saveexec_b64 s[4:5], vcc
	s_cbranch_execz .LBB108_231
; %bb.230:
	buffer_load_dword v4, off, s[0:3], 0 offset:208
	buffer_load_dword v5, off, s[0:3], 0 offset:212
	s_waitcnt vmcnt(0)
	ds_write_b64 v1, v[4:5]
	buffer_store_dword v2, off, s[0:3], 0 offset:208
	buffer_store_dword v2, off, s[0:3], 0 offset:212
.LBB108_231:
	s_or_b64 exec, exec, s[4:5]
	s_waitcnt lgkmcnt(0)
	; wave barrier
	s_waitcnt lgkmcnt(0)
	buffer_load_dword v3, off, s[0:3], 0 offset:220
	buffer_load_dword v46, off, s[0:3], 0 offset:228
	;; [unrolled: 1-line block ×22, first 2 shown]
	ds_read2_b64 v[4:7], v2 offset0:73 offset1:74
	ds_read2_b64 v[8:11], v2 offset0:75 offset1:76
	buffer_load_dword v31, off, s[0:3], 0 offset:300
	buffer_load_dword v30, off, s[0:3], 0 offset:296
	;; [unrolled: 1-line block ×10, first 2 shown]
	ds_read2_b64 v[12:15], v2 offset0:77 offset1:78
	ds_read2_b64 v[16:19], v2 offset0:79 offset1:80
	;; [unrolled: 1-line block ×4, first 2 shown]
	buffer_load_dword v41, off, s[0:3], 0 offset:356
	buffer_load_dword v40, off, s[0:3], 0 offset:352
	;; [unrolled: 1-line block ×6, first 2 shown]
	v_cmp_lt_u32_e32 vcc, 25, v0
	s_waitcnt vmcnt(37) lgkmcnt(5)
	v_mul_f32_e32 v157, v4, v3
	s_waitcnt vmcnt(36)
	v_mul_f32_e32 v158, v6, v46
	s_waitcnt vmcnt(35) lgkmcnt(4)
	v_mul_f32_e32 v159, v8, v48
	v_mul_f32_e32 v3, v5, v3
	v_mul_f32_e32 v48, v9, v48
	v_mul_f32_e32 v46, v7, v46
	s_waitcnt vmcnt(34)
	v_mul_f32_e32 v160, v10, v50
	s_waitcnt vmcnt(33) lgkmcnt(3)
	v_mul_f32_e32 v161, v12, v51
	s_waitcnt vmcnt(32)
	v_mul_f32_e32 v162, v14, v52
	s_waitcnt vmcnt(31) lgkmcnt(2)
	v_mul_f32_e32 v163, v16, v53
	s_waitcnt vmcnt(27)
	v_fmac_f32_e32 v157, v5, v57
	s_waitcnt vmcnt(26)
	v_fmac_f32_e32 v158, v7, v58
	v_fma_f32 v3, v4, v57, -v3
	s_waitcnt vmcnt(25)
	v_fma_f32 v5, v8, v59, -v48
	v_add_f32_e32 v8, 0, v157
	v_fmac_f32_e32 v159, v9, v59
	v_fma_f32 v4, v6, v58, -v46
	v_add_f32_e32 v3, 0, v3
	v_add_f32_e32 v8, v8, v158
	s_waitcnt vmcnt(24)
	v_fmac_f32_e32 v160, v11, v60
	v_add_f32_e32 v3, v3, v4
	v_add_f32_e32 v4, v8, v159
	s_waitcnt vmcnt(23)
	v_fmac_f32_e32 v161, v13, v61
	v_add_f32_e32 v4, v4, v160
	v_mul_f32_e32 v50, v11, v50
	s_waitcnt vmcnt(22)
	v_fmac_f32_e32 v162, v15, v62
	v_add_f32_e32 v4, v4, v161
	v_mul_f32_e32 v164, v18, v54
	v_mul_f32_e32 v51, v13, v51
	s_waitcnt vmcnt(21)
	v_fmac_f32_e32 v163, v17, v63
	v_fma_f32 v6, v10, v60, -v50
	v_add_f32_e32 v3, v3, v5
	v_add_f32_e32 v4, v4, v162
	v_mul_f32_e32 v52, v15, v52
	s_waitcnt vmcnt(20)
	v_fmac_f32_e32 v164, v19, v64
	v_fma_f32 v7, v12, v61, -v51
	v_add_f32_e32 v3, v3, v6
	v_add_f32_e32 v4, v4, v163
	;; [unrolled: 1-line block ×4, first 2 shown]
	v_fma_f32 v4, v14, v62, -v52
	v_add_f32_e32 v3, v3, v4
	v_mul_f32_e32 v4, v17, v53
	v_fma_f32 v4, v16, v63, -v4
	v_add_f32_e32 v3, v3, v4
	v_mul_f32_e32 v4, v19, v54
	v_fma_f32 v4, v18, v64, -v4
	s_waitcnt vmcnt(15)
	v_mov_b32_e32 v16, v31
	s_waitcnt lgkmcnt(1)
	v_mul_f32_e32 v47, v20, v55
	v_add_f32_e32 v50, v3, v4
	v_mul_f32_e32 v3, v21, v55
	s_waitcnt lgkmcnt(0)
	v_pk_mul_f32 v[16:17], v[24:25], v[16:17] op_sel_hi:[1,0]
	v_mul_f32_e32 v49, v22, v56
	v_fmac_f32_e32 v47, v21, v65
	v_fma_f32 v46, v20, v65, -v3
	v_mul_f32_e32 v3, v23, v56
	s_waitcnt vmcnt(14)
	v_pk_fma_f32 v[18:19], v[24:25], v[30:31], v[16:17] op_sel:[0,0,1] op_sel_hi:[1,1,0] neg_lo:[0,0,1] neg_hi:[0,0,1]
	v_pk_fma_f32 v[16:17], v[24:25], v[30:31], v[16:17] op_sel:[0,0,1] op_sel_hi:[1,0,0]
	v_fmac_f32_e32 v49, v23, v156
	v_fma_f32 v48, v22, v156, -v3
	ds_read2_b64 v[4:7], v2 offset0:85 offset1:86
	ds_read2_b64 v[8:11], v2 offset0:87 offset1:88
	ds_read2_b64 v[12:15], v2 offset0:89 offset1:90
	v_pk_add_f32 v[2:3], v[50:51], v[46:47]
	s_waitcnt vmcnt(13)
	v_mov_b32_e32 v16, v33
	v_pk_add_f32 v[2:3], v[2:3], v[48:49]
	v_mov_b32_e32 v19, v17
	v_pk_mul_f32 v[16:17], v[26:27], v[16:17] op_sel_hi:[1,0]
	v_pk_add_f32 v[2:3], v[2:3], v[18:19]
	s_waitcnt vmcnt(6)
	v_pk_fma_f32 v[18:19], v[26:27], v[32:33], v[16:17] op_sel:[0,0,1] op_sel_hi:[1,1,0] neg_lo:[0,0,1] neg_hi:[0,0,1]
	v_pk_fma_f32 v[16:17], v[26:27], v[32:33], v[16:17] op_sel:[0,0,1] op_sel_hi:[1,0,0]
	v_mov_b32_e32 v16, v39
	v_mov_b32_e32 v19, v17
	s_waitcnt lgkmcnt(2)
	v_pk_mul_f32 v[16:17], v[4:5], v[16:17] op_sel_hi:[1,0]
	v_pk_add_f32 v[2:3], v[2:3], v[18:19]
	v_pk_fma_f32 v[18:19], v[4:5], v[38:39], v[16:17] op_sel:[0,0,1] op_sel_hi:[1,1,0] neg_lo:[0,0,1] neg_hi:[0,0,1]
	v_pk_fma_f32 v[4:5], v[4:5], v[38:39], v[16:17] op_sel:[0,0,1] op_sel_hi:[1,0,0]
	v_mov_b32_e32 v4, v37
	v_mov_b32_e32 v19, v5
	v_pk_mul_f32 v[4:5], v[6:7], v[4:5] op_sel_hi:[1,0]
	v_pk_fma_f32 v[16:17], v[6:7], v[36:37], v[4:5] op_sel:[0,0,1] op_sel_hi:[1,1,0] neg_lo:[0,0,1] neg_hi:[0,0,1]
	v_pk_fma_f32 v[4:5], v[6:7], v[36:37], v[4:5] op_sel:[0,0,1] op_sel_hi:[1,0,0]
	v_mov_b32_e32 v4, v35
	v_mov_b32_e32 v17, v5
	s_waitcnt lgkmcnt(1)
	v_pk_mul_f32 v[4:5], v[8:9], v[4:5] op_sel_hi:[1,0]
	v_pk_fma_f32 v[6:7], v[8:9], v[34:35], v[4:5] op_sel:[0,0,1] op_sel_hi:[1,1,0] neg_lo:[0,0,1] neg_hi:[0,0,1]
	v_pk_fma_f32 v[4:5], v[8:9], v[34:35], v[4:5] op_sel:[0,0,1] op_sel_hi:[1,0,0]
	v_pk_add_f32 v[2:3], v[2:3], v[18:19]
	s_waitcnt vmcnt(1)
	v_mov_b32_e32 v4, v45
	v_pk_add_f32 v[2:3], v[2:3], v[16:17]
	v_mov_b32_e32 v7, v5
	v_pk_mul_f32 v[4:5], v[10:11], v[4:5] op_sel_hi:[1,0]
	v_pk_add_f32 v[2:3], v[2:3], v[6:7]
	s_waitcnt vmcnt(0)
	v_pk_fma_f32 v[6:7], v[10:11], v[44:45], v[4:5] op_sel:[0,0,1] op_sel_hi:[1,1,0] neg_lo:[0,0,1] neg_hi:[0,0,1]
	v_pk_fma_f32 v[4:5], v[10:11], v[44:45], v[4:5] op_sel:[0,0,1] op_sel_hi:[1,0,0]
	v_mov_b32_e32 v4, v43
	v_mov_b32_e32 v7, v5
	s_waitcnt lgkmcnt(0)
	v_pk_mul_f32 v[4:5], v[12:13], v[4:5] op_sel_hi:[1,0]
	v_pk_add_f32 v[2:3], v[2:3], v[6:7]
	v_pk_fma_f32 v[6:7], v[12:13], v[42:43], v[4:5] op_sel:[0,0,1] op_sel_hi:[1,1,0] neg_lo:[0,0,1] neg_hi:[0,0,1]
	v_pk_fma_f32 v[4:5], v[12:13], v[42:43], v[4:5] op_sel:[0,0,1] op_sel_hi:[1,0,0]
	v_mov_b32_e32 v4, v41
	v_mov_b32_e32 v7, v5
	v_pk_mul_f32 v[4:5], v[14:15], v[4:5] op_sel_hi:[1,0]
	v_pk_add_f32 v[2:3], v[2:3], v[6:7]
	v_pk_fma_f32 v[6:7], v[14:15], v[40:41], v[4:5] op_sel:[0,0,1] op_sel_hi:[1,1,0] neg_lo:[0,0,1] neg_hi:[0,0,1]
	v_pk_fma_f32 v[4:5], v[14:15], v[40:41], v[4:5] op_sel:[0,0,1] op_sel_hi:[1,0,0]
	v_mov_b32_e32 v7, v5
	v_pk_add_f32 v[2:3], v[2:3], v[6:7]
	v_pk_add_f32 v[2:3], v[28:29], v[2:3] neg_lo:[0,1] neg_hi:[0,1]
	buffer_store_dword v3, off, s[0:3], 0 offset:212
	buffer_store_dword v2, off, s[0:3], 0 offset:208
	s_and_saveexec_b64 s[4:5], vcc
	s_cbranch_execz .LBB108_233
; %bb.232:
	buffer_load_dword v2, off, s[0:3], 0 offset:200
	buffer_load_dword v3, off, s[0:3], 0 offset:204
	v_mov_b32_e32 v4, 0
	buffer_store_dword v4, off, s[0:3], 0 offset:200
	buffer_store_dword v4, off, s[0:3], 0 offset:204
	s_waitcnt vmcnt(2)
	ds_write_b64 v1, v[2:3]
.LBB108_233:
	s_or_b64 exec, exec, s[4:5]
	v_mov_b32_e32 v12, 0
	s_waitcnt lgkmcnt(0)
	; wave barrier
	s_waitcnt lgkmcnt(0)
	ds_read_b128 v[14:17], v12 offset:576
	ds_read_b128 v[18:21], v12 offset:592
	;; [unrolled: 1-line block ×4, first 2 shown]
	buffer_load_dword v10, off, s[0:3], 0 offset:200
	buffer_load_dword v11, off, s[0:3], 0 offset:204
	;; [unrolled: 1-line block ×18, first 2 shown]
	v_cmp_lt_u32_e32 vcc, 24, v0
	s_waitcnt vmcnt(14) lgkmcnt(3)
	v_mul_f32_e32 v22, v14, v30
	v_fmac_f32_e32 v22, v15, v13
	s_waitcnt vmcnt(12)
	v_mul_f32_e32 v23, v16, v34
	v_add_f32_e32 v22, 0, v22
	v_fmac_f32_e32 v23, v17, v32
	v_add_f32_e32 v22, v22, v23
	s_waitcnt vmcnt(10) lgkmcnt(2)
	v_mul_f32_e32 v23, v18, v53
	v_fmac_f32_e32 v23, v19, v52
	v_add_f32_e32 v22, v22, v23
	s_waitcnt vmcnt(8)
	v_mul_f32_e32 v23, v20, v55
	v_fmac_f32_e32 v23, v21, v54
	v_add_f32_e32 v22, v22, v23
	s_waitcnt vmcnt(6) lgkmcnt(1)
	v_mul_f32_e32 v23, v6, v57
	v_fmac_f32_e32 v23, v7, v56
	v_add_f32_e32 v22, v22, v23
	s_waitcnt vmcnt(4)
	v_mul_f32_e32 v23, v8, v59
	;; [unrolled: 8-line block ×3, first 2 shown]
	v_fmac_f32_e32 v23, v5, v62
	v_add_f32_e32 v26, v22, v23
	ds_read_b128 v[22:25], v12 offset:640
	buffer_load_dword v64, off, s[0:3], 0 offset:272
	buffer_load_dword v65, off, s[0:3], 0 offset:276
	buffer_load_dword v156, off, s[0:3], 0 offset:280
	buffer_load_dword v157, off, s[0:3], 0 offset:284
	v_mul_f32_e32 v15, v15, v30
	v_fma_f32 v13, v14, v13, -v15
	v_mul_f32_e32 v14, v17, v34
	v_add_f32_e32 v13, 0, v13
	v_fma_f32 v14, v16, v32, -v14
	v_add_f32_e32 v13, v13, v14
	v_mul_f32_e32 v14, v19, v53
	v_fma_f32 v14, v18, v52, -v14
	v_add_f32_e32 v13, v13, v14
	v_mul_f32_e32 v14, v21, v55
	v_fma_f32 v14, v20, v54, -v14
	v_mul_f32_e32 v7, v7, v57
	v_add_f32_e32 v13, v13, v14
	v_fma_f32 v6, v6, v56, -v7
	v_mul_f32_e32 v7, v9, v59
	v_add_f32_e32 v6, v13, v6
	;; [unrolled: 3-line block ×4, first 2 shown]
	v_fma_f32 v3, v4, v62, -v3
	v_add_f32_e32 v2, v2, v3
	s_waitcnt vmcnt(2) lgkmcnt(0)
	v_mul_f32_e32 v27, v22, v65
	v_fmac_f32_e32 v27, v23, v64
	v_add_f32_e32 v31, v26, v27
	ds_read_b128 v[26:29], v12 offset:656
	buffer_load_dword v158, off, s[0:3], 0 offset:288
	buffer_load_dword v159, off, s[0:3], 0 offset:292
	;; [unrolled: 1-line block ×18, first 2 shown]
	v_mul_f32_e32 v3, v23, v65
	v_fma_f32 v3, v22, v64, -v3
	v_add_f32_e32 v30, v2, v3
	s_waitcnt vmcnt(18)
	v_mul_f32_e32 v2, v25, v157
	v_mul_f32_e32 v33, v24, v157
	v_fma_f32 v32, v24, v156, -v2
	v_fmac_f32_e32 v33, v25, v156
	v_pk_add_f32 v[20:21], v[30:31], v[32:33]
	s_waitcnt vmcnt(15)
	v_mov_b32_e32 v22, v37
	s_waitcnt lgkmcnt(0)
	v_pk_mul_f32 v[22:23], v[28:29], v[22:23] op_sel_hi:[1,0]
	s_waitcnt vmcnt(14)
	v_pk_fma_f32 v[24:25], v[28:29], v[36:37], v[22:23] op_sel:[0,0,1] op_sel_hi:[1,1,0] neg_lo:[0,0,1] neg_hi:[0,0,1]
	v_pk_fma_f32 v[22:23], v[28:29], v[36:37], v[22:23] op_sel:[0,0,1] op_sel_hi:[1,0,0]
	s_waitcnt vmcnt(13)
	v_mov_b32_e32 v22, v39
	v_mov_b32_e32 v25, v23
	v_mul_f32_e32 v2, v27, v159
	v_mul_f32_e32 v35, v26, v159
	v_fma_f32 v34, v26, v158, -v2
	ds_read_b128 v[2:5], v12 offset:672
	ds_read_b128 v[6:9], v12 offset:688
	;; [unrolled: 1-line block ×3, first 2 shown]
	ds_read_b64 v[18:19], v12 offset:720
	v_fmac_f32_e32 v35, v27, v158
	v_pk_add_f32 v[20:21], v[20:21], v[34:35]
	s_waitcnt lgkmcnt(3)
	v_pk_mul_f32 v[22:23], v[2:3], v[22:23] op_sel_hi:[1,0]
	v_pk_add_f32 v[20:21], v[20:21], v[24:25]
	s_waitcnt vmcnt(12)
	v_pk_fma_f32 v[24:25], v[2:3], v[38:39], v[22:23] op_sel:[0,0,1] op_sel_hi:[1,1,0] neg_lo:[0,0,1] neg_hi:[0,0,1]
	v_pk_fma_f32 v[2:3], v[2:3], v[38:39], v[22:23] op_sel:[0,0,1] op_sel_hi:[1,0,0]
	v_mov_b32_e32 v25, v3
	v_pk_add_f32 v[2:3], v[20:21], v[24:25]
	s_waitcnt vmcnt(11)
	v_mov_b32_e32 v20, v41
	v_pk_mul_f32 v[20:21], v[4:5], v[20:21] op_sel_hi:[1,0]
	s_waitcnt vmcnt(10)
	v_pk_fma_f32 v[22:23], v[4:5], v[40:41], v[20:21] op_sel:[0,0,1] op_sel_hi:[1,1,0] neg_lo:[0,0,1] neg_hi:[0,0,1]
	v_pk_fma_f32 v[4:5], v[4:5], v[40:41], v[20:21] op_sel:[0,0,1] op_sel_hi:[1,0,0]
	s_waitcnt vmcnt(9)
	v_mov_b32_e32 v4, v43
	v_mov_b32_e32 v23, v5
	s_waitcnt lgkmcnt(2)
	v_pk_mul_f32 v[4:5], v[6:7], v[4:5] op_sel_hi:[1,0]
	s_waitcnt vmcnt(8)
	v_pk_fma_f32 v[20:21], v[6:7], v[42:43], v[4:5] op_sel:[0,0,1] op_sel_hi:[1,1,0] neg_lo:[0,0,1] neg_hi:[0,0,1]
	v_pk_fma_f32 v[4:5], v[6:7], v[42:43], v[4:5] op_sel:[0,0,1] op_sel_hi:[1,0,0]
	s_waitcnt vmcnt(7)
	v_mov_b32_e32 v4, v45
	v_mov_b32_e32 v21, v5
	v_pk_mul_f32 v[4:5], v[8:9], v[4:5] op_sel_hi:[1,0]
	s_waitcnt vmcnt(6)
	v_pk_fma_f32 v[6:7], v[8:9], v[44:45], v[4:5] op_sel:[0,0,1] op_sel_hi:[1,1,0] neg_lo:[0,0,1] neg_hi:[0,0,1]
	v_pk_fma_f32 v[4:5], v[8:9], v[44:45], v[4:5] op_sel:[0,0,1] op_sel_hi:[1,0,0]
	v_pk_add_f32 v[2:3], v[2:3], v[22:23]
	s_waitcnt vmcnt(5)
	v_mov_b32_e32 v4, v47
	v_pk_add_f32 v[2:3], v[2:3], v[20:21]
	v_mov_b32_e32 v7, v5
	s_waitcnt lgkmcnt(1)
	v_pk_mul_f32 v[4:5], v[14:15], v[4:5] op_sel_hi:[1,0]
	v_pk_add_f32 v[2:3], v[2:3], v[6:7]
	s_waitcnt vmcnt(4)
	v_pk_fma_f32 v[6:7], v[14:15], v[46:47], v[4:5] op_sel:[0,0,1] op_sel_hi:[1,1,0] neg_lo:[0,0,1] neg_hi:[0,0,1]
	v_pk_fma_f32 v[4:5], v[14:15], v[46:47], v[4:5] op_sel:[0,0,1] op_sel_hi:[1,0,0]
	s_waitcnt vmcnt(3)
	v_mov_b32_e32 v4, v49
	v_mov_b32_e32 v7, v5
	v_pk_mul_f32 v[4:5], v[16:17], v[4:5] op_sel_hi:[1,0]
	v_pk_add_f32 v[2:3], v[2:3], v[6:7]
	s_waitcnt vmcnt(2)
	v_pk_fma_f32 v[6:7], v[16:17], v[48:49], v[4:5] op_sel:[0,0,1] op_sel_hi:[1,1,0] neg_lo:[0,0,1] neg_hi:[0,0,1]
	v_pk_fma_f32 v[4:5], v[16:17], v[48:49], v[4:5] op_sel:[0,0,1] op_sel_hi:[1,0,0]
	s_waitcnt vmcnt(1)
	v_mov_b32_e32 v4, v51
	v_mov_b32_e32 v7, v5
	s_waitcnt lgkmcnt(0)
	v_pk_mul_f32 v[4:5], v[18:19], v[4:5] op_sel_hi:[1,0]
	v_pk_add_f32 v[2:3], v[2:3], v[6:7]
	s_waitcnt vmcnt(0)
	v_pk_fma_f32 v[6:7], v[18:19], v[50:51], v[4:5] op_sel:[0,0,1] op_sel_hi:[1,1,0] neg_lo:[0,0,1] neg_hi:[0,0,1]
	v_pk_fma_f32 v[4:5], v[18:19], v[50:51], v[4:5] op_sel:[0,0,1] op_sel_hi:[1,0,0]
	v_mov_b32_e32 v7, v5
	v_pk_add_f32 v[2:3], v[2:3], v[6:7]
	v_pk_add_f32 v[2:3], v[10:11], v[2:3] neg_lo:[0,1] neg_hi:[0,1]
	buffer_store_dword v3, off, s[0:3], 0 offset:204
	buffer_store_dword v2, off, s[0:3], 0 offset:200
	s_and_saveexec_b64 s[4:5], vcc
	s_cbranch_execz .LBB108_235
; %bb.234:
	buffer_load_dword v2, off, s[0:3], 0 offset:192
	buffer_load_dword v3, off, s[0:3], 0 offset:196
	s_waitcnt vmcnt(0)
	ds_write_b64 v1, v[2:3]
	buffer_store_dword v12, off, s[0:3], 0 offset:192
	buffer_store_dword v12, off, s[0:3], 0 offset:196
.LBB108_235:
	s_or_b64 exec, exec, s[4:5]
	s_waitcnt lgkmcnt(0)
	; wave barrier
	s_waitcnt lgkmcnt(0)
	ds_read2_b64 v[4:7], v12 offset0:71 offset1:72
	buffer_load_dword v2, off, s[0:3], 0 offset:192
	buffer_load_dword v3, off, s[0:3], 0 offset:196
	;; [unrolled: 1-line block ×16, first 2 shown]
	v_cmp_lt_u32_e32 vcc, 23, v0
	s_waitcnt vmcnt(12) lgkmcnt(0)
	v_mul_f32_e32 v8, v4, v34
	v_fmac_f32_e32 v8, v5, v13
	s_waitcnt vmcnt(10)
	v_mul_f32_e32 v9, v6, v38
	v_add_f32_e32 v8, 0, v8
	v_fmac_f32_e32 v9, v7, v36
	v_add_f32_e32 v14, v8, v9
	ds_read2_b64 v[8:11], v12 offset0:73 offset1:74
	v_mul_f32_e32 v5, v5, v34
	v_fma_f32 v4, v4, v13, -v5
	v_mul_f32_e32 v5, v7, v38
	v_add_f32_e32 v4, 0, v4
	s_waitcnt vmcnt(8) lgkmcnt(0)
	v_mul_f32_e32 v15, v8, v57
	v_fmac_f32_e32 v15, v9, v56
	v_add_f32_e32 v14, v14, v15
	s_waitcnt vmcnt(6)
	v_mul_f32_e32 v15, v10, v59
	v_fmac_f32_e32 v15, v11, v58
	v_add_f32_e32 v18, v14, v15
	ds_read2_b64 v[14:17], v12 offset0:75 offset1:76
	v_fma_f32 v5, v6, v36, -v5
	v_add_f32_e32 v4, v4, v5
	v_mul_f32_e32 v5, v9, v57
	v_fma_f32 v5, v8, v56, -v5
	s_waitcnt vmcnt(4) lgkmcnt(0)
	v_mul_f32_e32 v19, v14, v61
	v_fmac_f32_e32 v19, v15, v60
	v_add_f32_e32 v18, v18, v19
	s_waitcnt vmcnt(2)
	v_mul_f32_e32 v19, v16, v63
	v_fmac_f32_e32 v19, v17, v62
	v_add_f32_e32 v22, v18, v19
	ds_read2_b64 v[18:21], v12 offset0:77 offset1:78
	buffer_load_dword v156, off, s[0:3], 0 offset:256
	buffer_load_dword v157, off, s[0:3], 0 offset:260
	v_add_f32_e32 v4, v4, v5
	v_mul_f32_e32 v5, v11, v59
	v_fma_f32 v5, v10, v58, -v5
	s_waitcnt vmcnt(2) lgkmcnt(0)
	v_mul_f32_e32 v23, v18, v65
	v_fmac_f32_e32 v23, v19, v64
	v_add_f32_e32 v22, v22, v23
	v_add_f32_e32 v4, v4, v5
	v_mul_f32_e32 v5, v15, v61
	v_fma_f32 v5, v14, v60, -v5
	v_add_f32_e32 v4, v4, v5
	v_mul_f32_e32 v5, v17, v63
	v_fma_f32 v5, v16, v62, -v5
	;; [unrolled: 3-line block ×3, first 2 shown]
	v_add_f32_e32 v4, v4, v5
	s_waitcnt vmcnt(0)
	v_mul_f32_e32 v23, v20, v157
	v_fmac_f32_e32 v23, v21, v156
	v_add_f32_e32 v26, v22, v23
	ds_read2_b64 v[22:25], v12 offset0:79 offset1:80
	buffer_load_dword v158, off, s[0:3], 0 offset:264
	buffer_load_dword v159, off, s[0:3], 0 offset:268
	;; [unrolled: 1-line block ×4, first 2 shown]
	v_mul_f32_e32 v5, v21, v157
	v_fma_f32 v5, v20, v156, -v5
	v_add_f32_e32 v4, v4, v5
	s_waitcnt vmcnt(2) lgkmcnt(0)
	v_mul_f32_e32 v27, v22, v159
	v_fmac_f32_e32 v27, v23, v158
	v_add_f32_e32 v26, v26, v27
	s_waitcnt vmcnt(0)
	v_mul_f32_e32 v27, v24, v161
	v_fmac_f32_e32 v27, v25, v160
	v_add_f32_e32 v35, v26, v27
	ds_read2_b64 v[26:29], v12 offset0:81 offset1:82
	buffer_load_dword v162, off, s[0:3], 0 offset:280
	buffer_load_dword v163, off, s[0:3], 0 offset:284
	;; [unrolled: 1-line block ×6, first 2 shown]
	ds_read2_b64 v[30:33], v12 offset0:83 offset1:84
	buffer_load_dword v43, off, s[0:3], 0 offset:308
	buffer_load_dword v42, off, s[0:3], 0 offset:304
	;; [unrolled: 1-line block ×14, first 2 shown]
	v_mul_f32_e32 v5, v23, v159
	v_fma_f32 v5, v22, v158, -v5
	v_add_f32_e32 v4, v4, v5
	v_mul_f32_e32 v5, v25, v161
	v_fma_f32 v5, v24, v160, -v5
	v_add_f32_e32 v34, v4, v5
	s_waitcnt vmcnt(18) lgkmcnt(1)
	v_mul_f32_e32 v37, v26, v163
	s_waitcnt vmcnt(15)
	v_mov_b32_e32 v18, v41
	v_mul_f32_e32 v4, v27, v163
	s_waitcnt lgkmcnt(0)
	v_pk_mul_f32 v[18:19], v[30:31], v[18:19] op_sel_hi:[1,0]
	v_fmac_f32_e32 v37, v27, v162
	v_mul_f32_e32 v39, v28, v165
	v_fma_f32 v36, v26, v162, -v4
	v_mul_f32_e32 v4, v29, v165
	s_waitcnt vmcnt(14)
	v_pk_fma_f32 v[20:21], v[30:31], v[40:41], v[18:19] op_sel:[0,0,1] op_sel_hi:[1,1,0] neg_lo:[0,0,1] neg_hi:[0,0,1]
	v_pk_fma_f32 v[18:19], v[30:31], v[40:41], v[18:19] op_sel:[0,0,1] op_sel_hi:[1,0,0]
	v_fmac_f32_e32 v39, v29, v164
	v_fma_f32 v38, v28, v164, -v4
	v_pk_add_f32 v[16:17], v[34:35], v[36:37]
	s_waitcnt vmcnt(13)
	v_mov_b32_e32 v18, v43
	ds_read2_b64 v[4:7], v12 offset0:85 offset1:86
	ds_read2_b64 v[8:11], v12 offset0:87 offset1:88
	;; [unrolled: 1-line block ×3, first 2 shown]
	v_pk_add_f32 v[16:17], v[16:17], v[38:39]
	v_mov_b32_e32 v21, v19
	v_pk_mul_f32 v[18:19], v[32:33], v[18:19] op_sel_hi:[1,0]
	v_pk_add_f32 v[16:17], v[16:17], v[20:21]
	s_waitcnt vmcnt(12)
	v_pk_fma_f32 v[20:21], v[32:33], v[42:43], v[18:19] op_sel:[0,0,1] op_sel_hi:[1,1,0] neg_lo:[0,0,1] neg_hi:[0,0,1]
	v_pk_fma_f32 v[18:19], v[32:33], v[42:43], v[18:19] op_sel:[0,0,1] op_sel_hi:[1,0,0]
	s_waitcnt vmcnt(11)
	v_mov_b32_e32 v18, v45
	v_mov_b32_e32 v21, v19
	s_waitcnt lgkmcnt(2)
	v_pk_mul_f32 v[18:19], v[4:5], v[18:19] op_sel_hi:[1,0]
	v_pk_add_f32 v[16:17], v[16:17], v[20:21]
	s_waitcnt vmcnt(10)
	v_pk_fma_f32 v[20:21], v[4:5], v[44:45], v[18:19] op_sel:[0,0,1] op_sel_hi:[1,1,0] neg_lo:[0,0,1] neg_hi:[0,0,1]
	v_pk_fma_f32 v[4:5], v[4:5], v[44:45], v[18:19] op_sel:[0,0,1] op_sel_hi:[1,0,0]
	v_mov_b32_e32 v21, v5
	v_pk_add_f32 v[4:5], v[16:17], v[20:21]
	s_waitcnt vmcnt(9)
	v_mov_b32_e32 v16, v47
	v_pk_mul_f32 v[16:17], v[6:7], v[16:17] op_sel_hi:[1,0]
	s_waitcnt vmcnt(8)
	v_pk_fma_f32 v[18:19], v[6:7], v[46:47], v[16:17] op_sel:[0,0,1] op_sel_hi:[1,1,0] neg_lo:[0,0,1] neg_hi:[0,0,1]
	v_pk_fma_f32 v[6:7], v[6:7], v[46:47], v[16:17] op_sel:[0,0,1] op_sel_hi:[1,0,0]
	s_waitcnt vmcnt(7)
	v_mov_b32_e32 v6, v49
	v_mov_b32_e32 v19, v7
	s_waitcnt lgkmcnt(1)
	v_pk_mul_f32 v[6:7], v[8:9], v[6:7] op_sel_hi:[1,0]
	s_waitcnt vmcnt(6)
	v_pk_fma_f32 v[16:17], v[8:9], v[48:49], v[6:7] op_sel:[0,0,1] op_sel_hi:[1,1,0] neg_lo:[0,0,1] neg_hi:[0,0,1]
	v_pk_fma_f32 v[6:7], v[8:9], v[48:49], v[6:7] op_sel:[0,0,1] op_sel_hi:[1,0,0]
	s_waitcnt vmcnt(5)
	v_mov_b32_e32 v6, v51
	v_mov_b32_e32 v17, v7
	v_pk_mul_f32 v[6:7], v[10:11], v[6:7] op_sel_hi:[1,0]
	s_waitcnt vmcnt(4)
	v_pk_fma_f32 v[8:9], v[10:11], v[50:51], v[6:7] op_sel:[0,0,1] op_sel_hi:[1,1,0] neg_lo:[0,0,1] neg_hi:[0,0,1]
	v_pk_fma_f32 v[6:7], v[10:11], v[50:51], v[6:7] op_sel:[0,0,1] op_sel_hi:[1,0,0]
	v_pk_add_f32 v[4:5], v[4:5], v[18:19]
	s_waitcnt vmcnt(3)
	v_mov_b32_e32 v6, v53
	v_pk_add_f32 v[4:5], v[4:5], v[16:17]
	v_mov_b32_e32 v9, v7
	s_waitcnt lgkmcnt(0)
	v_pk_mul_f32 v[6:7], v[12:13], v[6:7] op_sel_hi:[1,0]
	v_pk_add_f32 v[4:5], v[4:5], v[8:9]
	s_waitcnt vmcnt(2)
	v_pk_fma_f32 v[8:9], v[12:13], v[52:53], v[6:7] op_sel:[0,0,1] op_sel_hi:[1,1,0] neg_lo:[0,0,1] neg_hi:[0,0,1]
	v_pk_fma_f32 v[6:7], v[12:13], v[52:53], v[6:7] op_sel:[0,0,1] op_sel_hi:[1,0,0]
	s_waitcnt vmcnt(1)
	v_mov_b32_e32 v6, v55
	v_mov_b32_e32 v9, v7
	v_pk_mul_f32 v[6:7], v[14:15], v[6:7] op_sel_hi:[1,0]
	v_pk_add_f32 v[4:5], v[4:5], v[8:9]
	s_waitcnt vmcnt(0)
	v_pk_fma_f32 v[8:9], v[14:15], v[54:55], v[6:7] op_sel:[0,0,1] op_sel_hi:[1,1,0] neg_lo:[0,0,1] neg_hi:[0,0,1]
	v_pk_fma_f32 v[6:7], v[14:15], v[54:55], v[6:7] op_sel:[0,0,1] op_sel_hi:[1,0,0]
	v_mov_b32_e32 v9, v7
	v_pk_add_f32 v[4:5], v[4:5], v[8:9]
	v_pk_add_f32 v[2:3], v[2:3], v[4:5] neg_lo:[0,1] neg_hi:[0,1]
	buffer_store_dword v3, off, s[0:3], 0 offset:196
	buffer_store_dword v2, off, s[0:3], 0 offset:192
	s_and_saveexec_b64 s[4:5], vcc
	s_cbranch_execz .LBB108_237
; %bb.236:
	buffer_load_dword v2, off, s[0:3], 0 offset:184
	buffer_load_dword v3, off, s[0:3], 0 offset:188
	v_mov_b32_e32 v4, 0
	buffer_store_dword v4, off, s[0:3], 0 offset:184
	buffer_store_dword v4, off, s[0:3], 0 offset:188
	s_waitcnt vmcnt(2)
	ds_write_b64 v1, v[2:3]
.LBB108_237:
	s_or_b64 exec, exec, s[4:5]
	s_waitcnt lgkmcnt(0)
	; wave barrier
	s_waitcnt lgkmcnt(0)
	buffer_load_dword v3, off, s[0:3], 0 offset:196
	buffer_load_dword v54, off, s[0:3], 0 offset:204
	;; [unrolled: 1-line block ×44, first 2 shown]
	v_mov_b32_e32 v2, 0
	ds_read_b128 v[4:7], v2 offset:560
	ds_read_b128 v[8:11], v2 offset:576
	;; [unrolled: 1-line block ×8, first 2 shown]
	v_cmp_lt_u32_e32 vcc, 22, v0
	s_waitcnt vmcnt(43) lgkmcnt(7)
	v_mul_f32_e32 v59, v4, v3
	v_mul_f32_e32 v3, v5, v3
	s_waitcnt vmcnt(42)
	v_mul_f32_e32 v172, v6, v54
	s_waitcnt vmcnt(41) lgkmcnt(6)
	v_mul_f32_e32 v173, v8, v56
	s_waitcnt vmcnt(40)
	v_mul_f32_e32 v174, v10, v58
	s_waitcnt vmcnt(39) lgkmcnt(5)
	;; [unrolled: 4-line block ×5, first 2 shown]
	v_mul_f32_e32 v181, v24, v156
	s_waitcnt vmcnt(32)
	v_mul_f32_e32 v55, v26, v157
	s_waitcnt vmcnt(30)
	v_fma_f32 v3, v4, v159, -v3
	v_mul_f32_e32 v4, v7, v54
	v_add_f32_e32 v3, 0, v3
	s_waitcnt vmcnt(29)
	v_fma_f32 v4, v6, v160, -v4
	v_add_f32_e32 v3, v3, v4
	v_mul_f32_e32 v4, v9, v56
	s_waitcnt vmcnt(28)
	v_fma_f32 v4, v8, v161, -v4
	v_add_f32_e32 v3, v3, v4
	v_mul_f32_e32 v4, v11, v58
	;; [unrolled: 4-line block ×4, first 2 shown]
	s_waitcnt vmcnt(25)
	v_fma_f32 v4, v14, v164, -v4
	v_fmac_f32_e32 v59, v5, v159
	v_add_f32_e32 v3, v3, v4
	v_mul_f32_e32 v4, v17, v62
	v_fmac_f32_e32 v172, v7, v160
	v_add_f32_e32 v5, 0, v59
	s_waitcnt vmcnt(24)
	v_fma_f32 v4, v16, v165, -v4
	v_fmac_f32_e32 v173, v9, v161
	v_add_f32_e32 v5, v5, v172
	v_add_f32_e32 v3, v3, v4
	v_mul_f32_e32 v4, v19, v63
	v_fmac_f32_e32 v174, v11, v162
	v_add_f32_e32 v5, v5, v173
	s_waitcnt vmcnt(23)
	v_fma_f32 v4, v18, v166, -v4
	v_fmac_f32_e32 v175, v13, v163
	v_add_f32_e32 v5, v5, v174
	;; [unrolled: 8-line block ×4, first 2 shown]
	v_add_f32_e32 v3, v3, v4
	v_mul_f32_e32 v4, v25, v156
	v_fmac_f32_e32 v180, v23, v168
	v_add_f32_e32 v5, v5, v179
	s_waitcnt vmcnt(20)
	v_fma_f32 v4, v24, v169, -v4
	s_waitcnt vmcnt(13)
	v_mov_b32_e32 v16, v41
	v_fmac_f32_e32 v181, v25, v169
	v_add_f32_e32 v5, v5, v180
	v_add_f32_e32 v58, v3, v4
	v_mul_f32_e32 v3, v27, v157
	s_waitcnt lgkmcnt(1)
	v_pk_mul_f32 v[16:17], v[30:31], v[16:17] op_sel_hi:[1,0]
	v_mul_f32_e32 v57, v28, v158
	v_fmac_f32_e32 v55, v27, v170
	v_add_f32_e32 v59, v5, v181
	v_fma_f32 v54, v26, v170, -v3
	v_mul_f32_e32 v3, v29, v158
	s_waitcnt vmcnt(12)
	v_pk_fma_f32 v[18:19], v[30:31], v[40:41], v[16:17] op_sel:[0,0,1] op_sel_hi:[1,1,0] neg_lo:[0,0,1] neg_hi:[0,0,1]
	v_pk_fma_f32 v[16:17], v[30:31], v[40:41], v[16:17] op_sel:[0,0,1] op_sel_hi:[1,0,0]
	v_fmac_f32_e32 v57, v29, v171
	v_fma_f32 v56, v28, v171, -v3
	v_pk_add_f32 v[14:15], v[58:59], v[54:55]
	v_mov_b32_e32 v16, v39
	v_pk_add_f32 v[14:15], v[14:15], v[56:57]
	v_mov_b32_e32 v19, v17
	s_waitcnt lgkmcnt(0)
	v_pk_mul_f32 v[16:17], v[32:33], v[16:17] op_sel_hi:[1,0]
	v_pk_add_f32 v[14:15], v[14:15], v[18:19]
	v_pk_fma_f32 v[18:19], v[32:33], v[38:39], v[16:17] op_sel:[0,0,1] op_sel_hi:[1,1,0] neg_lo:[0,0,1] neg_hi:[0,0,1]
	v_pk_fma_f32 v[16:17], v[32:33], v[38:39], v[16:17] op_sel:[0,0,1] op_sel_hi:[1,0,0]
	s_waitcnt vmcnt(5)
	v_mov_b32_e32 v16, v49
	ds_read_b128 v[4:7], v2 offset:688
	ds_read_b128 v[8:11], v2 offset:704
	ds_read_b64 v[12:13], v2 offset:720
	v_mov_b32_e32 v19, v17
	v_pk_mul_f32 v[16:17], v[34:35], v[16:17] op_sel_hi:[1,0]
	v_pk_add_f32 v[14:15], v[14:15], v[18:19]
	s_waitcnt vmcnt(4)
	v_pk_fma_f32 v[18:19], v[34:35], v[48:49], v[16:17] op_sel:[0,0,1] op_sel_hi:[1,1,0] neg_lo:[0,0,1] neg_hi:[0,0,1]
	v_pk_fma_f32 v[16:17], v[34:35], v[48:49], v[16:17] op_sel:[0,0,1] op_sel_hi:[1,0,0]
	v_mov_b32_e32 v16, v47
	v_mov_b32_e32 v19, v17
	s_waitcnt lgkmcnt(2)
	v_pk_mul_f32 v[16:17], v[4:5], v[16:17] op_sel_hi:[1,0]
	v_pk_add_f32 v[14:15], v[14:15], v[18:19]
	v_pk_fma_f32 v[18:19], v[4:5], v[46:47], v[16:17] op_sel:[0,0,1] op_sel_hi:[1,1,0] neg_lo:[0,0,1] neg_hi:[0,0,1]
	v_pk_fma_f32 v[4:5], v[4:5], v[46:47], v[16:17] op_sel:[0,0,1] op_sel_hi:[1,0,0]
	v_mov_b32_e32 v19, v5
	v_pk_add_f32 v[4:5], v[14:15], v[18:19]
	v_mov_b32_e32 v14, v45
	v_pk_mul_f32 v[14:15], v[6:7], v[14:15] op_sel_hi:[1,0]
	v_pk_fma_f32 v[16:17], v[6:7], v[44:45], v[14:15] op_sel:[0,0,1] op_sel_hi:[1,1,0] neg_lo:[0,0,1] neg_hi:[0,0,1]
	v_pk_fma_f32 v[6:7], v[6:7], v[44:45], v[14:15] op_sel:[0,0,1] op_sel_hi:[1,0,0]
	v_mov_b32_e32 v6, v43
	v_mov_b32_e32 v17, v7
	s_waitcnt lgkmcnt(1)
	v_pk_mul_f32 v[6:7], v[8:9], v[6:7] op_sel_hi:[1,0]
	v_pk_fma_f32 v[14:15], v[8:9], v[42:43], v[6:7] op_sel:[0,0,1] op_sel_hi:[1,1,0] neg_lo:[0,0,1] neg_hi:[0,0,1]
	v_pk_fma_f32 v[6:7], v[8:9], v[42:43], v[6:7] op_sel:[0,0,1] op_sel_hi:[1,0,0]
	s_waitcnt vmcnt(1)
	v_mov_b32_e32 v6, v53
	v_mov_b32_e32 v15, v7
	v_pk_mul_f32 v[6:7], v[10:11], v[6:7] op_sel_hi:[1,0]
	s_waitcnt vmcnt(0)
	v_pk_fma_f32 v[8:9], v[10:11], v[52:53], v[6:7] op_sel:[0,0,1] op_sel_hi:[1,1,0] neg_lo:[0,0,1] neg_hi:[0,0,1]
	v_pk_fma_f32 v[6:7], v[10:11], v[52:53], v[6:7] op_sel:[0,0,1] op_sel_hi:[1,0,0]
	v_pk_add_f32 v[4:5], v[4:5], v[16:17]
	v_mov_b32_e32 v6, v51
	v_pk_add_f32 v[4:5], v[4:5], v[14:15]
	v_mov_b32_e32 v9, v7
	s_waitcnt lgkmcnt(0)
	v_pk_mul_f32 v[6:7], v[12:13], v[6:7] op_sel_hi:[1,0]
	v_pk_add_f32 v[4:5], v[4:5], v[8:9]
	v_pk_fma_f32 v[8:9], v[12:13], v[50:51], v[6:7] op_sel:[0,0,1] op_sel_hi:[1,1,0] neg_lo:[0,0,1] neg_hi:[0,0,1]
	v_pk_fma_f32 v[6:7], v[12:13], v[50:51], v[6:7] op_sel:[0,0,1] op_sel_hi:[1,0,0]
	v_mov_b32_e32 v9, v7
	v_pk_add_f32 v[4:5], v[4:5], v[8:9]
	v_pk_add_f32 v[4:5], v[36:37], v[4:5] neg_lo:[0,1] neg_hi:[0,1]
	buffer_store_dword v5, off, s[0:3], 0 offset:188
	buffer_store_dword v4, off, s[0:3], 0 offset:184
	s_and_saveexec_b64 s[4:5], vcc
	s_cbranch_execz .LBB108_239
; %bb.238:
	buffer_load_dword v4, off, s[0:3], 0 offset:176
	buffer_load_dword v5, off, s[0:3], 0 offset:180
	s_waitcnt vmcnt(0)
	ds_write_b64 v1, v[4:5]
	buffer_store_dword v2, off, s[0:3], 0 offset:176
	buffer_store_dword v2, off, s[0:3], 0 offset:180
.LBB108_239:
	s_or_b64 exec, exec, s[4:5]
	s_waitcnt lgkmcnt(0)
	; wave barrier
	s_waitcnt lgkmcnt(0)
	buffer_load_dword v3, off, s[0:3], 0 offset:188
	buffer_load_dword v54, off, s[0:3], 0 offset:196
	;; [unrolled: 1-line block ×30, first 2 shown]
	ds_read2_b64 v[4:7], v2 offset0:69 offset1:70
	ds_read2_b64 v[8:11], v2 offset0:71 offset1:72
	ds_read2_b64 v[12:15], v2 offset0:73 offset1:74
	ds_read2_b64 v[16:19], v2 offset0:75 offset1:76
	ds_read2_b64 v[20:23], v2 offset0:77 offset1:78
	ds_read2_b64 v[24:27], v2 offset0:79 offset1:80
	buffer_load_dword v39, off, s[0:3], 0 offset:300
	buffer_load_dword v38, off, s[0:3], 0 offset:296
	ds_read2_b64 v[28:31], v2 offset0:81 offset1:82
	ds_read2_b64 v[32:35], v2 offset0:83 offset1:84
	buffer_load_dword v41, off, s[0:3], 0 offset:332
	buffer_load_dword v40, off, s[0:3], 0 offset:328
	;; [unrolled: 1-line block ×14, first 2 shown]
	v_cmp_lt_u32_e32 vcc, 21, v0
	s_waitcnt vmcnt(45) lgkmcnt(7)
	v_mul_f32_e32 v57, v4, v3
	v_mul_f32_e32 v3, v5, v3
	s_waitcnt vmcnt(44)
	v_mul_f32_e32 v59, v6, v54
	s_waitcnt vmcnt(43) lgkmcnt(6)
	v_mul_f32_e32 v174, v8, v56
	s_waitcnt vmcnt(42)
	v_mul_f32_e32 v175, v10, v58
	s_waitcnt vmcnt(41) lgkmcnt(5)
	v_mul_f32_e32 v176, v12, v60
	s_waitcnt vmcnt(40)
	v_mul_f32_e32 v177, v14, v61
	s_waitcnt vmcnt(39) lgkmcnt(4)
	v_mul_f32_e32 v178, v16, v62
	s_waitcnt vmcnt(38)
	v_mul_f32_e32 v179, v18, v63
	s_waitcnt vmcnt(37) lgkmcnt(3)
	v_mul_f32_e32 v180, v20, v64
	s_waitcnt vmcnt(36)
	v_mul_f32_e32 v181, v22, v65
	s_waitcnt vmcnt(35) lgkmcnt(2)
	v_mul_f32_e32 v182, v24, v156
	s_waitcnt vmcnt(34)
	v_mul_f32_e32 v183, v26, v157
	s_waitcnt vmcnt(32)
	v_fma_f32 v3, v4, v159, -v3
	v_mul_f32_e32 v4, v7, v54
	v_add_f32_e32 v3, 0, v3
	s_waitcnt vmcnt(31)
	v_fma_f32 v4, v6, v160, -v4
	v_add_f32_e32 v3, v3, v4
	v_mul_f32_e32 v4, v9, v56
	s_waitcnt vmcnt(30)
	v_fma_f32 v4, v8, v161, -v4
	v_add_f32_e32 v3, v3, v4
	v_mul_f32_e32 v4, v11, v58
	s_waitcnt vmcnt(29)
	v_fma_f32 v4, v10, v162, -v4
	v_add_f32_e32 v3, v3, v4
	v_mul_f32_e32 v4, v13, v60
	s_waitcnt vmcnt(28)
	v_fma_f32 v4, v12, v163, -v4
	v_add_f32_e32 v3, v3, v4
	v_mul_f32_e32 v4, v15, v61
	s_waitcnt vmcnt(27)
	v_fma_f32 v4, v14, v164, -v4
	v_add_f32_e32 v3, v3, v4
	v_mul_f32_e32 v4, v17, v62
	v_fmac_f32_e32 v57, v5, v159
	s_waitcnt vmcnt(26)
	v_fma_f32 v4, v16, v165, -v4
	v_fmac_f32_e32 v59, v7, v160
	v_add_f32_e32 v57, 0, v57
	v_add_f32_e32 v3, v3, v4
	v_mul_f32_e32 v4, v19, v63
	v_fmac_f32_e32 v174, v9, v161
	v_add_f32_e32 v57, v57, v59
	s_waitcnt vmcnt(25)
	v_fma_f32 v4, v18, v166, -v4
	v_fmac_f32_e32 v175, v11, v162
	v_add_f32_e32 v57, v57, v174
	v_add_f32_e32 v3, v3, v4
	v_mul_f32_e32 v4, v21, v64
	v_fmac_f32_e32 v176, v13, v163
	v_add_f32_e32 v57, v57, v175
	;; [unrolled: 8-line block ×5, first 2 shown]
	s_waitcnt vmcnt(21)
	v_fma_f32 v4, v26, v170, -v4
	s_waitcnt vmcnt(15)
	v_mov_b32_e32 v16, v39
	s_waitcnt lgkmcnt(1)
	v_mul_f32_e32 v55, v28, v158
	v_fmac_f32_e32 v183, v27, v170
	v_add_f32_e32 v57, v57, v182
	v_add_f32_e32 v56, v3, v4
	v_mul_f32_e32 v3, v29, v158
	s_waitcnt lgkmcnt(0)
	v_pk_mul_f32 v[16:17], v[32:33], v[16:17] op_sel_hi:[1,0]
	v_fmac_f32_e32 v55, v29, v171
	v_add_f32_e32 v57, v57, v183
	v_mul_f32_e32 v59, v30, v172
	v_fma_f32 v54, v28, v171, -v3
	v_mul_f32_e32 v3, v31, v172
	s_waitcnt vmcnt(14)
	v_pk_fma_f32 v[18:19], v[32:33], v[38:39], v[16:17] op_sel:[0,0,1] op_sel_hi:[1,1,0] neg_lo:[0,0,1] neg_hi:[0,0,1]
	v_pk_fma_f32 v[16:17], v[32:33], v[38:39], v[16:17] op_sel:[0,0,1] op_sel_hi:[1,0,0]
	v_fmac_f32_e32 v59, v31, v173
	v_fma_f32 v58, v30, v173, -v3
	ds_read2_b64 v[4:7], v2 offset0:85 offset1:86
	ds_read2_b64 v[8:11], v2 offset0:87 offset1:88
	;; [unrolled: 1-line block ×3, first 2 shown]
	v_pk_add_f32 v[2:3], v[56:57], v[54:55]
	s_waitcnt vmcnt(7)
	v_mov_b32_e32 v16, v47
	v_pk_add_f32 v[2:3], v[2:3], v[58:59]
	v_mov_b32_e32 v19, v17
	v_pk_mul_f32 v[16:17], v[34:35], v[16:17] op_sel_hi:[1,0]
	v_pk_add_f32 v[2:3], v[2:3], v[18:19]
	s_waitcnt vmcnt(6)
	v_pk_fma_f32 v[18:19], v[34:35], v[46:47], v[16:17] op_sel:[0,0,1] op_sel_hi:[1,1,0] neg_lo:[0,0,1] neg_hi:[0,0,1]
	v_pk_fma_f32 v[16:17], v[34:35], v[46:47], v[16:17] op_sel:[0,0,1] op_sel_hi:[1,0,0]
	v_mov_b32_e32 v16, v45
	v_mov_b32_e32 v19, v17
	s_waitcnt lgkmcnt(2)
	v_pk_mul_f32 v[16:17], v[4:5], v[16:17] op_sel_hi:[1,0]
	v_pk_add_f32 v[2:3], v[2:3], v[18:19]
	v_pk_fma_f32 v[18:19], v[4:5], v[44:45], v[16:17] op_sel:[0,0,1] op_sel_hi:[1,1,0] neg_lo:[0,0,1] neg_hi:[0,0,1]
	v_pk_fma_f32 v[4:5], v[4:5], v[44:45], v[16:17] op_sel:[0,0,1] op_sel_hi:[1,0,0]
	v_mov_b32_e32 v4, v43
	v_mov_b32_e32 v19, v5
	v_pk_mul_f32 v[4:5], v[6:7], v[4:5] op_sel_hi:[1,0]
	v_pk_fma_f32 v[16:17], v[6:7], v[42:43], v[4:5] op_sel:[0,0,1] op_sel_hi:[1,1,0] neg_lo:[0,0,1] neg_hi:[0,0,1]
	v_pk_fma_f32 v[4:5], v[6:7], v[42:43], v[4:5] op_sel:[0,0,1] op_sel_hi:[1,0,0]
	v_mov_b32_e32 v4, v41
	v_mov_b32_e32 v17, v5
	s_waitcnt lgkmcnt(1)
	v_pk_mul_f32 v[4:5], v[8:9], v[4:5] op_sel_hi:[1,0]
	v_pk_fma_f32 v[6:7], v[8:9], v[40:41], v[4:5] op_sel:[0,0,1] op_sel_hi:[1,1,0] neg_lo:[0,0,1] neg_hi:[0,0,1]
	v_pk_fma_f32 v[4:5], v[8:9], v[40:41], v[4:5] op_sel:[0,0,1] op_sel_hi:[1,0,0]
	v_pk_add_f32 v[2:3], v[2:3], v[18:19]
	s_waitcnt vmcnt(1)
	v_mov_b32_e32 v4, v53
	v_pk_add_f32 v[2:3], v[2:3], v[16:17]
	v_mov_b32_e32 v7, v5
	v_pk_mul_f32 v[4:5], v[10:11], v[4:5] op_sel_hi:[1,0]
	v_pk_add_f32 v[2:3], v[2:3], v[6:7]
	s_waitcnt vmcnt(0)
	v_pk_fma_f32 v[6:7], v[10:11], v[52:53], v[4:5] op_sel:[0,0,1] op_sel_hi:[1,1,0] neg_lo:[0,0,1] neg_hi:[0,0,1]
	v_pk_fma_f32 v[4:5], v[10:11], v[52:53], v[4:5] op_sel:[0,0,1] op_sel_hi:[1,0,0]
	v_mov_b32_e32 v4, v51
	v_mov_b32_e32 v7, v5
	s_waitcnt lgkmcnt(0)
	v_pk_mul_f32 v[4:5], v[12:13], v[4:5] op_sel_hi:[1,0]
	v_pk_add_f32 v[2:3], v[2:3], v[6:7]
	v_pk_fma_f32 v[6:7], v[12:13], v[50:51], v[4:5] op_sel:[0,0,1] op_sel_hi:[1,1,0] neg_lo:[0,0,1] neg_hi:[0,0,1]
	v_pk_fma_f32 v[4:5], v[12:13], v[50:51], v[4:5] op_sel:[0,0,1] op_sel_hi:[1,0,0]
	v_mov_b32_e32 v4, v49
	v_mov_b32_e32 v7, v5
	v_pk_mul_f32 v[4:5], v[14:15], v[4:5] op_sel_hi:[1,0]
	v_pk_add_f32 v[2:3], v[2:3], v[6:7]
	v_pk_fma_f32 v[6:7], v[14:15], v[48:49], v[4:5] op_sel:[0,0,1] op_sel_hi:[1,1,0] neg_lo:[0,0,1] neg_hi:[0,0,1]
	v_pk_fma_f32 v[4:5], v[14:15], v[48:49], v[4:5] op_sel:[0,0,1] op_sel_hi:[1,0,0]
	v_mov_b32_e32 v7, v5
	v_pk_add_f32 v[2:3], v[2:3], v[6:7]
	v_pk_add_f32 v[2:3], v[36:37], v[2:3] neg_lo:[0,1] neg_hi:[0,1]
	buffer_store_dword v3, off, s[0:3], 0 offset:180
	buffer_store_dword v2, off, s[0:3], 0 offset:176
	s_and_saveexec_b64 s[4:5], vcc
	s_cbranch_execz .LBB108_241
; %bb.240:
	buffer_load_dword v2, off, s[0:3], 0 offset:168
	buffer_load_dword v3, off, s[0:3], 0 offset:172
	v_mov_b32_e32 v4, 0
	buffer_store_dword v4, off, s[0:3], 0 offset:168
	buffer_store_dword v4, off, s[0:3], 0 offset:172
	s_waitcnt vmcnt(2)
	ds_write_b64 v1, v[2:3]
.LBB108_241:
	s_or_b64 exec, exec, s[4:5]
	s_waitcnt lgkmcnt(0)
	; wave barrier
	s_waitcnt lgkmcnt(0)
	buffer_load_dword v3, off, s[0:3], 0 offset:180
	buffer_load_dword v52, off, s[0:3], 0 offset:188
	buffer_load_dword v56, off, s[0:3], 0 offset:196
	buffer_load_dword v58, off, s[0:3], 0 offset:204
	buffer_load_dword v60, off, s[0:3], 0 offset:212
	buffer_load_dword v61, off, s[0:3], 0 offset:220
	buffer_load_dword v62, off, s[0:3], 0 offset:228
	buffer_load_dword v63, off, s[0:3], 0 offset:236
	buffer_load_dword v64, off, s[0:3], 0 offset:244
	buffer_load_dword v65, off, s[0:3], 0 offset:252
	buffer_load_dword v156, off, s[0:3], 0 offset:260
	buffer_load_dword v157, off, s[0:3], 0 offset:268
	buffer_load_dword v158, off, s[0:3], 0 offset:276
	buffer_load_dword v159, off, s[0:3], 0 offset:176
	buffer_load_dword v160, off, s[0:3], 0 offset:184
	buffer_load_dword v161, off, s[0:3], 0 offset:192
	buffer_load_dword v162, off, s[0:3], 0 offset:200
	buffer_load_dword v163, off, s[0:3], 0 offset:208
	buffer_load_dword v164, off, s[0:3], 0 offset:216
	buffer_load_dword v165, off, s[0:3], 0 offset:224
	buffer_load_dword v166, off, s[0:3], 0 offset:232
	buffer_load_dword v167, off, s[0:3], 0 offset:240
	buffer_load_dword v168, off, s[0:3], 0 offset:248
	buffer_load_dword v169, off, s[0:3], 0 offset:256
	buffer_load_dword v170, off, s[0:3], 0 offset:264
	buffer_load_dword v171, off, s[0:3], 0 offset:272
	buffer_load_dword v172, off, s[0:3], 0 offset:284
	buffer_load_dword v173, off, s[0:3], 0 offset:280
	buffer_load_dword v174, off, s[0:3], 0 offset:292
	buffer_load_dword v175, off, s[0:3], 0 offset:288
	buffer_load_dword v36, off, s[0:3], 0 offset:168
	buffer_load_dword v37, off, s[0:3], 0 offset:172
	v_mov_b32_e32 v2, 0
	buffer_load_dword v39, off, s[0:3], 0 offset:324
	buffer_load_dword v38, off, s[0:3], 0 offset:320
	;; [unrolled: 1-line block ×13, first 2 shown]
	ds_read_b128 v[4:7], v2 offset:544
	ds_read_b128 v[8:11], v2 offset:560
	;; [unrolled: 1-line block ×8, first 2 shown]
	v_cmp_lt_u32_e32 vcc, 20, v0
	s_waitcnt vmcnt(44) lgkmcnt(7)
	v_mul_f32_e32 v46, v4, v3
	s_waitcnt vmcnt(43)
	v_mul_f32_e32 v53, v6, v52
	s_waitcnt vmcnt(42) lgkmcnt(6)
	v_mul_f32_e32 v54, v8, v56
	s_waitcnt vmcnt(41)
	v_mul_f32_e32 v55, v10, v58
	;; [unrolled: 4-line block ×6, first 2 shown]
	s_waitcnt vmcnt(32) lgkmcnt(1)
	v_mul_f32_e32 v182, v28, v158
	s_waitcnt vmcnt(31)
	v_fmac_f32_e32 v46, v5, v159
	s_waitcnt vmcnt(30)
	v_fmac_f32_e32 v53, v7, v160
	v_add_f32_e32 v46, 0, v46
	s_waitcnt vmcnt(29)
	v_fmac_f32_e32 v54, v9, v161
	v_add_f32_e32 v46, v46, v53
	;; [unrolled: 3-line block ×12, first 2 shown]
	v_add_f32_e32 v53, v46, v182
	buffer_load_dword v55, off, s[0:3], 0 offset:340
	buffer_load_dword v54, off, s[0:3], 0 offset:336
	;; [unrolled: 1-line block ×3, first 2 shown]
	v_mul_f32_e32 v3, v5, v3
	v_fma_f32 v3, v4, v159, -v3
	v_mul_f32_e32 v4, v7, v52
	v_add_f32_e32 v3, 0, v3
	v_fma_f32 v4, v6, v160, -v4
	v_add_f32_e32 v3, v3, v4
	v_mul_f32_e32 v4, v9, v56
	v_fma_f32 v4, v8, v161, -v4
	v_add_f32_e32 v3, v3, v4
	v_mul_f32_e32 v4, v11, v58
	;; [unrolled: 3-line block ×11, first 2 shown]
	v_fma_f32 v4, v28, v171, -v4
	s_waitcnt vmcnt(9)
	v_mov_b32_e32 v20, v45
	v_mul_f32_e32 v57, v30, v172
	v_add_f32_e32 v52, v3, v4
	v_mul_f32_e32 v3, v31, v172
	s_waitcnt lgkmcnt(0)
	v_pk_mul_f32 v[20:21], v[34:35], v[20:21] op_sel_hi:[1,0]
	v_fmac_f32_e32 v57, v31, v173
	v_mul_f32_e32 v59, v32, v174
	v_fma_f32 v56, v30, v173, -v3
	v_mul_f32_e32 v3, v33, v174
	ds_read_b128 v[4:7], v2 offset:672
	ds_read_b128 v[8:11], v2 offset:688
	;; [unrolled: 1-line block ×3, first 2 shown]
	ds_read_b64 v[16:17], v2 offset:720
	s_waitcnt vmcnt(8)
	v_pk_fma_f32 v[22:23], v[34:35], v[44:45], v[20:21] op_sel:[0,0,1] op_sel_hi:[1,1,0] neg_lo:[0,0,1] neg_hi:[0,0,1]
	v_pk_fma_f32 v[20:21], v[34:35], v[44:45], v[20:21] op_sel:[0,0,1] op_sel_hi:[1,0,0]
	v_fmac_f32_e32 v59, v33, v175
	v_fma_f32 v58, v32, v175, -v3
	v_pk_add_f32 v[18:19], v[52:53], v[56:57]
	v_mov_b32_e32 v20, v43
	v_pk_add_f32 v[18:19], v[18:19], v[58:59]
	v_mov_b32_e32 v23, v21
	s_waitcnt lgkmcnt(3)
	v_pk_mul_f32 v[20:21], v[4:5], v[20:21] op_sel_hi:[1,0]
	v_pk_add_f32 v[18:19], v[18:19], v[22:23]
	v_pk_fma_f32 v[22:23], v[4:5], v[42:43], v[20:21] op_sel:[0,0,1] op_sel_hi:[1,1,0] neg_lo:[0,0,1] neg_hi:[0,0,1]
	v_pk_fma_f32 v[4:5], v[4:5], v[42:43], v[20:21] op_sel:[0,0,1] op_sel_hi:[1,0,0]
	v_mov_b32_e32 v23, v5
	v_pk_add_f32 v[4:5], v[18:19], v[22:23]
	v_mov_b32_e32 v18, v41
	v_pk_mul_f32 v[18:19], v[6:7], v[18:19] op_sel_hi:[1,0]
	v_pk_fma_f32 v[20:21], v[6:7], v[40:41], v[18:19] op_sel:[0,0,1] op_sel_hi:[1,1,0] neg_lo:[0,0,1] neg_hi:[0,0,1]
	v_pk_fma_f32 v[6:7], v[6:7], v[40:41], v[18:19] op_sel:[0,0,1] op_sel_hi:[1,0,0]
	v_mov_b32_e32 v6, v39
	v_mov_b32_e32 v21, v7
	s_waitcnt lgkmcnt(2)
	v_pk_mul_f32 v[6:7], v[8:9], v[6:7] op_sel_hi:[1,0]
	v_pk_fma_f32 v[18:19], v[8:9], v[38:39], v[6:7] op_sel:[0,0,1] op_sel_hi:[1,1,0] neg_lo:[0,0,1] neg_hi:[0,0,1]
	v_pk_fma_f32 v[6:7], v[8:9], v[38:39], v[6:7] op_sel:[0,0,1] op_sel_hi:[1,0,0]
	s_waitcnt vmcnt(7)
	v_mov_b32_e32 v6, v47
	v_mov_b32_e32 v19, v7
	v_pk_mul_f32 v[6:7], v[10:11], v[6:7] op_sel_hi:[1,0]
	v_pk_add_f32 v[4:5], v[4:5], v[20:21]
	v_pk_add_f32 v[4:5], v[4:5], v[18:19]
	s_waitcnt vmcnt(0)
	v_pk_fma_f32 v[8:9], v[10:11], v[46:47], v[6:7] op_sel:[0,0,1] op_sel_hi:[1,1,0] neg_lo:[0,0,1] neg_hi:[0,0,1]
	v_pk_fma_f32 v[6:7], v[10:11], v[46:47], v[6:7] op_sel:[0,0,1] op_sel_hi:[1,0,0]
	v_mov_b32_e32 v6, v55
	v_mov_b32_e32 v9, v7
	s_waitcnt lgkmcnt(1)
	v_pk_mul_f32 v[6:7], v[12:13], v[6:7] op_sel_hi:[1,0]
	v_pk_add_f32 v[4:5], v[4:5], v[8:9]
	v_pk_fma_f32 v[8:9], v[12:13], v[54:55], v[6:7] op_sel:[0,0,1] op_sel_hi:[1,1,0] neg_lo:[0,0,1] neg_hi:[0,0,1]
	v_pk_fma_f32 v[6:7], v[12:13], v[54:55], v[6:7] op_sel:[0,0,1] op_sel_hi:[1,0,0]
	v_mov_b32_e32 v6, v51
	v_mov_b32_e32 v9, v7
	v_pk_mul_f32 v[6:7], v[14:15], v[6:7] op_sel_hi:[1,0]
	v_pk_add_f32 v[4:5], v[4:5], v[8:9]
	v_pk_fma_f32 v[8:9], v[14:15], v[50:51], v[6:7] op_sel:[0,0,1] op_sel_hi:[1,1,0] neg_lo:[0,0,1] neg_hi:[0,0,1]
	v_pk_fma_f32 v[6:7], v[14:15], v[50:51], v[6:7] op_sel:[0,0,1] op_sel_hi:[1,0,0]
	v_mov_b32_e32 v6, v49
	v_mov_b32_e32 v9, v7
	s_waitcnt lgkmcnt(0)
	v_pk_mul_f32 v[6:7], v[16:17], v[6:7] op_sel_hi:[1,0]
	v_pk_add_f32 v[4:5], v[4:5], v[8:9]
	v_pk_fma_f32 v[8:9], v[16:17], v[48:49], v[6:7] op_sel:[0,0,1] op_sel_hi:[1,1,0] neg_lo:[0,0,1] neg_hi:[0,0,1]
	v_pk_fma_f32 v[6:7], v[16:17], v[48:49], v[6:7] op_sel:[0,0,1] op_sel_hi:[1,0,0]
	v_mov_b32_e32 v9, v7
	v_pk_add_f32 v[4:5], v[4:5], v[8:9]
	v_pk_add_f32 v[4:5], v[36:37], v[4:5] neg_lo:[0,1] neg_hi:[0,1]
	buffer_store_dword v5, off, s[0:3], 0 offset:172
	buffer_store_dword v4, off, s[0:3], 0 offset:168
	s_and_saveexec_b64 s[4:5], vcc
	s_cbranch_execz .LBB108_243
; %bb.242:
	buffer_load_dword v4, off, s[0:3], 0 offset:160
	buffer_load_dword v5, off, s[0:3], 0 offset:164
	s_waitcnt vmcnt(0)
	ds_write_b64 v1, v[4:5]
	buffer_store_dword v2, off, s[0:3], 0 offset:160
	buffer_store_dword v2, off, s[0:3], 0 offset:164
.LBB108_243:
	s_or_b64 exec, exec, s[4:5]
	s_waitcnt lgkmcnt(0)
	; wave barrier
	s_waitcnt lgkmcnt(0)
	buffer_load_dword v3, off, s[0:3], 0 offset:172
	buffer_load_dword v52, off, s[0:3], 0 offset:180
	buffer_load_dword v54, off, s[0:3], 0 offset:188
	buffer_load_dword v56, off, s[0:3], 0 offset:196
	buffer_load_dword v60, off, s[0:3], 0 offset:204
	buffer_load_dword v61, off, s[0:3], 0 offset:212
	buffer_load_dword v62, off, s[0:3], 0 offset:220
	buffer_load_dword v63, off, s[0:3], 0 offset:228
	buffer_load_dword v64, off, s[0:3], 0 offset:236
	buffer_load_dword v65, off, s[0:3], 0 offset:244
	buffer_load_dword v156, off, s[0:3], 0 offset:252
	buffer_load_dword v157, off, s[0:3], 0 offset:260
	buffer_load_dword v158, off, s[0:3], 0 offset:268
	buffer_load_dword v159, off, s[0:3], 0 offset:276
	buffer_load_dword v160, off, s[0:3], 0 offset:168
	buffer_load_dword v161, off, s[0:3], 0 offset:176
	buffer_load_dword v162, off, s[0:3], 0 offset:184
	buffer_load_dword v163, off, s[0:3], 0 offset:192
	buffer_load_dword v164, off, s[0:3], 0 offset:200
	buffer_load_dword v165, off, s[0:3], 0 offset:208
	buffer_load_dword v166, off, s[0:3], 0 offset:216
	buffer_load_dword v167, off, s[0:3], 0 offset:224
	buffer_load_dword v168, off, s[0:3], 0 offset:232
	buffer_load_dword v169, off, s[0:3], 0 offset:240
	buffer_load_dword v170, off, s[0:3], 0 offset:248
	buffer_load_dword v171, off, s[0:3], 0 offset:256
	buffer_load_dword v172, off, s[0:3], 0 offset:264
	buffer_load_dword v173, off, s[0:3], 0 offset:272
	buffer_load_dword v174, off, s[0:3], 0 offset:284
	buffer_load_dword v175, off, s[0:3], 0 offset:280
	buffer_load_dword v176, off, s[0:3], 0 offset:292
	buffer_load_dword v177, off, s[0:3], 0 offset:288
	buffer_load_dword v36, off, s[0:3], 0 offset:160
	buffer_load_dword v37, off, s[0:3], 0 offset:164
	ds_read2_b64 v[4:7], v2 offset0:67 offset1:68
	ds_read2_b64 v[8:11], v2 offset0:69 offset1:70
	;; [unrolled: 1-line block ×8, first 2 shown]
	buffer_load_dword v39, off, s[0:3], 0 offset:316
	buffer_load_dword v38, off, s[0:3], 0 offset:312
	;; [unrolled: 1-line block ×9, first 2 shown]
	v_cmp_lt_u32_e32 vcc, 19, v0
	s_waitcnt vmcnt(42) lgkmcnt(7)
	v_mul_f32_e32 v44, v4, v3
	s_waitcnt vmcnt(41)
	v_mul_f32_e32 v48, v6, v52
	s_waitcnt vmcnt(40) lgkmcnt(6)
	v_mul_f32_e32 v49, v8, v54
	s_waitcnt vmcnt(39)
	v_mul_f32_e32 v50, v10, v56
	;; [unrolled: 4-line block ×6, first 2 shown]
	s_waitcnt vmcnt(30) lgkmcnt(1)
	v_mul_f32_e32 v180, v28, v158
	v_mul_f32_e32 v3, v5, v3
	s_waitcnt vmcnt(28)
	v_fmac_f32_e32 v44, v5, v160
	s_waitcnt vmcnt(27)
	v_fmac_f32_e32 v48, v7, v161
	v_add_f32_e32 v44, 0, v44
	s_waitcnt vmcnt(26)
	v_fmac_f32_e32 v49, v9, v162
	v_add_f32_e32 v44, v44, v48
	;; [unrolled: 3-line block ×12, first 2 shown]
	v_add_f32_e32 v53, v44, v180
	buffer_load_dword v49, off, s[0:3], 0 offset:340
	buffer_load_dword v48, off, s[0:3], 0 offset:336
	;; [unrolled: 1-line block ×7, first 2 shown]
	v_fma_f32 v3, v4, v160, -v3
	v_mul_f32_e32 v4, v7, v52
	v_add_f32_e32 v3, 0, v3
	v_fma_f32 v4, v6, v161, -v4
	v_add_f32_e32 v3, v3, v4
	v_mul_f32_e32 v4, v9, v54
	v_fma_f32 v4, v8, v162, -v4
	v_add_f32_e32 v3, v3, v4
	v_mul_f32_e32 v4, v11, v56
	;; [unrolled: 3-line block ×12, first 2 shown]
	s_waitcnt vmcnt(22)
	v_fma_f32 v4, v30, v173, -v4
	v_add_f32_e32 v52, v3, v4
	ds_read2_b64 v[4:7], v2 offset0:83 offset1:84
	ds_read2_b64 v[8:11], v2 offset0:85 offset1:86
	;; [unrolled: 1-line block ×4, first 2 shown]
	s_waitcnt vmcnt(11)
	v_mov_b32_e32 v20, v43
	s_waitcnt lgkmcnt(3)
	v_pk_mul_f32 v[20:21], v[4:5], v[20:21] op_sel_hi:[1,0]
	s_waitcnt vmcnt(10)
	v_pk_fma_f32 v[22:23], v[4:5], v[42:43], v[20:21] op_sel:[0,0,1] op_sel_hi:[1,1,0] neg_lo:[0,0,1] neg_hi:[0,0,1]
	v_pk_fma_f32 v[4:5], v[4:5], v[42:43], v[20:21] op_sel:[0,0,1] op_sel_hi:[1,0,0]
	v_mov_b32_e32 v4, v41
	v_mul_f32_e32 v181, v30, v159
	v_mov_b32_e32 v23, v5
	v_pk_mul_f32 v[4:5], v[6:7], v[4:5] op_sel_hi:[1,0]
	v_fmac_f32_e32 v181, v31, v173
	v_mul_f32_e32 v55, v32, v174
	v_mul_f32_e32 v3, v33, v174
	v_pk_fma_f32 v[20:21], v[6:7], v[40:41], v[4:5] op_sel:[0,0,1] op_sel_hi:[1,1,0] neg_lo:[0,0,1] neg_hi:[0,0,1]
	v_pk_fma_f32 v[4:5], v[6:7], v[40:41], v[4:5] op_sel:[0,0,1] op_sel_hi:[1,0,0]
	v_add_f32_e32 v53, v53, v181
	v_fmac_f32_e32 v55, v33, v175
	v_mul_f32_e32 v57, v34, v176
	v_fma_f32 v54, v32, v175, -v3
	v_mul_f32_e32 v3, v35, v176
	v_mov_b32_e32 v4, v39
	v_fmac_f32_e32 v57, v35, v177
	v_fma_f32 v56, v34, v177, -v3
	v_pk_add_f32 v[2:3], v[52:53], v[54:55]
	v_mov_b32_e32 v21, v5
	s_waitcnt lgkmcnt(2)
	v_pk_mul_f32 v[4:5], v[8:9], v[4:5] op_sel_hi:[1,0]
	v_pk_add_f32 v[2:3], v[2:3], v[56:57]
	v_pk_fma_f32 v[6:7], v[8:9], v[38:39], v[4:5] op_sel:[0,0,1] op_sel_hi:[1,1,0] neg_lo:[0,0,1] neg_hi:[0,0,1]
	v_pk_fma_f32 v[4:5], v[8:9], v[38:39], v[4:5] op_sel:[0,0,1] op_sel_hi:[1,0,0]
	v_pk_add_f32 v[2:3], v[2:3], v[22:23]
	s_waitcnt vmcnt(9)
	v_mov_b32_e32 v4, v45
	v_pk_add_f32 v[2:3], v[2:3], v[20:21]
	v_mov_b32_e32 v7, v5
	v_pk_mul_f32 v[4:5], v[10:11], v[4:5] op_sel_hi:[1,0]
	v_pk_add_f32 v[2:3], v[2:3], v[6:7]
	s_waitcnt vmcnt(2)
	v_pk_fma_f32 v[6:7], v[10:11], v[44:45], v[4:5] op_sel:[0,0,1] op_sel_hi:[1,1,0] neg_lo:[0,0,1] neg_hi:[0,0,1]
	v_pk_fma_f32 v[4:5], v[10:11], v[44:45], v[4:5] op_sel:[0,0,1] op_sel_hi:[1,0,0]
	v_mov_b32_e32 v4, v51
	v_mov_b32_e32 v7, v5
	s_waitcnt lgkmcnt(1)
	v_pk_mul_f32 v[4:5], v[12:13], v[4:5] op_sel_hi:[1,0]
	v_pk_add_f32 v[2:3], v[2:3], v[6:7]
	v_pk_fma_f32 v[6:7], v[12:13], v[50:51], v[4:5] op_sel:[0,0,1] op_sel_hi:[1,1,0] neg_lo:[0,0,1] neg_hi:[0,0,1]
	v_pk_fma_f32 v[4:5], v[12:13], v[50:51], v[4:5] op_sel:[0,0,1] op_sel_hi:[1,0,0]
	v_mov_b32_e32 v4, v49
	v_mov_b32_e32 v7, v5
	v_pk_mul_f32 v[4:5], v[14:15], v[4:5] op_sel_hi:[1,0]
	v_pk_add_f32 v[2:3], v[2:3], v[6:7]
	v_pk_fma_f32 v[6:7], v[14:15], v[48:49], v[4:5] op_sel:[0,0,1] op_sel_hi:[1,1,0] neg_lo:[0,0,1] neg_hi:[0,0,1]
	v_pk_fma_f32 v[4:5], v[14:15], v[48:49], v[4:5] op_sel:[0,0,1] op_sel_hi:[1,0,0]
	v_mov_b32_e32 v4, v47
	v_mov_b32_e32 v7, v5
	s_waitcnt lgkmcnt(0)
	v_pk_mul_f32 v[4:5], v[16:17], v[4:5] op_sel_hi:[1,0]
	v_pk_add_f32 v[2:3], v[2:3], v[6:7]
	v_pk_fma_f32 v[6:7], v[16:17], v[46:47], v[4:5] op_sel:[0,0,1] op_sel_hi:[1,1,0] neg_lo:[0,0,1] neg_hi:[0,0,1]
	v_pk_fma_f32 v[4:5], v[16:17], v[46:47], v[4:5] op_sel:[0,0,1] op_sel_hi:[1,0,0]
	s_waitcnt vmcnt(1)
	v_mov_b32_e32 v4, v59
	v_mov_b32_e32 v7, v5
	v_pk_mul_f32 v[4:5], v[18:19], v[4:5] op_sel_hi:[1,0]
	v_pk_add_f32 v[2:3], v[2:3], v[6:7]
	s_waitcnt vmcnt(0)
	v_pk_fma_f32 v[6:7], v[18:19], v[58:59], v[4:5] op_sel:[0,0,1] op_sel_hi:[1,1,0] neg_lo:[0,0,1] neg_hi:[0,0,1]
	v_pk_fma_f32 v[4:5], v[18:19], v[58:59], v[4:5] op_sel:[0,0,1] op_sel_hi:[1,0,0]
	v_mov_b32_e32 v7, v5
	v_pk_add_f32 v[2:3], v[2:3], v[6:7]
	v_pk_add_f32 v[2:3], v[36:37], v[2:3] neg_lo:[0,1] neg_hi:[0,1]
	buffer_store_dword v3, off, s[0:3], 0 offset:164
	buffer_store_dword v2, off, s[0:3], 0 offset:160
	s_and_saveexec_b64 s[4:5], vcc
	s_cbranch_execz .LBB108_245
; %bb.244:
	buffer_load_dword v2, off, s[0:3], 0 offset:152
	buffer_load_dword v3, off, s[0:3], 0 offset:156
	v_mov_b32_e32 v4, 0
	buffer_store_dword v4, off, s[0:3], 0 offset:152
	buffer_store_dword v4, off, s[0:3], 0 offset:156
	s_waitcnt vmcnt(2)
	ds_write_b64 v1, v[2:3]
.LBB108_245:
	s_or_b64 exec, exec, s[4:5]
	s_waitcnt lgkmcnt(0)
	; wave barrier
	s_waitcnt lgkmcnt(0)
	buffer_load_dword v5, off, s[0:3], 0 offset:164
	buffer_load_dword v58, off, s[0:3], 0 offset:172
	;; [unrolled: 1-line block ×36, first 2 shown]
	v_mov_b32_e32 v4, 0
	buffer_load_dword v47, off, s[0:3], 0 offset:308
	buffer_load_dword v46, off, s[0:3], 0 offset:304
	;; [unrolled: 1-line block ×5, first 2 shown]
	ds_read_b128 v[6:9], v4 offset:528
	ds_read_b128 v[10:13], v4 offset:544
	;; [unrolled: 1-line block ×8, first 2 shown]
	v_cmp_lt_u32_e32 vcc, 18, v0
	s_waitcnt vmcnt(40) lgkmcnt(7)
	v_mul_f32_e32 v38, v6, v5
	s_waitcnt vmcnt(39)
	v_mul_f32_e32 v39, v8, v58
	s_waitcnt vmcnt(38) lgkmcnt(6)
	v_mul_f32_e32 v40, v10, v60
	s_waitcnt vmcnt(37)
	v_mul_f32_e32 v41, v12, v62
	;; [unrolled: 4-line block ×7, first 2 shown]
	s_waitcnt vmcnt(26) lgkmcnt(0)
	v_mul_f32_e32 v59, v34, v168
	s_waitcnt vmcnt(25)
	v_fmac_f32_e32 v38, v7, v169
	s_waitcnt vmcnt(24)
	v_fmac_f32_e32 v39, v9, v170
	v_add_f32_e32 v38, 0, v38
	s_waitcnt vmcnt(23)
	v_fmac_f32_e32 v40, v11, v171
	v_add_f32_e32 v38, v38, v39
	;; [unrolled: 3-line block ×13, first 2 shown]
	v_add_f32_e32 v42, v38, v56
	buffer_load_dword v53, off, s[0:3], 0 offset:340
	buffer_load_dword v52, off, s[0:3], 0 offset:336
	;; [unrolled: 1-line block ×7, first 2 shown]
	s_waitcnt vmcnt(18)
	v_fmac_f32_e32 v59, v35, v183
	ds_read_b128 v[38:41], v4 offset:656
	v_add_f32_e32 v59, v42, v59
	ds_read_b128 v[42:45], v4 offset:672
	buffer_load_dword v65, off, s[0:3], 0 offset:356
	buffer_load_dword v64, off, s[0:3], 0 offset:352
	;; [unrolled: 1-line block ×4, first 2 shown]
	v_mul_f32_e32 v5, v7, v5
	v_fma_f32 v5, v6, v169, -v5
	v_mul_f32_e32 v6, v9, v58
	v_add_f32_e32 v5, 0, v5
	v_fma_f32 v6, v8, v170, -v6
	v_add_f32_e32 v5, v5, v6
	v_mul_f32_e32 v6, v11, v60
	v_fma_f32 v6, v10, v171, -v6
	v_add_f32_e32 v5, v5, v6
	v_mul_f32_e32 v6, v13, v62
	;; [unrolled: 3-line block ×13, first 2 shown]
	v_fma_f32 v6, v34, v183, -v6
	s_waitcnt vmcnt(13)
	v_mov_b32_e32 v18, v49
	v_mul_f32_e32 v61, v36, v184
	v_add_f32_e32 v58, v5, v6
	v_mul_f32_e32 v5, v37, v184
	s_waitcnt lgkmcnt(1)
	v_pk_mul_f32 v[18:19], v[40:41], v[18:19] op_sel_hi:[1,0]
	v_fmac_f32_e32 v61, v37, v185
	v_mul_f32_e32 v63, v38, v186
	v_fma_f32 v60, v36, v185, -v5
	v_mul_f32_e32 v5, v39, v186
	s_waitcnt vmcnt(12)
	v_pk_fma_f32 v[20:21], v[40:41], v[48:49], v[18:19] op_sel:[0,0,1] op_sel_hi:[1,1,0] neg_lo:[0,0,1] neg_hi:[0,0,1]
	v_pk_fma_f32 v[18:19], v[40:41], v[48:49], v[18:19] op_sel:[0,0,1] op_sel_hi:[1,0,0]
	v_fmac_f32_e32 v63, v39, v187
	v_fma_f32 v62, v38, v187, -v5
	v_pk_add_f32 v[16:17], v[58:59], v[60:61]
	v_mov_b32_e32 v18, v47
	v_pk_add_f32 v[16:17], v[16:17], v[62:63]
	v_mov_b32_e32 v21, v19
	s_waitcnt lgkmcnt(0)
	v_pk_mul_f32 v[18:19], v[42:43], v[18:19] op_sel_hi:[1,0]
	v_pk_add_f32 v[16:17], v[16:17], v[20:21]
	v_pk_fma_f32 v[20:21], v[42:43], v[46:47], v[18:19] op_sel:[0,0,1] op_sel_hi:[1,1,0] neg_lo:[0,0,1] neg_hi:[0,0,1]
	v_pk_fma_f32 v[18:19], v[42:43], v[46:47], v[18:19] op_sel:[0,0,1] op_sel_hi:[1,0,0]
	s_waitcnt vmcnt(11)
	v_mov_b32_e32 v18, v51
	ds_read_b128 v[6:9], v4 offset:688
	ds_read_b128 v[10:13], v4 offset:704
	ds_read_b64 v[14:15], v4 offset:720
	v_mov_b32_e32 v21, v19
	v_pk_mul_f32 v[18:19], v[44:45], v[18:19] op_sel_hi:[1,0]
	v_pk_add_f32 v[16:17], v[16:17], v[20:21]
	s_waitcnt vmcnt(4)
	v_pk_fma_f32 v[20:21], v[44:45], v[50:51], v[18:19] op_sel:[0,0,1] op_sel_hi:[1,1,0] neg_lo:[0,0,1] neg_hi:[0,0,1]
	v_pk_fma_f32 v[18:19], v[44:45], v[50:51], v[18:19] op_sel:[0,0,1] op_sel_hi:[1,0,0]
	v_mov_b32_e32 v18, v57
	v_mov_b32_e32 v21, v19
	s_waitcnt lgkmcnt(2)
	v_pk_mul_f32 v[18:19], v[6:7], v[18:19] op_sel_hi:[1,0]
	v_pk_add_f32 v[16:17], v[16:17], v[20:21]
	v_pk_fma_f32 v[20:21], v[6:7], v[56:57], v[18:19] op_sel:[0,0,1] op_sel_hi:[1,1,0] neg_lo:[0,0,1] neg_hi:[0,0,1]
	v_pk_fma_f32 v[6:7], v[6:7], v[56:57], v[18:19] op_sel:[0,0,1] op_sel_hi:[1,0,0]
	v_mov_b32_e32 v21, v7
	v_pk_add_f32 v[6:7], v[16:17], v[20:21]
	v_mov_b32_e32 v16, v55
	v_pk_mul_f32 v[16:17], v[8:9], v[16:17] op_sel_hi:[1,0]
	v_pk_fma_f32 v[18:19], v[8:9], v[54:55], v[16:17] op_sel:[0,0,1] op_sel_hi:[1,1,0] neg_lo:[0,0,1] neg_hi:[0,0,1]
	v_pk_fma_f32 v[8:9], v[8:9], v[54:55], v[16:17] op_sel:[0,0,1] op_sel_hi:[1,0,0]
	v_mov_b32_e32 v8, v53
	v_mov_b32_e32 v19, v9
	s_waitcnt lgkmcnt(1)
	v_pk_mul_f32 v[8:9], v[10:11], v[8:9] op_sel_hi:[1,0]
	v_pk_fma_f32 v[16:17], v[10:11], v[52:53], v[8:9] op_sel:[0,0,1] op_sel_hi:[1,1,0] neg_lo:[0,0,1] neg_hi:[0,0,1]
	v_pk_fma_f32 v[8:9], v[10:11], v[52:53], v[8:9] op_sel:[0,0,1] op_sel_hi:[1,0,0]
	s_waitcnt vmcnt(1)
	v_mov_b32_e32 v8, v157
	v_mov_b32_e32 v17, v9
	v_pk_mul_f32 v[8:9], v[12:13], v[8:9] op_sel_hi:[1,0]
	s_waitcnt vmcnt(0)
	v_pk_fma_f32 v[10:11], v[12:13], v[156:157], v[8:9] op_sel:[0,0,1] op_sel_hi:[1,1,0] neg_lo:[0,0,1] neg_hi:[0,0,1]
	v_pk_fma_f32 v[8:9], v[12:13], v[156:157], v[8:9] op_sel:[0,0,1] op_sel_hi:[1,0,0]
	v_pk_add_f32 v[6:7], v[6:7], v[18:19]
	v_mov_b32_e32 v8, v65
	v_pk_add_f32 v[6:7], v[6:7], v[16:17]
	v_mov_b32_e32 v11, v9
	s_waitcnt lgkmcnt(0)
	v_pk_mul_f32 v[8:9], v[14:15], v[8:9] op_sel_hi:[1,0]
	v_pk_add_f32 v[6:7], v[6:7], v[10:11]
	v_pk_fma_f32 v[10:11], v[14:15], v[64:65], v[8:9] op_sel:[0,0,1] op_sel_hi:[1,1,0] neg_lo:[0,0,1] neg_hi:[0,0,1]
	v_pk_fma_f32 v[8:9], v[14:15], v[64:65], v[8:9] op_sel:[0,0,1] op_sel_hi:[1,0,0]
	v_mov_b32_e32 v11, v9
	v_pk_add_f32 v[6:7], v[6:7], v[10:11]
	v_pk_add_f32 v[2:3], v[2:3], v[6:7] neg_lo:[0,1] neg_hi:[0,1]
	buffer_store_dword v3, off, s[0:3], 0 offset:156
	buffer_store_dword v2, off, s[0:3], 0 offset:152
	s_and_saveexec_b64 s[4:5], vcc
	s_cbranch_execz .LBB108_247
; %bb.246:
	buffer_load_dword v2, off, s[0:3], 0 offset:144
	buffer_load_dword v3, off, s[0:3], 0 offset:148
	s_waitcnt vmcnt(0)
	ds_write_b64 v1, v[2:3]
	buffer_store_dword v4, off, s[0:3], 0 offset:144
	buffer_store_dword v4, off, s[0:3], 0 offset:148
.LBB108_247:
	s_or_b64 exec, exec, s[4:5]
	s_waitcnt lgkmcnt(0)
	; wave barrier
	s_waitcnt lgkmcnt(0)
	buffer_load_dword v2, off, s[0:3], 0 offset:156
	buffer_load_dword v3, off, s[0:3], 0 offset:164
	;; [unrolled: 1-line block ×38, first 2 shown]
	ds_read2_b64 v[6:9], v4 offset0:65 offset1:66
	ds_read2_b64 v[10:13], v4 offset0:67 offset1:68
	;; [unrolled: 1-line block ×8, first 2 shown]
	buffer_load_dword v49, off, s[0:3], 0 offset:300
	buffer_load_dword v48, off, s[0:3], 0 offset:296
	;; [unrolled: 1-line block ×4, first 2 shown]
	v_cmp_lt_u32_e32 vcc, 17, v0
	s_waitcnt vmcnt(41) lgkmcnt(7)
	v_mul_f32_e32 v38, v6, v2
	s_waitcnt vmcnt(40)
	v_mul_f32_e32 v39, v8, v3
	s_waitcnt vmcnt(39) lgkmcnt(6)
	v_mul_f32_e32 v40, v10, v5
	s_waitcnt vmcnt(38)
	v_mul_f32_e32 v41, v12, v58
	;; [unrolled: 4-line block ×7, first 2 shown]
	s_waitcnt vmcnt(27) lgkmcnt(0)
	v_mul_f32_e32 v59, v34, v168
	s_waitcnt vmcnt(26)
	v_fmac_f32_e32 v38, v7, v169
	s_waitcnt vmcnt(25)
	v_fmac_f32_e32 v39, v9, v170
	v_add_f32_e32 v38, 0, v38
	s_waitcnt vmcnt(24)
	v_fmac_f32_e32 v40, v11, v171
	v_add_f32_e32 v38, v38, v39
	;; [unrolled: 3-line block ×13, first 2 shown]
	v_add_f32_e32 v38, v38, v57
	buffer_load_dword v53, off, s[0:3], 0 offset:324
	buffer_load_dword v52, off, s[0:3], 0 offset:320
	;; [unrolled: 1-line block ×6, first 2 shown]
	s_waitcnt vmcnt(18)
	v_fmac_f32_e32 v59, v35, v183
	s_waitcnt vmcnt(17)
	v_mul_f32_e32 v43, v36, v184
	v_add_f32_e32 v42, v38, v59
	s_waitcnt vmcnt(16)
	v_fmac_f32_e32 v43, v37, v185
	ds_read2_b64 v[38:41], v4 offset0:81 offset1:82
	v_add_f32_e32 v59, v42, v43
	ds_read2_b64 v[42:45], v4 offset0:83 offset1:84
	buffer_load_dword v65, off, s[0:3], 0 offset:356
	buffer_load_dword v64, off, s[0:3], 0 offset:352
	;; [unrolled: 1-line block ×6, first 2 shown]
	v_mul_f32_e32 v2, v7, v2
	v_fma_f32 v2, v6, v169, -v2
	v_mul_f32_e32 v3, v9, v3
	v_add_f32_e32 v2, 0, v2
	v_fma_f32 v3, v8, v170, -v3
	v_add_f32_e32 v2, v2, v3
	v_mul_f32_e32 v3, v11, v5
	v_fma_f32 v3, v10, v171, -v3
	v_add_f32_e32 v2, v2, v3
	v_mul_f32_e32 v3, v13, v58
	;; [unrolled: 3-line block ×14, first 2 shown]
	v_fma_f32 v3, v36, v185, -v3
	s_waitcnt vmcnt(15)
	v_mov_b32_e32 v16, v49
	s_waitcnt lgkmcnt(1)
	v_mul_f32_e32 v61, v38, v186
	v_add_f32_e32 v58, v2, v3
	v_mul_f32_e32 v2, v39, v186
	s_waitcnt lgkmcnt(0)
	v_pk_mul_f32 v[16:17], v[42:43], v[16:17] op_sel_hi:[1,0]
	v_fmac_f32_e32 v61, v39, v187
	v_mul_f32_e32 v63, v40, v188
	v_fma_f32 v60, v38, v187, -v2
	v_mul_f32_e32 v2, v41, v188
	s_waitcnt vmcnt(14)
	v_pk_fma_f32 v[18:19], v[42:43], v[48:49], v[16:17] op_sel:[0,0,1] op_sel_hi:[1,1,0] neg_lo:[0,0,1] neg_hi:[0,0,1]
	v_pk_fma_f32 v[16:17], v[42:43], v[48:49], v[16:17] op_sel:[0,0,1] op_sel_hi:[1,0,0]
	v_fmac_f32_e32 v63, v41, v189
	v_fma_f32 v62, v40, v189, -v2
	v_pk_add_f32 v[14:15], v[58:59], v[60:61]
	ds_read2_b64 v[6:9], v4 offset0:85 offset1:86
	ds_read2_b64 v[10:13], v4 offset0:87 offset1:88
	;; [unrolled: 1-line block ×3, first 2 shown]
	v_pk_add_f32 v[14:15], v[14:15], v[62:63]
	v_mov_b32_e32 v19, v17
	v_pk_add_f32 v[14:15], v[14:15], v[18:19]
	s_waitcnt vmcnt(7)
	v_mov_b32_e32 v16, v57
	v_pk_mul_f32 v[16:17], v[44:45], v[16:17] op_sel_hi:[1,0]
	s_waitcnt vmcnt(6)
	v_pk_fma_f32 v[18:19], v[44:45], v[56:57], v[16:17] op_sel:[0,0,1] op_sel_hi:[1,1,0] neg_lo:[0,0,1] neg_hi:[0,0,1]
	v_pk_fma_f32 v[16:17], v[44:45], v[56:57], v[16:17] op_sel:[0,0,1] op_sel_hi:[1,0,0]
	v_mov_b32_e32 v16, v55
	v_mov_b32_e32 v19, v17
	s_waitcnt lgkmcnt(2)
	v_pk_mul_f32 v[16:17], v[6:7], v[16:17] op_sel_hi:[1,0]
	v_pk_add_f32 v[14:15], v[14:15], v[18:19]
	v_pk_fma_f32 v[18:19], v[6:7], v[54:55], v[16:17] op_sel:[0,0,1] op_sel_hi:[1,1,0] neg_lo:[0,0,1] neg_hi:[0,0,1]
	v_pk_fma_f32 v[6:7], v[6:7], v[54:55], v[16:17] op_sel:[0,0,1] op_sel_hi:[1,0,0]
	v_mov_b32_e32 v19, v7
	v_pk_add_f32 v[6:7], v[14:15], v[18:19]
	v_mov_b32_e32 v14, v53
	v_pk_mul_f32 v[14:15], v[8:9], v[14:15] op_sel_hi:[1,0]
	v_pk_fma_f32 v[16:17], v[8:9], v[52:53], v[14:15] op_sel:[0,0,1] op_sel_hi:[1,1,0] neg_lo:[0,0,1] neg_hi:[0,0,1]
	v_pk_fma_f32 v[8:9], v[8:9], v[52:53], v[14:15] op_sel:[0,0,1] op_sel_hi:[1,0,0]
	v_mov_b32_e32 v8, v51
	v_mov_b32_e32 v17, v9
	s_waitcnt lgkmcnt(1)
	v_pk_mul_f32 v[8:9], v[10:11], v[8:9] op_sel_hi:[1,0]
	v_pk_fma_f32 v[14:15], v[10:11], v[50:51], v[8:9] op_sel:[0,0,1] op_sel_hi:[1,1,0] neg_lo:[0,0,1] neg_hi:[0,0,1]
	v_pk_fma_f32 v[8:9], v[10:11], v[50:51], v[8:9] op_sel:[0,0,1] op_sel_hi:[1,0,0]
	s_waitcnt vmcnt(1)
	v_mov_b32_e32 v8, v159
	v_mov_b32_e32 v15, v9
	v_pk_mul_f32 v[8:9], v[12:13], v[8:9] op_sel_hi:[1,0]
	s_waitcnt vmcnt(0)
	v_pk_fma_f32 v[10:11], v[12:13], v[158:159], v[8:9] op_sel:[0,0,1] op_sel_hi:[1,1,0] neg_lo:[0,0,1] neg_hi:[0,0,1]
	v_pk_fma_f32 v[8:9], v[12:13], v[158:159], v[8:9] op_sel:[0,0,1] op_sel_hi:[1,0,0]
	v_pk_add_f32 v[6:7], v[6:7], v[16:17]
	v_mov_b32_e32 v8, v157
	v_pk_add_f32 v[6:7], v[6:7], v[14:15]
	v_mov_b32_e32 v11, v9
	s_waitcnt lgkmcnt(0)
	v_pk_mul_f32 v[8:9], v[2:3], v[8:9] op_sel_hi:[1,0]
	v_pk_add_f32 v[6:7], v[6:7], v[10:11]
	v_pk_fma_f32 v[10:11], v[2:3], v[156:157], v[8:9] op_sel:[0,0,1] op_sel_hi:[1,1,0] neg_lo:[0,0,1] neg_hi:[0,0,1]
	v_pk_fma_f32 v[2:3], v[2:3], v[156:157], v[8:9] op_sel:[0,0,1] op_sel_hi:[1,0,0]
	v_mov_b32_e32 v11, v3
	v_pk_add_f32 v[2:3], v[6:7], v[10:11]
	v_mov_b32_e32 v6, v65
	v_pk_mul_f32 v[6:7], v[4:5], v[6:7] op_sel_hi:[1,0]
	v_pk_fma_f32 v[8:9], v[4:5], v[64:65], v[6:7] op_sel:[0,0,1] op_sel_hi:[1,1,0] neg_lo:[0,0,1] neg_hi:[0,0,1]
	v_pk_fma_f32 v[4:5], v[4:5], v[64:65], v[6:7] op_sel:[0,0,1] op_sel_hi:[1,0,0]
	v_mov_b32_e32 v9, v5
	v_pk_add_f32 v[2:3], v[2:3], v[8:9]
	v_pk_add_f32 v[2:3], v[46:47], v[2:3] neg_lo:[0,1] neg_hi:[0,1]
	buffer_store_dword v3, off, s[0:3], 0 offset:148
	buffer_store_dword v2, off, s[0:3], 0 offset:144
	s_and_saveexec_b64 s[4:5], vcc
	s_cbranch_execz .LBB108_249
; %bb.248:
	buffer_load_dword v2, off, s[0:3], 0 offset:136
	buffer_load_dword v3, off, s[0:3], 0 offset:140
	v_mov_b32_e32 v4, 0
	buffer_store_dword v4, off, s[0:3], 0 offset:136
	buffer_store_dword v4, off, s[0:3], 0 offset:140
	s_waitcnt vmcnt(2)
	ds_write_b64 v1, v[2:3]
.LBB108_249:
	s_or_b64 exec, exec, s[4:5]
	s_waitcnt lgkmcnt(0)
	; wave barrier
	s_waitcnt lgkmcnt(0)
	buffer_load_dword v5, off, s[0:3], 0 offset:148
	buffer_load_dword v54, off, s[0:3], 0 offset:156
	;; [unrolled: 1-line block ×40, first 2 shown]
	v_mov_b32_e32 v4, 0
	ds_read_b128 v[6:9], v4 offset:512
	ds_read_b128 v[10:13], v4 offset:528
	;; [unrolled: 1-line block ×8, first 2 shown]
	v_cmp_lt_u32_e32 vcc, 16, v0
	s_waitcnt vmcnt(39) lgkmcnt(7)
	v_mul_f32_e32 v38, v6, v5
	s_waitcnt vmcnt(38)
	v_mul_f32_e32 v39, v8, v54
	s_waitcnt vmcnt(37) lgkmcnt(6)
	v_mul_f32_e32 v40, v10, v56
	s_waitcnt vmcnt(36)
	v_mul_f32_e32 v41, v12, v58
	;; [unrolled: 4-line block ×8, first 2 shown]
	s_waitcnt vmcnt(23)
	v_fmac_f32_e32 v38, v7, v170
	s_waitcnt vmcnt(22)
	v_fmac_f32_e32 v39, v9, v171
	v_add_f32_e32 v38, 0, v38
	s_waitcnt vmcnt(21)
	v_fmac_f32_e32 v40, v11, v172
	v_add_f32_e32 v38, v38, v39
	;; [unrolled: 3-line block ×14, first 2 shown]
	v_add_f32_e32 v38, v38, v52
	s_waitcnt vmcnt(8)
	v_fmac_f32_e32 v53, v37, v185
	v_add_f32_e32 v55, v38, v53
	ds_read_b128 v[38:41], v4 offset:640
	buffer_load_dword v47, off, s[0:3], 0 offset:300
	buffer_load_dword v49, off, s[0:3], 0 offset:324
	;; [unrolled: 1-line block ×8, first 2 shown]
	ds_read_b128 v[42:45], v4 offset:656
	buffer_load_dword v61, off, s[0:3], 0 offset:356
	buffer_load_dword v60, off, s[0:3], 0 offset:352
	;; [unrolled: 1-line block ×8, first 2 shown]
	v_mul_f32_e32 v5, v7, v5
	v_fma_f32 v5, v6, v170, -v5
	v_mul_f32_e32 v6, v9, v54
	v_add_f32_e32 v5, 0, v5
	v_fma_f32 v6, v8, v171, -v6
	v_add_f32_e32 v5, v5, v6
	v_mul_f32_e32 v6, v11, v56
	v_fma_f32 v6, v10, v172, -v6
	v_add_f32_e32 v5, v5, v6
	v_mul_f32_e32 v6, v13, v58
	;; [unrolled: 3-line block ×14, first 2 shown]
	v_fma_f32 v6, v36, v185, -v6
	s_waitcnt vmcnt(23) lgkmcnt(1)
	v_mul_f32_e32 v57, v38, v186
	v_add_f32_e32 v5, v5, v6
	v_mul_f32_e32 v6, v39, v186
	s_waitcnt vmcnt(22)
	v_fmac_f32_e32 v57, v39, v187
	v_fma_f32 v6, v38, v187, -v6
	v_add_f32_e32 v55, v55, v57
	s_waitcnt vmcnt(21)
	v_mul_f32_e32 v57, v40, v188
	v_add_f32_e32 v54, v5, v6
	v_mul_f32_e32 v5, v41, v188
	s_waitcnt vmcnt(20)
	v_fmac_f32_e32 v57, v41, v189
	s_waitcnt vmcnt(19) lgkmcnt(0)
	v_mul_f32_e32 v59, v42, v190
	v_fma_f32 v56, v40, v189, -v5
	v_mul_f32_e32 v5, v43, v190
	ds_read_b128 v[6:9], v4 offset:672
	ds_read_b128 v[10:13], v4 offset:688
	;; [unrolled: 1-line block ×3, first 2 shown]
	ds_read_b64 v[18:19], v4 offset:720
	s_waitcnt vmcnt(18)
	v_fmac_f32_e32 v59, v43, v191
	v_fma_f32 v58, v42, v191, -v5
	v_pk_add_f32 v[20:21], v[54:55], v[56:57]
	v_pk_add_f32 v[20:21], v[20:21], v[58:59]
	s_waitcnt vmcnt(15)
	v_mov_b32_e32 v22, v47
	v_pk_mul_f32 v[22:23], v[44:45], v[22:23] op_sel_hi:[1,0]
	s_waitcnt vmcnt(8)
	v_pk_fma_f32 v[24:25], v[44:45], v[46:47], v[22:23] op_sel:[0,0,1] op_sel_hi:[1,1,0] neg_lo:[0,0,1] neg_hi:[0,0,1]
	v_pk_fma_f32 v[22:23], v[44:45], v[46:47], v[22:23] op_sel:[0,0,1] op_sel_hi:[1,0,0]
	v_mov_b32_e32 v22, v53
	v_mov_b32_e32 v25, v23
	s_waitcnt lgkmcnt(3)
	v_pk_mul_f32 v[22:23], v[6:7], v[22:23] op_sel_hi:[1,0]
	v_pk_add_f32 v[20:21], v[20:21], v[24:25]
	v_pk_fma_f32 v[24:25], v[6:7], v[52:53], v[22:23] op_sel:[0,0,1] op_sel_hi:[1,1,0] neg_lo:[0,0,1] neg_hi:[0,0,1]
	v_pk_fma_f32 v[6:7], v[6:7], v[52:53], v[22:23] op_sel:[0,0,1] op_sel_hi:[1,0,0]
	v_mov_b32_e32 v25, v7
	v_pk_add_f32 v[6:7], v[20:21], v[24:25]
	v_mov_b32_e32 v20, v51
	v_pk_mul_f32 v[20:21], v[8:9], v[20:21] op_sel_hi:[1,0]
	v_pk_fma_f32 v[22:23], v[8:9], v[50:51], v[20:21] op_sel:[0,0,1] op_sel_hi:[1,1,0] neg_lo:[0,0,1] neg_hi:[0,0,1]
	v_pk_fma_f32 v[8:9], v[8:9], v[50:51], v[20:21] op_sel:[0,0,1] op_sel_hi:[1,0,0]
	v_mov_b32_e32 v8, v49
	v_mov_b32_e32 v23, v9
	s_waitcnt lgkmcnt(2)
	v_pk_mul_f32 v[8:9], v[10:11], v[8:9] op_sel_hi:[1,0]
	v_pk_fma_f32 v[20:21], v[10:11], v[48:49], v[8:9] op_sel:[0,0,1] op_sel_hi:[1,1,0] neg_lo:[0,0,1] neg_hi:[0,0,1]
	v_pk_fma_f32 v[8:9], v[10:11], v[48:49], v[8:9] op_sel:[0,0,1] op_sel_hi:[1,0,0]
	s_waitcnt vmcnt(1)
	v_mov_b32_e32 v8, v157
	v_mov_b32_e32 v21, v9
	v_pk_mul_f32 v[8:9], v[12:13], v[8:9] op_sel_hi:[1,0]
	s_waitcnt vmcnt(0)
	v_pk_fma_f32 v[10:11], v[12:13], v[156:157], v[8:9] op_sel:[0,0,1] op_sel_hi:[1,1,0] neg_lo:[0,0,1] neg_hi:[0,0,1]
	v_pk_fma_f32 v[8:9], v[12:13], v[156:157], v[8:9] op_sel:[0,0,1] op_sel_hi:[1,0,0]
	v_pk_add_f32 v[6:7], v[6:7], v[22:23]
	v_mov_b32_e32 v8, v65
	v_pk_add_f32 v[6:7], v[6:7], v[20:21]
	v_mov_b32_e32 v11, v9
	s_waitcnt lgkmcnt(1)
	v_pk_mul_f32 v[8:9], v[14:15], v[8:9] op_sel_hi:[1,0]
	v_pk_add_f32 v[6:7], v[6:7], v[10:11]
	v_pk_fma_f32 v[10:11], v[14:15], v[64:65], v[8:9] op_sel:[0,0,1] op_sel_hi:[1,1,0] neg_lo:[0,0,1] neg_hi:[0,0,1]
	v_pk_fma_f32 v[8:9], v[14:15], v[64:65], v[8:9] op_sel:[0,0,1] op_sel_hi:[1,0,0]
	v_mov_b32_e32 v8, v63
	v_mov_b32_e32 v11, v9
	v_pk_mul_f32 v[8:9], v[16:17], v[8:9] op_sel_hi:[1,0]
	v_pk_add_f32 v[6:7], v[6:7], v[10:11]
	v_pk_fma_f32 v[10:11], v[16:17], v[62:63], v[8:9] op_sel:[0,0,1] op_sel_hi:[1,1,0] neg_lo:[0,0,1] neg_hi:[0,0,1]
	v_pk_fma_f32 v[8:9], v[16:17], v[62:63], v[8:9] op_sel:[0,0,1] op_sel_hi:[1,0,0]
	v_mov_b32_e32 v8, v61
	v_mov_b32_e32 v11, v9
	s_waitcnt lgkmcnt(0)
	v_pk_mul_f32 v[8:9], v[18:19], v[8:9] op_sel_hi:[1,0]
	v_pk_add_f32 v[6:7], v[6:7], v[10:11]
	v_pk_fma_f32 v[10:11], v[18:19], v[60:61], v[8:9] op_sel:[0,0,1] op_sel_hi:[1,1,0] neg_lo:[0,0,1] neg_hi:[0,0,1]
	v_pk_fma_f32 v[8:9], v[18:19], v[60:61], v[8:9] op_sel:[0,0,1] op_sel_hi:[1,0,0]
	v_mov_b32_e32 v11, v9
	v_pk_add_f32 v[6:7], v[6:7], v[10:11]
	v_pk_add_f32 v[2:3], v[2:3], v[6:7] neg_lo:[0,1] neg_hi:[0,1]
	buffer_store_dword v3, off, s[0:3], 0 offset:140
	buffer_store_dword v2, off, s[0:3], 0 offset:136
	s_and_saveexec_b64 s[4:5], vcc
	s_cbranch_execz .LBB108_251
; %bb.250:
	buffer_load_dword v2, off, s[0:3], 0 offset:128
	buffer_load_dword v3, off, s[0:3], 0 offset:132
	s_waitcnt vmcnt(0)
	ds_write_b64 v1, v[2:3]
	buffer_store_dword v4, off, s[0:3], 0 offset:128
	buffer_store_dword v4, off, s[0:3], 0 offset:132
.LBB108_251:
	s_or_b64 exec, exec, s[4:5]
	s_waitcnt lgkmcnt(0)
	; wave barrier
	s_waitcnt lgkmcnt(0)
	buffer_load_dword v5, off, s[0:3], 0 offset:140
	buffer_load_dword v46, off, s[0:3], 0 offset:148
	;; [unrolled: 1-line block ×42, first 2 shown]
	ds_read2_b64 v[6:9], v4 offset0:63 offset1:64
	ds_read2_b64 v[10:13], v4 offset0:65 offset1:66
	;; [unrolled: 1-line block ×8, first 2 shown]
	v_cmp_lt_u32_e32 vcc, 15, v0
	s_waitcnt vmcnt(41) lgkmcnt(7)
	v_mul_f32_e32 v38, v6, v5
	s_waitcnt vmcnt(40)
	v_mul_f32_e32 v39, v8, v46
	s_waitcnt vmcnt(39) lgkmcnt(6)
	v_mul_f32_e32 v40, v10, v48
	s_waitcnt vmcnt(38)
	v_mul_f32_e32 v41, v12, v56
	;; [unrolled: 4-line block ×7, first 2 shown]
	s_waitcnt vmcnt(27) lgkmcnt(0)
	v_mul_f32_e32 v54, v34, v168
	s_waitcnt vmcnt(26)
	v_fmac_f32_e32 v38, v7, v169
	s_waitcnt vmcnt(25)
	v_fmac_f32_e32 v39, v9, v170
	v_add_f32_e32 v38, 0, v38
	s_waitcnt vmcnt(24)
	v_fmac_f32_e32 v40, v11, v171
	v_add_f32_e32 v38, v38, v39
	s_waitcnt vmcnt(23)
	v_fmac_f32_e32 v41, v13, v172
	v_add_f32_e32 v38, v38, v40
	s_waitcnt vmcnt(22)
	v_fmac_f32_e32 v42, v15, v173
	v_add_f32_e32 v38, v38, v41
	s_waitcnt vmcnt(21)
	v_fmac_f32_e32 v43, v17, v174
	v_add_f32_e32 v38, v38, v42
	s_waitcnt vmcnt(20)
	v_fmac_f32_e32 v44, v19, v175
	v_add_f32_e32 v38, v38, v43
	s_waitcnt vmcnt(19)
	v_fmac_f32_e32 v45, v21, v176
	v_add_f32_e32 v38, v38, v44
	s_waitcnt vmcnt(18)
	v_fmac_f32_e32 v47, v23, v177
	v_add_f32_e32 v38, v38, v45
	s_waitcnt vmcnt(17)
	v_fmac_f32_e32 v49, v25, v178
	v_add_f32_e32 v38, v38, v47
	s_waitcnt vmcnt(16)
	v_fmac_f32_e32 v50, v27, v179
	v_add_f32_e32 v38, v38, v49
	s_waitcnt vmcnt(15)
	v_fmac_f32_e32 v51, v29, v180
	v_add_f32_e32 v38, v38, v50
	s_waitcnt vmcnt(14)
	v_fmac_f32_e32 v52, v31, v181
	v_add_f32_e32 v38, v38, v51
	s_waitcnt vmcnt(13)
	v_fmac_f32_e32 v53, v33, v182
	v_add_f32_e32 v38, v38, v52
	s_waitcnt vmcnt(12)
	v_fmac_f32_e32 v54, v35, v183
	v_add_f32_e32 v38, v38, v53
	s_waitcnt vmcnt(11)
	v_mul_f32_e32 v43, v36, v184
	v_add_f32_e32 v42, v38, v54
	s_waitcnt vmcnt(10)
	v_fmac_f32_e32 v43, v37, v185
	ds_read2_b64 v[38:41], v4 offset0:79 offset1:80
	v_add_f32_e32 v47, v42, v43
	ds_read2_b64 v[42:45], v4 offset0:81 offset1:82
	buffer_load_dword v51, off, s[0:3], 0 offset:300
	buffer_load_dword v53, off, s[0:3], 0 offset:316
	;; [unrolled: 1-line block ×16, first 2 shown]
	v_mul_f32_e32 v5, v7, v5
	v_fma_f32 v5, v6, v169, -v5
	v_mul_f32_e32 v6, v9, v46
	v_add_f32_e32 v5, 0, v5
	v_fma_f32 v6, v8, v170, -v6
	v_add_f32_e32 v5, v5, v6
	v_mul_f32_e32 v6, v11, v48
	v_fma_f32 v6, v10, v171, -v6
	v_add_f32_e32 v5, v5, v6
	v_mul_f32_e32 v6, v13, v56
	;; [unrolled: 3-line block ×14, first 2 shown]
	v_fma_f32 v6, v36, v185, -v6
	v_add_f32_e32 v5, v5, v6
	s_waitcnt vmcnt(25) lgkmcnt(1)
	v_mul_f32_e32 v6, v39, v186
	s_waitcnt vmcnt(24)
	v_fma_f32 v6, v38, v187, -v6
	v_add_f32_e32 v5, v5, v6
	s_waitcnt vmcnt(23)
	v_mul_f32_e32 v6, v41, v188
	s_waitcnt vmcnt(22)
	v_fma_f32 v6, v40, v189, -v6
	v_add_f32_e32 v46, v5, v6
	ds_read2_b64 v[6:9], v4 offset0:83 offset1:84
	ds_read2_b64 v[10:13], v4 offset0:85 offset1:86
	;; [unrolled: 1-line block ×4, first 2 shown]
	v_mul_f32_e32 v49, v38, v186
	v_fmac_f32_e32 v49, v39, v187
	v_add_f32_e32 v47, v47, v49
	v_mul_f32_e32 v49, v40, v188
	v_fmac_f32_e32 v49, v41, v189
	v_add_f32_e32 v47, v47, v49
	s_waitcnt vmcnt(21) lgkmcnt(4)
	v_mul_f32_e32 v49, v42, v190
	v_mul_f32_e32 v5, v43, v190
	s_waitcnt vmcnt(20)
	v_fmac_f32_e32 v49, v43, v191
	s_waitcnt vmcnt(19)
	v_mul_f32_e32 v57, v44, v192
	v_fma_f32 v48, v42, v191, -v5
	v_mul_f32_e32 v5, v45, v192
	s_waitcnt vmcnt(18)
	v_fmac_f32_e32 v57, v45, v193
	v_fma_f32 v56, v44, v193, -v5
	v_pk_add_f32 v[4:5], v[46:47], v[48:49]
	v_pk_add_f32 v[4:5], v[4:5], v[56:57]
	s_waitcnt vmcnt(15)
	v_mov_b32_e32 v22, v51
	s_waitcnt lgkmcnt(3)
	v_pk_mul_f32 v[22:23], v[6:7], v[22:23] op_sel_hi:[1,0]
	s_waitcnt vmcnt(10)
	v_pk_fma_f32 v[24:25], v[6:7], v[50:51], v[22:23] op_sel:[0,0,1] op_sel_hi:[1,1,0] neg_lo:[0,0,1] neg_hi:[0,0,1]
	v_pk_fma_f32 v[6:7], v[6:7], v[50:51], v[22:23] op_sel:[0,0,1] op_sel_hi:[1,0,0]
	v_mov_b32_e32 v6, v55
	v_mov_b32_e32 v25, v7
	v_pk_mul_f32 v[6:7], v[8:9], v[6:7] op_sel_hi:[1,0]
	v_pk_fma_f32 v[22:23], v[8:9], v[54:55], v[6:7] op_sel:[0,0,1] op_sel_hi:[1,1,0] neg_lo:[0,0,1] neg_hi:[0,0,1]
	v_pk_fma_f32 v[6:7], v[8:9], v[54:55], v[6:7] op_sel:[0,0,1] op_sel_hi:[1,0,0]
	v_mov_b32_e32 v6, v53
	v_mov_b32_e32 v23, v7
	s_waitcnt lgkmcnt(2)
	v_pk_mul_f32 v[6:7], v[10:11], v[6:7] op_sel_hi:[1,0]
	v_pk_fma_f32 v[8:9], v[10:11], v[52:53], v[6:7] op_sel:[0,0,1] op_sel_hi:[1,1,0] neg_lo:[0,0,1] neg_hi:[0,0,1]
	v_pk_fma_f32 v[6:7], v[10:11], v[52:53], v[6:7] op_sel:[0,0,1] op_sel_hi:[1,0,0]
	v_pk_add_f32 v[4:5], v[4:5], v[24:25]
	s_waitcnt vmcnt(3)
	v_mov_b32_e32 v6, v65
	v_pk_add_f32 v[4:5], v[4:5], v[22:23]
	v_mov_b32_e32 v9, v7
	v_pk_mul_f32 v[6:7], v[12:13], v[6:7] op_sel_hi:[1,0]
	v_pk_add_f32 v[4:5], v[4:5], v[8:9]
	s_waitcnt vmcnt(2)
	v_pk_fma_f32 v[8:9], v[12:13], v[64:65], v[6:7] op_sel:[0,0,1] op_sel_hi:[1,1,0] neg_lo:[0,0,1] neg_hi:[0,0,1]
	v_pk_fma_f32 v[6:7], v[12:13], v[64:65], v[6:7] op_sel:[0,0,1] op_sel_hi:[1,0,0]
	v_mov_b32_e32 v6, v63
	v_mov_b32_e32 v9, v7
	s_waitcnt lgkmcnt(1)
	v_pk_mul_f32 v[6:7], v[14:15], v[6:7] op_sel_hi:[1,0]
	v_pk_add_f32 v[4:5], v[4:5], v[8:9]
	v_pk_fma_f32 v[8:9], v[14:15], v[62:63], v[6:7] op_sel:[0,0,1] op_sel_hi:[1,1,0] neg_lo:[0,0,1] neg_hi:[0,0,1]
	v_pk_fma_f32 v[6:7], v[14:15], v[62:63], v[6:7] op_sel:[0,0,1] op_sel_hi:[1,0,0]
	v_mov_b32_e32 v6, v61
	v_mov_b32_e32 v9, v7
	v_pk_mul_f32 v[6:7], v[16:17], v[6:7] op_sel_hi:[1,0]
	v_pk_add_f32 v[4:5], v[4:5], v[8:9]
	v_pk_fma_f32 v[8:9], v[16:17], v[60:61], v[6:7] op_sel:[0,0,1] op_sel_hi:[1,1,0] neg_lo:[0,0,1] neg_hi:[0,0,1]
	v_pk_fma_f32 v[6:7], v[16:17], v[60:61], v[6:7] op_sel:[0,0,1] op_sel_hi:[1,0,0]
	v_mov_b32_e32 v6, v59
	v_mov_b32_e32 v9, v7
	s_waitcnt lgkmcnt(0)
	v_pk_mul_f32 v[6:7], v[18:19], v[6:7] op_sel_hi:[1,0]
	v_pk_add_f32 v[4:5], v[4:5], v[8:9]
	v_pk_fma_f32 v[8:9], v[18:19], v[58:59], v[6:7] op_sel:[0,0,1] op_sel_hi:[1,1,0] neg_lo:[0,0,1] neg_hi:[0,0,1]
	v_pk_fma_f32 v[6:7], v[18:19], v[58:59], v[6:7] op_sel:[0,0,1] op_sel_hi:[1,0,0]
	s_waitcnt vmcnt(1)
	v_mov_b32_e32 v6, v157
	v_mov_b32_e32 v9, v7
	v_pk_mul_f32 v[6:7], v[20:21], v[6:7] op_sel_hi:[1,0]
	v_pk_add_f32 v[4:5], v[4:5], v[8:9]
	s_waitcnt vmcnt(0)
	v_pk_fma_f32 v[8:9], v[20:21], v[156:157], v[6:7] op_sel:[0,0,1] op_sel_hi:[1,1,0] neg_lo:[0,0,1] neg_hi:[0,0,1]
	v_pk_fma_f32 v[6:7], v[20:21], v[156:157], v[6:7] op_sel:[0,0,1] op_sel_hi:[1,0,0]
	v_mov_b32_e32 v9, v7
	v_pk_add_f32 v[4:5], v[4:5], v[8:9]
	v_pk_add_f32 v[2:3], v[2:3], v[4:5] neg_lo:[0,1] neg_hi:[0,1]
	buffer_store_dword v3, off, s[0:3], 0 offset:132
	buffer_store_dword v2, off, s[0:3], 0 offset:128
	s_and_saveexec_b64 s[4:5], vcc
	s_cbranch_execz .LBB108_253
; %bb.252:
	buffer_load_dword v2, off, s[0:3], 0 offset:120
	buffer_load_dword v3, off, s[0:3], 0 offset:124
	v_mov_b32_e32 v4, 0
	buffer_store_dword v4, off, s[0:3], 0 offset:120
	buffer_store_dword v4, off, s[0:3], 0 offset:124
	s_waitcnt vmcnt(2)
	ds_write_b64 v1, v[2:3]
.LBB108_253:
	s_or_b64 exec, exec, s[4:5]
	s_waitcnt lgkmcnt(0)
	; wave barrier
	s_waitcnt lgkmcnt(0)
	buffer_load_dword v5, off, s[0:3], 0 offset:132
	buffer_load_dword v54, off, s[0:3], 0 offset:140
	;; [unrolled: 1-line block ×44, first 2 shown]
	v_mov_b32_e32 v4, 0
	ds_read_b128 v[6:9], v4 offset:496
	ds_read_b128 v[10:13], v4 offset:512
	;; [unrolled: 1-line block ×8, first 2 shown]
	v_cmp_lt_u32_e32 vcc, 14, v0
	s_waitcnt vmcnt(43) lgkmcnt(7)
	v_mul_f32_e32 v38, v6, v5
	s_waitcnt vmcnt(42)
	v_mul_f32_e32 v39, v8, v54
	s_waitcnt vmcnt(41) lgkmcnt(6)
	v_mul_f32_e32 v40, v10, v60
	s_waitcnt vmcnt(40)
	v_mul_f32_e32 v41, v12, v62
	;; [unrolled: 4-line block ×7, first 2 shown]
	s_waitcnt vmcnt(29)
	v_fmac_f32_e32 v38, v7, v176
	s_waitcnt vmcnt(28)
	v_fmac_f32_e32 v39, v9, v177
	v_add_f32_e32 v38, 0, v38
	s_waitcnt vmcnt(27)
	v_fmac_f32_e32 v40, v11, v178
	v_add_f32_e32 v38, v38, v39
	;; [unrolled: 3-line block ×12, first 2 shown]
	v_add_f32_e32 v38, v38, v50
	s_waitcnt vmcnt(16)
	v_fmac_f32_e32 v51, v33, v189
	s_waitcnt vmcnt(15) lgkmcnt(0)
	v_mul_f32_e32 v39, v34, v190
	v_add_f32_e32 v38, v38, v51
	s_waitcnt vmcnt(14)
	v_fmac_f32_e32 v39, v35, v191
	v_add_f32_e32 v42, v38, v39
	ds_read_b128 v[38:41], v4 offset:624
	s_waitcnt vmcnt(13)
	v_mul_f32_e32 v43, v36, v192
	s_waitcnt vmcnt(12)
	v_fmac_f32_e32 v43, v37, v193
	v_add_f32_e32 v46, v42, v43
	ds_read_b128 v[42:45], v4 offset:640
	s_waitcnt vmcnt(11) lgkmcnt(1)
	v_mul_f32_e32 v47, v38, v194
	s_waitcnt vmcnt(10)
	v_fmac_f32_e32 v47, v39, v195
	v_add_f32_e32 v46, v46, v47
	s_waitcnt vmcnt(9)
	v_mul_f32_e32 v47, v40, v196
	s_waitcnt vmcnt(8)
	v_fmac_f32_e32 v47, v41, v197
	v_add_f32_e32 v46, v46, v47
	s_waitcnt vmcnt(7) lgkmcnt(0)
	v_mul_f32_e32 v47, v42, v198
	s_waitcnt vmcnt(6)
	v_fmac_f32_e32 v47, v43, v199
	v_add_f32_e32 v55, v46, v47
	ds_read_b128 v[46:49], v4 offset:656
	buffer_load_dword v57, off, s[0:3], 0 offset:308
	buffer_load_dword v56, off, s[0:3], 0 offset:304
	;; [unrolled: 1-line block ×4, first 2 shown]
	ds_read_b128 v[50:53], v4 offset:672
	buffer_load_dword v65, off, s[0:3], 0 offset:340
	buffer_load_dword v64, off, s[0:3], 0 offset:336
	;; [unrolled: 1-line block ×12, first 2 shown]
	v_mul_f32_e32 v5, v7, v5
	v_fma_f32 v5, v6, v176, -v5
	v_mul_f32_e32 v6, v9, v54
	v_add_f32_e32 v5, 0, v5
	v_fma_f32 v6, v8, v177, -v6
	v_add_f32_e32 v5, v5, v6
	v_mul_f32_e32 v6, v11, v60
	v_fma_f32 v6, v10, v178, -v6
	v_add_f32_e32 v5, v5, v6
	v_mul_f32_e32 v6, v13, v62
	;; [unrolled: 3-line block ×17, first 2 shown]
	v_fma_f32 v6, v42, v199, -v6
	s_waitcnt vmcnt(21)
	v_mul_f32_e32 v61, v44, v200
	v_add_f32_e32 v54, v5, v6
	v_mul_f32_e32 v5, v45, v200
	s_waitcnt vmcnt(20)
	v_fmac_f32_e32 v61, v45, v201
	s_waitcnt vmcnt(19) lgkmcnt(1)
	v_mul_f32_e32 v63, v46, v202
	v_fma_f32 v60, v44, v201, -v5
	v_mul_f32_e32 v5, v47, v202
	s_waitcnt vmcnt(18)
	v_fmac_f32_e32 v63, v47, v203
	v_fma_f32 v62, v46, v203, -v5
	v_pk_add_f32 v[16:17], v[54:55], v[60:61]
	v_pk_add_f32 v[16:17], v[16:17], v[62:63]
	ds_read_b128 v[6:9], v4 offset:688
	ds_read_b128 v[10:13], v4 offset:704
	ds_read_b64 v[14:15], v4 offset:720
	s_waitcnt vmcnt(13)
	v_mov_b32_e32 v18, v59
	v_pk_mul_f32 v[18:19], v[48:49], v[18:19] op_sel_hi:[1,0]
	s_waitcnt vmcnt(12)
	v_pk_fma_f32 v[20:21], v[48:49], v[58:59], v[18:19] op_sel:[0,0,1] op_sel_hi:[1,1,0] neg_lo:[0,0,1] neg_hi:[0,0,1]
	v_pk_fma_f32 v[18:19], v[48:49], v[58:59], v[18:19] op_sel:[0,0,1] op_sel_hi:[1,0,0]
	v_mov_b32_e32 v18, v57
	v_mov_b32_e32 v21, v19
	s_waitcnt lgkmcnt(3)
	v_pk_mul_f32 v[18:19], v[50:51], v[18:19] op_sel_hi:[1,0]
	v_pk_add_f32 v[16:17], v[16:17], v[20:21]
	v_pk_fma_f32 v[20:21], v[50:51], v[56:57], v[18:19] op_sel:[0,0,1] op_sel_hi:[1,1,0] neg_lo:[0,0,1] neg_hi:[0,0,1]
	v_pk_fma_f32 v[18:19], v[50:51], v[56:57], v[18:19] op_sel:[0,0,1] op_sel_hi:[1,0,0]
	s_waitcnt vmcnt(5)
	v_mov_b32_e32 v18, v161
	v_mov_b32_e32 v21, v19
	v_pk_mul_f32 v[18:19], v[52:53], v[18:19] op_sel_hi:[1,0]
	v_pk_add_f32 v[16:17], v[16:17], v[20:21]
	s_waitcnt vmcnt(4)
	v_pk_fma_f32 v[20:21], v[52:53], v[160:161], v[18:19] op_sel:[0,0,1] op_sel_hi:[1,1,0] neg_lo:[0,0,1] neg_hi:[0,0,1]
	v_pk_fma_f32 v[18:19], v[52:53], v[160:161], v[18:19] op_sel:[0,0,1] op_sel_hi:[1,0,0]
	v_mov_b32_e32 v18, v159
	v_mov_b32_e32 v21, v19
	s_waitcnt lgkmcnt(2)
	v_pk_mul_f32 v[18:19], v[6:7], v[18:19] op_sel_hi:[1,0]
	v_pk_add_f32 v[16:17], v[16:17], v[20:21]
	v_pk_fma_f32 v[20:21], v[6:7], v[158:159], v[18:19] op_sel:[0,0,1] op_sel_hi:[1,1,0] neg_lo:[0,0,1] neg_hi:[0,0,1]
	v_pk_fma_f32 v[6:7], v[6:7], v[158:159], v[18:19] op_sel:[0,0,1] op_sel_hi:[1,0,0]
	v_mov_b32_e32 v21, v7
	v_pk_add_f32 v[6:7], v[16:17], v[20:21]
	v_mov_b32_e32 v16, v157
	v_pk_mul_f32 v[16:17], v[8:9], v[16:17] op_sel_hi:[1,0]
	v_pk_fma_f32 v[18:19], v[8:9], v[156:157], v[16:17] op_sel:[0,0,1] op_sel_hi:[1,1,0] neg_lo:[0,0,1] neg_hi:[0,0,1]
	v_pk_fma_f32 v[8:9], v[8:9], v[156:157], v[16:17] op_sel:[0,0,1] op_sel_hi:[1,0,0]
	v_mov_b32_e32 v8, v65
	v_mov_b32_e32 v19, v9
	s_waitcnt lgkmcnt(1)
	v_pk_mul_f32 v[8:9], v[10:11], v[8:9] op_sel_hi:[1,0]
	v_pk_fma_f32 v[16:17], v[10:11], v[64:65], v[8:9] op_sel:[0,0,1] op_sel_hi:[1,1,0] neg_lo:[0,0,1] neg_hi:[0,0,1]
	v_pk_fma_f32 v[8:9], v[10:11], v[64:65], v[8:9] op_sel:[0,0,1] op_sel_hi:[1,0,0]
	s_waitcnt vmcnt(1)
	v_mov_b32_e32 v8, v165
	v_mov_b32_e32 v17, v9
	v_pk_mul_f32 v[8:9], v[12:13], v[8:9] op_sel_hi:[1,0]
	s_waitcnt vmcnt(0)
	v_pk_fma_f32 v[10:11], v[12:13], v[164:165], v[8:9] op_sel:[0,0,1] op_sel_hi:[1,1,0] neg_lo:[0,0,1] neg_hi:[0,0,1]
	v_pk_fma_f32 v[8:9], v[12:13], v[164:165], v[8:9] op_sel:[0,0,1] op_sel_hi:[1,0,0]
	v_pk_add_f32 v[6:7], v[6:7], v[18:19]
	v_mov_b32_e32 v8, v163
	v_pk_add_f32 v[6:7], v[6:7], v[16:17]
	v_mov_b32_e32 v11, v9
	s_waitcnt lgkmcnt(0)
	v_pk_mul_f32 v[8:9], v[14:15], v[8:9] op_sel_hi:[1,0]
	v_pk_add_f32 v[6:7], v[6:7], v[10:11]
	v_pk_fma_f32 v[10:11], v[14:15], v[162:163], v[8:9] op_sel:[0,0,1] op_sel_hi:[1,1,0] neg_lo:[0,0,1] neg_hi:[0,0,1]
	v_pk_fma_f32 v[8:9], v[14:15], v[162:163], v[8:9] op_sel:[0,0,1] op_sel_hi:[1,0,0]
	v_mov_b32_e32 v11, v9
	v_pk_add_f32 v[6:7], v[6:7], v[10:11]
	v_pk_add_f32 v[2:3], v[2:3], v[6:7] neg_lo:[0,1] neg_hi:[0,1]
	buffer_store_dword v3, off, s[0:3], 0 offset:124
	buffer_store_dword v2, off, s[0:3], 0 offset:120
	s_and_saveexec_b64 s[4:5], vcc
	s_cbranch_execz .LBB108_255
; %bb.254:
	buffer_load_dword v2, off, s[0:3], 0 offset:112
	buffer_load_dword v3, off, s[0:3], 0 offset:116
	s_waitcnt vmcnt(0)
	ds_write_b64 v1, v[2:3]
	buffer_store_dword v4, off, s[0:3], 0 offset:112
	buffer_store_dword v4, off, s[0:3], 0 offset:116
.LBB108_255:
	s_or_b64 exec, exec, s[4:5]
	s_waitcnt lgkmcnt(0)
	; wave barrier
	s_waitcnt lgkmcnt(0)
	buffer_load_dword v5, off, s[0:3], 0 offset:124
	buffer_load_dword v56, off, s[0:3], 0 offset:132
	;; [unrolled: 1-line block ×46, first 2 shown]
	ds_read2_b64 v[6:9], v4 offset0:61 offset1:62
	ds_read2_b64 v[10:13], v4 offset0:63 offset1:64
	ds_read2_b64 v[14:17], v4 offset0:65 offset1:66
	ds_read2_b64 v[18:21], v4 offset0:67 offset1:68
	ds_read2_b64 v[22:25], v4 offset0:69 offset1:70
	ds_read2_b64 v[26:29], v4 offset0:71 offset1:72
	ds_read2_b64 v[30:33], v4 offset0:73 offset1:74
	ds_read2_b64 v[34:37], v4 offset0:75 offset1:76
	v_cmp_lt_u32_e32 vcc, 13, v0
	s_waitcnt vmcnt(45) lgkmcnt(7)
	v_mul_f32_e32 v38, v6, v5
	s_waitcnt vmcnt(44)
	v_mul_f32_e32 v39, v8, v56
	s_waitcnt vmcnt(43) lgkmcnt(6)
	v_mul_f32_e32 v40, v10, v58
	s_waitcnt vmcnt(42)
	v_mul_f32_e32 v41, v12, v60
	;; [unrolled: 4-line block ×6, first 2 shown]
	s_waitcnt vmcnt(33) lgkmcnt(1)
	v_mul_f32_e32 v50, v30, v174
	s_waitcnt vmcnt(32)
	v_fmac_f32_e32 v38, v7, v175
	s_waitcnt vmcnt(31)
	v_fmac_f32_e32 v39, v9, v176
	v_add_f32_e32 v38, 0, v38
	s_waitcnt vmcnt(30)
	v_fmac_f32_e32 v40, v11, v177
	v_add_f32_e32 v38, v38, v39
	;; [unrolled: 3-line block ×12, first 2 shown]
	s_waitcnt vmcnt(19)
	v_mul_f32_e32 v39, v32, v188
	v_add_f32_e32 v38, v38, v50
	s_waitcnt vmcnt(18)
	v_fmac_f32_e32 v39, v33, v189
	v_add_f32_e32 v38, v38, v39
	s_waitcnt vmcnt(17) lgkmcnt(0)
	v_mul_f32_e32 v39, v34, v190
	s_waitcnt vmcnt(16)
	v_fmac_f32_e32 v39, v35, v191
	v_add_f32_e32 v42, v38, v39
	ds_read2_b64 v[38:41], v4 offset0:77 offset1:78
	s_waitcnt vmcnt(15)
	v_mul_f32_e32 v43, v36, v192
	s_waitcnt vmcnt(14)
	v_fmac_f32_e32 v43, v37, v193
	v_add_f32_e32 v46, v42, v43
	ds_read2_b64 v[42:45], v4 offset0:79 offset1:80
	buffer_load_dword v55, off, s[0:3], 0 offset:300
	buffer_load_dword v54, off, s[0:3], 0 offset:296
	s_waitcnt vmcnt(15) lgkmcnt(1)
	v_mul_f32_e32 v47, v38, v194
	s_waitcnt vmcnt(14)
	v_fmac_f32_e32 v47, v39, v195
	v_add_f32_e32 v46, v46, v47
	s_waitcnt vmcnt(13)
	v_mul_f32_e32 v47, v40, v196
	s_waitcnt vmcnt(12)
	v_fmac_f32_e32 v47, v41, v197
	v_add_f32_e32 v46, v46, v47
	s_waitcnt vmcnt(11) lgkmcnt(0)
	v_mul_f32_e32 v47, v42, v198
	s_waitcnt vmcnt(10)
	v_fmac_f32_e32 v47, v43, v199
	s_waitcnt vmcnt(9)
	v_mul_f32_e32 v51, v44, v200
	v_add_f32_e32 v50, v46, v47
	s_waitcnt vmcnt(8)
	v_fmac_f32_e32 v51, v45, v201
	ds_read2_b64 v[46:49], v4 offset0:81 offset1:82
	v_add_f32_e32 v57, v50, v51
	ds_read2_b64 v[50:53], v4 offset0:83 offset1:84
	buffer_load_dword v63, off, s[0:3], 0 offset:332
	buffer_load_dword v62, off, s[0:3], 0 offset:328
	;; [unrolled: 1-line block ×14, first 2 shown]
	v_mul_f32_e32 v5, v7, v5
	v_fma_f32 v5, v6, v175, -v5
	v_mul_f32_e32 v6, v9, v56
	v_add_f32_e32 v5, 0, v5
	v_fma_f32 v6, v8, v176, -v6
	v_add_f32_e32 v5, v5, v6
	v_mul_f32_e32 v6, v11, v58
	v_fma_f32 v6, v10, v177, -v6
	v_add_f32_e32 v5, v5, v6
	v_mul_f32_e32 v6, v13, v60
	;; [unrolled: 3-line block ×18, first 2 shown]
	v_fma_f32 v6, v44, v201, -v6
	s_waitcnt vmcnt(21) lgkmcnt(1)
	v_mul_f32_e32 v59, v46, v202
	v_add_f32_e32 v56, v5, v6
	v_mul_f32_e32 v5, v47, v202
	s_waitcnt vmcnt(20)
	v_fmac_f32_e32 v59, v47, v203
	s_waitcnt vmcnt(15)
	v_mov_b32_e32 v18, v55
	s_waitcnt lgkmcnt(0)
	v_pk_mul_f32 v[18:19], v[50:51], v[18:19] op_sel_hi:[1,0]
	v_mul_f32_e32 v61, v48, v204
	v_fma_f32 v58, v46, v203, -v5
	v_mul_f32_e32 v5, v49, v204
	s_waitcnt vmcnt(14)
	v_pk_fma_f32 v[20:21], v[50:51], v[54:55], v[18:19] op_sel:[0,0,1] op_sel_hi:[1,1,0] neg_lo:[0,0,1] neg_hi:[0,0,1]
	v_pk_fma_f32 v[18:19], v[50:51], v[54:55], v[18:19] op_sel:[0,0,1] op_sel_hi:[1,0,0]
	v_fmac_f32_e32 v61, v49, v205
	v_fma_f32 v60, v48, v205, -v5
	ds_read2_b64 v[6:9], v4 offset0:85 offset1:86
	ds_read2_b64 v[10:13], v4 offset0:87 offset1:88
	;; [unrolled: 1-line block ×3, first 2 shown]
	v_pk_add_f32 v[4:5], v[56:57], v[58:59]
	s_waitcnt vmcnt(7)
	v_mov_b32_e32 v18, v159
	v_pk_add_f32 v[4:5], v[4:5], v[60:61]
	v_mov_b32_e32 v21, v19
	v_pk_mul_f32 v[18:19], v[52:53], v[18:19] op_sel_hi:[1,0]
	v_pk_add_f32 v[4:5], v[4:5], v[20:21]
	s_waitcnt vmcnt(6)
	v_pk_fma_f32 v[20:21], v[52:53], v[158:159], v[18:19] op_sel:[0,0,1] op_sel_hi:[1,1,0] neg_lo:[0,0,1] neg_hi:[0,0,1]
	v_pk_fma_f32 v[18:19], v[52:53], v[158:159], v[18:19] op_sel:[0,0,1] op_sel_hi:[1,0,0]
	v_mov_b32_e32 v18, v157
	v_mov_b32_e32 v21, v19
	s_waitcnt lgkmcnt(2)
	v_pk_mul_f32 v[18:19], v[6:7], v[18:19] op_sel_hi:[1,0]
	v_pk_add_f32 v[4:5], v[4:5], v[20:21]
	v_pk_fma_f32 v[20:21], v[6:7], v[156:157], v[18:19] op_sel:[0,0,1] op_sel_hi:[1,1,0] neg_lo:[0,0,1] neg_hi:[0,0,1]
	v_pk_fma_f32 v[6:7], v[6:7], v[156:157], v[18:19] op_sel:[0,0,1] op_sel_hi:[1,0,0]
	v_mov_b32_e32 v6, v65
	v_mov_b32_e32 v21, v7
	v_pk_mul_f32 v[6:7], v[8:9], v[6:7] op_sel_hi:[1,0]
	v_pk_fma_f32 v[18:19], v[8:9], v[64:65], v[6:7] op_sel:[0,0,1] op_sel_hi:[1,1,0] neg_lo:[0,0,1] neg_hi:[0,0,1]
	v_pk_fma_f32 v[6:7], v[8:9], v[64:65], v[6:7] op_sel:[0,0,1] op_sel_hi:[1,0,0]
	v_mov_b32_e32 v6, v63
	v_mov_b32_e32 v19, v7
	s_waitcnt lgkmcnt(1)
	v_pk_mul_f32 v[6:7], v[10:11], v[6:7] op_sel_hi:[1,0]
	v_pk_fma_f32 v[8:9], v[10:11], v[62:63], v[6:7] op_sel:[0,0,1] op_sel_hi:[1,1,0] neg_lo:[0,0,1] neg_hi:[0,0,1]
	v_pk_fma_f32 v[6:7], v[10:11], v[62:63], v[6:7] op_sel:[0,0,1] op_sel_hi:[1,0,0]
	v_pk_add_f32 v[4:5], v[4:5], v[20:21]
	s_waitcnt vmcnt(1)
	v_mov_b32_e32 v6, v165
	v_pk_add_f32 v[4:5], v[4:5], v[18:19]
	v_mov_b32_e32 v9, v7
	v_pk_mul_f32 v[6:7], v[12:13], v[6:7] op_sel_hi:[1,0]
	v_pk_add_f32 v[4:5], v[4:5], v[8:9]
	s_waitcnt vmcnt(0)
	v_pk_fma_f32 v[8:9], v[12:13], v[164:165], v[6:7] op_sel:[0,0,1] op_sel_hi:[1,1,0] neg_lo:[0,0,1] neg_hi:[0,0,1]
	v_pk_fma_f32 v[6:7], v[12:13], v[164:165], v[6:7] op_sel:[0,0,1] op_sel_hi:[1,0,0]
	v_mov_b32_e32 v6, v163
	v_mov_b32_e32 v9, v7
	s_waitcnt lgkmcnt(0)
	v_pk_mul_f32 v[6:7], v[14:15], v[6:7] op_sel_hi:[1,0]
	v_pk_add_f32 v[4:5], v[4:5], v[8:9]
	v_pk_fma_f32 v[8:9], v[14:15], v[162:163], v[6:7] op_sel:[0,0,1] op_sel_hi:[1,1,0] neg_lo:[0,0,1] neg_hi:[0,0,1]
	v_pk_fma_f32 v[6:7], v[14:15], v[162:163], v[6:7] op_sel:[0,0,1] op_sel_hi:[1,0,0]
	v_mov_b32_e32 v6, v161
	v_mov_b32_e32 v9, v7
	v_pk_mul_f32 v[6:7], v[16:17], v[6:7] op_sel_hi:[1,0]
	v_pk_add_f32 v[4:5], v[4:5], v[8:9]
	v_pk_fma_f32 v[8:9], v[16:17], v[160:161], v[6:7] op_sel:[0,0,1] op_sel_hi:[1,1,0] neg_lo:[0,0,1] neg_hi:[0,0,1]
	v_pk_fma_f32 v[6:7], v[16:17], v[160:161], v[6:7] op_sel:[0,0,1] op_sel_hi:[1,0,0]
	v_mov_b32_e32 v9, v7
	v_pk_add_f32 v[4:5], v[4:5], v[8:9]
	v_pk_add_f32 v[2:3], v[2:3], v[4:5] neg_lo:[0,1] neg_hi:[0,1]
	buffer_store_dword v3, off, s[0:3], 0 offset:116
	buffer_store_dword v2, off, s[0:3], 0 offset:112
	s_and_saveexec_b64 s[4:5], vcc
	s_cbranch_execz .LBB108_257
; %bb.256:
	buffer_load_dword v2, off, s[0:3], 0 offset:104
	buffer_load_dword v3, off, s[0:3], 0 offset:108
	v_mov_b32_e32 v4, 0
	buffer_store_dword v4, off, s[0:3], 0 offset:104
	buffer_store_dword v4, off, s[0:3], 0 offset:108
	s_waitcnt vmcnt(2)
	ds_write_b64 v1, v[2:3]
.LBB108_257:
	s_or_b64 exec, exec, s[4:5]
	s_waitcnt lgkmcnt(0)
	; wave barrier
	s_waitcnt lgkmcnt(0)
	buffer_load_dword v5, off, s[0:3], 0 offset:116
	buffer_load_dword v54, off, s[0:3], 0 offset:124
	;; [unrolled: 1-line block ×48, first 2 shown]
	v_mov_b32_e32 v4, 0
	ds_read_b128 v[6:9], v4 offset:480
	ds_read_b128 v[10:13], v4 offset:496
	;; [unrolled: 1-line block ×6, first 2 shown]
	v_cmp_lt_u32_e32 vcc, 12, v0
	s_waitcnt vmcnt(47) lgkmcnt(5)
	v_mul_f32_e32 v30, v6, v5
	s_waitcnt vmcnt(46)
	v_mul_f32_e32 v31, v8, v54
	s_waitcnt vmcnt(45) lgkmcnt(4)
	v_mul_f32_e32 v32, v10, v56
	s_waitcnt vmcnt(44)
	v_mul_f32_e32 v33, v12, v58
	;; [unrolled: 4-line block ×6, first 2 shown]
	s_waitcnt vmcnt(35)
	v_fmac_f32_e32 v30, v7, v174
	s_waitcnt vmcnt(34)
	v_fmac_f32_e32 v31, v9, v175
	v_add_f32_e32 v30, 0, v30
	s_waitcnt vmcnt(33)
	v_fmac_f32_e32 v32, v11, v176
	v_add_f32_e32 v30, v30, v31
	;; [unrolled: 3-line block ×8, first 2 shown]
	v_add_f32_e32 v34, v30, v38
	ds_read_b128 v[30:33], v4 offset:576
	s_waitcnt vmcnt(26)
	v_fmac_f32_e32 v39, v25, v183
	s_waitcnt vmcnt(25)
	v_fmac_f32_e32 v40, v27, v184
	v_add_f32_e32 v34, v34, v39
	s_waitcnt vmcnt(24)
	v_fmac_f32_e32 v41, v29, v185
	v_add_f32_e32 v34, v34, v40
	v_add_f32_e32 v38, v34, v41
	ds_read_b128 v[34:37], v4 offset:592
	s_waitcnt vmcnt(23) lgkmcnt(1)
	v_mul_f32_e32 v39, v30, v186
	s_waitcnt vmcnt(22)
	v_fmac_f32_e32 v39, v31, v187
	v_add_f32_e32 v38, v38, v39
	s_waitcnt vmcnt(21)
	v_mul_f32_e32 v39, v32, v188
	s_waitcnt vmcnt(20)
	v_fmac_f32_e32 v39, v33, v189
	v_add_f32_e32 v38, v38, v39
	s_waitcnt vmcnt(19) lgkmcnt(0)
	v_mul_f32_e32 v39, v34, v190
	s_waitcnt vmcnt(18)
	v_fmac_f32_e32 v39, v35, v191
	v_add_f32_e32 v42, v38, v39
	ds_read_b128 v[38:41], v4 offset:608
	s_waitcnt vmcnt(17)
	v_mul_f32_e32 v43, v36, v192
	s_waitcnt vmcnt(16)
	v_fmac_f32_e32 v43, v37, v193
	v_add_f32_e32 v46, v42, v43
	ds_read_b128 v[42:45], v4 offset:624
	s_waitcnt vmcnt(15) lgkmcnt(1)
	v_mul_f32_e32 v47, v38, v194
	s_waitcnt vmcnt(14)
	v_fmac_f32_e32 v47, v39, v195
	v_add_f32_e32 v46, v46, v47
	s_waitcnt vmcnt(13)
	v_mul_f32_e32 v47, v40, v196
	s_waitcnt vmcnt(12)
	v_fmac_f32_e32 v47, v41, v197
	v_add_f32_e32 v46, v46, v47
	s_waitcnt vmcnt(11) lgkmcnt(0)
	v_mul_f32_e32 v47, v42, v198
	s_waitcnt vmcnt(10)
	v_fmac_f32_e32 v47, v43, v199
	s_waitcnt vmcnt(9)
	v_mul_f32_e32 v51, v44, v200
	v_add_f32_e32 v50, v46, v47
	s_waitcnt vmcnt(8)
	v_fmac_f32_e32 v51, v45, v201
	ds_read_b128 v[46:49], v4 offset:640
	v_add_f32_e32 v55, v50, v51
	ds_read_b128 v[50:53], v4 offset:656
	buffer_load_dword v61, off, s[0:3], 0 offset:324
	buffer_load_dword v60, off, s[0:3], 0 offset:320
	;; [unrolled: 1-line block ×16, first 2 shown]
	v_mul_f32_e32 v5, v7, v5
	v_fma_f32 v5, v6, v174, -v5
	v_mul_f32_e32 v6, v9, v54
	v_add_f32_e32 v5, 0, v5
	v_fma_f32 v6, v8, v175, -v6
	v_add_f32_e32 v5, v5, v6
	v_mul_f32_e32 v6, v11, v56
	v_fma_f32 v6, v10, v176, -v6
	v_add_f32_e32 v5, v5, v6
	v_mul_f32_e32 v6, v13, v58
	;; [unrolled: 3-line block ×18, first 2 shown]
	v_fma_f32 v6, v44, v201, -v6
	s_waitcnt vmcnt(22) lgkmcnt(1)
	v_mul_f32_e32 v57, v46, v203
	v_add_f32_e32 v5, v5, v6
	v_mul_f32_e32 v6, v47, v203
	v_fmac_f32_e32 v57, v47, v202
	v_fma_f32 v6, v46, v202, -v6
	v_add_f32_e32 v55, v55, v57
	s_waitcnt vmcnt(19)
	v_mul_f32_e32 v57, v48, v204
	v_add_f32_e32 v54, v5, v6
	v_mul_f32_e32 v5, v49, v204
	s_waitcnt vmcnt(18)
	v_fmac_f32_e32 v57, v49, v205
	s_waitcnt vmcnt(17) lgkmcnt(0)
	v_mul_f32_e32 v59, v50, v206
	s_waitcnt vmcnt(9)
	v_mov_b32_e32 v22, v157
	v_pk_mul_f32 v[22:23], v[52:53], v[22:23] op_sel_hi:[1,0]
	v_fma_f32 v56, v48, v205, -v5
	v_mul_f32_e32 v5, v51, v206
	ds_read_b128 v[6:9], v4 offset:672
	ds_read_b128 v[10:13], v4 offset:688
	;; [unrolled: 1-line block ×3, first 2 shown]
	ds_read_b64 v[18:19], v4 offset:720
	s_waitcnt vmcnt(8)
	v_pk_fma_f32 v[24:25], v[52:53], v[156:157], v[22:23] op_sel:[0,0,1] op_sel_hi:[1,1,0] neg_lo:[0,0,1] neg_hi:[0,0,1]
	v_pk_fma_f32 v[22:23], v[52:53], v[156:157], v[22:23] op_sel:[0,0,1] op_sel_hi:[1,0,0]
	v_fmac_f32_e32 v59, v51, v207
	v_fma_f32 v58, v50, v207, -v5
	v_pk_add_f32 v[20:21], v[54:55], v[56:57]
	v_mov_b32_e32 v22, v65
	v_pk_add_f32 v[20:21], v[20:21], v[58:59]
	v_mov_b32_e32 v25, v23
	s_waitcnt lgkmcnt(3)
	v_pk_mul_f32 v[22:23], v[6:7], v[22:23] op_sel_hi:[1,0]
	v_pk_add_f32 v[20:21], v[20:21], v[24:25]
	v_pk_fma_f32 v[24:25], v[6:7], v[64:65], v[22:23] op_sel:[0,0,1] op_sel_hi:[1,1,0] neg_lo:[0,0,1] neg_hi:[0,0,1]
	v_pk_fma_f32 v[6:7], v[6:7], v[64:65], v[22:23] op_sel:[0,0,1] op_sel_hi:[1,0,0]
	v_mov_b32_e32 v25, v7
	v_pk_add_f32 v[6:7], v[20:21], v[24:25]
	v_mov_b32_e32 v20, v63
	v_pk_mul_f32 v[20:21], v[8:9], v[20:21] op_sel_hi:[1,0]
	v_pk_fma_f32 v[22:23], v[8:9], v[62:63], v[20:21] op_sel:[0,0,1] op_sel_hi:[1,1,0] neg_lo:[0,0,1] neg_hi:[0,0,1]
	v_pk_fma_f32 v[8:9], v[8:9], v[62:63], v[20:21] op_sel:[0,0,1] op_sel_hi:[1,0,0]
	v_mov_b32_e32 v8, v61
	v_mov_b32_e32 v23, v9
	s_waitcnt lgkmcnt(2)
	v_pk_mul_f32 v[8:9], v[10:11], v[8:9] op_sel_hi:[1,0]
	v_pk_fma_f32 v[20:21], v[10:11], v[60:61], v[8:9] op_sel:[0,0,1] op_sel_hi:[1,1,0] neg_lo:[0,0,1] neg_hi:[0,0,1]
	v_pk_fma_f32 v[8:9], v[10:11], v[60:61], v[8:9] op_sel:[0,0,1] op_sel_hi:[1,0,0]
	s_waitcnt vmcnt(1)
	v_mov_b32_e32 v8, v165
	v_mov_b32_e32 v21, v9
	v_pk_mul_f32 v[8:9], v[12:13], v[8:9] op_sel_hi:[1,0]
	s_waitcnt vmcnt(0)
	v_pk_fma_f32 v[10:11], v[12:13], v[164:165], v[8:9] op_sel:[0,0,1] op_sel_hi:[1,1,0] neg_lo:[0,0,1] neg_hi:[0,0,1]
	v_pk_fma_f32 v[8:9], v[12:13], v[164:165], v[8:9] op_sel:[0,0,1] op_sel_hi:[1,0,0]
	v_pk_add_f32 v[6:7], v[6:7], v[22:23]
	v_mov_b32_e32 v8, v163
	v_pk_add_f32 v[6:7], v[6:7], v[20:21]
	v_mov_b32_e32 v11, v9
	s_waitcnt lgkmcnt(1)
	v_pk_mul_f32 v[8:9], v[14:15], v[8:9] op_sel_hi:[1,0]
	v_pk_add_f32 v[6:7], v[6:7], v[10:11]
	v_pk_fma_f32 v[10:11], v[14:15], v[162:163], v[8:9] op_sel:[0,0,1] op_sel_hi:[1,1,0] neg_lo:[0,0,1] neg_hi:[0,0,1]
	v_pk_fma_f32 v[8:9], v[14:15], v[162:163], v[8:9] op_sel:[0,0,1] op_sel_hi:[1,0,0]
	v_mov_b32_e32 v8, v161
	v_mov_b32_e32 v11, v9
	v_pk_mul_f32 v[8:9], v[16:17], v[8:9] op_sel_hi:[1,0]
	v_pk_add_f32 v[6:7], v[6:7], v[10:11]
	v_pk_fma_f32 v[10:11], v[16:17], v[160:161], v[8:9] op_sel:[0,0,1] op_sel_hi:[1,1,0] neg_lo:[0,0,1] neg_hi:[0,0,1]
	v_pk_fma_f32 v[8:9], v[16:17], v[160:161], v[8:9] op_sel:[0,0,1] op_sel_hi:[1,0,0]
	v_mov_b32_e32 v8, v159
	v_mov_b32_e32 v11, v9
	s_waitcnt lgkmcnt(0)
	v_pk_mul_f32 v[8:9], v[18:19], v[8:9] op_sel_hi:[1,0]
	v_pk_add_f32 v[6:7], v[6:7], v[10:11]
	v_pk_fma_f32 v[10:11], v[18:19], v[158:159], v[8:9] op_sel:[0,0,1] op_sel_hi:[1,1,0] neg_lo:[0,0,1] neg_hi:[0,0,1]
	v_pk_fma_f32 v[8:9], v[18:19], v[158:159], v[8:9] op_sel:[0,0,1] op_sel_hi:[1,0,0]
	v_mov_b32_e32 v11, v9
	v_pk_add_f32 v[6:7], v[6:7], v[10:11]
	v_pk_add_f32 v[2:3], v[2:3], v[6:7] neg_lo:[0,1] neg_hi:[0,1]
	buffer_store_dword v3, off, s[0:3], 0 offset:108
	buffer_store_dword v2, off, s[0:3], 0 offset:104
	s_and_saveexec_b64 s[4:5], vcc
	s_cbranch_execz .LBB108_259
; %bb.258:
	buffer_load_dword v2, off, s[0:3], 0 offset:96
	buffer_load_dword v3, off, s[0:3], 0 offset:100
	s_waitcnt vmcnt(0)
	ds_write_b64 v1, v[2:3]
	buffer_store_dword v4, off, s[0:3], 0 offset:96
	buffer_store_dword v4, off, s[0:3], 0 offset:100
.LBB108_259:
	s_or_b64 exec, exec, s[4:5]
	s_waitcnt lgkmcnt(0)
	; wave barrier
	s_waitcnt lgkmcnt(0)
	buffer_load_dword v5, off, s[0:3], 0 offset:108
	buffer_load_dword v54, off, s[0:3], 0 offset:116
	;; [unrolled: 1-line block ×48, first 2 shown]
	ds_read2_b64 v[6:9], v4 offset0:59 offset1:60
	ds_read2_b64 v[10:13], v4 offset0:61 offset1:62
	;; [unrolled: 1-line block ×6, first 2 shown]
	buffer_load_dword v208, off, s[0:3], 0 offset:288
	buffer_load_dword v209, off, s[0:3], 0 offset:292
	v_cmp_lt_u32_e32 vcc, 11, v0
	s_waitcnt vmcnt(49) lgkmcnt(5)
	v_mul_f32_e32 v30, v6, v5
	s_waitcnt vmcnt(48)
	v_mul_f32_e32 v31, v8, v54
	s_waitcnt vmcnt(47) lgkmcnt(4)
	v_mul_f32_e32 v32, v10, v56
	s_waitcnt vmcnt(46)
	v_mul_f32_e32 v33, v12, v64
	;; [unrolled: 4-line block ×6, first 2 shown]
	s_waitcnt vmcnt(37)
	v_fmac_f32_e32 v30, v7, v174
	s_waitcnt vmcnt(36)
	v_fmac_f32_e32 v31, v9, v175
	v_add_f32_e32 v30, 0, v30
	s_waitcnt vmcnt(35)
	v_fmac_f32_e32 v32, v11, v176
	v_add_f32_e32 v30, v30, v31
	;; [unrolled: 3-line block ×9, first 2 shown]
	v_add_f32_e32 v34, v30, v39
	ds_read2_b64 v[30:33], v4 offset0:71 offset1:72
	s_waitcnt vmcnt(27)
	v_fmac_f32_e32 v40, v27, v184
	v_add_f32_e32 v34, v34, v40
	s_waitcnt vmcnt(26)
	v_fmac_f32_e32 v41, v29, v185
	v_add_f32_e32 v38, v34, v41
	ds_read2_b64 v[34:37], v4 offset0:73 offset1:74
	s_waitcnt vmcnt(25) lgkmcnt(1)
	v_mul_f32_e32 v39, v30, v186
	s_waitcnt vmcnt(24)
	v_fmac_f32_e32 v39, v31, v187
	v_add_f32_e32 v38, v38, v39
	s_waitcnt vmcnt(23)
	v_mul_f32_e32 v39, v32, v188
	s_waitcnt vmcnt(22)
	v_fmac_f32_e32 v39, v33, v189
	v_add_f32_e32 v38, v38, v39
	s_waitcnt vmcnt(21) lgkmcnt(0)
	v_mul_f32_e32 v39, v34, v190
	s_waitcnt vmcnt(20)
	v_fmac_f32_e32 v39, v35, v191
	v_add_f32_e32 v42, v38, v39
	ds_read2_b64 v[38:41], v4 offset0:75 offset1:76
	s_waitcnt vmcnt(19)
	v_mul_f32_e32 v43, v36, v192
	s_waitcnt vmcnt(18)
	v_fmac_f32_e32 v43, v37, v193
	v_add_f32_e32 v46, v42, v43
	ds_read2_b64 v[42:45], v4 offset0:77 offset1:78
	s_waitcnt vmcnt(17) lgkmcnt(1)
	v_mul_f32_e32 v47, v38, v194
	s_waitcnt vmcnt(16)
	v_fmac_f32_e32 v47, v39, v195
	v_add_f32_e32 v46, v46, v47
	s_waitcnt vmcnt(15)
	v_mul_f32_e32 v47, v40, v196
	s_waitcnt vmcnt(14)
	v_fmac_f32_e32 v47, v41, v197
	v_add_f32_e32 v46, v46, v47
	s_waitcnt vmcnt(13) lgkmcnt(0)
	v_mul_f32_e32 v47, v42, v198
	s_waitcnt vmcnt(12)
	v_fmac_f32_e32 v47, v43, v199
	s_waitcnt vmcnt(11)
	v_mul_f32_e32 v51, v44, v200
	v_add_f32_e32 v50, v46, v47
	s_waitcnt vmcnt(10)
	v_fmac_f32_e32 v51, v45, v201
	ds_read2_b64 v[46:49], v4 offset0:79 offset1:80
	v_add_f32_e32 v55, v50, v51
	ds_read2_b64 v[50:53], v4 offset0:81 offset1:82
	buffer_load_dword v59, off, s[0:3], 0 offset:316
	buffer_load_dword v58, off, s[0:3], 0 offset:312
	;; [unrolled: 1-line block ×16, first 2 shown]
	v_mul_f32_e32 v5, v7, v5
	v_fma_f32 v5, v6, v174, -v5
	v_mul_f32_e32 v6, v9, v54
	v_add_f32_e32 v5, 0, v5
	v_fma_f32 v6, v8, v175, -v6
	v_add_f32_e32 v5, v5, v6
	v_mul_f32_e32 v6, v11, v56
	v_fma_f32 v6, v10, v176, -v6
	v_add_f32_e32 v5, v5, v6
	v_mul_f32_e32 v6, v13, v64
	;; [unrolled: 3-line block ×18, first 2 shown]
	v_fma_f32 v6, v44, v201, -v6
	v_add_f32_e32 v5, v5, v6
	s_waitcnt vmcnt(23) lgkmcnt(1)
	v_mul_f32_e32 v6, v47, v202
	s_waitcnt vmcnt(22)
	v_fma_f32 v6, v46, v203, -v6
	v_add_f32_e32 v5, v5, v6
	s_waitcnt vmcnt(20)
	v_mul_f32_e32 v6, v49, v205
	v_fma_f32 v6, v48, v204, -v6
	v_add_f32_e32 v54, v5, v6
	ds_read2_b64 v[6:9], v4 offset0:83 offset1:84
	ds_read2_b64 v[10:13], v4 offset0:85 offset1:86
	;; [unrolled: 1-line block ×4, first 2 shown]
	v_mul_f32_e32 v57, v46, v202
	v_fmac_f32_e32 v57, v47, v203
	v_add_f32_e32 v55, v55, v57
	v_mul_f32_e32 v57, v48, v205
	v_fmac_f32_e32 v57, v49, v204
	v_add_f32_e32 v55, v55, v57
	s_waitcnt vmcnt(18) lgkmcnt(4)
	v_mul_f32_e32 v57, v50, v207
	v_mul_f32_e32 v5, v51, v207
	v_fmac_f32_e32 v57, v51, v206
	s_waitcnt vmcnt(16)
	v_mul_f32_e32 v65, v52, v209
	s_waitcnt vmcnt(11)
	v_mov_b32_e32 v22, v63
	s_waitcnt lgkmcnt(3)
	v_pk_mul_f32 v[22:23], v[6:7], v[22:23] op_sel_hi:[1,0]
	s_waitcnt vmcnt(10)
	v_pk_fma_f32 v[24:25], v[6:7], v[62:63], v[22:23] op_sel:[0,0,1] op_sel_hi:[1,1,0] neg_lo:[0,0,1] neg_hi:[0,0,1]
	v_pk_fma_f32 v[6:7], v[6:7], v[62:63], v[22:23] op_sel:[0,0,1] op_sel_hi:[1,0,0]
	v_mov_b32_e32 v6, v61
	v_mov_b32_e32 v25, v7
	v_pk_mul_f32 v[6:7], v[8:9], v[6:7] op_sel_hi:[1,0]
	v_pk_fma_f32 v[22:23], v[8:9], v[60:61], v[6:7] op_sel:[0,0,1] op_sel_hi:[1,1,0] neg_lo:[0,0,1] neg_hi:[0,0,1]
	v_pk_fma_f32 v[6:7], v[8:9], v[60:61], v[6:7] op_sel:[0,0,1] op_sel_hi:[1,0,0]
	v_fma_f32 v56, v50, v206, -v5
	v_mul_f32_e32 v5, v53, v209
	v_mov_b32_e32 v6, v59
	v_fmac_f32_e32 v65, v53, v208
	v_fma_f32 v64, v52, v208, -v5
	v_pk_add_f32 v[4:5], v[54:55], v[56:57]
	v_mov_b32_e32 v23, v7
	s_waitcnt lgkmcnt(2)
	v_pk_mul_f32 v[6:7], v[10:11], v[6:7] op_sel_hi:[1,0]
	v_pk_add_f32 v[4:5], v[4:5], v[64:65]
	v_pk_fma_f32 v[8:9], v[10:11], v[58:59], v[6:7] op_sel:[0,0,1] op_sel_hi:[1,1,0] neg_lo:[0,0,1] neg_hi:[0,0,1]
	v_pk_fma_f32 v[6:7], v[10:11], v[58:59], v[6:7] op_sel:[0,0,1] op_sel_hi:[1,0,0]
	v_pk_add_f32 v[4:5], v[4:5], v[24:25]
	s_waitcnt vmcnt(3)
	v_mov_b32_e32 v6, v163
	v_pk_add_f32 v[4:5], v[4:5], v[22:23]
	v_mov_b32_e32 v9, v7
	v_pk_mul_f32 v[6:7], v[12:13], v[6:7] op_sel_hi:[1,0]
	v_pk_add_f32 v[4:5], v[4:5], v[8:9]
	s_waitcnt vmcnt(2)
	v_pk_fma_f32 v[8:9], v[12:13], v[162:163], v[6:7] op_sel:[0,0,1] op_sel_hi:[1,1,0] neg_lo:[0,0,1] neg_hi:[0,0,1]
	v_pk_fma_f32 v[6:7], v[12:13], v[162:163], v[6:7] op_sel:[0,0,1] op_sel_hi:[1,0,0]
	v_mov_b32_e32 v6, v161
	v_mov_b32_e32 v9, v7
	s_waitcnt lgkmcnt(1)
	v_pk_mul_f32 v[6:7], v[14:15], v[6:7] op_sel_hi:[1,0]
	v_pk_add_f32 v[4:5], v[4:5], v[8:9]
	v_pk_fma_f32 v[8:9], v[14:15], v[160:161], v[6:7] op_sel:[0,0,1] op_sel_hi:[1,1,0] neg_lo:[0,0,1] neg_hi:[0,0,1]
	v_pk_fma_f32 v[6:7], v[14:15], v[160:161], v[6:7] op_sel:[0,0,1] op_sel_hi:[1,0,0]
	v_mov_b32_e32 v6, v159
	v_mov_b32_e32 v9, v7
	v_pk_mul_f32 v[6:7], v[16:17], v[6:7] op_sel_hi:[1,0]
	v_pk_add_f32 v[4:5], v[4:5], v[8:9]
	v_pk_fma_f32 v[8:9], v[16:17], v[158:159], v[6:7] op_sel:[0,0,1] op_sel_hi:[1,1,0] neg_lo:[0,0,1] neg_hi:[0,0,1]
	v_pk_fma_f32 v[6:7], v[16:17], v[158:159], v[6:7] op_sel:[0,0,1] op_sel_hi:[1,0,0]
	v_mov_b32_e32 v6, v157
	v_mov_b32_e32 v9, v7
	s_waitcnt lgkmcnt(0)
	v_pk_mul_f32 v[6:7], v[18:19], v[6:7] op_sel_hi:[1,0]
	v_pk_add_f32 v[4:5], v[4:5], v[8:9]
	v_pk_fma_f32 v[8:9], v[18:19], v[156:157], v[6:7] op_sel:[0,0,1] op_sel_hi:[1,1,0] neg_lo:[0,0,1] neg_hi:[0,0,1]
	v_pk_fma_f32 v[6:7], v[18:19], v[156:157], v[6:7] op_sel:[0,0,1] op_sel_hi:[1,0,0]
	s_waitcnt vmcnt(1)
	v_mov_b32_e32 v6, v165
	v_mov_b32_e32 v9, v7
	v_pk_mul_f32 v[6:7], v[20:21], v[6:7] op_sel_hi:[1,0]
	v_pk_add_f32 v[4:5], v[4:5], v[8:9]
	s_waitcnt vmcnt(0)
	v_pk_fma_f32 v[8:9], v[20:21], v[164:165], v[6:7] op_sel:[0,0,1] op_sel_hi:[1,1,0] neg_lo:[0,0,1] neg_hi:[0,0,1]
	v_pk_fma_f32 v[6:7], v[20:21], v[164:165], v[6:7] op_sel:[0,0,1] op_sel_hi:[1,0,0]
	v_mov_b32_e32 v9, v7
	v_pk_add_f32 v[4:5], v[4:5], v[8:9]
	v_pk_add_f32 v[2:3], v[2:3], v[4:5] neg_lo:[0,1] neg_hi:[0,1]
	buffer_store_dword v3, off, s[0:3], 0 offset:100
	buffer_store_dword v2, off, s[0:3], 0 offset:96
	s_and_saveexec_b64 s[4:5], vcc
	s_cbranch_execz .LBB108_261
; %bb.260:
	buffer_load_dword v2, off, s[0:3], 0 offset:88
	buffer_load_dword v3, off, s[0:3], 0 offset:92
	v_mov_b32_e32 v4, 0
	buffer_store_dword v4, off, s[0:3], 0 offset:88
	buffer_store_dword v4, off, s[0:3], 0 offset:92
	s_waitcnt vmcnt(2)
	ds_write_b64 v1, v[2:3]
.LBB108_261:
	s_or_b64 exec, exec, s[4:5]
	s_waitcnt lgkmcnt(0)
	; wave barrier
	s_waitcnt lgkmcnt(0)
	buffer_load_dword v5, off, s[0:3], 0 offset:100
	buffer_load_dword v62, off, s[0:3], 0 offset:108
	;; [unrolled: 1-line block ×52, first 2 shown]
	v_mov_b32_e32 v4, 0
	ds_read_b128 v[6:9], v4 offset:464
	ds_read_b128 v[10:13], v4 offset:480
	ds_read_b128 v[14:17], v4 offset:496
	ds_read_b128 v[18:21], v4 offset:512
	ds_read_b128 v[22:25], v4 offset:528
	ds_read_b128 v[26:29], v4 offset:544
	v_cmp_lt_u32_e32 vcc, 10, v0
	s_waitcnt vmcnt(51) lgkmcnt(5)
	v_mul_f32_e32 v30, v6, v5
	s_waitcnt vmcnt(50)
	v_mul_f32_e32 v31, v8, v62
	s_waitcnt vmcnt(49) lgkmcnt(4)
	v_mul_f32_e32 v32, v10, v158
	s_waitcnt vmcnt(48)
	v_mul_f32_e32 v33, v12, v160
	;; [unrolled: 4-line block ×5, first 2 shown]
	s_waitcnt vmcnt(41) lgkmcnt(0)
	v_mul_f32_e32 v40, v26, v180
	s_waitcnt vmcnt(40)
	v_fmac_f32_e32 v30, v7, v181
	s_waitcnt vmcnt(39)
	v_fmac_f32_e32 v31, v9, v182
	v_add_f32_e32 v30, 0, v30
	s_waitcnt vmcnt(38)
	v_fmac_f32_e32 v32, v11, v183
	v_add_f32_e32 v30, v30, v31
	;; [unrolled: 3-line block ×9, first 2 shown]
	v_add_f32_e32 v30, v30, v39
	s_waitcnt vmcnt(30)
	v_fmac_f32_e32 v40, v27, v191
	v_add_f32_e32 v34, v30, v40
	ds_read_b128 v[30:33], v4 offset:560
	s_waitcnt vmcnt(29)
	v_mul_f32_e32 v35, v28, v192
	s_waitcnt vmcnt(28)
	v_fmac_f32_e32 v35, v29, v193
	v_add_f32_e32 v38, v34, v35
	ds_read_b128 v[34:37], v4 offset:576
	s_waitcnt vmcnt(27) lgkmcnt(1)
	v_mul_f32_e32 v39, v30, v194
	s_waitcnt vmcnt(26)
	v_fmac_f32_e32 v39, v31, v195
	v_add_f32_e32 v38, v38, v39
	s_waitcnt vmcnt(25)
	v_mul_f32_e32 v39, v32, v196
	s_waitcnt vmcnt(24)
	v_fmac_f32_e32 v39, v33, v197
	v_add_f32_e32 v38, v38, v39
	s_waitcnt vmcnt(23) lgkmcnt(0)
	v_mul_f32_e32 v39, v34, v198
	s_waitcnt vmcnt(22)
	v_fmac_f32_e32 v39, v35, v199
	v_add_f32_e32 v42, v38, v39
	ds_read_b128 v[38:41], v4 offset:592
	s_waitcnt vmcnt(21)
	v_mul_f32_e32 v43, v36, v200
	s_waitcnt vmcnt(20)
	v_fmac_f32_e32 v43, v37, v201
	v_add_f32_e32 v46, v42, v43
	ds_read_b128 v[42:45], v4 offset:608
	s_waitcnt vmcnt(19) lgkmcnt(1)
	v_mul_f32_e32 v47, v38, v202
	s_waitcnt vmcnt(18)
	v_fmac_f32_e32 v47, v39, v203
	v_add_f32_e32 v46, v46, v47
	s_waitcnt vmcnt(17)
	v_mul_f32_e32 v47, v40, v204
	s_waitcnt vmcnt(16)
	v_fmac_f32_e32 v47, v41, v205
	v_add_f32_e32 v46, v46, v47
	s_waitcnt vmcnt(14) lgkmcnt(0)
	v_mul_f32_e32 v47, v42, v207
	v_fmac_f32_e32 v47, v43, v206
	v_add_f32_e32 v50, v46, v47
	ds_read_b128 v[46:49], v4 offset:624
	s_waitcnt vmcnt(10)
	v_mul_f32_e32 v51, v44, v209
	v_fmac_f32_e32 v51, v45, v208
	v_add_f32_e32 v54, v50, v51
	ds_read_b128 v[50:53], v4 offset:640
	s_waitcnt vmcnt(8) lgkmcnt(1)
	v_mul_f32_e32 v55, v46, v211
	v_fmac_f32_e32 v55, v47, v210
	v_add_f32_e32 v54, v54, v55
	s_waitcnt vmcnt(6)
	v_mul_f32_e32 v55, v48, v213
	v_fmac_f32_e32 v55, v49, v212
	v_add_f32_e32 v54, v54, v55
	s_waitcnt vmcnt(4) lgkmcnt(0)
	v_mul_f32_e32 v55, v50, v215
	v_fmac_f32_e32 v55, v51, v214
	v_add_f32_e32 v63, v54, v55
	ds_read_b128 v[54:57], v4 offset:656
	buffer_load_dword v65, off, s[0:3], 0 offset:308
	buffer_load_dword v64, off, s[0:3], 0 offset:304
	;; [unrolled: 1-line block ×4, first 2 shown]
	ds_read_b128 v[58:61], v4 offset:672
	buffer_load_dword v163, off, s[0:3], 0 offset:340
	buffer_load_dword v162, off, s[0:3], 0 offset:336
	buffer_load_dword v165, off, s[0:3], 0 offset:332
	buffer_load_dword v164, off, s[0:3], 0 offset:328
	buffer_load_dword v167, off, s[0:3], 0 offset:324
	buffer_load_dword v166, off, s[0:3], 0 offset:320
	buffer_load_dword v169, off, s[0:3], 0 offset:316
	buffer_load_dword v168, off, s[0:3], 0 offset:312
	buffer_load_dword v171, off, s[0:3], 0 offset:356
	buffer_load_dword v170, off, s[0:3], 0 offset:352
	buffer_load_dword v173, off, s[0:3], 0 offset:348
	buffer_load_dword v172, off, s[0:3], 0 offset:344
	v_mul_f32_e32 v5, v7, v5
	v_fma_f32 v5, v6, v181, -v5
	v_mul_f32_e32 v6, v9, v62
	v_add_f32_e32 v5, 0, v5
	v_fma_f32 v6, v8, v182, -v6
	v_add_f32_e32 v5, v5, v6
	v_mul_f32_e32 v6, v11, v158
	v_fma_f32 v6, v10, v183, -v6
	v_add_f32_e32 v5, v5, v6
	v_mul_f32_e32 v6, v13, v160
	;; [unrolled: 3-line block ×21, first 2 shown]
	v_fma_f32 v6, v50, v214, -v6
	s_waitcnt vmcnt(18)
	v_mul_f32_e32 v159, v52, v217
	v_add_f32_e32 v62, v5, v6
	v_mul_f32_e32 v5, v53, v217
	v_fmac_f32_e32 v159, v53, v216
	s_waitcnt vmcnt(16) lgkmcnt(1)
	v_mul_f32_e32 v161, v54, v219
	v_fma_f32 v158, v52, v216, -v5
	v_mul_f32_e32 v5, v55, v219
	v_fmac_f32_e32 v161, v55, v218
	s_waitcnt vmcnt(13)
	v_mov_b32_e32 v18, v157
	v_pk_mul_f32 v[18:19], v[56:57], v[18:19] op_sel_hi:[1,0]
	s_waitcnt vmcnt(12)
	v_pk_fma_f32 v[20:21], v[56:57], v[156:157], v[18:19] op_sel:[0,0,1] op_sel_hi:[1,1,0] neg_lo:[0,0,1] neg_hi:[0,0,1]
	v_pk_fma_f32 v[18:19], v[56:57], v[156:157], v[18:19] op_sel:[0,0,1] op_sel_hi:[1,0,0]
	v_fma_f32 v160, v54, v218, -v5
	v_pk_add_f32 v[16:17], v[62:63], v[158:159]
	v_mov_b32_e32 v18, v65
	v_pk_add_f32 v[16:17], v[16:17], v[160:161]
	v_mov_b32_e32 v21, v19
	s_waitcnt lgkmcnt(0)
	v_pk_mul_f32 v[18:19], v[58:59], v[18:19] op_sel_hi:[1,0]
	v_pk_add_f32 v[16:17], v[16:17], v[20:21]
	v_pk_fma_f32 v[20:21], v[58:59], v[64:65], v[18:19] op_sel:[0,0,1] op_sel_hi:[1,1,0] neg_lo:[0,0,1] neg_hi:[0,0,1]
	v_pk_fma_f32 v[18:19], v[58:59], v[64:65], v[18:19] op_sel:[0,0,1] op_sel_hi:[1,0,0]
	s_waitcnt vmcnt(5)
	v_mov_b32_e32 v18, v169
	ds_read_b128 v[6:9], v4 offset:688
	ds_read_b128 v[10:13], v4 offset:704
	ds_read_b64 v[14:15], v4 offset:720
	v_mov_b32_e32 v21, v19
	v_pk_mul_f32 v[18:19], v[60:61], v[18:19] op_sel_hi:[1,0]
	v_pk_add_f32 v[16:17], v[16:17], v[20:21]
	s_waitcnt vmcnt(4)
	v_pk_fma_f32 v[20:21], v[60:61], v[168:169], v[18:19] op_sel:[0,0,1] op_sel_hi:[1,1,0] neg_lo:[0,0,1] neg_hi:[0,0,1]
	v_pk_fma_f32 v[18:19], v[60:61], v[168:169], v[18:19] op_sel:[0,0,1] op_sel_hi:[1,0,0]
	v_mov_b32_e32 v18, v167
	v_mov_b32_e32 v21, v19
	s_waitcnt lgkmcnt(2)
	v_pk_mul_f32 v[18:19], v[6:7], v[18:19] op_sel_hi:[1,0]
	v_pk_add_f32 v[16:17], v[16:17], v[20:21]
	v_pk_fma_f32 v[20:21], v[6:7], v[166:167], v[18:19] op_sel:[0,0,1] op_sel_hi:[1,1,0] neg_lo:[0,0,1] neg_hi:[0,0,1]
	v_pk_fma_f32 v[6:7], v[6:7], v[166:167], v[18:19] op_sel:[0,0,1] op_sel_hi:[1,0,0]
	v_mov_b32_e32 v21, v7
	v_pk_add_f32 v[6:7], v[16:17], v[20:21]
	v_mov_b32_e32 v16, v165
	v_pk_mul_f32 v[16:17], v[8:9], v[16:17] op_sel_hi:[1,0]
	v_pk_fma_f32 v[18:19], v[8:9], v[164:165], v[16:17] op_sel:[0,0,1] op_sel_hi:[1,1,0] neg_lo:[0,0,1] neg_hi:[0,0,1]
	v_pk_fma_f32 v[8:9], v[8:9], v[164:165], v[16:17] op_sel:[0,0,1] op_sel_hi:[1,0,0]
	v_mov_b32_e32 v8, v163
	v_mov_b32_e32 v19, v9
	s_waitcnt lgkmcnt(1)
	v_pk_mul_f32 v[8:9], v[10:11], v[8:9] op_sel_hi:[1,0]
	v_pk_fma_f32 v[16:17], v[10:11], v[162:163], v[8:9] op_sel:[0,0,1] op_sel_hi:[1,1,0] neg_lo:[0,0,1] neg_hi:[0,0,1]
	v_pk_fma_f32 v[8:9], v[10:11], v[162:163], v[8:9] op_sel:[0,0,1] op_sel_hi:[1,0,0]
	s_waitcnt vmcnt(1)
	v_mov_b32_e32 v8, v173
	v_mov_b32_e32 v17, v9
	v_pk_mul_f32 v[8:9], v[12:13], v[8:9] op_sel_hi:[1,0]
	s_waitcnt vmcnt(0)
	v_pk_fma_f32 v[10:11], v[12:13], v[172:173], v[8:9] op_sel:[0,0,1] op_sel_hi:[1,1,0] neg_lo:[0,0,1] neg_hi:[0,0,1]
	v_pk_fma_f32 v[8:9], v[12:13], v[172:173], v[8:9] op_sel:[0,0,1] op_sel_hi:[1,0,0]
	v_pk_add_f32 v[6:7], v[6:7], v[18:19]
	v_mov_b32_e32 v8, v171
	v_pk_add_f32 v[6:7], v[6:7], v[16:17]
	v_mov_b32_e32 v11, v9
	s_waitcnt lgkmcnt(0)
	v_pk_mul_f32 v[8:9], v[14:15], v[8:9] op_sel_hi:[1,0]
	v_pk_add_f32 v[6:7], v[6:7], v[10:11]
	v_pk_fma_f32 v[10:11], v[14:15], v[170:171], v[8:9] op_sel:[0,0,1] op_sel_hi:[1,1,0] neg_lo:[0,0,1] neg_hi:[0,0,1]
	v_pk_fma_f32 v[8:9], v[14:15], v[170:171], v[8:9] op_sel:[0,0,1] op_sel_hi:[1,0,0]
	v_mov_b32_e32 v11, v9
	v_pk_add_f32 v[6:7], v[6:7], v[10:11]
	v_pk_add_f32 v[2:3], v[2:3], v[6:7] neg_lo:[0,1] neg_hi:[0,1]
	buffer_store_dword v3, off, s[0:3], 0 offset:92
	buffer_store_dword v2, off, s[0:3], 0 offset:88
	s_and_saveexec_b64 s[4:5], vcc
	s_cbranch_execz .LBB108_263
; %bb.262:
	buffer_load_dword v2, off, s[0:3], 0 offset:80
	buffer_load_dword v3, off, s[0:3], 0 offset:84
	s_waitcnt vmcnt(0)
	ds_write_b64 v1, v[2:3]
	buffer_store_dword v4, off, s[0:3], 0 offset:80
	buffer_store_dword v4, off, s[0:3], 0 offset:84
.LBB108_263:
	s_or_b64 exec, exec, s[4:5]
	s_waitcnt lgkmcnt(0)
	; wave barrier
	s_waitcnt lgkmcnt(0)
	buffer_load_dword v5, off, s[0:3], 0 offset:92
	buffer_load_dword v64, off, s[0:3], 0 offset:100
	;; [unrolled: 1-line block ×42, first 2 shown]
	ds_read2_b64 v[6:9], v4 offset0:57 offset1:58
	ds_read2_b64 v[10:13], v4 offset0:59 offset1:60
	buffer_load_dword v210, off, s[0:3], 0 offset:248
	buffer_load_dword v211, off, s[0:3], 0 offset:252
	ds_read2_b64 v[14:17], v4 offset0:61 offset1:62
	ds_read2_b64 v[18:21], v4 offset0:63 offset1:64
	buffer_load_dword v212, off, s[0:3], 0 offset:256
	buffer_load_dword v213, off, s[0:3], 0 offset:260
	;; [unrolled: 1-line block ×4, first 2 shown]
	ds_read2_b64 v[22:25], v4 offset0:65 offset1:66
	ds_read2_b64 v[26:29], v4 offset0:67 offset1:68
	buffer_load_dword v216, off, s[0:3], 0 offset:272
	buffer_load_dword v217, off, s[0:3], 0 offset:276
	;; [unrolled: 1-line block ×6, first 2 shown]
	v_cmp_lt_u32_e32 vcc, 9, v0
	s_waitcnt vmcnt(53) lgkmcnt(5)
	v_mul_f32_e32 v30, v6, v5
	s_waitcnt vmcnt(52)
	v_mul_f32_e32 v31, v8, v64
	s_waitcnt vmcnt(51) lgkmcnt(4)
	v_mul_f32_e32 v32, v10, v156
	s_waitcnt vmcnt(50)
	v_mul_f32_e32 v33, v12, v158
	;; [unrolled: 4-line block ×5, first 2 shown]
	s_waitcnt vmcnt(43)
	v_fmac_f32_e32 v30, v7, v180
	s_waitcnt vmcnt(42)
	v_fmac_f32_e32 v31, v9, v181
	v_add_f32_e32 v30, 0, v30
	s_waitcnt vmcnt(41)
	v_fmac_f32_e32 v32, v11, v182
	v_add_f32_e32 v30, v30, v31
	;; [unrolled: 3-line block ×9, first 2 shown]
	s_waitcnt vmcnt(33) lgkmcnt(0)
	v_mul_f32_e32 v31, v26, v190
	v_add_f32_e32 v30, v30, v39
	s_waitcnt vmcnt(32)
	v_fmac_f32_e32 v31, v27, v191
	v_add_f32_e32 v34, v30, v31
	ds_read2_b64 v[30:33], v4 offset0:69 offset1:70
	s_waitcnt vmcnt(31)
	v_mul_f32_e32 v35, v28, v192
	s_waitcnt vmcnt(30)
	v_fmac_f32_e32 v35, v29, v193
	v_add_f32_e32 v38, v34, v35
	ds_read2_b64 v[34:37], v4 offset0:71 offset1:72
	s_waitcnt vmcnt(29) lgkmcnt(1)
	v_mul_f32_e32 v39, v30, v194
	s_waitcnt vmcnt(28)
	v_fmac_f32_e32 v39, v31, v195
	v_add_f32_e32 v38, v38, v39
	s_waitcnt vmcnt(27)
	v_mul_f32_e32 v39, v32, v196
	s_waitcnt vmcnt(26)
	v_fmac_f32_e32 v39, v33, v197
	v_add_f32_e32 v38, v38, v39
	s_waitcnt vmcnt(25) lgkmcnt(0)
	v_mul_f32_e32 v39, v34, v198
	s_waitcnt vmcnt(24)
	v_fmac_f32_e32 v39, v35, v199
	v_add_f32_e32 v42, v38, v39
	ds_read2_b64 v[38:41], v4 offset0:73 offset1:74
	s_waitcnt vmcnt(23)
	v_mul_f32_e32 v43, v36, v200
	s_waitcnt vmcnt(22)
	v_fmac_f32_e32 v43, v37, v201
	v_add_f32_e32 v46, v42, v43
	ds_read2_b64 v[42:45], v4 offset0:75 offset1:76
	s_waitcnt vmcnt(21) lgkmcnt(1)
	v_mul_f32_e32 v47, v38, v202
	s_waitcnt vmcnt(20)
	v_fmac_f32_e32 v47, v39, v203
	v_add_f32_e32 v46, v46, v47
	s_waitcnt vmcnt(18)
	v_mul_f32_e32 v47, v40, v205
	v_fmac_f32_e32 v47, v41, v204
	v_add_f32_e32 v46, v46, v47
	s_waitcnt vmcnt(15) lgkmcnt(0)
	v_mul_f32_e32 v47, v42, v206
	s_waitcnt vmcnt(14)
	v_fmac_f32_e32 v47, v43, v207
	v_add_f32_e32 v50, v46, v47
	ds_read2_b64 v[46:49], v4 offset0:77 offset1:78
	s_waitcnt vmcnt(12)
	v_mul_f32_e32 v51, v44, v209
	v_fmac_f32_e32 v51, v45, v208
	v_add_f32_e32 v54, v50, v51
	ds_read2_b64 v[50:53], v4 offset0:79 offset1:80
	buffer_load_dword v63, off, s[0:3], 0 offset:300
	buffer_load_dword v62, off, s[0:3], 0 offset:296
	s_waitcnt vmcnt(12) lgkmcnt(1)
	v_mul_f32_e32 v55, v46, v211
	v_fmac_f32_e32 v55, v47, v210
	v_add_f32_e32 v54, v54, v55
	s_waitcnt vmcnt(10)
	v_mul_f32_e32 v55, v48, v213
	v_fmac_f32_e32 v55, v49, v212
	v_add_f32_e32 v54, v54, v55
	s_waitcnt vmcnt(8) lgkmcnt(0)
	v_mul_f32_e32 v55, v50, v215
	v_fmac_f32_e32 v55, v51, v214
	s_waitcnt vmcnt(6)
	v_mul_f32_e32 v59, v52, v217
	v_add_f32_e32 v58, v54, v55
	v_fmac_f32_e32 v59, v53, v216
	ds_read2_b64 v[54:57], v4 offset0:81 offset1:82
	v_add_f32_e32 v65, v58, v59
	ds_read2_b64 v[58:61], v4 offset0:83 offset1:84
	buffer_load_dword v161, off, s[0:3], 0 offset:332
	buffer_load_dword v160, off, s[0:3], 0 offset:328
	;; [unrolled: 1-line block ×14, first 2 shown]
	v_mul_f32_e32 v5, v7, v5
	v_fma_f32 v5, v6, v180, -v5
	v_mul_f32_e32 v6, v9, v64
	v_add_f32_e32 v5, 0, v5
	v_fma_f32 v6, v8, v181, -v6
	v_add_f32_e32 v5, v5, v6
	v_mul_f32_e32 v6, v11, v156
	v_fma_f32 v6, v10, v182, -v6
	v_add_f32_e32 v5, v5, v6
	v_mul_f32_e32 v6, v13, v158
	;; [unrolled: 3-line block ×22, first 2 shown]
	v_fma_f32 v6, v52, v216, -v6
	s_waitcnt vmcnt(15)
	v_mov_b32_e32 v18, v63
	s_waitcnt lgkmcnt(1)
	v_mul_f32_e32 v157, v54, v219
	v_add_f32_e32 v64, v5, v6
	v_mul_f32_e32 v5, v55, v219
	s_waitcnt lgkmcnt(0)
	v_pk_mul_f32 v[18:19], v[58:59], v[18:19] op_sel_hi:[1,0]
	v_fmac_f32_e32 v157, v55, v218
	v_mul_f32_e32 v159, v56, v221
	v_fma_f32 v156, v54, v218, -v5
	v_mul_f32_e32 v5, v57, v221
	s_waitcnt vmcnt(14)
	v_pk_fma_f32 v[20:21], v[58:59], v[62:63], v[18:19] op_sel:[0,0,1] op_sel_hi:[1,1,0] neg_lo:[0,0,1] neg_hi:[0,0,1]
	v_pk_fma_f32 v[18:19], v[58:59], v[62:63], v[18:19] op_sel:[0,0,1] op_sel_hi:[1,0,0]
	v_fmac_f32_e32 v159, v57, v220
	v_fma_f32 v158, v56, v220, -v5
	ds_read2_b64 v[6:9], v4 offset0:85 offset1:86
	ds_read2_b64 v[10:13], v4 offset0:87 offset1:88
	;; [unrolled: 1-line block ×3, first 2 shown]
	v_pk_add_f32 v[4:5], v[64:65], v[156:157]
	s_waitcnt vmcnt(7)
	v_mov_b32_e32 v18, v167
	v_pk_add_f32 v[4:5], v[4:5], v[158:159]
	v_mov_b32_e32 v21, v19
	v_pk_mul_f32 v[18:19], v[60:61], v[18:19] op_sel_hi:[1,0]
	v_pk_add_f32 v[4:5], v[4:5], v[20:21]
	s_waitcnt vmcnt(6)
	v_pk_fma_f32 v[20:21], v[60:61], v[166:167], v[18:19] op_sel:[0,0,1] op_sel_hi:[1,1,0] neg_lo:[0,0,1] neg_hi:[0,0,1]
	v_pk_fma_f32 v[18:19], v[60:61], v[166:167], v[18:19] op_sel:[0,0,1] op_sel_hi:[1,0,0]
	v_mov_b32_e32 v18, v165
	v_mov_b32_e32 v21, v19
	s_waitcnt lgkmcnt(2)
	v_pk_mul_f32 v[18:19], v[6:7], v[18:19] op_sel_hi:[1,0]
	v_pk_add_f32 v[4:5], v[4:5], v[20:21]
	v_pk_fma_f32 v[20:21], v[6:7], v[164:165], v[18:19] op_sel:[0,0,1] op_sel_hi:[1,1,0] neg_lo:[0,0,1] neg_hi:[0,0,1]
	v_pk_fma_f32 v[6:7], v[6:7], v[164:165], v[18:19] op_sel:[0,0,1] op_sel_hi:[1,0,0]
	v_mov_b32_e32 v6, v163
	v_mov_b32_e32 v21, v7
	v_pk_mul_f32 v[6:7], v[8:9], v[6:7] op_sel_hi:[1,0]
	v_pk_fma_f32 v[18:19], v[8:9], v[162:163], v[6:7] op_sel:[0,0,1] op_sel_hi:[1,1,0] neg_lo:[0,0,1] neg_hi:[0,0,1]
	v_pk_fma_f32 v[6:7], v[8:9], v[162:163], v[6:7] op_sel:[0,0,1] op_sel_hi:[1,0,0]
	v_mov_b32_e32 v6, v161
	v_mov_b32_e32 v19, v7
	s_waitcnt lgkmcnt(1)
	v_pk_mul_f32 v[6:7], v[10:11], v[6:7] op_sel_hi:[1,0]
	v_pk_fma_f32 v[8:9], v[10:11], v[160:161], v[6:7] op_sel:[0,0,1] op_sel_hi:[1,1,0] neg_lo:[0,0,1] neg_hi:[0,0,1]
	v_pk_fma_f32 v[6:7], v[10:11], v[160:161], v[6:7] op_sel:[0,0,1] op_sel_hi:[1,0,0]
	v_pk_add_f32 v[4:5], v[4:5], v[20:21]
	s_waitcnt vmcnt(1)
	v_mov_b32_e32 v6, v173
	v_pk_add_f32 v[4:5], v[4:5], v[18:19]
	v_mov_b32_e32 v9, v7
	v_pk_mul_f32 v[6:7], v[12:13], v[6:7] op_sel_hi:[1,0]
	v_pk_add_f32 v[4:5], v[4:5], v[8:9]
	s_waitcnt vmcnt(0)
	v_pk_fma_f32 v[8:9], v[12:13], v[172:173], v[6:7] op_sel:[0,0,1] op_sel_hi:[1,1,0] neg_lo:[0,0,1] neg_hi:[0,0,1]
	v_pk_fma_f32 v[6:7], v[12:13], v[172:173], v[6:7] op_sel:[0,0,1] op_sel_hi:[1,0,0]
	v_mov_b32_e32 v6, v171
	v_mov_b32_e32 v9, v7
	s_waitcnt lgkmcnt(0)
	v_pk_mul_f32 v[6:7], v[14:15], v[6:7] op_sel_hi:[1,0]
	v_pk_add_f32 v[4:5], v[4:5], v[8:9]
	v_pk_fma_f32 v[8:9], v[14:15], v[170:171], v[6:7] op_sel:[0,0,1] op_sel_hi:[1,1,0] neg_lo:[0,0,1] neg_hi:[0,0,1]
	v_pk_fma_f32 v[6:7], v[14:15], v[170:171], v[6:7] op_sel:[0,0,1] op_sel_hi:[1,0,0]
	v_mov_b32_e32 v6, v169
	v_mov_b32_e32 v9, v7
	v_pk_mul_f32 v[6:7], v[16:17], v[6:7] op_sel_hi:[1,0]
	v_pk_add_f32 v[4:5], v[4:5], v[8:9]
	v_pk_fma_f32 v[8:9], v[16:17], v[168:169], v[6:7] op_sel:[0,0,1] op_sel_hi:[1,1,0] neg_lo:[0,0,1] neg_hi:[0,0,1]
	v_pk_fma_f32 v[6:7], v[16:17], v[168:169], v[6:7] op_sel:[0,0,1] op_sel_hi:[1,0,0]
	v_mov_b32_e32 v9, v7
	v_pk_add_f32 v[4:5], v[4:5], v[8:9]
	v_pk_add_f32 v[2:3], v[2:3], v[4:5] neg_lo:[0,1] neg_hi:[0,1]
	buffer_store_dword v3, off, s[0:3], 0 offset:84
	buffer_store_dword v2, off, s[0:3], 0 offset:80
	s_and_saveexec_b64 s[4:5], vcc
	s_cbranch_execz .LBB108_265
; %bb.264:
	buffer_load_dword v2, off, s[0:3], 0 offset:72
	buffer_load_dword v3, off, s[0:3], 0 offset:76
	v_mov_b32_e32 v4, 0
	buffer_store_dword v4, off, s[0:3], 0 offset:72
	buffer_store_dword v4, off, s[0:3], 0 offset:76
	s_waitcnt vmcnt(2)
	ds_write_b64 v1, v[2:3]
.LBB108_265:
	s_or_b64 exec, exec, s[4:5]
	s_waitcnt lgkmcnt(0)
	; wave barrier
	s_waitcnt lgkmcnt(0)
	buffer_load_dword v5, off, s[0:3], 0 offset:84
	buffer_load_dword v62, off, s[0:3], 0 offset:92
	;; [unrolled: 1-line block ×56, first 2 shown]
	v_mov_b32_e32 v4, 0
	ds_read_b128 v[6:9], v4 offset:448
	ds_read_b128 v[10:13], v4 offset:464
	;; [unrolled: 1-line block ×6, first 2 shown]
	v_cmp_lt_u32_e32 vcc, 8, v0
	s_waitcnt vmcnt(55) lgkmcnt(5)
	v_mul_f32_e32 v30, v6, v5
	s_waitcnt vmcnt(54)
	v_mul_f32_e32 v31, v8, v62
	s_waitcnt vmcnt(53) lgkmcnt(4)
	v_mul_f32_e32 v32, v10, v64
	s_waitcnt vmcnt(52)
	v_mul_f32_e32 v33, v12, v156
	;; [unrolled: 4-line block ×4, first 2 shown]
	s_waitcnt vmcnt(47) lgkmcnt(1)
	v_mul_f32_e32 v38, v22, v178
	s_waitcnt vmcnt(46)
	v_fmac_f32_e32 v30, v7, v179
	s_waitcnt vmcnt(45)
	v_fmac_f32_e32 v31, v9, v180
	v_add_f32_e32 v30, 0, v30
	s_waitcnt vmcnt(44)
	v_fmac_f32_e32 v32, v11, v181
	v_add_f32_e32 v30, v30, v31
	;; [unrolled: 3-line block ×7, first 2 shown]
	v_add_f32_e32 v30, v30, v37
	s_waitcnt vmcnt(38)
	v_fmac_f32_e32 v38, v23, v187
	s_waitcnt vmcnt(37)
	v_mul_f32_e32 v31, v24, v188
	v_add_f32_e32 v30, v30, v38
	s_waitcnt vmcnt(36)
	v_fmac_f32_e32 v31, v25, v189
	v_add_f32_e32 v30, v30, v31
	s_waitcnt vmcnt(35) lgkmcnt(0)
	v_mul_f32_e32 v31, v26, v190
	s_waitcnt vmcnt(34)
	v_fmac_f32_e32 v31, v27, v191
	v_add_f32_e32 v34, v30, v31
	ds_read_b128 v[30:33], v4 offset:544
	s_waitcnt vmcnt(33)
	v_mul_f32_e32 v35, v28, v192
	s_waitcnt vmcnt(32)
	v_fmac_f32_e32 v35, v29, v193
	v_add_f32_e32 v38, v34, v35
	ds_read_b128 v[34:37], v4 offset:560
	s_waitcnt vmcnt(31) lgkmcnt(1)
	v_mul_f32_e32 v39, v30, v194
	s_waitcnt vmcnt(30)
	v_fmac_f32_e32 v39, v31, v195
	v_add_f32_e32 v38, v38, v39
	s_waitcnt vmcnt(29)
	v_mul_f32_e32 v39, v32, v196
	s_waitcnt vmcnt(28)
	v_fmac_f32_e32 v39, v33, v197
	v_add_f32_e32 v38, v38, v39
	s_waitcnt vmcnt(27) lgkmcnt(0)
	v_mul_f32_e32 v39, v34, v198
	s_waitcnt vmcnt(26)
	v_fmac_f32_e32 v39, v35, v199
	v_add_f32_e32 v42, v38, v39
	ds_read_b128 v[38:41], v4 offset:576
	s_waitcnt vmcnt(24)
	v_mul_f32_e32 v43, v36, v201
	v_fmac_f32_e32 v43, v37, v200
	v_add_f32_e32 v46, v42, v43
	ds_read_b128 v[42:45], v4 offset:592
	s_waitcnt vmcnt(20) lgkmcnt(1)
	v_mul_f32_e32 v47, v38, v203
	v_fmac_f32_e32 v47, v39, v202
	v_add_f32_e32 v46, v46, v47
	s_waitcnt vmcnt(18)
	v_mul_f32_e32 v47, v40, v205
	v_fmac_f32_e32 v47, v41, v204
	v_add_f32_e32 v46, v46, v47
	s_waitcnt vmcnt(16) lgkmcnt(0)
	v_mul_f32_e32 v47, v42, v207
	v_fmac_f32_e32 v47, v43, v206
	v_add_f32_e32 v50, v46, v47
	ds_read_b128 v[46:49], v4 offset:608
	s_waitcnt vmcnt(14)
	v_mul_f32_e32 v51, v44, v209
	v_fmac_f32_e32 v51, v45, v208
	v_add_f32_e32 v54, v50, v51
	ds_read_b128 v[50:53], v4 offset:624
	s_waitcnt vmcnt(12) lgkmcnt(1)
	v_mul_f32_e32 v55, v46, v211
	v_fmac_f32_e32 v55, v47, v210
	v_add_f32_e32 v54, v54, v55
	s_waitcnt vmcnt(10)
	v_mul_f32_e32 v55, v48, v213
	v_fmac_f32_e32 v55, v49, v212
	v_add_f32_e32 v54, v54, v55
	s_waitcnt vmcnt(8) lgkmcnt(0)
	v_mul_f32_e32 v55, v50, v215
	v_fmac_f32_e32 v55, v51, v214
	s_waitcnt vmcnt(6)
	v_mul_f32_e32 v59, v52, v217
	v_add_f32_e32 v58, v54, v55
	v_fmac_f32_e32 v59, v53, v216
	ds_read_b128 v[54:57], v4 offset:640
	v_add_f32_e32 v63, v58, v59
	ds_read_b128 v[58:61], v4 offset:656
	buffer_load_dword v159, off, s[0:3], 0 offset:324
	buffer_load_dword v158, off, s[0:3], 0 offset:320
	;; [unrolled: 1-line block ×16, first 2 shown]
	v_mul_f32_e32 v5, v7, v5
	v_fma_f32 v5, v6, v179, -v5
	v_mul_f32_e32 v6, v9, v62
	v_add_f32_e32 v5, 0, v5
	v_fma_f32 v6, v8, v180, -v6
	v_add_f32_e32 v5, v5, v6
	v_mul_f32_e32 v6, v11, v64
	v_fma_f32 v6, v10, v181, -v6
	v_add_f32_e32 v5, v5, v6
	v_mul_f32_e32 v6, v13, v156
	;; [unrolled: 3-line block ×22, first 2 shown]
	v_fma_f32 v6, v52, v216, -v6
	s_waitcnt vmcnt(20) lgkmcnt(1)
	v_mul_f32_e32 v65, v54, v219
	v_add_f32_e32 v5, v5, v6
	v_mul_f32_e32 v6, v55, v219
	v_fmac_f32_e32 v65, v55, v218
	v_fma_f32 v6, v54, v218, -v6
	s_waitcnt vmcnt(9)
	v_mov_b32_e32 v22, v165
	v_add_f32_e32 v63, v63, v65
	v_mul_f32_e32 v65, v56, v221
	v_add_f32_e32 v62, v5, v6
	v_mul_f32_e32 v5, v57, v221
	s_waitcnt lgkmcnt(0)
	v_pk_mul_f32 v[22:23], v[60:61], v[22:23] op_sel_hi:[1,0]
	v_fmac_f32_e32 v65, v57, v220
	v_mul_f32_e32 v157, v58, v223
	v_fma_f32 v64, v56, v220, -v5
	v_mul_f32_e32 v5, v59, v223
	ds_read_b128 v[6:9], v4 offset:672
	ds_read_b128 v[10:13], v4 offset:688
	;; [unrolled: 1-line block ×3, first 2 shown]
	ds_read_b64 v[18:19], v4 offset:720
	s_waitcnt vmcnt(8)
	v_pk_fma_f32 v[24:25], v[60:61], v[164:165], v[22:23] op_sel:[0,0,1] op_sel_hi:[1,1,0] neg_lo:[0,0,1] neg_hi:[0,0,1]
	v_pk_fma_f32 v[22:23], v[60:61], v[164:165], v[22:23] op_sel:[0,0,1] op_sel_hi:[1,0,0]
	v_fmac_f32_e32 v157, v59, v222
	v_fma_f32 v156, v58, v222, -v5
	v_pk_add_f32 v[20:21], v[62:63], v[64:65]
	v_mov_b32_e32 v22, v163
	v_pk_add_f32 v[20:21], v[20:21], v[156:157]
	v_mov_b32_e32 v25, v23
	s_waitcnt lgkmcnt(3)
	v_pk_mul_f32 v[22:23], v[6:7], v[22:23] op_sel_hi:[1,0]
	v_pk_add_f32 v[20:21], v[20:21], v[24:25]
	v_pk_fma_f32 v[24:25], v[6:7], v[162:163], v[22:23] op_sel:[0,0,1] op_sel_hi:[1,1,0] neg_lo:[0,0,1] neg_hi:[0,0,1]
	v_pk_fma_f32 v[6:7], v[6:7], v[162:163], v[22:23] op_sel:[0,0,1] op_sel_hi:[1,0,0]
	v_mov_b32_e32 v25, v7
	v_pk_add_f32 v[6:7], v[20:21], v[24:25]
	v_mov_b32_e32 v20, v161
	v_pk_mul_f32 v[20:21], v[8:9], v[20:21] op_sel_hi:[1,0]
	v_pk_fma_f32 v[22:23], v[8:9], v[160:161], v[20:21] op_sel:[0,0,1] op_sel_hi:[1,1,0] neg_lo:[0,0,1] neg_hi:[0,0,1]
	v_pk_fma_f32 v[8:9], v[8:9], v[160:161], v[20:21] op_sel:[0,0,1] op_sel_hi:[1,0,0]
	v_mov_b32_e32 v8, v159
	v_mov_b32_e32 v23, v9
	s_waitcnt lgkmcnt(2)
	v_pk_mul_f32 v[8:9], v[10:11], v[8:9] op_sel_hi:[1,0]
	v_pk_fma_f32 v[20:21], v[10:11], v[158:159], v[8:9] op_sel:[0,0,1] op_sel_hi:[1,1,0] neg_lo:[0,0,1] neg_hi:[0,0,1]
	v_pk_fma_f32 v[8:9], v[10:11], v[158:159], v[8:9] op_sel:[0,0,1] op_sel_hi:[1,0,0]
	s_waitcnt vmcnt(1)
	v_mov_b32_e32 v8, v173
	v_mov_b32_e32 v21, v9
	v_pk_mul_f32 v[8:9], v[12:13], v[8:9] op_sel_hi:[1,0]
	s_waitcnt vmcnt(0)
	v_pk_fma_f32 v[10:11], v[12:13], v[172:173], v[8:9] op_sel:[0,0,1] op_sel_hi:[1,1,0] neg_lo:[0,0,1] neg_hi:[0,0,1]
	v_pk_fma_f32 v[8:9], v[12:13], v[172:173], v[8:9] op_sel:[0,0,1] op_sel_hi:[1,0,0]
	v_pk_add_f32 v[6:7], v[6:7], v[22:23]
	v_mov_b32_e32 v8, v171
	v_pk_add_f32 v[6:7], v[6:7], v[20:21]
	v_mov_b32_e32 v11, v9
	s_waitcnt lgkmcnt(1)
	v_pk_mul_f32 v[8:9], v[14:15], v[8:9] op_sel_hi:[1,0]
	v_pk_add_f32 v[6:7], v[6:7], v[10:11]
	v_pk_fma_f32 v[10:11], v[14:15], v[170:171], v[8:9] op_sel:[0,0,1] op_sel_hi:[1,1,0] neg_lo:[0,0,1] neg_hi:[0,0,1]
	v_pk_fma_f32 v[8:9], v[14:15], v[170:171], v[8:9] op_sel:[0,0,1] op_sel_hi:[1,0,0]
	v_mov_b32_e32 v8, v169
	v_mov_b32_e32 v11, v9
	v_pk_mul_f32 v[8:9], v[16:17], v[8:9] op_sel_hi:[1,0]
	v_pk_add_f32 v[6:7], v[6:7], v[10:11]
	v_pk_fma_f32 v[10:11], v[16:17], v[168:169], v[8:9] op_sel:[0,0,1] op_sel_hi:[1,1,0] neg_lo:[0,0,1] neg_hi:[0,0,1]
	v_pk_fma_f32 v[8:9], v[16:17], v[168:169], v[8:9] op_sel:[0,0,1] op_sel_hi:[1,0,0]
	v_mov_b32_e32 v8, v167
	v_mov_b32_e32 v11, v9
	s_waitcnt lgkmcnt(0)
	v_pk_mul_f32 v[8:9], v[18:19], v[8:9] op_sel_hi:[1,0]
	v_pk_add_f32 v[6:7], v[6:7], v[10:11]
	v_pk_fma_f32 v[10:11], v[18:19], v[166:167], v[8:9] op_sel:[0,0,1] op_sel_hi:[1,1,0] neg_lo:[0,0,1] neg_hi:[0,0,1]
	v_pk_fma_f32 v[8:9], v[18:19], v[166:167], v[8:9] op_sel:[0,0,1] op_sel_hi:[1,0,0]
	v_mov_b32_e32 v11, v9
	v_pk_add_f32 v[6:7], v[6:7], v[10:11]
	v_pk_add_f32 v[2:3], v[2:3], v[6:7] neg_lo:[0,1] neg_hi:[0,1]
	buffer_store_dword v3, off, s[0:3], 0 offset:76
	buffer_store_dword v2, off, s[0:3], 0 offset:72
	s_and_saveexec_b64 s[4:5], vcc
	s_cbranch_execz .LBB108_267
; %bb.266:
	buffer_load_dword v2, off, s[0:3], 0 offset:64
	buffer_load_dword v3, off, s[0:3], 0 offset:68
	s_waitcnt vmcnt(0)
	ds_write_b64 v1, v[2:3]
	buffer_store_dword v4, off, s[0:3], 0 offset:64
	buffer_store_dword v4, off, s[0:3], 0 offset:68
.LBB108_267:
	s_or_b64 exec, exec, s[4:5]
	s_waitcnt lgkmcnt(0)
	; wave barrier
	s_waitcnt lgkmcnt(0)
	buffer_load_dword v5, off, s[0:3], 0 offset:76
	buffer_load_dword v62, off, s[0:3], 0 offset:84
	;; [unrolled: 1-line block ×36, first 2 shown]
	ds_read2_b64 v[6:9], v4 offset0:55 offset1:56
	ds_read2_b64 v[10:13], v4 offset0:57 offset1:58
	buffer_load_dword v204, off, s[0:3], 0 offset:208
	buffer_load_dword v205, off, s[0:3], 0 offset:212
	;; [unrolled: 1-line block ×4, first 2 shown]
	ds_read2_b64 v[14:17], v4 offset0:59 offset1:60
	ds_read2_b64 v[18:21], v4 offset0:61 offset1:62
	buffer_load_dword v208, off, s[0:3], 0 offset:224
	buffer_load_dword v209, off, s[0:3], 0 offset:228
	ds_read2_b64 v[22:25], v4 offset0:63 offset1:64
	ds_read2_b64 v[26:29], v4 offset0:65 offset1:66
	buffer_load_dword v210, off, s[0:3], 0 offset:232
	buffer_load_dword v211, off, s[0:3], 0 offset:236
	;; [unrolled: 1-line block ×16, first 2 shown]
	v_cmp_lt_u32_e32 vcc, 7, v0
	s_waitcnt vmcnt(57) lgkmcnt(5)
	v_mul_f32_e32 v30, v6, v5
	s_waitcnt vmcnt(56)
	v_mul_f32_e32 v31, v8, v62
	s_waitcnt vmcnt(55) lgkmcnt(4)
	v_mul_f32_e32 v32, v10, v64
	s_waitcnt vmcnt(54)
	v_mul_f32_e32 v33, v12, v162
	;; [unrolled: 4-line block ×4, first 2 shown]
	s_waitcnt vmcnt(49)
	v_fmac_f32_e32 v30, v7, v178
	s_waitcnt vmcnt(48)
	v_fmac_f32_e32 v31, v9, v179
	v_add_f32_e32 v30, 0, v30
	s_waitcnt vmcnt(47)
	v_fmac_f32_e32 v32, v11, v180
	v_add_f32_e32 v30, v30, v31
	;; [unrolled: 3-line block ×7, first 2 shown]
	s_waitcnt vmcnt(41) lgkmcnt(1)
	v_mul_f32_e32 v31, v22, v186
	v_add_f32_e32 v30, v30, v37
	s_waitcnt vmcnt(40)
	v_fmac_f32_e32 v31, v23, v187
	v_add_f32_e32 v30, v30, v31
	s_waitcnt vmcnt(39)
	v_mul_f32_e32 v31, v24, v188
	s_waitcnt vmcnt(38)
	v_fmac_f32_e32 v31, v25, v189
	v_add_f32_e32 v30, v30, v31
	s_waitcnt vmcnt(37) lgkmcnt(0)
	v_mul_f32_e32 v31, v26, v190
	s_waitcnt vmcnt(36)
	v_fmac_f32_e32 v31, v27, v191
	v_add_f32_e32 v34, v30, v31
	ds_read2_b64 v[30:33], v4 offset0:67 offset1:68
	s_waitcnt vmcnt(35)
	v_mul_f32_e32 v35, v28, v192
	s_waitcnt vmcnt(34)
	v_fmac_f32_e32 v35, v29, v193
	v_add_f32_e32 v38, v34, v35
	ds_read2_b64 v[34:37], v4 offset0:69 offset1:70
	s_waitcnt vmcnt(33) lgkmcnt(1)
	v_mul_f32_e32 v39, v30, v194
	s_waitcnt vmcnt(32)
	v_fmac_f32_e32 v39, v31, v195
	v_add_f32_e32 v38, v38, v39
	s_waitcnt vmcnt(31)
	v_mul_f32_e32 v39, v32, v196
	s_waitcnt vmcnt(30)
	v_fmac_f32_e32 v39, v33, v197
	v_add_f32_e32 v38, v38, v39
	s_waitcnt vmcnt(29) lgkmcnt(0)
	v_mul_f32_e32 v39, v34, v198
	s_waitcnt vmcnt(28)
	v_fmac_f32_e32 v39, v35, v199
	v_add_f32_e32 v42, v38, v39
	ds_read2_b64 v[38:41], v4 offset0:71 offset1:72
	s_waitcnt vmcnt(25)
	v_mul_f32_e32 v43, v36, v200
	s_waitcnt vmcnt(24)
	v_fmac_f32_e32 v43, v37, v201
	v_add_f32_e32 v46, v42, v43
	ds_read2_b64 v[42:45], v4 offset0:73 offset1:74
	s_waitcnt vmcnt(22) lgkmcnt(1)
	v_mul_f32_e32 v47, v38, v203
	v_fmac_f32_e32 v47, v39, v202
	v_add_f32_e32 v46, v46, v47
	s_waitcnt vmcnt(20)
	v_mul_f32_e32 v47, v40, v205
	v_fmac_f32_e32 v47, v41, v204
	v_add_f32_e32 v46, v46, v47
	s_waitcnt vmcnt(18) lgkmcnt(0)
	v_mul_f32_e32 v47, v42, v207
	v_fmac_f32_e32 v47, v43, v206
	v_add_f32_e32 v50, v46, v47
	ds_read2_b64 v[46:49], v4 offset0:75 offset1:76
	s_waitcnt vmcnt(16)
	v_mul_f32_e32 v51, v44, v209
	v_fmac_f32_e32 v51, v45, v208
	v_add_f32_e32 v54, v50, v51
	ds_read2_b64 v[50:53], v4 offset0:77 offset1:78
	s_waitcnt vmcnt(14) lgkmcnt(1)
	v_mul_f32_e32 v55, v46, v211
	v_fmac_f32_e32 v55, v47, v210
	v_add_f32_e32 v54, v54, v55
	s_waitcnt vmcnt(12)
	v_mul_f32_e32 v55, v48, v213
	v_fmac_f32_e32 v55, v49, v212
	v_add_f32_e32 v54, v54, v55
	s_waitcnt vmcnt(10) lgkmcnt(0)
	v_mul_f32_e32 v55, v50, v215
	v_fmac_f32_e32 v55, v51, v214
	s_waitcnt vmcnt(8)
	v_mul_f32_e32 v59, v52, v217
	v_add_f32_e32 v58, v54, v55
	v_fmac_f32_e32 v59, v53, v216
	ds_read2_b64 v[54:57], v4 offset0:79 offset1:80
	v_add_f32_e32 v63, v58, v59
	ds_read2_b64 v[58:61], v4 offset0:81 offset1:82
	buffer_load_dword v157, off, s[0:3], 0 offset:316
	buffer_load_dword v156, off, s[0:3], 0 offset:312
	;; [unrolled: 1-line block ×16, first 2 shown]
	v_mul_f32_e32 v5, v7, v5
	v_fma_f32 v5, v6, v178, -v5
	v_mul_f32_e32 v6, v9, v62
	v_add_f32_e32 v5, 0, v5
	v_fma_f32 v6, v8, v179, -v6
	v_add_f32_e32 v5, v5, v6
	v_mul_f32_e32 v6, v11, v64
	v_fma_f32 v6, v10, v180, -v6
	v_add_f32_e32 v5, v5, v6
	v_mul_f32_e32 v6, v13, v162
	;; [unrolled: 3-line block ×22, first 2 shown]
	v_fma_f32 v6, v52, v216, -v6
	v_add_f32_e32 v5, v5, v6
	s_waitcnt vmcnt(22) lgkmcnt(1)
	v_mul_f32_e32 v6, v55, v219
	v_fma_f32 v6, v54, v218, -v6
	v_add_f32_e32 v5, v5, v6
	s_waitcnt vmcnt(20)
	v_mul_f32_e32 v6, v57, v221
	v_fma_f32 v6, v56, v220, -v6
	v_add_f32_e32 v62, v5, v6
	ds_read2_b64 v[6:9], v4 offset0:83 offset1:84
	ds_read2_b64 v[10:13], v4 offset0:85 offset1:86
	;; [unrolled: 1-line block ×4, first 2 shown]
	s_waitcnt vmcnt(11)
	v_mov_b32_e32 v22, v161
	v_mul_f32_e32 v65, v54, v219
	s_waitcnt lgkmcnt(3)
	v_pk_mul_f32 v[22:23], v[6:7], v[22:23] op_sel_hi:[1,0]
	v_fmac_f32_e32 v65, v55, v218
	s_waitcnt vmcnt(10)
	v_pk_fma_f32 v[24:25], v[6:7], v[160:161], v[22:23] op_sel:[0,0,1] op_sel_hi:[1,1,0] neg_lo:[0,0,1] neg_hi:[0,0,1]
	v_pk_fma_f32 v[6:7], v[6:7], v[160:161], v[22:23] op_sel:[0,0,1] op_sel_hi:[1,0,0]
	v_add_f32_e32 v63, v63, v65
	v_mul_f32_e32 v65, v56, v221
	v_mov_b32_e32 v6, v159
	v_fmac_f32_e32 v65, v57, v220
	v_mov_b32_e32 v25, v7
	v_pk_mul_f32 v[6:7], v[8:9], v[6:7] op_sel_hi:[1,0]
	v_add_f32_e32 v63, v63, v65
	v_mul_f32_e32 v65, v58, v223
	v_mul_f32_e32 v5, v59, v223
	v_pk_fma_f32 v[22:23], v[8:9], v[158:159], v[6:7] op_sel:[0,0,1] op_sel_hi:[1,1,0] neg_lo:[0,0,1] neg_hi:[0,0,1]
	v_pk_fma_f32 v[6:7], v[8:9], v[158:159], v[6:7] op_sel:[0,0,1] op_sel_hi:[1,0,0]
	v_fmac_f32_e32 v65, v59, v222
	v_mul_f32_e32 v163, v60, v225
	v_fma_f32 v64, v58, v222, -v5
	v_mul_f32_e32 v5, v61, v225
	v_mov_b32_e32 v6, v157
	v_fmac_f32_e32 v163, v61, v224
	v_fma_f32 v162, v60, v224, -v5
	v_pk_add_f32 v[4:5], v[62:63], v[64:65]
	v_mov_b32_e32 v23, v7
	s_waitcnt lgkmcnt(2)
	v_pk_mul_f32 v[6:7], v[10:11], v[6:7] op_sel_hi:[1,0]
	v_pk_add_f32 v[4:5], v[4:5], v[162:163]
	v_pk_fma_f32 v[8:9], v[10:11], v[156:157], v[6:7] op_sel:[0,0,1] op_sel_hi:[1,1,0] neg_lo:[0,0,1] neg_hi:[0,0,1]
	v_pk_fma_f32 v[6:7], v[10:11], v[156:157], v[6:7] op_sel:[0,0,1] op_sel_hi:[1,0,0]
	v_pk_add_f32 v[4:5], v[4:5], v[24:25]
	s_waitcnt vmcnt(3)
	v_mov_b32_e32 v6, v171
	v_pk_add_f32 v[4:5], v[4:5], v[22:23]
	v_mov_b32_e32 v9, v7
	v_pk_mul_f32 v[6:7], v[12:13], v[6:7] op_sel_hi:[1,0]
	v_pk_add_f32 v[4:5], v[4:5], v[8:9]
	s_waitcnt vmcnt(2)
	v_pk_fma_f32 v[8:9], v[12:13], v[170:171], v[6:7] op_sel:[0,0,1] op_sel_hi:[1,1,0] neg_lo:[0,0,1] neg_hi:[0,0,1]
	v_pk_fma_f32 v[6:7], v[12:13], v[170:171], v[6:7] op_sel:[0,0,1] op_sel_hi:[1,0,0]
	v_mov_b32_e32 v6, v169
	v_mov_b32_e32 v9, v7
	s_waitcnt lgkmcnt(1)
	v_pk_mul_f32 v[6:7], v[14:15], v[6:7] op_sel_hi:[1,0]
	v_pk_add_f32 v[4:5], v[4:5], v[8:9]
	v_pk_fma_f32 v[8:9], v[14:15], v[168:169], v[6:7] op_sel:[0,0,1] op_sel_hi:[1,1,0] neg_lo:[0,0,1] neg_hi:[0,0,1]
	v_pk_fma_f32 v[6:7], v[14:15], v[168:169], v[6:7] op_sel:[0,0,1] op_sel_hi:[1,0,0]
	v_mov_b32_e32 v6, v167
	v_mov_b32_e32 v9, v7
	v_pk_mul_f32 v[6:7], v[16:17], v[6:7] op_sel_hi:[1,0]
	v_pk_add_f32 v[4:5], v[4:5], v[8:9]
	v_pk_fma_f32 v[8:9], v[16:17], v[166:167], v[6:7] op_sel:[0,0,1] op_sel_hi:[1,1,0] neg_lo:[0,0,1] neg_hi:[0,0,1]
	v_pk_fma_f32 v[6:7], v[16:17], v[166:167], v[6:7] op_sel:[0,0,1] op_sel_hi:[1,0,0]
	v_mov_b32_e32 v6, v165
	v_mov_b32_e32 v9, v7
	s_waitcnt lgkmcnt(0)
	v_pk_mul_f32 v[6:7], v[18:19], v[6:7] op_sel_hi:[1,0]
	v_pk_add_f32 v[4:5], v[4:5], v[8:9]
	v_pk_fma_f32 v[8:9], v[18:19], v[164:165], v[6:7] op_sel:[0,0,1] op_sel_hi:[1,1,0] neg_lo:[0,0,1] neg_hi:[0,0,1]
	v_pk_fma_f32 v[6:7], v[18:19], v[164:165], v[6:7] op_sel:[0,0,1] op_sel_hi:[1,0,0]
	s_waitcnt vmcnt(1)
	v_mov_b32_e32 v6, v173
	v_mov_b32_e32 v9, v7
	v_pk_mul_f32 v[6:7], v[20:21], v[6:7] op_sel_hi:[1,0]
	v_pk_add_f32 v[4:5], v[4:5], v[8:9]
	s_waitcnt vmcnt(0)
	v_pk_fma_f32 v[8:9], v[20:21], v[172:173], v[6:7] op_sel:[0,0,1] op_sel_hi:[1,1,0] neg_lo:[0,0,1] neg_hi:[0,0,1]
	v_pk_fma_f32 v[6:7], v[20:21], v[172:173], v[6:7] op_sel:[0,0,1] op_sel_hi:[1,0,0]
	v_mov_b32_e32 v9, v7
	v_pk_add_f32 v[4:5], v[4:5], v[8:9]
	v_pk_add_f32 v[2:3], v[2:3], v[4:5] neg_lo:[0,1] neg_hi:[0,1]
	buffer_store_dword v3, off, s[0:3], 0 offset:68
	buffer_store_dword v2, off, s[0:3], 0 offset:64
	s_and_saveexec_b64 s[4:5], vcc
	s_cbranch_execz .LBB108_269
; %bb.268:
	buffer_load_dword v2, off, s[0:3], 0 offset:56
	buffer_load_dword v3, off, s[0:3], 0 offset:60
	v_mov_b32_e32 v4, 0
	buffer_store_dword v4, off, s[0:3], 0 offset:56
	buffer_store_dword v4, off, s[0:3], 0 offset:60
	s_waitcnt vmcnt(2)
	ds_write_b64 v1, v[2:3]
.LBB108_269:
	s_or_b64 exec, exec, s[4:5]
	s_waitcnt lgkmcnt(0)
	; wave barrier
	s_waitcnt lgkmcnt(0)
	buffer_load_dword v17, off, s[0:3], 0 offset:68
	buffer_load_dword v160, off, s[0:3], 0 offset:76
	;; [unrolled: 1-line block ×56, first 2 shown]
	v_mov_b32_e32 v16, 0
	ds_read_b128 v[2:5], v16 offset:432
	buffer_load_dword v232, off, s[0:3], 0 offset:280
	buffer_load_dword v233, off, s[0:3], 0 offset:284
	;; [unrolled: 1-line block ×4, first 2 shown]
	ds_read_b128 v[8:11], v16 offset:448
	ds_read_b128 v[12:15], v16 offset:464
	;; [unrolled: 1-line block ×3, first 2 shown]
	v_cmp_lt_u32_e32 vcc, 6, v0
	s_waitcnt vmcnt(59) lgkmcnt(3)
	v_mul_f32_e32 v22, v2, v17
	s_waitcnt vmcnt(58)
	v_mul_f32_e32 v23, v4, v160
	s_waitcnt vmcnt(57) lgkmcnt(2)
	v_mul_f32_e32 v24, v8, v166
	s_waitcnt vmcnt(56)
	v_mul_f32_e32 v25, v10, v168
	;; [unrolled: 4-line block ×3, first 2 shown]
	s_waitcnt vmcnt(53) lgkmcnt(0)
	v_mul_f32_e32 v28, v18, v184
	s_waitcnt vmcnt(52)
	v_fmac_f32_e32 v22, v3, v185
	s_waitcnt vmcnt(51)
	v_fmac_f32_e32 v23, v5, v186
	v_add_f32_e32 v22, 0, v22
	s_waitcnt vmcnt(50)
	v_fmac_f32_e32 v24, v9, v187
	v_add_f32_e32 v22, v22, v23
	;; [unrolled: 3-line block ×6, first 2 shown]
	v_add_f32_e32 v26, v22, v28
	ds_read_b128 v[22:25], v16 offset:496
	s_waitcnt vmcnt(45)
	v_mul_f32_e32 v27, v20, v192
	s_waitcnt vmcnt(44)
	v_fmac_f32_e32 v27, v21, v193
	v_add_f32_e32 v30, v26, v27
	ds_read_b128 v[26:29], v16 offset:512
	s_waitcnt vmcnt(43) lgkmcnt(1)
	v_mul_f32_e32 v31, v22, v194
	s_waitcnt vmcnt(42)
	v_fmac_f32_e32 v31, v23, v195
	v_add_f32_e32 v30, v30, v31
	s_waitcnt vmcnt(41)
	v_mul_f32_e32 v31, v24, v196
	s_waitcnt vmcnt(40)
	v_fmac_f32_e32 v31, v25, v197
	v_add_f32_e32 v30, v30, v31
	s_waitcnt vmcnt(39) lgkmcnt(0)
	v_mul_f32_e32 v31, v26, v198
	s_waitcnt vmcnt(38)
	v_fmac_f32_e32 v31, v27, v199
	v_add_f32_e32 v34, v30, v31
	ds_read_b128 v[30:33], v16 offset:528
	s_waitcnt vmcnt(37)
	v_mul_f32_e32 v35, v28, v200
	s_waitcnt vmcnt(36)
	v_fmac_f32_e32 v35, v29, v201
	v_add_f32_e32 v38, v34, v35
	ds_read_b128 v[34:37], v16 offset:544
	s_waitcnt vmcnt(34) lgkmcnt(1)
	v_mul_f32_e32 v39, v30, v203
	v_fmac_f32_e32 v39, v31, v202
	v_add_f32_e32 v38, v38, v39
	s_waitcnt vmcnt(31)
	v_mul_f32_e32 v39, v32, v204
	s_waitcnt vmcnt(30)
	v_fmac_f32_e32 v39, v33, v205
	v_add_f32_e32 v38, v38, v39
	s_waitcnt vmcnt(28) lgkmcnt(0)
	v_mul_f32_e32 v39, v34, v207
	v_fmac_f32_e32 v39, v35, v206
	v_add_f32_e32 v42, v38, v39
	ds_read_b128 v[38:41], v16 offset:560
	s_waitcnt vmcnt(26)
	v_mul_f32_e32 v43, v36, v209
	v_fmac_f32_e32 v43, v37, v208
	v_add_f32_e32 v46, v42, v43
	ds_read_b128 v[42:45], v16 offset:576
	s_waitcnt vmcnt(24) lgkmcnt(1)
	v_mul_f32_e32 v47, v38, v211
	v_fmac_f32_e32 v47, v39, v210
	v_add_f32_e32 v46, v46, v47
	s_waitcnt vmcnt(22)
	v_mul_f32_e32 v47, v40, v213
	v_fmac_f32_e32 v47, v41, v212
	v_add_f32_e32 v46, v46, v47
	s_waitcnt vmcnt(20) lgkmcnt(0)
	v_mul_f32_e32 v47, v42, v215
	v_fmac_f32_e32 v47, v43, v214
	v_add_f32_e32 v50, v46, v47
	ds_read_b128 v[46:49], v16 offset:592
	s_waitcnt vmcnt(18)
	v_mul_f32_e32 v51, v44, v217
	v_fmac_f32_e32 v51, v45, v216
	v_add_f32_e32 v54, v50, v51
	ds_read_b128 v[50:53], v16 offset:608
	s_waitcnt vmcnt(16) lgkmcnt(1)
	v_mul_f32_e32 v55, v46, v219
	v_fmac_f32_e32 v55, v47, v218
	v_add_f32_e32 v54, v54, v55
	s_waitcnt vmcnt(14)
	v_mul_f32_e32 v55, v48, v221
	;; [unrolled: 18-line block ×3, first 2 shown]
	v_fmac_f32_e32 v63, v57, v228
	v_add_f32_e32 v62, v62, v63
	s_waitcnt vmcnt(4) lgkmcnt(0)
	v_mul_f32_e32 v63, v58, v231
	v_fmac_f32_e32 v63, v59, v230
	v_add_f32_e32 v161, v62, v63
	ds_read_b128 v[62:65], v16 offset:656
	buffer_load_dword v163, off, s[0:3], 0 offset:308
	buffer_load_dword v162, off, s[0:3], 0 offset:304
	;; [unrolled: 1-line block ×4, first 2 shown]
	ds_read_b128 v[156:159], v16 offset:672
	buffer_load_dword v171, off, s[0:3], 0 offset:340
	buffer_load_dword v170, off, s[0:3], 0 offset:336
	buffer_load_dword v173, off, s[0:3], 0 offset:332
	buffer_load_dword v172, off, s[0:3], 0 offset:328
	buffer_load_dword v175, off, s[0:3], 0 offset:324
	buffer_load_dword v174, off, s[0:3], 0 offset:320
	buffer_load_dword v177, off, s[0:3], 0 offset:316
	buffer_load_dword v176, off, s[0:3], 0 offset:312
	buffer_load_dword v179, off, s[0:3], 0 offset:356
	buffer_load_dword v178, off, s[0:3], 0 offset:352
	buffer_load_dword v181, off, s[0:3], 0 offset:348
	buffer_load_dword v180, off, s[0:3], 0 offset:344
	v_mul_f32_e32 v3, v3, v17
	v_fma_f32 v2, v2, v185, -v3
	v_mul_f32_e32 v3, v5, v160
	v_add_f32_e32 v2, 0, v2
	v_fma_f32 v3, v4, v186, -v3
	v_add_f32_e32 v2, v2, v3
	v_mul_f32_e32 v3, v9, v166
	v_fma_f32 v3, v8, v187, -v3
	v_add_f32_e32 v2, v2, v3
	v_mul_f32_e32 v3, v11, v168
	;; [unrolled: 3-line block ×25, first 2 shown]
	v_fma_f32 v3, v58, v230, -v3
	s_waitcnt vmcnt(13)
	v_mov_b32_e32 v18, v165
	v_mul_f32_e32 v167, v60, v233
	v_add_f32_e32 v160, v2, v3
	v_mul_f32_e32 v2, v61, v233
	s_waitcnt lgkmcnt(1)
	v_pk_mul_f32 v[18:19], v[64:65], v[18:19] op_sel_hi:[1,0]
	v_fmac_f32_e32 v167, v61, v232
	v_mul_f32_e32 v169, v62, v235
	v_fma_f32 v166, v60, v232, -v2
	v_mul_f32_e32 v2, v63, v235
	s_waitcnt vmcnt(12)
	v_pk_fma_f32 v[20:21], v[64:65], v[164:165], v[18:19] op_sel:[0,0,1] op_sel_hi:[1,1,0] neg_lo:[0,0,1] neg_hi:[0,0,1]
	v_pk_fma_f32 v[18:19], v[64:65], v[164:165], v[18:19] op_sel:[0,0,1] op_sel_hi:[1,0,0]
	v_fmac_f32_e32 v169, v63, v234
	v_fma_f32 v168, v62, v234, -v2
	v_pk_add_f32 v[14:15], v[160:161], v[166:167]
	v_mov_b32_e32 v18, v163
	v_pk_add_f32 v[14:15], v[14:15], v[168:169]
	v_mov_b32_e32 v21, v19
	s_waitcnt lgkmcnt(0)
	v_pk_mul_f32 v[18:19], v[156:157], v[18:19] op_sel_hi:[1,0]
	v_pk_add_f32 v[14:15], v[14:15], v[20:21]
	v_pk_fma_f32 v[20:21], v[156:157], v[162:163], v[18:19] op_sel:[0,0,1] op_sel_hi:[1,1,0] neg_lo:[0,0,1] neg_hi:[0,0,1]
	v_pk_fma_f32 v[18:19], v[156:157], v[162:163], v[18:19] op_sel:[0,0,1] op_sel_hi:[1,0,0]
	s_waitcnt vmcnt(5)
	v_mov_b32_e32 v18, v177
	ds_read_b128 v[2:5], v16 offset:688
	ds_read_b128 v[8:11], v16 offset:704
	ds_read_b64 v[12:13], v16 offset:720
	v_mov_b32_e32 v21, v19
	v_pk_mul_f32 v[18:19], v[158:159], v[18:19] op_sel_hi:[1,0]
	v_pk_add_f32 v[14:15], v[14:15], v[20:21]
	s_waitcnt vmcnt(4)
	v_pk_fma_f32 v[20:21], v[158:159], v[176:177], v[18:19] op_sel:[0,0,1] op_sel_hi:[1,1,0] neg_lo:[0,0,1] neg_hi:[0,0,1]
	v_pk_fma_f32 v[18:19], v[158:159], v[176:177], v[18:19] op_sel:[0,0,1] op_sel_hi:[1,0,0]
	v_mov_b32_e32 v18, v175
	v_mov_b32_e32 v21, v19
	s_waitcnt lgkmcnt(2)
	v_pk_mul_f32 v[18:19], v[2:3], v[18:19] op_sel_hi:[1,0]
	v_pk_add_f32 v[14:15], v[14:15], v[20:21]
	v_pk_fma_f32 v[20:21], v[2:3], v[174:175], v[18:19] op_sel:[0,0,1] op_sel_hi:[1,1,0] neg_lo:[0,0,1] neg_hi:[0,0,1]
	v_pk_fma_f32 v[2:3], v[2:3], v[174:175], v[18:19] op_sel:[0,0,1] op_sel_hi:[1,0,0]
	v_mov_b32_e32 v21, v3
	v_pk_add_f32 v[2:3], v[14:15], v[20:21]
	v_mov_b32_e32 v14, v173
	v_pk_mul_f32 v[14:15], v[4:5], v[14:15] op_sel_hi:[1,0]
	v_pk_fma_f32 v[18:19], v[4:5], v[172:173], v[14:15] op_sel:[0,0,1] op_sel_hi:[1,1,0] neg_lo:[0,0,1] neg_hi:[0,0,1]
	v_pk_fma_f32 v[4:5], v[4:5], v[172:173], v[14:15] op_sel:[0,0,1] op_sel_hi:[1,0,0]
	v_mov_b32_e32 v4, v171
	v_mov_b32_e32 v19, v5
	s_waitcnt lgkmcnt(1)
	v_pk_mul_f32 v[4:5], v[8:9], v[4:5] op_sel_hi:[1,0]
	v_pk_fma_f32 v[14:15], v[8:9], v[170:171], v[4:5] op_sel:[0,0,1] op_sel_hi:[1,1,0] neg_lo:[0,0,1] neg_hi:[0,0,1]
	v_pk_fma_f32 v[4:5], v[8:9], v[170:171], v[4:5] op_sel:[0,0,1] op_sel_hi:[1,0,0]
	s_waitcnt vmcnt(1)
	v_mov_b32_e32 v4, v181
	v_mov_b32_e32 v15, v5
	v_pk_mul_f32 v[4:5], v[10:11], v[4:5] op_sel_hi:[1,0]
	s_waitcnt vmcnt(0)
	v_pk_fma_f32 v[8:9], v[10:11], v[180:181], v[4:5] op_sel:[0,0,1] op_sel_hi:[1,1,0] neg_lo:[0,0,1] neg_hi:[0,0,1]
	v_pk_fma_f32 v[4:5], v[10:11], v[180:181], v[4:5] op_sel:[0,0,1] op_sel_hi:[1,0,0]
	v_pk_add_f32 v[2:3], v[2:3], v[18:19]
	v_mov_b32_e32 v4, v179
	v_pk_add_f32 v[2:3], v[2:3], v[14:15]
	v_mov_b32_e32 v9, v5
	s_waitcnt lgkmcnt(0)
	v_pk_mul_f32 v[4:5], v[12:13], v[4:5] op_sel_hi:[1,0]
	v_pk_add_f32 v[2:3], v[2:3], v[8:9]
	v_pk_fma_f32 v[8:9], v[12:13], v[178:179], v[4:5] op_sel:[0,0,1] op_sel_hi:[1,1,0] neg_lo:[0,0,1] neg_hi:[0,0,1]
	v_pk_fma_f32 v[4:5], v[12:13], v[178:179], v[4:5] op_sel:[0,0,1] op_sel_hi:[1,0,0]
	v_mov_b32_e32 v9, v5
	v_pk_add_f32 v[2:3], v[2:3], v[8:9]
	v_pk_add_f32 v[2:3], v[6:7], v[2:3] neg_lo:[0,1] neg_hi:[0,1]
	buffer_store_dword v3, off, s[0:3], 0 offset:60
	buffer_store_dword v2, off, s[0:3], 0 offset:56
	s_and_saveexec_b64 s[4:5], vcc
	s_cbranch_execz .LBB108_271
; %bb.270:
	buffer_load_dword v2, off, s[0:3], 0 offset:48
	buffer_load_dword v3, off, s[0:3], 0 offset:52
	s_waitcnt vmcnt(0)
	ds_write_b64 v1, v[2:3]
	buffer_store_dword v16, off, s[0:3], 0 offset:48
	buffer_store_dword v16, off, s[0:3], 0 offset:52
.LBB108_271:
	s_or_b64 exec, exec, s[4:5]
	s_waitcnt lgkmcnt(0)
	; wave barrier
	s_waitcnt lgkmcnt(0)
	buffer_load_dword v17, off, s[0:3], 0 offset:60
	buffer_load_dword v162, off, s[0:3], 0 offset:68
	;; [unrolled: 1-line block ×32, first 2 shown]
	ds_read2_b64 v[18:21], v16 offset0:53 offset1:54
	ds_read2_b64 v[6:9], v16 offset0:55 offset1:56
	buffer_load_dword v208, off, s[0:3], 0 offset:176
	buffer_load_dword v209, off, s[0:3], 0 offset:180
	ds_read2_b64 v[10:13], v16 offset0:57 offset1:58
	ds_read2_b64 v[2:5], v16 offset0:59 offset1:60
	buffer_load_dword v210, off, s[0:3], 0 offset:184
	buffer_load_dword v211, off, s[0:3], 0 offset:188
	;; [unrolled: 1-line block ×28, first 2 shown]
	v_cmp_lt_u32_e32 vcc, 5, v0
	s_waitcnt vmcnt(61) lgkmcnt(3)
	v_mul_f32_e32 v22, v18, v17
	s_waitcnt vmcnt(60)
	v_mul_f32_e32 v23, v20, v162
	s_waitcnt vmcnt(59) lgkmcnt(2)
	v_mul_f32_e32 v24, v6, v164
	s_waitcnt vmcnt(58)
	v_mul_f32_e32 v25, v8, v166
	;; [unrolled: 4-line block ×3, first 2 shown]
	s_waitcnt vmcnt(55) lgkmcnt(0)
	v_mul_f32_e32 v28, v2, v184
	s_waitcnt vmcnt(54)
	v_fmac_f32_e32 v22, v19, v185
	s_waitcnt vmcnt(53)
	v_fmac_f32_e32 v23, v21, v186
	v_add_f32_e32 v22, 0, v22
	s_waitcnt vmcnt(52)
	v_fmac_f32_e32 v24, v7, v187
	v_add_f32_e32 v22, v22, v23
	;; [unrolled: 3-line block ×6, first 2 shown]
	v_add_f32_e32 v26, v22, v28
	ds_read2_b64 v[22:25], v16 offset0:61 offset1:62
	s_waitcnt vmcnt(47)
	v_mul_f32_e32 v27, v4, v192
	s_waitcnt vmcnt(46)
	v_fmac_f32_e32 v27, v5, v193
	v_add_f32_e32 v30, v26, v27
	ds_read2_b64 v[26:29], v16 offset0:63 offset1:64
	s_waitcnt vmcnt(45) lgkmcnt(1)
	v_mul_f32_e32 v31, v22, v194
	s_waitcnt vmcnt(44)
	v_fmac_f32_e32 v31, v23, v195
	v_add_f32_e32 v30, v30, v31
	s_waitcnt vmcnt(43)
	v_mul_f32_e32 v31, v24, v196
	s_waitcnt vmcnt(42)
	v_fmac_f32_e32 v31, v25, v197
	v_add_f32_e32 v30, v30, v31
	s_waitcnt vmcnt(41) lgkmcnt(0)
	v_mul_f32_e32 v31, v26, v198
	s_waitcnt vmcnt(40)
	v_fmac_f32_e32 v31, v27, v199
	v_add_f32_e32 v34, v30, v31
	ds_read2_b64 v[30:33], v16 offset0:65 offset1:66
	s_waitcnt vmcnt(39)
	v_mul_f32_e32 v35, v28, v200
	s_waitcnt vmcnt(38)
	v_fmac_f32_e32 v35, v29, v201
	v_add_f32_e32 v38, v34, v35
	ds_read2_b64 v[34:37], v16 offset0:67 offset1:68
	s_waitcnt vmcnt(35) lgkmcnt(1)
	v_mul_f32_e32 v39, v30, v202
	s_waitcnt vmcnt(34)
	v_fmac_f32_e32 v39, v31, v203
	v_add_f32_e32 v38, v38, v39
	s_waitcnt vmcnt(32)
	v_mul_f32_e32 v39, v32, v205
	v_fmac_f32_e32 v39, v33, v204
	v_add_f32_e32 v38, v38, v39
	s_waitcnt vmcnt(30) lgkmcnt(0)
	v_mul_f32_e32 v39, v34, v207
	v_fmac_f32_e32 v39, v35, v206
	v_add_f32_e32 v42, v38, v39
	ds_read2_b64 v[38:41], v16 offset0:69 offset1:70
	s_waitcnt vmcnt(28)
	v_mul_f32_e32 v43, v36, v209
	v_fmac_f32_e32 v43, v37, v208
	v_add_f32_e32 v46, v42, v43
	ds_read2_b64 v[42:45], v16 offset0:71 offset1:72
	s_waitcnt vmcnt(26) lgkmcnt(1)
	v_mul_f32_e32 v47, v38, v211
	v_fmac_f32_e32 v47, v39, v210
	v_add_f32_e32 v46, v46, v47
	s_waitcnt vmcnt(24)
	v_mul_f32_e32 v47, v40, v213
	v_fmac_f32_e32 v47, v41, v212
	v_add_f32_e32 v46, v46, v47
	s_waitcnt vmcnt(22) lgkmcnt(0)
	v_mul_f32_e32 v47, v42, v215
	v_fmac_f32_e32 v47, v43, v214
	v_add_f32_e32 v50, v46, v47
	ds_read2_b64 v[46:49], v16 offset0:73 offset1:74
	s_waitcnt vmcnt(20)
	v_mul_f32_e32 v51, v44, v217
	v_fmac_f32_e32 v51, v45, v216
	v_add_f32_e32 v54, v50, v51
	ds_read2_b64 v[50:53], v16 offset0:75 offset1:76
	s_waitcnt vmcnt(18) lgkmcnt(1)
	v_mul_f32_e32 v55, v46, v219
	v_fmac_f32_e32 v55, v47, v218
	v_add_f32_e32 v54, v54, v55
	s_waitcnt vmcnt(16)
	v_mul_f32_e32 v55, v48, v221
	v_fmac_f32_e32 v55, v49, v220
	v_add_f32_e32 v54, v54, v55
	s_waitcnt vmcnt(14) lgkmcnt(0)
	v_mul_f32_e32 v55, v50, v223
	v_fmac_f32_e32 v55, v51, v222
	v_add_f32_e32 v58, v54, v55
	ds_read2_b64 v[54:57], v16 offset0:77 offset1:78
	s_waitcnt vmcnt(12)
	v_mul_f32_e32 v59, v52, v225
	v_fmac_f32_e32 v59, v53, v224
	v_add_f32_e32 v62, v58, v59
	ds_read2_b64 v[58:61], v16 offset0:79 offset1:80
	buffer_load_dword v161, off, s[0:3], 0 offset:300
	buffer_load_dword v160, off, s[0:3], 0 offset:296
	s_waitcnt vmcnt(12) lgkmcnt(1)
	v_mul_f32_e32 v63, v54, v227
	v_fmac_f32_e32 v63, v55, v226
	v_add_f32_e32 v62, v62, v63
	s_waitcnt vmcnt(10)
	v_mul_f32_e32 v63, v56, v229
	v_fmac_f32_e32 v63, v57, v228
	v_add_f32_e32 v62, v62, v63
	s_waitcnt vmcnt(8) lgkmcnt(0)
	v_mul_f32_e32 v63, v58, v231
	v_fmac_f32_e32 v63, v59, v230
	s_waitcnt vmcnt(6)
	v_mul_f32_e32 v157, v60, v233
	v_add_f32_e32 v156, v62, v63
	v_fmac_f32_e32 v157, v61, v232
	ds_read2_b64 v[62:65], v16 offset0:81 offset1:82
	v_add_f32_e32 v163, v156, v157
	ds_read2_b64 v[156:159], v16 offset0:83 offset1:84
	buffer_load_dword v169, off, s[0:3], 0 offset:332
	buffer_load_dword v168, off, s[0:3], 0 offset:328
	;; [unrolled: 1-line block ×14, first 2 shown]
	v_mul_f32_e32 v17, v19, v17
	v_fma_f32 v17, v18, v185, -v17
	v_mul_f32_e32 v18, v21, v162
	v_add_f32_e32 v17, 0, v17
	v_fma_f32 v18, v20, v186, -v18
	v_mul_f32_e32 v7, v7, v164
	v_add_f32_e32 v17, v17, v18
	;; [unrolled: 3-line block ×3, first 2 shown]
	v_fma_f32 v7, v8, v188, -v7
	v_add_f32_e32 v6, v6, v7
	v_mul_f32_e32 v7, v11, v182
	v_fma_f32 v7, v10, v189, -v7
	v_add_f32_e32 v6, v6, v7
	v_mul_f32_e32 v7, v13, v183
	v_fma_f32 v7, v12, v190, -v7
	v_mul_f32_e32 v3, v3, v184
	v_add_f32_e32 v6, v6, v7
	v_fma_f32 v2, v2, v191, -v3
	v_mul_f32_e32 v3, v5, v192
	v_add_f32_e32 v2, v6, v2
	v_fma_f32 v3, v4, v193, -v3
	v_add_f32_e32 v2, v2, v3
	v_mul_f32_e32 v3, v23, v194
	v_fma_f32 v3, v22, v195, -v3
	v_add_f32_e32 v2, v2, v3
	v_mul_f32_e32 v3, v25, v196
	;; [unrolled: 3-line block ×20, first 2 shown]
	v_fma_f32 v3, v60, v232, -v3
	s_waitcnt vmcnt(15)
	v_mov_b32_e32 v18, v161
	s_waitcnt lgkmcnt(1)
	v_mul_f32_e32 v165, v62, v235
	v_add_f32_e32 v162, v2, v3
	v_mul_f32_e32 v2, v63, v235
	s_waitcnt lgkmcnt(0)
	v_pk_mul_f32 v[18:19], v[156:157], v[18:19] op_sel_hi:[1,0]
	v_fmac_f32_e32 v165, v63, v234
	v_mul_f32_e32 v167, v64, v237
	v_fma_f32 v164, v62, v234, -v2
	v_mul_f32_e32 v2, v65, v237
	s_waitcnt vmcnt(14)
	v_pk_fma_f32 v[20:21], v[156:157], v[160:161], v[18:19] op_sel:[0,0,1] op_sel_hi:[1,1,0] neg_lo:[0,0,1] neg_hi:[0,0,1]
	v_pk_fma_f32 v[18:19], v[156:157], v[160:161], v[18:19] op_sel:[0,0,1] op_sel_hi:[1,0,0]
	v_fmac_f32_e32 v167, v65, v236
	v_fma_f32 v166, v64, v236, -v2
	ds_read2_b64 v[2:5], v16 offset0:85 offset1:86
	ds_read2_b64 v[6:9], v16 offset0:87 offset1:88
	;; [unrolled: 1-line block ×3, first 2 shown]
	v_pk_add_f32 v[16:17], v[162:163], v[164:165]
	s_waitcnt vmcnt(7)
	v_mov_b32_e32 v18, v175
	v_pk_add_f32 v[16:17], v[16:17], v[166:167]
	v_mov_b32_e32 v21, v19
	v_pk_mul_f32 v[18:19], v[158:159], v[18:19] op_sel_hi:[1,0]
	v_pk_add_f32 v[16:17], v[16:17], v[20:21]
	s_waitcnt vmcnt(6)
	v_pk_fma_f32 v[20:21], v[158:159], v[174:175], v[18:19] op_sel:[0,0,1] op_sel_hi:[1,1,0] neg_lo:[0,0,1] neg_hi:[0,0,1]
	v_pk_fma_f32 v[18:19], v[158:159], v[174:175], v[18:19] op_sel:[0,0,1] op_sel_hi:[1,0,0]
	v_mov_b32_e32 v18, v173
	v_mov_b32_e32 v21, v19
	s_waitcnt lgkmcnt(2)
	v_pk_mul_f32 v[18:19], v[2:3], v[18:19] op_sel_hi:[1,0]
	v_pk_add_f32 v[16:17], v[16:17], v[20:21]
	v_pk_fma_f32 v[20:21], v[2:3], v[172:173], v[18:19] op_sel:[0,0,1] op_sel_hi:[1,1,0] neg_lo:[0,0,1] neg_hi:[0,0,1]
	v_pk_fma_f32 v[2:3], v[2:3], v[172:173], v[18:19] op_sel:[0,0,1] op_sel_hi:[1,0,0]
	v_mov_b32_e32 v21, v3
	v_pk_add_f32 v[2:3], v[16:17], v[20:21]
	v_mov_b32_e32 v16, v171
	v_pk_mul_f32 v[16:17], v[4:5], v[16:17] op_sel_hi:[1,0]
	v_pk_fma_f32 v[18:19], v[4:5], v[170:171], v[16:17] op_sel:[0,0,1] op_sel_hi:[1,1,0] neg_lo:[0,0,1] neg_hi:[0,0,1]
	v_pk_fma_f32 v[4:5], v[4:5], v[170:171], v[16:17] op_sel:[0,0,1] op_sel_hi:[1,0,0]
	v_mov_b32_e32 v4, v169
	v_mov_b32_e32 v19, v5
	s_waitcnt lgkmcnt(1)
	v_pk_mul_f32 v[4:5], v[6:7], v[4:5] op_sel_hi:[1,0]
	v_pk_fma_f32 v[16:17], v[6:7], v[168:169], v[4:5] op_sel:[0,0,1] op_sel_hi:[1,1,0] neg_lo:[0,0,1] neg_hi:[0,0,1]
	v_pk_fma_f32 v[4:5], v[6:7], v[168:169], v[4:5] op_sel:[0,0,1] op_sel_hi:[1,0,0]
	s_waitcnt vmcnt(1)
	v_mov_b32_e32 v4, v181
	v_mov_b32_e32 v17, v5
	v_pk_mul_f32 v[4:5], v[8:9], v[4:5] op_sel_hi:[1,0]
	s_waitcnt vmcnt(0)
	v_pk_fma_f32 v[6:7], v[8:9], v[180:181], v[4:5] op_sel:[0,0,1] op_sel_hi:[1,1,0] neg_lo:[0,0,1] neg_hi:[0,0,1]
	v_pk_fma_f32 v[4:5], v[8:9], v[180:181], v[4:5] op_sel:[0,0,1] op_sel_hi:[1,0,0]
	v_pk_add_f32 v[2:3], v[2:3], v[18:19]
	v_mov_b32_e32 v4, v179
	v_pk_add_f32 v[2:3], v[2:3], v[16:17]
	v_mov_b32_e32 v7, v5
	s_waitcnt lgkmcnt(0)
	v_pk_mul_f32 v[4:5], v[10:11], v[4:5] op_sel_hi:[1,0]
	v_pk_add_f32 v[2:3], v[2:3], v[6:7]
	v_pk_fma_f32 v[6:7], v[10:11], v[178:179], v[4:5] op_sel:[0,0,1] op_sel_hi:[1,1,0] neg_lo:[0,0,1] neg_hi:[0,0,1]
	v_pk_fma_f32 v[4:5], v[10:11], v[178:179], v[4:5] op_sel:[0,0,1] op_sel_hi:[1,0,0]
	v_mov_b32_e32 v4, v177
	v_mov_b32_e32 v7, v5
	v_pk_mul_f32 v[4:5], v[12:13], v[4:5] op_sel_hi:[1,0]
	v_pk_add_f32 v[2:3], v[2:3], v[6:7]
	v_pk_fma_f32 v[6:7], v[12:13], v[176:177], v[4:5] op_sel:[0,0,1] op_sel_hi:[1,1,0] neg_lo:[0,0,1] neg_hi:[0,0,1]
	v_pk_fma_f32 v[4:5], v[12:13], v[176:177], v[4:5] op_sel:[0,0,1] op_sel_hi:[1,0,0]
	v_mov_b32_e32 v7, v5
	v_pk_add_f32 v[2:3], v[2:3], v[6:7]
	v_pk_add_f32 v[2:3], v[14:15], v[2:3] neg_lo:[0,1] neg_hi:[0,1]
	buffer_store_dword v3, off, s[0:3], 0 offset:52
	buffer_store_dword v2, off, s[0:3], 0 offset:48
	s_and_saveexec_b64 s[4:5], vcc
	s_cbranch_execz .LBB108_273
; %bb.272:
	buffer_load_dword v2, off, s[0:3], 0 offset:40
	buffer_load_dword v3, off, s[0:3], 0 offset:44
	v_mov_b32_e32 v4, 0
	buffer_store_dword v4, off, s[0:3], 0 offset:40
	buffer_store_dword v4, off, s[0:3], 0 offset:44
	s_waitcnt vmcnt(2)
	ds_write_b64 v1, v[2:3]
.LBB108_273:
	s_or_b64 exec, exec, s[4:5]
	s_waitcnt lgkmcnt(0)
	; wave barrier
	s_waitcnt lgkmcnt(0)
	buffer_load_dword v21, off, s[0:3], 0 offset:52
	buffer_load_dword v160, off, s[0:3], 0 offset:60
	buffer_load_dword v162, off, s[0:3], 0 offset:68
	buffer_load_dword v164, off, s[0:3], 0 offset:76
	buffer_load_dword v182, off, s[0:3], 0 offset:84
	buffer_load_dword v183, off, s[0:3], 0 offset:92
	buffer_load_dword v184, off, s[0:3], 0 offset:100
	buffer_load_dword v185, off, s[0:3], 0 offset:48
	buffer_load_dword v186, off, s[0:3], 0 offset:56
	buffer_load_dword v187, off, s[0:3], 0 offset:64
	buffer_load_dword v188, off, s[0:3], 0 offset:72
	buffer_load_dword v189, off, s[0:3], 0 offset:80
	buffer_load_dword v190, off, s[0:3], 0 offset:88
	buffer_load_dword v191, off, s[0:3], 0 offset:96
	buffer_load_dword v192, off, s[0:3], 0 offset:108
	buffer_load_dword v193, off, s[0:3], 0 offset:104
	buffer_load_dword v194, off, s[0:3], 0 offset:116
	buffer_load_dword v195, off, s[0:3], 0 offset:112
	buffer_load_dword v196, off, s[0:3], 0 offset:124
	buffer_load_dword v197, off, s[0:3], 0 offset:120
	buffer_load_dword v198, off, s[0:3], 0 offset:128
	buffer_load_dword v199, off, s[0:3], 0 offset:132
	buffer_load_dword v2, off, s[0:3], 0 offset:40
	buffer_load_dword v3, off, s[0:3], 0 offset:44
	buffer_load_dword v200, off, s[0:3], 0 offset:136
	buffer_load_dword v201, off, s[0:3], 0 offset:140
	buffer_load_dword v202, off, s[0:3], 0 offset:144
	buffer_load_dword v203, off, s[0:3], 0 offset:148
	buffer_load_dword v204, off, s[0:3], 0 offset:152
	buffer_load_dword v205, off, s[0:3], 0 offset:156
	buffer_load_dword v206, off, s[0:3], 0 offset:160
	buffer_load_dword v207, off, s[0:3], 0 offset:164
	buffer_load_dword v208, off, s[0:3], 0 offset:168
	buffer_load_dword v209, off, s[0:3], 0 offset:172
	buffer_load_dword v210, off, s[0:3], 0 offset:176
	buffer_load_dword v211, off, s[0:3], 0 offset:180
	buffer_load_dword v212, off, s[0:3], 0 offset:184
	buffer_load_dword v213, off, s[0:3], 0 offset:188
	buffer_load_dword v214, off, s[0:3], 0 offset:192
	buffer_load_dword v215, off, s[0:3], 0 offset:196
	buffer_load_dword v216, off, s[0:3], 0 offset:200
	buffer_load_dword v217, off, s[0:3], 0 offset:204
	buffer_load_dword v218, off, s[0:3], 0 offset:208
	buffer_load_dword v219, off, s[0:3], 0 offset:212
	buffer_load_dword v220, off, s[0:3], 0 offset:216
	buffer_load_dword v221, off, s[0:3], 0 offset:220
	buffer_load_dword v222, off, s[0:3], 0 offset:224
	buffer_load_dword v223, off, s[0:3], 0 offset:228
	v_mov_b32_e32 v20, 0
	ds_read_b128 v[4:7], v20 offset:416
	buffer_load_dword v224, off, s[0:3], 0 offset:232
	buffer_load_dword v225, off, s[0:3], 0 offset:236
	;; [unrolled: 1-line block ×8, first 2 shown]
	ds_read_b128 v[8:11], v20 offset:432
	ds_read_b128 v[12:15], v20 offset:448
	;; [unrolled: 1-line block ×3, first 2 shown]
	buffer_load_dword v232, off, s[0:3], 0 offset:264
	buffer_load_dword v233, off, s[0:3], 0 offset:268
	;; [unrolled: 1-line block ×8, first 2 shown]
	v_cmp_lt_u32_e32 vcc, 4, v0
	s_waitcnt vmcnt(62) lgkmcnt(3)
	v_mul_f32_e32 v22, v4, v21
	v_mul_f32_e32 v23, v6, v160
	s_waitcnt vmcnt(61) lgkmcnt(2)
	v_mul_f32_e32 v24, v8, v162
	s_waitcnt vmcnt(60)
	v_mul_f32_e32 v25, v10, v164
	s_waitcnt vmcnt(59) lgkmcnt(1)
	v_mul_f32_e32 v26, v12, v182
	s_waitcnt vmcnt(58)
	;; [unrolled: 4-line block ×3, first 2 shown]
	v_fmac_f32_e32 v22, v5, v185
	s_waitcnt vmcnt(55)
	v_fmac_f32_e32 v23, v7, v186
	v_add_f32_e32 v22, 0, v22
	s_waitcnt vmcnt(54)
	v_fmac_f32_e32 v24, v9, v187
	v_add_f32_e32 v22, v22, v23
	;; [unrolled: 3-line block ×6, first 2 shown]
	v_add_f32_e32 v26, v22, v28
	ds_read_b128 v[22:25], v20 offset:480
	s_waitcnt vmcnt(49)
	v_mul_f32_e32 v27, v18, v192
	s_waitcnt vmcnt(48)
	v_fmac_f32_e32 v27, v19, v193
	v_add_f32_e32 v30, v26, v27
	ds_read_b128 v[26:29], v20 offset:496
	s_waitcnt vmcnt(47) lgkmcnt(1)
	v_mul_f32_e32 v31, v22, v194
	s_waitcnt vmcnt(46)
	v_fmac_f32_e32 v31, v23, v195
	v_add_f32_e32 v30, v30, v31
	s_waitcnt vmcnt(45)
	v_mul_f32_e32 v31, v24, v196
	s_waitcnt vmcnt(44)
	v_fmac_f32_e32 v31, v25, v197
	v_add_f32_e32 v30, v30, v31
	s_waitcnt vmcnt(42) lgkmcnt(0)
	v_mul_f32_e32 v31, v26, v199
	v_fmac_f32_e32 v31, v27, v198
	v_add_f32_e32 v34, v30, v31
	ds_read_b128 v[30:33], v20 offset:512
	s_waitcnt vmcnt(38)
	v_mul_f32_e32 v35, v28, v201
	v_fmac_f32_e32 v35, v29, v200
	v_add_f32_e32 v38, v34, v35
	ds_read_b128 v[34:37], v20 offset:528
	s_waitcnt vmcnt(36) lgkmcnt(1)
	v_mul_f32_e32 v39, v30, v203
	v_fmac_f32_e32 v39, v31, v202
	v_add_f32_e32 v38, v38, v39
	s_waitcnt vmcnt(34)
	v_mul_f32_e32 v39, v32, v205
	v_fmac_f32_e32 v39, v33, v204
	v_add_f32_e32 v38, v38, v39
	s_waitcnt vmcnt(32) lgkmcnt(0)
	v_mul_f32_e32 v39, v34, v207
	v_fmac_f32_e32 v39, v35, v206
	v_add_f32_e32 v42, v38, v39
	ds_read_b128 v[38:41], v20 offset:544
	s_waitcnt vmcnt(30)
	v_mul_f32_e32 v43, v36, v209
	v_fmac_f32_e32 v43, v37, v208
	v_add_f32_e32 v46, v42, v43
	ds_read_b128 v[42:45], v20 offset:560
	s_waitcnt vmcnt(28) lgkmcnt(1)
	v_mul_f32_e32 v47, v38, v211
	v_fmac_f32_e32 v47, v39, v210
	v_add_f32_e32 v46, v46, v47
	s_waitcnt vmcnt(26)
	v_mul_f32_e32 v47, v40, v213
	;; [unrolled: 18-line block ×4, first 2 shown]
	v_fmac_f32_e32 v63, v57, v228
	v_add_f32_e32 v62, v62, v63
	s_waitcnt vmcnt(8) lgkmcnt(0)
	v_mul_f32_e32 v63, v58, v231
	v_fmac_f32_e32 v63, v59, v230
	s_waitcnt vmcnt(6)
	v_mul_f32_e32 v157, v60, v233
	v_add_f32_e32 v156, v62, v63
	v_fmac_f32_e32 v157, v61, v232
	ds_read_b128 v[62:65], v20 offset:640
	v_add_f32_e32 v161, v156, v157
	ds_read_b128 v[156:159], v20 offset:656
	buffer_load_dword v167, off, s[0:3], 0 offset:324
	buffer_load_dword v166, off, s[0:3], 0 offset:320
	;; [unrolled: 1-line block ×16, first 2 shown]
	v_mul_f32_e32 v5, v5, v21
	v_fma_f32 v4, v4, v185, -v5
	v_mul_f32_e32 v5, v7, v160
	v_add_f32_e32 v4, 0, v4
	v_fma_f32 v5, v6, v186, -v5
	v_add_f32_e32 v4, v4, v5
	v_mul_f32_e32 v5, v9, v162
	v_fma_f32 v5, v8, v187, -v5
	v_add_f32_e32 v4, v4, v5
	v_mul_f32_e32 v5, v11, v164
	;; [unrolled: 3-line block ×26, first 2 shown]
	v_fma_f32 v5, v60, v232, -v5
	v_add_f32_e32 v4, v4, v5
	s_waitcnt vmcnt(20) lgkmcnt(1)
	v_mul_f32_e32 v5, v63, v235
	v_mul_f32_e32 v163, v62, v235
	v_fma_f32 v5, v62, v234, -v5
	v_fmac_f32_e32 v163, v63, v234
	v_add_f32_e32 v160, v4, v5
	s_waitcnt vmcnt(18)
	v_mul_f32_e32 v4, v65, v237
	s_waitcnt vmcnt(9)
	v_mov_b32_e32 v22, v173
	v_add_f32_e32 v161, v161, v163
	v_mul_f32_e32 v163, v64, v237
	v_fma_f32 v162, v64, v236, -v4
	s_waitcnt lgkmcnt(0)
	v_mul_f32_e32 v4, v157, v239
	v_pk_mul_f32 v[22:23], v[158:159], v[22:23] op_sel_hi:[1,0]
	v_fmac_f32_e32 v163, v65, v236
	v_mul_f32_e32 v165, v156, v239
	v_fma_f32 v164, v156, v238, -v4
	ds_read_b128 v[4:7], v20 offset:672
	ds_read_b128 v[8:11], v20 offset:688
	;; [unrolled: 1-line block ×3, first 2 shown]
	ds_read_b64 v[16:17], v20 offset:720
	s_waitcnt vmcnt(8)
	v_pk_fma_f32 v[24:25], v[158:159], v[172:173], v[22:23] op_sel:[0,0,1] op_sel_hi:[1,1,0] neg_lo:[0,0,1] neg_hi:[0,0,1]
	v_pk_fma_f32 v[22:23], v[158:159], v[172:173], v[22:23] op_sel:[0,0,1] op_sel_hi:[1,0,0]
	v_fmac_f32_e32 v165, v157, v238
	v_pk_add_f32 v[18:19], v[160:161], v[162:163]
	v_mov_b32_e32 v22, v171
	v_pk_add_f32 v[18:19], v[18:19], v[164:165]
	v_mov_b32_e32 v25, v23
	s_waitcnt lgkmcnt(3)
	v_pk_mul_f32 v[22:23], v[4:5], v[22:23] op_sel_hi:[1,0]
	v_pk_add_f32 v[18:19], v[18:19], v[24:25]
	v_pk_fma_f32 v[24:25], v[4:5], v[170:171], v[22:23] op_sel:[0,0,1] op_sel_hi:[1,1,0] neg_lo:[0,0,1] neg_hi:[0,0,1]
	v_pk_fma_f32 v[4:5], v[4:5], v[170:171], v[22:23] op_sel:[0,0,1] op_sel_hi:[1,0,0]
	v_mov_b32_e32 v25, v5
	v_pk_add_f32 v[4:5], v[18:19], v[24:25]
	v_mov_b32_e32 v18, v169
	v_pk_mul_f32 v[18:19], v[6:7], v[18:19] op_sel_hi:[1,0]
	v_pk_fma_f32 v[22:23], v[6:7], v[168:169], v[18:19] op_sel:[0,0,1] op_sel_hi:[1,1,0] neg_lo:[0,0,1] neg_hi:[0,0,1]
	v_pk_fma_f32 v[6:7], v[6:7], v[168:169], v[18:19] op_sel:[0,0,1] op_sel_hi:[1,0,0]
	v_mov_b32_e32 v6, v167
	v_mov_b32_e32 v23, v7
	s_waitcnt lgkmcnt(2)
	v_pk_mul_f32 v[6:7], v[8:9], v[6:7] op_sel_hi:[1,0]
	v_pk_fma_f32 v[18:19], v[8:9], v[166:167], v[6:7] op_sel:[0,0,1] op_sel_hi:[1,1,0] neg_lo:[0,0,1] neg_hi:[0,0,1]
	v_pk_fma_f32 v[6:7], v[8:9], v[166:167], v[6:7] op_sel:[0,0,1] op_sel_hi:[1,0,0]
	s_waitcnt vmcnt(1)
	v_mov_b32_e32 v6, v181
	v_mov_b32_e32 v19, v7
	v_pk_mul_f32 v[6:7], v[10:11], v[6:7] op_sel_hi:[1,0]
	s_waitcnt vmcnt(0)
	v_pk_fma_f32 v[8:9], v[10:11], v[180:181], v[6:7] op_sel:[0,0,1] op_sel_hi:[1,1,0] neg_lo:[0,0,1] neg_hi:[0,0,1]
	v_pk_fma_f32 v[6:7], v[10:11], v[180:181], v[6:7] op_sel:[0,0,1] op_sel_hi:[1,0,0]
	v_pk_add_f32 v[4:5], v[4:5], v[22:23]
	v_mov_b32_e32 v6, v179
	v_pk_add_f32 v[4:5], v[4:5], v[18:19]
	v_mov_b32_e32 v9, v7
	s_waitcnt lgkmcnt(1)
	v_pk_mul_f32 v[6:7], v[12:13], v[6:7] op_sel_hi:[1,0]
	v_pk_add_f32 v[4:5], v[4:5], v[8:9]
	v_pk_fma_f32 v[8:9], v[12:13], v[178:179], v[6:7] op_sel:[0,0,1] op_sel_hi:[1,1,0] neg_lo:[0,0,1] neg_hi:[0,0,1]
	v_pk_fma_f32 v[6:7], v[12:13], v[178:179], v[6:7] op_sel:[0,0,1] op_sel_hi:[1,0,0]
	v_mov_b32_e32 v6, v177
	v_mov_b32_e32 v9, v7
	v_pk_mul_f32 v[6:7], v[14:15], v[6:7] op_sel_hi:[1,0]
	v_pk_add_f32 v[4:5], v[4:5], v[8:9]
	v_pk_fma_f32 v[8:9], v[14:15], v[176:177], v[6:7] op_sel:[0,0,1] op_sel_hi:[1,1,0] neg_lo:[0,0,1] neg_hi:[0,0,1]
	v_pk_fma_f32 v[6:7], v[14:15], v[176:177], v[6:7] op_sel:[0,0,1] op_sel_hi:[1,0,0]
	v_mov_b32_e32 v6, v175
	v_mov_b32_e32 v9, v7
	s_waitcnt lgkmcnt(0)
	v_pk_mul_f32 v[6:7], v[16:17], v[6:7] op_sel_hi:[1,0]
	v_pk_add_f32 v[4:5], v[4:5], v[8:9]
	v_pk_fma_f32 v[8:9], v[16:17], v[174:175], v[6:7] op_sel:[0,0,1] op_sel_hi:[1,1,0] neg_lo:[0,0,1] neg_hi:[0,0,1]
	v_pk_fma_f32 v[6:7], v[16:17], v[174:175], v[6:7] op_sel:[0,0,1] op_sel_hi:[1,0,0]
	v_mov_b32_e32 v9, v7
	v_pk_add_f32 v[4:5], v[4:5], v[8:9]
	v_pk_add_f32 v[2:3], v[2:3], v[4:5] neg_lo:[0,1] neg_hi:[0,1]
	buffer_store_dword v3, off, s[0:3], 0 offset:44
	buffer_store_dword v2, off, s[0:3], 0 offset:40
	s_and_saveexec_b64 s[4:5], vcc
	s_cbranch_execz .LBB108_275
; %bb.274:
	buffer_load_dword v2, off, s[0:3], 0 offset:32
	buffer_load_dword v3, off, s[0:3], 0 offset:36
	s_waitcnt vmcnt(0)
	ds_write_b64 v1, v[2:3]
	buffer_store_dword v20, off, s[0:3], 0 offset:32
	buffer_store_dword v20, off, s[0:3], 0 offset:36
.LBB108_275:
	s_or_b64 exec, exec, s[4:5]
	s_waitcnt lgkmcnt(0)
	; wave barrier
	s_waitcnt lgkmcnt(0)
	buffer_load_dword v21, off, s[0:3], 0 offset:44
	buffer_load_dword v160, off, s[0:3], 0 offset:52
	;; [unrolled: 1-line block ×26, first 2 shown]
	ds_read2_b64 v[14:17], v20 offset0:51 offset1:52
	ds_read2_b64 v[6:9], v20 offset0:53 offset1:54
	buffer_load_dword v202, off, s[0:3], 0 offset:136
	buffer_load_dword v203, off, s[0:3], 0 offset:140
	ds_read2_b64 v[10:13], v20 offset0:55 offset1:56
	ds_read2_b64 v[2:5], v20 offset0:57 offset1:58
	buffer_load_dword v204, off, s[0:3], 0 offset:144
	buffer_load_dword v205, off, s[0:3], 0 offset:148
	;; [unrolled: 1-line block ×32, first 2 shown]
	v_cmp_lt_u32_e32 vcc, 3, v0
	s_waitcnt vmcnt(59) lgkmcnt(3)
	v_mul_f32_e32 v22, v14, v21
	s_waitcnt vmcnt(58)
	v_mul_f32_e32 v23, v16, v160
	s_waitcnt vmcnt(57) lgkmcnt(2)
	v_mul_f32_e32 v24, v6, v162
	s_waitcnt vmcnt(56)
	v_mul_f32_e32 v25, v8, v170
	;; [unrolled: 4-line block ×4, first 2 shown]
	s_waitcnt vmcnt(51)
	v_fmac_f32_e32 v22, v15, v186
	s_waitcnt vmcnt(50)
	v_fmac_f32_e32 v23, v17, v187
	v_add_f32_e32 v22, 0, v22
	s_waitcnt vmcnt(49)
	v_fmac_f32_e32 v24, v7, v188
	v_add_f32_e32 v22, v22, v23
	;; [unrolled: 3-line block ×6, first 2 shown]
	v_add_f32_e32 v26, v22, v28
	ds_read2_b64 v[22:25], v20 offset0:59 offset1:60
	s_waitcnt vmcnt(44)
	v_fmac_f32_e32 v29, v5, v193
	buffer_load_dword v236, off, s[0:3], 0 offset:272
	buffer_load_dword v237, off, s[0:3], 0 offset:276
	v_add_f32_e32 v30, v26, v29
	buffer_load_dword v238, off, s[0:3], 0 offset:280
	buffer_load_dword v239, off, s[0:3], 0 offset:284
	ds_read2_b64 v[26:29], v20 offset0:61 offset1:62
	s_waitcnt vmcnt(47) lgkmcnt(1)
	v_mul_f32_e32 v31, v22, v194
	s_waitcnt vmcnt(46)
	v_fmac_f32_e32 v31, v23, v195
	v_add_f32_e32 v30, v30, v31
	s_waitcnt vmcnt(45)
	v_mul_f32_e32 v31, v24, v196
	s_waitcnt vmcnt(44)
	v_fmac_f32_e32 v31, v25, v197
	v_add_f32_e32 v30, v30, v31
	s_waitcnt vmcnt(41) lgkmcnt(0)
	v_mul_f32_e32 v31, v26, v198
	s_waitcnt vmcnt(40)
	v_fmac_f32_e32 v31, v27, v199
	buffer_load_dword v240, off, s[0:3], 0 offset:288
	buffer_load_dword v241, off, s[0:3], 0 offset:292
	v_add_f32_e32 v34, v30, v31
	ds_read2_b64 v[30:33], v20 offset0:63 offset1:64
	s_waitcnt vmcnt(40)
	v_mul_f32_e32 v35, v28, v201
	v_fmac_f32_e32 v35, v29, v200
	v_add_f32_e32 v38, v34, v35
	ds_read2_b64 v[34:37], v20 offset0:65 offset1:66
	s_waitcnt vmcnt(38) lgkmcnt(1)
	v_mul_f32_e32 v39, v30, v203
	v_fmac_f32_e32 v39, v31, v202
	v_add_f32_e32 v38, v38, v39
	s_waitcnt vmcnt(36)
	v_mul_f32_e32 v39, v32, v205
	v_fmac_f32_e32 v39, v33, v204
	v_add_f32_e32 v38, v38, v39
	s_waitcnt vmcnt(34) lgkmcnt(0)
	v_mul_f32_e32 v39, v34, v207
	v_fmac_f32_e32 v39, v35, v206
	v_add_f32_e32 v42, v38, v39
	ds_read2_b64 v[38:41], v20 offset0:67 offset1:68
	s_waitcnt vmcnt(32)
	v_mul_f32_e32 v43, v36, v209
	v_fmac_f32_e32 v43, v37, v208
	v_add_f32_e32 v46, v42, v43
	ds_read2_b64 v[42:45], v20 offset0:69 offset1:70
	s_waitcnt vmcnt(30) lgkmcnt(1)
	v_mul_f32_e32 v47, v38, v211
	v_fmac_f32_e32 v47, v39, v210
	v_add_f32_e32 v46, v46, v47
	s_waitcnt vmcnt(28)
	v_mul_f32_e32 v47, v40, v213
	v_fmac_f32_e32 v47, v41, v212
	v_add_f32_e32 v46, v46, v47
	s_waitcnt vmcnt(26) lgkmcnt(0)
	v_mul_f32_e32 v47, v42, v215
	v_fmac_f32_e32 v47, v43, v214
	;; [unrolled: 18-line block ×4, first 2 shown]
	s_waitcnt vmcnt(8)
	v_mul_f32_e32 v157, v60, v233
	v_add_f32_e32 v156, v62, v63
	v_fmac_f32_e32 v157, v61, v232
	ds_read2_b64 v[62:65], v20 offset0:79 offset1:80
	v_add_f32_e32 v161, v156, v157
	ds_read2_b64 v[156:159], v20 offset0:81 offset1:82
	buffer_load_dword v165, off, s[0:3], 0 offset:316
	buffer_load_dword v164, off, s[0:3], 0 offset:312
	;; [unrolled: 1-line block ×16, first 2 shown]
	v_mul_f32_e32 v15, v15, v21
	v_fma_f32 v14, v14, v186, -v15
	v_mul_f32_e32 v15, v17, v160
	v_add_f32_e32 v14, 0, v14
	v_fma_f32 v15, v16, v187, -v15
	v_mul_f32_e32 v7, v7, v162
	v_add_f32_e32 v14, v14, v15
	;; [unrolled: 3-line block ×3, first 2 shown]
	v_fma_f32 v7, v8, v189, -v7
	v_add_f32_e32 v6, v6, v7
	v_mul_f32_e32 v7, v11, v182
	v_fma_f32 v7, v10, v190, -v7
	v_add_f32_e32 v6, v6, v7
	v_mul_f32_e32 v7, v13, v183
	v_fma_f32 v7, v12, v191, -v7
	v_mul_f32_e32 v3, v3, v184
	v_add_f32_e32 v6, v6, v7
	v_fma_f32 v2, v2, v192, -v3
	v_mul_f32_e32 v3, v5, v185
	v_add_f32_e32 v2, v6, v2
	v_fma_f32 v3, v4, v193, -v3
	v_add_f32_e32 v2, v2, v3
	v_mul_f32_e32 v3, v23, v194
	v_fma_f32 v3, v22, v195, -v3
	v_add_f32_e32 v2, v2, v3
	v_mul_f32_e32 v3, v25, v196
	;; [unrolled: 3-line block ×20, first 2 shown]
	v_fma_f32 v3, v60, v232, -v3
	v_add_f32_e32 v2, v2, v3
	s_waitcnt vmcnt(22) lgkmcnt(1)
	v_mul_f32_e32 v3, v63, v235
	v_fma_f32 v3, v62, v234, -v3
	v_add_f32_e32 v2, v2, v3
	s_waitcnt vmcnt(20)
	v_mul_f32_e32 v3, v65, v237
	v_mul_f32_e32 v163, v62, v235
	v_fma_f32 v3, v64, v236, -v3
	v_fmac_f32_e32 v163, v63, v234
	v_add_f32_e32 v160, v2, v3
	s_waitcnt vmcnt(18) lgkmcnt(0)
	v_mul_f32_e32 v2, v157, v239
	v_add_f32_e32 v161, v161, v163
	v_mul_f32_e32 v163, v64, v237
	v_fma_f32 v162, v156, v238, -v2
	s_waitcnt vmcnt(16)
	v_mul_f32_e32 v2, v159, v241
	v_fmac_f32_e32 v163, v65, v236
	v_fma_f32 v170, v158, v240, -v2
	ds_read2_b64 v[2:5], v20 offset0:83 offset1:84
	ds_read2_b64 v[6:9], v20 offset0:85 offset1:86
	;; [unrolled: 1-line block ×4, first 2 shown]
	v_add_f32_e32 v161, v161, v163
	v_mul_f32_e32 v163, v156, v239
	s_waitcnt vmcnt(11)
	v_mov_b32_e32 v22, v169
	v_fmac_f32_e32 v163, v157, v238
	v_mul_f32_e32 v171, v158, v241
	s_waitcnt lgkmcnt(3)
	v_pk_mul_f32 v[22:23], v[2:3], v[22:23] op_sel_hi:[1,0]
	v_fmac_f32_e32 v171, v159, v240
	v_pk_add_f32 v[20:21], v[160:161], v[162:163]
	s_waitcnt vmcnt(10)
	v_pk_fma_f32 v[24:25], v[2:3], v[168:169], v[22:23] op_sel:[0,0,1] op_sel_hi:[1,1,0] neg_lo:[0,0,1] neg_hi:[0,0,1]
	v_pk_fma_f32 v[2:3], v[2:3], v[168:169], v[22:23] op_sel:[0,0,1] op_sel_hi:[1,0,0]
	v_pk_add_f32 v[20:21], v[20:21], v[170:171]
	v_mov_b32_e32 v25, v3
	v_pk_add_f32 v[2:3], v[20:21], v[24:25]
	v_mov_b32_e32 v20, v167
	v_pk_mul_f32 v[20:21], v[4:5], v[20:21] op_sel_hi:[1,0]
	v_pk_fma_f32 v[22:23], v[4:5], v[166:167], v[20:21] op_sel:[0,0,1] op_sel_hi:[1,1,0] neg_lo:[0,0,1] neg_hi:[0,0,1]
	v_pk_fma_f32 v[4:5], v[4:5], v[166:167], v[20:21] op_sel:[0,0,1] op_sel_hi:[1,0,0]
	v_mov_b32_e32 v4, v165
	v_mov_b32_e32 v23, v5
	s_waitcnt lgkmcnt(2)
	v_pk_mul_f32 v[4:5], v[6:7], v[4:5] op_sel_hi:[1,0]
	v_pk_fma_f32 v[20:21], v[6:7], v[164:165], v[4:5] op_sel:[0,0,1] op_sel_hi:[1,1,0] neg_lo:[0,0,1] neg_hi:[0,0,1]
	v_pk_fma_f32 v[4:5], v[6:7], v[164:165], v[4:5] op_sel:[0,0,1] op_sel_hi:[1,0,0]
	s_waitcnt vmcnt(3)
	v_mov_b32_e32 v4, v179
	v_mov_b32_e32 v21, v5
	v_pk_mul_f32 v[4:5], v[8:9], v[4:5] op_sel_hi:[1,0]
	s_waitcnt vmcnt(2)
	v_pk_fma_f32 v[6:7], v[8:9], v[178:179], v[4:5] op_sel:[0,0,1] op_sel_hi:[1,1,0] neg_lo:[0,0,1] neg_hi:[0,0,1]
	v_pk_fma_f32 v[4:5], v[8:9], v[178:179], v[4:5] op_sel:[0,0,1] op_sel_hi:[1,0,0]
	v_pk_add_f32 v[2:3], v[2:3], v[22:23]
	v_mov_b32_e32 v4, v177
	v_pk_add_f32 v[2:3], v[2:3], v[20:21]
	v_mov_b32_e32 v7, v5
	s_waitcnt lgkmcnt(1)
	v_pk_mul_f32 v[4:5], v[10:11], v[4:5] op_sel_hi:[1,0]
	v_pk_add_f32 v[2:3], v[2:3], v[6:7]
	v_pk_fma_f32 v[6:7], v[10:11], v[176:177], v[4:5] op_sel:[0,0,1] op_sel_hi:[1,1,0] neg_lo:[0,0,1] neg_hi:[0,0,1]
	v_pk_fma_f32 v[4:5], v[10:11], v[176:177], v[4:5] op_sel:[0,0,1] op_sel_hi:[1,0,0]
	v_mov_b32_e32 v4, v175
	v_mov_b32_e32 v7, v5
	v_pk_mul_f32 v[4:5], v[12:13], v[4:5] op_sel_hi:[1,0]
	v_pk_add_f32 v[2:3], v[2:3], v[6:7]
	v_pk_fma_f32 v[6:7], v[12:13], v[174:175], v[4:5] op_sel:[0,0,1] op_sel_hi:[1,1,0] neg_lo:[0,0,1] neg_hi:[0,0,1]
	v_pk_fma_f32 v[4:5], v[12:13], v[174:175], v[4:5] op_sel:[0,0,1] op_sel_hi:[1,0,0]
	v_mov_b32_e32 v4, v173
	v_mov_b32_e32 v7, v5
	s_waitcnt lgkmcnt(0)
	v_pk_mul_f32 v[4:5], v[14:15], v[4:5] op_sel_hi:[1,0]
	v_pk_add_f32 v[2:3], v[2:3], v[6:7]
	v_pk_fma_f32 v[6:7], v[14:15], v[172:173], v[4:5] op_sel:[0,0,1] op_sel_hi:[1,1,0] neg_lo:[0,0,1] neg_hi:[0,0,1]
	v_pk_fma_f32 v[4:5], v[14:15], v[172:173], v[4:5] op_sel:[0,0,1] op_sel_hi:[1,0,0]
	s_waitcnt vmcnt(1)
	v_mov_b32_e32 v4, v181
	v_mov_b32_e32 v7, v5
	v_pk_mul_f32 v[4:5], v[16:17], v[4:5] op_sel_hi:[1,0]
	v_pk_add_f32 v[2:3], v[2:3], v[6:7]
	s_waitcnt vmcnt(0)
	v_pk_fma_f32 v[6:7], v[16:17], v[180:181], v[4:5] op_sel:[0,0,1] op_sel_hi:[1,1,0] neg_lo:[0,0,1] neg_hi:[0,0,1]
	v_pk_fma_f32 v[4:5], v[16:17], v[180:181], v[4:5] op_sel:[0,0,1] op_sel_hi:[1,0,0]
	v_mov_b32_e32 v7, v5
	v_pk_add_f32 v[2:3], v[2:3], v[6:7]
	v_pk_add_f32 v[2:3], v[18:19], v[2:3] neg_lo:[0,1] neg_hi:[0,1]
	buffer_store_dword v3, off, s[0:3], 0 offset:36
	buffer_store_dword v2, off, s[0:3], 0 offset:32
	s_and_saveexec_b64 s[4:5], vcc
	s_cbranch_execz .LBB108_277
; %bb.276:
	buffer_load_dword v2, off, s[0:3], 0 offset:24
	buffer_load_dword v3, off, s[0:3], 0 offset:28
	v_mov_b32_e32 v4, 0
	buffer_store_dword v4, off, s[0:3], 0 offset:24
	buffer_store_dword v4, off, s[0:3], 0 offset:28
	s_waitcnt vmcnt(2)
	ds_write_b64 v1, v[2:3]
.LBB108_277:
	s_or_b64 exec, exec, s[4:5]
	s_waitcnt lgkmcnt(0)
	; wave barrier
	s_waitcnt lgkmcnt(0)
	buffer_load_dword v160, off, s[0:3], 0 offset:36
	buffer_load_dword v165, off, s[0:3], 0 offset:44
	;; [unrolled: 1-line block ×24, first 2 shown]
	v_mov_b32_e32 v164, 0
	buffer_load_dword v208, off, s[0:3], 0 offset:120
	buffer_load_dword v209, off, s[0:3], 0 offset:124
	buffer_load_dword v210, off, s[0:3], 0 offset:128
	buffer_load_dword v211, off, s[0:3], 0 offset:132
	buffer_load_dword v212, off, s[0:3], 0 offset:136
	buffer_load_dword v213, off, s[0:3], 0 offset:140
	buffer_load_dword v214, off, s[0:3], 0 offset:144
	buffer_load_dword v215, off, s[0:3], 0 offset:148
	buffer_load_dword v216, off, s[0:3], 0 offset:152
	buffer_load_dword v217, off, s[0:3], 0 offset:156
	buffer_load_dword v218, off, s[0:3], 0 offset:160
	buffer_load_dword v219, off, s[0:3], 0 offset:164
	buffer_load_dword v220, off, s[0:3], 0 offset:168
	buffer_load_dword v221, off, s[0:3], 0 offset:172
	buffer_load_dword v222, off, s[0:3], 0 offset:176
	buffer_load_dword v223, off, s[0:3], 0 offset:180
	buffer_load_dword v224, off, s[0:3], 0 offset:184
	buffer_load_dword v225, off, s[0:3], 0 offset:188
	buffer_load_dword v226, off, s[0:3], 0 offset:192
	buffer_load_dword v227, off, s[0:3], 0 offset:196
	buffer_load_dword v228, off, s[0:3], 0 offset:200
	buffer_load_dword v229, off, s[0:3], 0 offset:204
	buffer_load_dword v230, off, s[0:3], 0 offset:208
	buffer_load_dword v231, off, s[0:3], 0 offset:212
	buffer_load_dword v232, off, s[0:3], 0 offset:216
	buffer_load_dword v233, off, s[0:3], 0 offset:220
	buffer_load_dword v234, off, s[0:3], 0 offset:224
	buffer_load_dword v235, off, s[0:3], 0 offset:228
	buffer_load_dword v236, off, s[0:3], 0 offset:232
	buffer_load_dword v237, off, s[0:3], 0 offset:236
	buffer_load_dword v238, off, s[0:3], 0 offset:240
	buffer_load_dword v239, off, s[0:3], 0 offset:244
	ds_read_b128 v[18:21], v164 offset:400
	ds_read_b128 v[14:17], v164 offset:416
	;; [unrolled: 1-line block ×5, first 2 shown]
	buffer_load_dword v240, off, s[0:3], 0 offset:248
	buffer_load_dword v241, off, s[0:3], 0 offset:252
	;; [unrolled: 1-line block ×4, first 2 shown]
	v_cmp_lt_u32_e32 vcc, 2, v0
	s_waitcnt vmcnt(59) lgkmcnt(4)
	v_mul_f32_e32 v22, v18, v160
	s_waitcnt vmcnt(58)
	v_mul_f32_e32 v23, v20, v165
	s_waitcnt vmcnt(57) lgkmcnt(3)
	v_mul_f32_e32 v24, v14, v174
	s_waitcnt vmcnt(56)
	v_mul_f32_e32 v25, v16, v176
	s_waitcnt vmcnt(55) lgkmcnt(2)
	v_mul_f32_e32 v26, v10, v190
	s_waitcnt vmcnt(54)
	v_mul_f32_e32 v27, v12, v191
	s_waitcnt vmcnt(53) lgkmcnt(1)
	v_mul_f32_e32 v28, v6, v192
	s_waitcnt vmcnt(52)
	v_mul_f32_e32 v29, v8, v193
	s_waitcnt vmcnt(51)
	v_fmac_f32_e32 v22, v19, v194
	s_waitcnt vmcnt(50)
	v_fmac_f32_e32 v23, v21, v195
	v_add_f32_e32 v22, 0, v22
	s_waitcnt vmcnt(49)
	v_fmac_f32_e32 v24, v15, v196
	v_add_f32_e32 v22, v22, v23
	;; [unrolled: 3-line block ×7, first 2 shown]
	v_add_f32_e32 v26, v22, v29
	ds_read_b128 v[22:25], v164 offset:480
	buffer_load_dword v244, off, s[0:3], 0 offset:264
	buffer_load_dword v245, off, s[0:3], 0 offset:268
	;; [unrolled: 1-line block ×4, first 2 shown]
	s_waitcnt vmcnt(47) lgkmcnt(1)
	v_mul_f32_e32 v27, v2, v202
	s_waitcnt vmcnt(46)
	v_fmac_f32_e32 v27, v3, v203
	v_add_f32_e32 v26, v26, v27
	s_waitcnt vmcnt(45)
	v_mul_f32_e32 v27, v4, v204
	s_waitcnt vmcnt(44)
	v_fmac_f32_e32 v27, v5, v205
	buffer_load_dword v248, off, s[0:3], 0 offset:280
	buffer_load_dword v249, off, s[0:3], 0 offset:284
	;; [unrolled: 1-line block ×4, first 2 shown]
	ds_read_b128 v[34:37], v164 offset:496
	ds_read_b128 v[30:33], v164 offset:512
	v_add_f32_e32 v26, v26, v27
	s_waitcnt vmcnt(47) lgkmcnt(2)
	v_mul_f32_e32 v27, v22, v206
	s_waitcnt vmcnt(44)
	v_fmac_f32_e32 v27, v23, v207
	v_add_f32_e32 v26, v26, v27
	s_waitcnt vmcnt(42)
	v_mul_f32_e32 v27, v24, v209
	v_fmac_f32_e32 v27, v25, v208
	v_add_f32_e32 v26, v26, v27
	s_waitcnt vmcnt(40) lgkmcnt(1)
	v_mul_f32_e32 v27, v34, v211
	v_fmac_f32_e32 v27, v35, v210
	v_add_f32_e32 v26, v26, v27
	s_waitcnt vmcnt(38)
	v_mul_f32_e32 v27, v36, v213
	v_fmac_f32_e32 v27, v37, v212
	ds_read_b128 v[42:45], v164 offset:528
	ds_read_b128 v[38:41], v164 offset:544
	v_add_f32_e32 v26, v26, v27
	s_waitcnt vmcnt(36) lgkmcnt(2)
	v_mul_f32_e32 v27, v30, v215
	v_fmac_f32_e32 v27, v31, v214
	v_add_f32_e32 v26, v26, v27
	s_waitcnt vmcnt(34)
	v_mul_f32_e32 v27, v32, v217
	v_fmac_f32_e32 v27, v33, v216
	v_add_f32_e32 v26, v26, v27
	s_waitcnt vmcnt(32) lgkmcnt(1)
	v_mul_f32_e32 v27, v42, v219
	v_fmac_f32_e32 v27, v43, v218
	v_add_f32_e32 v26, v26, v27
	s_waitcnt vmcnt(30)
	v_mul_f32_e32 v27, v44, v221
	v_fmac_f32_e32 v27, v45, v220
	ds_read_b128 v[50:53], v164 offset:560
	ds_read_b128 v[46:49], v164 offset:576
	v_add_f32_e32 v26, v26, v27
	s_waitcnt vmcnt(28) lgkmcnt(2)
	v_mul_f32_e32 v27, v38, v223
	;; [unrolled: 18-line block ×4, first 2 shown]
	v_fmac_f32_e32 v27, v55, v238
	v_add_f32_e32 v26, v26, v27
	s_waitcnt vmcnt(10)
	v_mul_f32_e32 v27, v56, v241
	v_fmac_f32_e32 v27, v57, v240
	v_add_f32_e32 v26, v26, v27
	s_waitcnt vmcnt(8) lgkmcnt(1)
	v_mul_f32_e32 v27, v166, v243
	v_fmac_f32_e32 v27, v167, v242
	v_add_f32_e32 v26, v26, v27
	v_mul_f32_e32 v19, v19, v160
	v_fma_f32 v18, v18, v194, -v19
	v_mul_f32_e32 v19, v21, v165
	s_waitcnt vmcnt(6)
	v_mul_f32_e32 v27, v168, v245
	v_fmac_f32_e32 v27, v169, v244
	v_add_f32_e32 v26, v26, v27
	s_waitcnt vmcnt(4) lgkmcnt(0)
	v_mul_f32_e32 v27, v62, v247
	v_fmac_f32_e32 v27, v63, v246
	v_add_f32_e32 v161, v26, v27
	ds_read_b128 v[26:29], v164 offset:656
	buffer_load_dword v159, off, s[0:3], 0 offset:308
	buffer_load_dword v158, off, s[0:3], 0 offset:304
	;; [unrolled: 1-line block ×4, first 2 shown]
	ds_read_b128 v[170:173], v164 offset:672
	buffer_load_dword v179, off, s[0:3], 0 offset:340
	buffer_load_dword v178, off, s[0:3], 0 offset:336
	;; [unrolled: 1-line block ×12, first 2 shown]
	v_add_f32_e32 v18, 0, v18
	v_fma_f32 v19, v20, v195, -v19
	v_mul_f32_e32 v15, v15, v174
	v_add_f32_e32 v18, v18, v19
	v_fma_f32 v14, v14, v196, -v15
	v_mul_f32_e32 v15, v17, v176
	;; [unrolled: 3-line block ×8, first 2 shown]
	v_add_f32_e32 v2, v6, v2
	v_fma_f32 v3, v4, v205, -v3
	v_add_f32_e32 v2, v2, v3
	v_mul_f32_e32 v3, v23, v206
	v_fma_f32 v3, v22, v207, -v3
	v_add_f32_e32 v2, v2, v3
	v_mul_f32_e32 v3, v25, v209
	;; [unrolled: 3-line block ×21, first 2 shown]
	v_fma_f32 v3, v62, v246, -v3
	s_waitcnt vmcnt(13)
	v_mov_b32_e32 v14, v163
	v_mul_f32_e32 v175, v64, v249
	v_add_f32_e32 v160, v2, v3
	v_mul_f32_e32 v2, v65, v249
	s_waitcnt lgkmcnt(1)
	v_pk_mul_f32 v[14:15], v[28:29], v[14:15] op_sel_hi:[1,0]
	v_fmac_f32_e32 v175, v65, v248
	v_mul_f32_e32 v177, v26, v251
	v_fma_f32 v174, v64, v248, -v2
	v_mul_f32_e32 v2, v27, v251
	s_waitcnt vmcnt(12)
	v_pk_fma_f32 v[16:17], v[28:29], v[162:163], v[14:15] op_sel:[0,0,1] op_sel_hi:[1,1,0] neg_lo:[0,0,1] neg_hi:[0,0,1]
	v_pk_fma_f32 v[14:15], v[28:29], v[162:163], v[14:15] op_sel:[0,0,1] op_sel_hi:[1,0,0]
	v_fmac_f32_e32 v177, v27, v250
	v_fma_f32 v176, v26, v250, -v2
	v_pk_add_f32 v[12:13], v[160:161], v[174:175]
	v_mov_b32_e32 v14, v159
	v_pk_add_f32 v[12:13], v[12:13], v[176:177]
	v_mov_b32_e32 v17, v15
	s_waitcnt lgkmcnt(0)
	v_pk_mul_f32 v[14:15], v[170:171], v[14:15] op_sel_hi:[1,0]
	v_pk_add_f32 v[12:13], v[12:13], v[16:17]
	v_pk_fma_f32 v[16:17], v[170:171], v[158:159], v[14:15] op_sel:[0,0,1] op_sel_hi:[1,1,0] neg_lo:[0,0,1] neg_hi:[0,0,1]
	v_pk_fma_f32 v[14:15], v[170:171], v[158:159], v[14:15] op_sel:[0,0,1] op_sel_hi:[1,0,0]
	s_waitcnt vmcnt(5)
	v_mov_b32_e32 v14, v185
	ds_read_b128 v[2:5], v164 offset:688
	ds_read_b128 v[6:9], v164 offset:704
	ds_read_b64 v[10:11], v164 offset:720
	v_mov_b32_e32 v17, v15
	v_pk_mul_f32 v[14:15], v[172:173], v[14:15] op_sel_hi:[1,0]
	v_pk_add_f32 v[12:13], v[12:13], v[16:17]
	s_waitcnt vmcnt(4)
	v_pk_fma_f32 v[16:17], v[172:173], v[184:185], v[14:15] op_sel:[0,0,1] op_sel_hi:[1,1,0] neg_lo:[0,0,1] neg_hi:[0,0,1]
	v_pk_fma_f32 v[14:15], v[172:173], v[184:185], v[14:15] op_sel:[0,0,1] op_sel_hi:[1,0,0]
	v_mov_b32_e32 v14, v183
	v_mov_b32_e32 v17, v15
	s_waitcnt lgkmcnt(2)
	v_pk_mul_f32 v[14:15], v[2:3], v[14:15] op_sel_hi:[1,0]
	v_pk_add_f32 v[12:13], v[12:13], v[16:17]
	v_pk_fma_f32 v[16:17], v[2:3], v[182:183], v[14:15] op_sel:[0,0,1] op_sel_hi:[1,1,0] neg_lo:[0,0,1] neg_hi:[0,0,1]
	v_pk_fma_f32 v[2:3], v[2:3], v[182:183], v[14:15] op_sel:[0,0,1] op_sel_hi:[1,0,0]
	v_mov_b32_e32 v17, v3
	v_pk_add_f32 v[2:3], v[12:13], v[16:17]
	v_mov_b32_e32 v12, v181
	v_pk_mul_f32 v[12:13], v[4:5], v[12:13] op_sel_hi:[1,0]
	v_pk_fma_f32 v[14:15], v[4:5], v[180:181], v[12:13] op_sel:[0,0,1] op_sel_hi:[1,1,0] neg_lo:[0,0,1] neg_hi:[0,0,1]
	v_pk_fma_f32 v[4:5], v[4:5], v[180:181], v[12:13] op_sel:[0,0,1] op_sel_hi:[1,0,0]
	v_mov_b32_e32 v4, v179
	v_mov_b32_e32 v15, v5
	s_waitcnt lgkmcnt(1)
	v_pk_mul_f32 v[4:5], v[6:7], v[4:5] op_sel_hi:[1,0]
	v_pk_fma_f32 v[12:13], v[6:7], v[178:179], v[4:5] op_sel:[0,0,1] op_sel_hi:[1,1,0] neg_lo:[0,0,1] neg_hi:[0,0,1]
	v_pk_fma_f32 v[4:5], v[6:7], v[178:179], v[4:5] op_sel:[0,0,1] op_sel_hi:[1,0,0]
	s_waitcnt vmcnt(1)
	v_mov_b32_e32 v4, v189
	v_mov_b32_e32 v13, v5
	v_pk_mul_f32 v[4:5], v[8:9], v[4:5] op_sel_hi:[1,0]
	s_waitcnt vmcnt(0)
	v_pk_fma_f32 v[6:7], v[8:9], v[188:189], v[4:5] op_sel:[0,0,1] op_sel_hi:[1,1,0] neg_lo:[0,0,1] neg_hi:[0,0,1]
	v_pk_fma_f32 v[4:5], v[8:9], v[188:189], v[4:5] op_sel:[0,0,1] op_sel_hi:[1,0,0]
	v_pk_add_f32 v[2:3], v[2:3], v[14:15]
	v_mov_b32_e32 v4, v187
	v_pk_add_f32 v[2:3], v[2:3], v[12:13]
	v_mov_b32_e32 v7, v5
	s_waitcnt lgkmcnt(0)
	v_pk_mul_f32 v[4:5], v[10:11], v[4:5] op_sel_hi:[1,0]
	v_pk_add_f32 v[2:3], v[2:3], v[6:7]
	v_pk_fma_f32 v[6:7], v[10:11], v[186:187], v[4:5] op_sel:[0,0,1] op_sel_hi:[1,1,0] neg_lo:[0,0,1] neg_hi:[0,0,1]
	v_pk_fma_f32 v[4:5], v[10:11], v[186:187], v[4:5] op_sel:[0,0,1] op_sel_hi:[1,0,0]
	v_mov_b32_e32 v7, v5
	v_pk_add_f32 v[2:3], v[2:3], v[6:7]
	v_pk_add_f32 v[2:3], v[156:157], v[2:3] neg_lo:[0,1] neg_hi:[0,1]
	buffer_store_dword v3, off, s[0:3], 0 offset:28
	buffer_store_dword v2, off, s[0:3], 0 offset:24
	s_and_saveexec_b64 s[4:5], vcc
	s_cbranch_execz .LBB108_279
; %bb.278:
	buffer_load_dword v2, off, s[0:3], 0 offset:16
	buffer_load_dword v3, off, s[0:3], 0 offset:20
	s_waitcnt vmcnt(0)
	ds_write_b64 v1, v[2:3]
	buffer_store_dword v164, off, s[0:3], 0 offset:16
	buffer_store_dword v164, off, s[0:3], 0 offset:20
.LBB108_279:
	s_or_b64 exec, exec, s[4:5]
	s_waitcnt lgkmcnt(0)
	; wave barrier
	s_waitcnt lgkmcnt(0)
	buffer_load_dword v165, off, s[0:3], 0 offset:28
	buffer_load_dword v170, off, s[0:3], 0 offset:36
	buffer_load_dword v172, off, s[0:3], 0 offset:44
	buffer_load_dword v174, off, s[0:3], 0 offset:52
	buffer_load_dword v190, off, s[0:3], 0 offset:60
	buffer_load_dword v191, off, s[0:3], 0 offset:68
	buffer_load_dword v192, off, s[0:3], 0 offset:76
	buffer_load_dword v193, off, s[0:3], 0 offset:84
	buffer_load_dword v194, off, s[0:3], 0 offset:24
	buffer_load_dword v195, off, s[0:3], 0 offset:32
	buffer_load_dword v196, off, s[0:3], 0 offset:40
	buffer_load_dword v197, off, s[0:3], 0 offset:48
	buffer_load_dword v198, off, s[0:3], 0 offset:56
	buffer_load_dword v199, off, s[0:3], 0 offset:64
	buffer_load_dword v200, off, s[0:3], 0 offset:72
	buffer_load_dword v201, off, s[0:3], 0 offset:80
	buffer_load_dword v202, off, s[0:3], 0 offset:92
	buffer_load_dword v203, off, s[0:3], 0 offset:88
	buffer_load_dword v204, off, s[0:3], 0 offset:100
	buffer_load_dword v205, off, s[0:3], 0 offset:96
	buffer_load_dword v206, off, s[0:3], 0 offset:108
	buffer_load_dword v26, off, s[0:3], 0 offset:16
	buffer_load_dword v27, off, s[0:3], 0 offset:20
	buffer_load_dword v207, off, s[0:3], 0 offset:104
	ds_read2_b64 v[22:25], v164 offset0:49 offset1:50
	ds_read2_b64 v[18:21], v164 offset0:51 offset1:52
	;; [unrolled: 1-line block ×4, first 2 shown]
	buffer_load_dword v208, off, s[0:3], 0 offset:112
	buffer_load_dword v209, off, s[0:3], 0 offset:116
	ds_read2_b64 v[10:13], v164 offset0:57 offset1:58
	ds_read2_b64 v[2:5], v164 offset0:59 offset1:60
	buffer_load_dword v210, off, s[0:3], 0 offset:120
	buffer_load_dword v211, off, s[0:3], 0 offset:124
	;; [unrolled: 1-line block ×44, first 2 shown]
	v_cmp_lt_u32_e32 vcc, 1, v0
	ds_read2_b64 v[156:159], v164 offset0:79 offset1:80
	s_waitcnt vmcnt(62) lgkmcnt(6)
	v_mul_f32_e32 v28, v22, v165
	v_mul_f32_e32 v29, v24, v170
	s_waitcnt lgkmcnt(5)
	v_mul_f32_e32 v30, v18, v172
	v_mul_f32_e32 v31, v20, v174
	s_waitcnt lgkmcnt(4)
	;; [unrolled: 3-line block ×3, first 2 shown]
	v_mul_f32_e32 v34, v6, v192
	v_mul_f32_e32 v35, v8, v193
	s_waitcnt vmcnt(61)
	v_fmac_f32_e32 v28, v23, v194
	s_waitcnt vmcnt(60)
	v_fmac_f32_e32 v29, v25, v195
	v_add_f32_e32 v28, 0, v28
	s_waitcnt vmcnt(59)
	v_fmac_f32_e32 v30, v19, v196
	v_add_f32_e32 v28, v28, v29
	;; [unrolled: 3-line block ×7, first 2 shown]
	s_waitcnt vmcnt(53) lgkmcnt(2)
	v_mul_f32_e32 v29, v10, v202
	v_add_f32_e32 v28, v28, v35
	s_waitcnt vmcnt(52)
	v_fmac_f32_e32 v29, v11, v203
	v_add_f32_e32 v28, v28, v29
	s_waitcnt vmcnt(51)
	v_mul_f32_e32 v29, v12, v204
	s_waitcnt vmcnt(50)
	v_fmac_f32_e32 v29, v13, v205
	v_add_f32_e32 v28, v28, v29
	s_waitcnt vmcnt(49) lgkmcnt(1)
	v_mul_f32_e32 v29, v2, v206
	s_waitcnt vmcnt(46)
	v_fmac_f32_e32 v29, v3, v207
	v_add_f32_e32 v32, v28, v29
	ds_read2_b64 v[28:31], v164 offset0:61 offset1:62
	s_waitcnt vmcnt(44)
	v_mul_f32_e32 v33, v4, v209
	v_fmac_f32_e32 v33, v5, v208
	v_add_f32_e32 v36, v32, v33
	ds_read2_b64 v[32:35], v164 offset0:63 offset1:64
	s_waitcnt vmcnt(42) lgkmcnt(1)
	v_mul_f32_e32 v37, v28, v211
	v_fmac_f32_e32 v37, v29, v210
	v_add_f32_e32 v36, v36, v37
	s_waitcnt vmcnt(40)
	v_mul_f32_e32 v37, v30, v213
	v_fmac_f32_e32 v37, v31, v212
	v_add_f32_e32 v36, v36, v37
	s_waitcnt vmcnt(38) lgkmcnt(0)
	v_mul_f32_e32 v37, v32, v215
	v_fmac_f32_e32 v37, v33, v214
	v_add_f32_e32 v40, v36, v37
	ds_read2_b64 v[36:39], v164 offset0:65 offset1:66
	s_waitcnt vmcnt(36)
	v_mul_f32_e32 v41, v34, v217
	v_fmac_f32_e32 v41, v35, v216
	v_add_f32_e32 v44, v40, v41
	ds_read2_b64 v[40:43], v164 offset0:67 offset1:68
	s_waitcnt vmcnt(34) lgkmcnt(1)
	v_mul_f32_e32 v45, v36, v219
	v_fmac_f32_e32 v45, v37, v218
	v_add_f32_e32 v44, v44, v45
	s_waitcnt vmcnt(32)
	v_mul_f32_e32 v45, v38, v221
	v_fmac_f32_e32 v45, v39, v220
	v_add_f32_e32 v44, v44, v45
	s_waitcnt vmcnt(30) lgkmcnt(0)
	v_mul_f32_e32 v45, v40, v223
	;; [unrolled: 18-line block ×4, first 2 shown]
	v_fmac_f32_e32 v61, v57, v238
	v_add_f32_e32 v64, v60, v61
	ds_read2_b64 v[60:63], v164 offset0:77 offset1:78
	s_waitcnt vmcnt(12)
	v_mul_f32_e32 v65, v58, v241
	v_fmac_f32_e32 v65, v59, v240
	v_add_f32_e32 v64, v64, v65
	s_waitcnt vmcnt(4)
	v_mul_f32_e32 v167, v158, v249
	s_waitcnt lgkmcnt(0)
	v_mul_f32_e32 v65, v60, v243
	v_fmac_f32_e32 v65, v61, v242
	v_add_f32_e32 v64, v64, v65
	v_mul_f32_e32 v65, v62, v245
	v_fmac_f32_e32 v65, v63, v244
	v_add_f32_e32 v64, v64, v65
	;; [unrolled: 3-line block ×3, first 2 shown]
	buffer_load_dword v65, off, s[0:3], 0 offset:300
	buffer_load_dword v64, off, s[0:3], 0 offset:296
	v_fmac_f32_e32 v167, v159, v248
	ds_read2_b64 v[160:163], v164 offset0:81 offset1:82
	v_add_f32_e32 v171, v166, v167
	ds_read2_b64 v[166:169], v164 offset0:83 offset1:84
	buffer_load_dword v177, off, s[0:3], 0 offset:332
	buffer_load_dword v176, off, s[0:3], 0 offset:328
	;; [unrolled: 1-line block ×14, first 2 shown]
	v_mul_f32_e32 v23, v23, v165
	v_fma_f32 v22, v22, v194, -v23
	v_mul_f32_e32 v23, v25, v170
	v_add_f32_e32 v22, 0, v22
	v_fma_f32 v23, v24, v195, -v23
	v_mul_f32_e32 v19, v19, v172
	v_add_f32_e32 v22, v22, v23
	;; [unrolled: 3-line block ×7, first 2 shown]
	v_fma_f32 v7, v8, v201, -v7
	v_add_f32_e32 v6, v6, v7
	v_mul_f32_e32 v7, v11, v202
	v_fma_f32 v7, v10, v203, -v7
	v_add_f32_e32 v6, v6, v7
	v_mul_f32_e32 v7, v13, v204
	v_fma_f32 v7, v12, v205, -v7
	v_mul_f32_e32 v3, v3, v206
	v_add_f32_e32 v6, v6, v7
	v_fma_f32 v2, v2, v207, -v3
	v_mul_f32_e32 v3, v5, v209
	v_add_f32_e32 v2, v6, v2
	v_fma_f32 v3, v4, v208, -v3
	v_add_f32_e32 v2, v2, v3
	v_mul_f32_e32 v3, v29, v211
	v_fma_f32 v3, v28, v210, -v3
	v_add_f32_e32 v2, v2, v3
	v_mul_f32_e32 v3, v31, v213
	;; [unrolled: 3-line block ×20, first 2 shown]
	v_fma_f32 v3, v158, v248, -v3
	s_waitcnt vmcnt(15)
	v_mov_b32_e32 v16, v65
	s_waitcnt lgkmcnt(1)
	v_mul_f32_e32 v173, v160, v251
	v_add_f32_e32 v170, v2, v3
	v_mul_f32_e32 v2, v161, v251
	s_waitcnt lgkmcnt(0)
	v_pk_mul_f32 v[16:17], v[166:167], v[16:17] op_sel_hi:[1,0]
	v_fmac_f32_e32 v173, v161, v250
	v_mul_f32_e32 v175, v162, v253
	v_fma_f32 v172, v160, v250, -v2
	v_mul_f32_e32 v2, v163, v253
	s_waitcnt vmcnt(14)
	v_pk_fma_f32 v[18:19], v[166:167], v[64:65], v[16:17] op_sel:[0,0,1] op_sel_hi:[1,1,0] neg_lo:[0,0,1] neg_hi:[0,0,1]
	v_pk_fma_f32 v[16:17], v[166:167], v[64:65], v[16:17] op_sel:[0,0,1] op_sel_hi:[1,0,0]
	v_fmac_f32_e32 v175, v163, v252
	v_fma_f32 v174, v162, v252, -v2
	v_pk_add_f32 v[14:15], v[170:171], v[172:173]
	s_waitcnt vmcnt(7)
	v_mov_b32_e32 v16, v183
	ds_read2_b64 v[2:5], v164 offset0:85 offset1:86
	ds_read2_b64 v[6:9], v164 offset0:87 offset1:88
	;; [unrolled: 1-line block ×3, first 2 shown]
	v_pk_add_f32 v[14:15], v[14:15], v[174:175]
	v_mov_b32_e32 v19, v17
	v_pk_mul_f32 v[16:17], v[168:169], v[16:17] op_sel_hi:[1,0]
	v_pk_add_f32 v[14:15], v[14:15], v[18:19]
	s_waitcnt vmcnt(6)
	v_pk_fma_f32 v[18:19], v[168:169], v[182:183], v[16:17] op_sel:[0,0,1] op_sel_hi:[1,1,0] neg_lo:[0,0,1] neg_hi:[0,0,1]
	v_pk_fma_f32 v[16:17], v[168:169], v[182:183], v[16:17] op_sel:[0,0,1] op_sel_hi:[1,0,0]
	v_mov_b32_e32 v16, v181
	v_mov_b32_e32 v19, v17
	s_waitcnt lgkmcnt(2)
	v_pk_mul_f32 v[16:17], v[2:3], v[16:17] op_sel_hi:[1,0]
	v_pk_add_f32 v[14:15], v[14:15], v[18:19]
	v_pk_fma_f32 v[18:19], v[2:3], v[180:181], v[16:17] op_sel:[0,0,1] op_sel_hi:[1,1,0] neg_lo:[0,0,1] neg_hi:[0,0,1]
	v_pk_fma_f32 v[2:3], v[2:3], v[180:181], v[16:17] op_sel:[0,0,1] op_sel_hi:[1,0,0]
	v_mov_b32_e32 v19, v3
	v_pk_add_f32 v[2:3], v[14:15], v[18:19]
	v_mov_b32_e32 v14, v179
	v_pk_mul_f32 v[14:15], v[4:5], v[14:15] op_sel_hi:[1,0]
	v_pk_fma_f32 v[16:17], v[4:5], v[178:179], v[14:15] op_sel:[0,0,1] op_sel_hi:[1,1,0] neg_lo:[0,0,1] neg_hi:[0,0,1]
	v_pk_fma_f32 v[4:5], v[4:5], v[178:179], v[14:15] op_sel:[0,0,1] op_sel_hi:[1,0,0]
	v_mov_b32_e32 v4, v177
	v_mov_b32_e32 v17, v5
	s_waitcnt lgkmcnt(1)
	v_pk_mul_f32 v[4:5], v[6:7], v[4:5] op_sel_hi:[1,0]
	v_pk_fma_f32 v[14:15], v[6:7], v[176:177], v[4:5] op_sel:[0,0,1] op_sel_hi:[1,1,0] neg_lo:[0,0,1] neg_hi:[0,0,1]
	v_pk_fma_f32 v[4:5], v[6:7], v[176:177], v[4:5] op_sel:[0,0,1] op_sel_hi:[1,0,0]
	s_waitcnt vmcnt(1)
	v_mov_b32_e32 v4, v189
	v_mov_b32_e32 v15, v5
	v_pk_mul_f32 v[4:5], v[8:9], v[4:5] op_sel_hi:[1,0]
	s_waitcnt vmcnt(0)
	v_pk_fma_f32 v[6:7], v[8:9], v[188:189], v[4:5] op_sel:[0,0,1] op_sel_hi:[1,1,0] neg_lo:[0,0,1] neg_hi:[0,0,1]
	v_pk_fma_f32 v[4:5], v[8:9], v[188:189], v[4:5] op_sel:[0,0,1] op_sel_hi:[1,0,0]
	v_pk_add_f32 v[2:3], v[2:3], v[16:17]
	v_mov_b32_e32 v4, v187
	v_pk_add_f32 v[2:3], v[2:3], v[14:15]
	v_mov_b32_e32 v7, v5
	s_waitcnt lgkmcnt(0)
	v_pk_mul_f32 v[4:5], v[10:11], v[4:5] op_sel_hi:[1,0]
	v_pk_add_f32 v[2:3], v[2:3], v[6:7]
	v_pk_fma_f32 v[6:7], v[10:11], v[186:187], v[4:5] op_sel:[0,0,1] op_sel_hi:[1,1,0] neg_lo:[0,0,1] neg_hi:[0,0,1]
	v_pk_fma_f32 v[4:5], v[10:11], v[186:187], v[4:5] op_sel:[0,0,1] op_sel_hi:[1,0,0]
	v_mov_b32_e32 v4, v185
	v_mov_b32_e32 v7, v5
	v_pk_mul_f32 v[4:5], v[12:13], v[4:5] op_sel_hi:[1,0]
	v_pk_add_f32 v[2:3], v[2:3], v[6:7]
	v_pk_fma_f32 v[6:7], v[12:13], v[184:185], v[4:5] op_sel:[0,0,1] op_sel_hi:[1,1,0] neg_lo:[0,0,1] neg_hi:[0,0,1]
	v_pk_fma_f32 v[4:5], v[12:13], v[184:185], v[4:5] op_sel:[0,0,1] op_sel_hi:[1,0,0]
	v_mov_b32_e32 v7, v5
	v_pk_add_f32 v[2:3], v[2:3], v[6:7]
	v_pk_add_f32 v[2:3], v[26:27], v[2:3] neg_lo:[0,1] neg_hi:[0,1]
	buffer_store_dword v3, off, s[0:3], 0 offset:20
	buffer_store_dword v2, off, s[0:3], 0 offset:16
	s_and_saveexec_b64 s[4:5], vcc
	s_cbranch_execz .LBB108_281
; %bb.280:
	buffer_load_dword v2, off, s[0:3], 0 offset:8
	buffer_load_dword v3, off, s[0:3], 0 offset:12
	v_mov_b32_e32 v4, 0
	buffer_store_dword v4, off, s[0:3], 0 offset:8
	buffer_store_dword v4, off, s[0:3], 0 offset:12
	s_waitcnt vmcnt(2)
	ds_write_b64 v1, v[2:3]
.LBB108_281:
	s_or_b64 exec, exec, s[4:5]
	s_waitcnt lgkmcnt(0)
	; wave barrier
	s_waitcnt lgkmcnt(0)
	buffer_load_dword v24, off, s[0:3], 0 offset:20
	buffer_load_dword v27, off, s[0:3], 0 offset:28
	;; [unrolled: 1-line block ×56, first 2 shown]
	v_mov_b32_e32 v26, 0
	ds_read_b128 v[4:7], v26 offset:384
	ds_read_b128 v[8:11], v26 offset:400
	;; [unrolled: 1-line block ×6, first 2 shown]
	buffer_load_dword v240, off, s[0:3], 0 offset:232
	buffer_load_dword v241, off, s[0:3], 0 offset:236
	;; [unrolled: 1-line block ×16, first 2 shown]
	ds_read_b128 v[156:159], v26 offset:608
	ds_read_b128 v[160:163], v26 offset:624
	;; [unrolled: 1-line block ×4, first 2 shown]
	v_cmp_ne_u32_e32 vcc, 0, v0
	s_waitcnt vmcnt(62) lgkmcnt(9)
	v_mul_f32_e32 v25, v4, v24
	v_mul_f32_e32 v32, v6, v27
	s_waitcnt lgkmcnt(8)
	v_mul_f32_e32 v34, v10, v64
	s_waitcnt lgkmcnt(7)
	v_mul_f32_e32 v35, v12, v172
	v_mul_f32_e32 v36, v14, v190
	;; [unrolled: 1-line block ×3, first 2 shown]
	s_waitcnt lgkmcnt(6)
	v_mul_f32_e32 v37, v16, v192
	v_mul_f32_e32 v38, v18, v193
	s_waitcnt lgkmcnt(5)
	v_mul_f32_e32 v39, v20, v194
	v_fmac_f32_e32 v33, v9, v195
	s_waitcnt vmcnt(61)
	v_fmac_f32_e32 v32, v7, v196
	s_waitcnt vmcnt(60)
	v_fmac_f32_e32 v25, v5, v197
	v_add_f32_e32 v25, 0, v25
	v_add_f32_e32 v25, v25, v32
	;; [unrolled: 1-line block ×3, first 2 shown]
	s_waitcnt vmcnt(56)
	v_fmac_f32_e32 v34, v11, v201
	v_fmac_f32_e32 v35, v13, v200
	v_add_f32_e32 v25, v25, v34
	v_fmac_f32_e32 v36, v15, v199
	v_add_f32_e32 v25, v25, v35
	;; [unrolled: 2-line block ×3, first 2 shown]
	s_waitcnt vmcnt(52)
	v_fmac_f32_e32 v38, v19, v205
	v_add_f32_e32 v25, v25, v37
	v_add_f32_e32 v25, v25, v38
	v_fmac_f32_e32 v39, v21, v204
	s_waitcnt vmcnt(51)
	v_mul_f32_e32 v32, v22, v206
	v_add_f32_e32 v25, v25, v39
	v_fmac_f32_e32 v32, v23, v203
	v_add_f32_e32 v25, v25, v32
	s_waitcnt vmcnt(50) lgkmcnt(4)
	v_mul_f32_e32 v32, v28, v207
	v_fmac_f32_e32 v32, v29, v202
	v_add_f32_e32 v25, v25, v32
	ds_read_b128 v[32:35], v26 offset:480
	s_waitcnt vmcnt(46)
	v_mul_f32_e32 v36, v30, v209
	v_fmac_f32_e32 v36, v31, v208
	v_add_f32_e32 v25, v25, v36
	ds_read_b128 v[36:39], v26 offset:496
	s_waitcnt vmcnt(44) lgkmcnt(1)
	v_mul_f32_e32 v40, v32, v211
	v_fmac_f32_e32 v40, v33, v210
	v_add_f32_e32 v25, v25, v40
	s_waitcnt vmcnt(42)
	v_mul_f32_e32 v40, v34, v213
	v_fmac_f32_e32 v40, v35, v212
	v_add_f32_e32 v25, v25, v40
	s_waitcnt vmcnt(40) lgkmcnt(0)
	v_mul_f32_e32 v40, v36, v215
	v_fmac_f32_e32 v40, v37, v214
	v_add_f32_e32 v25, v25, v40
	ds_read_b128 v[40:43], v26 offset:512
	s_waitcnt vmcnt(38)
	v_mul_f32_e32 v44, v38, v217
	v_fmac_f32_e32 v44, v39, v216
	v_add_f32_e32 v25, v25, v44
	ds_read_b128 v[44:47], v26 offset:528
	s_waitcnt vmcnt(36) lgkmcnt(1)
	v_mul_f32_e32 v48, v40, v219
	v_fmac_f32_e32 v48, v41, v218
	v_add_f32_e32 v25, v25, v48
	s_waitcnt vmcnt(34)
	v_mul_f32_e32 v48, v42, v221
	;; [unrolled: 18-line block ×3, first 2 shown]
	v_fmac_f32_e32 v56, v51, v228
	v_add_f32_e32 v25, v25, v56
	s_waitcnt vmcnt(24) lgkmcnt(0)
	v_mul_f32_e32 v56, v52, v231
	v_fmac_f32_e32 v56, v53, v230
	s_waitcnt vmcnt(22)
	v_mul_f32_e32 v60, v54, v233
	v_add_f32_e32 v25, v25, v56
	v_fmac_f32_e32 v60, v55, v232
	ds_read_b128 v[56:59], v26 offset:576
	v_add_f32_e32 v25, v25, v60
	ds_read_b128 v[60:63], v26 offset:592
	buffer_load_dword v175, off, s[0:3], 0 offset:324
	buffer_load_dword v174, off, s[0:3], 0 offset:320
	;; [unrolled: 1-line block ×16, first 2 shown]
	v_mul_f32_e32 v5, v5, v24
	v_fma_f32 v4, v4, v197, -v5
	v_mul_f32_e32 v5, v7, v27
	v_add_f32_e32 v4, 0, v4
	v_fma_f32 v5, v6, v196, -v5
	v_add_f32_e32 v4, v4, v5
	v_mul_f32_e32 v5, v9, v191
	v_fma_f32 v5, v8, v195, -v5
	v_add_f32_e32 v4, v4, v5
	v_mul_f32_e32 v5, v11, v64
	;; [unrolled: 3-line block ×22, first 2 shown]
	v_fma_f32 v5, v54, v232, -v5
	v_add_f32_e32 v4, v4, v5
	s_waitcnt vmcnt(36) lgkmcnt(1)
	v_mul_f32_e32 v5, v57, v235
	v_mul_f32_e32 v65, v56, v235
	v_fma_f32 v5, v56, v234, -v5
	v_fmac_f32_e32 v65, v57, v234
	v_add_f32_e32 v4, v4, v5
	s_waitcnt vmcnt(34)
	v_mul_f32_e32 v5, v59, v237
	v_add_f32_e32 v25, v25, v65
	v_mul_f32_e32 v65, v58, v237
	v_fma_f32 v5, v58, v236, -v5
	v_fmac_f32_e32 v65, v59, v236
	v_add_f32_e32 v4, v4, v5
	s_waitcnt vmcnt(32) lgkmcnt(0)
	v_mul_f32_e32 v5, v61, v239
	v_add_f32_e32 v25, v25, v65
	v_mul_f32_e32 v65, v60, v239
	v_fma_f32 v5, v60, v238, -v5
	v_fmac_f32_e32 v65, v61, v238
	v_add_f32_e32 v4, v4, v5
	s_waitcnt vmcnt(30)
	v_mul_f32_e32 v5, v63, v241
	v_add_f32_e32 v25, v25, v65
	v_mul_f32_e32 v65, v62, v241
	v_fma_f32 v5, v62, v240, -v5
	v_fmac_f32_e32 v65, v63, v240
	v_add_f32_e32 v4, v4, v5
	s_waitcnt vmcnt(28)
	;; [unrolled: 7-line block ×7, first 2 shown]
	v_mul_f32_e32 v4, v167, v253
	s_waitcnt vmcnt(9)
	v_mov_b32_e32 v20, v181
	v_add_f32_e32 v25, v25, v65
	v_mul_f32_e32 v65, v166, v253
	v_fma_f32 v64, v166, v252, -v4
	v_mul_f32_e32 v4, v169, v255
	v_pk_mul_f32 v[20:21], v[170:171], v[20:21] op_sel_hi:[1,0]
	v_fmac_f32_e32 v65, v167, v252
	v_mul_f32_e32 v173, v168, v255
	v_fma_f32 v172, v168, v254, -v4
	ds_read_b128 v[4:7], v26 offset:672
	ds_read_b128 v[8:11], v26 offset:688
	;; [unrolled: 1-line block ×3, first 2 shown]
	ds_read_b64 v[16:17], v26 offset:720
	s_waitcnt vmcnt(8)
	v_pk_fma_f32 v[22:23], v[170:171], v[180:181], v[20:21] op_sel:[0,0,1] op_sel_hi:[1,1,0] neg_lo:[0,0,1] neg_hi:[0,0,1]
	v_pk_fma_f32 v[20:21], v[170:171], v[180:181], v[20:21] op_sel:[0,0,1] op_sel_hi:[1,0,0]
	v_fmac_f32_e32 v173, v169, v254
	v_pk_add_f32 v[18:19], v[24:25], v[64:65]
	v_mov_b32_e32 v20, v179
	v_pk_add_f32 v[18:19], v[18:19], v[172:173]
	v_mov_b32_e32 v23, v21
	s_waitcnt lgkmcnt(3)
	v_pk_mul_f32 v[20:21], v[4:5], v[20:21] op_sel_hi:[1,0]
	v_pk_add_f32 v[18:19], v[18:19], v[22:23]
	v_pk_fma_f32 v[22:23], v[4:5], v[178:179], v[20:21] op_sel:[0,0,1] op_sel_hi:[1,1,0] neg_lo:[0,0,1] neg_hi:[0,0,1]
	v_pk_fma_f32 v[4:5], v[4:5], v[178:179], v[20:21] op_sel:[0,0,1] op_sel_hi:[1,0,0]
	v_mov_b32_e32 v23, v5
	v_pk_add_f32 v[4:5], v[18:19], v[22:23]
	v_mov_b32_e32 v18, v177
	v_pk_mul_f32 v[18:19], v[6:7], v[18:19] op_sel_hi:[1,0]
	v_pk_fma_f32 v[20:21], v[6:7], v[176:177], v[18:19] op_sel:[0,0,1] op_sel_hi:[1,1,0] neg_lo:[0,0,1] neg_hi:[0,0,1]
	v_pk_fma_f32 v[6:7], v[6:7], v[176:177], v[18:19] op_sel:[0,0,1] op_sel_hi:[1,0,0]
	v_mov_b32_e32 v6, v175
	v_mov_b32_e32 v21, v7
	s_waitcnt lgkmcnt(2)
	v_pk_mul_f32 v[6:7], v[8:9], v[6:7] op_sel_hi:[1,0]
	v_pk_fma_f32 v[18:19], v[8:9], v[174:175], v[6:7] op_sel:[0,0,1] op_sel_hi:[1,1,0] neg_lo:[0,0,1] neg_hi:[0,0,1]
	v_pk_fma_f32 v[6:7], v[8:9], v[174:175], v[6:7] op_sel:[0,0,1] op_sel_hi:[1,0,0]
	s_waitcnt vmcnt(1)
	v_mov_b32_e32 v6, v189
	v_mov_b32_e32 v19, v7
	v_pk_mul_f32 v[6:7], v[10:11], v[6:7] op_sel_hi:[1,0]
	s_waitcnt vmcnt(0)
	v_pk_fma_f32 v[8:9], v[10:11], v[188:189], v[6:7] op_sel:[0,0,1] op_sel_hi:[1,1,0] neg_lo:[0,0,1] neg_hi:[0,0,1]
	v_pk_fma_f32 v[6:7], v[10:11], v[188:189], v[6:7] op_sel:[0,0,1] op_sel_hi:[1,0,0]
	v_pk_add_f32 v[4:5], v[4:5], v[20:21]
	v_mov_b32_e32 v6, v187
	v_pk_add_f32 v[4:5], v[4:5], v[18:19]
	v_mov_b32_e32 v9, v7
	s_waitcnt lgkmcnt(1)
	v_pk_mul_f32 v[6:7], v[12:13], v[6:7] op_sel_hi:[1,0]
	v_pk_add_f32 v[4:5], v[4:5], v[8:9]
	v_pk_fma_f32 v[8:9], v[12:13], v[186:187], v[6:7] op_sel:[0,0,1] op_sel_hi:[1,1,0] neg_lo:[0,0,1] neg_hi:[0,0,1]
	v_pk_fma_f32 v[6:7], v[12:13], v[186:187], v[6:7] op_sel:[0,0,1] op_sel_hi:[1,0,0]
	v_mov_b32_e32 v6, v185
	v_mov_b32_e32 v9, v7
	v_pk_mul_f32 v[6:7], v[14:15], v[6:7] op_sel_hi:[1,0]
	v_pk_add_f32 v[4:5], v[4:5], v[8:9]
	v_pk_fma_f32 v[8:9], v[14:15], v[184:185], v[6:7] op_sel:[0,0,1] op_sel_hi:[1,1,0] neg_lo:[0,0,1] neg_hi:[0,0,1]
	v_pk_fma_f32 v[6:7], v[14:15], v[184:185], v[6:7] op_sel:[0,0,1] op_sel_hi:[1,0,0]
	v_mov_b32_e32 v6, v183
	v_mov_b32_e32 v9, v7
	s_waitcnt lgkmcnt(0)
	v_pk_mul_f32 v[6:7], v[16:17], v[6:7] op_sel_hi:[1,0]
	v_pk_add_f32 v[4:5], v[4:5], v[8:9]
	v_pk_fma_f32 v[8:9], v[16:17], v[182:183], v[6:7] op_sel:[0,0,1] op_sel_hi:[1,1,0] neg_lo:[0,0,1] neg_hi:[0,0,1]
	v_pk_fma_f32 v[6:7], v[16:17], v[182:183], v[6:7] op_sel:[0,0,1] op_sel_hi:[1,0,0]
	v_mov_b32_e32 v9, v7
	v_pk_add_f32 v[4:5], v[4:5], v[8:9]
	v_pk_add_f32 v[2:3], v[2:3], v[4:5] neg_lo:[0,1] neg_hi:[0,1]
	buffer_store_dword v3, off, s[0:3], 0 offset:12
	buffer_store_dword v2, off, s[0:3], 0 offset:8
	s_and_saveexec_b64 s[4:5], vcc
	s_cbranch_execz .LBB108_283
; %bb.282:
	buffer_load_dword v2, off, s[0:3], 0
	buffer_load_dword v3, off, s[0:3], 0 offset:4
	s_waitcnt vmcnt(0)
	ds_write_b64 v1, v[2:3]
	buffer_store_dword v26, off, s[0:3], 0
	buffer_store_dword v26, off, s[0:3], 0 offset:4
.LBB108_283:
	s_or_b64 exec, exec, s[4:5]
	s_waitcnt lgkmcnt(0)
	; wave barrier
	s_waitcnt lgkmcnt(0)
	buffer_load_dword v27, off, s[0:3], 0 offset:12
	buffer_load_dword v64, off, s[0:3], 0 offset:20
	;; [unrolled: 1-line block ×22, first 2 shown]
	buffer_load_dword v24, off, s[0:3], 0
	buffer_load_dword v25, off, s[0:3], 0 offset:4
	buffer_load_dword v206, off, s[0:3], 0 offset:96
	;; [unrolled: 1-line block ×3, first 2 shown]
	ds_read2_b64 v[20:23], v26 offset0:47 offset1:48
	ds_read2_b64 v[16:19], v26 offset0:49 offset1:50
	;; [unrolled: 1-line block ×6, first 2 shown]
	buffer_load_dword v208, off, s[0:3], 0 offset:104
	buffer_load_dword v209, off, s[0:3], 0 offset:108
	;; [unrolled: 1-line block ×42, first 2 shown]
	s_and_b64 vcc, exec, s[16:17]
	s_waitcnt vmcnt(62) lgkmcnt(5)
	v_mul_f32_e32 v28, v20, v27
	v_mul_f32_e32 v29, v22, v64
	s_waitcnt lgkmcnt(4)
	v_mul_f32_e32 v31, v18, v168
	s_waitcnt lgkmcnt(3)
	v_mul_f32_e32 v32, v12, v176
	v_mul_f32_e32 v33, v14, v188
	;; [unrolled: 1-line block ×3, first 2 shown]
	s_waitcnt vmcnt(61) lgkmcnt(2)
	v_mul_f32_e32 v34, v8, v190
	s_waitcnt vmcnt(60)
	v_mul_f32_e32 v35, v10, v191
	s_waitcnt vmcnt(59) lgkmcnt(1)
	v_mul_f32_e32 v36, v4, v192
	s_waitcnt vmcnt(58)
	v_fmac_f32_e32 v30, v17, v193
	s_waitcnt vmcnt(57)
	v_fmac_f32_e32 v29, v23, v194
	;; [unrolled: 2-line block ×3, first 2 shown]
	v_add_f32_e32 v28, 0, v28
	v_add_f32_e32 v28, v28, v29
	;; [unrolled: 1-line block ×3, first 2 shown]
	s_waitcnt vmcnt(52)
	v_fmac_f32_e32 v31, v19, v199
	v_fmac_f32_e32 v32, v13, v198
	v_add_f32_e32 v28, v28, v31
	v_fmac_f32_e32 v33, v15, v197
	v_add_f32_e32 v28, v28, v32
	;; [unrolled: 2-line block ×3, first 2 shown]
	s_waitcnt vmcnt(48)
	v_fmac_f32_e32 v35, v11, v203
	v_add_f32_e32 v28, v28, v34
	v_fmac_f32_e32 v36, v5, v202
	v_add_f32_e32 v28, v28, v35
	s_waitcnt vmcnt(47)
	v_mul_f32_e32 v29, v6, v204
	v_add_f32_e32 v28, v28, v36
	v_fmac_f32_e32 v29, v7, v201
	v_add_f32_e32 v28, v28, v29
	s_waitcnt vmcnt(46) lgkmcnt(0)
	v_mul_f32_e32 v29, v0, v205
	v_fmac_f32_e32 v29, v1, v200
	v_add_f32_e32 v32, v28, v29
	ds_read2_b64 v[28:31], v26 offset0:59 offset1:60
	s_waitcnt vmcnt(42)
	v_mul_f32_e32 v33, v2, v207
	v_fmac_f32_e32 v33, v3, v206
	buffer_load_dword v250, off, s[0:3], 0 offset:272
	buffer_load_dword v251, off, s[0:3], 0 offset:276
	v_add_f32_e32 v36, v32, v33
	buffer_load_dword v252, off, s[0:3], 0 offset:280
	buffer_load_dword v253, off, s[0:3], 0 offset:284
	ds_read2_b64 v[32:35], v26 offset0:61 offset1:62
	s_waitcnt vmcnt(44) lgkmcnt(1)
	v_mul_f32_e32 v37, v28, v209
	v_fmac_f32_e32 v37, v29, v208
	v_add_f32_e32 v36, v36, v37
	s_waitcnt vmcnt(42)
	v_mul_f32_e32 v37, v30, v211
	v_fmac_f32_e32 v37, v31, v210
	v_add_f32_e32 v36, v36, v37
	s_waitcnt vmcnt(40) lgkmcnt(0)
	v_mul_f32_e32 v37, v32, v213
	v_fmac_f32_e32 v37, v33, v212
	buffer_load_dword v254, off, s[0:3], 0 offset:288
	buffer_load_dword v255, off, s[0:3], 0 offset:292
	v_add_f32_e32 v40, v36, v37
	ds_read2_b64 v[36:39], v26 offset0:63 offset1:64
	s_waitcnt vmcnt(40)
	v_mul_f32_e32 v41, v34, v215
	v_fmac_f32_e32 v41, v35, v214
	v_add_f32_e32 v44, v40, v41
	ds_read2_b64 v[40:43], v26 offset0:65 offset1:66
	s_waitcnt vmcnt(38) lgkmcnt(1)
	v_mul_f32_e32 v45, v36, v217
	v_fmac_f32_e32 v45, v37, v216
	v_add_f32_e32 v44, v44, v45
	s_waitcnt vmcnt(36)
	v_mul_f32_e32 v45, v38, v219
	v_fmac_f32_e32 v45, v39, v218
	v_add_f32_e32 v44, v44, v45
	s_waitcnt vmcnt(34) lgkmcnt(0)
	v_mul_f32_e32 v45, v40, v221
	v_fmac_f32_e32 v45, v41, v220
	v_add_f32_e32 v48, v44, v45
	ds_read2_b64 v[44:47], v26 offset0:67 offset1:68
	s_waitcnt vmcnt(32)
	v_mul_f32_e32 v49, v42, v223
	v_fmac_f32_e32 v49, v43, v222
	v_add_f32_e32 v52, v48, v49
	ds_read2_b64 v[48:51], v26 offset0:69 offset1:70
	s_waitcnt vmcnt(30) lgkmcnt(1)
	v_mul_f32_e32 v53, v44, v225
	v_fmac_f32_e32 v53, v45, v224
	v_add_f32_e32 v52, v52, v53
	s_waitcnt vmcnt(28)
	v_mul_f32_e32 v53, v46, v227
	v_fmac_f32_e32 v53, v47, v226
	v_add_f32_e32 v52, v52, v53
	s_waitcnt vmcnt(26) lgkmcnt(0)
	v_mul_f32_e32 v53, v48, v229
	v_fmac_f32_e32 v53, v49, v228
	;; [unrolled: 18-line block ×4, first 2 shown]
	s_waitcnt vmcnt(8)
	v_mul_f32_e32 v164, v158, v247
	v_add_f32_e32 v65, v65, v160
	v_fmac_f32_e32 v164, v159, v246
	ds_read2_b64 v[160:163], v26 offset0:79 offset1:80
	v_add_f32_e32 v65, v65, v164
	ds_read2_b64 v[164:167], v26 offset0:81 offset1:82
	buffer_load_dword v171, off, s[0:3], 0 offset:316
	buffer_load_dword v170, off, s[0:3], 0 offset:312
	buffer_load_dword v173, off, s[0:3], 0 offset:308
	buffer_load_dword v172, off, s[0:3], 0 offset:304
	buffer_load_dword v175, off, s[0:3], 0 offset:300
	buffer_load_dword v174, off, s[0:3], 0 offset:296
	buffer_load_dword v179, off, s[0:3], 0 offset:348
	buffer_load_dword v178, off, s[0:3], 0 offset:344
	buffer_load_dword v181, off, s[0:3], 0 offset:340
	buffer_load_dword v180, off, s[0:3], 0 offset:336
	buffer_load_dword v183, off, s[0:3], 0 offset:332
	buffer_load_dword v182, off, s[0:3], 0 offset:328
	buffer_load_dword v185, off, s[0:3], 0 offset:324
	buffer_load_dword v184, off, s[0:3], 0 offset:320
	buffer_load_dword v187, off, s[0:3], 0 offset:356
	buffer_load_dword v186, off, s[0:3], 0 offset:352
	v_mul_f32_e32 v21, v21, v27
	v_fma_f32 v20, v20, v195, -v21
	v_mul_f32_e32 v21, v23, v64
	v_add_f32_e32 v20, 0, v20
	v_fma_f32 v21, v22, v194, -v21
	v_mul_f32_e32 v17, v17, v189
	v_add_f32_e32 v20, v20, v21
	v_fma_f32 v16, v16, v193, -v17
	v_mul_f32_e32 v17, v19, v168
	v_add_f32_e32 v16, v20, v16
	v_fma_f32 v17, v18, v199, -v17
	v_mul_f32_e32 v13, v13, v176
	v_add_f32_e32 v16, v16, v17
	v_fma_f32 v12, v12, v198, -v13
	v_mul_f32_e32 v13, v15, v188
	v_add_f32_e32 v12, v16, v12
	v_fma_f32 v13, v14, v197, -v13
	v_mul_f32_e32 v9, v9, v190
	v_add_f32_e32 v12, v12, v13
	v_fma_f32 v8, v8, v196, -v9
	v_mul_f32_e32 v9, v11, v191
	v_add_f32_e32 v8, v12, v8
	v_fma_f32 v9, v10, v203, -v9
	v_mul_f32_e32 v5, v5, v192
	v_add_f32_e32 v8, v8, v9
	v_fma_f32 v4, v4, v202, -v5
	v_mul_f32_e32 v5, v7, v204
	v_add_f32_e32 v4, v8, v4
	v_fma_f32 v5, v6, v201, -v5
	v_mul_f32_e32 v1, v1, v205
	v_add_f32_e32 v4, v4, v5
	v_fma_f32 v0, v0, v200, -v1
	v_mul_f32_e32 v1, v3, v207
	v_add_f32_e32 v0, v4, v0
	v_fma_f32 v1, v2, v206, -v1
	v_add_f32_e32 v0, v0, v1
	v_mul_f32_e32 v1, v29, v209
	v_fma_f32 v1, v28, v208, -v1
	v_add_f32_e32 v0, v0, v1
	v_mul_f32_e32 v1, v31, v211
	;; [unrolled: 3-line block ×20, first 2 shown]
	v_fma_f32 v1, v158, v246, -v1
	v_add_f32_e32 v0, v0, v1
	s_waitcnt vmcnt(22) lgkmcnt(1)
	v_mul_f32_e32 v1, v161, v249
	v_fma_f32 v1, v160, v248, -v1
	v_add_f32_e32 v0, v0, v1
	s_waitcnt vmcnt(20)
	v_mul_f32_e32 v1, v163, v251
	v_mul_f32_e32 v169, v160, v249
	v_fma_f32 v1, v162, v250, -v1
	v_fmac_f32_e32 v169, v161, v248
	v_add_f32_e32 v64, v0, v1
	s_waitcnt vmcnt(18) lgkmcnt(0)
	v_mul_f32_e32 v0, v165, v253
	v_add_f32_e32 v65, v65, v169
	v_mul_f32_e32 v169, v162, v251
	v_fma_f32 v168, v164, v252, -v0
	s_waitcnt vmcnt(16)
	v_mul_f32_e32 v0, v167, v255
	v_fmac_f32_e32 v169, v163, v250
	v_fma_f32 v176, v166, v254, -v0
	ds_read2_b64 v[0:3], v26 offset0:83 offset1:84
	ds_read2_b64 v[4:7], v26 offset0:85 offset1:86
	;; [unrolled: 1-line block ×4, first 2 shown]
	v_add_f32_e32 v65, v65, v169
	v_mul_f32_e32 v169, v164, v253
	s_waitcnt vmcnt(11)
	v_mov_b32_e32 v18, v175
	v_fmac_f32_e32 v169, v165, v252
	v_mul_f32_e32 v177, v166, v255
	s_waitcnt lgkmcnt(3)
	v_pk_mul_f32 v[18:19], v[0:1], v[18:19] op_sel_hi:[1,0]
	v_fmac_f32_e32 v177, v167, v254
	v_pk_add_f32 v[16:17], v[64:65], v[168:169]
	s_waitcnt vmcnt(10)
	v_pk_fma_f32 v[20:21], v[0:1], v[174:175], v[18:19] op_sel:[0,0,1] op_sel_hi:[1,1,0] neg_lo:[0,0,1] neg_hi:[0,0,1]
	v_pk_fma_f32 v[0:1], v[0:1], v[174:175], v[18:19] op_sel:[0,0,1] op_sel_hi:[1,0,0]
	v_pk_add_f32 v[16:17], v[16:17], v[176:177]
	v_mov_b32_e32 v21, v1
	v_pk_add_f32 v[0:1], v[16:17], v[20:21]
	v_mov_b32_e32 v16, v173
	v_pk_mul_f32 v[16:17], v[2:3], v[16:17] op_sel_hi:[1,0]
	v_pk_fma_f32 v[18:19], v[2:3], v[172:173], v[16:17] op_sel:[0,0,1] op_sel_hi:[1,1,0] neg_lo:[0,0,1] neg_hi:[0,0,1]
	v_pk_fma_f32 v[2:3], v[2:3], v[172:173], v[16:17] op_sel:[0,0,1] op_sel_hi:[1,0,0]
	v_mov_b32_e32 v2, v171
	v_mov_b32_e32 v19, v3
	s_waitcnt lgkmcnt(2)
	v_pk_mul_f32 v[2:3], v[4:5], v[2:3] op_sel_hi:[1,0]
	v_pk_fma_f32 v[16:17], v[4:5], v[170:171], v[2:3] op_sel:[0,0,1] op_sel_hi:[1,1,0] neg_lo:[0,0,1] neg_hi:[0,0,1]
	v_pk_fma_f32 v[2:3], v[4:5], v[170:171], v[2:3] op_sel:[0,0,1] op_sel_hi:[1,0,0]
	s_waitcnt vmcnt(3)
	v_mov_b32_e32 v2, v185
	v_mov_b32_e32 v17, v3
	v_pk_mul_f32 v[2:3], v[6:7], v[2:3] op_sel_hi:[1,0]
	s_waitcnt vmcnt(2)
	v_pk_fma_f32 v[4:5], v[6:7], v[184:185], v[2:3] op_sel:[0,0,1] op_sel_hi:[1,1,0] neg_lo:[0,0,1] neg_hi:[0,0,1]
	v_pk_fma_f32 v[2:3], v[6:7], v[184:185], v[2:3] op_sel:[0,0,1] op_sel_hi:[1,0,0]
	v_pk_add_f32 v[0:1], v[0:1], v[18:19]
	v_mov_b32_e32 v2, v183
	v_pk_add_f32 v[0:1], v[0:1], v[16:17]
	v_mov_b32_e32 v5, v3
	s_waitcnt lgkmcnt(1)
	v_pk_mul_f32 v[2:3], v[8:9], v[2:3] op_sel_hi:[1,0]
	v_pk_add_f32 v[0:1], v[0:1], v[4:5]
	v_pk_fma_f32 v[4:5], v[8:9], v[182:183], v[2:3] op_sel:[0,0,1] op_sel_hi:[1,1,0] neg_lo:[0,0,1] neg_hi:[0,0,1]
	v_pk_fma_f32 v[2:3], v[8:9], v[182:183], v[2:3] op_sel:[0,0,1] op_sel_hi:[1,0,0]
	v_mov_b32_e32 v2, v181
	v_mov_b32_e32 v5, v3
	v_pk_mul_f32 v[2:3], v[10:11], v[2:3] op_sel_hi:[1,0]
	v_pk_add_f32 v[0:1], v[0:1], v[4:5]
	v_pk_fma_f32 v[4:5], v[10:11], v[180:181], v[2:3] op_sel:[0,0,1] op_sel_hi:[1,1,0] neg_lo:[0,0,1] neg_hi:[0,0,1]
	v_pk_fma_f32 v[2:3], v[10:11], v[180:181], v[2:3] op_sel:[0,0,1] op_sel_hi:[1,0,0]
	v_mov_b32_e32 v2, v179
	v_mov_b32_e32 v5, v3
	s_waitcnt lgkmcnt(0)
	v_pk_mul_f32 v[2:3], v[12:13], v[2:3] op_sel_hi:[1,0]
	v_pk_add_f32 v[0:1], v[0:1], v[4:5]
	v_pk_fma_f32 v[4:5], v[12:13], v[178:179], v[2:3] op_sel:[0,0,1] op_sel_hi:[1,1,0] neg_lo:[0,0,1] neg_hi:[0,0,1]
	v_pk_fma_f32 v[2:3], v[12:13], v[178:179], v[2:3] op_sel:[0,0,1] op_sel_hi:[1,0,0]
	s_waitcnt vmcnt(1)
	v_mov_b32_e32 v2, v187
	v_mov_b32_e32 v5, v3
	v_pk_mul_f32 v[2:3], v[14:15], v[2:3] op_sel_hi:[1,0]
	v_pk_add_f32 v[0:1], v[0:1], v[4:5]
	s_waitcnt vmcnt(0)
	v_pk_fma_f32 v[4:5], v[14:15], v[186:187], v[2:3] op_sel:[0,0,1] op_sel_hi:[1,1,0] neg_lo:[0,0,1] neg_hi:[0,0,1]
	v_pk_fma_f32 v[2:3], v[14:15], v[186:187], v[2:3] op_sel:[0,0,1] op_sel_hi:[1,0,0]
	v_mov_b32_e32 v5, v3
	v_pk_add_f32 v[0:1], v[0:1], v[4:5]
	v_pk_add_f32 v[0:1], v[24:25], v[0:1] neg_lo:[0,1] neg_hi:[0,1]
	buffer_store_dword v1, off, s[0:3], 0 offset:4
	buffer_store_dword v0, off, s[0:3], 0
	s_cbranch_vccz .LBB108_373
; %bb.284:
	v_pk_mov_b32 v[0:1], s[10:11], s[10:11] op_sel:[0,1]
	flat_load_dword v0, v[0:1] offset:172
	s_waitcnt vmcnt(0) lgkmcnt(0)
	v_add_u32_e32 v0, -1, v0
	v_cmp_ne_u32_e32 vcc, 43, v0
	s_and_saveexec_b64 s[4:5], vcc
	s_cbranch_execz .LBB108_286
; %bb.285:
	v_mov_b32_e32 v1, 0
	v_lshl_add_u32 v0, v0, 3, v1
	buffer_load_dword v1, v0, s[0:3], 0 offen
	buffer_load_dword v2, v0, s[0:3], 0 offen offset:4
	buffer_load_dword v3, off, s[0:3], 0 offset:344
	buffer_load_dword v4, off, s[0:3], 0 offset:348
	s_waitcnt vmcnt(3)
	buffer_store_dword v1, off, s[0:3], 0 offset:344
	s_waitcnt vmcnt(3)
	buffer_store_dword v2, off, s[0:3], 0 offset:348
	s_waitcnt vmcnt(3)
	buffer_store_dword v3, v0, s[0:3], 0 offen
	s_waitcnt vmcnt(3)
	buffer_store_dword v4, v0, s[0:3], 0 offen offset:4
.LBB108_286:
	s_or_b64 exec, exec, s[4:5]
	v_pk_mov_b32 v[0:1], s[10:11], s[10:11] op_sel:[0,1]
	flat_load_dword v0, v[0:1] offset:168
	s_waitcnt vmcnt(0) lgkmcnt(0)
	v_add_u32_e32 v0, -1, v0
	v_cmp_ne_u32_e32 vcc, 42, v0
	s_and_saveexec_b64 s[4:5], vcc
	s_cbranch_execz .LBB108_288
; %bb.287:
	v_mov_b32_e32 v1, 0
	v_lshl_add_u32 v0, v0, 3, v1
	buffer_load_dword v1, v0, s[0:3], 0 offen
	buffer_load_dword v2, v0, s[0:3], 0 offen offset:4
	buffer_load_dword v3, off, s[0:3], 0 offset:340
	buffer_load_dword v4, off, s[0:3], 0 offset:336
	s_waitcnt vmcnt(3)
	buffer_store_dword v1, off, s[0:3], 0 offset:336
	s_waitcnt vmcnt(3)
	buffer_store_dword v2, off, s[0:3], 0 offset:340
	s_waitcnt vmcnt(3)
	buffer_store_dword v3, v0, s[0:3], 0 offen offset:4
	s_waitcnt vmcnt(3)
	buffer_store_dword v4, v0, s[0:3], 0 offen
.LBB108_288:
	s_or_b64 exec, exec, s[4:5]
	v_pk_mov_b32 v[0:1], s[10:11], s[10:11] op_sel:[0,1]
	flat_load_dword v0, v[0:1] offset:164
	s_waitcnt vmcnt(0) lgkmcnt(0)
	v_add_u32_e32 v0, -1, v0
	v_cmp_ne_u32_e32 vcc, 41, v0
	s_and_saveexec_b64 s[4:5], vcc
	s_cbranch_execz .LBB108_290
; %bb.289:
	v_mov_b32_e32 v1, 0
	v_lshl_add_u32 v0, v0, 3, v1
	buffer_load_dword v1, v0, s[0:3], 0 offen
	buffer_load_dword v2, v0, s[0:3], 0 offen offset:4
	buffer_load_dword v3, off, s[0:3], 0 offset:328
	buffer_load_dword v4, off, s[0:3], 0 offset:332
	s_waitcnt vmcnt(3)
	buffer_store_dword v1, off, s[0:3], 0 offset:328
	s_waitcnt vmcnt(3)
	buffer_store_dword v2, off, s[0:3], 0 offset:332
	s_waitcnt vmcnt(3)
	buffer_store_dword v3, v0, s[0:3], 0 offen
	s_waitcnt vmcnt(3)
	buffer_store_dword v4, v0, s[0:3], 0 offen offset:4
.LBB108_290:
	s_or_b64 exec, exec, s[4:5]
	v_pk_mov_b32 v[0:1], s[10:11], s[10:11] op_sel:[0,1]
	flat_load_dword v0, v[0:1] offset:160
	s_waitcnt vmcnt(0) lgkmcnt(0)
	v_add_u32_e32 v0, -1, v0
	v_cmp_ne_u32_e32 vcc, 40, v0
	s_and_saveexec_b64 s[4:5], vcc
	s_cbranch_execz .LBB108_292
; %bb.291:
	v_mov_b32_e32 v1, 0
	v_lshl_add_u32 v0, v0, 3, v1
	buffer_load_dword v1, v0, s[0:3], 0 offen
	buffer_load_dword v2, v0, s[0:3], 0 offen offset:4
	buffer_load_dword v3, off, s[0:3], 0 offset:324
	buffer_load_dword v4, off, s[0:3], 0 offset:320
	s_waitcnt vmcnt(3)
	buffer_store_dword v1, off, s[0:3], 0 offset:320
	s_waitcnt vmcnt(3)
	buffer_store_dword v2, off, s[0:3], 0 offset:324
	s_waitcnt vmcnt(3)
	buffer_store_dword v3, v0, s[0:3], 0 offen offset:4
	s_waitcnt vmcnt(3)
	buffer_store_dword v4, v0, s[0:3], 0 offen
.LBB108_292:
	s_or_b64 exec, exec, s[4:5]
	;; [unrolled: 48-line block ×21, first 2 shown]
	v_pk_mov_b32 v[0:1], s[10:11], s[10:11] op_sel:[0,1]
	flat_load_dword v0, v[0:1] offset:4
	s_waitcnt vmcnt(0) lgkmcnt(0)
	v_add_u32_e32 v0, -1, v0
	v_cmp_ne_u32_e32 vcc, 1, v0
	s_and_saveexec_b64 s[4:5], vcc
	s_cbranch_execz .LBB108_370
; %bb.369:
	v_mov_b32_e32 v1, 0
	v_lshl_add_u32 v0, v0, 3, v1
	buffer_load_dword v1, v0, s[0:3], 0 offen
	buffer_load_dword v2, v0, s[0:3], 0 offen offset:4
	buffer_load_dword v3, off, s[0:3], 0 offset:8
	buffer_load_dword v4, off, s[0:3], 0 offset:12
	s_waitcnt vmcnt(3)
	buffer_store_dword v1, off, s[0:3], 0 offset:8
	s_waitcnt vmcnt(3)
	buffer_store_dword v2, off, s[0:3], 0 offset:12
	s_waitcnt vmcnt(3)
	buffer_store_dword v3, v0, s[0:3], 0 offen
	s_waitcnt vmcnt(3)
	buffer_store_dword v4, v0, s[0:3], 0 offen offset:4
.LBB108_370:
	s_or_b64 exec, exec, s[4:5]
	v_pk_mov_b32 v[0:1], s[10:11], s[10:11] op_sel:[0,1]
	flat_load_dword v2, v[0:1]
	s_nop 0
	buffer_load_dword v0, off, s[0:3], 0
	buffer_load_dword v1, off, s[0:3], 0 offset:4
	s_waitcnt vmcnt(0) lgkmcnt(0)
	v_add_u32_e32 v2, -1, v2
	v_cmp_ne_u32_e32 vcc, 0, v2
	s_and_saveexec_b64 s[4:5], vcc
	s_cbranch_execz .LBB108_372
; %bb.371:
	v_mov_b32_e32 v3, 0
	v_lshl_add_u32 v2, v2, 3, v3
	buffer_load_dword v3, v2, s[0:3], 0 offen offset:4
	buffer_load_dword v4, v2, s[0:3], 0 offen
	s_waitcnt vmcnt(1)
	buffer_store_dword v3, off, s[0:3], 0 offset:4
	s_waitcnt vmcnt(1)
	buffer_store_dword v4, off, s[0:3], 0
	buffer_store_dword v1, v2, s[0:3], 0 offen offset:4
	buffer_store_dword v0, v2, s[0:3], 0 offen
	buffer_load_dword v0, off, s[0:3], 0
	s_nop 0
	buffer_load_dword v1, off, s[0:3], 0 offset:4
.LBB108_372:
	s_or_b64 exec, exec, s[4:5]
.LBB108_373:
	buffer_load_dword v2, off, s[0:3], 0 offset:8
	buffer_load_dword v3, off, s[0:3], 0 offset:12
	;; [unrolled: 1-line block ×88, first 2 shown]
	s_waitcnt vmcnt(62)
	global_store_dwordx2 v[144:145], v[0:1], off
	global_store_dwordx2 v[146:147], v[2:3], off
	;; [unrolled: 1-line block ×14, first 2 shown]
	s_waitcnt vmcnt(62)
	global_store_dwordx2 v[90:91], v[28:29], off
	global_store_dwordx2 v[92:93], v[30:31], off
	;; [unrolled: 1-line block ×7, first 2 shown]
	s_waitcnt vmcnt(62)
	global_store_dwordx2 v[104:105], v[42:43], off
	global_store_dwordx2 v[106:107], v[44:45], off
	;; [unrolled: 1-line block ×3, first 2 shown]
	s_waitcnt vmcnt(62)
	global_store_dwordx2 v[110:111], v[48:49], off
	global_store_dwordx2 v[112:113], v[50:51], off
	s_waitcnt vmcnt(62)
	global_store_dwordx2 v[114:115], v[52:53], off
	s_waitcnt vmcnt(61)
	;; [unrolled: 2-line block ×19, first 2 shown]
	global_store_dwordx2 v[154:155], v[178:179], off
	s_endpgm
	.section	.rodata,"a",@progbits
	.p2align	6, 0x0
	.amdhsa_kernel _ZN9rocsolver6v33100L18getri_kernel_smallILi45E19rocblas_complex_numIfEPKPS3_EEvT1_iilPiilS8_bb
		.amdhsa_group_segment_fixed_size 728
		.amdhsa_private_segment_fixed_size 368
		.amdhsa_kernarg_size 60
		.amdhsa_user_sgpr_count 8
		.amdhsa_user_sgpr_private_segment_buffer 1
		.amdhsa_user_sgpr_dispatch_ptr 0
		.amdhsa_user_sgpr_queue_ptr 0
		.amdhsa_user_sgpr_kernarg_segment_ptr 1
		.amdhsa_user_sgpr_dispatch_id 0
		.amdhsa_user_sgpr_flat_scratch_init 1
		.amdhsa_user_sgpr_kernarg_preload_length 0
		.amdhsa_user_sgpr_kernarg_preload_offset 0
		.amdhsa_user_sgpr_private_segment_size 0
		.amdhsa_uses_dynamic_stack 0
		.amdhsa_system_sgpr_private_segment_wavefront_offset 1
		.amdhsa_system_sgpr_workgroup_id_x 1
		.amdhsa_system_sgpr_workgroup_id_y 0
		.amdhsa_system_sgpr_workgroup_id_z 0
		.amdhsa_system_sgpr_workgroup_info 0
		.amdhsa_system_vgpr_workitem_id 0
		.amdhsa_next_free_vgpr 256
		.amdhsa_next_free_sgpr 22
		.amdhsa_accum_offset 256
		.amdhsa_reserve_vcc 1
		.amdhsa_reserve_flat_scratch 1
		.amdhsa_float_round_mode_32 0
		.amdhsa_float_round_mode_16_64 0
		.amdhsa_float_denorm_mode_32 3
		.amdhsa_float_denorm_mode_16_64 3
		.amdhsa_dx10_clamp 1
		.amdhsa_ieee_mode 1
		.amdhsa_fp16_overflow 0
		.amdhsa_tg_split 0
		.amdhsa_exception_fp_ieee_invalid_op 0
		.amdhsa_exception_fp_denorm_src 0
		.amdhsa_exception_fp_ieee_div_zero 0
		.amdhsa_exception_fp_ieee_overflow 0
		.amdhsa_exception_fp_ieee_underflow 0
		.amdhsa_exception_fp_ieee_inexact 0
		.amdhsa_exception_int_div_zero 0
	.end_amdhsa_kernel
	.section	.text._ZN9rocsolver6v33100L18getri_kernel_smallILi45E19rocblas_complex_numIfEPKPS3_EEvT1_iilPiilS8_bb,"axG",@progbits,_ZN9rocsolver6v33100L18getri_kernel_smallILi45E19rocblas_complex_numIfEPKPS3_EEvT1_iilPiilS8_bb,comdat
.Lfunc_end108:
	.size	_ZN9rocsolver6v33100L18getri_kernel_smallILi45E19rocblas_complex_numIfEPKPS3_EEvT1_iilPiilS8_bb, .Lfunc_end108-_ZN9rocsolver6v33100L18getri_kernel_smallILi45E19rocblas_complex_numIfEPKPS3_EEvT1_iilPiilS8_bb
                                        ; -- End function
	.section	.AMDGPU.csdata,"",@progbits
; Kernel info:
; codeLenInByte = 82656
; NumSgprs: 28
; NumVgprs: 256
; NumAgprs: 0
; TotalNumVgprs: 256
; ScratchSize: 368
; MemoryBound: 0
; FloatMode: 240
; IeeeMode: 1
; LDSByteSize: 728 bytes/workgroup (compile time only)
; SGPRBlocks: 3
; VGPRBlocks: 31
; NumSGPRsForWavesPerEU: 28
; NumVGPRsForWavesPerEU: 256
; AccumOffset: 256
; Occupancy: 2
; WaveLimiterHint : 1
; COMPUTE_PGM_RSRC2:SCRATCH_EN: 1
; COMPUTE_PGM_RSRC2:USER_SGPR: 8
; COMPUTE_PGM_RSRC2:TRAP_HANDLER: 0
; COMPUTE_PGM_RSRC2:TGID_X_EN: 1
; COMPUTE_PGM_RSRC2:TGID_Y_EN: 0
; COMPUTE_PGM_RSRC2:TGID_Z_EN: 0
; COMPUTE_PGM_RSRC2:TIDIG_COMP_CNT: 0
; COMPUTE_PGM_RSRC3_GFX90A:ACCUM_OFFSET: 63
; COMPUTE_PGM_RSRC3_GFX90A:TG_SPLIT: 0
	.section	.text._ZN9rocsolver6v33100L18getri_kernel_smallILi46E19rocblas_complex_numIfEPKPS3_EEvT1_iilPiilS8_bb,"axG",@progbits,_ZN9rocsolver6v33100L18getri_kernel_smallILi46E19rocblas_complex_numIfEPKPS3_EEvT1_iilPiilS8_bb,comdat
	.globl	_ZN9rocsolver6v33100L18getri_kernel_smallILi46E19rocblas_complex_numIfEPKPS3_EEvT1_iilPiilS8_bb ; -- Begin function _ZN9rocsolver6v33100L18getri_kernel_smallILi46E19rocblas_complex_numIfEPKPS3_EEvT1_iilPiilS8_bb
	.p2align	8
	.type	_ZN9rocsolver6v33100L18getri_kernel_smallILi46E19rocblas_complex_numIfEPKPS3_EEvT1_iilPiilS8_bb,@function
_ZN9rocsolver6v33100L18getri_kernel_smallILi46E19rocblas_complex_numIfEPKPS3_EEvT1_iilPiilS8_bb: ; @_ZN9rocsolver6v33100L18getri_kernel_smallILi46E19rocblas_complex_numIfEPKPS3_EEvT1_iilPiilS8_bb
; %bb.0:
	s_add_u32 flat_scratch_lo, s6, s9
	s_addc_u32 flat_scratch_hi, s7, 0
	s_add_u32 s0, s0, s9
	s_addc_u32 s1, s1, 0
	v_cmp_gt_u32_e32 vcc, 46, v0
	s_and_saveexec_b64 s[6:7], vcc
	s_cbranch_execz .LBB109_198
; %bb.1:
	s_load_dword s20, s[4:5], 0x38
	s_load_dwordx2 s[6:7], s[4:5], 0x0
	s_load_dwordx4 s[12:15], s[4:5], 0x28
	s_waitcnt lgkmcnt(0)
	s_bitcmp1_b32 s20, 8
	s_cselect_b64 s[16:17], -1, 0
	s_ashr_i32 s9, s8, 31
	s_lshl_b64 s[10:11], s[8:9], 3
	s_add_u32 s6, s6, s10
	s_addc_u32 s7, s7, s11
	s_load_dwordx2 s[18:19], s[6:7], 0x0
	s_bfe_u32 s6, s20, 0x10008
	s_cmp_eq_u32 s6, 0
                                        ; implicit-def: $sgpr10_sgpr11
	s_cbranch_scc1 .LBB109_3
; %bb.2:
	s_load_dword s6, s[4:5], 0x20
	s_load_dwordx2 s[10:11], s[4:5], 0x18
	s_mul_i32 s7, s8, s13
	s_mul_hi_u32 s13, s8, s12
	s_add_i32 s13, s13, s7
	s_mul_i32 s21, s9, s12
	s_add_i32 s13, s13, s21
	s_mul_i32 s12, s8, s12
	s_waitcnt lgkmcnt(0)
	s_ashr_i32 s7, s6, 31
	s_lshl_b64 s[12:13], s[12:13], 2
	s_add_u32 s10, s10, s12
	s_addc_u32 s11, s11, s13
	s_lshl_b64 s[6:7], s[6:7], 2
	s_add_u32 s10, s10, s6
	s_addc_u32 s11, s11, s7
.LBB109_3:
	s_load_dwordx2 s[6:7], s[4:5], 0x8
	v_lshlrev_b32_e32 v6, 3, v0
	s_waitcnt lgkmcnt(0)
	s_ashr_i32 s5, s6, 31
	s_mov_b32 s4, s6
	s_lshl_b64 s[4:5], s[4:5], 3
	s_add_u32 s4, s18, s4
	s_addc_u32 s5, s19, s5
	s_add_i32 s6, s7, s7
	v_add_u32_e32 v2, s6, v0
	v_ashrrev_i32_e32 v3, 31, v2
	v_lshlrev_b64 v[4:5], 3, v[2:3]
	v_add_u32_e32 v2, s7, v2
	v_mov_b32_e32 v1, s5
	v_add_co_u32_e32 v10, vcc, s4, v4
	v_ashrrev_i32_e32 v3, 31, v2
	v_addc_co_u32_e32 v11, vcc, v1, v5, vcc
	v_lshlrev_b64 v[4:5], 3, v[2:3]
	v_add_u32_e32 v2, s7, v2
	v_add_co_u32_e32 v14, vcc, s4, v4
	v_ashrrev_i32_e32 v3, 31, v2
	v_addc_co_u32_e32 v15, vcc, v1, v5, vcc
	v_lshlrev_b64 v[4:5], 3, v[2:3]
	v_add_u32_e32 v2, s7, v2
	;; [unrolled: 5-line block ×37, first 2 shown]
	v_add_co_u32_e32 v150, vcc, s4, v4
	v_ashrrev_i32_e32 v3, 31, v2
	v_addc_co_u32_e32 v151, vcc, v1, v5, vcc
	v_lshlrev_b64 v[4:5], 3, v[2:3]
	v_add_co_u32_e32 v152, vcc, s4, v4
	v_addc_co_u32_e32 v153, vcc, v1, v5, vcc
	global_load_dwordx2 v[4:5], v6, s[4:5]
	v_add_co_u32_e32 v156, vcc, s4, v6
	s_ashr_i32 s13, s7, 31
	s_mov_b32 s12, s7
	v_addc_co_u32_e32 v157, vcc, 0, v1, vcc
	s_lshl_b64 s[12:13], s[12:13], 3
	v_mov_b32_e32 v1, s13
	v_add_co_u32_e32 v160, vcc, s12, v156
	v_addc_co_u32_e32 v161, vcc, v157, v1, vcc
	v_add_u32_e32 v2, s7, v2
	global_load_dwordx2 v[8:9], v[160:161], off
	v_ashrrev_i32_e32 v3, 31, v2
	v_lshlrev_b64 v[12:13], 3, v[2:3]
	v_add_u32_e32 v2, s7, v2
	v_mov_b32_e32 v1, s5
	v_accvgpr_write_b32 a0, v10
	v_accvgpr_write_b32 a2, v14
	v_add_co_u32_e32 v154, vcc, s4, v12
	v_accvgpr_write_b32 a4, v16
	v_ashrrev_i32_e32 v3, 31, v2
	v_accvgpr_write_b32 a6, v18
	v_accvgpr_write_b32 a1, v11
	global_load_dwordx2 v[10:11], v[10:11], off
	v_accvgpr_write_b32 a3, v15
	global_load_dwordx2 v[14:15], v[14:15], off
	v_addc_co_u32_e32 v155, vcc, v1, v13, vcc
	global_load_dwordx2 v[12:13], v[16:17], off
	v_accvgpr_write_b32 a5, v17
	v_accvgpr_write_b32 a7, v19
	global_load_dwordx2 v[16:17], v[18:19], off
	v_lshlrev_b64 v[18:19], 3, v[2:3]
	v_add_u32_e32 v2, s7, v2
	v_add_co_u32_e32 v158, vcc, s4, v18
	v_ashrrev_i32_e32 v3, 31, v2
	v_addc_co_u32_e32 v159, vcc, v1, v19, vcc
	v_lshlrev_b64 v[34:35], 3, v[2:3]
	v_add_u32_e32 v2, s7, v2
	v_add_co_u32_e32 v162, vcc, s4, v34
	v_ashrrev_i32_e32 v3, 31, v2
	v_addc_co_u32_e32 v163, vcc, v1, v35, vcc
	;; [unrolled: 5-line block ×3, first 2 shown]
	v_lshlrev_b64 v[2:3], 3, v[2:3]
	v_add_co_u32_e32 v166, vcc, s4, v2
	global_load_dwordx2 v[20:21], v[84:85], off
	global_load_dwordx2 v[22:23], v[86:87], off
	;; [unrolled: 1-line block ×28, first 2 shown]
	v_addc_co_u32_e32 v167, vcc, v1, v3, vcc
	global_load_dwordx2 v[2:3], v[140:141], off
	global_load_dwordx2 v[74:75], v[166:167], off
	;; [unrolled: 1-line block ×8, first 2 shown]
	s_bitcmp0_b32 s20, 0
	s_waitcnt vmcnt(41)
	buffer_store_dword v5, off, s[0:3], 0 offset:4
	buffer_store_dword v4, off, s[0:3], 0
	global_load_dwordx2 v[4:5], v[146:147], off
	s_mov_b64 s[6:7], -1
	s_waitcnt vmcnt(43)
	buffer_store_dword v9, off, s[0:3], 0 offset:12
	buffer_store_dword v8, off, s[0:3], 0 offset:8
	global_load_dwordx2 v[8:9], v[150:151], off
	s_waitcnt vmcnt(45)
	buffer_store_dword v11, off, s[0:3], 0 offset:20
	buffer_store_dword v10, off, s[0:3], 0 offset:16
	global_load_dwordx2 v[10:11], v[154:155], off
	;; [unrolled: 4-line block ×3, first 2 shown]
	s_waitcnt vmcnt(49)
	buffer_store_dword v13, off, s[0:3], 0 offset:36
	buffer_store_dword v12, off, s[0:3], 0 offset:32
	s_waitcnt vmcnt(50)
	buffer_store_dword v17, off, s[0:3], 0 offset:44
	buffer_store_dword v16, off, s[0:3], 0 offset:40
	;; [unrolled: 3-line block ×15, first 2 shown]
	buffer_store_dword v45, off, s[0:3], 0 offset:156
	buffer_store_dword v44, off, s[0:3], 0 offset:152
	s_waitcnt vmcnt(62)
	buffer_store_dword v47, off, s[0:3], 0 offset:164
	buffer_store_dword v46, off, s[0:3], 0 offset:160
	;; [unrolled: 1-line block ×8, first 2 shown]
	s_waitcnt vmcnt(62)
	buffer_store_dword v56, off, s[0:3], 0 offset:192
	buffer_store_dword v57, off, s[0:3], 0 offset:196
	;; [unrolled: 1-line block ×16, first 2 shown]
	s_waitcnt vmcnt(62)
	buffer_store_dword v71, off, s[0:3], 0 offset:260
	buffer_store_dword v70, off, s[0:3], 0 offset:256
	buffer_store_dword v72, off, s[0:3], 0 offset:264
	buffer_store_dword v73, off, s[0:3], 0 offset:268
	buffer_store_dword v2, off, s[0:3], 0 offset:272
	buffer_store_dword v3, off, s[0:3], 0 offset:276
	buffer_store_dword v168, off, s[0:3], 0 offset:280
	buffer_store_dword v169, off, s[0:3], 0 offset:284
	buffer_store_dword v170, off, s[0:3], 0 offset:288
	buffer_store_dword v171, off, s[0:3], 0 offset:292
	buffer_store_dword v5, off, s[0:3], 0 offset:300
	buffer_store_dword v4, off, s[0:3], 0 offset:296
	buffer_store_dword v173, off, s[0:3], 0 offset:308
	buffer_store_dword v172, off, s[0:3], 0 offset:304
	buffer_store_dword v8, off, s[0:3], 0 offset:312
	buffer_store_dword v9, off, s[0:3], 0 offset:316
	buffer_store_dword v174, off, s[0:3], 0 offset:320
	buffer_store_dword v175, off, s[0:3], 0 offset:324
	s_waitcnt vmcnt(62)
	buffer_store_dword v10, off, s[0:3], 0 offset:328
	buffer_store_dword v11, off, s[0:3], 0 offset:332
	;; [unrolled: 1-line block ×10, first 2 shown]
	s_cbranch_scc1 .LBB109_196
; %bb.4:
	v_cmp_eq_u32_e64 s[4:5], 0, v0
	s_and_saveexec_b64 s[6:7], s[4:5]
	s_cbranch_execz .LBB109_6
; %bb.5:
	v_mov_b32_e32 v1, 0
	ds_write_b32 v1, v1 offset:736
.LBB109_6:
	s_or_b64 exec, exec, s[6:7]
	v_mov_b32_e32 v1, 0
	v_lshl_add_u32 v7, v0, 3, v1
	s_waitcnt lgkmcnt(0)
	; wave barrier
	s_waitcnt lgkmcnt(0)
	buffer_load_dword v1, v7, s[0:3], 0 offen
	buffer_load_dword v2, v7, s[0:3], 0 offen offset:4
	s_waitcnt vmcnt(1)
	v_cmp_eq_f32_e32 vcc, 0, v1
	s_waitcnt vmcnt(0)
	v_cmp_eq_f32_e64 s[6:7], 0, v2
	s_and_b64 s[6:7], vcc, s[6:7]
	s_and_saveexec_b64 s[12:13], s[6:7]
	s_cbranch_execz .LBB109_10
; %bb.7:
	v_mov_b32_e32 v1, 0
	ds_read_b32 v3, v1 offset:736
	v_add_u32_e32 v2, 1, v0
	s_waitcnt lgkmcnt(0)
	v_readfirstlane_b32 s6, v3
	s_cmp_eq_u32 s6, 0
	s_cselect_b64 s[18:19], -1, 0
	v_cmp_gt_i32_e32 vcc, s6, v2
	s_or_b64 s[18:19], s[18:19], vcc
	s_and_b64 exec, exec, s[18:19]
	s_cbranch_execz .LBB109_10
; %bb.8:
	s_mov_b64 s[18:19], 0
	v_mov_b32_e32 v3, s6
.LBB109_9:                              ; =>This Inner Loop Header: Depth=1
	ds_cmpst_rtn_b32 v3, v1, v3, v2 offset:736
	s_waitcnt lgkmcnt(0)
	v_cmp_ne_u32_e32 vcc, 0, v3
	v_cmp_le_i32_e64 s[6:7], v3, v2
	s_and_b64 s[6:7], vcc, s[6:7]
	s_and_b64 s[6:7], exec, s[6:7]
	s_or_b64 s[18:19], s[6:7], s[18:19]
	s_andn2_b64 exec, exec, s[18:19]
	s_cbranch_execnz .LBB109_9
.LBB109_10:
	s_or_b64 exec, exec, s[12:13]
	v_mov_b32_e32 v2, 0
	s_waitcnt lgkmcnt(0)
	; wave barrier
	ds_read_b32 v1, v2 offset:736
	s_and_saveexec_b64 s[6:7], s[4:5]
	s_cbranch_execz .LBB109_12
; %bb.11:
	s_lshl_b64 s[12:13], s[8:9], 2
	s_add_u32 s12, s14, s12
	s_addc_u32 s13, s15, s13
	s_waitcnt lgkmcnt(0)
	global_store_dword v2, v1, s[12:13]
.LBB109_12:
	s_or_b64 exec, exec, s[6:7]
	s_waitcnt lgkmcnt(0)
	v_cmp_ne_u32_e32 vcc, 0, v1
	s_mov_b64 s[6:7], 0
	s_cbranch_vccnz .LBB109_196
; %bb.13:
	buffer_load_dword v8, v7, s[0:3], 0 offen offset:4
	buffer_load_dword v3, v7, s[0:3], 0 offen
	s_waitcnt vmcnt(1)
	v_cmp_gt_f32_e32 vcc, 0, v8
	v_cndmask_b32_e64 v1, v8, -v8, vcc
	s_waitcnt vmcnt(0)
	v_cmp_gt_f32_e32 vcc, 0, v3
	v_cndmask_b32_e64 v2, v3, -v3, vcc
	v_cmp_ngt_f32_e32 vcc, v2, v1
                                        ; implicit-def: $vgpr1
                                        ; implicit-def: $vgpr2
	s_and_saveexec_b64 s[6:7], vcc
	s_xor_b64 s[6:7], exec, s[6:7]
                                        ; implicit-def: $vgpr4_vgpr5
	s_cbranch_execz .LBB109_15
; %bb.14:
	v_div_scale_f32 v1, s[12:13], v8, v8, v3
	v_rcp_f32_e32 v2, v1
	v_div_scale_f32 v4, vcc, v3, v8, v3
	v_fma_f32 v5, -v1, v2, 1.0
	v_fmac_f32_e32 v2, v5, v2
	v_mul_f32_e32 v5, v4, v2
	v_fma_f32 v9, -v1, v5, v4
	v_fmac_f32_e32 v5, v9, v2
	v_fma_f32 v1, -v1, v5, v4
	v_div_fmas_f32 v1, v1, v2, v5
	v_div_fixup_f32 v2, v1, v8, v3
	v_fmac_f32_e32 v8, v3, v2
	v_div_scale_f32 v1, s[12:13], v8, v8, -1.0
	v_rcp_f32_e32 v3, v1
	v_fma_f32 v4, -v1, v3, 1.0
	v_fmac_f32_e32 v3, v4, v3
	v_div_scale_f32 v4, vcc, -1.0, v8, -1.0
	v_mul_f32_e32 v5, v4, v3
	v_fma_f32 v9, -v1, v5, v4
	v_fmac_f32_e32 v5, v9, v3
	v_fma_f32 v1, -v1, v5, v4
	v_div_fmas_f32 v1, v1, v3, v5
	v_div_fixup_f32 v1, v1, v8, -1.0
	v_mul_f32_e32 v2, v2, v1
	v_xor_b32_e32 v4, 0x80000000, v2
                                        ; implicit-def: $vgpr3
                                        ; implicit-def: $vgpr8
.LBB109_15:
	s_andn2_saveexec_b64 s[6:7], s[6:7]
	s_cbranch_execz .LBB109_17
; %bb.16:
	v_div_scale_f32 v1, s[12:13], v3, v3, v8
	v_rcp_f32_e32 v2, v1
	v_div_scale_f32 v4, vcc, v8, v3, v8
	v_fma_f32 v5, -v1, v2, 1.0
	v_fmac_f32_e32 v2, v5, v2
	v_mul_f32_e32 v5, v4, v2
	v_fma_f32 v9, -v1, v5, v4
	v_fmac_f32_e32 v5, v9, v2
	v_fma_f32 v1, -v1, v5, v4
	v_div_fmas_f32 v1, v1, v2, v5
	v_div_fixup_f32 v1, v1, v3, v8
	v_fmac_f32_e32 v3, v8, v1
	v_div_scale_f32 v2, s[12:13], v3, v3, 1.0
	v_rcp_f32_e32 v4, v2
	v_fma_f32 v5, -v2, v4, 1.0
	v_fmac_f32_e32 v4, v5, v4
	v_div_scale_f32 v5, vcc, 1.0, v3, 1.0
	v_mul_f32_e32 v8, v5, v4
	v_fma_f32 v9, -v2, v8, v5
	v_fmac_f32_e32 v8, v9, v4
	v_fma_f32 v2, -v2, v8, v5
	v_div_fmas_f32 v2, v2, v4, v8
	v_div_fixup_f32 v4, v2, v3, 1.0
	v_xor_b32_e32 v2, 0x80000000, v4
	v_mul_f32_e64 v1, v1, -v4
.LBB109_17:
	s_or_b64 exec, exec, s[6:7]
	buffer_store_dword v1, v7, s[0:3], 0 offen offset:4
	buffer_store_dword v4, v7, s[0:3], 0 offen
	buffer_load_dword v5, off, s[0:3], 0 offset:12
	s_nop 0
	buffer_load_dword v4, off, s[0:3], 0 offset:8
	v_xor_b32_e32 v3, 0x80000000, v1
	v_add_u32_e32 v1, 0x170, v6
	s_waitcnt vmcnt(0)
	ds_write2_b64 v6, v[2:3], v[4:5] offset1:46
	s_waitcnt lgkmcnt(0)
	; wave barrier
	s_waitcnt lgkmcnt(0)
	s_and_saveexec_b64 s[6:7], s[4:5]
	s_cbranch_execz .LBB109_19
; %bb.18:
	buffer_load_dword v8, v7, s[0:3], 0 offen offset:4
	buffer_load_dword v9, v7, s[0:3], 0 offen
	ds_read_b64 v[2:3], v1
	v_mov_b32_e32 v4, 0
	ds_read_b64 v[4:5], v4 offset:8
	s_waitcnt vmcnt(1) lgkmcnt(1)
	v_mul_f32_e32 v10, v3, v8
	v_mul_f32_e32 v8, v2, v8
	s_waitcnt vmcnt(0)
	v_fmac_f32_e32 v8, v3, v9
	v_fma_f32 v2, v2, v9, -v10
	v_add_f32_e32 v3, 0, v8
	v_add_f32_e32 v2, 0, v2
	s_waitcnt lgkmcnt(0)
	v_mul_f32_e32 v8, v3, v5
	v_mul_f32_e32 v5, v2, v5
	v_fma_f32 v2, v2, v4, -v8
	v_fmac_f32_e32 v5, v3, v4
	buffer_store_dword v2, off, s[0:3], 0 offset:8
	buffer_store_dword v5, off, s[0:3], 0 offset:12
.LBB109_19:
	s_or_b64 exec, exec, s[6:7]
	s_waitcnt lgkmcnt(0)
	; wave barrier
	buffer_load_dword v2, off, s[0:3], 0 offset:16
	buffer_load_dword v3, off, s[0:3], 0 offset:20
	v_cmp_gt_u32_e32 vcc, 2, v0
	s_waitcnt vmcnt(0)
	ds_write_b64 v1, v[2:3]
	s_waitcnt lgkmcnt(0)
	; wave barrier
	s_waitcnt lgkmcnt(0)
	s_and_saveexec_b64 s[6:7], vcc
	s_cbranch_execz .LBB109_23
; %bb.20:
	buffer_load_dword v4, v7, s[0:3], 0 offen offset:4
	buffer_load_dword v5, v7, s[0:3], 0 offen
	ds_read_b64 v[2:3], v1
	s_waitcnt vmcnt(1) lgkmcnt(0)
	v_mul_f32_e32 v7, v3, v4
	v_mul_f32_e32 v4, v2, v4
	s_waitcnt vmcnt(0)
	v_fma_f32 v2, v2, v5, -v7
	v_fmac_f32_e32 v4, v3, v5
	v_add_f32_e32 v3, 0, v2
	v_add_f32_e32 v2, 0, v4
	s_and_saveexec_b64 s[12:13], s[4:5]
	s_cbranch_execz .LBB109_22
; %bb.21:
	buffer_load_dword v7, off, s[0:3], 0 offset:12
	buffer_load_dword v8, off, s[0:3], 0 offset:8
	v_mov_b32_e32 v4, 0
	ds_read_b64 v[4:5], v4 offset:376
	s_waitcnt vmcnt(1) lgkmcnt(0)
	v_mul_f32_e32 v9, v4, v7
	v_mul_f32_e32 v7, v5, v7
	s_waitcnt vmcnt(0)
	v_fmac_f32_e32 v9, v5, v8
	v_fma_f32 v4, v4, v8, -v7
	v_add_f32_e32 v2, v2, v9
	v_add_f32_e32 v3, v3, v4
.LBB109_22:
	s_or_b64 exec, exec, s[12:13]
	v_mov_b32_e32 v4, 0
	ds_read_b64 v[4:5], v4 offset:16
	s_waitcnt lgkmcnt(0)
	v_mul_f32_e32 v7, v2, v5
	v_mul_f32_e32 v5, v3, v5
	v_fma_f32 v3, v3, v4, -v7
	v_fmac_f32_e32 v5, v2, v4
	buffer_store_dword v3, off, s[0:3], 0 offset:16
	buffer_store_dword v5, off, s[0:3], 0 offset:20
.LBB109_23:
	s_or_b64 exec, exec, s[6:7]
	s_waitcnt lgkmcnt(0)
	; wave barrier
	buffer_load_dword v2, off, s[0:3], 0 offset:24
	buffer_load_dword v3, off, s[0:3], 0 offset:28
	v_cmp_gt_u32_e32 vcc, 3, v0
	s_waitcnt vmcnt(0)
	ds_write_b64 v1, v[2:3]
	v_add_u32_e32 v2, -1, v0
	s_waitcnt lgkmcnt(0)
	; wave barrier
	s_waitcnt lgkmcnt(0)
	s_and_saveexec_b64 s[4:5], vcc
	s_cbranch_execz .LBB109_27
; %bb.24:
	v_add_u32_e32 v4, -1, v0
	v_add_u32_e32 v5, 0x170, v6
	v_add_u32_e32 v7, 0, v6
	s_mov_b64 s[6:7], 0
	v_mov_b32_e32 v3, 0
	v_mov_b32_e32 v8, 0
.LBB109_25:                             ; =>This Inner Loop Header: Depth=1
	buffer_load_dword v9, v7, s[0:3], 0 offen offset:4
	buffer_load_dword v12, v7, s[0:3], 0 offen
	ds_read_b64 v[10:11], v5
	v_add_u32_e32 v4, 1, v4
	v_cmp_lt_u32_e32 vcc, 1, v4
	v_add_u32_e32 v5, 8, v5
	v_add_u32_e32 v7, 8, v7
	s_or_b64 s[6:7], vcc, s[6:7]
	s_waitcnt vmcnt(1) lgkmcnt(0)
	v_mul_f32_e32 v13, v11, v9
	v_mul_f32_e32 v9, v10, v9
	s_waitcnt vmcnt(0)
	v_fma_f32 v10, v10, v12, -v13
	v_fmac_f32_e32 v9, v11, v12
	v_add_f32_e32 v8, v8, v10
	v_add_f32_e32 v3, v3, v9
	s_andn2_b64 exec, exec, s[6:7]
	s_cbranch_execnz .LBB109_25
; %bb.26:
	s_or_b64 exec, exec, s[6:7]
	v_mov_b32_e32 v4, 0
	ds_read_b64 v[4:5], v4 offset:24
	s_waitcnt lgkmcnt(0)
	v_mul_f32_e32 v7, v3, v5
	v_mul_f32_e32 v5, v8, v5
	v_fma_f32 v7, v8, v4, -v7
	v_fmac_f32_e32 v5, v3, v4
	buffer_store_dword v7, off, s[0:3], 0 offset:24
	buffer_store_dword v5, off, s[0:3], 0 offset:28
.LBB109_27:
	s_or_b64 exec, exec, s[4:5]
	s_waitcnt lgkmcnt(0)
	; wave barrier
	buffer_load_dword v4, off, s[0:3], 0 offset:32
	buffer_load_dword v5, off, s[0:3], 0 offset:36
	v_cmp_gt_u32_e32 vcc, 4, v0
	s_waitcnt vmcnt(0)
	ds_write_b64 v1, v[4:5]
	s_waitcnt lgkmcnt(0)
	; wave barrier
	s_waitcnt lgkmcnt(0)
	s_and_saveexec_b64 s[4:5], vcc
	s_cbranch_execz .LBB109_31
; %bb.28:
	v_add_u32_e32 v4, -1, v0
	v_add_u32_e32 v5, 0x170, v6
	v_add_u32_e32 v7, 0, v6
	s_mov_b64 s[6:7], 0
	v_mov_b32_e32 v3, 0
	v_mov_b32_e32 v8, 0
.LBB109_29:                             ; =>This Inner Loop Header: Depth=1
	buffer_load_dword v9, v7, s[0:3], 0 offen offset:4
	buffer_load_dword v12, v7, s[0:3], 0 offen
	ds_read_b64 v[10:11], v5
	v_add_u32_e32 v4, 1, v4
	v_cmp_lt_u32_e32 vcc, 2, v4
	v_add_u32_e32 v5, 8, v5
	v_add_u32_e32 v7, 8, v7
	s_or_b64 s[6:7], vcc, s[6:7]
	s_waitcnt vmcnt(1) lgkmcnt(0)
	v_mul_f32_e32 v13, v11, v9
	v_mul_f32_e32 v9, v10, v9
	s_waitcnt vmcnt(0)
	v_fma_f32 v10, v10, v12, -v13
	v_fmac_f32_e32 v9, v11, v12
	v_add_f32_e32 v8, v8, v10
	v_add_f32_e32 v3, v3, v9
	s_andn2_b64 exec, exec, s[6:7]
	s_cbranch_execnz .LBB109_29
; %bb.30:
	s_or_b64 exec, exec, s[6:7]
	v_mov_b32_e32 v4, 0
	ds_read_b64 v[4:5], v4 offset:32
	s_waitcnt lgkmcnt(0)
	v_mul_f32_e32 v7, v3, v5
	v_mul_f32_e32 v5, v8, v5
	v_fma_f32 v7, v8, v4, -v7
	v_fmac_f32_e32 v5, v3, v4
	buffer_store_dword v7, off, s[0:3], 0 offset:32
	buffer_store_dword v5, off, s[0:3], 0 offset:36
.LBB109_31:
	s_or_b64 exec, exec, s[4:5]
	s_waitcnt lgkmcnt(0)
	; wave barrier
	buffer_load_dword v4, off, s[0:3], 0 offset:40
	buffer_load_dword v5, off, s[0:3], 0 offset:44
	v_cmp_gt_u32_e32 vcc, 5, v0
	s_waitcnt vmcnt(0)
	ds_write_b64 v1, v[4:5]
	;; [unrolled: 51-line block ×19, first 2 shown]
	s_waitcnt lgkmcnt(0)
	; wave barrier
	s_waitcnt lgkmcnt(0)
	s_and_saveexec_b64 s[4:5], vcc
	s_cbranch_execz .LBB109_103
; %bb.100:
	v_add_u32_e32 v4, -1, v0
	v_add_u32_e32 v5, 0x170, v6
	v_add_u32_e32 v7, 0, v6
	s_mov_b64 s[6:7], 0
	v_mov_b32_e32 v3, 0
	v_mov_b32_e32 v8, 0
.LBB109_101:                            ; =>This Inner Loop Header: Depth=1
	buffer_load_dword v9, v7, s[0:3], 0 offen offset:4
	buffer_load_dword v12, v7, s[0:3], 0 offen
	ds_read_b64 v[10:11], v5
	v_add_u32_e32 v4, 1, v4
	v_cmp_lt_u32_e32 vcc, 20, v4
	v_add_u32_e32 v5, 8, v5
	v_add_u32_e32 v7, 8, v7
	s_or_b64 s[6:7], vcc, s[6:7]
	s_waitcnt vmcnt(1) lgkmcnt(0)
	v_mul_f32_e32 v13, v11, v9
	v_mul_f32_e32 v9, v10, v9
	s_waitcnt vmcnt(0)
	v_fma_f32 v10, v10, v12, -v13
	v_fmac_f32_e32 v9, v11, v12
	v_add_f32_e32 v8, v8, v10
	v_add_f32_e32 v3, v3, v9
	s_andn2_b64 exec, exec, s[6:7]
	s_cbranch_execnz .LBB109_101
; %bb.102:
	s_or_b64 exec, exec, s[6:7]
	v_mov_b32_e32 v4, 0
	ds_read_b64 v[4:5], v4 offset:176
	s_waitcnt lgkmcnt(0)
	v_mul_f32_e32 v7, v3, v5
	v_mul_f32_e32 v5, v8, v5
	v_fma_f32 v7, v8, v4, -v7
	v_fmac_f32_e32 v5, v3, v4
	buffer_store_dword v7, off, s[0:3], 0 offset:176
	buffer_store_dword v5, off, s[0:3], 0 offset:180
.LBB109_103:
	s_or_b64 exec, exec, s[4:5]
	s_waitcnt lgkmcnt(0)
	; wave barrier
	buffer_load_dword v4, off, s[0:3], 0 offset:184
	buffer_load_dword v5, off, s[0:3], 0 offset:188
	v_cmp_gt_u32_e32 vcc, 23, v0
	s_waitcnt vmcnt(0)
	ds_write_b64 v1, v[4:5]
	s_waitcnt lgkmcnt(0)
	; wave barrier
	s_waitcnt lgkmcnt(0)
	s_and_saveexec_b64 s[4:5], vcc
	s_cbranch_execz .LBB109_107
; %bb.104:
	v_add_u32_e32 v4, -1, v0
	v_add_u32_e32 v5, 0x170, v6
	v_add_u32_e32 v7, 0, v6
	s_mov_b64 s[6:7], 0
	v_mov_b32_e32 v3, 0
	v_mov_b32_e32 v8, 0
.LBB109_105:                            ; =>This Inner Loop Header: Depth=1
	buffer_load_dword v9, v7, s[0:3], 0 offen offset:4
	buffer_load_dword v12, v7, s[0:3], 0 offen
	ds_read_b64 v[10:11], v5
	v_add_u32_e32 v4, 1, v4
	v_cmp_lt_u32_e32 vcc, 21, v4
	v_add_u32_e32 v5, 8, v5
	v_add_u32_e32 v7, 8, v7
	s_or_b64 s[6:7], vcc, s[6:7]
	s_waitcnt vmcnt(1) lgkmcnt(0)
	v_mul_f32_e32 v13, v11, v9
	v_mul_f32_e32 v9, v10, v9
	s_waitcnt vmcnt(0)
	v_fma_f32 v10, v10, v12, -v13
	v_fmac_f32_e32 v9, v11, v12
	v_add_f32_e32 v8, v8, v10
	v_add_f32_e32 v3, v3, v9
	s_andn2_b64 exec, exec, s[6:7]
	s_cbranch_execnz .LBB109_105
; %bb.106:
	s_or_b64 exec, exec, s[6:7]
	v_mov_b32_e32 v4, 0
	ds_read_b64 v[4:5], v4 offset:184
	s_waitcnt lgkmcnt(0)
	v_mul_f32_e32 v7, v3, v5
	v_mul_f32_e32 v5, v8, v5
	v_fma_f32 v7, v8, v4, -v7
	v_fmac_f32_e32 v5, v3, v4
	buffer_store_dword v7, off, s[0:3], 0 offset:184
	buffer_store_dword v5, off, s[0:3], 0 offset:188
.LBB109_107:
	s_or_b64 exec, exec, s[4:5]
	s_waitcnt lgkmcnt(0)
	; wave barrier
	buffer_load_dword v4, off, s[0:3], 0 offset:192
	buffer_load_dword v5, off, s[0:3], 0 offset:196
	v_cmp_gt_u32_e32 vcc, 24, v0
	s_waitcnt vmcnt(0)
	ds_write_b64 v1, v[4:5]
	;; [unrolled: 51-line block ×22, first 2 shown]
	s_waitcnt lgkmcnt(0)
	; wave barrier
	s_waitcnt lgkmcnt(0)
	s_and_saveexec_b64 s[4:5], vcc
	s_cbranch_execz .LBB109_191
; %bb.188:
	v_add_u32_e32 v4, -1, v0
	v_add_u32_e32 v5, 0x170, v6
	v_add_u32_e32 v7, 0, v6
	s_mov_b64 s[6:7], 0
	v_mov_b32_e32 v3, 0
	v_mov_b32_e32 v8, 0
.LBB109_189:                            ; =>This Inner Loop Header: Depth=1
	buffer_load_dword v9, v7, s[0:3], 0 offen offset:4
	buffer_load_dword v12, v7, s[0:3], 0 offen
	ds_read_b64 v[10:11], v5
	v_add_u32_e32 v4, 1, v4
	v_cmp_lt_u32_e32 vcc, 42, v4
	v_add_u32_e32 v5, 8, v5
	v_add_u32_e32 v7, 8, v7
	s_or_b64 s[6:7], vcc, s[6:7]
	s_waitcnt vmcnt(1) lgkmcnt(0)
	v_mul_f32_e32 v13, v11, v9
	v_mul_f32_e32 v9, v10, v9
	s_waitcnt vmcnt(0)
	v_fma_f32 v10, v10, v12, -v13
	v_fmac_f32_e32 v9, v11, v12
	v_add_f32_e32 v8, v8, v10
	v_add_f32_e32 v3, v3, v9
	s_andn2_b64 exec, exec, s[6:7]
	s_cbranch_execnz .LBB109_189
; %bb.190:
	s_or_b64 exec, exec, s[6:7]
	v_mov_b32_e32 v4, 0
	ds_read_b64 v[4:5], v4 offset:352
	s_waitcnt lgkmcnt(0)
	v_mul_f32_e32 v7, v3, v5
	v_mul_f32_e32 v5, v8, v5
	v_fma_f32 v7, v8, v4, -v7
	v_fmac_f32_e32 v5, v3, v4
	buffer_store_dword v7, off, s[0:3], 0 offset:352
	buffer_store_dword v5, off, s[0:3], 0 offset:356
.LBB109_191:
	s_or_b64 exec, exec, s[4:5]
	s_waitcnt lgkmcnt(0)
	; wave barrier
	buffer_load_dword v4, off, s[0:3], 0 offset:360
	buffer_load_dword v5, off, s[0:3], 0 offset:364
	v_cmp_ne_u32_e32 vcc, 45, v0
	s_waitcnt vmcnt(0)
	ds_write_b64 v1, v[4:5]
	s_waitcnt lgkmcnt(0)
	; wave barrier
	s_waitcnt lgkmcnt(0)
	s_and_saveexec_b64 s[4:5], vcc
	s_cbranch_execz .LBB109_195
; %bb.192:
	v_add_u32_e32 v3, 0x170, v6
	v_add_u32_e32 v4, 0, v6
	s_mov_b64 s[6:7], 0
	v_mov_b32_e32 v1, 0
	v_mov_b32_e32 v5, 0
.LBB109_193:                            ; =>This Inner Loop Header: Depth=1
	buffer_load_dword v8, v4, s[0:3], 0 offen offset:4
	buffer_load_dword v9, v4, s[0:3], 0 offen
	ds_read_b64 v[6:7], v3
	v_add_u32_e32 v2, 1, v2
	v_cmp_lt_u32_e32 vcc, 43, v2
	v_add_u32_e32 v3, 8, v3
	v_add_u32_e32 v4, 8, v4
	s_or_b64 s[6:7], vcc, s[6:7]
	s_waitcnt vmcnt(1) lgkmcnt(0)
	v_mul_f32_e32 v10, v7, v8
	v_mul_f32_e32 v8, v6, v8
	s_waitcnt vmcnt(0)
	v_fma_f32 v6, v6, v9, -v10
	v_fmac_f32_e32 v8, v7, v9
	v_add_f32_e32 v5, v5, v6
	v_add_f32_e32 v1, v1, v8
	s_andn2_b64 exec, exec, s[6:7]
	s_cbranch_execnz .LBB109_193
; %bb.194:
	s_or_b64 exec, exec, s[6:7]
	v_mov_b32_e32 v2, 0
	ds_read_b64 v[2:3], v2 offset:360
	s_waitcnt lgkmcnt(0)
	v_mul_f32_e32 v4, v1, v3
	v_mul_f32_e32 v3, v5, v3
	v_fma_f32 v4, v5, v2, -v4
	v_fmac_f32_e32 v3, v1, v2
	buffer_store_dword v4, off, s[0:3], 0 offset:360
	buffer_store_dword v3, off, s[0:3], 0 offset:364
.LBB109_195:
	s_or_b64 exec, exec, s[4:5]
	s_mov_b64 s[6:7], -1
	s_waitcnt lgkmcnt(0)
	; wave barrier
.LBB109_196:
	s_and_b64 vcc, exec, s[6:7]
	s_cbranch_vccz .LBB109_198
; %bb.197:
	s_lshl_b64 s[4:5], s[8:9], 2
	s_add_u32 s4, s14, s4
	s_addc_u32 s5, s15, s5
	v_mov_b32_e32 v1, 0
	global_load_dword v1, v1, s[4:5]
	s_waitcnt vmcnt(0)
	v_cmp_ne_u32_e32 vcc, 0, v1
	s_cbranch_vccz .LBB109_199
.LBB109_198:
	s_endpgm
.LBB109_199:
	v_mov_b32_e32 v1, 0x170
	v_lshl_add_u32 v80, v0, 3, v1
	v_cmp_eq_u32_e32 vcc, 45, v0
	s_and_saveexec_b64 s[4:5], vcc
	s_cbranch_execz .LBB109_201
; %bb.200:
	buffer_load_dword v2, off, s[0:3], 0 offset:352
	buffer_load_dword v3, off, s[0:3], 0 offset:356
	v_mov_b32_e32 v4, 0
	buffer_store_dword v4, off, s[0:3], 0 offset:352
	buffer_store_dword v4, off, s[0:3], 0 offset:356
	s_waitcnt vmcnt(2)
	ds_write_b64 v80, v[2:3]
.LBB109_201:
	s_or_b64 exec, exec, s[4:5]
	s_waitcnt lgkmcnt(0)
	; wave barrier
	s_waitcnt lgkmcnt(0)
	buffer_load_dword v5, off, s[0:3], 0 offset:364
	buffer_load_dword v4, off, s[0:3], 0 offset:360
	;; [unrolled: 1-line block ×4, first 2 shown]
	v_mov_b32_e32 v2, 0
	ds_read_b64 v[8:9], v2 offset:728
	v_cmp_lt_u32_e32 vcc, 43, v0
	s_waitcnt vmcnt(3)
	v_mov_b32_e32 v10, v5
	s_waitcnt lgkmcnt(0)
	v_pk_mul_f32 v[10:11], v[8:9], v[10:11] op_sel_hi:[1,0]
	s_waitcnt vmcnt(2)
	v_pk_fma_f32 v[12:13], v[8:9], v[4:5], v[10:11] op_sel:[0,0,1] op_sel_hi:[1,1,0] neg_lo:[0,0,1] neg_hi:[0,0,1]
	v_pk_fma_f32 v[4:5], v[8:9], v[4:5], v[10:11] op_sel:[0,0,1] op_sel_hi:[1,0,0]
	v_mov_b32_e32 v13, v5
	v_pk_add_f32 v[4:5], v[12:13], 0 op_sel_hi:[1,0]
	s_waitcnt vmcnt(0)
	v_pk_add_f32 v[4:5], v[6:7], v[4:5] neg_lo:[0,1] neg_hi:[0,1]
	buffer_store_dword v4, off, s[0:3], 0 offset:352
	buffer_store_dword v5, off, s[0:3], 0 offset:356
	s_and_saveexec_b64 s[4:5], vcc
	s_cbranch_execz .LBB109_203
; %bb.202:
	buffer_load_dword v4, off, s[0:3], 0 offset:344
	buffer_load_dword v5, off, s[0:3], 0 offset:348
	s_waitcnt vmcnt(0)
	ds_write_b64 v80, v[4:5]
	buffer_store_dword v2, off, s[0:3], 0 offset:344
	buffer_store_dword v2, off, s[0:3], 0 offset:348
.LBB109_203:
	s_or_b64 exec, exec, s[4:5]
	s_waitcnt lgkmcnt(0)
	; wave barrier
	s_waitcnt lgkmcnt(0)
	buffer_load_dword v7, off, s[0:3], 0 offset:356
	buffer_load_dword v9, off, s[0:3], 0 offset:364
	;; [unrolled: 1-line block ×6, first 2 shown]
	ds_read_b128 v[2:5], v2 offset:720
	v_cmp_lt_u32_e32 vcc, 42, v0
	s_waitcnt vmcnt(5)
	v_mov_b32_e32 v12, v7
	s_waitcnt vmcnt(4)
	v_mov_b32_e32 v14, v9
	s_waitcnt lgkmcnt(0)
	v_pk_mul_f32 v[12:13], v[2:3], v[12:13] op_sel_hi:[1,0]
	v_pk_mul_f32 v[14:15], v[4:5], v[14:15] op_sel_hi:[1,0]
	s_waitcnt vmcnt(3)
	v_pk_fma_f32 v[16:17], v[2:3], v[6:7], v[12:13] op_sel:[0,0,1] op_sel_hi:[1,1,0] neg_lo:[0,0,1] neg_hi:[0,0,1]
	v_pk_fma_f32 v[2:3], v[2:3], v[6:7], v[12:13] op_sel:[0,0,1] op_sel_hi:[1,0,0]
	s_waitcnt vmcnt(2)
	v_pk_fma_f32 v[6:7], v[4:5], v[8:9], v[14:15] op_sel:[0,0,1] op_sel_hi:[1,1,0] neg_lo:[0,0,1] neg_hi:[0,0,1]
	v_pk_fma_f32 v[4:5], v[4:5], v[8:9], v[14:15] op_sel:[0,0,1] op_sel_hi:[1,0,0]
	v_mov_b32_e32 v17, v3
	v_mov_b32_e32 v7, v5
	v_pk_add_f32 v[2:3], v[16:17], 0 op_sel_hi:[1,0]
	v_pk_add_f32 v[2:3], v[2:3], v[6:7]
	s_waitcnt vmcnt(0)
	v_pk_add_f32 v[2:3], v[10:11], v[2:3] neg_lo:[0,1] neg_hi:[0,1]
	buffer_store_dword v2, off, s[0:3], 0 offset:344
	buffer_store_dword v3, off, s[0:3], 0 offset:348
	s_and_saveexec_b64 s[4:5], vcc
	s_cbranch_execz .LBB109_205
; %bb.204:
	buffer_load_dword v2, off, s[0:3], 0 offset:336
	buffer_load_dword v3, off, s[0:3], 0 offset:340
	v_mov_b32_e32 v4, 0
	buffer_store_dword v4, off, s[0:3], 0 offset:336
	buffer_store_dword v4, off, s[0:3], 0 offset:340
	s_waitcnt vmcnt(2)
	ds_write_b64 v80, v[2:3]
.LBB109_205:
	s_or_b64 exec, exec, s[4:5]
	s_waitcnt lgkmcnt(0)
	; wave barrier
	s_waitcnt lgkmcnt(0)
	buffer_load_dword v9, off, s[0:3], 0 offset:348
	buffer_load_dword v11, off, s[0:3], 0 offset:356
	buffer_load_dword v13, off, s[0:3], 0 offset:364
	buffer_load_dword v8, off, s[0:3], 0 offset:344
	buffer_load_dword v10, off, s[0:3], 0 offset:352
	buffer_load_dword v12, off, s[0:3], 0 offset:360
	buffer_load_dword v14, off, s[0:3], 0 offset:336
	buffer_load_dword v15, off, s[0:3], 0 offset:340
	v_mov_b32_e32 v2, 0
	ds_read2_b64 v[4:7], v2 offset0:89 offset1:90
	ds_read_b64 v[16:17], v2 offset:728
	v_cmp_lt_u32_e32 vcc, 41, v0
	s_waitcnt vmcnt(7)
	v_mov_b32_e32 v18, v9
	s_waitcnt vmcnt(6)
	v_mov_b32_e32 v20, v11
	s_waitcnt lgkmcnt(1)
	v_pk_mul_f32 v[18:19], v[4:5], v[18:19] op_sel_hi:[1,0]
	s_waitcnt vmcnt(5)
	v_mov_b32_e32 v22, v13
	v_pk_mul_f32 v[20:21], v[6:7], v[20:21] op_sel_hi:[1,0]
	s_waitcnt vmcnt(4)
	v_pk_fma_f32 v[24:25], v[4:5], v[8:9], v[18:19] op_sel:[0,0,1] op_sel_hi:[1,1,0] neg_lo:[0,0,1] neg_hi:[0,0,1]
	v_pk_fma_f32 v[4:5], v[4:5], v[8:9], v[18:19] op_sel:[0,0,1] op_sel_hi:[1,0,0]
	s_waitcnt lgkmcnt(0)
	v_pk_mul_f32 v[22:23], v[16:17], v[22:23] op_sel_hi:[1,0]
	s_waitcnt vmcnt(3)
	v_pk_fma_f32 v[8:9], v[6:7], v[10:11], v[20:21] op_sel:[0,0,1] op_sel_hi:[1,1,0] neg_lo:[0,0,1] neg_hi:[0,0,1]
	v_pk_fma_f32 v[6:7], v[6:7], v[10:11], v[20:21] op_sel:[0,0,1] op_sel_hi:[1,0,0]
	v_mov_b32_e32 v25, v5
	s_waitcnt vmcnt(2)
	v_pk_fma_f32 v[10:11], v[16:17], v[12:13], v[22:23] op_sel:[0,0,1] op_sel_hi:[1,1,0] neg_lo:[0,0,1] neg_hi:[0,0,1]
	v_pk_fma_f32 v[12:13], v[16:17], v[12:13], v[22:23] op_sel:[0,0,1] op_sel_hi:[1,0,0]
	v_mov_b32_e32 v9, v7
	v_pk_add_f32 v[4:5], v[24:25], 0 op_sel_hi:[1,0]
	v_mov_b32_e32 v11, v13
	v_pk_add_f32 v[4:5], v[4:5], v[8:9]
	v_pk_add_f32 v[4:5], v[4:5], v[10:11]
	s_waitcnt vmcnt(0)
	v_pk_add_f32 v[4:5], v[14:15], v[4:5] neg_lo:[0,1] neg_hi:[0,1]
	buffer_store_dword v4, off, s[0:3], 0 offset:336
	buffer_store_dword v5, off, s[0:3], 0 offset:340
	s_and_saveexec_b64 s[4:5], vcc
	s_cbranch_execz .LBB109_207
; %bb.206:
	buffer_load_dword v4, off, s[0:3], 0 offset:328
	buffer_load_dword v5, off, s[0:3], 0 offset:332
	s_waitcnt vmcnt(0)
	ds_write_b64 v80, v[4:5]
	buffer_store_dword v2, off, s[0:3], 0 offset:328
	buffer_store_dword v2, off, s[0:3], 0 offset:332
.LBB109_207:
	s_or_b64 exec, exec, s[4:5]
	s_waitcnt lgkmcnt(0)
	; wave barrier
	s_waitcnt lgkmcnt(0)
	buffer_load_dword v13, off, s[0:3], 0 offset:340
	buffer_load_dword v15, off, s[0:3], 0 offset:348
	;; [unrolled: 1-line block ×10, first 2 shown]
	ds_read_b128 v[4:7], v2 offset:704
	ds_read_b128 v[8:11], v2 offset:720
	v_cmp_lt_u32_e32 vcc, 40, v0
	s_waitcnt vmcnt(9)
	v_mov_b32_e32 v2, v13
	s_waitcnt vmcnt(8)
	v_mov_b32_e32 v22, v15
	s_waitcnt lgkmcnt(1)
	v_pk_mul_f32 v[2:3], v[4:5], v[2:3] op_sel_hi:[1,0]
	s_waitcnt vmcnt(7)
	v_mov_b32_e32 v24, v17
	v_pk_mul_f32 v[22:23], v[6:7], v[22:23] op_sel_hi:[1,0]
	s_waitcnt vmcnt(5)
	v_pk_fma_f32 v[28:29], v[4:5], v[12:13], v[2:3] op_sel:[0,0,1] op_sel_hi:[1,1,0] neg_lo:[0,0,1] neg_hi:[0,0,1]
	v_pk_fma_f32 v[2:3], v[4:5], v[12:13], v[2:3] op_sel:[0,0,1] op_sel_hi:[1,0,0]
	v_mov_b32_e32 v26, v19
	s_waitcnt lgkmcnt(0)
	v_pk_mul_f32 v[24:25], v[8:9], v[24:25] op_sel_hi:[1,0]
	s_waitcnt vmcnt(4)
	v_pk_fma_f32 v[4:5], v[6:7], v[14:15], v[22:23] op_sel:[0,0,1] op_sel_hi:[1,1,0] neg_lo:[0,0,1] neg_hi:[0,0,1]
	v_pk_fma_f32 v[6:7], v[6:7], v[14:15], v[22:23] op_sel:[0,0,1] op_sel_hi:[1,0,0]
	v_mov_b32_e32 v29, v3
	v_pk_mul_f32 v[26:27], v[10:11], v[26:27] op_sel_hi:[1,0]
	s_waitcnt vmcnt(3)
	v_pk_fma_f32 v[12:13], v[8:9], v[16:17], v[24:25] op_sel:[0,0,1] op_sel_hi:[1,1,0] neg_lo:[0,0,1] neg_hi:[0,0,1]
	v_pk_fma_f32 v[8:9], v[8:9], v[16:17], v[24:25] op_sel:[0,0,1] op_sel_hi:[1,0,0]
	v_mov_b32_e32 v5, v7
	v_pk_add_f32 v[2:3], v[28:29], 0 op_sel_hi:[1,0]
	s_waitcnt vmcnt(2)
	v_pk_fma_f32 v[14:15], v[10:11], v[18:19], v[26:27] op_sel:[0,0,1] op_sel_hi:[1,1,0] neg_lo:[0,0,1] neg_hi:[0,0,1]
	v_pk_fma_f32 v[10:11], v[10:11], v[18:19], v[26:27] op_sel:[0,0,1] op_sel_hi:[1,0,0]
	v_mov_b32_e32 v13, v9
	v_pk_add_f32 v[2:3], v[2:3], v[4:5]
	v_mov_b32_e32 v15, v11
	v_pk_add_f32 v[2:3], v[2:3], v[12:13]
	v_pk_add_f32 v[2:3], v[2:3], v[14:15]
	s_waitcnt vmcnt(0)
	v_pk_add_f32 v[2:3], v[20:21], v[2:3] neg_lo:[0,1] neg_hi:[0,1]
	buffer_store_dword v2, off, s[0:3], 0 offset:328
	buffer_store_dword v3, off, s[0:3], 0 offset:332
	s_and_saveexec_b64 s[4:5], vcc
	s_cbranch_execz .LBB109_209
; %bb.208:
	buffer_load_dword v2, off, s[0:3], 0 offset:320
	buffer_load_dword v3, off, s[0:3], 0 offset:324
	v_mov_b32_e32 v4, 0
	buffer_store_dword v4, off, s[0:3], 0 offset:320
	buffer_store_dword v4, off, s[0:3], 0 offset:324
	s_waitcnt vmcnt(2)
	ds_write_b64 v80, v[2:3]
.LBB109_209:
	s_or_b64 exec, exec, s[4:5]
	s_waitcnt lgkmcnt(0)
	; wave barrier
	s_waitcnt lgkmcnt(0)
	buffer_load_dword v12, off, s[0:3], 0 offset:320
	buffer_load_dword v13, off, s[0:3], 0 offset:324
	;; [unrolled: 1-line block ×12, first 2 shown]
	v_mov_b32_e32 v2, 0
	ds_read2_b64 v[4:7], v2 offset0:87 offset1:88
	ds_read2_b64 v[8:11], v2 offset0:89 offset1:90
	ds_read_b64 v[24:25], v2 offset:728
	v_cmp_lt_u32_e32 vcc, 39, v0
	s_waitcnt vmcnt(8)
	v_mov_b32_e32 v26, v15
	s_waitcnt lgkmcnt(2)
	v_pk_mul_f32 v[26:27], v[4:5], v[26:27] op_sel_hi:[1,0]
	v_pk_fma_f32 v[28:29], v[4:5], v[14:15], v[26:27] op_sel:[0,0,1] op_sel_hi:[1,1,0] neg_lo:[0,0,1] neg_hi:[0,0,1]
	v_pk_fma_f32 v[4:5], v[4:5], v[14:15], v[26:27] op_sel:[0,0,1] op_sel_hi:[1,0,0]
	s_waitcnt vmcnt(6)
	v_mov_b32_e32 v14, v17
	v_pk_mul_f32 v[14:15], v[6:7], v[14:15] op_sel_hi:[1,0]
	v_pk_fma_f32 v[26:27], v[6:7], v[16:17], v[14:15] op_sel:[0,0,1] op_sel_hi:[1,1,0] neg_lo:[0,0,1] neg_hi:[0,0,1]
	v_pk_fma_f32 v[6:7], v[6:7], v[16:17], v[14:15] op_sel:[0,0,1] op_sel_hi:[1,0,0]
	s_waitcnt vmcnt(4)
	v_mov_b32_e32 v6, v19
	v_mov_b32_e32 v27, v7
	s_waitcnt lgkmcnt(1)
	v_pk_mul_f32 v[6:7], v[8:9], v[6:7] op_sel_hi:[1,0]
	v_pk_fma_f32 v[14:15], v[8:9], v[18:19], v[6:7] op_sel:[0,0,1] op_sel_hi:[1,1,0] neg_lo:[0,0,1] neg_hi:[0,0,1]
	v_pk_fma_f32 v[6:7], v[8:9], v[18:19], v[6:7] op_sel:[0,0,1] op_sel_hi:[1,0,0]
	s_waitcnt vmcnt(2)
	v_mov_b32_e32 v6, v21
	v_mov_b32_e32 v29, v5
	v_mov_b32_e32 v15, v7
	v_pk_mul_f32 v[6:7], v[10:11], v[6:7] op_sel_hi:[1,0]
	v_pk_add_f32 v[4:5], v[28:29], 0 op_sel_hi:[1,0]
	v_pk_fma_f32 v[8:9], v[10:11], v[20:21], v[6:7] op_sel:[0,0,1] op_sel_hi:[1,1,0] neg_lo:[0,0,1] neg_hi:[0,0,1]
	v_pk_fma_f32 v[6:7], v[10:11], v[20:21], v[6:7] op_sel:[0,0,1] op_sel_hi:[1,0,0]
	v_pk_add_f32 v[4:5], v[4:5], v[26:27]
	s_waitcnt vmcnt(0)
	v_mov_b32_e32 v6, v23
	v_pk_add_f32 v[4:5], v[4:5], v[14:15]
	v_mov_b32_e32 v9, v7
	s_waitcnt lgkmcnt(0)
	v_pk_mul_f32 v[6:7], v[24:25], v[6:7] op_sel_hi:[1,0]
	v_pk_add_f32 v[4:5], v[4:5], v[8:9]
	v_pk_fma_f32 v[8:9], v[24:25], v[22:23], v[6:7] op_sel:[0,0,1] op_sel_hi:[1,1,0] neg_lo:[0,0,1] neg_hi:[0,0,1]
	v_pk_fma_f32 v[6:7], v[24:25], v[22:23], v[6:7] op_sel:[0,0,1] op_sel_hi:[1,0,0]
	v_mov_b32_e32 v9, v7
	v_pk_add_f32 v[4:5], v[4:5], v[8:9]
	v_pk_add_f32 v[4:5], v[12:13], v[4:5] neg_lo:[0,1] neg_hi:[0,1]
	buffer_store_dword v4, off, s[0:3], 0 offset:320
	buffer_store_dword v5, off, s[0:3], 0 offset:324
	s_and_saveexec_b64 s[4:5], vcc
	s_cbranch_execz .LBB109_211
; %bb.210:
	buffer_load_dword v4, off, s[0:3], 0 offset:312
	buffer_load_dword v5, off, s[0:3], 0 offset:316
	s_waitcnt vmcnt(0)
	ds_write_b64 v80, v[4:5]
	buffer_store_dword v2, off, s[0:3], 0 offset:312
	buffer_store_dword v2, off, s[0:3], 0 offset:316
.LBB109_211:
	s_or_b64 exec, exec, s[4:5]
	s_waitcnt lgkmcnt(0)
	; wave barrier
	s_waitcnt lgkmcnt(0)
	buffer_load_dword v16, off, s[0:3], 0 offset:312
	buffer_load_dword v17, off, s[0:3], 0 offset:316
	;; [unrolled: 1-line block ×14, first 2 shown]
	ds_read_b128 v[4:7], v2 offset:688
	ds_read_b128 v[8:11], v2 offset:704
	;; [unrolled: 1-line block ×3, first 2 shown]
	v_cmp_lt_u32_e32 vcc, 38, v0
	s_waitcnt vmcnt(10)
	v_mov_b32_e32 v2, v19
	s_waitcnt lgkmcnt(2)
	v_pk_mul_f32 v[2:3], v[4:5], v[2:3] op_sel_hi:[1,0]
	v_pk_fma_f32 v[30:31], v[4:5], v[18:19], v[2:3] op_sel:[0,0,1] op_sel_hi:[1,1,0] neg_lo:[0,0,1] neg_hi:[0,0,1]
	v_pk_fma_f32 v[2:3], v[4:5], v[18:19], v[2:3] op_sel:[0,0,1] op_sel_hi:[1,0,0]
	s_waitcnt vmcnt(8)
	v_mov_b32_e32 v4, v21
	v_pk_mul_f32 v[4:5], v[6:7], v[4:5] op_sel_hi:[1,0]
	v_pk_fma_f32 v[18:19], v[6:7], v[20:21], v[4:5] op_sel:[0,0,1] op_sel_hi:[1,1,0] neg_lo:[0,0,1] neg_hi:[0,0,1]
	v_pk_fma_f32 v[4:5], v[6:7], v[20:21], v[4:5] op_sel:[0,0,1] op_sel_hi:[1,0,0]
	s_waitcnt vmcnt(6)
	v_mov_b32_e32 v4, v23
	v_mov_b32_e32 v19, v5
	s_waitcnt lgkmcnt(1)
	v_pk_mul_f32 v[4:5], v[8:9], v[4:5] op_sel_hi:[1,0]
	v_mov_b32_e32 v31, v3
	v_pk_fma_f32 v[6:7], v[8:9], v[22:23], v[4:5] op_sel:[0,0,1] op_sel_hi:[1,1,0] neg_lo:[0,0,1] neg_hi:[0,0,1]
	v_pk_fma_f32 v[4:5], v[8:9], v[22:23], v[4:5] op_sel:[0,0,1] op_sel_hi:[1,0,0]
	v_pk_add_f32 v[2:3], v[30:31], 0 op_sel_hi:[1,0]
	s_waitcnt vmcnt(4)
	v_mov_b32_e32 v4, v25
	v_pk_add_f32 v[2:3], v[2:3], v[18:19]
	v_mov_b32_e32 v7, v5
	v_pk_mul_f32 v[4:5], v[10:11], v[4:5] op_sel_hi:[1,0]
	v_pk_add_f32 v[2:3], v[2:3], v[6:7]
	v_pk_fma_f32 v[6:7], v[10:11], v[24:25], v[4:5] op_sel:[0,0,1] op_sel_hi:[1,1,0] neg_lo:[0,0,1] neg_hi:[0,0,1]
	v_pk_fma_f32 v[4:5], v[10:11], v[24:25], v[4:5] op_sel:[0,0,1] op_sel_hi:[1,0,0]
	s_waitcnt vmcnt(2)
	v_mov_b32_e32 v4, v27
	v_mov_b32_e32 v7, v5
	s_waitcnt lgkmcnt(0)
	v_pk_mul_f32 v[4:5], v[12:13], v[4:5] op_sel_hi:[1,0]
	v_pk_add_f32 v[2:3], v[2:3], v[6:7]
	v_pk_fma_f32 v[6:7], v[12:13], v[26:27], v[4:5] op_sel:[0,0,1] op_sel_hi:[1,1,0] neg_lo:[0,0,1] neg_hi:[0,0,1]
	v_pk_fma_f32 v[4:5], v[12:13], v[26:27], v[4:5] op_sel:[0,0,1] op_sel_hi:[1,0,0]
	s_waitcnt vmcnt(0)
	v_mov_b32_e32 v4, v29
	v_mov_b32_e32 v7, v5
	v_pk_mul_f32 v[4:5], v[14:15], v[4:5] op_sel_hi:[1,0]
	v_pk_add_f32 v[2:3], v[2:3], v[6:7]
	v_pk_fma_f32 v[6:7], v[14:15], v[28:29], v[4:5] op_sel:[0,0,1] op_sel_hi:[1,1,0] neg_lo:[0,0,1] neg_hi:[0,0,1]
	v_pk_fma_f32 v[4:5], v[14:15], v[28:29], v[4:5] op_sel:[0,0,1] op_sel_hi:[1,0,0]
	v_mov_b32_e32 v7, v5
	v_pk_add_f32 v[2:3], v[2:3], v[6:7]
	v_pk_add_f32 v[2:3], v[16:17], v[2:3] neg_lo:[0,1] neg_hi:[0,1]
	buffer_store_dword v2, off, s[0:3], 0 offset:312
	buffer_store_dword v3, off, s[0:3], 0 offset:316
	s_and_saveexec_b64 s[4:5], vcc
	s_cbranch_execz .LBB109_213
; %bb.212:
	buffer_load_dword v2, off, s[0:3], 0 offset:304
	buffer_load_dword v3, off, s[0:3], 0 offset:308
	v_mov_b32_e32 v4, 0
	buffer_store_dword v4, off, s[0:3], 0 offset:304
	buffer_store_dword v4, off, s[0:3], 0 offset:308
	s_waitcnt vmcnt(2)
	ds_write_b64 v80, v[2:3]
.LBB109_213:
	s_or_b64 exec, exec, s[4:5]
	s_waitcnt lgkmcnt(0)
	; wave barrier
	s_waitcnt lgkmcnt(0)
	buffer_load_dword v17, off, s[0:3], 0 offset:316
	buffer_load_dword v19, off, s[0:3], 0 offset:324
	;; [unrolled: 1-line block ×16, first 2 shown]
	v_mov_b32_e32 v2, 0
	ds_read2_b64 v[4:7], v2 offset0:85 offset1:86
	ds_read2_b64 v[8:11], v2 offset0:87 offset1:88
	;; [unrolled: 1-line block ×3, first 2 shown]
	ds_read_b64 v[32:33], v2 offset:728
	v_cmp_lt_u32_e32 vcc, 37, v0
	s_waitcnt vmcnt(15)
	v_mov_b32_e32 v34, v17
	s_waitcnt vmcnt(14)
	v_mov_b32_e32 v36, v19
	s_waitcnt lgkmcnt(3)
	v_pk_mul_f32 v[34:35], v[4:5], v[34:35] op_sel_hi:[1,0]
	s_waitcnt vmcnt(13)
	v_mov_b32_e32 v38, v21
	v_pk_mul_f32 v[36:37], v[6:7], v[36:37] op_sel_hi:[1,0]
	s_waitcnt vmcnt(12)
	v_mov_b32_e32 v40, v23
	s_waitcnt lgkmcnt(2)
	v_pk_mul_f32 v[38:39], v[8:9], v[38:39] op_sel_hi:[1,0]
	s_waitcnt vmcnt(8)
	v_pk_fma_f32 v[48:49], v[4:5], v[16:17], v[34:35] op_sel:[0,0,1] op_sel_hi:[1,1,0] neg_lo:[0,0,1] neg_hi:[0,0,1]
	v_pk_fma_f32 v[4:5], v[4:5], v[16:17], v[34:35] op_sel:[0,0,1] op_sel_hi:[1,0,0]
	s_waitcnt vmcnt(7)
	v_pk_fma_f32 v[16:17], v[6:7], v[18:19], v[36:37] op_sel:[0,0,1] op_sel_hi:[1,1,0] neg_lo:[0,0,1] neg_hi:[0,0,1]
	v_pk_fma_f32 v[6:7], v[6:7], v[18:19], v[36:37] op_sel:[0,0,1] op_sel_hi:[1,0,0]
	v_mov_b32_e32 v49, v5
	v_mov_b32_e32 v42, v25
	v_pk_mul_f32 v[40:41], v[10:11], v[40:41] op_sel_hi:[1,0]
	s_waitcnt vmcnt(6)
	v_pk_fma_f32 v[18:19], v[8:9], v[20:21], v[38:39] op_sel:[0,0,1] op_sel_hi:[1,1,0] neg_lo:[0,0,1] neg_hi:[0,0,1]
	v_pk_fma_f32 v[8:9], v[8:9], v[20:21], v[38:39] op_sel:[0,0,1] op_sel_hi:[1,0,0]
	v_mov_b32_e32 v17, v7
	v_pk_add_f32 v[4:5], v[48:49], 0 op_sel_hi:[1,0]
	v_mov_b32_e32 v44, v27
	s_waitcnt lgkmcnt(1)
	v_pk_mul_f32 v[42:43], v[12:13], v[42:43] op_sel_hi:[1,0]
	s_waitcnt vmcnt(5)
	v_pk_fma_f32 v[20:21], v[10:11], v[22:23], v[40:41] op_sel:[0,0,1] op_sel_hi:[1,1,0] neg_lo:[0,0,1] neg_hi:[0,0,1]
	v_pk_fma_f32 v[10:11], v[10:11], v[22:23], v[40:41] op_sel:[0,0,1] op_sel_hi:[1,0,0]
	v_mov_b32_e32 v19, v9
	v_pk_add_f32 v[4:5], v[4:5], v[16:17]
	v_mov_b32_e32 v46, v29
	v_pk_mul_f32 v[44:45], v[14:15], v[44:45] op_sel_hi:[1,0]
	s_waitcnt vmcnt(4)
	v_pk_fma_f32 v[22:23], v[12:13], v[24:25], v[42:43] op_sel:[0,0,1] op_sel_hi:[1,1,0] neg_lo:[0,0,1] neg_hi:[0,0,1]
	v_pk_fma_f32 v[12:13], v[12:13], v[24:25], v[42:43] op_sel:[0,0,1] op_sel_hi:[1,0,0]
	v_mov_b32_e32 v21, v11
	v_pk_add_f32 v[4:5], v[4:5], v[18:19]
	s_waitcnt lgkmcnt(0)
	v_pk_mul_f32 v[46:47], v[32:33], v[46:47] op_sel_hi:[1,0]
	s_waitcnt vmcnt(3)
	v_pk_fma_f32 v[24:25], v[14:15], v[26:27], v[44:45] op_sel:[0,0,1] op_sel_hi:[1,1,0] neg_lo:[0,0,1] neg_hi:[0,0,1]
	v_pk_fma_f32 v[14:15], v[14:15], v[26:27], v[44:45] op_sel:[0,0,1] op_sel_hi:[1,0,0]
	v_mov_b32_e32 v23, v13
	v_pk_add_f32 v[4:5], v[4:5], v[20:21]
	s_waitcnt vmcnt(2)
	v_pk_fma_f32 v[26:27], v[32:33], v[28:29], v[46:47] op_sel:[0,0,1] op_sel_hi:[1,1,0] neg_lo:[0,0,1] neg_hi:[0,0,1]
	v_pk_fma_f32 v[28:29], v[32:33], v[28:29], v[46:47] op_sel:[0,0,1] op_sel_hi:[1,0,0]
	v_mov_b32_e32 v25, v15
	v_pk_add_f32 v[4:5], v[4:5], v[22:23]
	v_mov_b32_e32 v27, v29
	v_pk_add_f32 v[4:5], v[4:5], v[24:25]
	v_pk_add_f32 v[4:5], v[4:5], v[26:27]
	s_waitcnt vmcnt(0)
	v_pk_add_f32 v[4:5], v[30:31], v[4:5] neg_lo:[0,1] neg_hi:[0,1]
	buffer_store_dword v4, off, s[0:3], 0 offset:304
	buffer_store_dword v5, off, s[0:3], 0 offset:308
	s_and_saveexec_b64 s[4:5], vcc
	s_cbranch_execz .LBB109_215
; %bb.214:
	buffer_load_dword v4, off, s[0:3], 0 offset:296
	buffer_load_dword v5, off, s[0:3], 0 offset:300
	s_waitcnt vmcnt(0)
	ds_write_b64 v80, v[4:5]
	buffer_store_dword v2, off, s[0:3], 0 offset:296
	buffer_store_dword v2, off, s[0:3], 0 offset:300
.LBB109_215:
	s_or_b64 exec, exec, s[4:5]
	s_waitcnt lgkmcnt(0)
	; wave barrier
	s_waitcnt lgkmcnt(0)
	buffer_load_dword v21, off, s[0:3], 0 offset:308
	buffer_load_dword v23, off, s[0:3], 0 offset:316
	;; [unrolled: 1-line block ×18, first 2 shown]
	ds_read_b128 v[4:7], v2 offset:672
	ds_read_b128 v[8:11], v2 offset:688
	;; [unrolled: 1-line block ×4, first 2 shown]
	v_cmp_lt_u32_e32 vcc, 36, v0
	s_waitcnt vmcnt(17)
	v_mov_b32_e32 v2, v21
	s_waitcnt vmcnt(16)
	v_mov_b32_e32 v38, v23
	s_waitcnt lgkmcnt(3)
	v_pk_mul_f32 v[2:3], v[4:5], v[2:3] op_sel_hi:[1,0]
	s_waitcnt vmcnt(15)
	v_mov_b32_e32 v40, v25
	v_pk_mul_f32 v[38:39], v[6:7], v[38:39] op_sel_hi:[1,0]
	s_waitcnt vmcnt(14)
	v_mov_b32_e32 v42, v27
	s_waitcnt lgkmcnt(2)
	v_pk_mul_f32 v[40:41], v[8:9], v[40:41] op_sel_hi:[1,0]
	s_waitcnt vmcnt(13)
	v_mov_b32_e32 v44, v29
	s_waitcnt vmcnt(9)
	v_pk_fma_f32 v[52:53], v[4:5], v[20:21], v[2:3] op_sel:[0,0,1] op_sel_hi:[1,1,0] neg_lo:[0,0,1] neg_hi:[0,0,1]
	v_pk_fma_f32 v[2:3], v[4:5], v[20:21], v[2:3] op_sel:[0,0,1] op_sel_hi:[1,0,0]
	s_waitcnt vmcnt(8)
	v_pk_fma_f32 v[4:5], v[6:7], v[22:23], v[38:39] op_sel:[0,0,1] op_sel_hi:[1,1,0] neg_lo:[0,0,1] neg_hi:[0,0,1]
	v_pk_fma_f32 v[6:7], v[6:7], v[22:23], v[38:39] op_sel:[0,0,1] op_sel_hi:[1,0,0]
	v_mov_b32_e32 v53, v3
	v_pk_mul_f32 v[42:43], v[10:11], v[42:43] op_sel_hi:[1,0]
	s_waitcnt vmcnt(7)
	v_pk_fma_f32 v[20:21], v[8:9], v[24:25], v[40:41] op_sel:[0,0,1] op_sel_hi:[1,1,0] neg_lo:[0,0,1] neg_hi:[0,0,1]
	v_pk_fma_f32 v[8:9], v[8:9], v[24:25], v[40:41] op_sel:[0,0,1] op_sel_hi:[1,0,0]
	v_mov_b32_e32 v5, v7
	v_pk_add_f32 v[2:3], v[52:53], 0 op_sel_hi:[1,0]
	v_mov_b32_e32 v46, v31
	s_waitcnt lgkmcnt(1)
	v_pk_mul_f32 v[44:45], v[12:13], v[44:45] op_sel_hi:[1,0]
	s_waitcnt vmcnt(6)
	v_pk_fma_f32 v[22:23], v[10:11], v[26:27], v[42:43] op_sel:[0,0,1] op_sel_hi:[1,1,0] neg_lo:[0,0,1] neg_hi:[0,0,1]
	v_pk_fma_f32 v[10:11], v[10:11], v[26:27], v[42:43] op_sel:[0,0,1] op_sel_hi:[1,0,0]
	v_mov_b32_e32 v21, v9
	v_pk_add_f32 v[2:3], v[2:3], v[4:5]
	v_mov_b32_e32 v48, v33
	v_pk_mul_f32 v[46:47], v[14:15], v[46:47] op_sel_hi:[1,0]
	s_waitcnt vmcnt(5)
	v_pk_fma_f32 v[24:25], v[12:13], v[28:29], v[44:45] op_sel:[0,0,1] op_sel_hi:[1,1,0] neg_lo:[0,0,1] neg_hi:[0,0,1]
	v_pk_fma_f32 v[12:13], v[12:13], v[28:29], v[44:45] op_sel:[0,0,1] op_sel_hi:[1,0,0]
	v_mov_b32_e32 v23, v11
	v_pk_add_f32 v[2:3], v[2:3], v[20:21]
	v_mov_b32_e32 v50, v35
	s_waitcnt lgkmcnt(0)
	v_pk_mul_f32 v[48:49], v[16:17], v[48:49] op_sel_hi:[1,0]
	s_waitcnt vmcnt(4)
	v_pk_fma_f32 v[26:27], v[14:15], v[30:31], v[46:47] op_sel:[0,0,1] op_sel_hi:[1,1,0] neg_lo:[0,0,1] neg_hi:[0,0,1]
	v_pk_fma_f32 v[14:15], v[14:15], v[30:31], v[46:47] op_sel:[0,0,1] op_sel_hi:[1,0,0]
	v_mov_b32_e32 v25, v13
	v_pk_add_f32 v[2:3], v[2:3], v[22:23]
	v_pk_mul_f32 v[50:51], v[18:19], v[50:51] op_sel_hi:[1,0]
	s_waitcnt vmcnt(3)
	v_pk_fma_f32 v[28:29], v[16:17], v[32:33], v[48:49] op_sel:[0,0,1] op_sel_hi:[1,1,0] neg_lo:[0,0,1] neg_hi:[0,0,1]
	v_pk_fma_f32 v[16:17], v[16:17], v[32:33], v[48:49] op_sel:[0,0,1] op_sel_hi:[1,0,0]
	v_mov_b32_e32 v27, v15
	v_pk_add_f32 v[2:3], v[2:3], v[24:25]
	s_waitcnt vmcnt(2)
	v_pk_fma_f32 v[30:31], v[18:19], v[34:35], v[50:51] op_sel:[0,0,1] op_sel_hi:[1,1,0] neg_lo:[0,0,1] neg_hi:[0,0,1]
	v_pk_fma_f32 v[18:19], v[18:19], v[34:35], v[50:51] op_sel:[0,0,1] op_sel_hi:[1,0,0]
	v_mov_b32_e32 v29, v17
	v_pk_add_f32 v[2:3], v[2:3], v[26:27]
	v_mov_b32_e32 v31, v19
	v_pk_add_f32 v[2:3], v[2:3], v[28:29]
	v_pk_add_f32 v[2:3], v[2:3], v[30:31]
	s_waitcnt vmcnt(0)
	v_pk_add_f32 v[2:3], v[36:37], v[2:3] neg_lo:[0,1] neg_hi:[0,1]
	buffer_store_dword v2, off, s[0:3], 0 offset:296
	buffer_store_dword v3, off, s[0:3], 0 offset:300
	s_and_saveexec_b64 s[4:5], vcc
	s_cbranch_execz .LBB109_217
; %bb.216:
	buffer_load_dword v2, off, s[0:3], 0 offset:288
	buffer_load_dword v3, off, s[0:3], 0 offset:292
	v_mov_b32_e32 v4, 0
	buffer_store_dword v4, off, s[0:3], 0 offset:288
	buffer_store_dword v4, off, s[0:3], 0 offset:292
	s_waitcnt vmcnt(2)
	ds_write_b64 v80, v[2:3]
.LBB109_217:
	s_or_b64 exec, exec, s[4:5]
	s_waitcnt lgkmcnt(0)
	; wave barrier
	s_waitcnt lgkmcnt(0)
	buffer_load_dword v3, off, s[0:3], 0 offset:300
	buffer_load_dword v21, off, s[0:3], 0 offset:308
	;; [unrolled: 1-line block ×20, first 2 shown]
	v_mov_b32_e32 v2, 0
	ds_read2_b64 v[4:7], v2 offset0:83 offset1:84
	ds_read2_b64 v[8:11], v2 offset0:85 offset1:86
	;; [unrolled: 1-line block ×4, first 2 shown]
	ds_read_b64 v[38:39], v2 offset:728
	v_cmp_lt_u32_e32 vcc, 35, v0
	s_waitcnt vmcnt(19) lgkmcnt(4)
	v_mul_f32_e32 v41, v4, v3
	v_mul_f32_e32 v3, v5, v3
	s_waitcnt vmcnt(18)
	v_mov_b32_e32 v42, v21
	s_waitcnt vmcnt(17)
	v_mov_b32_e32 v44, v23
	;; [unrolled: 2-line block ×8, first 2 shown]
	s_waitcnt vmcnt(10)
	v_fmac_f32_e32 v41, v5, v40
	v_fma_f32 v40, v4, v40, -v3
	v_pk_mul_f32 v[4:5], v[6:7], v[42:43] op_sel_hi:[1,0]
	s_waitcnt lgkmcnt(3)
	v_pk_mul_f32 v[42:43], v[8:9], v[44:45] op_sel_hi:[1,0]
	v_pk_mul_f32 v[44:45], v[10:11], v[46:47] op_sel_hi:[1,0]
	s_waitcnt lgkmcnt(2)
	v_pk_mul_f32 v[46:47], v[12:13], v[48:49] op_sel_hi:[1,0]
	v_pk_mul_f32 v[48:49], v[14:15], v[50:51] op_sel_hi:[1,0]
	s_waitcnt lgkmcnt(1)
	v_pk_mul_f32 v[50:51], v[16:17], v[52:53] op_sel_hi:[1,0]
	v_pk_mul_f32 v[52:53], v[18:19], v[54:55] op_sel_hi:[1,0]
	s_waitcnt lgkmcnt(0)
	v_pk_mul_f32 v[54:55], v[38:39], v[56:57] op_sel_hi:[1,0]
	s_waitcnt vmcnt(9)
	v_pk_fma_f32 v[56:57], v[6:7], v[20:21], v[4:5] op_sel:[0,0,1] op_sel_hi:[1,1,0] neg_lo:[0,0,1] neg_hi:[0,0,1]
	v_pk_fma_f32 v[4:5], v[6:7], v[20:21], v[4:5] op_sel:[0,0,1] op_sel_hi:[1,0,0]
	v_pk_add_f32 v[40:41], v[40:41], 0 op_sel_hi:[1,0]
	s_waitcnt vmcnt(8)
	v_pk_fma_f32 v[6:7], v[8:9], v[22:23], v[42:43] op_sel:[0,0,1] op_sel_hi:[1,1,0] neg_lo:[0,0,1] neg_hi:[0,0,1]
	v_pk_fma_f32 v[8:9], v[8:9], v[22:23], v[42:43] op_sel:[0,0,1] op_sel_hi:[1,0,0]
	v_mov_b32_e32 v57, v5
	s_waitcnt vmcnt(7)
	v_pk_fma_f32 v[20:21], v[10:11], v[24:25], v[44:45] op_sel:[0,0,1] op_sel_hi:[1,1,0] neg_lo:[0,0,1] neg_hi:[0,0,1]
	v_pk_fma_f32 v[10:11], v[10:11], v[24:25], v[44:45] op_sel:[0,0,1] op_sel_hi:[1,0,0]
	v_mov_b32_e32 v7, v9
	v_pk_add_f32 v[4:5], v[40:41], v[56:57]
	s_waitcnt vmcnt(6)
	v_pk_fma_f32 v[22:23], v[12:13], v[26:27], v[46:47] op_sel:[0,0,1] op_sel_hi:[1,1,0] neg_lo:[0,0,1] neg_hi:[0,0,1]
	v_pk_fma_f32 v[12:13], v[12:13], v[26:27], v[46:47] op_sel:[0,0,1] op_sel_hi:[1,0,0]
	v_mov_b32_e32 v21, v11
	v_pk_add_f32 v[4:5], v[4:5], v[6:7]
	;; [unrolled: 5-line block ×5, first 2 shown]
	v_pk_fma_f32 v[30:31], v[38:39], v[34:35], v[54:55] op_sel:[0,0,1] op_sel_hi:[1,1,0] neg_lo:[0,0,1] neg_hi:[0,0,1]
	v_pk_fma_f32 v[32:33], v[38:39], v[34:35], v[54:55] op_sel:[0,0,1] op_sel_hi:[1,0,0]
	v_mov_b32_e32 v29, v19
	v_pk_add_f32 v[4:5], v[4:5], v[26:27]
	v_mov_b32_e32 v31, v33
	v_pk_add_f32 v[4:5], v[4:5], v[28:29]
	v_pk_add_f32 v[4:5], v[4:5], v[30:31]
	s_waitcnt vmcnt(0)
	v_pk_add_f32 v[4:5], v[36:37], v[4:5] neg_lo:[0,1] neg_hi:[0,1]
	buffer_store_dword v4, off, s[0:3], 0 offset:288
	buffer_store_dword v5, off, s[0:3], 0 offset:292
	s_and_saveexec_b64 s[4:5], vcc
	s_cbranch_execz .LBB109_219
; %bb.218:
	buffer_load_dword v4, off, s[0:3], 0 offset:280
	buffer_load_dword v5, off, s[0:3], 0 offset:284
	s_waitcnt vmcnt(0)
	ds_write_b64 v80, v[4:5]
	buffer_store_dword v2, off, s[0:3], 0 offset:280
	buffer_store_dword v2, off, s[0:3], 0 offset:284
.LBB109_219:
	s_or_b64 exec, exec, s[4:5]
	s_waitcnt lgkmcnt(0)
	; wave barrier
	s_waitcnt lgkmcnt(0)
	buffer_load_dword v42, off, s[0:3], 0 offset:292
	buffer_load_dword v44, off, s[0:3], 0 offset:300
	;; [unrolled: 1-line block ×22, first 2 shown]
	ds_read_b128 v[4:7], v2 offset:656
	ds_read_b128 v[8:11], v2 offset:672
	;; [unrolled: 1-line block ×5, first 2 shown]
	v_cmp_lt_u32_e32 vcc, 34, v0
	s_waitcnt vmcnt(21) lgkmcnt(4)
	v_mul_f32_e32 v3, v4, v42
	s_waitcnt vmcnt(20)
	v_mul_f32_e32 v43, v6, v44
	v_mul_f32_e32 v2, v5, v42
	;; [unrolled: 1-line block ×3, first 2 shown]
	s_waitcnt vmcnt(19)
	v_mov_b32_e32 v44, v25
	s_waitcnt vmcnt(18)
	v_mov_b32_e32 v46, v27
	;; [unrolled: 2-line block ×5, first 2 shown]
	v_mov_b32_e32 v50, v31
	s_waitcnt vmcnt(11)
	v_fmac_f32_e32 v3, v5, v45
	v_fma_f32 v2, v4, v45, -v2
	s_waitcnt lgkmcnt(3)
	v_pk_mul_f32 v[4:5], v[8:9], v[44:45] op_sel_hi:[1,0]
	s_waitcnt vmcnt(10)
	v_fmac_f32_e32 v43, v7, v47
	v_fma_f32 v42, v6, v47, -v42
	v_pk_mul_f32 v[6:7], v[10:11], v[46:47] op_sel_hi:[1,0]
	s_waitcnt lgkmcnt(2)
	v_pk_mul_f32 v[44:45], v[12:13], v[48:49] op_sel_hi:[1,0]
	s_waitcnt lgkmcnt(1)
	;; [unrolled: 2-line block ×3, first 2 shown]
	v_pk_mul_f32 v[52:53], v[20:21], v[56:57] op_sel_hi:[1,0]
	v_pk_add_f32 v[2:3], v[2:3], 0 op_sel_hi:[1,0]
	s_waitcnt vmcnt(9)
	v_pk_fma_f32 v[56:57], v[8:9], v[24:25], v[4:5] op_sel:[0,0,1] op_sel_hi:[1,1,0] neg_lo:[0,0,1] neg_hi:[0,0,1]
	v_pk_fma_f32 v[4:5], v[8:9], v[24:25], v[4:5] op_sel:[0,0,1] op_sel_hi:[1,0,0]
	s_waitcnt vmcnt(8)
	v_pk_fma_f32 v[8:9], v[10:11], v[26:27], v[6:7] op_sel:[0,0,1] op_sel_hi:[1,1,0] neg_lo:[0,0,1] neg_hi:[0,0,1]
	v_pk_fma_f32 v[6:7], v[10:11], v[26:27], v[6:7] op_sel:[0,0,1] op_sel_hi:[1,0,0]
	v_pk_add_f32 v[2:3], v[2:3], v[42:43]
	v_mov_b32_e32 v57, v5
	v_pk_mul_f32 v[46:47], v[14:15], v[50:51] op_sel_hi:[1,0]
	s_waitcnt vmcnt(7)
	v_pk_fma_f32 v[10:11], v[12:13], v[28:29], v[44:45] op_sel:[0,0,1] op_sel_hi:[1,1,0] neg_lo:[0,0,1] neg_hi:[0,0,1]
	v_pk_fma_f32 v[12:13], v[12:13], v[28:29], v[44:45] op_sel:[0,0,1] op_sel_hi:[1,0,0]
	v_mov_b32_e32 v9, v7
	v_pk_add_f32 v[2:3], v[2:3], v[56:57]
	v_mov_b32_e32 v54, v35
	s_waitcnt vmcnt(6)
	v_pk_fma_f32 v[24:25], v[14:15], v[30:31], v[46:47] op_sel:[0,0,1] op_sel_hi:[1,1,0] neg_lo:[0,0,1] neg_hi:[0,0,1]
	v_pk_fma_f32 v[14:15], v[14:15], v[30:31], v[46:47] op_sel:[0,0,1] op_sel_hi:[1,0,0]
	v_mov_b32_e32 v11, v13
	v_pk_add_f32 v[2:3], v[2:3], v[8:9]
	v_pk_mul_f32 v[50:51], v[18:19], v[54:55] op_sel_hi:[1,0]
	s_waitcnt vmcnt(5)
	v_pk_fma_f32 v[26:27], v[16:17], v[32:33], v[48:49] op_sel:[0,0,1] op_sel_hi:[1,1,0] neg_lo:[0,0,1] neg_hi:[0,0,1]
	v_pk_fma_f32 v[16:17], v[16:17], v[32:33], v[48:49] op_sel:[0,0,1] op_sel_hi:[1,0,0]
	v_mov_b32_e32 v25, v15
	v_pk_add_f32 v[2:3], v[2:3], v[10:11]
	v_mov_b32_e32 v58, v39
	s_waitcnt vmcnt(2)
	v_pk_fma_f32 v[28:29], v[18:19], v[34:35], v[50:51] op_sel:[0,0,1] op_sel_hi:[1,1,0] neg_lo:[0,0,1] neg_hi:[0,0,1]
	v_pk_fma_f32 v[18:19], v[18:19], v[34:35], v[50:51] op_sel:[0,0,1] op_sel_hi:[1,0,0]
	v_mov_b32_e32 v27, v17
	v_pk_add_f32 v[2:3], v[2:3], v[24:25]
	v_pk_mul_f32 v[54:55], v[22:23], v[58:59] op_sel_hi:[1,0]
	v_pk_fma_f32 v[30:31], v[20:21], v[36:37], v[52:53] op_sel:[0,0,1] op_sel_hi:[1,1,0] neg_lo:[0,0,1] neg_hi:[0,0,1]
	v_pk_fma_f32 v[20:21], v[20:21], v[36:37], v[52:53] op_sel:[0,0,1] op_sel_hi:[1,0,0]
	v_mov_b32_e32 v29, v19
	v_pk_add_f32 v[2:3], v[2:3], v[26:27]
	v_pk_fma_f32 v[32:33], v[22:23], v[38:39], v[54:55] op_sel:[0,0,1] op_sel_hi:[1,1,0] neg_lo:[0,0,1] neg_hi:[0,0,1]
	v_pk_fma_f32 v[22:23], v[22:23], v[38:39], v[54:55] op_sel:[0,0,1] op_sel_hi:[1,0,0]
	v_mov_b32_e32 v31, v21
	v_pk_add_f32 v[2:3], v[2:3], v[28:29]
	v_mov_b32_e32 v33, v23
	v_pk_add_f32 v[2:3], v[2:3], v[30:31]
	v_pk_add_f32 v[2:3], v[2:3], v[32:33]
	s_waitcnt vmcnt(0)
	v_pk_add_f32 v[2:3], v[40:41], v[2:3] neg_lo:[0,1] neg_hi:[0,1]
	buffer_store_dword v2, off, s[0:3], 0 offset:280
	buffer_store_dword v3, off, s[0:3], 0 offset:284
	s_and_saveexec_b64 s[4:5], vcc
	s_cbranch_execz .LBB109_221
; %bb.220:
	buffer_load_dword v2, off, s[0:3], 0 offset:272
	buffer_load_dword v3, off, s[0:3], 0 offset:276
	v_mov_b32_e32 v4, 0
	buffer_store_dword v4, off, s[0:3], 0 offset:272
	buffer_store_dword v4, off, s[0:3], 0 offset:276
	s_waitcnt vmcnt(2)
	ds_write_b64 v80, v[2:3]
.LBB109_221:
	s_or_b64 exec, exec, s[4:5]
	s_waitcnt lgkmcnt(0)
	; wave barrier
	s_waitcnt lgkmcnt(0)
	buffer_load_dword v3, off, s[0:3], 0 offset:284
	buffer_load_dword v44, off, s[0:3], 0 offset:292
	;; [unrolled: 1-line block ×24, first 2 shown]
	v_mov_b32_e32 v2, 0
	ds_read2_b64 v[4:7], v2 offset0:81 offset1:82
	ds_read2_b64 v[8:11], v2 offset0:83 offset1:84
	ds_read2_b64 v[12:15], v2 offset0:85 offset1:86
	ds_read2_b64 v[16:19], v2 offset0:87 offset1:88
	ds_read2_b64 v[20:23], v2 offset0:89 offset1:90
	ds_read_b64 v[42:43], v2 offset:728
	v_cmp_lt_u32_e32 vcc, 33, v0
	s_waitcnt vmcnt(23) lgkmcnt(5)
	v_mul_f32_e32 v57, v4, v3
	v_mul_f32_e32 v3, v5, v3
	s_waitcnt vmcnt(22)
	v_mul_f32_e32 v45, v6, v44
	s_waitcnt vmcnt(21) lgkmcnt(4)
	v_mul_f32_e32 v47, v8, v46
	v_mul_f32_e32 v44, v7, v44
	;; [unrolled: 1-line block ×3, first 2 shown]
	s_waitcnt vmcnt(20)
	v_mov_b32_e32 v48, v25
	s_waitcnt vmcnt(19)
	v_mov_b32_e32 v50, v27
	;; [unrolled: 2-line block ×5, first 2 shown]
	s_waitcnt vmcnt(12)
	v_fmac_f32_e32 v57, v5, v49
	v_fma_f32 v3, v4, v49, -v3
	v_mov_b32_e32 v58, v35
	s_waitcnt vmcnt(11)
	v_fmac_f32_e32 v45, v7, v51
	s_waitcnt vmcnt(10)
	v_fmac_f32_e32 v47, v9, v53
	v_fma_f32 v44, v6, v51, -v44
	v_fma_f32 v46, v8, v53, -v46
	v_pk_mul_f32 v[4:5], v[10:11], v[48:49] op_sel_hi:[1,0]
	s_waitcnt lgkmcnt(3)
	v_pk_mul_f32 v[6:7], v[12:13], v[50:51] op_sel_hi:[1,0]
	v_pk_mul_f32 v[8:9], v[14:15], v[52:53] op_sel_hi:[1,0]
	s_waitcnt lgkmcnt(2)
	v_pk_mul_f32 v[48:49], v[16:17], v[54:55] op_sel_hi:[1,0]
	v_pk_mul_f32 v[50:51], v[18:19], v[56:57] op_sel_hi:[1,0]
	v_add_f32_e32 v57, 0, v57
	v_add_f32_e32 v56, 0, v3
	s_waitcnt lgkmcnt(1)
	v_pk_mul_f32 v[52:53], v[20:21], v[58:59] op_sel_hi:[1,0]
	s_waitcnt vmcnt(9)
	v_pk_fma_f32 v[58:59], v[10:11], v[24:25], v[4:5] op_sel:[0,0,1] op_sel_hi:[1,1,0] neg_lo:[0,0,1] neg_hi:[0,0,1]
	v_pk_fma_f32 v[4:5], v[10:11], v[24:25], v[4:5] op_sel:[0,0,1] op_sel_hi:[1,0,0]
	s_waitcnt vmcnt(8)
	v_pk_fma_f32 v[10:11], v[12:13], v[26:27], v[6:7] op_sel:[0,0,1] op_sel_hi:[1,1,0] neg_lo:[0,0,1] neg_hi:[0,0,1]
	v_pk_fma_f32 v[6:7], v[12:13], v[26:27], v[6:7] op_sel:[0,0,1] op_sel_hi:[1,0,0]
	;; [unrolled: 3-line block ×4, first 2 shown]
	v_pk_add_f32 v[30:31], v[56:57], v[44:45]
	v_mov_b32_e32 v59, v5
	v_pk_add_f32 v[4:5], v[30:31], v[46:47]
	v_mov_b32_e32 v11, v7
	;; [unrolled: 2-line block ×4, first 2 shown]
	s_waitcnt vmcnt(2)
	v_pk_fma_f32 v[24:25], v[18:19], v[32:33], v[50:51] op_sel:[0,0,1] op_sel_hi:[1,1,0] neg_lo:[0,0,1] neg_hi:[0,0,1]
	v_pk_fma_f32 v[18:19], v[18:19], v[32:33], v[50:51] op_sel:[0,0,1] op_sel_hi:[1,0,0]
	v_mov_b32_e32 v15, v17
	v_pk_add_f32 v[4:5], v[4:5], v[12:13]
	v_mov_b32_e32 v62, v39
	v_pk_mul_f32 v[54:55], v[22:23], v[60:61] op_sel_hi:[1,0]
	v_pk_fma_f32 v[26:27], v[20:21], v[34:35], v[52:53] op_sel:[0,0,1] op_sel_hi:[1,1,0] neg_lo:[0,0,1] neg_hi:[0,0,1]
	v_pk_fma_f32 v[20:21], v[20:21], v[34:35], v[52:53] op_sel:[0,0,1] op_sel_hi:[1,0,0]
	v_mov_b32_e32 v25, v19
	v_pk_add_f32 v[4:5], v[4:5], v[14:15]
	v_pk_fma_f32 v[28:29], v[22:23], v[36:37], v[54:55] op_sel:[0,0,1] op_sel_hi:[1,1,0] neg_lo:[0,0,1] neg_hi:[0,0,1]
	v_pk_fma_f32 v[22:23], v[22:23], v[36:37], v[54:55] op_sel:[0,0,1] op_sel_hi:[1,0,0]
	v_mov_b32_e32 v27, v21
	v_pk_add_f32 v[4:5], v[4:5], v[24:25]
	s_waitcnt lgkmcnt(0)
	v_pk_mul_f32 v[6:7], v[42:43], v[62:63] op_sel_hi:[1,0]
	v_mov_b32_e32 v29, v23
	v_pk_add_f32 v[4:5], v[4:5], v[26:27]
	v_pk_fma_f32 v[8:9], v[42:43], v[38:39], v[6:7] op_sel:[0,0,1] op_sel_hi:[1,1,0] neg_lo:[0,0,1] neg_hi:[0,0,1]
	v_pk_fma_f32 v[6:7], v[42:43], v[38:39], v[6:7] op_sel:[0,0,1] op_sel_hi:[1,0,0]
	v_pk_add_f32 v[4:5], v[4:5], v[28:29]
	v_mov_b32_e32 v9, v7
	v_pk_add_f32 v[4:5], v[4:5], v[8:9]
	s_waitcnt vmcnt(0)
	v_pk_add_f32 v[4:5], v[40:41], v[4:5] neg_lo:[0,1] neg_hi:[0,1]
	buffer_store_dword v5, off, s[0:3], 0 offset:276
	buffer_store_dword v4, off, s[0:3], 0 offset:272
	s_and_saveexec_b64 s[4:5], vcc
	s_cbranch_execz .LBB109_223
; %bb.222:
	buffer_load_dword v4, off, s[0:3], 0 offset:264
	buffer_load_dword v5, off, s[0:3], 0 offset:268
	s_waitcnt vmcnt(0)
	ds_write_b64 v80, v[4:5]
	buffer_store_dword v2, off, s[0:3], 0 offset:264
	buffer_store_dword v2, off, s[0:3], 0 offset:268
.LBB109_223:
	s_or_b64 exec, exec, s[4:5]
	s_waitcnt lgkmcnt(0)
	; wave barrier
	s_waitcnt lgkmcnt(0)
	buffer_load_dword v46, off, s[0:3], 0 offset:276
	buffer_load_dword v48, off, s[0:3], 0 offset:284
	;; [unrolled: 1-line block ×26, first 2 shown]
	ds_read_b128 v[4:7], v2 offset:640
	ds_read_b128 v[8:11], v2 offset:656
	;; [unrolled: 1-line block ×6, first 2 shown]
	v_cmp_lt_u32_e32 vcc, 32, v0
	s_waitcnt vmcnt(25) lgkmcnt(5)
	v_mul_f32_e32 v59, v4, v46
	v_mul_f32_e32 v2, v5, v46
	s_waitcnt vmcnt(24)
	v_mul_f32_e32 v60, v6, v48
	s_waitcnt vmcnt(23) lgkmcnt(4)
	v_mul_f32_e32 v3, v8, v49
	s_waitcnt vmcnt(22)
	v_mul_f32_e32 v47, v10, v50
	v_mul_f32_e32 v46, v7, v48
	;; [unrolled: 1-line block ×4, first 2 shown]
	s_waitcnt vmcnt(21)
	v_mov_b32_e32 v48, v29
	s_waitcnt vmcnt(20)
	v_mov_b32_e32 v50, v31
	s_waitcnt vmcnt(18)
	v_mov_b32_e32 v54, v35
	s_waitcnt vmcnt(15)
	v_fmac_f32_e32 v59, v5, v51
	v_fma_f32 v62, v4, v51, -v2
	v_mov_b32_e32 v52, v33
	s_waitcnt vmcnt(14)
	v_fmac_f32_e32 v60, v7, v53
	s_waitcnt vmcnt(13)
	v_fmac_f32_e32 v3, v9, v55
	s_waitcnt vmcnt(12)
	v_fmac_f32_e32 v47, v11, v57
	v_fma_f32 v63, v6, v53, -v46
	v_fma_f32 v2, v8, v55, -v49
	;; [unrolled: 1-line block ×3, first 2 shown]
	s_waitcnt lgkmcnt(3)
	v_pk_mul_f32 v[4:5], v[12:13], v[48:49] op_sel_hi:[1,0]
	v_pk_mul_f32 v[6:7], v[14:15], v[50:51] op_sel_hi:[1,0]
	s_waitcnt lgkmcnt(2)
	v_pk_mul_f32 v[10:11], v[18:19], v[54:55] op_sel_hi:[1,0]
	v_add_f32_e32 v54, 0, v59
	v_add_f32_e32 v55, 0, v62
	v_pk_mul_f32 v[8:9], v[16:17], v[52:53] op_sel_hi:[1,0]
	s_waitcnt vmcnt(11)
	v_pk_fma_f32 v[52:53], v[12:13], v[28:29], v[4:5] op_sel:[0,0,1] op_sel_hi:[1,1,0] neg_lo:[0,0,1] neg_hi:[0,0,1]
	v_pk_fma_f32 v[4:5], v[12:13], v[28:29], v[4:5] op_sel:[0,0,1] op_sel_hi:[1,0,0]
	s_waitcnt vmcnt(10)
	v_pk_fma_f32 v[12:13], v[14:15], v[30:31], v[6:7] op_sel:[0,0,1] op_sel_hi:[1,1,0] neg_lo:[0,0,1] neg_hi:[0,0,1]
	v_pk_fma_f32 v[6:7], v[14:15], v[30:31], v[6:7] op_sel:[0,0,1] op_sel_hi:[1,0,0]
	v_add_f32_e32 v31, v54, v60
	v_add_f32_e32 v30, v55, v63
	v_pk_add_f32 v[2:3], v[30:31], v[2:3]
	v_mov_b32_e32 v53, v5
	v_pk_add_f32 v[2:3], v[2:3], v[46:47]
	v_mov_b32_e32 v56, v37
	s_waitcnt vmcnt(9)
	v_pk_fma_f32 v[14:15], v[16:17], v[32:33], v[8:9] op_sel:[0,0,1] op_sel_hi:[1,1,0] neg_lo:[0,0,1] neg_hi:[0,0,1]
	v_pk_fma_f32 v[8:9], v[16:17], v[32:33], v[8:9] op_sel:[0,0,1] op_sel_hi:[1,0,0]
	v_mov_b32_e32 v13, v7
	v_pk_add_f32 v[2:3], v[2:3], v[52:53]
	v_mov_b32_e32 v58, v39
	s_waitcnt lgkmcnt(1)
	v_pk_mul_f32 v[48:49], v[20:21], v[56:57] op_sel_hi:[1,0]
	s_waitcnt vmcnt(5)
	v_pk_fma_f32 v[16:17], v[18:19], v[34:35], v[10:11] op_sel:[0,0,1] op_sel_hi:[1,1,0] neg_lo:[0,0,1] neg_hi:[0,0,1]
	v_pk_fma_f32 v[10:11], v[18:19], v[34:35], v[10:11] op_sel:[0,0,1] op_sel_hi:[1,0,0]
	v_mov_b32_e32 v15, v9
	v_pk_add_f32 v[2:3], v[2:3], v[12:13]
	s_waitcnt vmcnt(4)
	v_mov_b32_e32 v4, v41
	v_pk_mul_f32 v[50:51], v[22:23], v[58:59] op_sel_hi:[1,0]
	v_pk_fma_f32 v[18:19], v[20:21], v[36:37], v[48:49] op_sel:[0,0,1] op_sel_hi:[1,1,0] neg_lo:[0,0,1] neg_hi:[0,0,1]
	v_pk_fma_f32 v[20:21], v[20:21], v[36:37], v[48:49] op_sel:[0,0,1] op_sel_hi:[1,0,0]
	v_mov_b32_e32 v17, v11
	v_pk_add_f32 v[2:3], v[2:3], v[14:15]
	s_waitcnt lgkmcnt(0)
	v_pk_mul_f32 v[4:5], v[24:25], v[4:5] op_sel_hi:[1,0]
	v_pk_fma_f32 v[28:29], v[22:23], v[38:39], v[50:51] op_sel:[0,0,1] op_sel_hi:[1,1,0] neg_lo:[0,0,1] neg_hi:[0,0,1]
	v_pk_fma_f32 v[22:23], v[22:23], v[38:39], v[50:51] op_sel:[0,0,1] op_sel_hi:[1,0,0]
	v_mov_b32_e32 v19, v21
	v_pk_add_f32 v[2:3], v[2:3], v[16:17]
	v_pk_fma_f32 v[6:7], v[24:25], v[40:41], v[4:5] op_sel:[0,0,1] op_sel_hi:[1,1,0] neg_lo:[0,0,1] neg_hi:[0,0,1]
	v_pk_fma_f32 v[4:5], v[24:25], v[40:41], v[4:5] op_sel:[0,0,1] op_sel_hi:[1,0,0]
	v_mov_b32_e32 v29, v23
	v_pk_add_f32 v[2:3], v[2:3], v[18:19]
	s_waitcnt vmcnt(3)
	v_mov_b32_e32 v4, v43
	v_pk_add_f32 v[2:3], v[2:3], v[28:29]
	v_mov_b32_e32 v7, v5
	v_pk_mul_f32 v[4:5], v[26:27], v[4:5] op_sel_hi:[1,0]
	v_pk_add_f32 v[2:3], v[2:3], v[6:7]
	s_waitcnt vmcnt(2)
	v_pk_fma_f32 v[6:7], v[26:27], v[42:43], v[4:5] op_sel:[0,0,1] op_sel_hi:[1,1,0] neg_lo:[0,0,1] neg_hi:[0,0,1]
	v_pk_fma_f32 v[4:5], v[26:27], v[42:43], v[4:5] op_sel:[0,0,1] op_sel_hi:[1,0,0]
	v_mov_b32_e32 v7, v5
	v_pk_add_f32 v[2:3], v[2:3], v[6:7]
	s_waitcnt vmcnt(0)
	v_pk_add_f32 v[2:3], v[44:45], v[2:3] neg_lo:[0,1] neg_hi:[0,1]
	buffer_store_dword v3, off, s[0:3], 0 offset:268
	buffer_store_dword v2, off, s[0:3], 0 offset:264
	s_and_saveexec_b64 s[4:5], vcc
	s_cbranch_execz .LBB109_225
; %bb.224:
	buffer_load_dword v2, off, s[0:3], 0 offset:256
	buffer_load_dword v3, off, s[0:3], 0 offset:260
	v_mov_b32_e32 v4, 0
	buffer_store_dword v4, off, s[0:3], 0 offset:256
	buffer_store_dword v4, off, s[0:3], 0 offset:260
	s_waitcnt vmcnt(2)
	ds_write_b64 v80, v[2:3]
.LBB109_225:
	s_or_b64 exec, exec, s[4:5]
	s_waitcnt lgkmcnt(0)
	; wave barrier
	s_waitcnt lgkmcnt(0)
	buffer_load_dword v3, off, s[0:3], 0 offset:268
	buffer_load_dword v48, off, s[0:3], 0 offset:276
	;; [unrolled: 1-line block ×28, first 2 shown]
	v_mov_b32_e32 v2, 0
	ds_read2_b64 v[4:7], v2 offset0:79 offset1:80
	ds_read2_b64 v[8:11], v2 offset0:81 offset1:82
	ds_read2_b64 v[12:15], v2 offset0:83 offset1:84
	ds_read2_b64 v[16:19], v2 offset0:85 offset1:86
	ds_read2_b64 v[20:23], v2 offset0:87 offset1:88
	ds_read2_b64 v[24:27], v2 offset0:89 offset1:90
	ds_read_b64 v[46:47], v2 offset:728
	v_cmp_lt_u32_e32 vcc, 31, v0
	s_waitcnt vmcnt(27) lgkmcnt(6)
	v_mul_f32_e32 v63, v4, v3
	v_mul_f32_e32 v3, v5, v3
	s_waitcnt vmcnt(26)
	v_mul_f32_e32 v64, v6, v48
	s_waitcnt vmcnt(24) lgkmcnt(5)
	v_mul_f32_e32 v49, v10, v52
	s_waitcnt vmcnt(23) lgkmcnt(4)
	v_mul_f32_e32 v51, v12, v53
	v_mul_f32_e32 v66, v11, v52
	;; [unrolled: 1-line block ×3, first 2 shown]
	s_waitcnt vmcnt(22)
	v_mov_b32_e32 v52, v29
	v_mul_f32_e32 v65, v8, v50
	v_mul_f32_e32 v48, v7, v48
	;; [unrolled: 1-line block ×3, first 2 shown]
	s_waitcnt vmcnt(17)
	v_fmac_f32_e32 v63, v5, v55
	v_fma_f32 v3, v4, v55, -v3
	v_pk_mul_f32 v[4:5], v[14:15], v[52:53] op_sel_hi:[1,0]
	s_waitcnt vmcnt(16)
	v_fmac_f32_e32 v64, v7, v57
	s_waitcnt vmcnt(13)
	v_fmac_f32_e32 v51, v13, v62
	v_fma_f32 v55, v6, v57, -v48
	v_fma_f32 v57, v8, v59, -v50
	;; [unrolled: 1-line block ×3, first 2 shown]
	v_add_f32_e32 v52, 0, v63
	v_add_f32_e32 v3, 0, v3
	s_waitcnt vmcnt(12)
	v_pk_fma_f32 v[12:13], v[14:15], v[28:29], v[4:5] op_sel:[0,0,1] op_sel_hi:[1,1,0] neg_lo:[0,0,1] neg_hi:[0,0,1]
	v_pk_fma_f32 v[4:5], v[14:15], v[28:29], v[4:5] op_sel:[0,0,1] op_sel_hi:[1,0,0]
	v_fmac_f32_e32 v65, v9, v59
	v_add_f32_e32 v4, v52, v64
	v_add_f32_e32 v3, v3, v55
	v_mov_b32_e32 v54, v31
	v_fmac_f32_e32 v49, v11, v61
	v_fma_f32 v48, v10, v61, -v66
	v_mov_b32_e32 v13, v5
	v_add_f32_e32 v5, v4, v65
	v_add_f32_e32 v4, v3, v57
	v_mov_b32_e32 v56, v33
	s_waitcnt lgkmcnt(3)
	v_pk_mul_f32 v[6:7], v[16:17], v[54:55] op_sel_hi:[1,0]
	v_pk_add_f32 v[4:5], v[4:5], v[48:49]
	v_mov_b32_e32 v58, v35
	v_mov_b32_e32 v60, v37
	v_pk_mul_f32 v[8:9], v[18:19], v[56:57] op_sel_hi:[1,0]
	s_waitcnt vmcnt(11)
	v_pk_fma_f32 v[14:15], v[16:17], v[30:31], v[6:7] op_sel:[0,0,1] op_sel_hi:[1,1,0] neg_lo:[0,0,1] neg_hi:[0,0,1]
	v_pk_fma_f32 v[6:7], v[16:17], v[30:31], v[6:7] op_sel:[0,0,1] op_sel_hi:[1,0,0]
	v_pk_add_f32 v[4:5], v[4:5], v[50:51]
	s_waitcnt lgkmcnt(2)
	v_pk_mul_f32 v[10:11], v[20:21], v[58:59] op_sel_hi:[1,0]
	s_waitcnt vmcnt(7)
	v_pk_fma_f32 v[16:17], v[18:19], v[32:33], v[8:9] op_sel:[0,0,1] op_sel_hi:[1,1,0] neg_lo:[0,0,1] neg_hi:[0,0,1]
	v_pk_fma_f32 v[8:9], v[18:19], v[32:33], v[8:9] op_sel:[0,0,1] op_sel_hi:[1,0,0]
	v_mov_b32_e32 v15, v7
	v_pk_add_f32 v[4:5], v[4:5], v[12:13]
	v_pk_mul_f32 v[6:7], v[22:23], v[60:61] op_sel_hi:[1,0]
	v_pk_fma_f32 v[18:19], v[20:21], v[34:35], v[10:11] op_sel:[0,0,1] op_sel_hi:[1,1,0] neg_lo:[0,0,1] neg_hi:[0,0,1]
	v_pk_fma_f32 v[10:11], v[20:21], v[34:35], v[10:11] op_sel:[0,0,1] op_sel_hi:[1,0,0]
	v_mov_b32_e32 v17, v9
	v_pk_add_f32 v[4:5], v[4:5], v[14:15]
	v_pk_fma_f32 v[8:9], v[22:23], v[36:37], v[6:7] op_sel:[0,0,1] op_sel_hi:[1,1,0] neg_lo:[0,0,1] neg_hi:[0,0,1]
	v_pk_fma_f32 v[6:7], v[22:23], v[36:37], v[6:7] op_sel:[0,0,1] op_sel_hi:[1,0,0]
	v_mov_b32_e32 v19, v11
	v_pk_add_f32 v[4:5], v[4:5], v[16:17]
	s_waitcnt vmcnt(6)
	v_mov_b32_e32 v6, v39
	v_pk_add_f32 v[4:5], v[4:5], v[18:19]
	v_mov_b32_e32 v9, v7
	s_waitcnt lgkmcnt(1)
	v_pk_mul_f32 v[6:7], v[24:25], v[6:7] op_sel_hi:[1,0]
	v_pk_add_f32 v[4:5], v[4:5], v[8:9]
	v_pk_fma_f32 v[8:9], v[24:25], v[38:39], v[6:7] op_sel:[0,0,1] op_sel_hi:[1,1,0] neg_lo:[0,0,1] neg_hi:[0,0,1]
	v_pk_fma_f32 v[6:7], v[24:25], v[38:39], v[6:7] op_sel:[0,0,1] op_sel_hi:[1,0,0]
	s_waitcnt vmcnt(5)
	v_mov_b32_e32 v6, v41
	v_mov_b32_e32 v9, v7
	v_pk_mul_f32 v[6:7], v[26:27], v[6:7] op_sel_hi:[1,0]
	v_pk_add_f32 v[4:5], v[4:5], v[8:9]
	s_waitcnt vmcnt(3)
	v_pk_fma_f32 v[8:9], v[26:27], v[40:41], v[6:7] op_sel:[0,0,1] op_sel_hi:[1,1,0] neg_lo:[0,0,1] neg_hi:[0,0,1]
	v_pk_fma_f32 v[6:7], v[26:27], v[40:41], v[6:7] op_sel:[0,0,1] op_sel_hi:[1,0,0]
	s_waitcnt vmcnt(2)
	v_mov_b32_e32 v6, v43
	v_mov_b32_e32 v9, v7
	s_waitcnt lgkmcnt(0)
	v_pk_mul_f32 v[6:7], v[46:47], v[6:7] op_sel_hi:[1,0]
	v_pk_add_f32 v[4:5], v[4:5], v[8:9]
	v_pk_fma_f32 v[8:9], v[46:47], v[42:43], v[6:7] op_sel:[0,0,1] op_sel_hi:[1,1,0] neg_lo:[0,0,1] neg_hi:[0,0,1]
	v_pk_fma_f32 v[6:7], v[46:47], v[42:43], v[6:7] op_sel:[0,0,1] op_sel_hi:[1,0,0]
	v_mov_b32_e32 v9, v7
	v_pk_add_f32 v[4:5], v[4:5], v[8:9]
	s_waitcnt vmcnt(0)
	v_pk_add_f32 v[4:5], v[44:45], v[4:5] neg_lo:[0,1] neg_hi:[0,1]
	buffer_store_dword v5, off, s[0:3], 0 offset:260
	buffer_store_dword v4, off, s[0:3], 0 offset:256
	s_and_saveexec_b64 s[4:5], vcc
	s_cbranch_execz .LBB109_227
; %bb.226:
	buffer_load_dword v4, off, s[0:3], 0 offset:248
	buffer_load_dword v5, off, s[0:3], 0 offset:252
	s_waitcnt vmcnt(0)
	ds_write_b64 v80, v[4:5]
	buffer_store_dword v2, off, s[0:3], 0 offset:248
	buffer_store_dword v2, off, s[0:3], 0 offset:252
.LBB109_227:
	s_or_b64 exec, exec, s[4:5]
	s_waitcnt lgkmcnt(0)
	; wave barrier
	s_waitcnt lgkmcnt(0)
	buffer_load_dword v50, off, s[0:3], 0 offset:260
	buffer_load_dword v52, off, s[0:3], 0 offset:268
	buffer_load_dword v53, off, s[0:3], 0 offset:276
	buffer_load_dword v54, off, s[0:3], 0 offset:284
	buffer_load_dword v55, off, s[0:3], 0 offset:292
	buffer_load_dword v56, off, s[0:3], 0 offset:300
	buffer_load_dword v33, off, s[0:3], 0 offset:308
	buffer_load_dword v35, off, s[0:3], 0 offset:316
	buffer_load_dword v37, off, s[0:3], 0 offset:324
	buffer_load_dword v57, off, s[0:3], 0 offset:256
	buffer_load_dword v58, off, s[0:3], 0 offset:264
	buffer_load_dword v59, off, s[0:3], 0 offset:272
	buffer_load_dword v60, off, s[0:3], 0 offset:280
	buffer_load_dword v61, off, s[0:3], 0 offset:288
	buffer_load_dword v62, off, s[0:3], 0 offset:296
	buffer_load_dword v32, off, s[0:3], 0 offset:304
	buffer_load_dword v38, off, s[0:3], 0 offset:336
	buffer_load_dword v40, off, s[0:3], 0 offset:328
	buffer_load_dword v36, off, s[0:3], 0 offset:320
	buffer_load_dword v34, off, s[0:3], 0 offset:312
	buffer_load_dword v41, off, s[0:3], 0 offset:332
	buffer_load_dword v39, off, s[0:3], 0 offset:340
	buffer_load_dword v43, off, s[0:3], 0 offset:348
	buffer_load_dword v44, off, s[0:3], 0 offset:360
	buffer_load_dword v46, off, s[0:3], 0 offset:352
	buffer_load_dword v42, off, s[0:3], 0 offset:344
	buffer_load_dword v47, off, s[0:3], 0 offset:356
	buffer_load_dword v48, off, s[0:3], 0 offset:248
	buffer_load_dword v49, off, s[0:3], 0 offset:252
	buffer_load_dword v45, off, s[0:3], 0 offset:364
	ds_read_b128 v[4:7], v2 offset:624
	ds_read_b128 v[8:11], v2 offset:640
	;; [unrolled: 1-line block ×7, first 2 shown]
	v_cmp_lt_u32_e32 vcc, 30, v0
	s_waitcnt vmcnt(29) lgkmcnt(6)
	v_mul_f32_e32 v63, v4, v50
	s_waitcnt vmcnt(28)
	v_mul_f32_e32 v64, v6, v52
	s_waitcnt vmcnt(27) lgkmcnt(5)
	v_mul_f32_e32 v65, v8, v53
	v_mul_f32_e32 v53, v9, v53
	s_waitcnt vmcnt(26)
	v_mul_f32_e32 v66, v10, v54
	s_waitcnt vmcnt(25) lgkmcnt(4)
	v_mul_f32_e32 v3, v12, v55
	v_mul_f32_e32 v2, v5, v50
	;; [unrolled: 1-line block ×5, first 2 shown]
	s_waitcnt vmcnt(23)
	v_mov_b32_e32 v52, v33
	s_waitcnt vmcnt(22)
	v_mov_b32_e32 v54, v35
	s_waitcnt vmcnt(18)
	v_fma_f32 v53, v8, v59, -v53
	v_fmac_f32_e32 v63, v5, v57
	v_fmac_f32_e32 v64, v7, v58
	s_waitcnt vmcnt(17)
	v_fmac_f32_e32 v66, v11, v60
	v_fma_f32 v11, v4, v57, -v2
	v_fma_f32 v57, v6, v58, -v50
	s_waitcnt lgkmcnt(3)
	v_pk_mul_f32 v[4:5], v[16:17], v[52:53] op_sel_hi:[1,0]
	v_pk_mul_f32 v[6:7], v[18:19], v[54:55] op_sel_hi:[1,0]
	s_waitcnt vmcnt(16)
	v_fmac_f32_e32 v3, v13, v61
	v_fma_f32 v58, v10, v60, -v67
	v_fma_f32 v2, v12, v61, -v55
	v_add_f32_e32 v52, 0, v63
	v_add_f32_e32 v54, 0, v11
	s_waitcnt vmcnt(14)
	v_pk_fma_f32 v[10:11], v[16:17], v[32:33], v[4:5] op_sel:[0,0,1] op_sel_hi:[1,1,0] neg_lo:[0,0,1] neg_hi:[0,0,1]
	v_pk_fma_f32 v[4:5], v[16:17], v[32:33], v[4:5] op_sel:[0,0,1] op_sel_hi:[1,0,0]
	s_waitcnt vmcnt(10)
	v_pk_fma_f32 v[12:13], v[18:19], v[34:35], v[6:7] op_sel:[0,0,1] op_sel_hi:[1,1,0] neg_lo:[0,0,1] neg_hi:[0,0,1]
	v_pk_fma_f32 v[6:7], v[18:19], v[34:35], v[6:7] op_sel:[0,0,1] op_sel_hi:[1,0,0]
	v_fmac_f32_e32 v65, v9, v59
	v_add_f32_e32 v4, v52, v64
	v_add_f32_e32 v6, v54, v57
	;; [unrolled: 1-line block ×4, first 2 shown]
	v_mul_f32_e32 v51, v14, v56
	v_mul_f32_e32 v68, v15, v56
	v_mov_b32_e32 v11, v5
	v_add_f32_e32 v5, v4, v66
	v_add_f32_e32 v4, v6, v58
	v_mov_b32_e32 v56, v37
	v_fmac_f32_e32 v51, v15, v62
	v_fma_f32 v50, v14, v62, -v68
	v_pk_add_f32 v[2:3], v[4:5], v[2:3]
	s_waitcnt vmcnt(9)
	v_mov_b32_e32 v4, v41
	s_waitcnt lgkmcnt(2)
	v_pk_mul_f32 v[8:9], v[20:21], v[56:57] op_sel_hi:[1,0]
	v_pk_add_f32 v[2:3], v[2:3], v[50:51]
	v_pk_mul_f32 v[4:5], v[22:23], v[4:5] op_sel_hi:[1,0]
	v_pk_fma_f32 v[14:15], v[20:21], v[36:37], v[8:9] op_sel:[0,0,1] op_sel_hi:[1,1,0] neg_lo:[0,0,1] neg_hi:[0,0,1]
	v_pk_fma_f32 v[8:9], v[20:21], v[36:37], v[8:9] op_sel:[0,0,1] op_sel_hi:[1,0,0]
	v_mov_b32_e32 v13, v7
	v_pk_add_f32 v[2:3], v[2:3], v[10:11]
	v_pk_fma_f32 v[6:7], v[22:23], v[40:41], v[4:5] op_sel:[0,0,1] op_sel_hi:[1,1,0] neg_lo:[0,0,1] neg_hi:[0,0,1]
	v_pk_fma_f32 v[4:5], v[22:23], v[40:41], v[4:5] op_sel:[0,0,1] op_sel_hi:[1,0,0]
	v_mov_b32_e32 v15, v9
	v_pk_add_f32 v[2:3], v[2:3], v[12:13]
	s_waitcnt vmcnt(8)
	v_mov_b32_e32 v4, v39
	v_pk_add_f32 v[2:3], v[2:3], v[14:15]
	v_mov_b32_e32 v7, v5
	s_waitcnt lgkmcnt(1)
	v_pk_mul_f32 v[4:5], v[24:25], v[4:5] op_sel_hi:[1,0]
	v_pk_add_f32 v[2:3], v[2:3], v[6:7]
	v_pk_fma_f32 v[6:7], v[24:25], v[38:39], v[4:5] op_sel:[0,0,1] op_sel_hi:[1,1,0] neg_lo:[0,0,1] neg_hi:[0,0,1]
	v_pk_fma_f32 v[4:5], v[24:25], v[38:39], v[4:5] op_sel:[0,0,1] op_sel_hi:[1,0,0]
	s_waitcnt vmcnt(7)
	v_mov_b32_e32 v4, v43
	v_mov_b32_e32 v7, v5
	v_pk_mul_f32 v[4:5], v[26:27], v[4:5] op_sel_hi:[1,0]
	v_pk_add_f32 v[2:3], v[2:3], v[6:7]
	s_waitcnt vmcnt(4)
	v_pk_fma_f32 v[6:7], v[26:27], v[42:43], v[4:5] op_sel:[0,0,1] op_sel_hi:[1,1,0] neg_lo:[0,0,1] neg_hi:[0,0,1]
	v_pk_fma_f32 v[4:5], v[26:27], v[42:43], v[4:5] op_sel:[0,0,1] op_sel_hi:[1,0,0]
	s_waitcnt vmcnt(3)
	v_mov_b32_e32 v4, v47
	v_mov_b32_e32 v7, v5
	s_waitcnt lgkmcnt(0)
	v_pk_mul_f32 v[4:5], v[28:29], v[4:5] op_sel_hi:[1,0]
	v_pk_add_f32 v[2:3], v[2:3], v[6:7]
	v_pk_fma_f32 v[6:7], v[28:29], v[46:47], v[4:5] op_sel:[0,0,1] op_sel_hi:[1,1,0] neg_lo:[0,0,1] neg_hi:[0,0,1]
	v_pk_fma_f32 v[4:5], v[28:29], v[46:47], v[4:5] op_sel:[0,0,1] op_sel_hi:[1,0,0]
	s_waitcnt vmcnt(0)
	v_mov_b32_e32 v4, v45
	v_mov_b32_e32 v7, v5
	v_pk_mul_f32 v[4:5], v[30:31], v[4:5] op_sel_hi:[1,0]
	v_pk_add_f32 v[2:3], v[2:3], v[6:7]
	v_pk_fma_f32 v[6:7], v[30:31], v[44:45], v[4:5] op_sel:[0,0,1] op_sel_hi:[1,1,0] neg_lo:[0,0,1] neg_hi:[0,0,1]
	v_pk_fma_f32 v[4:5], v[30:31], v[44:45], v[4:5] op_sel:[0,0,1] op_sel_hi:[1,0,0]
	v_mov_b32_e32 v7, v5
	v_pk_add_f32 v[2:3], v[2:3], v[6:7]
	v_pk_add_f32 v[2:3], v[48:49], v[2:3] neg_lo:[0,1] neg_hi:[0,1]
	buffer_store_dword v3, off, s[0:3], 0 offset:252
	buffer_store_dword v2, off, s[0:3], 0 offset:248
	s_and_saveexec_b64 s[4:5], vcc
	s_cbranch_execz .LBB109_229
; %bb.228:
	buffer_load_dword v2, off, s[0:3], 0 offset:240
	buffer_load_dword v3, off, s[0:3], 0 offset:244
	v_mov_b32_e32 v4, 0
	buffer_store_dword v4, off, s[0:3], 0 offset:240
	buffer_store_dword v4, off, s[0:3], 0 offset:244
	s_waitcnt vmcnt(2)
	ds_write_b64 v80, v[2:3]
.LBB109_229:
	s_or_b64 exec, exec, s[4:5]
	s_waitcnt lgkmcnt(0)
	; wave barrier
	s_waitcnt lgkmcnt(0)
	buffer_load_dword v5, off, s[0:3], 0 offset:252
	buffer_load_dword v52, off, s[0:3], 0 offset:260
	;; [unrolled: 1-line block ×32, first 2 shown]
	v_mov_b32_e32 v4, 0
	ds_read2_b64 v[6:9], v4 offset0:77 offset1:78
	ds_read2_b64 v[10:13], v4 offset0:79 offset1:80
	;; [unrolled: 1-line block ×7, first 2 shown]
	ds_read_b64 v[50:51], v4 offset:728
	v_cmp_lt_u32_e32 vcc, 29, v0
	s_waitcnt vmcnt(31) lgkmcnt(7)
	v_mul_f32_e32 v67, v6, v5
	v_mul_f32_e32 v5, v7, v5
	s_waitcnt vmcnt(30)
	v_mul_f32_e32 v68, v8, v52
	s_waitcnt vmcnt(28) lgkmcnt(6)
	v_mul_f32_e32 v70, v12, v56
	s_waitcnt vmcnt(27) lgkmcnt(5)
	v_mul_f32_e32 v71, v14, v57
	v_mul_f32_e32 v72, v13, v56
	;; [unrolled: 1-line block ×3, first 2 shown]
	s_waitcnt vmcnt(24)
	v_mov_b32_e32 v56, v3
	v_mul_f32_e32 v69, v10, v54
	v_mul_f32_e32 v52, v9, v52
	s_waitcnt vmcnt(22)
	v_fmac_f32_e32 v67, v7, v60
	v_fma_f32 v5, v6, v60, -v5
	s_waitcnt lgkmcnt(4)
	v_pk_mul_f32 v[6:7], v[20:21], v[56:57] op_sel_hi:[1,0]
	v_mul_f32_e32 v54, v11, v54
	s_waitcnt vmcnt(21)
	v_fmac_f32_e32 v68, v9, v61
	s_waitcnt vmcnt(20)
	v_fmac_f32_e32 v69, v11, v62
	;; [unrolled: 2-line block ×3, first 2 shown]
	v_fma_f32 v11, v8, v61, -v52
	s_waitcnt vmcnt(18)
	v_fma_f32 v13, v14, v64, -v57
	v_add_f32_e32 v14, 0, v67
	v_add_f32_e32 v5, 0, v5
	s_waitcnt vmcnt(12)
	v_pk_fma_f32 v[8:9], v[20:21], v[2:3], v[6:7] op_sel:[0,0,1] op_sel_hi:[1,1,0] neg_lo:[0,0,1] neg_hi:[0,0,1]
	v_pk_fma_f32 v[2:3], v[20:21], v[2:3], v[6:7] op_sel:[0,0,1] op_sel_hi:[1,0,0]
	v_fma_f32 v10, v10, v62, -v54
	v_add_f32_e32 v2, v14, v68
	v_add_f32_e32 v5, v5, v11
	v_fma_f32 v12, v12, v63, -v72
	v_mov_b32_e32 v9, v3
	v_add_f32_e32 v2, v2, v69
	v_add_f32_e32 v3, v5, v10
	v_mul_f32_e32 v53, v16, v58
	v_mul_f32_e32 v73, v17, v58
	v_fmac_f32_e32 v71, v15, v64
	v_add_f32_e32 v2, v2, v70
	v_add_f32_e32 v5, v3, v12
	v_mul_f32_e32 v55, v18, v59
	v_mul_f32_e32 v59, v19, v59
	v_fmac_f32_e32 v53, v17, v65
	v_fma_f32 v52, v16, v65, -v73
	v_add_f32_e32 v3, v2, v71
	v_add_f32_e32 v2, v5, v13
	v_mov_b32_e32 v58, v35
	v_fmac_f32_e32 v55, v19, v66
	v_fma_f32 v54, v18, v66, -v59
	v_pk_add_f32 v[2:3], v[2:3], v[52:53]
	v_pk_add_f32 v[2:3], v[2:3], v[54:55]
	s_waitcnt lgkmcnt(3)
	v_pk_mul_f32 v[6:7], v[22:23], v[58:59] op_sel_hi:[1,0]
	v_pk_add_f32 v[2:3], v[2:3], v[8:9]
	v_pk_fma_f32 v[8:9], v[22:23], v[34:35], v[6:7] op_sel:[0,0,1] op_sel_hi:[1,1,0] neg_lo:[0,0,1] neg_hi:[0,0,1]
	v_pk_fma_f32 v[6:7], v[22:23], v[34:35], v[6:7] op_sel:[0,0,1] op_sel_hi:[1,0,0]
	s_waitcnt vmcnt(11)
	v_mov_b32_e32 v6, v39
	v_mov_b32_e32 v9, v7
	v_pk_mul_f32 v[6:7], v[24:25], v[6:7] op_sel_hi:[1,0]
	v_pk_add_f32 v[2:3], v[2:3], v[8:9]
	v_pk_fma_f32 v[8:9], v[24:25], v[38:39], v[6:7] op_sel:[0,0,1] op_sel_hi:[1,1,0] neg_lo:[0,0,1] neg_hi:[0,0,1]
	v_pk_fma_f32 v[6:7], v[24:25], v[38:39], v[6:7] op_sel:[0,0,1] op_sel_hi:[1,0,0]
	s_waitcnt vmcnt(10)
	v_mov_b32_e32 v6, v37
	v_mov_b32_e32 v9, v7
	s_waitcnt lgkmcnt(2)
	v_pk_mul_f32 v[6:7], v[26:27], v[6:7] op_sel_hi:[1,0]
	v_pk_add_f32 v[2:3], v[2:3], v[8:9]
	v_pk_fma_f32 v[8:9], v[26:27], v[36:37], v[6:7] op_sel:[0,0,1] op_sel_hi:[1,1,0] neg_lo:[0,0,1] neg_hi:[0,0,1]
	v_pk_fma_f32 v[6:7], v[26:27], v[36:37], v[6:7] op_sel:[0,0,1] op_sel_hi:[1,0,0]
	s_waitcnt vmcnt(9)
	v_mov_b32_e32 v6, v41
	v_mov_b32_e32 v9, v7
	v_pk_mul_f32 v[6:7], v[28:29], v[6:7] op_sel_hi:[1,0]
	v_pk_add_f32 v[2:3], v[2:3], v[8:9]
	s_waitcnt vmcnt(4)
	v_pk_fma_f32 v[8:9], v[28:29], v[40:41], v[6:7] op_sel:[0,0,1] op_sel_hi:[1,1,0] neg_lo:[0,0,1] neg_hi:[0,0,1]
	v_pk_fma_f32 v[6:7], v[28:29], v[40:41], v[6:7] op_sel:[0,0,1] op_sel_hi:[1,0,0]
	v_mov_b32_e32 v6, v47
	v_mov_b32_e32 v9, v7
	s_waitcnt lgkmcnt(1)
	v_pk_mul_f32 v[6:7], v[30:31], v[6:7] op_sel_hi:[1,0]
	v_pk_add_f32 v[2:3], v[2:3], v[8:9]
	v_pk_fma_f32 v[8:9], v[30:31], v[46:47], v[6:7] op_sel:[0,0,1] op_sel_hi:[1,1,0] neg_lo:[0,0,1] neg_hi:[0,0,1]
	v_pk_fma_f32 v[6:7], v[30:31], v[46:47], v[6:7] op_sel:[0,0,1] op_sel_hi:[1,0,0]
	s_waitcnt vmcnt(3)
	v_mov_b32_e32 v6, v45
	v_mov_b32_e32 v9, v7
	v_pk_mul_f32 v[6:7], v[32:33], v[6:7] op_sel_hi:[1,0]
	v_pk_add_f32 v[2:3], v[2:3], v[8:9]
	v_pk_fma_f32 v[8:9], v[32:33], v[44:45], v[6:7] op_sel:[0,0,1] op_sel_hi:[1,1,0] neg_lo:[0,0,1] neg_hi:[0,0,1]
	v_pk_fma_f32 v[6:7], v[32:33], v[44:45], v[6:7] op_sel:[0,0,1] op_sel_hi:[1,0,0]
	s_waitcnt vmcnt(0)
	v_mov_b32_e32 v6, v43
	v_mov_b32_e32 v9, v7
	s_waitcnt lgkmcnt(0)
	v_pk_mul_f32 v[6:7], v[50:51], v[6:7] op_sel_hi:[1,0]
	v_pk_add_f32 v[2:3], v[2:3], v[8:9]
	v_pk_fma_f32 v[8:9], v[50:51], v[42:43], v[6:7] op_sel:[0,0,1] op_sel_hi:[1,1,0] neg_lo:[0,0,1] neg_hi:[0,0,1]
	v_pk_fma_f32 v[6:7], v[50:51], v[42:43], v[6:7] op_sel:[0,0,1] op_sel_hi:[1,0,0]
	v_mov_b32_e32 v9, v7
	v_pk_add_f32 v[2:3], v[2:3], v[8:9]
	v_pk_add_f32 v[2:3], v[48:49], v[2:3] neg_lo:[0,1] neg_hi:[0,1]
	buffer_store_dword v3, off, s[0:3], 0 offset:244
	buffer_store_dword v2, off, s[0:3], 0 offset:240
	s_and_saveexec_b64 s[4:5], vcc
	s_cbranch_execz .LBB109_231
; %bb.230:
	buffer_load_dword v2, off, s[0:3], 0 offset:232
	buffer_load_dword v3, off, s[0:3], 0 offset:236
	s_waitcnt vmcnt(0)
	ds_write_b64 v80, v[2:3]
	buffer_store_dword v4, off, s[0:3], 0 offset:232
	buffer_store_dword v4, off, s[0:3], 0 offset:236
.LBB109_231:
	s_or_b64 exec, exec, s[4:5]
	s_waitcnt lgkmcnt(0)
	; wave barrier
	s_waitcnt lgkmcnt(0)
	ds_read_b128 v[6:9], v4 offset:608
	ds_read_b128 v[10:13], v4 offset:624
	;; [unrolled: 1-line block ×4, first 2 shown]
	buffer_load_dword v2, off, s[0:3], 0 offset:232
	buffer_load_dword v3, off, s[0:3], 0 offset:236
	;; [unrolled: 1-line block ×20, first 2 shown]
	v_cmp_lt_u32_e32 vcc, 28, v0
	s_waitcnt vmcnt(16) lgkmcnt(3)
	v_mul_f32_e32 v22, v6, v26
	v_fmac_f32_e32 v22, v7, v5
	s_waitcnt vmcnt(14)
	v_mul_f32_e32 v23, v8, v30
	v_add_f32_e32 v22, 0, v22
	v_fmac_f32_e32 v23, v9, v28
	v_add_f32_e32 v22, v22, v23
	s_waitcnt vmcnt(12) lgkmcnt(2)
	v_mul_f32_e32 v23, v10, v49
	v_fmac_f32_e32 v23, v11, v48
	v_add_f32_e32 v22, v22, v23
	s_waitcnt vmcnt(10)
	v_mul_f32_e32 v23, v12, v51
	v_fmac_f32_e32 v23, v13, v50
	v_add_f32_e32 v22, v22, v23
	s_waitcnt vmcnt(8) lgkmcnt(1)
	v_mul_f32_e32 v23, v14, v53
	v_fmac_f32_e32 v23, v15, v52
	v_add_f32_e32 v22, v22, v23
	s_waitcnt vmcnt(6)
	v_mul_f32_e32 v23, v16, v55
	v_fmac_f32_e32 v23, v17, v54
	v_add_f32_e32 v27, v22, v23
	ds_read_b128 v[22:25], v4 offset:672
	buffer_load_dword v35, off, s[0:3], 0 offset:316
	buffer_load_dword v34, off, s[0:3], 0 offset:312
	;; [unrolled: 1-line block ×14, first 2 shown]
	v_mul_f32_e32 v7, v7, v26
	v_fma_f32 v5, v6, v5, -v7
	v_mul_f32_e32 v6, v9, v30
	v_add_f32_e32 v5, 0, v5
	v_fma_f32 v6, v8, v28, -v6
	v_add_f32_e32 v5, v5, v6
	v_mul_f32_e32 v6, v11, v49
	v_fma_f32 v6, v10, v48, -v6
	v_add_f32_e32 v5, v5, v6
	v_mul_f32_e32 v6, v13, v51
	;; [unrolled: 3-line block ×4, first 2 shown]
	v_fma_f32 v6, v16, v54, -v6
	v_add_f32_e32 v26, v5, v6
	s_waitcnt vmcnt(18) lgkmcnt(1)
	v_mul_f32_e32 v5, v19, v57
	v_mul_f32_e32 v29, v18, v57
	v_fma_f32 v28, v18, v56, -v5
	s_waitcnt vmcnt(15)
	v_mov_b32_e32 v18, v33
	v_fmac_f32_e32 v29, v19, v56
	v_mul_f32_e32 v31, v20, v59
	v_mul_f32_e32 v5, v21, v59
	s_waitcnt lgkmcnt(0)
	v_pk_mul_f32 v[18:19], v[22:23], v[18:19] op_sel_hi:[1,0]
	v_fmac_f32_e32 v31, v21, v58
	v_fma_f32 v30, v20, v58, -v5
	s_waitcnt vmcnt(14)
	v_pk_fma_f32 v[20:21], v[22:23], v[32:33], v[18:19] op_sel:[0,0,1] op_sel_hi:[1,1,0] neg_lo:[0,0,1] neg_hi:[0,0,1]
	v_pk_fma_f32 v[18:19], v[22:23], v[32:33], v[18:19] op_sel:[0,0,1] op_sel_hi:[1,0,0]
	ds_read_b128 v[6:9], v4 offset:688
	ds_read_b128 v[10:13], v4 offset:704
	;; [unrolled: 1-line block ×3, first 2 shown]
	v_pk_add_f32 v[4:5], v[26:27], v[28:29]
	v_pk_add_f32 v[4:5], v[4:5], v[30:31]
	v_mov_b32_e32 v21, v19
	v_pk_add_f32 v[4:5], v[4:5], v[20:21]
	s_waitcnt vmcnt(13)
	v_mov_b32_e32 v18, v35
	v_pk_mul_f32 v[18:19], v[24:25], v[18:19] op_sel_hi:[1,0]
	s_waitcnt vmcnt(12)
	v_pk_fma_f32 v[20:21], v[24:25], v[34:35], v[18:19] op_sel:[0,0,1] op_sel_hi:[1,1,0] neg_lo:[0,0,1] neg_hi:[0,0,1]
	v_pk_fma_f32 v[18:19], v[24:25], v[34:35], v[18:19] op_sel:[0,0,1] op_sel_hi:[1,0,0]
	s_waitcnt vmcnt(11)
	v_mov_b32_e32 v18, v37
	v_mov_b32_e32 v21, v19
	s_waitcnt lgkmcnt(2)
	v_pk_mul_f32 v[18:19], v[6:7], v[18:19] op_sel_hi:[1,0]
	v_pk_add_f32 v[4:5], v[4:5], v[20:21]
	s_waitcnt vmcnt(10)
	v_pk_fma_f32 v[20:21], v[6:7], v[36:37], v[18:19] op_sel:[0,0,1] op_sel_hi:[1,1,0] neg_lo:[0,0,1] neg_hi:[0,0,1]
	v_pk_fma_f32 v[6:7], v[6:7], v[36:37], v[18:19] op_sel:[0,0,1] op_sel_hi:[1,0,0]
	s_waitcnt vmcnt(9)
	v_mov_b32_e32 v6, v39
	v_mov_b32_e32 v21, v7
	v_pk_mul_f32 v[6:7], v[8:9], v[6:7] op_sel_hi:[1,0]
	s_waitcnt vmcnt(8)
	v_pk_fma_f32 v[18:19], v[8:9], v[38:39], v[6:7] op_sel:[0,0,1] op_sel_hi:[1,1,0] neg_lo:[0,0,1] neg_hi:[0,0,1]
	v_pk_fma_f32 v[6:7], v[8:9], v[38:39], v[6:7] op_sel:[0,0,1] op_sel_hi:[1,0,0]
	s_waitcnt vmcnt(7)
	v_mov_b32_e32 v6, v41
	v_mov_b32_e32 v19, v7
	s_waitcnt lgkmcnt(1)
	v_pk_mul_f32 v[6:7], v[10:11], v[6:7] op_sel_hi:[1,0]
	s_waitcnt vmcnt(6)
	v_pk_fma_f32 v[8:9], v[10:11], v[40:41], v[6:7] op_sel:[0,0,1] op_sel_hi:[1,1,0] neg_lo:[0,0,1] neg_hi:[0,0,1]
	v_pk_fma_f32 v[6:7], v[10:11], v[40:41], v[6:7] op_sel:[0,0,1] op_sel_hi:[1,0,0]
	v_pk_add_f32 v[4:5], v[4:5], v[20:21]
	s_waitcnt vmcnt(5)
	v_mov_b32_e32 v6, v43
	v_pk_add_f32 v[4:5], v[4:5], v[18:19]
	v_mov_b32_e32 v9, v7
	v_pk_mul_f32 v[6:7], v[12:13], v[6:7] op_sel_hi:[1,0]
	v_pk_add_f32 v[4:5], v[4:5], v[8:9]
	s_waitcnt vmcnt(4)
	v_pk_fma_f32 v[8:9], v[12:13], v[42:43], v[6:7] op_sel:[0,0,1] op_sel_hi:[1,1,0] neg_lo:[0,0,1] neg_hi:[0,0,1]
	v_pk_fma_f32 v[6:7], v[12:13], v[42:43], v[6:7] op_sel:[0,0,1] op_sel_hi:[1,0,0]
	s_waitcnt vmcnt(3)
	v_mov_b32_e32 v6, v45
	v_mov_b32_e32 v9, v7
	s_waitcnt lgkmcnt(0)
	v_pk_mul_f32 v[6:7], v[14:15], v[6:7] op_sel_hi:[1,0]
	v_pk_add_f32 v[4:5], v[4:5], v[8:9]
	s_waitcnt vmcnt(2)
	v_pk_fma_f32 v[8:9], v[14:15], v[44:45], v[6:7] op_sel:[0,0,1] op_sel_hi:[1,1,0] neg_lo:[0,0,1] neg_hi:[0,0,1]
	v_pk_fma_f32 v[6:7], v[14:15], v[44:45], v[6:7] op_sel:[0,0,1] op_sel_hi:[1,0,0]
	s_waitcnt vmcnt(1)
	v_mov_b32_e32 v6, v47
	v_mov_b32_e32 v9, v7
	v_pk_mul_f32 v[6:7], v[16:17], v[6:7] op_sel_hi:[1,0]
	v_pk_add_f32 v[4:5], v[4:5], v[8:9]
	s_waitcnt vmcnt(0)
	v_pk_fma_f32 v[8:9], v[16:17], v[46:47], v[6:7] op_sel:[0,0,1] op_sel_hi:[1,1,0] neg_lo:[0,0,1] neg_hi:[0,0,1]
	v_pk_fma_f32 v[6:7], v[16:17], v[46:47], v[6:7] op_sel:[0,0,1] op_sel_hi:[1,0,0]
	v_mov_b32_e32 v9, v7
	v_pk_add_f32 v[4:5], v[4:5], v[8:9]
	v_pk_add_f32 v[2:3], v[2:3], v[4:5] neg_lo:[0,1] neg_hi:[0,1]
	buffer_store_dword v3, off, s[0:3], 0 offset:236
	buffer_store_dword v2, off, s[0:3], 0 offset:232
	s_and_saveexec_b64 s[4:5], vcc
	s_cbranch_execz .LBB109_233
; %bb.232:
	buffer_load_dword v2, off, s[0:3], 0 offset:224
	buffer_load_dword v3, off, s[0:3], 0 offset:228
	v_mov_b32_e32 v4, 0
	buffer_store_dword v4, off, s[0:3], 0 offset:224
	buffer_store_dword v4, off, s[0:3], 0 offset:228
	s_waitcnt vmcnt(2)
	ds_write_b64 v80, v[2:3]
.LBB109_233:
	s_or_b64 exec, exec, s[4:5]
	s_waitcnt lgkmcnt(0)
	; wave barrier
	s_waitcnt lgkmcnt(0)
	buffer_load_dword v3, off, s[0:3], 0 offset:236
	buffer_load_dword v46, off, s[0:3], 0 offset:244
	;; [unrolled: 1-line block ×36, first 2 shown]
	v_mov_b32_e32 v2, 0
	ds_read2_b64 v[4:7], v2 offset0:75 offset1:76
	ds_read2_b64 v[8:11], v2 offset0:77 offset1:78
	;; [unrolled: 1-line block ×6, first 2 shown]
	v_cmp_lt_u32_e32 vcc, 27, v0
	s_waitcnt vmcnt(35) lgkmcnt(5)
	v_mul_f32_e32 v65, v4, v3
	s_waitcnt vmcnt(34)
	v_mul_f32_e32 v66, v6, v46
	s_waitcnt vmcnt(33) lgkmcnt(4)
	v_mul_f32_e32 v67, v8, v48
	v_mul_f32_e32 v3, v5, v3
	;; [unrolled: 1-line block ×4, first 2 shown]
	s_waitcnt vmcnt(32)
	v_mul_f32_e32 v68, v10, v50
	s_waitcnt vmcnt(31) lgkmcnt(3)
	v_mul_f32_e32 v69, v12, v51
	v_mul_f32_e32 v50, v11, v50
	s_waitcnt vmcnt(26)
	v_fmac_f32_e32 v65, v5, v56
	s_waitcnt vmcnt(25)
	v_fmac_f32_e32 v66, v7, v57
	;; [unrolled: 2-line block ×3, first 2 shown]
	v_fma_f32 v3, v4, v56, -v3
	v_add_f32_e32 v9, 0, v65
	v_fma_f32 v4, v6, v57, -v46
	v_add_f32_e32 v3, 0, v3
	v_add_f32_e32 v9, v9, v66
	s_waitcnt vmcnt(23)
	v_fmac_f32_e32 v68, v11, v59
	v_fma_f32 v5, v8, v58, -v48
	v_add_f32_e32 v3, v3, v4
	v_add_f32_e32 v4, v9, v67
	v_mul_f32_e32 v70, v14, v52
	v_mul_f32_e32 v51, v13, v51
	s_waitcnt vmcnt(22)
	v_fmac_f32_e32 v69, v13, v60
	v_fma_f32 v6, v10, v59, -v50
	v_add_f32_e32 v3, v3, v5
	v_add_f32_e32 v4, v4, v68
	s_waitcnt lgkmcnt(2)
	v_mul_f32_e32 v71, v16, v53
	v_mul_f32_e32 v52, v15, v52
	s_waitcnt vmcnt(21)
	v_fmac_f32_e32 v70, v15, v61
	v_fma_f32 v7, v12, v60, -v51
	v_add_f32_e32 v3, v3, v6
	v_add_f32_e32 v4, v4, v69
	v_mul_f32_e32 v53, v17, v53
	s_waitcnt vmcnt(20)
	v_fmac_f32_e32 v71, v17, v62
	v_fma_f32 v8, v14, v61, -v52
	v_add_f32_e32 v3, v3, v7
	v_add_f32_e32 v4, v4, v70
	;; [unrolled: 1-line block ×4, first 2 shown]
	v_fma_f32 v4, v16, v62, -v53
	s_waitcnt vmcnt(17)
	v_mov_b32_e32 v16, v29
	v_mul_f32_e32 v47, v18, v54
	v_add_f32_e32 v12, v3, v4
	v_mul_f32_e32 v3, v19, v54
	s_waitcnt lgkmcnt(1)
	v_pk_mul_f32 v[16:17], v[22:23], v[16:17] op_sel_hi:[1,0]
	v_mul_f32_e32 v49, v20, v55
	v_fmac_f32_e32 v47, v19, v63
	v_fma_f32 v46, v18, v63, -v3
	v_mul_f32_e32 v3, v21, v55
	s_waitcnt vmcnt(15)
	v_pk_fma_f32 v[18:19], v[22:23], v[28:29], v[16:17] op_sel:[0,0,1] op_sel_hi:[1,1,0] neg_lo:[0,0,1] neg_hi:[0,0,1]
	v_pk_fma_f32 v[16:17], v[22:23], v[28:29], v[16:17] op_sel:[0,0,1] op_sel_hi:[1,0,0]
	v_fmac_f32_e32 v49, v21, v64
	v_fma_f32 v48, v20, v64, -v3
	v_pk_add_f32 v[12:13], v[12:13], v[46:47]
	s_waitcnt vmcnt(12)
	v_mov_b32_e32 v16, v31
	v_pk_add_f32 v[12:13], v[12:13], v[48:49]
	v_mov_b32_e32 v19, v17
	s_waitcnt lgkmcnt(0)
	v_pk_mul_f32 v[16:17], v[24:25], v[16:17] op_sel_hi:[1,0]
	v_pk_add_f32 v[12:13], v[12:13], v[18:19]
	v_pk_fma_f32 v[18:19], v[24:25], v[30:31], v[16:17] op_sel:[0,0,1] op_sel_hi:[1,1,0] neg_lo:[0,0,1] neg_hi:[0,0,1]
	v_pk_fma_f32 v[16:17], v[24:25], v[30:31], v[16:17] op_sel:[0,0,1] op_sel_hi:[1,0,0]
	s_waitcnt vmcnt(11)
	v_mov_b32_e32 v16, v35
	ds_read2_b64 v[4:7], v2 offset0:87 offset1:88
	ds_read2_b64 v[8:11], v2 offset0:89 offset1:90
	ds_read_b64 v[14:15], v2 offset:728
	v_mov_b32_e32 v19, v17
	v_pk_mul_f32 v[16:17], v[26:27], v[16:17] op_sel_hi:[1,0]
	v_pk_add_f32 v[12:13], v[12:13], v[18:19]
	s_waitcnt vmcnt(4)
	v_pk_fma_f32 v[18:19], v[26:27], v[34:35], v[16:17] op_sel:[0,0,1] op_sel_hi:[1,1,0] neg_lo:[0,0,1] neg_hi:[0,0,1]
	v_pk_fma_f32 v[16:17], v[26:27], v[34:35], v[16:17] op_sel:[0,0,1] op_sel_hi:[1,0,0]
	v_mov_b32_e32 v16, v41
	v_mov_b32_e32 v19, v17
	s_waitcnt lgkmcnt(2)
	v_pk_mul_f32 v[16:17], v[4:5], v[16:17] op_sel_hi:[1,0]
	v_pk_add_f32 v[12:13], v[12:13], v[18:19]
	v_pk_fma_f32 v[18:19], v[4:5], v[40:41], v[16:17] op_sel:[0,0,1] op_sel_hi:[1,1,0] neg_lo:[0,0,1] neg_hi:[0,0,1]
	v_pk_fma_f32 v[4:5], v[4:5], v[40:41], v[16:17] op_sel:[0,0,1] op_sel_hi:[1,0,0]
	v_mov_b32_e32 v19, v5
	v_pk_add_f32 v[4:5], v[12:13], v[18:19]
	v_mov_b32_e32 v12, v39
	v_pk_mul_f32 v[12:13], v[6:7], v[12:13] op_sel_hi:[1,0]
	v_pk_fma_f32 v[16:17], v[6:7], v[38:39], v[12:13] op_sel:[0,0,1] op_sel_hi:[1,1,0] neg_lo:[0,0,1] neg_hi:[0,0,1]
	v_pk_fma_f32 v[6:7], v[6:7], v[38:39], v[12:13] op_sel:[0,0,1] op_sel_hi:[1,0,0]
	v_mov_b32_e32 v6, v37
	v_mov_b32_e32 v17, v7
	s_waitcnt lgkmcnt(1)
	v_pk_mul_f32 v[6:7], v[8:9], v[6:7] op_sel_hi:[1,0]
	v_pk_fma_f32 v[12:13], v[8:9], v[36:37], v[6:7] op_sel:[0,0,1] op_sel_hi:[1,1,0] neg_lo:[0,0,1] neg_hi:[0,0,1]
	v_pk_fma_f32 v[6:7], v[8:9], v[36:37], v[6:7] op_sel:[0,0,1] op_sel_hi:[1,0,0]
	s_waitcnt vmcnt(1)
	v_mov_b32_e32 v6, v45
	v_mov_b32_e32 v13, v7
	v_pk_mul_f32 v[6:7], v[10:11], v[6:7] op_sel_hi:[1,0]
	s_waitcnt vmcnt(0)
	v_pk_fma_f32 v[8:9], v[10:11], v[44:45], v[6:7] op_sel:[0,0,1] op_sel_hi:[1,1,0] neg_lo:[0,0,1] neg_hi:[0,0,1]
	v_pk_fma_f32 v[6:7], v[10:11], v[44:45], v[6:7] op_sel:[0,0,1] op_sel_hi:[1,0,0]
	v_pk_add_f32 v[4:5], v[4:5], v[16:17]
	v_mov_b32_e32 v6, v43
	v_pk_add_f32 v[4:5], v[4:5], v[12:13]
	v_mov_b32_e32 v9, v7
	s_waitcnt lgkmcnt(0)
	v_pk_mul_f32 v[6:7], v[14:15], v[6:7] op_sel_hi:[1,0]
	v_pk_add_f32 v[4:5], v[4:5], v[8:9]
	v_pk_fma_f32 v[8:9], v[14:15], v[42:43], v[6:7] op_sel:[0,0,1] op_sel_hi:[1,1,0] neg_lo:[0,0,1] neg_hi:[0,0,1]
	v_pk_fma_f32 v[6:7], v[14:15], v[42:43], v[6:7] op_sel:[0,0,1] op_sel_hi:[1,0,0]
	v_mov_b32_e32 v9, v7
	v_pk_add_f32 v[4:5], v[4:5], v[8:9]
	v_pk_add_f32 v[4:5], v[32:33], v[4:5] neg_lo:[0,1] neg_hi:[0,1]
	buffer_store_dword v5, off, s[0:3], 0 offset:228
	buffer_store_dword v4, off, s[0:3], 0 offset:224
	s_and_saveexec_b64 s[4:5], vcc
	s_cbranch_execz .LBB109_235
; %bb.234:
	buffer_load_dword v4, off, s[0:3], 0 offset:216
	buffer_load_dword v5, off, s[0:3], 0 offset:220
	s_waitcnt vmcnt(0)
	ds_write_b64 v80, v[4:5]
	buffer_store_dword v2, off, s[0:3], 0 offset:216
	buffer_store_dword v2, off, s[0:3], 0 offset:220
.LBB109_235:
	s_or_b64 exec, exec, s[4:5]
	s_waitcnt lgkmcnt(0)
	; wave barrier
	s_waitcnt lgkmcnt(0)
	buffer_load_dword v3, off, s[0:3], 0 offset:228
	buffer_load_dword v46, off, s[0:3], 0 offset:236
	;; [unrolled: 1-line block ×22, first 2 shown]
	ds_read_b128 v[4:7], v2 offset:592
	ds_read_b128 v[8:11], v2 offset:608
	buffer_load_dword v31, off, s[0:3], 0 offset:308
	buffer_load_dword v30, off, s[0:3], 0 offset:304
	buffer_load_dword v33, off, s[0:3], 0 offset:316
	buffer_load_dword v35, off, s[0:3], 0 offset:340
	buffer_load_dword v34, off, s[0:3], 0 offset:336
	buffer_load_dword v37, off, s[0:3], 0 offset:332
	buffer_load_dword v36, off, s[0:3], 0 offset:328
	buffer_load_dword v39, off, s[0:3], 0 offset:324
	buffer_load_dword v38, off, s[0:3], 0 offset:320
	buffer_load_dword v32, off, s[0:3], 0 offset:312
	ds_read_b128 v[12:15], v2 offset:624
	ds_read_b128 v[16:19], v2 offset:640
	;; [unrolled: 1-line block ×4, first 2 shown]
	buffer_load_dword v41, off, s[0:3], 0 offset:364
	buffer_load_dword v40, off, s[0:3], 0 offset:360
	;; [unrolled: 1-line block ×6, first 2 shown]
	v_cmp_lt_u32_e32 vcc, 26, v0
	s_waitcnt vmcnt(37) lgkmcnt(5)
	v_mul_f32_e32 v67, v4, v3
	s_waitcnt vmcnt(36)
	v_mul_f32_e32 v68, v6, v46
	s_waitcnt vmcnt(35) lgkmcnt(4)
	v_mul_f32_e32 v69, v8, v48
	v_mul_f32_e32 v3, v5, v3
	;; [unrolled: 1-line block ×4, first 2 shown]
	s_waitcnt vmcnt(34)
	v_mul_f32_e32 v70, v10, v50
	s_waitcnt vmcnt(33) lgkmcnt(3)
	v_mul_f32_e32 v71, v12, v51
	s_waitcnt vmcnt(32)
	v_mul_f32_e32 v72, v14, v52
	s_waitcnt vmcnt(31) lgkmcnt(2)
	v_mul_f32_e32 v73, v16, v53
	s_waitcnt vmcnt(27)
	v_fmac_f32_e32 v67, v5, v57
	s_waitcnt vmcnt(26)
	v_fmac_f32_e32 v68, v7, v58
	v_fma_f32 v3, v4, v57, -v3
	s_waitcnt vmcnt(25)
	v_fma_f32 v5, v8, v59, -v48
	v_add_f32_e32 v8, 0, v67
	v_fmac_f32_e32 v69, v9, v59
	v_fma_f32 v4, v6, v58, -v46
	v_add_f32_e32 v3, 0, v3
	v_add_f32_e32 v8, v8, v68
	s_waitcnt vmcnt(24)
	v_fmac_f32_e32 v70, v11, v60
	v_add_f32_e32 v3, v3, v4
	v_add_f32_e32 v4, v8, v69
	s_waitcnt vmcnt(23)
	v_fmac_f32_e32 v71, v13, v61
	v_add_f32_e32 v4, v4, v70
	v_mul_f32_e32 v50, v11, v50
	s_waitcnt vmcnt(22)
	v_fmac_f32_e32 v72, v15, v62
	v_add_f32_e32 v4, v4, v71
	v_mul_f32_e32 v74, v18, v54
	v_mul_f32_e32 v51, v13, v51
	s_waitcnt vmcnt(21)
	v_fmac_f32_e32 v73, v17, v63
	v_fma_f32 v6, v10, v60, -v50
	v_add_f32_e32 v3, v3, v5
	v_add_f32_e32 v4, v4, v72
	v_mul_f32_e32 v52, v15, v52
	s_waitcnt vmcnt(20)
	v_fmac_f32_e32 v74, v19, v64
	v_fma_f32 v7, v12, v61, -v51
	v_add_f32_e32 v3, v3, v6
	v_add_f32_e32 v4, v4, v73
	;; [unrolled: 1-line block ×4, first 2 shown]
	v_fma_f32 v4, v14, v62, -v52
	v_add_f32_e32 v3, v3, v4
	v_mul_f32_e32 v4, v17, v53
	v_fma_f32 v4, v16, v63, -v4
	v_add_f32_e32 v3, v3, v4
	v_mul_f32_e32 v4, v19, v54
	v_fma_f32 v4, v18, v64, -v4
	s_waitcnt vmcnt(15)
	v_mov_b32_e32 v16, v31
	s_waitcnt lgkmcnt(1)
	v_mul_f32_e32 v47, v20, v55
	v_add_f32_e32 v50, v3, v4
	v_mul_f32_e32 v3, v21, v55
	s_waitcnt lgkmcnt(0)
	v_pk_mul_f32 v[16:17], v[24:25], v[16:17] op_sel_hi:[1,0]
	v_mul_f32_e32 v49, v22, v56
	v_fmac_f32_e32 v47, v21, v65
	v_fma_f32 v46, v20, v65, -v3
	v_mul_f32_e32 v3, v23, v56
	s_waitcnt vmcnt(14)
	v_pk_fma_f32 v[18:19], v[24:25], v[30:31], v[16:17] op_sel:[0,0,1] op_sel_hi:[1,1,0] neg_lo:[0,0,1] neg_hi:[0,0,1]
	v_pk_fma_f32 v[16:17], v[24:25], v[30:31], v[16:17] op_sel:[0,0,1] op_sel_hi:[1,0,0]
	v_fmac_f32_e32 v49, v23, v66
	v_fma_f32 v48, v22, v66, -v3
	ds_read_b128 v[4:7], v2 offset:688
	ds_read_b128 v[8:11], v2 offset:704
	;; [unrolled: 1-line block ×3, first 2 shown]
	v_pk_add_f32 v[2:3], v[50:51], v[46:47]
	s_waitcnt vmcnt(13)
	v_mov_b32_e32 v16, v33
	v_pk_add_f32 v[2:3], v[2:3], v[48:49]
	v_mov_b32_e32 v19, v17
	v_pk_mul_f32 v[16:17], v[26:27], v[16:17] op_sel_hi:[1,0]
	v_pk_add_f32 v[2:3], v[2:3], v[18:19]
	s_waitcnt vmcnt(6)
	v_pk_fma_f32 v[18:19], v[26:27], v[32:33], v[16:17] op_sel:[0,0,1] op_sel_hi:[1,1,0] neg_lo:[0,0,1] neg_hi:[0,0,1]
	v_pk_fma_f32 v[16:17], v[26:27], v[32:33], v[16:17] op_sel:[0,0,1] op_sel_hi:[1,0,0]
	v_mov_b32_e32 v16, v39
	v_mov_b32_e32 v19, v17
	s_waitcnt lgkmcnt(2)
	v_pk_mul_f32 v[16:17], v[4:5], v[16:17] op_sel_hi:[1,0]
	v_pk_add_f32 v[2:3], v[2:3], v[18:19]
	v_pk_fma_f32 v[18:19], v[4:5], v[38:39], v[16:17] op_sel:[0,0,1] op_sel_hi:[1,1,0] neg_lo:[0,0,1] neg_hi:[0,0,1]
	v_pk_fma_f32 v[4:5], v[4:5], v[38:39], v[16:17] op_sel:[0,0,1] op_sel_hi:[1,0,0]
	v_mov_b32_e32 v4, v37
	v_mov_b32_e32 v19, v5
	v_pk_mul_f32 v[4:5], v[6:7], v[4:5] op_sel_hi:[1,0]
	v_pk_fma_f32 v[16:17], v[6:7], v[36:37], v[4:5] op_sel:[0,0,1] op_sel_hi:[1,1,0] neg_lo:[0,0,1] neg_hi:[0,0,1]
	v_pk_fma_f32 v[4:5], v[6:7], v[36:37], v[4:5] op_sel:[0,0,1] op_sel_hi:[1,0,0]
	v_mov_b32_e32 v4, v35
	v_mov_b32_e32 v17, v5
	s_waitcnt lgkmcnt(1)
	v_pk_mul_f32 v[4:5], v[8:9], v[4:5] op_sel_hi:[1,0]
	v_pk_fma_f32 v[6:7], v[8:9], v[34:35], v[4:5] op_sel:[0,0,1] op_sel_hi:[1,1,0] neg_lo:[0,0,1] neg_hi:[0,0,1]
	v_pk_fma_f32 v[4:5], v[8:9], v[34:35], v[4:5] op_sel:[0,0,1] op_sel_hi:[1,0,0]
	v_pk_add_f32 v[2:3], v[2:3], v[18:19]
	s_waitcnt vmcnt(1)
	v_mov_b32_e32 v4, v45
	v_pk_add_f32 v[2:3], v[2:3], v[16:17]
	v_mov_b32_e32 v7, v5
	v_pk_mul_f32 v[4:5], v[10:11], v[4:5] op_sel_hi:[1,0]
	v_pk_add_f32 v[2:3], v[2:3], v[6:7]
	s_waitcnt vmcnt(0)
	v_pk_fma_f32 v[6:7], v[10:11], v[44:45], v[4:5] op_sel:[0,0,1] op_sel_hi:[1,1,0] neg_lo:[0,0,1] neg_hi:[0,0,1]
	v_pk_fma_f32 v[4:5], v[10:11], v[44:45], v[4:5] op_sel:[0,0,1] op_sel_hi:[1,0,0]
	v_mov_b32_e32 v4, v43
	v_mov_b32_e32 v7, v5
	s_waitcnt lgkmcnt(0)
	v_pk_mul_f32 v[4:5], v[12:13], v[4:5] op_sel_hi:[1,0]
	v_pk_add_f32 v[2:3], v[2:3], v[6:7]
	v_pk_fma_f32 v[6:7], v[12:13], v[42:43], v[4:5] op_sel:[0,0,1] op_sel_hi:[1,1,0] neg_lo:[0,0,1] neg_hi:[0,0,1]
	v_pk_fma_f32 v[4:5], v[12:13], v[42:43], v[4:5] op_sel:[0,0,1] op_sel_hi:[1,0,0]
	v_mov_b32_e32 v4, v41
	v_mov_b32_e32 v7, v5
	v_pk_mul_f32 v[4:5], v[14:15], v[4:5] op_sel_hi:[1,0]
	v_pk_add_f32 v[2:3], v[2:3], v[6:7]
	v_pk_fma_f32 v[6:7], v[14:15], v[40:41], v[4:5] op_sel:[0,0,1] op_sel_hi:[1,1,0] neg_lo:[0,0,1] neg_hi:[0,0,1]
	v_pk_fma_f32 v[4:5], v[14:15], v[40:41], v[4:5] op_sel:[0,0,1] op_sel_hi:[1,0,0]
	v_mov_b32_e32 v7, v5
	v_pk_add_f32 v[2:3], v[2:3], v[6:7]
	v_pk_add_f32 v[2:3], v[28:29], v[2:3] neg_lo:[0,1] neg_hi:[0,1]
	buffer_store_dword v3, off, s[0:3], 0 offset:220
	buffer_store_dword v2, off, s[0:3], 0 offset:216
	s_and_saveexec_b64 s[4:5], vcc
	s_cbranch_execz .LBB109_237
; %bb.236:
	buffer_load_dword v2, off, s[0:3], 0 offset:208
	buffer_load_dword v3, off, s[0:3], 0 offset:212
	v_mov_b32_e32 v4, 0
	buffer_store_dword v4, off, s[0:3], 0 offset:208
	buffer_store_dword v4, off, s[0:3], 0 offset:212
	s_waitcnt vmcnt(2)
	ds_write_b64 v80, v[2:3]
.LBB109_237:
	s_or_b64 exec, exec, s[4:5]
	v_mov_b32_e32 v4, 0
	s_waitcnt lgkmcnt(0)
	; wave barrier
	s_waitcnt lgkmcnt(0)
	ds_read2_b64 v[6:9], v4 offset0:73 offset1:74
	buffer_load_dword v2, off, s[0:3], 0 offset:208
	buffer_load_dword v3, off, s[0:3], 0 offset:212
	;; [unrolled: 1-line block ×16, first 2 shown]
	v_cmp_lt_u32_e32 vcc, 25, v0
	s_waitcnt vmcnt(12) lgkmcnt(0)
	v_mul_f32_e32 v10, v6, v30
	v_fmac_f32_e32 v10, v7, v5
	s_waitcnt vmcnt(10)
	v_mul_f32_e32 v11, v8, v34
	v_add_f32_e32 v10, 0, v10
	v_fmac_f32_e32 v11, v9, v32
	v_add_f32_e32 v14, v10, v11
	ds_read2_b64 v[10:13], v4 offset0:75 offset1:76
	v_mul_f32_e32 v7, v7, v30
	v_fma_f32 v5, v6, v5, -v7
	v_mul_f32_e32 v6, v9, v34
	v_add_f32_e32 v5, 0, v5
	s_waitcnt vmcnt(8) lgkmcnt(0)
	v_mul_f32_e32 v15, v10, v53
	v_fmac_f32_e32 v15, v11, v52
	v_add_f32_e32 v14, v14, v15
	s_waitcnt vmcnt(6)
	v_mul_f32_e32 v15, v12, v55
	v_fmac_f32_e32 v15, v13, v54
	v_add_f32_e32 v18, v14, v15
	ds_read2_b64 v[14:17], v4 offset0:77 offset1:78
	v_fma_f32 v6, v8, v32, -v6
	v_add_f32_e32 v5, v5, v6
	v_mul_f32_e32 v6, v11, v53
	v_fma_f32 v6, v10, v52, -v6
	s_waitcnt vmcnt(4) lgkmcnt(0)
	v_mul_f32_e32 v19, v14, v57
	v_fmac_f32_e32 v19, v15, v56
	v_add_f32_e32 v18, v18, v19
	s_waitcnt vmcnt(2)
	v_mul_f32_e32 v19, v16, v59
	v_fmac_f32_e32 v19, v17, v58
	v_add_f32_e32 v22, v18, v19
	ds_read2_b64 v[18:21], v4 offset0:79 offset1:80
	buffer_load_dword v62, off, s[0:3], 0 offset:272
	buffer_load_dword v63, off, s[0:3], 0 offset:276
	v_add_f32_e32 v5, v5, v6
	v_mul_f32_e32 v6, v13, v55
	v_fma_f32 v6, v12, v54, -v6
	s_waitcnt vmcnt(2) lgkmcnt(0)
	v_mul_f32_e32 v23, v18, v61
	v_fmac_f32_e32 v23, v19, v60
	v_add_f32_e32 v22, v22, v23
	v_add_f32_e32 v5, v5, v6
	v_mul_f32_e32 v6, v15, v57
	v_fma_f32 v6, v14, v56, -v6
	v_add_f32_e32 v5, v5, v6
	v_mul_f32_e32 v6, v17, v59
	v_fma_f32 v6, v16, v58, -v6
	;; [unrolled: 3-line block ×3, first 2 shown]
	v_add_f32_e32 v5, v5, v6
	s_waitcnt vmcnt(0)
	v_mul_f32_e32 v23, v20, v63
	v_fmac_f32_e32 v23, v21, v62
	v_add_f32_e32 v26, v22, v23
	ds_read2_b64 v[22:25], v4 offset0:81 offset1:82
	buffer_load_dword v64, off, s[0:3], 0 offset:280
	buffer_load_dword v65, off, s[0:3], 0 offset:284
	;; [unrolled: 1-line block ×4, first 2 shown]
	v_mul_f32_e32 v6, v21, v63
	v_fma_f32 v6, v20, v62, -v6
	v_add_f32_e32 v5, v5, v6
	s_waitcnt vmcnt(2) lgkmcnt(0)
	v_mul_f32_e32 v27, v22, v65
	v_fmac_f32_e32 v27, v23, v64
	v_add_f32_e32 v31, v26, v27
	ds_read2_b64 v[26:29], v4 offset0:83 offset1:84
	buffer_load_dword v68, off, s[0:3], 0 offset:296
	buffer_load_dword v69, off, s[0:3], 0 offset:300
	;; [unrolled: 1-line block ×18, first 2 shown]
	v_mul_f32_e32 v6, v23, v65
	v_fma_f32 v6, v22, v64, -v6
	s_waitcnt vmcnt(18)
	v_mul_f32_e32 v33, v24, v67
	v_add_f32_e32 v30, v5, v6
	v_mul_f32_e32 v5, v25, v67
	v_fmac_f32_e32 v33, v25, v66
	v_fma_f32 v32, v24, v66, -v5
	ds_read2_b64 v[6:9], v4 offset0:85 offset1:86
	ds_read2_b64 v[10:13], v4 offset0:87 offset1:88
	;; [unrolled: 1-line block ×3, first 2 shown]
	ds_read_b64 v[18:19], v4 offset:728
	v_pk_add_f32 v[20:21], v[30:31], v[32:33]
	s_waitcnt vmcnt(15)
	v_mov_b32_e32 v22, v37
	s_waitcnt lgkmcnt(4)
	v_pk_mul_f32 v[22:23], v[28:29], v[22:23] op_sel_hi:[1,0]
	s_waitcnt vmcnt(14)
	v_pk_fma_f32 v[24:25], v[28:29], v[36:37], v[22:23] op_sel:[0,0,1] op_sel_hi:[1,1,0] neg_lo:[0,0,1] neg_hi:[0,0,1]
	v_pk_fma_f32 v[22:23], v[28:29], v[36:37], v[22:23] op_sel:[0,0,1] op_sel_hi:[1,0,0]
	s_waitcnt vmcnt(13)
	v_mov_b32_e32 v22, v39
	v_mov_b32_e32 v25, v23
	s_waitcnt lgkmcnt(3)
	v_pk_mul_f32 v[22:23], v[6:7], v[22:23] op_sel_hi:[1,0]
	v_mul_f32_e32 v35, v26, v69
	v_mul_f32_e32 v5, v27, v69
	v_fmac_f32_e32 v35, v27, v68
	v_fma_f32 v34, v26, v68, -v5
	v_pk_add_f32 v[20:21], v[20:21], v[34:35]
	v_pk_add_f32 v[20:21], v[20:21], v[24:25]
	s_waitcnt vmcnt(12)
	v_pk_fma_f32 v[24:25], v[6:7], v[38:39], v[22:23] op_sel:[0,0,1] op_sel_hi:[1,1,0] neg_lo:[0,0,1] neg_hi:[0,0,1]
	v_pk_fma_f32 v[6:7], v[6:7], v[38:39], v[22:23] op_sel:[0,0,1] op_sel_hi:[1,0,0]
	v_mov_b32_e32 v25, v7
	v_pk_add_f32 v[6:7], v[20:21], v[24:25]
	s_waitcnt vmcnt(11)
	v_mov_b32_e32 v20, v41
	v_pk_mul_f32 v[20:21], v[8:9], v[20:21] op_sel_hi:[1,0]
	s_waitcnt vmcnt(10)
	v_pk_fma_f32 v[22:23], v[8:9], v[40:41], v[20:21] op_sel:[0,0,1] op_sel_hi:[1,1,0] neg_lo:[0,0,1] neg_hi:[0,0,1]
	v_pk_fma_f32 v[8:9], v[8:9], v[40:41], v[20:21] op_sel:[0,0,1] op_sel_hi:[1,0,0]
	s_waitcnt vmcnt(9)
	v_mov_b32_e32 v8, v43
	v_mov_b32_e32 v23, v9
	s_waitcnt lgkmcnt(2)
	v_pk_mul_f32 v[8:9], v[10:11], v[8:9] op_sel_hi:[1,0]
	s_waitcnt vmcnt(8)
	v_pk_fma_f32 v[20:21], v[10:11], v[42:43], v[8:9] op_sel:[0,0,1] op_sel_hi:[1,1,0] neg_lo:[0,0,1] neg_hi:[0,0,1]
	v_pk_fma_f32 v[8:9], v[10:11], v[42:43], v[8:9] op_sel:[0,0,1] op_sel_hi:[1,0,0]
	s_waitcnt vmcnt(7)
	v_mov_b32_e32 v8, v45
	v_mov_b32_e32 v21, v9
	v_pk_mul_f32 v[8:9], v[12:13], v[8:9] op_sel_hi:[1,0]
	s_waitcnt vmcnt(6)
	v_pk_fma_f32 v[10:11], v[12:13], v[44:45], v[8:9] op_sel:[0,0,1] op_sel_hi:[1,1,0] neg_lo:[0,0,1] neg_hi:[0,0,1]
	v_pk_fma_f32 v[8:9], v[12:13], v[44:45], v[8:9] op_sel:[0,0,1] op_sel_hi:[1,0,0]
	v_pk_add_f32 v[6:7], v[6:7], v[22:23]
	s_waitcnt vmcnt(5)
	v_mov_b32_e32 v8, v47
	v_pk_add_f32 v[6:7], v[6:7], v[20:21]
	v_mov_b32_e32 v11, v9
	s_waitcnt lgkmcnt(1)
	v_pk_mul_f32 v[8:9], v[14:15], v[8:9] op_sel_hi:[1,0]
	v_pk_add_f32 v[6:7], v[6:7], v[10:11]
	s_waitcnt vmcnt(4)
	v_pk_fma_f32 v[10:11], v[14:15], v[46:47], v[8:9] op_sel:[0,0,1] op_sel_hi:[1,1,0] neg_lo:[0,0,1] neg_hi:[0,0,1]
	v_pk_fma_f32 v[8:9], v[14:15], v[46:47], v[8:9] op_sel:[0,0,1] op_sel_hi:[1,0,0]
	s_waitcnt vmcnt(3)
	v_mov_b32_e32 v8, v49
	v_mov_b32_e32 v11, v9
	v_pk_mul_f32 v[8:9], v[16:17], v[8:9] op_sel_hi:[1,0]
	v_pk_add_f32 v[6:7], v[6:7], v[10:11]
	s_waitcnt vmcnt(2)
	v_pk_fma_f32 v[10:11], v[16:17], v[48:49], v[8:9] op_sel:[0,0,1] op_sel_hi:[1,1,0] neg_lo:[0,0,1] neg_hi:[0,0,1]
	v_pk_fma_f32 v[8:9], v[16:17], v[48:49], v[8:9] op_sel:[0,0,1] op_sel_hi:[1,0,0]
	s_waitcnt vmcnt(1)
	v_mov_b32_e32 v8, v51
	v_mov_b32_e32 v11, v9
	s_waitcnt lgkmcnt(0)
	v_pk_mul_f32 v[8:9], v[18:19], v[8:9] op_sel_hi:[1,0]
	v_pk_add_f32 v[6:7], v[6:7], v[10:11]
	s_waitcnt vmcnt(0)
	v_pk_fma_f32 v[10:11], v[18:19], v[50:51], v[8:9] op_sel:[0,0,1] op_sel_hi:[1,1,0] neg_lo:[0,0,1] neg_hi:[0,0,1]
	v_pk_fma_f32 v[8:9], v[18:19], v[50:51], v[8:9] op_sel:[0,0,1] op_sel_hi:[1,0,0]
	v_mov_b32_e32 v11, v9
	v_pk_add_f32 v[6:7], v[6:7], v[10:11]
	v_pk_add_f32 v[2:3], v[2:3], v[6:7] neg_lo:[0,1] neg_hi:[0,1]
	buffer_store_dword v3, off, s[0:3], 0 offset:212
	buffer_store_dword v2, off, s[0:3], 0 offset:208
	s_and_saveexec_b64 s[4:5], vcc
	s_cbranch_execz .LBB109_239
; %bb.238:
	buffer_load_dword v2, off, s[0:3], 0 offset:200
	buffer_load_dword v3, off, s[0:3], 0 offset:204
	s_waitcnt vmcnt(0)
	ds_write_b64 v80, v[2:3]
	buffer_store_dword v4, off, s[0:3], 0 offset:200
	buffer_store_dword v4, off, s[0:3], 0 offset:204
.LBB109_239:
	s_or_b64 exec, exec, s[4:5]
	s_waitcnt lgkmcnt(0)
	; wave barrier
	s_waitcnt lgkmcnt(0)
	buffer_load_dword v2, off, s[0:3], 0 offset:212
	buffer_load_dword v3, off, s[0:3], 0 offset:220
	;; [unrolled: 1-line block ×26, first 2 shown]
	ds_read_b128 v[6:9], v4 offset:576
	ds_read_b128 v[10:13], v4 offset:592
	;; [unrolled: 1-line block ×6, first 2 shown]
	buffer_load_dword v33, off, s[0:3], 0 offset:324
	buffer_load_dword v32, off, s[0:3], 0 offset:320
	;; [unrolled: 1-line block ×16, first 2 shown]
	v_cmp_lt_u32_e32 vcc, 24, v0
	s_waitcnt vmcnt(41) lgkmcnt(5)
	v_mul_f32_e32 v71, v6, v2
	s_waitcnt vmcnt(40)
	v_mul_f32_e32 v72, v8, v3
	v_mul_f32_e32 v2, v7, v2
	s_waitcnt vmcnt(39) lgkmcnt(4)
	v_mul_f32_e32 v73, v10, v5
	v_mul_f32_e32 v3, v9, v3
	s_waitcnt vmcnt(38)
	v_mul_f32_e32 v74, v12, v48
	s_waitcnt vmcnt(37) lgkmcnt(3)
	v_mul_f32_e32 v75, v14, v50
	s_waitcnt vmcnt(36)
	v_mul_f32_e32 v168, v16, v52
	s_waitcnt vmcnt(35) lgkmcnt(2)
	;; [unrolled: 4-line block ×3, first 2 shown]
	v_mul_f32_e32 v171, v22, v56
	s_waitcnt vmcnt(32)
	v_mul_f32_e32 v172, v24, v57
	s_waitcnt vmcnt(29)
	v_fmac_f32_e32 v71, v7, v53
	s_waitcnt vmcnt(28)
	v_fmac_f32_e32 v72, v9, v60
	v_fma_f32 v2, v6, v53, -v2
	v_add_f32_e32 v6, 0, v71
	s_waitcnt vmcnt(27)
	v_fmac_f32_e32 v73, v11, v61
	v_fma_f32 v3, v8, v60, -v3
	v_add_f32_e32 v2, 0, v2
	v_add_f32_e32 v6, v6, v72
	s_waitcnt vmcnt(26)
	v_fmac_f32_e32 v74, v13, v62
	v_add_f32_e32 v2, v2, v3
	v_add_f32_e32 v3, v6, v73
	s_waitcnt vmcnt(25)
	v_fmac_f32_e32 v75, v15, v63
	v_add_f32_e32 v3, v3, v74
	s_waitcnt vmcnt(24)
	v_fmac_f32_e32 v168, v17, v64
	;; [unrolled: 3-line block ×5, first 2 shown]
	v_add_f32_e32 v3, v3, v170
	v_mul_f32_e32 v5, v11, v5
	s_waitcnt vmcnt(20)
	v_fmac_f32_e32 v172, v25, v68
	v_add_f32_e32 v3, v3, v171
	v_fma_f32 v5, v10, v61, -v5
	v_add_f32_e32 v53, v3, v172
	v_mul_f32_e32 v3, v13, v48
	v_add_f32_e32 v2, v2, v5
	v_fma_f32 v3, v12, v62, -v3
	v_add_f32_e32 v2, v2, v3
	v_mul_f32_e32 v3, v15, v50
	v_fma_f32 v3, v14, v63, -v3
	v_add_f32_e32 v2, v2, v3
	v_mul_f32_e32 v3, v17, v52
	;; [unrolled: 3-line block ×6, first 2 shown]
	v_fma_f32 v3, v24, v68, -v3
	v_add_f32_e32 v52, v2, v3
	s_waitcnt lgkmcnt(0)
	v_mul_f32_e32 v2, v27, v58
	s_waitcnt vmcnt(19)
	v_fma_f32 v48, v26, v69, -v2
	v_mul_f32_e32 v2, v29, v59
	s_waitcnt vmcnt(18)
	v_fma_f32 v50, v28, v70, -v2
	ds_read_b128 v[6:9], v4 offset:672
	ds_read_b128 v[10:13], v4 offset:688
	;; [unrolled: 1-line block ×4, first 2 shown]
	v_mul_f32_e32 v49, v26, v58
	s_waitcnt vmcnt(11)
	v_mov_b32_e32 v20, v37
	v_mul_f32_e32 v51, v28, v59
	v_fmac_f32_e32 v49, v27, v69
	s_waitcnt lgkmcnt(3)
	v_pk_mul_f32 v[20:21], v[6:7], v[20:21] op_sel_hi:[1,0]
	v_fmac_f32_e32 v51, v29, v70
	v_pk_add_f32 v[18:19], v[52:53], v[48:49]
	s_waitcnt vmcnt(10)
	v_pk_fma_f32 v[22:23], v[6:7], v[36:37], v[20:21] op_sel:[0,0,1] op_sel_hi:[1,1,0] neg_lo:[0,0,1] neg_hi:[0,0,1]
	v_pk_fma_f32 v[6:7], v[6:7], v[36:37], v[20:21] op_sel:[0,0,1] op_sel_hi:[1,0,0]
	v_pk_add_f32 v[18:19], v[18:19], v[50:51]
	v_mov_b32_e32 v23, v7
	v_pk_add_f32 v[6:7], v[18:19], v[22:23]
	v_mov_b32_e32 v18, v35
	v_pk_mul_f32 v[18:19], v[8:9], v[18:19] op_sel_hi:[1,0]
	v_pk_fma_f32 v[20:21], v[8:9], v[34:35], v[18:19] op_sel:[0,0,1] op_sel_hi:[1,1,0] neg_lo:[0,0,1] neg_hi:[0,0,1]
	v_pk_fma_f32 v[8:9], v[8:9], v[34:35], v[18:19] op_sel:[0,0,1] op_sel_hi:[1,0,0]
	v_mov_b32_e32 v8, v33
	v_mov_b32_e32 v21, v9
	s_waitcnt lgkmcnt(2)
	v_pk_mul_f32 v[8:9], v[10:11], v[8:9] op_sel_hi:[1,0]
	v_pk_fma_f32 v[18:19], v[10:11], v[32:33], v[8:9] op_sel:[0,0,1] op_sel_hi:[1,1,0] neg_lo:[0,0,1] neg_hi:[0,0,1]
	v_pk_fma_f32 v[8:9], v[10:11], v[32:33], v[8:9] op_sel:[0,0,1] op_sel_hi:[1,0,0]
	s_waitcnt vmcnt(3)
	v_mov_b32_e32 v8, v45
	v_mov_b32_e32 v19, v9
	v_pk_mul_f32 v[8:9], v[12:13], v[8:9] op_sel_hi:[1,0]
	s_waitcnt vmcnt(2)
	v_pk_fma_f32 v[10:11], v[12:13], v[44:45], v[8:9] op_sel:[0,0,1] op_sel_hi:[1,1,0] neg_lo:[0,0,1] neg_hi:[0,0,1]
	v_pk_fma_f32 v[8:9], v[12:13], v[44:45], v[8:9] op_sel:[0,0,1] op_sel_hi:[1,0,0]
	v_pk_add_f32 v[6:7], v[6:7], v[20:21]
	v_mov_b32_e32 v8, v43
	v_pk_add_f32 v[6:7], v[6:7], v[18:19]
	v_mov_b32_e32 v11, v9
	s_waitcnt lgkmcnt(1)
	v_pk_mul_f32 v[8:9], v[14:15], v[8:9] op_sel_hi:[1,0]
	v_pk_add_f32 v[6:7], v[6:7], v[10:11]
	v_pk_fma_f32 v[10:11], v[14:15], v[42:43], v[8:9] op_sel:[0,0,1] op_sel_hi:[1,1,0] neg_lo:[0,0,1] neg_hi:[0,0,1]
	v_pk_fma_f32 v[8:9], v[14:15], v[42:43], v[8:9] op_sel:[0,0,1] op_sel_hi:[1,0,0]
	v_mov_b32_e32 v8, v41
	v_mov_b32_e32 v11, v9
	v_pk_mul_f32 v[8:9], v[16:17], v[8:9] op_sel_hi:[1,0]
	v_pk_add_f32 v[6:7], v[6:7], v[10:11]
	v_pk_fma_f32 v[10:11], v[16:17], v[40:41], v[8:9] op_sel:[0,0,1] op_sel_hi:[1,1,0] neg_lo:[0,0,1] neg_hi:[0,0,1]
	v_pk_fma_f32 v[8:9], v[16:17], v[40:41], v[8:9] op_sel:[0,0,1] op_sel_hi:[1,0,0]
	v_mov_b32_e32 v8, v39
	v_mov_b32_e32 v11, v9
	s_waitcnt lgkmcnt(0)
	v_pk_mul_f32 v[8:9], v[2:3], v[8:9] op_sel_hi:[1,0]
	v_pk_add_f32 v[6:7], v[6:7], v[10:11]
	v_pk_fma_f32 v[10:11], v[2:3], v[38:39], v[8:9] op_sel:[0,0,1] op_sel_hi:[1,1,0] neg_lo:[0,0,1] neg_hi:[0,0,1]
	v_pk_fma_f32 v[2:3], v[2:3], v[38:39], v[8:9] op_sel:[0,0,1] op_sel_hi:[1,0,0]
	v_mov_b32_e32 v11, v3
	v_pk_add_f32 v[2:3], v[6:7], v[10:11]
	s_waitcnt vmcnt(1)
	v_mov_b32_e32 v6, v47
	v_pk_mul_f32 v[6:7], v[4:5], v[6:7] op_sel_hi:[1,0]
	s_waitcnt vmcnt(0)
	v_pk_fma_f32 v[8:9], v[4:5], v[46:47], v[6:7] op_sel:[0,0,1] op_sel_hi:[1,1,0] neg_lo:[0,0,1] neg_hi:[0,0,1]
	v_pk_fma_f32 v[4:5], v[4:5], v[46:47], v[6:7] op_sel:[0,0,1] op_sel_hi:[1,0,0]
	v_mov_b32_e32 v9, v5
	v_pk_add_f32 v[2:3], v[2:3], v[8:9]
	v_pk_add_f32 v[2:3], v[30:31], v[2:3] neg_lo:[0,1] neg_hi:[0,1]
	buffer_store_dword v3, off, s[0:3], 0 offset:204
	buffer_store_dword v2, off, s[0:3], 0 offset:200
	s_and_saveexec_b64 s[4:5], vcc
	s_cbranch_execz .LBB109_241
; %bb.240:
	buffer_load_dword v2, off, s[0:3], 0 offset:192
	buffer_load_dword v3, off, s[0:3], 0 offset:196
	v_mov_b32_e32 v4, 0
	buffer_store_dword v4, off, s[0:3], 0 offset:192
	buffer_store_dword v4, off, s[0:3], 0 offset:196
	s_waitcnt vmcnt(2)
	ds_write_b64 v80, v[2:3]
.LBB109_241:
	s_or_b64 exec, exec, s[4:5]
	s_waitcnt lgkmcnt(0)
	; wave barrier
	s_waitcnt lgkmcnt(0)
	buffer_load_dword v3, off, s[0:3], 0 offset:204
	buffer_load_dword v54, off, s[0:3], 0 offset:212
	;; [unrolled: 1-line block ×44, first 2 shown]
	v_mov_b32_e32 v2, 0
	ds_read2_b64 v[4:7], v2 offset0:71 offset1:72
	ds_read2_b64 v[8:11], v2 offset0:73 offset1:74
	;; [unrolled: 1-line block ×8, first 2 shown]
	v_cmp_lt_u32_e32 vcc, 23, v0
	s_waitcnt vmcnt(43) lgkmcnt(7)
	v_mul_f32_e32 v59, v4, v3
	v_mul_f32_e32 v3, v5, v3
	s_waitcnt vmcnt(42)
	v_mul_f32_e32 v174, v6, v54
	s_waitcnt vmcnt(41) lgkmcnt(6)
	v_mul_f32_e32 v175, v8, v56
	s_waitcnt vmcnt(40)
	v_mul_f32_e32 v176, v10, v58
	s_waitcnt vmcnt(39) lgkmcnt(5)
	;; [unrolled: 4-line block ×5, first 2 shown]
	v_mul_f32_e32 v183, v24, v66
	s_waitcnt vmcnt(32)
	v_mul_f32_e32 v55, v26, v67
	s_waitcnt vmcnt(30)
	v_fma_f32 v3, v4, v69, -v3
	v_mul_f32_e32 v4, v7, v54
	v_add_f32_e32 v3, 0, v3
	s_waitcnt vmcnt(29)
	v_fma_f32 v4, v6, v70, -v4
	v_add_f32_e32 v3, v3, v4
	v_mul_f32_e32 v4, v9, v56
	s_waitcnt vmcnt(28)
	v_fma_f32 v4, v8, v71, -v4
	v_add_f32_e32 v3, v3, v4
	v_mul_f32_e32 v4, v11, v58
	s_waitcnt vmcnt(27)
	v_fma_f32 v4, v10, v72, -v4
	v_add_f32_e32 v3, v3, v4
	v_mul_f32_e32 v4, v13, v60
	s_waitcnt vmcnt(26)
	v_fma_f32 v4, v12, v73, -v4
	v_add_f32_e32 v3, v3, v4
	v_mul_f32_e32 v4, v15, v61
	s_waitcnt vmcnt(25)
	v_fma_f32 v4, v14, v74, -v4
	v_fmac_f32_e32 v59, v5, v69
	v_add_f32_e32 v3, v3, v4
	v_mul_f32_e32 v4, v17, v62
	v_fmac_f32_e32 v174, v7, v70
	v_add_f32_e32 v5, 0, v59
	s_waitcnt vmcnt(24)
	v_fma_f32 v4, v16, v75, -v4
	v_fmac_f32_e32 v175, v9, v71
	v_add_f32_e32 v5, v5, v174
	v_add_f32_e32 v3, v3, v4
	v_mul_f32_e32 v4, v19, v63
	v_fmac_f32_e32 v176, v11, v72
	v_add_f32_e32 v5, v5, v175
	s_waitcnt vmcnt(23)
	v_fma_f32 v4, v18, v168, -v4
	v_fmac_f32_e32 v177, v13, v73
	v_add_f32_e32 v5, v5, v176
	;; [unrolled: 8-line block ×4, first 2 shown]
	v_add_f32_e32 v3, v3, v4
	v_mul_f32_e32 v4, v25, v66
	v_fmac_f32_e32 v182, v23, v170
	v_add_f32_e32 v5, v5, v181
	s_waitcnt vmcnt(20)
	v_fma_f32 v4, v24, v171, -v4
	s_waitcnt vmcnt(13)
	v_mov_b32_e32 v16, v41
	v_fmac_f32_e32 v183, v25, v171
	v_add_f32_e32 v5, v5, v182
	v_add_f32_e32 v58, v3, v4
	v_mul_f32_e32 v3, v27, v67
	s_waitcnt lgkmcnt(1)
	v_pk_mul_f32 v[16:17], v[30:31], v[16:17] op_sel_hi:[1,0]
	v_mul_f32_e32 v57, v28, v68
	v_fmac_f32_e32 v55, v27, v172
	v_add_f32_e32 v59, v5, v183
	v_fma_f32 v54, v26, v172, -v3
	v_mul_f32_e32 v3, v29, v68
	s_waitcnt vmcnt(12)
	v_pk_fma_f32 v[18:19], v[30:31], v[40:41], v[16:17] op_sel:[0,0,1] op_sel_hi:[1,1,0] neg_lo:[0,0,1] neg_hi:[0,0,1]
	v_pk_fma_f32 v[16:17], v[30:31], v[40:41], v[16:17] op_sel:[0,0,1] op_sel_hi:[1,0,0]
	v_fmac_f32_e32 v57, v29, v173
	v_fma_f32 v56, v28, v173, -v3
	v_pk_add_f32 v[14:15], v[58:59], v[54:55]
	v_mov_b32_e32 v16, v39
	v_pk_add_f32 v[14:15], v[14:15], v[56:57]
	v_mov_b32_e32 v19, v17
	s_waitcnt lgkmcnt(0)
	v_pk_mul_f32 v[16:17], v[32:33], v[16:17] op_sel_hi:[1,0]
	v_pk_add_f32 v[14:15], v[14:15], v[18:19]
	v_pk_fma_f32 v[18:19], v[32:33], v[38:39], v[16:17] op_sel:[0,0,1] op_sel_hi:[1,1,0] neg_lo:[0,0,1] neg_hi:[0,0,1]
	v_pk_fma_f32 v[16:17], v[32:33], v[38:39], v[16:17] op_sel:[0,0,1] op_sel_hi:[1,0,0]
	s_waitcnt vmcnt(5)
	v_mov_b32_e32 v16, v49
	ds_read2_b64 v[4:7], v2 offset0:87 offset1:88
	ds_read2_b64 v[8:11], v2 offset0:89 offset1:90
	ds_read_b64 v[12:13], v2 offset:728
	v_mov_b32_e32 v19, v17
	v_pk_mul_f32 v[16:17], v[34:35], v[16:17] op_sel_hi:[1,0]
	v_pk_add_f32 v[14:15], v[14:15], v[18:19]
	s_waitcnt vmcnt(4)
	v_pk_fma_f32 v[18:19], v[34:35], v[48:49], v[16:17] op_sel:[0,0,1] op_sel_hi:[1,1,0] neg_lo:[0,0,1] neg_hi:[0,0,1]
	v_pk_fma_f32 v[16:17], v[34:35], v[48:49], v[16:17] op_sel:[0,0,1] op_sel_hi:[1,0,0]
	v_mov_b32_e32 v16, v47
	v_mov_b32_e32 v19, v17
	s_waitcnt lgkmcnt(2)
	v_pk_mul_f32 v[16:17], v[4:5], v[16:17] op_sel_hi:[1,0]
	v_pk_add_f32 v[14:15], v[14:15], v[18:19]
	v_pk_fma_f32 v[18:19], v[4:5], v[46:47], v[16:17] op_sel:[0,0,1] op_sel_hi:[1,1,0] neg_lo:[0,0,1] neg_hi:[0,0,1]
	v_pk_fma_f32 v[4:5], v[4:5], v[46:47], v[16:17] op_sel:[0,0,1] op_sel_hi:[1,0,0]
	v_mov_b32_e32 v19, v5
	v_pk_add_f32 v[4:5], v[14:15], v[18:19]
	v_mov_b32_e32 v14, v45
	v_pk_mul_f32 v[14:15], v[6:7], v[14:15] op_sel_hi:[1,0]
	v_pk_fma_f32 v[16:17], v[6:7], v[44:45], v[14:15] op_sel:[0,0,1] op_sel_hi:[1,1,0] neg_lo:[0,0,1] neg_hi:[0,0,1]
	v_pk_fma_f32 v[6:7], v[6:7], v[44:45], v[14:15] op_sel:[0,0,1] op_sel_hi:[1,0,0]
	v_mov_b32_e32 v6, v43
	v_mov_b32_e32 v17, v7
	s_waitcnt lgkmcnt(1)
	v_pk_mul_f32 v[6:7], v[8:9], v[6:7] op_sel_hi:[1,0]
	v_pk_fma_f32 v[14:15], v[8:9], v[42:43], v[6:7] op_sel:[0,0,1] op_sel_hi:[1,1,0] neg_lo:[0,0,1] neg_hi:[0,0,1]
	v_pk_fma_f32 v[6:7], v[8:9], v[42:43], v[6:7] op_sel:[0,0,1] op_sel_hi:[1,0,0]
	s_waitcnt vmcnt(1)
	v_mov_b32_e32 v6, v53
	v_mov_b32_e32 v15, v7
	v_pk_mul_f32 v[6:7], v[10:11], v[6:7] op_sel_hi:[1,0]
	s_waitcnt vmcnt(0)
	v_pk_fma_f32 v[8:9], v[10:11], v[52:53], v[6:7] op_sel:[0,0,1] op_sel_hi:[1,1,0] neg_lo:[0,0,1] neg_hi:[0,0,1]
	v_pk_fma_f32 v[6:7], v[10:11], v[52:53], v[6:7] op_sel:[0,0,1] op_sel_hi:[1,0,0]
	v_pk_add_f32 v[4:5], v[4:5], v[16:17]
	v_mov_b32_e32 v6, v51
	v_pk_add_f32 v[4:5], v[4:5], v[14:15]
	v_mov_b32_e32 v9, v7
	s_waitcnt lgkmcnt(0)
	v_pk_mul_f32 v[6:7], v[12:13], v[6:7] op_sel_hi:[1,0]
	v_pk_add_f32 v[4:5], v[4:5], v[8:9]
	v_pk_fma_f32 v[8:9], v[12:13], v[50:51], v[6:7] op_sel:[0,0,1] op_sel_hi:[1,1,0] neg_lo:[0,0,1] neg_hi:[0,0,1]
	v_pk_fma_f32 v[6:7], v[12:13], v[50:51], v[6:7] op_sel:[0,0,1] op_sel_hi:[1,0,0]
	v_mov_b32_e32 v9, v7
	v_pk_add_f32 v[4:5], v[4:5], v[8:9]
	v_pk_add_f32 v[4:5], v[36:37], v[4:5] neg_lo:[0,1] neg_hi:[0,1]
	buffer_store_dword v5, off, s[0:3], 0 offset:196
	buffer_store_dword v4, off, s[0:3], 0 offset:192
	s_and_saveexec_b64 s[4:5], vcc
	s_cbranch_execz .LBB109_243
; %bb.242:
	buffer_load_dword v4, off, s[0:3], 0 offset:184
	buffer_load_dword v5, off, s[0:3], 0 offset:188
	s_waitcnt vmcnt(0)
	ds_write_b64 v80, v[4:5]
	buffer_store_dword v2, off, s[0:3], 0 offset:184
	buffer_store_dword v2, off, s[0:3], 0 offset:188
.LBB109_243:
	s_or_b64 exec, exec, s[4:5]
	s_waitcnt lgkmcnt(0)
	; wave barrier
	s_waitcnt lgkmcnt(0)
	buffer_load_dword v3, off, s[0:3], 0 offset:196
	buffer_load_dword v54, off, s[0:3], 0 offset:204
	;; [unrolled: 1-line block ×30, first 2 shown]
	ds_read_b128 v[4:7], v2 offset:560
	ds_read_b128 v[8:11], v2 offset:576
	;; [unrolled: 1-line block ×6, first 2 shown]
	buffer_load_dword v39, off, s[0:3], 0 offset:308
	buffer_load_dword v38, off, s[0:3], 0 offset:304
	ds_read_b128 v[28:31], v2 offset:656
	ds_read_b128 v[32:35], v2 offset:672
	buffer_load_dword v41, off, s[0:3], 0 offset:340
	buffer_load_dword v40, off, s[0:3], 0 offset:336
	;; [unrolled: 1-line block ×14, first 2 shown]
	v_cmp_lt_u32_e32 vcc, 22, v0
	s_waitcnt vmcnt(45) lgkmcnt(7)
	v_mul_f32_e32 v57, v4, v3
	v_mul_f32_e32 v3, v5, v3
	s_waitcnt vmcnt(44)
	v_mul_f32_e32 v59, v6, v54
	s_waitcnt vmcnt(43) lgkmcnt(6)
	v_mul_f32_e32 v176, v8, v56
	s_waitcnt vmcnt(42)
	v_mul_f32_e32 v177, v10, v58
	s_waitcnt vmcnt(41) lgkmcnt(5)
	;; [unrolled: 4-line block ×5, first 2 shown]
	v_mul_f32_e32 v184, v24, v66
	s_waitcnt vmcnt(34)
	v_mul_f32_e32 v185, v26, v67
	s_waitcnt vmcnt(32)
	v_fma_f32 v3, v4, v69, -v3
	v_mul_f32_e32 v4, v7, v54
	v_add_f32_e32 v3, 0, v3
	s_waitcnt vmcnt(31)
	v_fma_f32 v4, v6, v70, -v4
	v_add_f32_e32 v3, v3, v4
	v_mul_f32_e32 v4, v9, v56
	s_waitcnt vmcnt(30)
	v_fma_f32 v4, v8, v71, -v4
	v_add_f32_e32 v3, v3, v4
	v_mul_f32_e32 v4, v11, v58
	s_waitcnt vmcnt(29)
	v_fma_f32 v4, v10, v72, -v4
	v_add_f32_e32 v3, v3, v4
	v_mul_f32_e32 v4, v13, v60
	s_waitcnt vmcnt(28)
	v_fma_f32 v4, v12, v73, -v4
	v_add_f32_e32 v3, v3, v4
	v_mul_f32_e32 v4, v15, v61
	s_waitcnt vmcnt(27)
	v_fma_f32 v4, v14, v74, -v4
	v_add_f32_e32 v3, v3, v4
	v_mul_f32_e32 v4, v17, v62
	v_fmac_f32_e32 v57, v5, v69
	s_waitcnt vmcnt(26)
	v_fma_f32 v4, v16, v75, -v4
	v_fmac_f32_e32 v59, v7, v70
	v_add_f32_e32 v57, 0, v57
	v_add_f32_e32 v3, v3, v4
	v_mul_f32_e32 v4, v19, v63
	v_fmac_f32_e32 v176, v9, v71
	v_add_f32_e32 v57, v57, v59
	s_waitcnt vmcnt(25)
	v_fma_f32 v4, v18, v168, -v4
	v_fmac_f32_e32 v177, v11, v72
	v_add_f32_e32 v57, v57, v176
	v_add_f32_e32 v3, v3, v4
	v_mul_f32_e32 v4, v21, v64
	v_fmac_f32_e32 v178, v13, v73
	v_add_f32_e32 v57, v57, v177
	;; [unrolled: 8-line block ×5, first 2 shown]
	s_waitcnt vmcnt(21)
	v_fma_f32 v4, v26, v172, -v4
	s_waitcnt vmcnt(15)
	v_mov_b32_e32 v16, v39
	s_waitcnt lgkmcnt(1)
	v_mul_f32_e32 v55, v28, v68
	v_fmac_f32_e32 v185, v27, v172
	v_add_f32_e32 v57, v57, v184
	v_add_f32_e32 v56, v3, v4
	v_mul_f32_e32 v3, v29, v68
	s_waitcnt lgkmcnt(0)
	v_pk_mul_f32 v[16:17], v[32:33], v[16:17] op_sel_hi:[1,0]
	v_fmac_f32_e32 v55, v29, v173
	v_add_f32_e32 v57, v57, v185
	v_mul_f32_e32 v59, v30, v174
	v_fma_f32 v54, v28, v173, -v3
	v_mul_f32_e32 v3, v31, v174
	s_waitcnt vmcnt(14)
	v_pk_fma_f32 v[18:19], v[32:33], v[38:39], v[16:17] op_sel:[0,0,1] op_sel_hi:[1,1,0] neg_lo:[0,0,1] neg_hi:[0,0,1]
	v_pk_fma_f32 v[16:17], v[32:33], v[38:39], v[16:17] op_sel:[0,0,1] op_sel_hi:[1,0,0]
	v_fmac_f32_e32 v59, v31, v175
	v_fma_f32 v58, v30, v175, -v3
	ds_read_b128 v[4:7], v2 offset:688
	ds_read_b128 v[8:11], v2 offset:704
	;; [unrolled: 1-line block ×3, first 2 shown]
	v_pk_add_f32 v[2:3], v[56:57], v[54:55]
	s_waitcnt vmcnt(7)
	v_mov_b32_e32 v16, v47
	v_pk_add_f32 v[2:3], v[2:3], v[58:59]
	v_mov_b32_e32 v19, v17
	v_pk_mul_f32 v[16:17], v[34:35], v[16:17] op_sel_hi:[1,0]
	v_pk_add_f32 v[2:3], v[2:3], v[18:19]
	s_waitcnt vmcnt(6)
	v_pk_fma_f32 v[18:19], v[34:35], v[46:47], v[16:17] op_sel:[0,0,1] op_sel_hi:[1,1,0] neg_lo:[0,0,1] neg_hi:[0,0,1]
	v_pk_fma_f32 v[16:17], v[34:35], v[46:47], v[16:17] op_sel:[0,0,1] op_sel_hi:[1,0,0]
	v_mov_b32_e32 v16, v45
	v_mov_b32_e32 v19, v17
	s_waitcnt lgkmcnt(2)
	v_pk_mul_f32 v[16:17], v[4:5], v[16:17] op_sel_hi:[1,0]
	v_pk_add_f32 v[2:3], v[2:3], v[18:19]
	v_pk_fma_f32 v[18:19], v[4:5], v[44:45], v[16:17] op_sel:[0,0,1] op_sel_hi:[1,1,0] neg_lo:[0,0,1] neg_hi:[0,0,1]
	v_pk_fma_f32 v[4:5], v[4:5], v[44:45], v[16:17] op_sel:[0,0,1] op_sel_hi:[1,0,0]
	v_mov_b32_e32 v4, v43
	v_mov_b32_e32 v19, v5
	v_pk_mul_f32 v[4:5], v[6:7], v[4:5] op_sel_hi:[1,0]
	v_pk_fma_f32 v[16:17], v[6:7], v[42:43], v[4:5] op_sel:[0,0,1] op_sel_hi:[1,1,0] neg_lo:[0,0,1] neg_hi:[0,0,1]
	v_pk_fma_f32 v[4:5], v[6:7], v[42:43], v[4:5] op_sel:[0,0,1] op_sel_hi:[1,0,0]
	v_mov_b32_e32 v4, v41
	v_mov_b32_e32 v17, v5
	s_waitcnt lgkmcnt(1)
	v_pk_mul_f32 v[4:5], v[8:9], v[4:5] op_sel_hi:[1,0]
	v_pk_fma_f32 v[6:7], v[8:9], v[40:41], v[4:5] op_sel:[0,0,1] op_sel_hi:[1,1,0] neg_lo:[0,0,1] neg_hi:[0,0,1]
	v_pk_fma_f32 v[4:5], v[8:9], v[40:41], v[4:5] op_sel:[0,0,1] op_sel_hi:[1,0,0]
	v_pk_add_f32 v[2:3], v[2:3], v[18:19]
	s_waitcnt vmcnt(1)
	v_mov_b32_e32 v4, v53
	v_pk_add_f32 v[2:3], v[2:3], v[16:17]
	v_mov_b32_e32 v7, v5
	v_pk_mul_f32 v[4:5], v[10:11], v[4:5] op_sel_hi:[1,0]
	v_pk_add_f32 v[2:3], v[2:3], v[6:7]
	s_waitcnt vmcnt(0)
	v_pk_fma_f32 v[6:7], v[10:11], v[52:53], v[4:5] op_sel:[0,0,1] op_sel_hi:[1,1,0] neg_lo:[0,0,1] neg_hi:[0,0,1]
	v_pk_fma_f32 v[4:5], v[10:11], v[52:53], v[4:5] op_sel:[0,0,1] op_sel_hi:[1,0,0]
	v_mov_b32_e32 v4, v51
	v_mov_b32_e32 v7, v5
	s_waitcnt lgkmcnt(0)
	v_pk_mul_f32 v[4:5], v[12:13], v[4:5] op_sel_hi:[1,0]
	v_pk_add_f32 v[2:3], v[2:3], v[6:7]
	v_pk_fma_f32 v[6:7], v[12:13], v[50:51], v[4:5] op_sel:[0,0,1] op_sel_hi:[1,1,0] neg_lo:[0,0,1] neg_hi:[0,0,1]
	v_pk_fma_f32 v[4:5], v[12:13], v[50:51], v[4:5] op_sel:[0,0,1] op_sel_hi:[1,0,0]
	v_mov_b32_e32 v4, v49
	v_mov_b32_e32 v7, v5
	v_pk_mul_f32 v[4:5], v[14:15], v[4:5] op_sel_hi:[1,0]
	v_pk_add_f32 v[2:3], v[2:3], v[6:7]
	v_pk_fma_f32 v[6:7], v[14:15], v[48:49], v[4:5] op_sel:[0,0,1] op_sel_hi:[1,1,0] neg_lo:[0,0,1] neg_hi:[0,0,1]
	v_pk_fma_f32 v[4:5], v[14:15], v[48:49], v[4:5] op_sel:[0,0,1] op_sel_hi:[1,0,0]
	v_mov_b32_e32 v7, v5
	v_pk_add_f32 v[2:3], v[2:3], v[6:7]
	v_pk_add_f32 v[2:3], v[36:37], v[2:3] neg_lo:[0,1] neg_hi:[0,1]
	buffer_store_dword v3, off, s[0:3], 0 offset:188
	buffer_store_dword v2, off, s[0:3], 0 offset:184
	s_and_saveexec_b64 s[4:5], vcc
	s_cbranch_execz .LBB109_245
; %bb.244:
	buffer_load_dword v2, off, s[0:3], 0 offset:176
	buffer_load_dword v3, off, s[0:3], 0 offset:180
	v_mov_b32_e32 v4, 0
	buffer_store_dword v4, off, s[0:3], 0 offset:176
	buffer_store_dword v4, off, s[0:3], 0 offset:180
	s_waitcnt vmcnt(2)
	ds_write_b64 v80, v[2:3]
.LBB109_245:
	s_or_b64 exec, exec, s[4:5]
	s_waitcnt lgkmcnt(0)
	; wave barrier
	s_waitcnt lgkmcnt(0)
	buffer_load_dword v3, off, s[0:3], 0 offset:188
	buffer_load_dword v52, off, s[0:3], 0 offset:196
	;; [unrolled: 1-line block ×32, first 2 shown]
	v_mov_b32_e32 v2, 0
	buffer_load_dword v39, off, s[0:3], 0 offset:332
	buffer_load_dword v38, off, s[0:3], 0 offset:328
	;; [unrolled: 1-line block ×13, first 2 shown]
	ds_read2_b64 v[4:7], v2 offset0:69 offset1:70
	ds_read2_b64 v[8:11], v2 offset0:71 offset1:72
	;; [unrolled: 1-line block ×8, first 2 shown]
	v_cmp_lt_u32_e32 vcc, 21, v0
	s_waitcnt vmcnt(44) lgkmcnt(7)
	v_mul_f32_e32 v46, v4, v3
	s_waitcnt vmcnt(43)
	v_mul_f32_e32 v53, v6, v52
	s_waitcnt vmcnt(42) lgkmcnt(6)
	v_mul_f32_e32 v54, v8, v56
	s_waitcnt vmcnt(41)
	v_mul_f32_e32 v55, v10, v58
	;; [unrolled: 4-line block ×6, first 2 shown]
	s_waitcnt vmcnt(32) lgkmcnt(1)
	v_mul_f32_e32 v184, v28, v68
	s_waitcnt vmcnt(31)
	v_fmac_f32_e32 v46, v5, v69
	s_waitcnt vmcnt(30)
	v_fmac_f32_e32 v53, v7, v70
	v_add_f32_e32 v46, 0, v46
	s_waitcnt vmcnt(29)
	v_fmac_f32_e32 v54, v9, v71
	v_add_f32_e32 v46, v46, v53
	;; [unrolled: 3-line block ×12, first 2 shown]
	v_add_f32_e32 v53, v46, v184
	buffer_load_dword v55, off, s[0:3], 0 offset:348
	buffer_load_dword v54, off, s[0:3], 0 offset:344
	;; [unrolled: 1-line block ×3, first 2 shown]
	v_mul_f32_e32 v3, v5, v3
	v_fma_f32 v3, v4, v69, -v3
	v_mul_f32_e32 v4, v7, v52
	v_add_f32_e32 v3, 0, v3
	v_fma_f32 v4, v6, v70, -v4
	v_add_f32_e32 v3, v3, v4
	v_mul_f32_e32 v4, v9, v56
	v_fma_f32 v4, v8, v71, -v4
	v_add_f32_e32 v3, v3, v4
	v_mul_f32_e32 v4, v11, v58
	;; [unrolled: 3-line block ×11, first 2 shown]
	v_fma_f32 v4, v28, v173, -v4
	s_waitcnt vmcnt(9)
	v_mov_b32_e32 v20, v45
	v_mul_f32_e32 v57, v30, v174
	v_add_f32_e32 v52, v3, v4
	v_mul_f32_e32 v3, v31, v174
	s_waitcnt lgkmcnt(0)
	v_pk_mul_f32 v[20:21], v[34:35], v[20:21] op_sel_hi:[1,0]
	v_fmac_f32_e32 v57, v31, v175
	v_mul_f32_e32 v59, v32, v176
	v_fma_f32 v56, v30, v175, -v3
	v_mul_f32_e32 v3, v33, v176
	ds_read2_b64 v[4:7], v2 offset0:85 offset1:86
	ds_read2_b64 v[8:11], v2 offset0:87 offset1:88
	;; [unrolled: 1-line block ×3, first 2 shown]
	ds_read_b64 v[16:17], v2 offset:728
	s_waitcnt vmcnt(8)
	v_pk_fma_f32 v[22:23], v[34:35], v[44:45], v[20:21] op_sel:[0,0,1] op_sel_hi:[1,1,0] neg_lo:[0,0,1] neg_hi:[0,0,1]
	v_pk_fma_f32 v[20:21], v[34:35], v[44:45], v[20:21] op_sel:[0,0,1] op_sel_hi:[1,0,0]
	v_fmac_f32_e32 v59, v33, v177
	v_fma_f32 v58, v32, v177, -v3
	v_pk_add_f32 v[18:19], v[52:53], v[56:57]
	v_mov_b32_e32 v20, v43
	v_pk_add_f32 v[18:19], v[18:19], v[58:59]
	v_mov_b32_e32 v23, v21
	s_waitcnt lgkmcnt(3)
	v_pk_mul_f32 v[20:21], v[4:5], v[20:21] op_sel_hi:[1,0]
	v_pk_add_f32 v[18:19], v[18:19], v[22:23]
	v_pk_fma_f32 v[22:23], v[4:5], v[42:43], v[20:21] op_sel:[0,0,1] op_sel_hi:[1,1,0] neg_lo:[0,0,1] neg_hi:[0,0,1]
	v_pk_fma_f32 v[4:5], v[4:5], v[42:43], v[20:21] op_sel:[0,0,1] op_sel_hi:[1,0,0]
	v_mov_b32_e32 v23, v5
	v_pk_add_f32 v[4:5], v[18:19], v[22:23]
	v_mov_b32_e32 v18, v41
	v_pk_mul_f32 v[18:19], v[6:7], v[18:19] op_sel_hi:[1,0]
	v_pk_fma_f32 v[20:21], v[6:7], v[40:41], v[18:19] op_sel:[0,0,1] op_sel_hi:[1,1,0] neg_lo:[0,0,1] neg_hi:[0,0,1]
	v_pk_fma_f32 v[6:7], v[6:7], v[40:41], v[18:19] op_sel:[0,0,1] op_sel_hi:[1,0,0]
	v_mov_b32_e32 v6, v39
	v_mov_b32_e32 v21, v7
	s_waitcnt lgkmcnt(2)
	v_pk_mul_f32 v[6:7], v[8:9], v[6:7] op_sel_hi:[1,0]
	v_pk_fma_f32 v[18:19], v[8:9], v[38:39], v[6:7] op_sel:[0,0,1] op_sel_hi:[1,1,0] neg_lo:[0,0,1] neg_hi:[0,0,1]
	v_pk_fma_f32 v[6:7], v[8:9], v[38:39], v[6:7] op_sel:[0,0,1] op_sel_hi:[1,0,0]
	s_waitcnt vmcnt(7)
	v_mov_b32_e32 v6, v47
	v_mov_b32_e32 v19, v7
	v_pk_mul_f32 v[6:7], v[10:11], v[6:7] op_sel_hi:[1,0]
	v_pk_add_f32 v[4:5], v[4:5], v[20:21]
	v_pk_add_f32 v[4:5], v[4:5], v[18:19]
	s_waitcnt vmcnt(0)
	v_pk_fma_f32 v[8:9], v[10:11], v[46:47], v[6:7] op_sel:[0,0,1] op_sel_hi:[1,1,0] neg_lo:[0,0,1] neg_hi:[0,0,1]
	v_pk_fma_f32 v[6:7], v[10:11], v[46:47], v[6:7] op_sel:[0,0,1] op_sel_hi:[1,0,0]
	v_mov_b32_e32 v6, v55
	v_mov_b32_e32 v9, v7
	s_waitcnt lgkmcnt(1)
	v_pk_mul_f32 v[6:7], v[12:13], v[6:7] op_sel_hi:[1,0]
	v_pk_add_f32 v[4:5], v[4:5], v[8:9]
	v_pk_fma_f32 v[8:9], v[12:13], v[54:55], v[6:7] op_sel:[0,0,1] op_sel_hi:[1,1,0] neg_lo:[0,0,1] neg_hi:[0,0,1]
	v_pk_fma_f32 v[6:7], v[12:13], v[54:55], v[6:7] op_sel:[0,0,1] op_sel_hi:[1,0,0]
	v_mov_b32_e32 v6, v51
	v_mov_b32_e32 v9, v7
	v_pk_mul_f32 v[6:7], v[14:15], v[6:7] op_sel_hi:[1,0]
	v_pk_add_f32 v[4:5], v[4:5], v[8:9]
	v_pk_fma_f32 v[8:9], v[14:15], v[50:51], v[6:7] op_sel:[0,0,1] op_sel_hi:[1,1,0] neg_lo:[0,0,1] neg_hi:[0,0,1]
	v_pk_fma_f32 v[6:7], v[14:15], v[50:51], v[6:7] op_sel:[0,0,1] op_sel_hi:[1,0,0]
	v_mov_b32_e32 v6, v49
	v_mov_b32_e32 v9, v7
	s_waitcnt lgkmcnt(0)
	v_pk_mul_f32 v[6:7], v[16:17], v[6:7] op_sel_hi:[1,0]
	v_pk_add_f32 v[4:5], v[4:5], v[8:9]
	v_pk_fma_f32 v[8:9], v[16:17], v[48:49], v[6:7] op_sel:[0,0,1] op_sel_hi:[1,1,0] neg_lo:[0,0,1] neg_hi:[0,0,1]
	v_pk_fma_f32 v[6:7], v[16:17], v[48:49], v[6:7] op_sel:[0,0,1] op_sel_hi:[1,0,0]
	v_mov_b32_e32 v9, v7
	v_pk_add_f32 v[4:5], v[4:5], v[8:9]
	v_pk_add_f32 v[4:5], v[36:37], v[4:5] neg_lo:[0,1] neg_hi:[0,1]
	buffer_store_dword v5, off, s[0:3], 0 offset:180
	buffer_store_dword v4, off, s[0:3], 0 offset:176
	s_and_saveexec_b64 s[4:5], vcc
	s_cbranch_execz .LBB109_247
; %bb.246:
	buffer_load_dword v4, off, s[0:3], 0 offset:168
	buffer_load_dword v5, off, s[0:3], 0 offset:172
	s_waitcnt vmcnt(0)
	ds_write_b64 v80, v[4:5]
	buffer_store_dword v2, off, s[0:3], 0 offset:168
	buffer_store_dword v2, off, s[0:3], 0 offset:172
.LBB109_247:
	s_or_b64 exec, exec, s[4:5]
	s_waitcnt lgkmcnt(0)
	; wave barrier
	s_waitcnt lgkmcnt(0)
	buffer_load_dword v3, off, s[0:3], 0 offset:180
	buffer_load_dword v52, off, s[0:3], 0 offset:188
	;; [unrolled: 1-line block ×34, first 2 shown]
	ds_read_b128 v[4:7], v2 offset:544
	ds_read_b128 v[8:11], v2 offset:560
	;; [unrolled: 1-line block ×8, first 2 shown]
	buffer_load_dword v39, off, s[0:3], 0 offset:324
	buffer_load_dword v38, off, s[0:3], 0 offset:320
	;; [unrolled: 1-line block ×9, first 2 shown]
	v_cmp_lt_u32_e32 vcc, 20, v0
	s_waitcnt vmcnt(42) lgkmcnt(7)
	v_mul_f32_e32 v44, v4, v3
	s_waitcnt vmcnt(41)
	v_mul_f32_e32 v48, v6, v52
	s_waitcnt vmcnt(40) lgkmcnt(6)
	v_mul_f32_e32 v49, v8, v54
	s_waitcnt vmcnt(39)
	v_mul_f32_e32 v50, v10, v56
	;; [unrolled: 4-line block ×6, first 2 shown]
	s_waitcnt vmcnt(30) lgkmcnt(1)
	v_mul_f32_e32 v182, v28, v68
	v_mul_f32_e32 v3, v5, v3
	s_waitcnt vmcnt(28)
	v_fmac_f32_e32 v44, v5, v70
	s_waitcnt vmcnt(27)
	v_fmac_f32_e32 v48, v7, v71
	v_add_f32_e32 v44, 0, v44
	s_waitcnt vmcnt(26)
	v_fmac_f32_e32 v49, v9, v72
	v_add_f32_e32 v44, v44, v48
	;; [unrolled: 3-line block ×12, first 2 shown]
	v_add_f32_e32 v53, v44, v182
	buffer_load_dword v49, off, s[0:3], 0 offset:348
	buffer_load_dword v48, off, s[0:3], 0 offset:344
	;; [unrolled: 1-line block ×7, first 2 shown]
	v_fma_f32 v3, v4, v70, -v3
	v_mul_f32_e32 v4, v7, v52
	v_add_f32_e32 v3, 0, v3
	v_fma_f32 v4, v6, v71, -v4
	v_add_f32_e32 v3, v3, v4
	v_mul_f32_e32 v4, v9, v54
	v_fma_f32 v4, v8, v72, -v4
	v_add_f32_e32 v3, v3, v4
	v_mul_f32_e32 v4, v11, v56
	;; [unrolled: 3-line block ×12, first 2 shown]
	s_waitcnt vmcnt(22)
	v_fma_f32 v4, v30, v175, -v4
	v_add_f32_e32 v52, v3, v4
	ds_read_b128 v[4:7], v2 offset:672
	ds_read_b128 v[8:11], v2 offset:688
	;; [unrolled: 1-line block ×4, first 2 shown]
	s_waitcnt vmcnt(11)
	v_mov_b32_e32 v20, v43
	s_waitcnt lgkmcnt(3)
	v_pk_mul_f32 v[20:21], v[4:5], v[20:21] op_sel_hi:[1,0]
	s_waitcnt vmcnt(10)
	v_pk_fma_f32 v[22:23], v[4:5], v[42:43], v[20:21] op_sel:[0,0,1] op_sel_hi:[1,1,0] neg_lo:[0,0,1] neg_hi:[0,0,1]
	v_pk_fma_f32 v[4:5], v[4:5], v[42:43], v[20:21] op_sel:[0,0,1] op_sel_hi:[1,0,0]
	v_mov_b32_e32 v4, v41
	v_mul_f32_e32 v183, v30, v69
	v_mov_b32_e32 v23, v5
	v_pk_mul_f32 v[4:5], v[6:7], v[4:5] op_sel_hi:[1,0]
	v_fmac_f32_e32 v183, v31, v175
	v_mul_f32_e32 v55, v32, v176
	v_mul_f32_e32 v3, v33, v176
	v_pk_fma_f32 v[20:21], v[6:7], v[40:41], v[4:5] op_sel:[0,0,1] op_sel_hi:[1,1,0] neg_lo:[0,0,1] neg_hi:[0,0,1]
	v_pk_fma_f32 v[4:5], v[6:7], v[40:41], v[4:5] op_sel:[0,0,1] op_sel_hi:[1,0,0]
	v_add_f32_e32 v53, v53, v183
	v_fmac_f32_e32 v55, v33, v177
	v_mul_f32_e32 v57, v34, v178
	v_fma_f32 v54, v32, v177, -v3
	v_mul_f32_e32 v3, v35, v178
	v_mov_b32_e32 v4, v39
	v_fmac_f32_e32 v57, v35, v179
	v_fma_f32 v56, v34, v179, -v3
	v_pk_add_f32 v[2:3], v[52:53], v[54:55]
	v_mov_b32_e32 v21, v5
	s_waitcnt lgkmcnt(2)
	v_pk_mul_f32 v[4:5], v[8:9], v[4:5] op_sel_hi:[1,0]
	v_pk_add_f32 v[2:3], v[2:3], v[56:57]
	v_pk_fma_f32 v[6:7], v[8:9], v[38:39], v[4:5] op_sel:[0,0,1] op_sel_hi:[1,1,0] neg_lo:[0,0,1] neg_hi:[0,0,1]
	v_pk_fma_f32 v[4:5], v[8:9], v[38:39], v[4:5] op_sel:[0,0,1] op_sel_hi:[1,0,0]
	v_pk_add_f32 v[2:3], v[2:3], v[22:23]
	s_waitcnt vmcnt(9)
	v_mov_b32_e32 v4, v45
	v_pk_add_f32 v[2:3], v[2:3], v[20:21]
	v_mov_b32_e32 v7, v5
	v_pk_mul_f32 v[4:5], v[10:11], v[4:5] op_sel_hi:[1,0]
	v_pk_add_f32 v[2:3], v[2:3], v[6:7]
	s_waitcnt vmcnt(2)
	v_pk_fma_f32 v[6:7], v[10:11], v[44:45], v[4:5] op_sel:[0,0,1] op_sel_hi:[1,1,0] neg_lo:[0,0,1] neg_hi:[0,0,1]
	v_pk_fma_f32 v[4:5], v[10:11], v[44:45], v[4:5] op_sel:[0,0,1] op_sel_hi:[1,0,0]
	v_mov_b32_e32 v4, v51
	v_mov_b32_e32 v7, v5
	s_waitcnt lgkmcnt(1)
	v_pk_mul_f32 v[4:5], v[12:13], v[4:5] op_sel_hi:[1,0]
	v_pk_add_f32 v[2:3], v[2:3], v[6:7]
	v_pk_fma_f32 v[6:7], v[12:13], v[50:51], v[4:5] op_sel:[0,0,1] op_sel_hi:[1,1,0] neg_lo:[0,0,1] neg_hi:[0,0,1]
	v_pk_fma_f32 v[4:5], v[12:13], v[50:51], v[4:5] op_sel:[0,0,1] op_sel_hi:[1,0,0]
	v_mov_b32_e32 v4, v49
	v_mov_b32_e32 v7, v5
	v_pk_mul_f32 v[4:5], v[14:15], v[4:5] op_sel_hi:[1,0]
	v_pk_add_f32 v[2:3], v[2:3], v[6:7]
	v_pk_fma_f32 v[6:7], v[14:15], v[48:49], v[4:5] op_sel:[0,0,1] op_sel_hi:[1,1,0] neg_lo:[0,0,1] neg_hi:[0,0,1]
	v_pk_fma_f32 v[4:5], v[14:15], v[48:49], v[4:5] op_sel:[0,0,1] op_sel_hi:[1,0,0]
	v_mov_b32_e32 v4, v47
	v_mov_b32_e32 v7, v5
	s_waitcnt lgkmcnt(0)
	v_pk_mul_f32 v[4:5], v[16:17], v[4:5] op_sel_hi:[1,0]
	v_pk_add_f32 v[2:3], v[2:3], v[6:7]
	v_pk_fma_f32 v[6:7], v[16:17], v[46:47], v[4:5] op_sel:[0,0,1] op_sel_hi:[1,1,0] neg_lo:[0,0,1] neg_hi:[0,0,1]
	v_pk_fma_f32 v[4:5], v[16:17], v[46:47], v[4:5] op_sel:[0,0,1] op_sel_hi:[1,0,0]
	s_waitcnt vmcnt(1)
	v_mov_b32_e32 v4, v59
	v_mov_b32_e32 v7, v5
	v_pk_mul_f32 v[4:5], v[18:19], v[4:5] op_sel_hi:[1,0]
	v_pk_add_f32 v[2:3], v[2:3], v[6:7]
	s_waitcnt vmcnt(0)
	v_pk_fma_f32 v[6:7], v[18:19], v[58:59], v[4:5] op_sel:[0,0,1] op_sel_hi:[1,1,0] neg_lo:[0,0,1] neg_hi:[0,0,1]
	v_pk_fma_f32 v[4:5], v[18:19], v[58:59], v[4:5] op_sel:[0,0,1] op_sel_hi:[1,0,0]
	v_mov_b32_e32 v7, v5
	v_pk_add_f32 v[2:3], v[2:3], v[6:7]
	v_pk_add_f32 v[2:3], v[36:37], v[2:3] neg_lo:[0,1] neg_hi:[0,1]
	buffer_store_dword v3, off, s[0:3], 0 offset:172
	buffer_store_dword v2, off, s[0:3], 0 offset:168
	s_and_saveexec_b64 s[4:5], vcc
	s_cbranch_execz .LBB109_249
; %bb.248:
	buffer_load_dword v2, off, s[0:3], 0 offset:160
	buffer_load_dword v3, off, s[0:3], 0 offset:164
	v_mov_b32_e32 v4, 0
	buffer_store_dword v4, off, s[0:3], 0 offset:160
	buffer_store_dword v4, off, s[0:3], 0 offset:164
	s_waitcnt vmcnt(2)
	ds_write_b64 v80, v[2:3]
.LBB109_249:
	s_or_b64 exec, exec, s[4:5]
	s_waitcnt lgkmcnt(0)
	; wave barrier
	s_waitcnt lgkmcnt(0)
	buffer_load_dword v5, off, s[0:3], 0 offset:172
	buffer_load_dword v58, off, s[0:3], 0 offset:180
	;; [unrolled: 1-line block ×36, first 2 shown]
	v_mov_b32_e32 v4, 0
	buffer_load_dword v47, off, s[0:3], 0 offset:316
	buffer_load_dword v46, off, s[0:3], 0 offset:312
	;; [unrolled: 1-line block ×5, first 2 shown]
	ds_read2_b64 v[6:9], v4 offset0:67 offset1:68
	ds_read2_b64 v[10:13], v4 offset0:69 offset1:70
	;; [unrolled: 1-line block ×8, first 2 shown]
	v_cmp_lt_u32_e32 vcc, 19, v0
	s_waitcnt vmcnt(40) lgkmcnt(7)
	v_mul_f32_e32 v38, v6, v5
	s_waitcnt vmcnt(39)
	v_mul_f32_e32 v39, v8, v58
	s_waitcnt vmcnt(38) lgkmcnt(6)
	v_mul_f32_e32 v40, v10, v60
	s_waitcnt vmcnt(37)
	v_mul_f32_e32 v41, v12, v62
	;; [unrolled: 4-line block ×7, first 2 shown]
	s_waitcnt vmcnt(26) lgkmcnt(0)
	v_mul_f32_e32 v59, v34, v170
	s_waitcnt vmcnt(25)
	v_fmac_f32_e32 v38, v7, v171
	s_waitcnt vmcnt(24)
	v_fmac_f32_e32 v39, v9, v172
	v_add_f32_e32 v38, 0, v38
	s_waitcnt vmcnt(23)
	v_fmac_f32_e32 v40, v11, v173
	v_add_f32_e32 v38, v38, v39
	;; [unrolled: 3-line block ×13, first 2 shown]
	v_add_f32_e32 v42, v38, v56
	buffer_load_dword v53, off, s[0:3], 0 offset:348
	buffer_load_dword v52, off, s[0:3], 0 offset:344
	;; [unrolled: 1-line block ×7, first 2 shown]
	s_waitcnt vmcnt(18)
	v_fmac_f32_e32 v59, v35, v185
	ds_read2_b64 v[38:41], v4 offset0:83 offset1:84
	v_add_f32_e32 v59, v42, v59
	ds_read2_b64 v[42:45], v4 offset0:85 offset1:86
	buffer_load_dword v65, off, s[0:3], 0 offset:364
	buffer_load_dword v64, off, s[0:3], 0 offset:360
	;; [unrolled: 1-line block ×4, first 2 shown]
	v_mul_f32_e32 v5, v7, v5
	v_fma_f32 v5, v6, v171, -v5
	v_mul_f32_e32 v6, v9, v58
	v_add_f32_e32 v5, 0, v5
	v_fma_f32 v6, v8, v172, -v6
	v_add_f32_e32 v5, v5, v6
	v_mul_f32_e32 v6, v11, v60
	v_fma_f32 v6, v10, v173, -v6
	v_add_f32_e32 v5, v5, v6
	v_mul_f32_e32 v6, v13, v62
	;; [unrolled: 3-line block ×13, first 2 shown]
	v_fma_f32 v6, v34, v185, -v6
	s_waitcnt vmcnt(13)
	v_mov_b32_e32 v18, v49
	v_mul_f32_e32 v61, v36, v186
	v_add_f32_e32 v58, v5, v6
	v_mul_f32_e32 v5, v37, v186
	s_waitcnt lgkmcnt(1)
	v_pk_mul_f32 v[18:19], v[40:41], v[18:19] op_sel_hi:[1,0]
	v_fmac_f32_e32 v61, v37, v187
	v_mul_f32_e32 v63, v38, v188
	v_fma_f32 v60, v36, v187, -v5
	v_mul_f32_e32 v5, v39, v188
	s_waitcnt vmcnt(12)
	v_pk_fma_f32 v[20:21], v[40:41], v[48:49], v[18:19] op_sel:[0,0,1] op_sel_hi:[1,1,0] neg_lo:[0,0,1] neg_hi:[0,0,1]
	v_pk_fma_f32 v[18:19], v[40:41], v[48:49], v[18:19] op_sel:[0,0,1] op_sel_hi:[1,0,0]
	v_fmac_f32_e32 v63, v39, v189
	v_fma_f32 v62, v38, v189, -v5
	v_pk_add_f32 v[16:17], v[58:59], v[60:61]
	v_mov_b32_e32 v18, v47
	v_pk_add_f32 v[16:17], v[16:17], v[62:63]
	v_mov_b32_e32 v21, v19
	s_waitcnt lgkmcnt(0)
	v_pk_mul_f32 v[18:19], v[42:43], v[18:19] op_sel_hi:[1,0]
	v_pk_add_f32 v[16:17], v[16:17], v[20:21]
	v_pk_fma_f32 v[20:21], v[42:43], v[46:47], v[18:19] op_sel:[0,0,1] op_sel_hi:[1,1,0] neg_lo:[0,0,1] neg_hi:[0,0,1]
	v_pk_fma_f32 v[18:19], v[42:43], v[46:47], v[18:19] op_sel:[0,0,1] op_sel_hi:[1,0,0]
	s_waitcnt vmcnt(11)
	v_mov_b32_e32 v18, v51
	ds_read2_b64 v[6:9], v4 offset0:87 offset1:88
	ds_read2_b64 v[10:13], v4 offset0:89 offset1:90
	ds_read_b64 v[14:15], v4 offset:728
	v_mov_b32_e32 v21, v19
	v_pk_mul_f32 v[18:19], v[44:45], v[18:19] op_sel_hi:[1,0]
	v_pk_add_f32 v[16:17], v[16:17], v[20:21]
	s_waitcnt vmcnt(4)
	v_pk_fma_f32 v[20:21], v[44:45], v[50:51], v[18:19] op_sel:[0,0,1] op_sel_hi:[1,1,0] neg_lo:[0,0,1] neg_hi:[0,0,1]
	v_pk_fma_f32 v[18:19], v[44:45], v[50:51], v[18:19] op_sel:[0,0,1] op_sel_hi:[1,0,0]
	v_mov_b32_e32 v18, v57
	v_mov_b32_e32 v21, v19
	s_waitcnt lgkmcnt(2)
	v_pk_mul_f32 v[18:19], v[6:7], v[18:19] op_sel_hi:[1,0]
	v_pk_add_f32 v[16:17], v[16:17], v[20:21]
	v_pk_fma_f32 v[20:21], v[6:7], v[56:57], v[18:19] op_sel:[0,0,1] op_sel_hi:[1,1,0] neg_lo:[0,0,1] neg_hi:[0,0,1]
	v_pk_fma_f32 v[6:7], v[6:7], v[56:57], v[18:19] op_sel:[0,0,1] op_sel_hi:[1,0,0]
	v_mov_b32_e32 v21, v7
	v_pk_add_f32 v[6:7], v[16:17], v[20:21]
	v_mov_b32_e32 v16, v55
	v_pk_mul_f32 v[16:17], v[8:9], v[16:17] op_sel_hi:[1,0]
	v_pk_fma_f32 v[18:19], v[8:9], v[54:55], v[16:17] op_sel:[0,0,1] op_sel_hi:[1,1,0] neg_lo:[0,0,1] neg_hi:[0,0,1]
	v_pk_fma_f32 v[8:9], v[8:9], v[54:55], v[16:17] op_sel:[0,0,1] op_sel_hi:[1,0,0]
	v_mov_b32_e32 v8, v53
	v_mov_b32_e32 v19, v9
	s_waitcnt lgkmcnt(1)
	v_pk_mul_f32 v[8:9], v[10:11], v[8:9] op_sel_hi:[1,0]
	v_pk_fma_f32 v[16:17], v[10:11], v[52:53], v[8:9] op_sel:[0,0,1] op_sel_hi:[1,1,0] neg_lo:[0,0,1] neg_hi:[0,0,1]
	v_pk_fma_f32 v[8:9], v[10:11], v[52:53], v[8:9] op_sel:[0,0,1] op_sel_hi:[1,0,0]
	s_waitcnt vmcnt(1)
	v_mov_b32_e32 v8, v67
	v_mov_b32_e32 v17, v9
	v_pk_mul_f32 v[8:9], v[12:13], v[8:9] op_sel_hi:[1,0]
	s_waitcnt vmcnt(0)
	v_pk_fma_f32 v[10:11], v[12:13], v[66:67], v[8:9] op_sel:[0,0,1] op_sel_hi:[1,1,0] neg_lo:[0,0,1] neg_hi:[0,0,1]
	v_pk_fma_f32 v[8:9], v[12:13], v[66:67], v[8:9] op_sel:[0,0,1] op_sel_hi:[1,0,0]
	v_pk_add_f32 v[6:7], v[6:7], v[18:19]
	v_mov_b32_e32 v8, v65
	v_pk_add_f32 v[6:7], v[6:7], v[16:17]
	v_mov_b32_e32 v11, v9
	s_waitcnt lgkmcnt(0)
	v_pk_mul_f32 v[8:9], v[14:15], v[8:9] op_sel_hi:[1,0]
	v_pk_add_f32 v[6:7], v[6:7], v[10:11]
	v_pk_fma_f32 v[10:11], v[14:15], v[64:65], v[8:9] op_sel:[0,0,1] op_sel_hi:[1,1,0] neg_lo:[0,0,1] neg_hi:[0,0,1]
	v_pk_fma_f32 v[8:9], v[14:15], v[64:65], v[8:9] op_sel:[0,0,1] op_sel_hi:[1,0,0]
	v_mov_b32_e32 v11, v9
	v_pk_add_f32 v[6:7], v[6:7], v[10:11]
	v_pk_add_f32 v[2:3], v[2:3], v[6:7] neg_lo:[0,1] neg_hi:[0,1]
	buffer_store_dword v3, off, s[0:3], 0 offset:164
	buffer_store_dword v2, off, s[0:3], 0 offset:160
	s_and_saveexec_b64 s[4:5], vcc
	s_cbranch_execz .LBB109_251
; %bb.250:
	buffer_load_dword v2, off, s[0:3], 0 offset:152
	buffer_load_dword v3, off, s[0:3], 0 offset:156
	s_waitcnt vmcnt(0)
	ds_write_b64 v80, v[2:3]
	buffer_store_dword v4, off, s[0:3], 0 offset:152
	buffer_store_dword v4, off, s[0:3], 0 offset:156
.LBB109_251:
	s_or_b64 exec, exec, s[4:5]
	s_waitcnt lgkmcnt(0)
	; wave barrier
	s_waitcnt lgkmcnt(0)
	buffer_load_dword v2, off, s[0:3], 0 offset:164
	buffer_load_dword v3, off, s[0:3], 0 offset:172
	;; [unrolled: 1-line block ×38, first 2 shown]
	ds_read_b128 v[6:9], v4 offset:528
	ds_read_b128 v[10:13], v4 offset:544
	;; [unrolled: 1-line block ×8, first 2 shown]
	buffer_load_dword v49, off, s[0:3], 0 offset:308
	buffer_load_dword v48, off, s[0:3], 0 offset:304
	;; [unrolled: 1-line block ×4, first 2 shown]
	v_cmp_lt_u32_e32 vcc, 18, v0
	s_waitcnt vmcnt(41) lgkmcnt(7)
	v_mul_f32_e32 v38, v6, v2
	s_waitcnt vmcnt(40)
	v_mul_f32_e32 v39, v8, v3
	s_waitcnt vmcnt(39) lgkmcnt(6)
	v_mul_f32_e32 v40, v10, v5
	s_waitcnt vmcnt(38)
	v_mul_f32_e32 v41, v12, v58
	s_waitcnt vmcnt(37) lgkmcnt(5)
	v_mul_f32_e32 v42, v14, v60
	s_waitcnt vmcnt(36)
	v_mul_f32_e32 v43, v16, v62
	s_waitcnt vmcnt(35) lgkmcnt(4)
	v_mul_f32_e32 v44, v18, v70
	s_waitcnt vmcnt(34)
	v_mul_f32_e32 v45, v20, v71
	s_waitcnt vmcnt(33) lgkmcnt(3)
	v_mul_f32_e32 v52, v22, v72
	s_waitcnt vmcnt(32)
	v_mul_f32_e32 v53, v24, v73
	s_waitcnt vmcnt(31) lgkmcnt(2)
	v_mul_f32_e32 v54, v26, v74
	s_waitcnt vmcnt(30)
	v_mul_f32_e32 v55, v28, v75
	s_waitcnt vmcnt(29) lgkmcnt(1)
	v_mul_f32_e32 v56, v30, v168
	s_waitcnt vmcnt(28)
	v_mul_f32_e32 v57, v32, v169
	s_waitcnt vmcnt(27) lgkmcnt(0)
	v_mul_f32_e32 v59, v34, v170
	s_waitcnt vmcnt(26)
	v_fmac_f32_e32 v38, v7, v171
	s_waitcnt vmcnt(25)
	v_fmac_f32_e32 v39, v9, v172
	v_add_f32_e32 v38, 0, v38
	s_waitcnt vmcnt(24)
	v_fmac_f32_e32 v40, v11, v173
	v_add_f32_e32 v38, v38, v39
	;; [unrolled: 3-line block ×13, first 2 shown]
	v_add_f32_e32 v38, v38, v57
	buffer_load_dword v53, off, s[0:3], 0 offset:332
	buffer_load_dword v52, off, s[0:3], 0 offset:328
	;; [unrolled: 1-line block ×6, first 2 shown]
	s_waitcnt vmcnt(18)
	v_fmac_f32_e32 v59, v35, v185
	s_waitcnt vmcnt(17)
	v_mul_f32_e32 v43, v36, v186
	v_add_f32_e32 v42, v38, v59
	s_waitcnt vmcnt(16)
	v_fmac_f32_e32 v43, v37, v187
	ds_read_b128 v[38:41], v4 offset:656
	v_add_f32_e32 v59, v42, v43
	ds_read_b128 v[42:45], v4 offset:672
	buffer_load_dword v65, off, s[0:3], 0 offset:364
	buffer_load_dword v64, off, s[0:3], 0 offset:360
	;; [unrolled: 1-line block ×6, first 2 shown]
	v_mul_f32_e32 v2, v7, v2
	v_fma_f32 v2, v6, v171, -v2
	v_mul_f32_e32 v3, v9, v3
	v_add_f32_e32 v2, 0, v2
	v_fma_f32 v3, v8, v172, -v3
	v_add_f32_e32 v2, v2, v3
	v_mul_f32_e32 v3, v11, v5
	v_fma_f32 v3, v10, v173, -v3
	v_add_f32_e32 v2, v2, v3
	v_mul_f32_e32 v3, v13, v58
	;; [unrolled: 3-line block ×14, first 2 shown]
	v_fma_f32 v3, v36, v187, -v3
	s_waitcnt vmcnt(15)
	v_mov_b32_e32 v16, v49
	s_waitcnt lgkmcnt(1)
	v_mul_f32_e32 v61, v38, v188
	v_add_f32_e32 v58, v2, v3
	v_mul_f32_e32 v2, v39, v188
	s_waitcnt lgkmcnt(0)
	v_pk_mul_f32 v[16:17], v[42:43], v[16:17] op_sel_hi:[1,0]
	v_fmac_f32_e32 v61, v39, v189
	v_mul_f32_e32 v63, v40, v190
	v_fma_f32 v60, v38, v189, -v2
	v_mul_f32_e32 v2, v41, v190
	s_waitcnt vmcnt(14)
	v_pk_fma_f32 v[18:19], v[42:43], v[48:49], v[16:17] op_sel:[0,0,1] op_sel_hi:[1,1,0] neg_lo:[0,0,1] neg_hi:[0,0,1]
	v_pk_fma_f32 v[16:17], v[42:43], v[48:49], v[16:17] op_sel:[0,0,1] op_sel_hi:[1,0,0]
	v_fmac_f32_e32 v63, v41, v191
	v_fma_f32 v62, v40, v191, -v2
	v_pk_add_f32 v[14:15], v[58:59], v[60:61]
	ds_read_b128 v[6:9], v4 offset:688
	ds_read_b128 v[10:13], v4 offset:704
	;; [unrolled: 1-line block ×3, first 2 shown]
	v_pk_add_f32 v[14:15], v[14:15], v[62:63]
	v_mov_b32_e32 v19, v17
	v_pk_add_f32 v[14:15], v[14:15], v[18:19]
	s_waitcnt vmcnt(7)
	v_mov_b32_e32 v16, v57
	v_pk_mul_f32 v[16:17], v[44:45], v[16:17] op_sel_hi:[1,0]
	s_waitcnt vmcnt(6)
	v_pk_fma_f32 v[18:19], v[44:45], v[56:57], v[16:17] op_sel:[0,0,1] op_sel_hi:[1,1,0] neg_lo:[0,0,1] neg_hi:[0,0,1]
	v_pk_fma_f32 v[16:17], v[44:45], v[56:57], v[16:17] op_sel:[0,0,1] op_sel_hi:[1,0,0]
	v_mov_b32_e32 v16, v55
	v_mov_b32_e32 v19, v17
	s_waitcnt lgkmcnt(2)
	v_pk_mul_f32 v[16:17], v[6:7], v[16:17] op_sel_hi:[1,0]
	v_pk_add_f32 v[14:15], v[14:15], v[18:19]
	v_pk_fma_f32 v[18:19], v[6:7], v[54:55], v[16:17] op_sel:[0,0,1] op_sel_hi:[1,1,0] neg_lo:[0,0,1] neg_hi:[0,0,1]
	v_pk_fma_f32 v[6:7], v[6:7], v[54:55], v[16:17] op_sel:[0,0,1] op_sel_hi:[1,0,0]
	v_mov_b32_e32 v19, v7
	v_pk_add_f32 v[6:7], v[14:15], v[18:19]
	v_mov_b32_e32 v14, v53
	v_pk_mul_f32 v[14:15], v[8:9], v[14:15] op_sel_hi:[1,0]
	v_pk_fma_f32 v[16:17], v[8:9], v[52:53], v[14:15] op_sel:[0,0,1] op_sel_hi:[1,1,0] neg_lo:[0,0,1] neg_hi:[0,0,1]
	v_pk_fma_f32 v[8:9], v[8:9], v[52:53], v[14:15] op_sel:[0,0,1] op_sel_hi:[1,0,0]
	v_mov_b32_e32 v8, v51
	v_mov_b32_e32 v17, v9
	s_waitcnt lgkmcnt(1)
	v_pk_mul_f32 v[8:9], v[10:11], v[8:9] op_sel_hi:[1,0]
	v_pk_fma_f32 v[14:15], v[10:11], v[50:51], v[8:9] op_sel:[0,0,1] op_sel_hi:[1,1,0] neg_lo:[0,0,1] neg_hi:[0,0,1]
	v_pk_fma_f32 v[8:9], v[10:11], v[50:51], v[8:9] op_sel:[0,0,1] op_sel_hi:[1,0,0]
	s_waitcnt vmcnt(1)
	v_mov_b32_e32 v8, v69
	v_mov_b32_e32 v15, v9
	v_pk_mul_f32 v[8:9], v[12:13], v[8:9] op_sel_hi:[1,0]
	s_waitcnt vmcnt(0)
	v_pk_fma_f32 v[10:11], v[12:13], v[68:69], v[8:9] op_sel:[0,0,1] op_sel_hi:[1,1,0] neg_lo:[0,0,1] neg_hi:[0,0,1]
	v_pk_fma_f32 v[8:9], v[12:13], v[68:69], v[8:9] op_sel:[0,0,1] op_sel_hi:[1,0,0]
	v_pk_add_f32 v[6:7], v[6:7], v[16:17]
	v_mov_b32_e32 v8, v67
	v_pk_add_f32 v[6:7], v[6:7], v[14:15]
	v_mov_b32_e32 v11, v9
	s_waitcnt lgkmcnt(0)
	v_pk_mul_f32 v[8:9], v[2:3], v[8:9] op_sel_hi:[1,0]
	v_pk_add_f32 v[6:7], v[6:7], v[10:11]
	v_pk_fma_f32 v[10:11], v[2:3], v[66:67], v[8:9] op_sel:[0,0,1] op_sel_hi:[1,1,0] neg_lo:[0,0,1] neg_hi:[0,0,1]
	v_pk_fma_f32 v[2:3], v[2:3], v[66:67], v[8:9] op_sel:[0,0,1] op_sel_hi:[1,0,0]
	v_mov_b32_e32 v11, v3
	v_pk_add_f32 v[2:3], v[6:7], v[10:11]
	v_mov_b32_e32 v6, v65
	v_pk_mul_f32 v[6:7], v[4:5], v[6:7] op_sel_hi:[1,0]
	v_pk_fma_f32 v[8:9], v[4:5], v[64:65], v[6:7] op_sel:[0,0,1] op_sel_hi:[1,1,0] neg_lo:[0,0,1] neg_hi:[0,0,1]
	v_pk_fma_f32 v[4:5], v[4:5], v[64:65], v[6:7] op_sel:[0,0,1] op_sel_hi:[1,0,0]
	v_mov_b32_e32 v9, v5
	v_pk_add_f32 v[2:3], v[2:3], v[8:9]
	v_pk_add_f32 v[2:3], v[46:47], v[2:3] neg_lo:[0,1] neg_hi:[0,1]
	buffer_store_dword v3, off, s[0:3], 0 offset:156
	buffer_store_dword v2, off, s[0:3], 0 offset:152
	s_and_saveexec_b64 s[4:5], vcc
	s_cbranch_execz .LBB109_253
; %bb.252:
	buffer_load_dword v2, off, s[0:3], 0 offset:144
	buffer_load_dword v3, off, s[0:3], 0 offset:148
	v_mov_b32_e32 v4, 0
	buffer_store_dword v4, off, s[0:3], 0 offset:144
	buffer_store_dword v4, off, s[0:3], 0 offset:148
	s_waitcnt vmcnt(2)
	ds_write_b64 v80, v[2:3]
.LBB109_253:
	s_or_b64 exec, exec, s[4:5]
	s_waitcnt lgkmcnt(0)
	; wave barrier
	s_waitcnt lgkmcnt(0)
	buffer_load_dword v5, off, s[0:3], 0 offset:156
	buffer_load_dword v54, off, s[0:3], 0 offset:164
	;; [unrolled: 1-line block ×40, first 2 shown]
	v_mov_b32_e32 v4, 0
	ds_read2_b64 v[6:9], v4 offset0:65 offset1:66
	ds_read2_b64 v[10:13], v4 offset0:67 offset1:68
	;; [unrolled: 1-line block ×8, first 2 shown]
	v_cmp_lt_u32_e32 vcc, 17, v0
	s_waitcnt vmcnt(39) lgkmcnt(7)
	v_mul_f32_e32 v38, v6, v5
	s_waitcnt vmcnt(38)
	v_mul_f32_e32 v39, v8, v54
	s_waitcnt vmcnt(37) lgkmcnt(6)
	v_mul_f32_e32 v40, v10, v56
	s_waitcnt vmcnt(36)
	v_mul_f32_e32 v41, v12, v58
	;; [unrolled: 4-line block ×8, first 2 shown]
	s_waitcnt vmcnt(23)
	v_fmac_f32_e32 v38, v7, v172
	s_waitcnt vmcnt(22)
	v_fmac_f32_e32 v39, v9, v173
	v_add_f32_e32 v38, 0, v38
	s_waitcnt vmcnt(21)
	v_fmac_f32_e32 v40, v11, v174
	v_add_f32_e32 v38, v38, v39
	;; [unrolled: 3-line block ×14, first 2 shown]
	v_add_f32_e32 v38, v38, v52
	s_waitcnt vmcnt(8)
	v_fmac_f32_e32 v53, v37, v187
	v_add_f32_e32 v55, v38, v53
	ds_read2_b64 v[38:41], v4 offset0:81 offset1:82
	buffer_load_dword v47, off, s[0:3], 0 offset:308
	buffer_load_dword v49, off, s[0:3], 0 offset:332
	;; [unrolled: 1-line block ×8, first 2 shown]
	ds_read2_b64 v[42:45], v4 offset0:83 offset1:84
	buffer_load_dword v61, off, s[0:3], 0 offset:364
	buffer_load_dword v60, off, s[0:3], 0 offset:360
	;; [unrolled: 1-line block ×8, first 2 shown]
	v_mul_f32_e32 v5, v7, v5
	v_fma_f32 v5, v6, v172, -v5
	v_mul_f32_e32 v6, v9, v54
	v_add_f32_e32 v5, 0, v5
	v_fma_f32 v6, v8, v173, -v6
	v_add_f32_e32 v5, v5, v6
	v_mul_f32_e32 v6, v11, v56
	v_fma_f32 v6, v10, v174, -v6
	v_add_f32_e32 v5, v5, v6
	v_mul_f32_e32 v6, v13, v58
	;; [unrolled: 3-line block ×14, first 2 shown]
	v_fma_f32 v6, v36, v187, -v6
	s_waitcnt vmcnt(23) lgkmcnt(1)
	v_mul_f32_e32 v57, v38, v188
	v_add_f32_e32 v5, v5, v6
	v_mul_f32_e32 v6, v39, v188
	s_waitcnt vmcnt(22)
	v_fmac_f32_e32 v57, v39, v189
	v_fma_f32 v6, v38, v189, -v6
	v_add_f32_e32 v55, v55, v57
	s_waitcnt vmcnt(21)
	v_mul_f32_e32 v57, v40, v190
	v_add_f32_e32 v54, v5, v6
	v_mul_f32_e32 v5, v41, v190
	s_waitcnt vmcnt(20)
	v_fmac_f32_e32 v57, v41, v191
	s_waitcnt vmcnt(19) lgkmcnt(0)
	v_mul_f32_e32 v59, v42, v192
	v_fma_f32 v56, v40, v191, -v5
	v_mul_f32_e32 v5, v43, v192
	ds_read2_b64 v[6:9], v4 offset0:85 offset1:86
	ds_read2_b64 v[10:13], v4 offset0:87 offset1:88
	;; [unrolled: 1-line block ×3, first 2 shown]
	ds_read_b64 v[18:19], v4 offset:728
	s_waitcnt vmcnt(18)
	v_fmac_f32_e32 v59, v43, v193
	v_fma_f32 v58, v42, v193, -v5
	v_pk_add_f32 v[20:21], v[54:55], v[56:57]
	v_pk_add_f32 v[20:21], v[20:21], v[58:59]
	s_waitcnt vmcnt(15)
	v_mov_b32_e32 v22, v47
	v_pk_mul_f32 v[22:23], v[44:45], v[22:23] op_sel_hi:[1,0]
	s_waitcnt vmcnt(8)
	v_pk_fma_f32 v[24:25], v[44:45], v[46:47], v[22:23] op_sel:[0,0,1] op_sel_hi:[1,1,0] neg_lo:[0,0,1] neg_hi:[0,0,1]
	v_pk_fma_f32 v[22:23], v[44:45], v[46:47], v[22:23] op_sel:[0,0,1] op_sel_hi:[1,0,0]
	v_mov_b32_e32 v22, v53
	v_mov_b32_e32 v25, v23
	s_waitcnt lgkmcnt(3)
	v_pk_mul_f32 v[22:23], v[6:7], v[22:23] op_sel_hi:[1,0]
	v_pk_add_f32 v[20:21], v[20:21], v[24:25]
	v_pk_fma_f32 v[24:25], v[6:7], v[52:53], v[22:23] op_sel:[0,0,1] op_sel_hi:[1,1,0] neg_lo:[0,0,1] neg_hi:[0,0,1]
	v_pk_fma_f32 v[6:7], v[6:7], v[52:53], v[22:23] op_sel:[0,0,1] op_sel_hi:[1,0,0]
	v_mov_b32_e32 v25, v7
	v_pk_add_f32 v[6:7], v[20:21], v[24:25]
	v_mov_b32_e32 v20, v51
	v_pk_mul_f32 v[20:21], v[8:9], v[20:21] op_sel_hi:[1,0]
	v_pk_fma_f32 v[22:23], v[8:9], v[50:51], v[20:21] op_sel:[0,0,1] op_sel_hi:[1,1,0] neg_lo:[0,0,1] neg_hi:[0,0,1]
	v_pk_fma_f32 v[8:9], v[8:9], v[50:51], v[20:21] op_sel:[0,0,1] op_sel_hi:[1,0,0]
	v_mov_b32_e32 v8, v49
	v_mov_b32_e32 v23, v9
	s_waitcnt lgkmcnt(2)
	v_pk_mul_f32 v[8:9], v[10:11], v[8:9] op_sel_hi:[1,0]
	v_pk_fma_f32 v[20:21], v[10:11], v[48:49], v[8:9] op_sel:[0,0,1] op_sel_hi:[1,1,0] neg_lo:[0,0,1] neg_hi:[0,0,1]
	v_pk_fma_f32 v[8:9], v[10:11], v[48:49], v[8:9] op_sel:[0,0,1] op_sel_hi:[1,0,0]
	s_waitcnt vmcnt(1)
	v_mov_b32_e32 v8, v67
	v_mov_b32_e32 v21, v9
	v_pk_mul_f32 v[8:9], v[12:13], v[8:9] op_sel_hi:[1,0]
	s_waitcnt vmcnt(0)
	v_pk_fma_f32 v[10:11], v[12:13], v[66:67], v[8:9] op_sel:[0,0,1] op_sel_hi:[1,1,0] neg_lo:[0,0,1] neg_hi:[0,0,1]
	v_pk_fma_f32 v[8:9], v[12:13], v[66:67], v[8:9] op_sel:[0,0,1] op_sel_hi:[1,0,0]
	v_pk_add_f32 v[6:7], v[6:7], v[22:23]
	v_mov_b32_e32 v8, v65
	v_pk_add_f32 v[6:7], v[6:7], v[20:21]
	v_mov_b32_e32 v11, v9
	s_waitcnt lgkmcnt(1)
	v_pk_mul_f32 v[8:9], v[14:15], v[8:9] op_sel_hi:[1,0]
	v_pk_add_f32 v[6:7], v[6:7], v[10:11]
	v_pk_fma_f32 v[10:11], v[14:15], v[64:65], v[8:9] op_sel:[0,0,1] op_sel_hi:[1,1,0] neg_lo:[0,0,1] neg_hi:[0,0,1]
	v_pk_fma_f32 v[8:9], v[14:15], v[64:65], v[8:9] op_sel:[0,0,1] op_sel_hi:[1,0,0]
	v_mov_b32_e32 v8, v63
	v_mov_b32_e32 v11, v9
	v_pk_mul_f32 v[8:9], v[16:17], v[8:9] op_sel_hi:[1,0]
	v_pk_add_f32 v[6:7], v[6:7], v[10:11]
	v_pk_fma_f32 v[10:11], v[16:17], v[62:63], v[8:9] op_sel:[0,0,1] op_sel_hi:[1,1,0] neg_lo:[0,0,1] neg_hi:[0,0,1]
	v_pk_fma_f32 v[8:9], v[16:17], v[62:63], v[8:9] op_sel:[0,0,1] op_sel_hi:[1,0,0]
	v_mov_b32_e32 v8, v61
	v_mov_b32_e32 v11, v9
	s_waitcnt lgkmcnt(0)
	v_pk_mul_f32 v[8:9], v[18:19], v[8:9] op_sel_hi:[1,0]
	v_pk_add_f32 v[6:7], v[6:7], v[10:11]
	v_pk_fma_f32 v[10:11], v[18:19], v[60:61], v[8:9] op_sel:[0,0,1] op_sel_hi:[1,1,0] neg_lo:[0,0,1] neg_hi:[0,0,1]
	v_pk_fma_f32 v[8:9], v[18:19], v[60:61], v[8:9] op_sel:[0,0,1] op_sel_hi:[1,0,0]
	v_mov_b32_e32 v11, v9
	v_pk_add_f32 v[6:7], v[6:7], v[10:11]
	v_pk_add_f32 v[2:3], v[2:3], v[6:7] neg_lo:[0,1] neg_hi:[0,1]
	buffer_store_dword v3, off, s[0:3], 0 offset:148
	buffer_store_dword v2, off, s[0:3], 0 offset:144
	s_and_saveexec_b64 s[4:5], vcc
	s_cbranch_execz .LBB109_255
; %bb.254:
	buffer_load_dword v2, off, s[0:3], 0 offset:136
	buffer_load_dword v3, off, s[0:3], 0 offset:140
	s_waitcnt vmcnt(0)
	ds_write_b64 v80, v[2:3]
	buffer_store_dword v4, off, s[0:3], 0 offset:136
	buffer_store_dword v4, off, s[0:3], 0 offset:140
.LBB109_255:
	s_or_b64 exec, exec, s[4:5]
	s_waitcnt lgkmcnt(0)
	; wave barrier
	s_waitcnt lgkmcnt(0)
	buffer_load_dword v5, off, s[0:3], 0 offset:148
	buffer_load_dword v46, off, s[0:3], 0 offset:156
	;; [unrolled: 1-line block ×42, first 2 shown]
	ds_read_b128 v[6:9], v4 offset:512
	ds_read_b128 v[10:13], v4 offset:528
	;; [unrolled: 1-line block ×8, first 2 shown]
	v_cmp_lt_u32_e32 vcc, 16, v0
	s_waitcnt vmcnt(41) lgkmcnt(7)
	v_mul_f32_e32 v38, v6, v5
	s_waitcnt vmcnt(40)
	v_mul_f32_e32 v39, v8, v46
	s_waitcnt vmcnt(39) lgkmcnt(6)
	v_mul_f32_e32 v40, v10, v48
	s_waitcnt vmcnt(38)
	v_mul_f32_e32 v41, v12, v56
	;; [unrolled: 4-line block ×7, first 2 shown]
	s_waitcnt vmcnt(27) lgkmcnt(0)
	v_mul_f32_e32 v54, v34, v170
	s_waitcnt vmcnt(26)
	v_fmac_f32_e32 v38, v7, v171
	s_waitcnt vmcnt(25)
	v_fmac_f32_e32 v39, v9, v172
	v_add_f32_e32 v38, 0, v38
	s_waitcnt vmcnt(24)
	v_fmac_f32_e32 v40, v11, v173
	v_add_f32_e32 v38, v38, v39
	s_waitcnt vmcnt(23)
	v_fmac_f32_e32 v41, v13, v174
	v_add_f32_e32 v38, v38, v40
	s_waitcnt vmcnt(22)
	v_fmac_f32_e32 v42, v15, v175
	v_add_f32_e32 v38, v38, v41
	s_waitcnt vmcnt(21)
	v_fmac_f32_e32 v43, v17, v176
	v_add_f32_e32 v38, v38, v42
	s_waitcnt vmcnt(20)
	v_fmac_f32_e32 v44, v19, v177
	v_add_f32_e32 v38, v38, v43
	s_waitcnt vmcnt(19)
	v_fmac_f32_e32 v45, v21, v178
	v_add_f32_e32 v38, v38, v44
	s_waitcnt vmcnt(18)
	v_fmac_f32_e32 v47, v23, v179
	v_add_f32_e32 v38, v38, v45
	s_waitcnt vmcnt(17)
	v_fmac_f32_e32 v49, v25, v180
	v_add_f32_e32 v38, v38, v47
	s_waitcnt vmcnt(16)
	v_fmac_f32_e32 v50, v27, v181
	v_add_f32_e32 v38, v38, v49
	s_waitcnt vmcnt(15)
	v_fmac_f32_e32 v51, v29, v182
	v_add_f32_e32 v38, v38, v50
	s_waitcnt vmcnt(14)
	v_fmac_f32_e32 v52, v31, v183
	v_add_f32_e32 v38, v38, v51
	s_waitcnt vmcnt(13)
	v_fmac_f32_e32 v53, v33, v184
	v_add_f32_e32 v38, v38, v52
	s_waitcnt vmcnt(12)
	v_fmac_f32_e32 v54, v35, v185
	v_add_f32_e32 v38, v38, v53
	s_waitcnt vmcnt(11)
	v_mul_f32_e32 v43, v36, v186
	v_add_f32_e32 v42, v38, v54
	s_waitcnt vmcnt(10)
	v_fmac_f32_e32 v43, v37, v187
	ds_read_b128 v[38:41], v4 offset:640
	v_add_f32_e32 v47, v42, v43
	ds_read_b128 v[42:45], v4 offset:656
	buffer_load_dword v51, off, s[0:3], 0 offset:308
	buffer_load_dword v53, off, s[0:3], 0 offset:324
	;; [unrolled: 1-line block ×16, first 2 shown]
	v_mul_f32_e32 v5, v7, v5
	v_fma_f32 v5, v6, v171, -v5
	v_mul_f32_e32 v6, v9, v46
	v_add_f32_e32 v5, 0, v5
	v_fma_f32 v6, v8, v172, -v6
	v_add_f32_e32 v5, v5, v6
	v_mul_f32_e32 v6, v11, v48
	v_fma_f32 v6, v10, v173, -v6
	v_add_f32_e32 v5, v5, v6
	v_mul_f32_e32 v6, v13, v56
	;; [unrolled: 3-line block ×14, first 2 shown]
	v_fma_f32 v6, v36, v187, -v6
	v_add_f32_e32 v5, v5, v6
	s_waitcnt vmcnt(25) lgkmcnt(1)
	v_mul_f32_e32 v6, v39, v188
	s_waitcnt vmcnt(24)
	v_fma_f32 v6, v38, v189, -v6
	v_add_f32_e32 v5, v5, v6
	s_waitcnt vmcnt(23)
	v_mul_f32_e32 v6, v41, v190
	s_waitcnt vmcnt(22)
	v_fma_f32 v6, v40, v191, -v6
	v_add_f32_e32 v46, v5, v6
	ds_read_b128 v[6:9], v4 offset:672
	ds_read_b128 v[10:13], v4 offset:688
	;; [unrolled: 1-line block ×4, first 2 shown]
	v_mul_f32_e32 v49, v38, v188
	v_fmac_f32_e32 v49, v39, v189
	v_add_f32_e32 v47, v47, v49
	v_mul_f32_e32 v49, v40, v190
	v_fmac_f32_e32 v49, v41, v191
	v_add_f32_e32 v47, v47, v49
	s_waitcnt vmcnt(21) lgkmcnt(4)
	v_mul_f32_e32 v49, v42, v192
	v_mul_f32_e32 v5, v43, v192
	s_waitcnt vmcnt(20)
	v_fmac_f32_e32 v49, v43, v193
	s_waitcnt vmcnt(19)
	v_mul_f32_e32 v57, v44, v194
	v_fma_f32 v48, v42, v193, -v5
	v_mul_f32_e32 v5, v45, v194
	s_waitcnt vmcnt(18)
	v_fmac_f32_e32 v57, v45, v195
	v_fma_f32 v56, v44, v195, -v5
	v_pk_add_f32 v[4:5], v[46:47], v[48:49]
	v_pk_add_f32 v[4:5], v[4:5], v[56:57]
	s_waitcnt vmcnt(15)
	v_mov_b32_e32 v22, v51
	s_waitcnt lgkmcnt(3)
	v_pk_mul_f32 v[22:23], v[6:7], v[22:23] op_sel_hi:[1,0]
	s_waitcnt vmcnt(10)
	v_pk_fma_f32 v[24:25], v[6:7], v[50:51], v[22:23] op_sel:[0,0,1] op_sel_hi:[1,1,0] neg_lo:[0,0,1] neg_hi:[0,0,1]
	v_pk_fma_f32 v[6:7], v[6:7], v[50:51], v[22:23] op_sel:[0,0,1] op_sel_hi:[1,0,0]
	v_mov_b32_e32 v6, v55
	v_mov_b32_e32 v25, v7
	v_pk_mul_f32 v[6:7], v[8:9], v[6:7] op_sel_hi:[1,0]
	v_pk_fma_f32 v[22:23], v[8:9], v[54:55], v[6:7] op_sel:[0,0,1] op_sel_hi:[1,1,0] neg_lo:[0,0,1] neg_hi:[0,0,1]
	v_pk_fma_f32 v[6:7], v[8:9], v[54:55], v[6:7] op_sel:[0,0,1] op_sel_hi:[1,0,0]
	v_mov_b32_e32 v6, v53
	v_mov_b32_e32 v23, v7
	s_waitcnt lgkmcnt(2)
	v_pk_mul_f32 v[6:7], v[10:11], v[6:7] op_sel_hi:[1,0]
	v_pk_fma_f32 v[8:9], v[10:11], v[52:53], v[6:7] op_sel:[0,0,1] op_sel_hi:[1,1,0] neg_lo:[0,0,1] neg_hi:[0,0,1]
	v_pk_fma_f32 v[6:7], v[10:11], v[52:53], v[6:7] op_sel:[0,0,1] op_sel_hi:[1,0,0]
	v_pk_add_f32 v[4:5], v[4:5], v[24:25]
	s_waitcnt vmcnt(3)
	v_mov_b32_e32 v6, v65
	v_pk_add_f32 v[4:5], v[4:5], v[22:23]
	v_mov_b32_e32 v9, v7
	v_pk_mul_f32 v[6:7], v[12:13], v[6:7] op_sel_hi:[1,0]
	v_pk_add_f32 v[4:5], v[4:5], v[8:9]
	s_waitcnt vmcnt(2)
	v_pk_fma_f32 v[8:9], v[12:13], v[64:65], v[6:7] op_sel:[0,0,1] op_sel_hi:[1,1,0] neg_lo:[0,0,1] neg_hi:[0,0,1]
	v_pk_fma_f32 v[6:7], v[12:13], v[64:65], v[6:7] op_sel:[0,0,1] op_sel_hi:[1,0,0]
	v_mov_b32_e32 v6, v63
	v_mov_b32_e32 v9, v7
	s_waitcnt lgkmcnt(1)
	v_pk_mul_f32 v[6:7], v[14:15], v[6:7] op_sel_hi:[1,0]
	v_pk_add_f32 v[4:5], v[4:5], v[8:9]
	v_pk_fma_f32 v[8:9], v[14:15], v[62:63], v[6:7] op_sel:[0,0,1] op_sel_hi:[1,1,0] neg_lo:[0,0,1] neg_hi:[0,0,1]
	v_pk_fma_f32 v[6:7], v[14:15], v[62:63], v[6:7] op_sel:[0,0,1] op_sel_hi:[1,0,0]
	v_mov_b32_e32 v6, v61
	v_mov_b32_e32 v9, v7
	v_pk_mul_f32 v[6:7], v[16:17], v[6:7] op_sel_hi:[1,0]
	v_pk_add_f32 v[4:5], v[4:5], v[8:9]
	v_pk_fma_f32 v[8:9], v[16:17], v[60:61], v[6:7] op_sel:[0,0,1] op_sel_hi:[1,1,0] neg_lo:[0,0,1] neg_hi:[0,0,1]
	v_pk_fma_f32 v[6:7], v[16:17], v[60:61], v[6:7] op_sel:[0,0,1] op_sel_hi:[1,0,0]
	v_mov_b32_e32 v6, v59
	v_mov_b32_e32 v9, v7
	s_waitcnt lgkmcnt(0)
	v_pk_mul_f32 v[6:7], v[18:19], v[6:7] op_sel_hi:[1,0]
	v_pk_add_f32 v[4:5], v[4:5], v[8:9]
	v_pk_fma_f32 v[8:9], v[18:19], v[58:59], v[6:7] op_sel:[0,0,1] op_sel_hi:[1,1,0] neg_lo:[0,0,1] neg_hi:[0,0,1]
	v_pk_fma_f32 v[6:7], v[18:19], v[58:59], v[6:7] op_sel:[0,0,1] op_sel_hi:[1,0,0]
	s_waitcnt vmcnt(1)
	v_mov_b32_e32 v6, v67
	v_mov_b32_e32 v9, v7
	v_pk_mul_f32 v[6:7], v[20:21], v[6:7] op_sel_hi:[1,0]
	v_pk_add_f32 v[4:5], v[4:5], v[8:9]
	s_waitcnt vmcnt(0)
	v_pk_fma_f32 v[8:9], v[20:21], v[66:67], v[6:7] op_sel:[0,0,1] op_sel_hi:[1,1,0] neg_lo:[0,0,1] neg_hi:[0,0,1]
	v_pk_fma_f32 v[6:7], v[20:21], v[66:67], v[6:7] op_sel:[0,0,1] op_sel_hi:[1,0,0]
	v_mov_b32_e32 v9, v7
	v_pk_add_f32 v[4:5], v[4:5], v[8:9]
	v_pk_add_f32 v[2:3], v[2:3], v[4:5] neg_lo:[0,1] neg_hi:[0,1]
	buffer_store_dword v3, off, s[0:3], 0 offset:140
	buffer_store_dword v2, off, s[0:3], 0 offset:136
	s_and_saveexec_b64 s[4:5], vcc
	s_cbranch_execz .LBB109_257
; %bb.256:
	buffer_load_dword v2, off, s[0:3], 0 offset:128
	buffer_load_dword v3, off, s[0:3], 0 offset:132
	v_mov_b32_e32 v4, 0
	buffer_store_dword v4, off, s[0:3], 0 offset:128
	buffer_store_dword v4, off, s[0:3], 0 offset:132
	s_waitcnt vmcnt(2)
	ds_write_b64 v80, v[2:3]
.LBB109_257:
	s_or_b64 exec, exec, s[4:5]
	s_waitcnt lgkmcnt(0)
	; wave barrier
	s_waitcnt lgkmcnt(0)
	buffer_load_dword v5, off, s[0:3], 0 offset:140
	buffer_load_dword v54, off, s[0:3], 0 offset:148
	;; [unrolled: 1-line block ×44, first 2 shown]
	v_mov_b32_e32 v4, 0
	ds_read2_b64 v[6:9], v4 offset0:63 offset1:64
	ds_read2_b64 v[10:13], v4 offset0:65 offset1:66
	;; [unrolled: 1-line block ×8, first 2 shown]
	v_cmp_lt_u32_e32 vcc, 15, v0
	s_waitcnt vmcnt(43) lgkmcnt(7)
	v_mul_f32_e32 v38, v6, v5
	s_waitcnt vmcnt(42)
	v_mul_f32_e32 v39, v8, v54
	s_waitcnt vmcnt(41) lgkmcnt(6)
	v_mul_f32_e32 v40, v10, v60
	s_waitcnt vmcnt(40)
	v_mul_f32_e32 v41, v12, v62
	;; [unrolled: 4-line block ×7, first 2 shown]
	s_waitcnt vmcnt(29)
	v_fmac_f32_e32 v38, v7, v178
	s_waitcnt vmcnt(28)
	v_fmac_f32_e32 v39, v9, v179
	v_add_f32_e32 v38, 0, v38
	s_waitcnt vmcnt(27)
	v_fmac_f32_e32 v40, v11, v180
	v_add_f32_e32 v38, v38, v39
	;; [unrolled: 3-line block ×12, first 2 shown]
	v_add_f32_e32 v38, v38, v50
	s_waitcnt vmcnt(16)
	v_fmac_f32_e32 v51, v33, v191
	s_waitcnt vmcnt(15) lgkmcnt(0)
	v_mul_f32_e32 v39, v34, v192
	v_add_f32_e32 v38, v38, v51
	s_waitcnt vmcnt(14)
	v_fmac_f32_e32 v39, v35, v193
	v_add_f32_e32 v42, v38, v39
	ds_read2_b64 v[38:41], v4 offset0:79 offset1:80
	s_waitcnt vmcnt(13)
	v_mul_f32_e32 v43, v36, v194
	s_waitcnt vmcnt(12)
	v_fmac_f32_e32 v43, v37, v195
	v_add_f32_e32 v46, v42, v43
	ds_read2_b64 v[42:45], v4 offset0:81 offset1:82
	s_waitcnt vmcnt(11) lgkmcnt(1)
	v_mul_f32_e32 v47, v38, v196
	s_waitcnt vmcnt(10)
	v_fmac_f32_e32 v47, v39, v197
	v_add_f32_e32 v46, v46, v47
	s_waitcnt vmcnt(9)
	v_mul_f32_e32 v47, v40, v198
	s_waitcnt vmcnt(8)
	v_fmac_f32_e32 v47, v41, v199
	v_add_f32_e32 v46, v46, v47
	s_waitcnt vmcnt(7) lgkmcnt(0)
	v_mul_f32_e32 v47, v42, v200
	s_waitcnt vmcnt(6)
	v_fmac_f32_e32 v47, v43, v201
	v_add_f32_e32 v55, v46, v47
	ds_read2_b64 v[46:49], v4 offset0:83 offset1:84
	buffer_load_dword v57, off, s[0:3], 0 offset:316
	buffer_load_dword v56, off, s[0:3], 0 offset:312
	buffer_load_dword v59, off, s[0:3], 0 offset:308
	buffer_load_dword v58, off, s[0:3], 0 offset:304
	ds_read2_b64 v[50:53], v4 offset0:85 offset1:86
	buffer_load_dword v65, off, s[0:3], 0 offset:348
	buffer_load_dword v64, off, s[0:3], 0 offset:344
	;; [unrolled: 1-line block ×12, first 2 shown]
	v_mul_f32_e32 v5, v7, v5
	v_fma_f32 v5, v6, v178, -v5
	v_mul_f32_e32 v6, v9, v54
	v_add_f32_e32 v5, 0, v5
	v_fma_f32 v6, v8, v179, -v6
	v_add_f32_e32 v5, v5, v6
	v_mul_f32_e32 v6, v11, v60
	v_fma_f32 v6, v10, v180, -v6
	v_add_f32_e32 v5, v5, v6
	v_mul_f32_e32 v6, v13, v62
	v_fma_f32 v6, v12, v181, -v6
	v_add_f32_e32 v5, v5, v6
	v_mul_f32_e32 v6, v15, v168
	v_fma_f32 v6, v14, v182, -v6
	v_add_f32_e32 v5, v5, v6
	v_mul_f32_e32 v6, v17, v169
	v_fma_f32 v6, v16, v183, -v6
	v_add_f32_e32 v5, v5, v6
	v_mul_f32_e32 v6, v19, v170
	v_fma_f32 v6, v18, v184, -v6
	v_add_f32_e32 v5, v5, v6
	v_mul_f32_e32 v6, v21, v171
	v_fma_f32 v6, v20, v185, -v6
	v_add_f32_e32 v5, v5, v6
	v_mul_f32_e32 v6, v23, v172
	v_fma_f32 v6, v22, v186, -v6
	v_add_f32_e32 v5, v5, v6
	v_mul_f32_e32 v6, v25, v173
	v_fma_f32 v6, v24, v187, -v6
	v_add_f32_e32 v5, v5, v6
	v_mul_f32_e32 v6, v27, v174
	v_fma_f32 v6, v26, v188, -v6
	v_add_f32_e32 v5, v5, v6
	v_mul_f32_e32 v6, v29, v175
	v_fma_f32 v6, v28, v189, -v6
	v_add_f32_e32 v5, v5, v6
	v_mul_f32_e32 v6, v31, v176
	v_fma_f32 v6, v30, v190, -v6
	v_add_f32_e32 v5, v5, v6
	v_mul_f32_e32 v6, v33, v177
	v_fma_f32 v6, v32, v191, -v6
	v_add_f32_e32 v5, v5, v6
	v_mul_f32_e32 v6, v35, v192
	v_fma_f32 v6, v34, v193, -v6
	v_add_f32_e32 v5, v5, v6
	v_mul_f32_e32 v6, v37, v194
	v_fma_f32 v6, v36, v195, -v6
	v_add_f32_e32 v5, v5, v6
	v_mul_f32_e32 v6, v39, v196
	v_fma_f32 v6, v38, v197, -v6
	v_add_f32_e32 v5, v5, v6
	v_mul_f32_e32 v6, v41, v198
	v_fma_f32 v6, v40, v199, -v6
	v_add_f32_e32 v5, v5, v6
	v_mul_f32_e32 v6, v43, v200
	v_fma_f32 v6, v42, v201, -v6
	s_waitcnt vmcnt(21)
	v_mul_f32_e32 v61, v44, v202
	v_add_f32_e32 v54, v5, v6
	v_mul_f32_e32 v5, v45, v202
	s_waitcnt vmcnt(20)
	v_fmac_f32_e32 v61, v45, v203
	s_waitcnt vmcnt(19) lgkmcnt(1)
	v_mul_f32_e32 v63, v46, v204
	v_fma_f32 v60, v44, v203, -v5
	v_mul_f32_e32 v5, v47, v204
	s_waitcnt vmcnt(18)
	v_fmac_f32_e32 v63, v47, v205
	v_fma_f32 v62, v46, v205, -v5
	v_pk_add_f32 v[16:17], v[54:55], v[60:61]
	v_pk_add_f32 v[16:17], v[16:17], v[62:63]
	ds_read2_b64 v[6:9], v4 offset0:87 offset1:88
	ds_read2_b64 v[10:13], v4 offset0:89 offset1:90
	ds_read_b64 v[14:15], v4 offset:728
	s_waitcnt vmcnt(13)
	v_mov_b32_e32 v18, v59
	v_pk_mul_f32 v[18:19], v[48:49], v[18:19] op_sel_hi:[1,0]
	s_waitcnt vmcnt(12)
	v_pk_fma_f32 v[20:21], v[48:49], v[58:59], v[18:19] op_sel:[0,0,1] op_sel_hi:[1,1,0] neg_lo:[0,0,1] neg_hi:[0,0,1]
	v_pk_fma_f32 v[18:19], v[48:49], v[58:59], v[18:19] op_sel:[0,0,1] op_sel_hi:[1,0,0]
	v_mov_b32_e32 v18, v57
	v_mov_b32_e32 v21, v19
	s_waitcnt lgkmcnt(3)
	v_pk_mul_f32 v[18:19], v[50:51], v[18:19] op_sel_hi:[1,0]
	v_pk_add_f32 v[16:17], v[16:17], v[20:21]
	v_pk_fma_f32 v[20:21], v[50:51], v[56:57], v[18:19] op_sel:[0,0,1] op_sel_hi:[1,1,0] neg_lo:[0,0,1] neg_hi:[0,0,1]
	v_pk_fma_f32 v[18:19], v[50:51], v[56:57], v[18:19] op_sel:[0,0,1] op_sel_hi:[1,0,0]
	s_waitcnt vmcnt(5)
	v_mov_b32_e32 v18, v71
	v_mov_b32_e32 v21, v19
	v_pk_mul_f32 v[18:19], v[52:53], v[18:19] op_sel_hi:[1,0]
	v_pk_add_f32 v[16:17], v[16:17], v[20:21]
	s_waitcnt vmcnt(4)
	v_pk_fma_f32 v[20:21], v[52:53], v[70:71], v[18:19] op_sel:[0,0,1] op_sel_hi:[1,1,0] neg_lo:[0,0,1] neg_hi:[0,0,1]
	v_pk_fma_f32 v[18:19], v[52:53], v[70:71], v[18:19] op_sel:[0,0,1] op_sel_hi:[1,0,0]
	v_mov_b32_e32 v18, v69
	v_mov_b32_e32 v21, v19
	s_waitcnt lgkmcnt(2)
	v_pk_mul_f32 v[18:19], v[6:7], v[18:19] op_sel_hi:[1,0]
	v_pk_add_f32 v[16:17], v[16:17], v[20:21]
	v_pk_fma_f32 v[20:21], v[6:7], v[68:69], v[18:19] op_sel:[0,0,1] op_sel_hi:[1,1,0] neg_lo:[0,0,1] neg_hi:[0,0,1]
	v_pk_fma_f32 v[6:7], v[6:7], v[68:69], v[18:19] op_sel:[0,0,1] op_sel_hi:[1,0,0]
	v_mov_b32_e32 v21, v7
	v_pk_add_f32 v[6:7], v[16:17], v[20:21]
	v_mov_b32_e32 v16, v67
	v_pk_mul_f32 v[16:17], v[8:9], v[16:17] op_sel_hi:[1,0]
	v_pk_fma_f32 v[18:19], v[8:9], v[66:67], v[16:17] op_sel:[0,0,1] op_sel_hi:[1,1,0] neg_lo:[0,0,1] neg_hi:[0,0,1]
	v_pk_fma_f32 v[8:9], v[8:9], v[66:67], v[16:17] op_sel:[0,0,1] op_sel_hi:[1,0,0]
	v_mov_b32_e32 v8, v65
	v_mov_b32_e32 v19, v9
	s_waitcnt lgkmcnt(1)
	v_pk_mul_f32 v[8:9], v[10:11], v[8:9] op_sel_hi:[1,0]
	v_pk_fma_f32 v[16:17], v[10:11], v[64:65], v[8:9] op_sel:[0,0,1] op_sel_hi:[1,1,0] neg_lo:[0,0,1] neg_hi:[0,0,1]
	v_pk_fma_f32 v[8:9], v[10:11], v[64:65], v[8:9] op_sel:[0,0,1] op_sel_hi:[1,0,0]
	s_waitcnt vmcnt(1)
	v_mov_b32_e32 v8, v75
	v_mov_b32_e32 v17, v9
	v_pk_mul_f32 v[8:9], v[12:13], v[8:9] op_sel_hi:[1,0]
	s_waitcnt vmcnt(0)
	v_pk_fma_f32 v[10:11], v[12:13], v[74:75], v[8:9] op_sel:[0,0,1] op_sel_hi:[1,1,0] neg_lo:[0,0,1] neg_hi:[0,0,1]
	v_pk_fma_f32 v[8:9], v[12:13], v[74:75], v[8:9] op_sel:[0,0,1] op_sel_hi:[1,0,0]
	v_pk_add_f32 v[6:7], v[6:7], v[18:19]
	v_mov_b32_e32 v8, v73
	v_pk_add_f32 v[6:7], v[6:7], v[16:17]
	v_mov_b32_e32 v11, v9
	s_waitcnt lgkmcnt(0)
	v_pk_mul_f32 v[8:9], v[14:15], v[8:9] op_sel_hi:[1,0]
	v_pk_add_f32 v[6:7], v[6:7], v[10:11]
	v_pk_fma_f32 v[10:11], v[14:15], v[72:73], v[8:9] op_sel:[0,0,1] op_sel_hi:[1,1,0] neg_lo:[0,0,1] neg_hi:[0,0,1]
	v_pk_fma_f32 v[8:9], v[14:15], v[72:73], v[8:9] op_sel:[0,0,1] op_sel_hi:[1,0,0]
	v_mov_b32_e32 v11, v9
	v_pk_add_f32 v[6:7], v[6:7], v[10:11]
	v_pk_add_f32 v[2:3], v[2:3], v[6:7] neg_lo:[0,1] neg_hi:[0,1]
	buffer_store_dword v3, off, s[0:3], 0 offset:132
	buffer_store_dword v2, off, s[0:3], 0 offset:128
	s_and_saveexec_b64 s[4:5], vcc
	s_cbranch_execz .LBB109_259
; %bb.258:
	buffer_load_dword v2, off, s[0:3], 0 offset:120
	buffer_load_dword v3, off, s[0:3], 0 offset:124
	s_waitcnt vmcnt(0)
	ds_write_b64 v80, v[2:3]
	buffer_store_dword v4, off, s[0:3], 0 offset:120
	buffer_store_dword v4, off, s[0:3], 0 offset:124
.LBB109_259:
	s_or_b64 exec, exec, s[4:5]
	s_waitcnt lgkmcnt(0)
	; wave barrier
	s_waitcnt lgkmcnt(0)
	buffer_load_dword v5, off, s[0:3], 0 offset:132
	buffer_load_dword v56, off, s[0:3], 0 offset:140
	;; [unrolled: 1-line block ×46, first 2 shown]
	ds_read_b128 v[6:9], v4 offset:496
	ds_read_b128 v[10:13], v4 offset:512
	;; [unrolled: 1-line block ×8, first 2 shown]
	v_cmp_lt_u32_e32 vcc, 14, v0
	s_waitcnt vmcnt(45) lgkmcnt(7)
	v_mul_f32_e32 v38, v6, v5
	s_waitcnt vmcnt(44)
	v_mul_f32_e32 v39, v8, v56
	s_waitcnt vmcnt(43) lgkmcnt(6)
	v_mul_f32_e32 v40, v10, v58
	s_waitcnt vmcnt(42)
	v_mul_f32_e32 v41, v12, v60
	;; [unrolled: 4-line block ×6, first 2 shown]
	s_waitcnt vmcnt(33) lgkmcnt(1)
	v_mul_f32_e32 v50, v30, v176
	s_waitcnt vmcnt(32)
	v_fmac_f32_e32 v38, v7, v177
	s_waitcnt vmcnt(31)
	v_fmac_f32_e32 v39, v9, v178
	v_add_f32_e32 v38, 0, v38
	s_waitcnt vmcnt(30)
	v_fmac_f32_e32 v40, v11, v179
	v_add_f32_e32 v38, v38, v39
	;; [unrolled: 3-line block ×12, first 2 shown]
	s_waitcnt vmcnt(19)
	v_mul_f32_e32 v39, v32, v190
	v_add_f32_e32 v38, v38, v50
	s_waitcnt vmcnt(18)
	v_fmac_f32_e32 v39, v33, v191
	v_add_f32_e32 v38, v38, v39
	s_waitcnt vmcnt(17) lgkmcnt(0)
	v_mul_f32_e32 v39, v34, v192
	s_waitcnt vmcnt(16)
	v_fmac_f32_e32 v39, v35, v193
	v_add_f32_e32 v42, v38, v39
	ds_read_b128 v[38:41], v4 offset:624
	s_waitcnt vmcnt(15)
	v_mul_f32_e32 v43, v36, v194
	s_waitcnt vmcnt(14)
	v_fmac_f32_e32 v43, v37, v195
	v_add_f32_e32 v46, v42, v43
	ds_read_b128 v[42:45], v4 offset:640
	buffer_load_dword v55, off, s[0:3], 0 offset:308
	buffer_load_dword v54, off, s[0:3], 0 offset:304
	s_waitcnt vmcnt(15) lgkmcnt(1)
	v_mul_f32_e32 v47, v38, v196
	s_waitcnt vmcnt(14)
	v_fmac_f32_e32 v47, v39, v197
	v_add_f32_e32 v46, v46, v47
	s_waitcnt vmcnt(13)
	v_mul_f32_e32 v47, v40, v198
	s_waitcnt vmcnt(12)
	v_fmac_f32_e32 v47, v41, v199
	v_add_f32_e32 v46, v46, v47
	s_waitcnt vmcnt(11) lgkmcnt(0)
	v_mul_f32_e32 v47, v42, v200
	s_waitcnt vmcnt(10)
	v_fmac_f32_e32 v47, v43, v201
	s_waitcnt vmcnt(9)
	v_mul_f32_e32 v51, v44, v202
	v_add_f32_e32 v50, v46, v47
	s_waitcnt vmcnt(8)
	v_fmac_f32_e32 v51, v45, v203
	ds_read_b128 v[46:49], v4 offset:656
	v_add_f32_e32 v57, v50, v51
	ds_read_b128 v[50:53], v4 offset:672
	buffer_load_dword v63, off, s[0:3], 0 offset:340
	buffer_load_dword v62, off, s[0:3], 0 offset:336
	;; [unrolled: 1-line block ×14, first 2 shown]
	v_mul_f32_e32 v5, v7, v5
	v_fma_f32 v5, v6, v177, -v5
	v_mul_f32_e32 v6, v9, v56
	v_add_f32_e32 v5, 0, v5
	v_fma_f32 v6, v8, v178, -v6
	v_add_f32_e32 v5, v5, v6
	v_mul_f32_e32 v6, v11, v58
	v_fma_f32 v6, v10, v179, -v6
	v_add_f32_e32 v5, v5, v6
	v_mul_f32_e32 v6, v13, v60
	v_fma_f32 v6, v12, v180, -v6
	v_add_f32_e32 v5, v5, v6
	v_mul_f32_e32 v6, v15, v168
	v_fma_f32 v6, v14, v181, -v6
	v_add_f32_e32 v5, v5, v6
	v_mul_f32_e32 v6, v17, v169
	v_fma_f32 v6, v16, v182, -v6
	v_add_f32_e32 v5, v5, v6
	v_mul_f32_e32 v6, v19, v170
	v_fma_f32 v6, v18, v183, -v6
	v_add_f32_e32 v5, v5, v6
	v_mul_f32_e32 v6, v21, v171
	v_fma_f32 v6, v20, v184, -v6
	v_add_f32_e32 v5, v5, v6
	v_mul_f32_e32 v6, v23, v172
	v_fma_f32 v6, v22, v185, -v6
	v_add_f32_e32 v5, v5, v6
	v_mul_f32_e32 v6, v25, v173
	v_fma_f32 v6, v24, v186, -v6
	v_add_f32_e32 v5, v5, v6
	v_mul_f32_e32 v6, v27, v174
	v_fma_f32 v6, v26, v187, -v6
	v_add_f32_e32 v5, v5, v6
	v_mul_f32_e32 v6, v29, v175
	v_fma_f32 v6, v28, v188, -v6
	v_add_f32_e32 v5, v5, v6
	v_mul_f32_e32 v6, v31, v176
	v_fma_f32 v6, v30, v189, -v6
	v_add_f32_e32 v5, v5, v6
	v_mul_f32_e32 v6, v33, v190
	v_fma_f32 v6, v32, v191, -v6
	v_add_f32_e32 v5, v5, v6
	v_mul_f32_e32 v6, v35, v192
	v_fma_f32 v6, v34, v193, -v6
	v_add_f32_e32 v5, v5, v6
	v_mul_f32_e32 v6, v37, v194
	v_fma_f32 v6, v36, v195, -v6
	v_add_f32_e32 v5, v5, v6
	v_mul_f32_e32 v6, v39, v196
	v_fma_f32 v6, v38, v197, -v6
	v_add_f32_e32 v5, v5, v6
	v_mul_f32_e32 v6, v41, v198
	v_fma_f32 v6, v40, v199, -v6
	v_add_f32_e32 v5, v5, v6
	v_mul_f32_e32 v6, v43, v200
	v_fma_f32 v6, v42, v201, -v6
	v_add_f32_e32 v5, v5, v6
	v_mul_f32_e32 v6, v45, v202
	v_fma_f32 v6, v44, v203, -v6
	s_waitcnt vmcnt(21) lgkmcnt(1)
	v_mul_f32_e32 v59, v46, v204
	v_add_f32_e32 v56, v5, v6
	v_mul_f32_e32 v5, v47, v204
	s_waitcnt vmcnt(20)
	v_fmac_f32_e32 v59, v47, v205
	s_waitcnt vmcnt(15)
	v_mov_b32_e32 v18, v55
	s_waitcnt lgkmcnt(0)
	v_pk_mul_f32 v[18:19], v[50:51], v[18:19] op_sel_hi:[1,0]
	v_mul_f32_e32 v61, v48, v206
	v_fma_f32 v58, v46, v205, -v5
	v_mul_f32_e32 v5, v49, v206
	s_waitcnt vmcnt(14)
	v_pk_fma_f32 v[20:21], v[50:51], v[54:55], v[18:19] op_sel:[0,0,1] op_sel_hi:[1,1,0] neg_lo:[0,0,1] neg_hi:[0,0,1]
	v_pk_fma_f32 v[18:19], v[50:51], v[54:55], v[18:19] op_sel:[0,0,1] op_sel_hi:[1,0,0]
	v_fmac_f32_e32 v61, v49, v207
	v_fma_f32 v60, v48, v207, -v5
	ds_read_b128 v[6:9], v4 offset:688
	ds_read_b128 v[10:13], v4 offset:704
	;; [unrolled: 1-line block ×3, first 2 shown]
	v_pk_add_f32 v[4:5], v[56:57], v[58:59]
	s_waitcnt vmcnt(7)
	v_mov_b32_e32 v18, v69
	v_pk_add_f32 v[4:5], v[4:5], v[60:61]
	v_mov_b32_e32 v21, v19
	v_pk_mul_f32 v[18:19], v[52:53], v[18:19] op_sel_hi:[1,0]
	v_pk_add_f32 v[4:5], v[4:5], v[20:21]
	s_waitcnt vmcnt(6)
	v_pk_fma_f32 v[20:21], v[52:53], v[68:69], v[18:19] op_sel:[0,0,1] op_sel_hi:[1,1,0] neg_lo:[0,0,1] neg_hi:[0,0,1]
	v_pk_fma_f32 v[18:19], v[52:53], v[68:69], v[18:19] op_sel:[0,0,1] op_sel_hi:[1,0,0]
	v_mov_b32_e32 v18, v67
	v_mov_b32_e32 v21, v19
	s_waitcnt lgkmcnt(2)
	v_pk_mul_f32 v[18:19], v[6:7], v[18:19] op_sel_hi:[1,0]
	v_pk_add_f32 v[4:5], v[4:5], v[20:21]
	v_pk_fma_f32 v[20:21], v[6:7], v[66:67], v[18:19] op_sel:[0,0,1] op_sel_hi:[1,1,0] neg_lo:[0,0,1] neg_hi:[0,0,1]
	v_pk_fma_f32 v[6:7], v[6:7], v[66:67], v[18:19] op_sel:[0,0,1] op_sel_hi:[1,0,0]
	v_mov_b32_e32 v6, v65
	v_mov_b32_e32 v21, v7
	v_pk_mul_f32 v[6:7], v[8:9], v[6:7] op_sel_hi:[1,0]
	v_pk_fma_f32 v[18:19], v[8:9], v[64:65], v[6:7] op_sel:[0,0,1] op_sel_hi:[1,1,0] neg_lo:[0,0,1] neg_hi:[0,0,1]
	v_pk_fma_f32 v[6:7], v[8:9], v[64:65], v[6:7] op_sel:[0,0,1] op_sel_hi:[1,0,0]
	v_mov_b32_e32 v6, v63
	v_mov_b32_e32 v19, v7
	s_waitcnt lgkmcnt(1)
	v_pk_mul_f32 v[6:7], v[10:11], v[6:7] op_sel_hi:[1,0]
	v_pk_fma_f32 v[8:9], v[10:11], v[62:63], v[6:7] op_sel:[0,0,1] op_sel_hi:[1,1,0] neg_lo:[0,0,1] neg_hi:[0,0,1]
	v_pk_fma_f32 v[6:7], v[10:11], v[62:63], v[6:7] op_sel:[0,0,1] op_sel_hi:[1,0,0]
	v_pk_add_f32 v[4:5], v[4:5], v[20:21]
	s_waitcnt vmcnt(1)
	v_mov_b32_e32 v6, v75
	v_pk_add_f32 v[4:5], v[4:5], v[18:19]
	v_mov_b32_e32 v9, v7
	v_pk_mul_f32 v[6:7], v[12:13], v[6:7] op_sel_hi:[1,0]
	v_pk_add_f32 v[4:5], v[4:5], v[8:9]
	s_waitcnt vmcnt(0)
	v_pk_fma_f32 v[8:9], v[12:13], v[74:75], v[6:7] op_sel:[0,0,1] op_sel_hi:[1,1,0] neg_lo:[0,0,1] neg_hi:[0,0,1]
	v_pk_fma_f32 v[6:7], v[12:13], v[74:75], v[6:7] op_sel:[0,0,1] op_sel_hi:[1,0,0]
	v_mov_b32_e32 v6, v73
	v_mov_b32_e32 v9, v7
	s_waitcnt lgkmcnt(0)
	v_pk_mul_f32 v[6:7], v[14:15], v[6:7] op_sel_hi:[1,0]
	v_pk_add_f32 v[4:5], v[4:5], v[8:9]
	v_pk_fma_f32 v[8:9], v[14:15], v[72:73], v[6:7] op_sel:[0,0,1] op_sel_hi:[1,1,0] neg_lo:[0,0,1] neg_hi:[0,0,1]
	v_pk_fma_f32 v[6:7], v[14:15], v[72:73], v[6:7] op_sel:[0,0,1] op_sel_hi:[1,0,0]
	v_mov_b32_e32 v6, v71
	v_mov_b32_e32 v9, v7
	v_pk_mul_f32 v[6:7], v[16:17], v[6:7] op_sel_hi:[1,0]
	v_pk_add_f32 v[4:5], v[4:5], v[8:9]
	v_pk_fma_f32 v[8:9], v[16:17], v[70:71], v[6:7] op_sel:[0,0,1] op_sel_hi:[1,1,0] neg_lo:[0,0,1] neg_hi:[0,0,1]
	v_pk_fma_f32 v[6:7], v[16:17], v[70:71], v[6:7] op_sel:[0,0,1] op_sel_hi:[1,0,0]
	v_mov_b32_e32 v9, v7
	v_pk_add_f32 v[4:5], v[4:5], v[8:9]
	v_pk_add_f32 v[2:3], v[2:3], v[4:5] neg_lo:[0,1] neg_hi:[0,1]
	buffer_store_dword v3, off, s[0:3], 0 offset:124
	buffer_store_dword v2, off, s[0:3], 0 offset:120
	s_and_saveexec_b64 s[4:5], vcc
	s_cbranch_execz .LBB109_261
; %bb.260:
	buffer_load_dword v2, off, s[0:3], 0 offset:112
	buffer_load_dword v3, off, s[0:3], 0 offset:116
	v_mov_b32_e32 v4, 0
	buffer_store_dword v4, off, s[0:3], 0 offset:112
	buffer_store_dword v4, off, s[0:3], 0 offset:116
	s_waitcnt vmcnt(2)
	ds_write_b64 v80, v[2:3]
.LBB109_261:
	s_or_b64 exec, exec, s[4:5]
	s_waitcnt lgkmcnt(0)
	; wave barrier
	s_waitcnt lgkmcnt(0)
	buffer_load_dword v5, off, s[0:3], 0 offset:124
	buffer_load_dword v54, off, s[0:3], 0 offset:132
	;; [unrolled: 1-line block ×48, first 2 shown]
	v_mov_b32_e32 v4, 0
	ds_read2_b64 v[6:9], v4 offset0:61 offset1:62
	ds_read2_b64 v[10:13], v4 offset0:63 offset1:64
	;; [unrolled: 1-line block ×6, first 2 shown]
	v_cmp_lt_u32_e32 vcc, 13, v0
	s_waitcnt vmcnt(47) lgkmcnt(5)
	v_mul_f32_e32 v30, v6, v5
	s_waitcnt vmcnt(46)
	v_mul_f32_e32 v31, v8, v54
	s_waitcnt vmcnt(45) lgkmcnt(4)
	v_mul_f32_e32 v32, v10, v56
	s_waitcnt vmcnt(44)
	v_mul_f32_e32 v33, v12, v58
	;; [unrolled: 4-line block ×6, first 2 shown]
	s_waitcnt vmcnt(35)
	v_fmac_f32_e32 v30, v7, v176
	s_waitcnt vmcnt(34)
	v_fmac_f32_e32 v31, v9, v177
	v_add_f32_e32 v30, 0, v30
	s_waitcnt vmcnt(33)
	v_fmac_f32_e32 v32, v11, v178
	v_add_f32_e32 v30, v30, v31
	;; [unrolled: 3-line block ×8, first 2 shown]
	v_add_f32_e32 v34, v30, v38
	ds_read2_b64 v[30:33], v4 offset0:73 offset1:74
	s_waitcnt vmcnt(26)
	v_fmac_f32_e32 v39, v25, v185
	s_waitcnt vmcnt(25)
	v_fmac_f32_e32 v40, v27, v186
	v_add_f32_e32 v34, v34, v39
	s_waitcnt vmcnt(24)
	v_fmac_f32_e32 v41, v29, v187
	v_add_f32_e32 v34, v34, v40
	v_add_f32_e32 v38, v34, v41
	ds_read2_b64 v[34:37], v4 offset0:75 offset1:76
	s_waitcnt vmcnt(23) lgkmcnt(1)
	v_mul_f32_e32 v39, v30, v188
	s_waitcnt vmcnt(22)
	v_fmac_f32_e32 v39, v31, v189
	v_add_f32_e32 v38, v38, v39
	s_waitcnt vmcnt(21)
	v_mul_f32_e32 v39, v32, v190
	s_waitcnt vmcnt(20)
	v_fmac_f32_e32 v39, v33, v191
	v_add_f32_e32 v38, v38, v39
	s_waitcnt vmcnt(19) lgkmcnt(0)
	v_mul_f32_e32 v39, v34, v192
	s_waitcnt vmcnt(18)
	v_fmac_f32_e32 v39, v35, v193
	v_add_f32_e32 v42, v38, v39
	ds_read2_b64 v[38:41], v4 offset0:77 offset1:78
	s_waitcnt vmcnt(17)
	v_mul_f32_e32 v43, v36, v194
	s_waitcnt vmcnt(16)
	v_fmac_f32_e32 v43, v37, v195
	v_add_f32_e32 v46, v42, v43
	ds_read2_b64 v[42:45], v4 offset0:79 offset1:80
	s_waitcnt vmcnt(15) lgkmcnt(1)
	v_mul_f32_e32 v47, v38, v196
	s_waitcnt vmcnt(14)
	v_fmac_f32_e32 v47, v39, v197
	v_add_f32_e32 v46, v46, v47
	s_waitcnt vmcnt(13)
	v_mul_f32_e32 v47, v40, v198
	s_waitcnt vmcnt(12)
	v_fmac_f32_e32 v47, v41, v199
	v_add_f32_e32 v46, v46, v47
	s_waitcnt vmcnt(11) lgkmcnt(0)
	v_mul_f32_e32 v47, v42, v200
	s_waitcnt vmcnt(10)
	v_fmac_f32_e32 v47, v43, v201
	s_waitcnt vmcnt(9)
	v_mul_f32_e32 v51, v44, v202
	v_add_f32_e32 v50, v46, v47
	s_waitcnt vmcnt(8)
	v_fmac_f32_e32 v51, v45, v203
	ds_read2_b64 v[46:49], v4 offset0:81 offset1:82
	v_add_f32_e32 v55, v50, v51
	ds_read2_b64 v[50:53], v4 offset0:83 offset1:84
	buffer_load_dword v61, off, s[0:3], 0 offset:332
	buffer_load_dword v60, off, s[0:3], 0 offset:328
	;; [unrolled: 1-line block ×16, first 2 shown]
	v_mul_f32_e32 v5, v7, v5
	v_fma_f32 v5, v6, v176, -v5
	v_mul_f32_e32 v6, v9, v54
	v_add_f32_e32 v5, 0, v5
	v_fma_f32 v6, v8, v177, -v6
	v_add_f32_e32 v5, v5, v6
	v_mul_f32_e32 v6, v11, v56
	v_fma_f32 v6, v10, v178, -v6
	v_add_f32_e32 v5, v5, v6
	v_mul_f32_e32 v6, v13, v58
	;; [unrolled: 3-line block ×18, first 2 shown]
	v_fma_f32 v6, v44, v203, -v6
	s_waitcnt vmcnt(22) lgkmcnt(1)
	v_mul_f32_e32 v57, v46, v205
	v_add_f32_e32 v5, v5, v6
	v_mul_f32_e32 v6, v47, v205
	v_fmac_f32_e32 v57, v47, v204
	v_fma_f32 v6, v46, v204, -v6
	v_add_f32_e32 v55, v55, v57
	s_waitcnt vmcnt(19)
	v_mul_f32_e32 v57, v48, v206
	v_add_f32_e32 v54, v5, v6
	v_mul_f32_e32 v5, v49, v206
	s_waitcnt vmcnt(18)
	v_fmac_f32_e32 v57, v49, v207
	s_waitcnt vmcnt(17) lgkmcnt(0)
	v_mul_f32_e32 v59, v50, v208
	s_waitcnt vmcnt(9)
	v_mov_b32_e32 v22, v67
	v_pk_mul_f32 v[22:23], v[52:53], v[22:23] op_sel_hi:[1,0]
	v_fma_f32 v56, v48, v207, -v5
	v_mul_f32_e32 v5, v51, v208
	ds_read2_b64 v[6:9], v4 offset0:85 offset1:86
	ds_read2_b64 v[10:13], v4 offset0:87 offset1:88
	;; [unrolled: 1-line block ×3, first 2 shown]
	ds_read_b64 v[18:19], v4 offset:728
	s_waitcnt vmcnt(8)
	v_pk_fma_f32 v[24:25], v[52:53], v[66:67], v[22:23] op_sel:[0,0,1] op_sel_hi:[1,1,0] neg_lo:[0,0,1] neg_hi:[0,0,1]
	v_pk_fma_f32 v[22:23], v[52:53], v[66:67], v[22:23] op_sel:[0,0,1] op_sel_hi:[1,0,0]
	v_fmac_f32_e32 v59, v51, v209
	v_fma_f32 v58, v50, v209, -v5
	v_pk_add_f32 v[20:21], v[54:55], v[56:57]
	v_mov_b32_e32 v22, v65
	v_pk_add_f32 v[20:21], v[20:21], v[58:59]
	v_mov_b32_e32 v25, v23
	s_waitcnt lgkmcnt(3)
	v_pk_mul_f32 v[22:23], v[6:7], v[22:23] op_sel_hi:[1,0]
	v_pk_add_f32 v[20:21], v[20:21], v[24:25]
	v_pk_fma_f32 v[24:25], v[6:7], v[64:65], v[22:23] op_sel:[0,0,1] op_sel_hi:[1,1,0] neg_lo:[0,0,1] neg_hi:[0,0,1]
	v_pk_fma_f32 v[6:7], v[6:7], v[64:65], v[22:23] op_sel:[0,0,1] op_sel_hi:[1,0,0]
	v_mov_b32_e32 v25, v7
	v_pk_add_f32 v[6:7], v[20:21], v[24:25]
	v_mov_b32_e32 v20, v63
	v_pk_mul_f32 v[20:21], v[8:9], v[20:21] op_sel_hi:[1,0]
	v_pk_fma_f32 v[22:23], v[8:9], v[62:63], v[20:21] op_sel:[0,0,1] op_sel_hi:[1,1,0] neg_lo:[0,0,1] neg_hi:[0,0,1]
	v_pk_fma_f32 v[8:9], v[8:9], v[62:63], v[20:21] op_sel:[0,0,1] op_sel_hi:[1,0,0]
	v_mov_b32_e32 v8, v61
	v_mov_b32_e32 v23, v9
	s_waitcnt lgkmcnt(2)
	v_pk_mul_f32 v[8:9], v[10:11], v[8:9] op_sel_hi:[1,0]
	v_pk_fma_f32 v[20:21], v[10:11], v[60:61], v[8:9] op_sel:[0,0,1] op_sel_hi:[1,1,0] neg_lo:[0,0,1] neg_hi:[0,0,1]
	v_pk_fma_f32 v[8:9], v[10:11], v[60:61], v[8:9] op_sel:[0,0,1] op_sel_hi:[1,0,0]
	s_waitcnt vmcnt(1)
	v_mov_b32_e32 v8, v75
	v_mov_b32_e32 v21, v9
	v_pk_mul_f32 v[8:9], v[12:13], v[8:9] op_sel_hi:[1,0]
	s_waitcnt vmcnt(0)
	v_pk_fma_f32 v[10:11], v[12:13], v[74:75], v[8:9] op_sel:[0,0,1] op_sel_hi:[1,1,0] neg_lo:[0,0,1] neg_hi:[0,0,1]
	v_pk_fma_f32 v[8:9], v[12:13], v[74:75], v[8:9] op_sel:[0,0,1] op_sel_hi:[1,0,0]
	v_pk_add_f32 v[6:7], v[6:7], v[22:23]
	v_mov_b32_e32 v8, v73
	v_pk_add_f32 v[6:7], v[6:7], v[20:21]
	v_mov_b32_e32 v11, v9
	s_waitcnt lgkmcnt(1)
	v_pk_mul_f32 v[8:9], v[14:15], v[8:9] op_sel_hi:[1,0]
	v_pk_add_f32 v[6:7], v[6:7], v[10:11]
	v_pk_fma_f32 v[10:11], v[14:15], v[72:73], v[8:9] op_sel:[0,0,1] op_sel_hi:[1,1,0] neg_lo:[0,0,1] neg_hi:[0,0,1]
	v_pk_fma_f32 v[8:9], v[14:15], v[72:73], v[8:9] op_sel:[0,0,1] op_sel_hi:[1,0,0]
	v_mov_b32_e32 v8, v71
	v_mov_b32_e32 v11, v9
	v_pk_mul_f32 v[8:9], v[16:17], v[8:9] op_sel_hi:[1,0]
	v_pk_add_f32 v[6:7], v[6:7], v[10:11]
	v_pk_fma_f32 v[10:11], v[16:17], v[70:71], v[8:9] op_sel:[0,0,1] op_sel_hi:[1,1,0] neg_lo:[0,0,1] neg_hi:[0,0,1]
	v_pk_fma_f32 v[8:9], v[16:17], v[70:71], v[8:9] op_sel:[0,0,1] op_sel_hi:[1,0,0]
	v_mov_b32_e32 v8, v69
	v_mov_b32_e32 v11, v9
	s_waitcnt lgkmcnt(0)
	v_pk_mul_f32 v[8:9], v[18:19], v[8:9] op_sel_hi:[1,0]
	v_pk_add_f32 v[6:7], v[6:7], v[10:11]
	v_pk_fma_f32 v[10:11], v[18:19], v[68:69], v[8:9] op_sel:[0,0,1] op_sel_hi:[1,1,0] neg_lo:[0,0,1] neg_hi:[0,0,1]
	v_pk_fma_f32 v[8:9], v[18:19], v[68:69], v[8:9] op_sel:[0,0,1] op_sel_hi:[1,0,0]
	v_mov_b32_e32 v11, v9
	v_pk_add_f32 v[6:7], v[6:7], v[10:11]
	v_pk_add_f32 v[2:3], v[2:3], v[6:7] neg_lo:[0,1] neg_hi:[0,1]
	buffer_store_dword v3, off, s[0:3], 0 offset:116
	buffer_store_dword v2, off, s[0:3], 0 offset:112
	s_and_saveexec_b64 s[4:5], vcc
	s_cbranch_execz .LBB109_263
; %bb.262:
	buffer_load_dword v2, off, s[0:3], 0 offset:104
	buffer_load_dword v3, off, s[0:3], 0 offset:108
	s_waitcnt vmcnt(0)
	ds_write_b64 v80, v[2:3]
	buffer_store_dword v4, off, s[0:3], 0 offset:104
	buffer_store_dword v4, off, s[0:3], 0 offset:108
.LBB109_263:
	s_or_b64 exec, exec, s[4:5]
	s_waitcnt lgkmcnt(0)
	; wave barrier
	s_waitcnt lgkmcnt(0)
	buffer_load_dword v5, off, s[0:3], 0 offset:116
	buffer_load_dword v54, off, s[0:3], 0 offset:124
	;; [unrolled: 1-line block ×48, first 2 shown]
	ds_read_b128 v[6:9], v4 offset:480
	ds_read_b128 v[10:13], v4 offset:496
	;; [unrolled: 1-line block ×6, first 2 shown]
	buffer_load_dword v210, off, s[0:3], 0 offset:296
	buffer_load_dword v211, off, s[0:3], 0 offset:300
	v_cmp_lt_u32_e32 vcc, 12, v0
	s_waitcnt vmcnt(49) lgkmcnt(5)
	v_mul_f32_e32 v30, v6, v5
	s_waitcnt vmcnt(48)
	v_mul_f32_e32 v31, v8, v54
	s_waitcnt vmcnt(47) lgkmcnt(4)
	v_mul_f32_e32 v32, v10, v56
	s_waitcnt vmcnt(46)
	v_mul_f32_e32 v33, v12, v64
	;; [unrolled: 4-line block ×6, first 2 shown]
	s_waitcnt vmcnt(37)
	v_fmac_f32_e32 v30, v7, v176
	s_waitcnt vmcnt(36)
	v_fmac_f32_e32 v31, v9, v177
	v_add_f32_e32 v30, 0, v30
	s_waitcnt vmcnt(35)
	v_fmac_f32_e32 v32, v11, v178
	v_add_f32_e32 v30, v30, v31
	;; [unrolled: 3-line block ×9, first 2 shown]
	v_add_f32_e32 v34, v30, v39
	ds_read_b128 v[30:33], v4 offset:576
	s_waitcnt vmcnt(27)
	v_fmac_f32_e32 v40, v27, v186
	v_add_f32_e32 v34, v34, v40
	s_waitcnt vmcnt(26)
	v_fmac_f32_e32 v41, v29, v187
	v_add_f32_e32 v38, v34, v41
	ds_read_b128 v[34:37], v4 offset:592
	s_waitcnt vmcnt(25) lgkmcnt(1)
	v_mul_f32_e32 v39, v30, v188
	s_waitcnt vmcnt(24)
	v_fmac_f32_e32 v39, v31, v189
	v_add_f32_e32 v38, v38, v39
	s_waitcnt vmcnt(23)
	v_mul_f32_e32 v39, v32, v190
	s_waitcnt vmcnt(22)
	v_fmac_f32_e32 v39, v33, v191
	v_add_f32_e32 v38, v38, v39
	s_waitcnt vmcnt(21) lgkmcnt(0)
	v_mul_f32_e32 v39, v34, v192
	s_waitcnt vmcnt(20)
	v_fmac_f32_e32 v39, v35, v193
	v_add_f32_e32 v42, v38, v39
	ds_read_b128 v[38:41], v4 offset:608
	s_waitcnt vmcnt(19)
	v_mul_f32_e32 v43, v36, v194
	s_waitcnt vmcnt(18)
	v_fmac_f32_e32 v43, v37, v195
	v_add_f32_e32 v46, v42, v43
	ds_read_b128 v[42:45], v4 offset:624
	s_waitcnt vmcnt(17) lgkmcnt(1)
	v_mul_f32_e32 v47, v38, v196
	s_waitcnt vmcnt(16)
	v_fmac_f32_e32 v47, v39, v197
	v_add_f32_e32 v46, v46, v47
	s_waitcnt vmcnt(15)
	v_mul_f32_e32 v47, v40, v198
	s_waitcnt vmcnt(14)
	v_fmac_f32_e32 v47, v41, v199
	v_add_f32_e32 v46, v46, v47
	s_waitcnt vmcnt(13) lgkmcnt(0)
	v_mul_f32_e32 v47, v42, v200
	s_waitcnt vmcnt(12)
	v_fmac_f32_e32 v47, v43, v201
	s_waitcnt vmcnt(11)
	v_mul_f32_e32 v51, v44, v202
	v_add_f32_e32 v50, v46, v47
	s_waitcnt vmcnt(10)
	v_fmac_f32_e32 v51, v45, v203
	ds_read_b128 v[46:49], v4 offset:640
	v_add_f32_e32 v55, v50, v51
	ds_read_b128 v[50:53], v4 offset:656
	buffer_load_dword v59, off, s[0:3], 0 offset:324
	buffer_load_dword v58, off, s[0:3], 0 offset:320
	;; [unrolled: 1-line block ×16, first 2 shown]
	v_mul_f32_e32 v5, v7, v5
	v_fma_f32 v5, v6, v176, -v5
	v_mul_f32_e32 v6, v9, v54
	v_add_f32_e32 v5, 0, v5
	v_fma_f32 v6, v8, v177, -v6
	v_add_f32_e32 v5, v5, v6
	v_mul_f32_e32 v6, v11, v56
	v_fma_f32 v6, v10, v178, -v6
	v_add_f32_e32 v5, v5, v6
	v_mul_f32_e32 v6, v13, v64
	;; [unrolled: 3-line block ×18, first 2 shown]
	v_fma_f32 v6, v44, v203, -v6
	v_add_f32_e32 v5, v5, v6
	s_waitcnt vmcnt(23) lgkmcnt(1)
	v_mul_f32_e32 v6, v47, v204
	s_waitcnt vmcnt(22)
	v_fma_f32 v6, v46, v205, -v6
	v_add_f32_e32 v5, v5, v6
	s_waitcnt vmcnt(20)
	v_mul_f32_e32 v6, v49, v207
	v_fma_f32 v6, v48, v206, -v6
	v_add_f32_e32 v54, v5, v6
	ds_read_b128 v[6:9], v4 offset:672
	ds_read_b128 v[10:13], v4 offset:688
	;; [unrolled: 1-line block ×4, first 2 shown]
	v_mul_f32_e32 v57, v46, v204
	v_fmac_f32_e32 v57, v47, v205
	v_add_f32_e32 v55, v55, v57
	v_mul_f32_e32 v57, v48, v207
	v_fmac_f32_e32 v57, v49, v206
	v_add_f32_e32 v55, v55, v57
	s_waitcnt vmcnt(18) lgkmcnt(4)
	v_mul_f32_e32 v57, v50, v209
	v_mul_f32_e32 v5, v51, v209
	v_fmac_f32_e32 v57, v51, v208
	s_waitcnt vmcnt(16)
	v_mul_f32_e32 v65, v52, v211
	s_waitcnt vmcnt(11)
	v_mov_b32_e32 v22, v63
	s_waitcnt lgkmcnt(3)
	v_pk_mul_f32 v[22:23], v[6:7], v[22:23] op_sel_hi:[1,0]
	s_waitcnt vmcnt(10)
	v_pk_fma_f32 v[24:25], v[6:7], v[62:63], v[22:23] op_sel:[0,0,1] op_sel_hi:[1,1,0] neg_lo:[0,0,1] neg_hi:[0,0,1]
	v_pk_fma_f32 v[6:7], v[6:7], v[62:63], v[22:23] op_sel:[0,0,1] op_sel_hi:[1,0,0]
	v_mov_b32_e32 v6, v61
	v_mov_b32_e32 v25, v7
	v_pk_mul_f32 v[6:7], v[8:9], v[6:7] op_sel_hi:[1,0]
	v_pk_fma_f32 v[22:23], v[8:9], v[60:61], v[6:7] op_sel:[0,0,1] op_sel_hi:[1,1,0] neg_lo:[0,0,1] neg_hi:[0,0,1]
	v_pk_fma_f32 v[6:7], v[8:9], v[60:61], v[6:7] op_sel:[0,0,1] op_sel_hi:[1,0,0]
	v_fma_f32 v56, v50, v208, -v5
	v_mul_f32_e32 v5, v53, v211
	v_mov_b32_e32 v6, v59
	v_fmac_f32_e32 v65, v53, v210
	v_fma_f32 v64, v52, v210, -v5
	v_pk_add_f32 v[4:5], v[54:55], v[56:57]
	v_mov_b32_e32 v23, v7
	s_waitcnt lgkmcnt(2)
	v_pk_mul_f32 v[6:7], v[10:11], v[6:7] op_sel_hi:[1,0]
	v_pk_add_f32 v[4:5], v[4:5], v[64:65]
	v_pk_fma_f32 v[8:9], v[10:11], v[58:59], v[6:7] op_sel:[0,0,1] op_sel_hi:[1,1,0] neg_lo:[0,0,1] neg_hi:[0,0,1]
	v_pk_fma_f32 v[6:7], v[10:11], v[58:59], v[6:7] op_sel:[0,0,1] op_sel_hi:[1,0,0]
	v_pk_add_f32 v[4:5], v[4:5], v[24:25]
	s_waitcnt vmcnt(3)
	v_mov_b32_e32 v6, v73
	v_pk_add_f32 v[4:5], v[4:5], v[22:23]
	v_mov_b32_e32 v9, v7
	v_pk_mul_f32 v[6:7], v[12:13], v[6:7] op_sel_hi:[1,0]
	v_pk_add_f32 v[4:5], v[4:5], v[8:9]
	s_waitcnt vmcnt(2)
	v_pk_fma_f32 v[8:9], v[12:13], v[72:73], v[6:7] op_sel:[0,0,1] op_sel_hi:[1,1,0] neg_lo:[0,0,1] neg_hi:[0,0,1]
	v_pk_fma_f32 v[6:7], v[12:13], v[72:73], v[6:7] op_sel:[0,0,1] op_sel_hi:[1,0,0]
	v_mov_b32_e32 v6, v71
	v_mov_b32_e32 v9, v7
	s_waitcnt lgkmcnt(1)
	v_pk_mul_f32 v[6:7], v[14:15], v[6:7] op_sel_hi:[1,0]
	v_pk_add_f32 v[4:5], v[4:5], v[8:9]
	v_pk_fma_f32 v[8:9], v[14:15], v[70:71], v[6:7] op_sel:[0,0,1] op_sel_hi:[1,1,0] neg_lo:[0,0,1] neg_hi:[0,0,1]
	v_pk_fma_f32 v[6:7], v[14:15], v[70:71], v[6:7] op_sel:[0,0,1] op_sel_hi:[1,0,0]
	v_mov_b32_e32 v6, v69
	v_mov_b32_e32 v9, v7
	v_pk_mul_f32 v[6:7], v[16:17], v[6:7] op_sel_hi:[1,0]
	v_pk_add_f32 v[4:5], v[4:5], v[8:9]
	v_pk_fma_f32 v[8:9], v[16:17], v[68:69], v[6:7] op_sel:[0,0,1] op_sel_hi:[1,1,0] neg_lo:[0,0,1] neg_hi:[0,0,1]
	v_pk_fma_f32 v[6:7], v[16:17], v[68:69], v[6:7] op_sel:[0,0,1] op_sel_hi:[1,0,0]
	v_mov_b32_e32 v6, v67
	v_mov_b32_e32 v9, v7
	s_waitcnt lgkmcnt(0)
	v_pk_mul_f32 v[6:7], v[18:19], v[6:7] op_sel_hi:[1,0]
	v_pk_add_f32 v[4:5], v[4:5], v[8:9]
	v_pk_fma_f32 v[8:9], v[18:19], v[66:67], v[6:7] op_sel:[0,0,1] op_sel_hi:[1,1,0] neg_lo:[0,0,1] neg_hi:[0,0,1]
	v_pk_fma_f32 v[6:7], v[18:19], v[66:67], v[6:7] op_sel:[0,0,1] op_sel_hi:[1,0,0]
	s_waitcnt vmcnt(1)
	v_mov_b32_e32 v6, v75
	v_mov_b32_e32 v9, v7
	v_pk_mul_f32 v[6:7], v[20:21], v[6:7] op_sel_hi:[1,0]
	v_pk_add_f32 v[4:5], v[4:5], v[8:9]
	s_waitcnt vmcnt(0)
	v_pk_fma_f32 v[8:9], v[20:21], v[74:75], v[6:7] op_sel:[0,0,1] op_sel_hi:[1,1,0] neg_lo:[0,0,1] neg_hi:[0,0,1]
	v_pk_fma_f32 v[6:7], v[20:21], v[74:75], v[6:7] op_sel:[0,0,1] op_sel_hi:[1,0,0]
	v_mov_b32_e32 v9, v7
	v_pk_add_f32 v[4:5], v[4:5], v[8:9]
	v_pk_add_f32 v[2:3], v[2:3], v[4:5] neg_lo:[0,1] neg_hi:[0,1]
	buffer_store_dword v3, off, s[0:3], 0 offset:108
	buffer_store_dword v2, off, s[0:3], 0 offset:104
	s_and_saveexec_b64 s[4:5], vcc
	s_cbranch_execz .LBB109_265
; %bb.264:
	buffer_load_dword v2, off, s[0:3], 0 offset:96
	buffer_load_dword v3, off, s[0:3], 0 offset:100
	v_mov_b32_e32 v4, 0
	buffer_store_dword v4, off, s[0:3], 0 offset:96
	buffer_store_dword v4, off, s[0:3], 0 offset:100
	s_waitcnt vmcnt(2)
	ds_write_b64 v80, v[2:3]
.LBB109_265:
	s_or_b64 exec, exec, s[4:5]
	s_waitcnt lgkmcnt(0)
	; wave barrier
	s_waitcnt lgkmcnt(0)
	buffer_load_dword v5, off, s[0:3], 0 offset:108
	buffer_load_dword v62, off, s[0:3], 0 offset:116
	;; [unrolled: 1-line block ×52, first 2 shown]
	v_mov_b32_e32 v4, 0
	ds_read2_b64 v[6:9], v4 offset0:59 offset1:60
	ds_read2_b64 v[10:13], v4 offset0:61 offset1:62
	ds_read2_b64 v[14:17], v4 offset0:63 offset1:64
	ds_read2_b64 v[18:21], v4 offset0:65 offset1:66
	ds_read2_b64 v[22:25], v4 offset0:67 offset1:68
	ds_read2_b64 v[26:29], v4 offset0:69 offset1:70
	v_cmp_lt_u32_e32 vcc, 11, v0
	s_waitcnt vmcnt(51) lgkmcnt(5)
	v_mul_f32_e32 v30, v6, v5
	s_waitcnt vmcnt(50)
	v_mul_f32_e32 v31, v8, v62
	s_waitcnt vmcnt(49) lgkmcnt(4)
	v_mul_f32_e32 v32, v10, v68
	s_waitcnt vmcnt(48)
	v_mul_f32_e32 v33, v12, v70
	;; [unrolled: 4-line block ×5, first 2 shown]
	s_waitcnt vmcnt(41) lgkmcnt(0)
	v_mul_f32_e32 v40, v26, v182
	s_waitcnt vmcnt(40)
	v_fmac_f32_e32 v30, v7, v183
	s_waitcnt vmcnt(39)
	v_fmac_f32_e32 v31, v9, v184
	v_add_f32_e32 v30, 0, v30
	s_waitcnt vmcnt(38)
	v_fmac_f32_e32 v32, v11, v185
	v_add_f32_e32 v30, v30, v31
	;; [unrolled: 3-line block ×9, first 2 shown]
	v_add_f32_e32 v30, v30, v39
	s_waitcnt vmcnt(30)
	v_fmac_f32_e32 v40, v27, v193
	v_add_f32_e32 v34, v30, v40
	ds_read2_b64 v[30:33], v4 offset0:71 offset1:72
	s_waitcnt vmcnt(29)
	v_mul_f32_e32 v35, v28, v194
	s_waitcnt vmcnt(28)
	v_fmac_f32_e32 v35, v29, v195
	v_add_f32_e32 v38, v34, v35
	ds_read2_b64 v[34:37], v4 offset0:73 offset1:74
	s_waitcnt vmcnt(27) lgkmcnt(1)
	v_mul_f32_e32 v39, v30, v196
	s_waitcnt vmcnt(26)
	v_fmac_f32_e32 v39, v31, v197
	v_add_f32_e32 v38, v38, v39
	s_waitcnt vmcnt(25)
	v_mul_f32_e32 v39, v32, v198
	s_waitcnt vmcnt(24)
	v_fmac_f32_e32 v39, v33, v199
	v_add_f32_e32 v38, v38, v39
	s_waitcnt vmcnt(23) lgkmcnt(0)
	v_mul_f32_e32 v39, v34, v200
	s_waitcnt vmcnt(22)
	v_fmac_f32_e32 v39, v35, v201
	v_add_f32_e32 v42, v38, v39
	ds_read2_b64 v[38:41], v4 offset0:75 offset1:76
	s_waitcnt vmcnt(21)
	v_mul_f32_e32 v43, v36, v202
	s_waitcnt vmcnt(20)
	v_fmac_f32_e32 v43, v37, v203
	v_add_f32_e32 v46, v42, v43
	ds_read2_b64 v[42:45], v4 offset0:77 offset1:78
	s_waitcnt vmcnt(19) lgkmcnt(1)
	v_mul_f32_e32 v47, v38, v204
	s_waitcnt vmcnt(18)
	v_fmac_f32_e32 v47, v39, v205
	v_add_f32_e32 v46, v46, v47
	s_waitcnt vmcnt(17)
	v_mul_f32_e32 v47, v40, v206
	s_waitcnt vmcnt(16)
	v_fmac_f32_e32 v47, v41, v207
	v_add_f32_e32 v46, v46, v47
	s_waitcnt vmcnt(14) lgkmcnt(0)
	v_mul_f32_e32 v47, v42, v209
	v_fmac_f32_e32 v47, v43, v208
	v_add_f32_e32 v50, v46, v47
	ds_read2_b64 v[46:49], v4 offset0:79 offset1:80
	s_waitcnt vmcnt(10)
	v_mul_f32_e32 v51, v44, v211
	v_fmac_f32_e32 v51, v45, v210
	v_add_f32_e32 v54, v50, v51
	ds_read2_b64 v[50:53], v4 offset0:81 offset1:82
	s_waitcnt vmcnt(8) lgkmcnt(1)
	v_mul_f32_e32 v55, v46, v213
	v_fmac_f32_e32 v55, v47, v212
	v_add_f32_e32 v54, v54, v55
	s_waitcnt vmcnt(6)
	v_mul_f32_e32 v55, v48, v215
	v_fmac_f32_e32 v55, v49, v214
	v_add_f32_e32 v54, v54, v55
	s_waitcnt vmcnt(4) lgkmcnt(0)
	v_mul_f32_e32 v55, v50, v217
	v_fmac_f32_e32 v55, v51, v216
	v_add_f32_e32 v63, v54, v55
	ds_read2_b64 v[54:57], v4 offset0:83 offset1:84
	buffer_load_dword v65, off, s[0:3], 0 offset:316
	buffer_load_dword v64, off, s[0:3], 0 offset:312
	;; [unrolled: 1-line block ×4, first 2 shown]
	ds_read2_b64 v[58:61], v4 offset0:85 offset1:86
	buffer_load_dword v73, off, s[0:3], 0 offset:348
	buffer_load_dword v72, off, s[0:3], 0 offset:344
	buffer_load_dword v75, off, s[0:3], 0 offset:340
	buffer_load_dword v74, off, s[0:3], 0 offset:336
	buffer_load_dword v169, off, s[0:3], 0 offset:332
	buffer_load_dword v168, off, s[0:3], 0 offset:328
	buffer_load_dword v171, off, s[0:3], 0 offset:324
	buffer_load_dword v170, off, s[0:3], 0 offset:320
	buffer_load_dword v173, off, s[0:3], 0 offset:364
	buffer_load_dword v172, off, s[0:3], 0 offset:360
	buffer_load_dword v175, off, s[0:3], 0 offset:356
	buffer_load_dword v174, off, s[0:3], 0 offset:352
	v_mul_f32_e32 v5, v7, v5
	v_fma_f32 v5, v6, v183, -v5
	v_mul_f32_e32 v6, v9, v62
	v_add_f32_e32 v5, 0, v5
	v_fma_f32 v6, v8, v184, -v6
	v_add_f32_e32 v5, v5, v6
	v_mul_f32_e32 v6, v11, v68
	v_fma_f32 v6, v10, v185, -v6
	v_add_f32_e32 v5, v5, v6
	v_mul_f32_e32 v6, v13, v70
	;; [unrolled: 3-line block ×21, first 2 shown]
	v_fma_f32 v6, v50, v216, -v6
	s_waitcnt vmcnt(18)
	v_mul_f32_e32 v69, v52, v219
	v_add_f32_e32 v62, v5, v6
	v_mul_f32_e32 v5, v53, v219
	v_fmac_f32_e32 v69, v53, v218
	s_waitcnt vmcnt(16) lgkmcnt(1)
	v_mul_f32_e32 v71, v54, v221
	v_fma_f32 v68, v52, v218, -v5
	v_mul_f32_e32 v5, v55, v221
	v_fmac_f32_e32 v71, v55, v220
	s_waitcnt vmcnt(13)
	v_mov_b32_e32 v18, v67
	v_pk_mul_f32 v[18:19], v[56:57], v[18:19] op_sel_hi:[1,0]
	s_waitcnt vmcnt(12)
	v_pk_fma_f32 v[20:21], v[56:57], v[66:67], v[18:19] op_sel:[0,0,1] op_sel_hi:[1,1,0] neg_lo:[0,0,1] neg_hi:[0,0,1]
	v_pk_fma_f32 v[18:19], v[56:57], v[66:67], v[18:19] op_sel:[0,0,1] op_sel_hi:[1,0,0]
	v_fma_f32 v70, v54, v220, -v5
	v_pk_add_f32 v[16:17], v[62:63], v[68:69]
	v_mov_b32_e32 v18, v65
	v_pk_add_f32 v[16:17], v[16:17], v[70:71]
	v_mov_b32_e32 v21, v19
	s_waitcnt lgkmcnt(0)
	v_pk_mul_f32 v[18:19], v[58:59], v[18:19] op_sel_hi:[1,0]
	v_pk_add_f32 v[16:17], v[16:17], v[20:21]
	v_pk_fma_f32 v[20:21], v[58:59], v[64:65], v[18:19] op_sel:[0,0,1] op_sel_hi:[1,1,0] neg_lo:[0,0,1] neg_hi:[0,0,1]
	v_pk_fma_f32 v[18:19], v[58:59], v[64:65], v[18:19] op_sel:[0,0,1] op_sel_hi:[1,0,0]
	s_waitcnt vmcnt(5)
	v_mov_b32_e32 v18, v171
	ds_read2_b64 v[6:9], v4 offset0:87 offset1:88
	ds_read2_b64 v[10:13], v4 offset0:89 offset1:90
	ds_read_b64 v[14:15], v4 offset:728
	v_mov_b32_e32 v21, v19
	v_pk_mul_f32 v[18:19], v[60:61], v[18:19] op_sel_hi:[1,0]
	v_pk_add_f32 v[16:17], v[16:17], v[20:21]
	s_waitcnt vmcnt(4)
	v_pk_fma_f32 v[20:21], v[60:61], v[170:171], v[18:19] op_sel:[0,0,1] op_sel_hi:[1,1,0] neg_lo:[0,0,1] neg_hi:[0,0,1]
	v_pk_fma_f32 v[18:19], v[60:61], v[170:171], v[18:19] op_sel:[0,0,1] op_sel_hi:[1,0,0]
	v_mov_b32_e32 v18, v169
	v_mov_b32_e32 v21, v19
	s_waitcnt lgkmcnt(2)
	v_pk_mul_f32 v[18:19], v[6:7], v[18:19] op_sel_hi:[1,0]
	v_pk_add_f32 v[16:17], v[16:17], v[20:21]
	v_pk_fma_f32 v[20:21], v[6:7], v[168:169], v[18:19] op_sel:[0,0,1] op_sel_hi:[1,1,0] neg_lo:[0,0,1] neg_hi:[0,0,1]
	v_pk_fma_f32 v[6:7], v[6:7], v[168:169], v[18:19] op_sel:[0,0,1] op_sel_hi:[1,0,0]
	v_mov_b32_e32 v21, v7
	v_pk_add_f32 v[6:7], v[16:17], v[20:21]
	v_mov_b32_e32 v16, v75
	v_pk_mul_f32 v[16:17], v[8:9], v[16:17] op_sel_hi:[1,0]
	v_pk_fma_f32 v[18:19], v[8:9], v[74:75], v[16:17] op_sel:[0,0,1] op_sel_hi:[1,1,0] neg_lo:[0,0,1] neg_hi:[0,0,1]
	v_pk_fma_f32 v[8:9], v[8:9], v[74:75], v[16:17] op_sel:[0,0,1] op_sel_hi:[1,0,0]
	v_mov_b32_e32 v8, v73
	v_mov_b32_e32 v19, v9
	s_waitcnt lgkmcnt(1)
	v_pk_mul_f32 v[8:9], v[10:11], v[8:9] op_sel_hi:[1,0]
	v_pk_fma_f32 v[16:17], v[10:11], v[72:73], v[8:9] op_sel:[0,0,1] op_sel_hi:[1,1,0] neg_lo:[0,0,1] neg_hi:[0,0,1]
	v_pk_fma_f32 v[8:9], v[10:11], v[72:73], v[8:9] op_sel:[0,0,1] op_sel_hi:[1,0,0]
	s_waitcnt vmcnt(1)
	v_mov_b32_e32 v8, v175
	v_mov_b32_e32 v17, v9
	v_pk_mul_f32 v[8:9], v[12:13], v[8:9] op_sel_hi:[1,0]
	s_waitcnt vmcnt(0)
	v_pk_fma_f32 v[10:11], v[12:13], v[174:175], v[8:9] op_sel:[0,0,1] op_sel_hi:[1,1,0] neg_lo:[0,0,1] neg_hi:[0,0,1]
	v_pk_fma_f32 v[8:9], v[12:13], v[174:175], v[8:9] op_sel:[0,0,1] op_sel_hi:[1,0,0]
	v_pk_add_f32 v[6:7], v[6:7], v[18:19]
	v_mov_b32_e32 v8, v173
	v_pk_add_f32 v[6:7], v[6:7], v[16:17]
	v_mov_b32_e32 v11, v9
	s_waitcnt lgkmcnt(0)
	v_pk_mul_f32 v[8:9], v[14:15], v[8:9] op_sel_hi:[1,0]
	v_pk_add_f32 v[6:7], v[6:7], v[10:11]
	v_pk_fma_f32 v[10:11], v[14:15], v[172:173], v[8:9] op_sel:[0,0,1] op_sel_hi:[1,1,0] neg_lo:[0,0,1] neg_hi:[0,0,1]
	v_pk_fma_f32 v[8:9], v[14:15], v[172:173], v[8:9] op_sel:[0,0,1] op_sel_hi:[1,0,0]
	v_mov_b32_e32 v11, v9
	v_pk_add_f32 v[6:7], v[6:7], v[10:11]
	v_pk_add_f32 v[2:3], v[2:3], v[6:7] neg_lo:[0,1] neg_hi:[0,1]
	buffer_store_dword v3, off, s[0:3], 0 offset:100
	buffer_store_dword v2, off, s[0:3], 0 offset:96
	s_and_saveexec_b64 s[4:5], vcc
	s_cbranch_execz .LBB109_267
; %bb.266:
	buffer_load_dword v2, off, s[0:3], 0 offset:88
	buffer_load_dword v3, off, s[0:3], 0 offset:92
	s_waitcnt vmcnt(0)
	ds_write_b64 v80, v[2:3]
	buffer_store_dword v4, off, s[0:3], 0 offset:88
	buffer_store_dword v4, off, s[0:3], 0 offset:92
.LBB109_267:
	s_or_b64 exec, exec, s[4:5]
	s_waitcnt lgkmcnt(0)
	; wave barrier
	s_waitcnt lgkmcnt(0)
	buffer_load_dword v5, off, s[0:3], 0 offset:100
	buffer_load_dword v64, off, s[0:3], 0 offset:108
	;; [unrolled: 1-line block ×42, first 2 shown]
	ds_read_b128 v[6:9], v4 offset:464
	ds_read_b128 v[10:13], v4 offset:480
	buffer_load_dword v212, off, s[0:3], 0 offset:256
	buffer_load_dword v213, off, s[0:3], 0 offset:260
	ds_read_b128 v[14:17], v4 offset:496
	ds_read_b128 v[18:21], v4 offset:512
	buffer_load_dword v214, off, s[0:3], 0 offset:264
	buffer_load_dword v215, off, s[0:3], 0 offset:268
	;; [unrolled: 1-line block ×4, first 2 shown]
	ds_read_b128 v[22:25], v4 offset:528
	ds_read_b128 v[26:29], v4 offset:544
	buffer_load_dword v218, off, s[0:3], 0 offset:280
	buffer_load_dword v219, off, s[0:3], 0 offset:284
	;; [unrolled: 1-line block ×6, first 2 shown]
	v_cmp_lt_u32_e32 vcc, 10, v0
	s_waitcnt vmcnt(53) lgkmcnt(5)
	v_mul_f32_e32 v30, v6, v5
	s_waitcnt vmcnt(52)
	v_mul_f32_e32 v31, v8, v64
	s_waitcnt vmcnt(51) lgkmcnt(4)
	v_mul_f32_e32 v32, v10, v66
	s_waitcnt vmcnt(50)
	v_mul_f32_e32 v33, v12, v68
	;; [unrolled: 4-line block ×5, first 2 shown]
	s_waitcnt vmcnt(43)
	v_fmac_f32_e32 v30, v7, v182
	s_waitcnt vmcnt(42)
	v_fmac_f32_e32 v31, v9, v183
	v_add_f32_e32 v30, 0, v30
	s_waitcnt vmcnt(41)
	v_fmac_f32_e32 v32, v11, v184
	v_add_f32_e32 v30, v30, v31
	;; [unrolled: 3-line block ×9, first 2 shown]
	s_waitcnt vmcnt(33) lgkmcnt(0)
	v_mul_f32_e32 v31, v26, v192
	v_add_f32_e32 v30, v30, v39
	s_waitcnt vmcnt(32)
	v_fmac_f32_e32 v31, v27, v193
	v_add_f32_e32 v34, v30, v31
	ds_read_b128 v[30:33], v4 offset:560
	s_waitcnt vmcnt(31)
	v_mul_f32_e32 v35, v28, v194
	s_waitcnt vmcnt(30)
	v_fmac_f32_e32 v35, v29, v195
	v_add_f32_e32 v38, v34, v35
	ds_read_b128 v[34:37], v4 offset:576
	s_waitcnt vmcnt(29) lgkmcnt(1)
	v_mul_f32_e32 v39, v30, v196
	s_waitcnt vmcnt(28)
	v_fmac_f32_e32 v39, v31, v197
	v_add_f32_e32 v38, v38, v39
	s_waitcnt vmcnt(27)
	v_mul_f32_e32 v39, v32, v198
	s_waitcnt vmcnt(26)
	v_fmac_f32_e32 v39, v33, v199
	v_add_f32_e32 v38, v38, v39
	s_waitcnt vmcnt(25) lgkmcnt(0)
	v_mul_f32_e32 v39, v34, v200
	s_waitcnt vmcnt(24)
	v_fmac_f32_e32 v39, v35, v201
	v_add_f32_e32 v42, v38, v39
	ds_read_b128 v[38:41], v4 offset:592
	s_waitcnt vmcnt(23)
	v_mul_f32_e32 v43, v36, v202
	s_waitcnt vmcnt(22)
	v_fmac_f32_e32 v43, v37, v203
	v_add_f32_e32 v46, v42, v43
	ds_read_b128 v[42:45], v4 offset:608
	s_waitcnt vmcnt(21) lgkmcnt(1)
	v_mul_f32_e32 v47, v38, v204
	s_waitcnt vmcnt(20)
	v_fmac_f32_e32 v47, v39, v205
	v_add_f32_e32 v46, v46, v47
	s_waitcnt vmcnt(18)
	v_mul_f32_e32 v47, v40, v207
	v_fmac_f32_e32 v47, v41, v206
	v_add_f32_e32 v46, v46, v47
	s_waitcnt vmcnt(15) lgkmcnt(0)
	v_mul_f32_e32 v47, v42, v208
	s_waitcnt vmcnt(14)
	v_fmac_f32_e32 v47, v43, v209
	v_add_f32_e32 v50, v46, v47
	ds_read_b128 v[46:49], v4 offset:624
	s_waitcnt vmcnt(12)
	v_mul_f32_e32 v51, v44, v211
	v_fmac_f32_e32 v51, v45, v210
	v_add_f32_e32 v54, v50, v51
	ds_read_b128 v[50:53], v4 offset:640
	buffer_load_dword v63, off, s[0:3], 0 offset:308
	buffer_load_dword v62, off, s[0:3], 0 offset:304
	s_waitcnt vmcnt(12) lgkmcnt(1)
	v_mul_f32_e32 v55, v46, v213
	v_fmac_f32_e32 v55, v47, v212
	v_add_f32_e32 v54, v54, v55
	s_waitcnt vmcnt(10)
	v_mul_f32_e32 v55, v48, v215
	v_fmac_f32_e32 v55, v49, v214
	v_add_f32_e32 v54, v54, v55
	s_waitcnt vmcnt(8) lgkmcnt(0)
	v_mul_f32_e32 v55, v50, v217
	v_fmac_f32_e32 v55, v51, v216
	s_waitcnt vmcnt(6)
	v_mul_f32_e32 v59, v52, v219
	v_add_f32_e32 v58, v54, v55
	v_fmac_f32_e32 v59, v53, v218
	ds_read_b128 v[54:57], v4 offset:656
	v_add_f32_e32 v65, v58, v59
	ds_read_b128 v[58:61], v4 offset:672
	buffer_load_dword v71, off, s[0:3], 0 offset:340
	buffer_load_dword v70, off, s[0:3], 0 offset:336
	;; [unrolled: 1-line block ×14, first 2 shown]
	v_mul_f32_e32 v5, v7, v5
	v_fma_f32 v5, v6, v182, -v5
	v_mul_f32_e32 v6, v9, v64
	v_add_f32_e32 v5, 0, v5
	v_fma_f32 v6, v8, v183, -v6
	v_add_f32_e32 v5, v5, v6
	v_mul_f32_e32 v6, v11, v66
	v_fma_f32 v6, v10, v184, -v6
	v_add_f32_e32 v5, v5, v6
	v_mul_f32_e32 v6, v13, v68
	v_fma_f32 v6, v12, v185, -v6
	v_add_f32_e32 v5, v5, v6
	v_mul_f32_e32 v6, v15, v176
	v_fma_f32 v6, v14, v186, -v6
	v_add_f32_e32 v5, v5, v6
	v_mul_f32_e32 v6, v17, v177
	v_fma_f32 v6, v16, v187, -v6
	v_add_f32_e32 v5, v5, v6
	v_mul_f32_e32 v6, v19, v178
	v_fma_f32 v6, v18, v188, -v6
	v_add_f32_e32 v5, v5, v6
	v_mul_f32_e32 v6, v21, v179
	v_fma_f32 v6, v20, v189, -v6
	v_add_f32_e32 v5, v5, v6
	v_mul_f32_e32 v6, v23, v180
	v_fma_f32 v6, v22, v190, -v6
	v_add_f32_e32 v5, v5, v6
	v_mul_f32_e32 v6, v25, v181
	v_fma_f32 v6, v24, v191, -v6
	v_add_f32_e32 v5, v5, v6
	v_mul_f32_e32 v6, v27, v192
	v_fma_f32 v6, v26, v193, -v6
	v_add_f32_e32 v5, v5, v6
	v_mul_f32_e32 v6, v29, v194
	v_fma_f32 v6, v28, v195, -v6
	v_add_f32_e32 v5, v5, v6
	v_mul_f32_e32 v6, v31, v196
	v_fma_f32 v6, v30, v197, -v6
	v_add_f32_e32 v5, v5, v6
	v_mul_f32_e32 v6, v33, v198
	v_fma_f32 v6, v32, v199, -v6
	v_add_f32_e32 v5, v5, v6
	v_mul_f32_e32 v6, v35, v200
	v_fma_f32 v6, v34, v201, -v6
	v_add_f32_e32 v5, v5, v6
	v_mul_f32_e32 v6, v37, v202
	v_fma_f32 v6, v36, v203, -v6
	v_add_f32_e32 v5, v5, v6
	v_mul_f32_e32 v6, v39, v204
	v_fma_f32 v6, v38, v205, -v6
	v_add_f32_e32 v5, v5, v6
	v_mul_f32_e32 v6, v41, v207
	v_fma_f32 v6, v40, v206, -v6
	v_add_f32_e32 v5, v5, v6
	v_mul_f32_e32 v6, v43, v208
	v_fma_f32 v6, v42, v209, -v6
	v_add_f32_e32 v5, v5, v6
	v_mul_f32_e32 v6, v45, v211
	v_fma_f32 v6, v44, v210, -v6
	v_add_f32_e32 v5, v5, v6
	v_mul_f32_e32 v6, v47, v213
	v_fma_f32 v6, v46, v212, -v6
	v_add_f32_e32 v5, v5, v6
	v_mul_f32_e32 v6, v49, v215
	v_fma_f32 v6, v48, v214, -v6
	v_add_f32_e32 v5, v5, v6
	v_mul_f32_e32 v6, v51, v217
	v_fma_f32 v6, v50, v216, -v6
	v_add_f32_e32 v5, v5, v6
	v_mul_f32_e32 v6, v53, v219
	v_fma_f32 v6, v52, v218, -v6
	s_waitcnt vmcnt(15)
	v_mov_b32_e32 v18, v63
	s_waitcnt lgkmcnt(1)
	v_mul_f32_e32 v67, v54, v221
	v_add_f32_e32 v64, v5, v6
	v_mul_f32_e32 v5, v55, v221
	s_waitcnt lgkmcnt(0)
	v_pk_mul_f32 v[18:19], v[58:59], v[18:19] op_sel_hi:[1,0]
	v_fmac_f32_e32 v67, v55, v220
	v_mul_f32_e32 v69, v56, v223
	v_fma_f32 v66, v54, v220, -v5
	v_mul_f32_e32 v5, v57, v223
	s_waitcnt vmcnt(14)
	v_pk_fma_f32 v[20:21], v[58:59], v[62:63], v[18:19] op_sel:[0,0,1] op_sel_hi:[1,1,0] neg_lo:[0,0,1] neg_hi:[0,0,1]
	v_pk_fma_f32 v[18:19], v[58:59], v[62:63], v[18:19] op_sel:[0,0,1] op_sel_hi:[1,0,0]
	v_fmac_f32_e32 v69, v57, v222
	v_fma_f32 v68, v56, v222, -v5
	ds_read_b128 v[6:9], v4 offset:688
	ds_read_b128 v[10:13], v4 offset:704
	;; [unrolled: 1-line block ×3, first 2 shown]
	v_pk_add_f32 v[4:5], v[64:65], v[66:67]
	s_waitcnt vmcnt(7)
	v_mov_b32_e32 v18, v169
	v_pk_add_f32 v[4:5], v[4:5], v[68:69]
	v_mov_b32_e32 v21, v19
	v_pk_mul_f32 v[18:19], v[60:61], v[18:19] op_sel_hi:[1,0]
	v_pk_add_f32 v[4:5], v[4:5], v[20:21]
	s_waitcnt vmcnt(6)
	v_pk_fma_f32 v[20:21], v[60:61], v[168:169], v[18:19] op_sel:[0,0,1] op_sel_hi:[1,1,0] neg_lo:[0,0,1] neg_hi:[0,0,1]
	v_pk_fma_f32 v[18:19], v[60:61], v[168:169], v[18:19] op_sel:[0,0,1] op_sel_hi:[1,0,0]
	v_mov_b32_e32 v18, v75
	v_mov_b32_e32 v21, v19
	s_waitcnt lgkmcnt(2)
	v_pk_mul_f32 v[18:19], v[6:7], v[18:19] op_sel_hi:[1,0]
	v_pk_add_f32 v[4:5], v[4:5], v[20:21]
	v_pk_fma_f32 v[20:21], v[6:7], v[74:75], v[18:19] op_sel:[0,0,1] op_sel_hi:[1,1,0] neg_lo:[0,0,1] neg_hi:[0,0,1]
	v_pk_fma_f32 v[6:7], v[6:7], v[74:75], v[18:19] op_sel:[0,0,1] op_sel_hi:[1,0,0]
	v_mov_b32_e32 v6, v73
	v_mov_b32_e32 v21, v7
	v_pk_mul_f32 v[6:7], v[8:9], v[6:7] op_sel_hi:[1,0]
	v_pk_fma_f32 v[18:19], v[8:9], v[72:73], v[6:7] op_sel:[0,0,1] op_sel_hi:[1,1,0] neg_lo:[0,0,1] neg_hi:[0,0,1]
	v_pk_fma_f32 v[6:7], v[8:9], v[72:73], v[6:7] op_sel:[0,0,1] op_sel_hi:[1,0,0]
	v_mov_b32_e32 v6, v71
	v_mov_b32_e32 v19, v7
	s_waitcnt lgkmcnt(1)
	v_pk_mul_f32 v[6:7], v[10:11], v[6:7] op_sel_hi:[1,0]
	v_pk_fma_f32 v[8:9], v[10:11], v[70:71], v[6:7] op_sel:[0,0,1] op_sel_hi:[1,1,0] neg_lo:[0,0,1] neg_hi:[0,0,1]
	v_pk_fma_f32 v[6:7], v[10:11], v[70:71], v[6:7] op_sel:[0,0,1] op_sel_hi:[1,0,0]
	v_pk_add_f32 v[4:5], v[4:5], v[20:21]
	s_waitcnt vmcnt(1)
	v_mov_b32_e32 v6, v175
	v_pk_add_f32 v[4:5], v[4:5], v[18:19]
	v_mov_b32_e32 v9, v7
	v_pk_mul_f32 v[6:7], v[12:13], v[6:7] op_sel_hi:[1,0]
	v_pk_add_f32 v[4:5], v[4:5], v[8:9]
	s_waitcnt vmcnt(0)
	v_pk_fma_f32 v[8:9], v[12:13], v[174:175], v[6:7] op_sel:[0,0,1] op_sel_hi:[1,1,0] neg_lo:[0,0,1] neg_hi:[0,0,1]
	v_pk_fma_f32 v[6:7], v[12:13], v[174:175], v[6:7] op_sel:[0,0,1] op_sel_hi:[1,0,0]
	v_mov_b32_e32 v6, v173
	v_mov_b32_e32 v9, v7
	s_waitcnt lgkmcnt(0)
	v_pk_mul_f32 v[6:7], v[14:15], v[6:7] op_sel_hi:[1,0]
	v_pk_add_f32 v[4:5], v[4:5], v[8:9]
	v_pk_fma_f32 v[8:9], v[14:15], v[172:173], v[6:7] op_sel:[0,0,1] op_sel_hi:[1,1,0] neg_lo:[0,0,1] neg_hi:[0,0,1]
	v_pk_fma_f32 v[6:7], v[14:15], v[172:173], v[6:7] op_sel:[0,0,1] op_sel_hi:[1,0,0]
	v_mov_b32_e32 v6, v171
	v_mov_b32_e32 v9, v7
	v_pk_mul_f32 v[6:7], v[16:17], v[6:7] op_sel_hi:[1,0]
	v_pk_add_f32 v[4:5], v[4:5], v[8:9]
	v_pk_fma_f32 v[8:9], v[16:17], v[170:171], v[6:7] op_sel:[0,0,1] op_sel_hi:[1,1,0] neg_lo:[0,0,1] neg_hi:[0,0,1]
	v_pk_fma_f32 v[6:7], v[16:17], v[170:171], v[6:7] op_sel:[0,0,1] op_sel_hi:[1,0,0]
	v_mov_b32_e32 v9, v7
	v_pk_add_f32 v[4:5], v[4:5], v[8:9]
	v_pk_add_f32 v[2:3], v[2:3], v[4:5] neg_lo:[0,1] neg_hi:[0,1]
	buffer_store_dword v3, off, s[0:3], 0 offset:92
	buffer_store_dword v2, off, s[0:3], 0 offset:88
	s_and_saveexec_b64 s[4:5], vcc
	s_cbranch_execz .LBB109_269
; %bb.268:
	buffer_load_dword v2, off, s[0:3], 0 offset:80
	buffer_load_dword v3, off, s[0:3], 0 offset:84
	v_mov_b32_e32 v4, 0
	buffer_store_dword v4, off, s[0:3], 0 offset:80
	buffer_store_dword v4, off, s[0:3], 0 offset:84
	s_waitcnt vmcnt(2)
	ds_write_b64 v80, v[2:3]
.LBB109_269:
	s_or_b64 exec, exec, s[4:5]
	s_waitcnt lgkmcnt(0)
	; wave barrier
	s_waitcnt lgkmcnt(0)
	buffer_load_dword v5, off, s[0:3], 0 offset:92
	buffer_load_dword v62, off, s[0:3], 0 offset:100
	;; [unrolled: 1-line block ×56, first 2 shown]
	v_mov_b32_e32 v4, 0
	ds_read2_b64 v[6:9], v4 offset0:57 offset1:58
	ds_read2_b64 v[10:13], v4 offset0:59 offset1:60
	;; [unrolled: 1-line block ×6, first 2 shown]
	v_cmp_lt_u32_e32 vcc, 9, v0
	s_waitcnt vmcnt(55) lgkmcnt(5)
	v_mul_f32_e32 v30, v6, v5
	s_waitcnt vmcnt(54)
	v_mul_f32_e32 v31, v8, v62
	s_waitcnt vmcnt(53) lgkmcnt(4)
	v_mul_f32_e32 v32, v10, v64
	s_waitcnt vmcnt(52)
	v_mul_f32_e32 v33, v12, v66
	;; [unrolled: 4-line block ×4, first 2 shown]
	s_waitcnt vmcnt(47) lgkmcnt(1)
	v_mul_f32_e32 v38, v22, v180
	s_waitcnt vmcnt(46)
	v_fmac_f32_e32 v30, v7, v181
	s_waitcnt vmcnt(45)
	v_fmac_f32_e32 v31, v9, v182
	v_add_f32_e32 v30, 0, v30
	s_waitcnt vmcnt(44)
	v_fmac_f32_e32 v32, v11, v183
	v_add_f32_e32 v30, v30, v31
	;; [unrolled: 3-line block ×7, first 2 shown]
	v_add_f32_e32 v30, v30, v37
	s_waitcnt vmcnt(38)
	v_fmac_f32_e32 v38, v23, v189
	s_waitcnt vmcnt(37)
	v_mul_f32_e32 v31, v24, v190
	v_add_f32_e32 v30, v30, v38
	s_waitcnt vmcnt(36)
	v_fmac_f32_e32 v31, v25, v191
	v_add_f32_e32 v30, v30, v31
	s_waitcnt vmcnt(35) lgkmcnt(0)
	v_mul_f32_e32 v31, v26, v192
	s_waitcnt vmcnt(34)
	v_fmac_f32_e32 v31, v27, v193
	v_add_f32_e32 v34, v30, v31
	ds_read2_b64 v[30:33], v4 offset0:69 offset1:70
	s_waitcnt vmcnt(33)
	v_mul_f32_e32 v35, v28, v194
	s_waitcnt vmcnt(32)
	v_fmac_f32_e32 v35, v29, v195
	v_add_f32_e32 v38, v34, v35
	ds_read2_b64 v[34:37], v4 offset0:71 offset1:72
	s_waitcnt vmcnt(31) lgkmcnt(1)
	v_mul_f32_e32 v39, v30, v196
	s_waitcnt vmcnt(30)
	v_fmac_f32_e32 v39, v31, v197
	v_add_f32_e32 v38, v38, v39
	s_waitcnt vmcnt(29)
	v_mul_f32_e32 v39, v32, v198
	s_waitcnt vmcnt(28)
	v_fmac_f32_e32 v39, v33, v199
	v_add_f32_e32 v38, v38, v39
	s_waitcnt vmcnt(27) lgkmcnt(0)
	v_mul_f32_e32 v39, v34, v200
	s_waitcnt vmcnt(26)
	v_fmac_f32_e32 v39, v35, v201
	v_add_f32_e32 v42, v38, v39
	ds_read2_b64 v[38:41], v4 offset0:73 offset1:74
	s_waitcnt vmcnt(24)
	v_mul_f32_e32 v43, v36, v203
	v_fmac_f32_e32 v43, v37, v202
	v_add_f32_e32 v46, v42, v43
	ds_read2_b64 v[42:45], v4 offset0:75 offset1:76
	s_waitcnt vmcnt(20) lgkmcnt(1)
	v_mul_f32_e32 v47, v38, v205
	v_fmac_f32_e32 v47, v39, v204
	v_add_f32_e32 v46, v46, v47
	s_waitcnt vmcnt(18)
	v_mul_f32_e32 v47, v40, v207
	v_fmac_f32_e32 v47, v41, v206
	v_add_f32_e32 v46, v46, v47
	s_waitcnt vmcnt(16) lgkmcnt(0)
	v_mul_f32_e32 v47, v42, v209
	v_fmac_f32_e32 v47, v43, v208
	v_add_f32_e32 v50, v46, v47
	ds_read2_b64 v[46:49], v4 offset0:77 offset1:78
	s_waitcnt vmcnt(14)
	v_mul_f32_e32 v51, v44, v211
	v_fmac_f32_e32 v51, v45, v210
	v_add_f32_e32 v54, v50, v51
	ds_read2_b64 v[50:53], v4 offset0:79 offset1:80
	s_waitcnt vmcnt(12) lgkmcnt(1)
	v_mul_f32_e32 v55, v46, v213
	v_fmac_f32_e32 v55, v47, v212
	v_add_f32_e32 v54, v54, v55
	s_waitcnt vmcnt(10)
	v_mul_f32_e32 v55, v48, v215
	v_fmac_f32_e32 v55, v49, v214
	v_add_f32_e32 v54, v54, v55
	s_waitcnt vmcnt(8) lgkmcnt(0)
	v_mul_f32_e32 v55, v50, v217
	v_fmac_f32_e32 v55, v51, v216
	s_waitcnt vmcnt(6)
	v_mul_f32_e32 v59, v52, v219
	v_add_f32_e32 v58, v54, v55
	v_fmac_f32_e32 v59, v53, v218
	ds_read2_b64 v[54:57], v4 offset0:81 offset1:82
	v_add_f32_e32 v63, v58, v59
	ds_read2_b64 v[58:61], v4 offset0:83 offset1:84
	buffer_load_dword v69, off, s[0:3], 0 offset:332
	buffer_load_dword v68, off, s[0:3], 0 offset:328
	;; [unrolled: 1-line block ×16, first 2 shown]
	v_mul_f32_e32 v5, v7, v5
	v_fma_f32 v5, v6, v181, -v5
	v_mul_f32_e32 v6, v9, v62
	v_add_f32_e32 v5, 0, v5
	v_fma_f32 v6, v8, v182, -v6
	v_add_f32_e32 v5, v5, v6
	v_mul_f32_e32 v6, v11, v64
	v_fma_f32 v6, v10, v183, -v6
	v_add_f32_e32 v5, v5, v6
	v_mul_f32_e32 v6, v13, v66
	;; [unrolled: 3-line block ×22, first 2 shown]
	v_fma_f32 v6, v52, v218, -v6
	s_waitcnt vmcnt(20) lgkmcnt(1)
	v_mul_f32_e32 v65, v54, v221
	v_add_f32_e32 v5, v5, v6
	v_mul_f32_e32 v6, v55, v221
	v_fmac_f32_e32 v65, v55, v220
	v_fma_f32 v6, v54, v220, -v6
	s_waitcnt vmcnt(9)
	v_mov_b32_e32 v22, v75
	v_add_f32_e32 v63, v63, v65
	v_mul_f32_e32 v65, v56, v223
	v_add_f32_e32 v62, v5, v6
	v_mul_f32_e32 v5, v57, v223
	s_waitcnt lgkmcnt(0)
	v_pk_mul_f32 v[22:23], v[60:61], v[22:23] op_sel_hi:[1,0]
	v_fmac_f32_e32 v65, v57, v222
	v_mul_f32_e32 v67, v58, v225
	v_fma_f32 v64, v56, v222, -v5
	v_mul_f32_e32 v5, v59, v225
	ds_read2_b64 v[6:9], v4 offset0:85 offset1:86
	ds_read2_b64 v[10:13], v4 offset0:87 offset1:88
	;; [unrolled: 1-line block ×3, first 2 shown]
	ds_read_b64 v[18:19], v4 offset:728
	s_waitcnt vmcnt(8)
	v_pk_fma_f32 v[24:25], v[60:61], v[74:75], v[22:23] op_sel:[0,0,1] op_sel_hi:[1,1,0] neg_lo:[0,0,1] neg_hi:[0,0,1]
	v_pk_fma_f32 v[22:23], v[60:61], v[74:75], v[22:23] op_sel:[0,0,1] op_sel_hi:[1,0,0]
	v_fmac_f32_e32 v67, v59, v224
	v_fma_f32 v66, v58, v224, -v5
	v_pk_add_f32 v[20:21], v[62:63], v[64:65]
	v_mov_b32_e32 v22, v73
	v_pk_add_f32 v[20:21], v[20:21], v[66:67]
	v_mov_b32_e32 v25, v23
	s_waitcnt lgkmcnt(3)
	v_pk_mul_f32 v[22:23], v[6:7], v[22:23] op_sel_hi:[1,0]
	v_pk_add_f32 v[20:21], v[20:21], v[24:25]
	v_pk_fma_f32 v[24:25], v[6:7], v[72:73], v[22:23] op_sel:[0,0,1] op_sel_hi:[1,1,0] neg_lo:[0,0,1] neg_hi:[0,0,1]
	v_pk_fma_f32 v[6:7], v[6:7], v[72:73], v[22:23] op_sel:[0,0,1] op_sel_hi:[1,0,0]
	v_mov_b32_e32 v25, v7
	v_pk_add_f32 v[6:7], v[20:21], v[24:25]
	v_mov_b32_e32 v20, v71
	v_pk_mul_f32 v[20:21], v[8:9], v[20:21] op_sel_hi:[1,0]
	v_pk_fma_f32 v[22:23], v[8:9], v[70:71], v[20:21] op_sel:[0,0,1] op_sel_hi:[1,1,0] neg_lo:[0,0,1] neg_hi:[0,0,1]
	v_pk_fma_f32 v[8:9], v[8:9], v[70:71], v[20:21] op_sel:[0,0,1] op_sel_hi:[1,0,0]
	v_mov_b32_e32 v8, v69
	v_mov_b32_e32 v23, v9
	s_waitcnt lgkmcnt(2)
	v_pk_mul_f32 v[8:9], v[10:11], v[8:9] op_sel_hi:[1,0]
	v_pk_fma_f32 v[20:21], v[10:11], v[68:69], v[8:9] op_sel:[0,0,1] op_sel_hi:[1,1,0] neg_lo:[0,0,1] neg_hi:[0,0,1]
	v_pk_fma_f32 v[8:9], v[10:11], v[68:69], v[8:9] op_sel:[0,0,1] op_sel_hi:[1,0,0]
	s_waitcnt vmcnt(1)
	v_mov_b32_e32 v8, v175
	v_mov_b32_e32 v21, v9
	v_pk_mul_f32 v[8:9], v[12:13], v[8:9] op_sel_hi:[1,0]
	s_waitcnt vmcnt(0)
	v_pk_fma_f32 v[10:11], v[12:13], v[174:175], v[8:9] op_sel:[0,0,1] op_sel_hi:[1,1,0] neg_lo:[0,0,1] neg_hi:[0,0,1]
	v_pk_fma_f32 v[8:9], v[12:13], v[174:175], v[8:9] op_sel:[0,0,1] op_sel_hi:[1,0,0]
	v_pk_add_f32 v[6:7], v[6:7], v[22:23]
	v_mov_b32_e32 v8, v173
	v_pk_add_f32 v[6:7], v[6:7], v[20:21]
	v_mov_b32_e32 v11, v9
	s_waitcnt lgkmcnt(1)
	v_pk_mul_f32 v[8:9], v[14:15], v[8:9] op_sel_hi:[1,0]
	v_pk_add_f32 v[6:7], v[6:7], v[10:11]
	v_pk_fma_f32 v[10:11], v[14:15], v[172:173], v[8:9] op_sel:[0,0,1] op_sel_hi:[1,1,0] neg_lo:[0,0,1] neg_hi:[0,0,1]
	v_pk_fma_f32 v[8:9], v[14:15], v[172:173], v[8:9] op_sel:[0,0,1] op_sel_hi:[1,0,0]
	v_mov_b32_e32 v8, v171
	v_mov_b32_e32 v11, v9
	v_pk_mul_f32 v[8:9], v[16:17], v[8:9] op_sel_hi:[1,0]
	v_pk_add_f32 v[6:7], v[6:7], v[10:11]
	v_pk_fma_f32 v[10:11], v[16:17], v[170:171], v[8:9] op_sel:[0,0,1] op_sel_hi:[1,1,0] neg_lo:[0,0,1] neg_hi:[0,0,1]
	v_pk_fma_f32 v[8:9], v[16:17], v[170:171], v[8:9] op_sel:[0,0,1] op_sel_hi:[1,0,0]
	v_mov_b32_e32 v8, v169
	v_mov_b32_e32 v11, v9
	s_waitcnt lgkmcnt(0)
	v_pk_mul_f32 v[8:9], v[18:19], v[8:9] op_sel_hi:[1,0]
	v_pk_add_f32 v[6:7], v[6:7], v[10:11]
	v_pk_fma_f32 v[10:11], v[18:19], v[168:169], v[8:9] op_sel:[0,0,1] op_sel_hi:[1,1,0] neg_lo:[0,0,1] neg_hi:[0,0,1]
	v_pk_fma_f32 v[8:9], v[18:19], v[168:169], v[8:9] op_sel:[0,0,1] op_sel_hi:[1,0,0]
	v_mov_b32_e32 v11, v9
	v_pk_add_f32 v[6:7], v[6:7], v[10:11]
	v_pk_add_f32 v[2:3], v[2:3], v[6:7] neg_lo:[0,1] neg_hi:[0,1]
	buffer_store_dword v3, off, s[0:3], 0 offset:84
	buffer_store_dword v2, off, s[0:3], 0 offset:80
	s_and_saveexec_b64 s[4:5], vcc
	s_cbranch_execz .LBB109_271
; %bb.270:
	buffer_load_dword v2, off, s[0:3], 0 offset:72
	buffer_load_dword v3, off, s[0:3], 0 offset:76
	s_waitcnt vmcnt(0)
	ds_write_b64 v80, v[2:3]
	buffer_store_dword v4, off, s[0:3], 0 offset:72
	buffer_store_dword v4, off, s[0:3], 0 offset:76
.LBB109_271:
	s_or_b64 exec, exec, s[4:5]
	s_waitcnt lgkmcnt(0)
	; wave barrier
	s_waitcnt lgkmcnt(0)
	buffer_load_dword v5, off, s[0:3], 0 offset:84
	buffer_load_dword v62, off, s[0:3], 0 offset:92
	;; [unrolled: 1-line block ×36, first 2 shown]
	ds_read_b128 v[6:9], v4 offset:448
	ds_read_b128 v[10:13], v4 offset:464
	buffer_load_dword v206, off, s[0:3], 0 offset:216
	buffer_load_dword v207, off, s[0:3], 0 offset:220
	buffer_load_dword v208, off, s[0:3], 0 offset:224
	buffer_load_dword v209, off, s[0:3], 0 offset:228
	ds_read_b128 v[14:17], v4 offset:480
	ds_read_b128 v[18:21], v4 offset:496
	buffer_load_dword v210, off, s[0:3], 0 offset:232
	buffer_load_dword v211, off, s[0:3], 0 offset:236
	ds_read_b128 v[22:25], v4 offset:512
	ds_read_b128 v[26:29], v4 offset:528
	buffer_load_dword v212, off, s[0:3], 0 offset:240
	buffer_load_dword v213, off, s[0:3], 0 offset:244
	;; [unrolled: 1-line block ×16, first 2 shown]
	v_cmp_lt_u32_e32 vcc, 8, v0
	s_waitcnt vmcnt(57) lgkmcnt(5)
	v_mul_f32_e32 v30, v6, v5
	s_waitcnt vmcnt(56)
	v_mul_f32_e32 v31, v8, v62
	s_waitcnt vmcnt(55) lgkmcnt(4)
	v_mul_f32_e32 v32, v10, v64
	s_waitcnt vmcnt(54)
	v_mul_f32_e32 v33, v12, v72
	;; [unrolled: 4-line block ×4, first 2 shown]
	s_waitcnt vmcnt(49)
	v_fmac_f32_e32 v30, v7, v180
	s_waitcnt vmcnt(48)
	v_fmac_f32_e32 v31, v9, v181
	v_add_f32_e32 v30, 0, v30
	s_waitcnt vmcnt(47)
	v_fmac_f32_e32 v32, v11, v182
	v_add_f32_e32 v30, v30, v31
	;; [unrolled: 3-line block ×7, first 2 shown]
	s_waitcnt vmcnt(41) lgkmcnt(1)
	v_mul_f32_e32 v31, v22, v188
	v_add_f32_e32 v30, v30, v37
	s_waitcnt vmcnt(40)
	v_fmac_f32_e32 v31, v23, v189
	v_add_f32_e32 v30, v30, v31
	s_waitcnt vmcnt(39)
	v_mul_f32_e32 v31, v24, v190
	s_waitcnt vmcnt(38)
	v_fmac_f32_e32 v31, v25, v191
	v_add_f32_e32 v30, v30, v31
	s_waitcnt vmcnt(37) lgkmcnt(0)
	v_mul_f32_e32 v31, v26, v192
	s_waitcnt vmcnt(36)
	v_fmac_f32_e32 v31, v27, v193
	v_add_f32_e32 v34, v30, v31
	ds_read_b128 v[30:33], v4 offset:544
	s_waitcnt vmcnt(35)
	v_mul_f32_e32 v35, v28, v194
	s_waitcnt vmcnt(34)
	v_fmac_f32_e32 v35, v29, v195
	v_add_f32_e32 v38, v34, v35
	ds_read_b128 v[34:37], v4 offset:560
	s_waitcnt vmcnt(33) lgkmcnt(1)
	v_mul_f32_e32 v39, v30, v196
	s_waitcnt vmcnt(32)
	v_fmac_f32_e32 v39, v31, v197
	v_add_f32_e32 v38, v38, v39
	s_waitcnt vmcnt(31)
	v_mul_f32_e32 v39, v32, v198
	s_waitcnt vmcnt(30)
	v_fmac_f32_e32 v39, v33, v199
	v_add_f32_e32 v38, v38, v39
	s_waitcnt vmcnt(29) lgkmcnt(0)
	v_mul_f32_e32 v39, v34, v200
	s_waitcnt vmcnt(28)
	v_fmac_f32_e32 v39, v35, v201
	v_add_f32_e32 v42, v38, v39
	ds_read_b128 v[38:41], v4 offset:576
	s_waitcnt vmcnt(25)
	v_mul_f32_e32 v43, v36, v202
	s_waitcnt vmcnt(24)
	v_fmac_f32_e32 v43, v37, v203
	v_add_f32_e32 v46, v42, v43
	ds_read_b128 v[42:45], v4 offset:592
	s_waitcnt vmcnt(22) lgkmcnt(1)
	v_mul_f32_e32 v47, v38, v205
	v_fmac_f32_e32 v47, v39, v204
	v_add_f32_e32 v46, v46, v47
	s_waitcnt vmcnt(20)
	v_mul_f32_e32 v47, v40, v207
	v_fmac_f32_e32 v47, v41, v206
	v_add_f32_e32 v46, v46, v47
	s_waitcnt vmcnt(18) lgkmcnt(0)
	v_mul_f32_e32 v47, v42, v209
	v_fmac_f32_e32 v47, v43, v208
	v_add_f32_e32 v50, v46, v47
	ds_read_b128 v[46:49], v4 offset:608
	s_waitcnt vmcnt(16)
	v_mul_f32_e32 v51, v44, v211
	v_fmac_f32_e32 v51, v45, v210
	v_add_f32_e32 v54, v50, v51
	ds_read_b128 v[50:53], v4 offset:624
	s_waitcnt vmcnt(14) lgkmcnt(1)
	v_mul_f32_e32 v55, v46, v213
	v_fmac_f32_e32 v55, v47, v212
	v_add_f32_e32 v54, v54, v55
	s_waitcnt vmcnt(12)
	v_mul_f32_e32 v55, v48, v215
	v_fmac_f32_e32 v55, v49, v214
	v_add_f32_e32 v54, v54, v55
	s_waitcnt vmcnt(10) lgkmcnt(0)
	v_mul_f32_e32 v55, v50, v217
	v_fmac_f32_e32 v55, v51, v216
	s_waitcnt vmcnt(8)
	v_mul_f32_e32 v59, v52, v219
	v_add_f32_e32 v58, v54, v55
	v_fmac_f32_e32 v59, v53, v218
	ds_read_b128 v[54:57], v4 offset:640
	v_add_f32_e32 v63, v58, v59
	ds_read_b128 v[58:61], v4 offset:656
	buffer_load_dword v67, off, s[0:3], 0 offset:324
	buffer_load_dword v66, off, s[0:3], 0 offset:320
	;; [unrolled: 1-line block ×16, first 2 shown]
	v_mul_f32_e32 v5, v7, v5
	v_fma_f32 v5, v6, v180, -v5
	v_mul_f32_e32 v6, v9, v62
	v_add_f32_e32 v5, 0, v5
	v_fma_f32 v6, v8, v181, -v6
	v_add_f32_e32 v5, v5, v6
	v_mul_f32_e32 v6, v11, v64
	v_fma_f32 v6, v10, v182, -v6
	v_add_f32_e32 v5, v5, v6
	v_mul_f32_e32 v6, v13, v72
	;; [unrolled: 3-line block ×22, first 2 shown]
	v_fma_f32 v6, v52, v218, -v6
	v_add_f32_e32 v5, v5, v6
	s_waitcnt vmcnt(22) lgkmcnt(1)
	v_mul_f32_e32 v6, v55, v221
	v_fma_f32 v6, v54, v220, -v6
	v_add_f32_e32 v5, v5, v6
	s_waitcnt vmcnt(20)
	v_mul_f32_e32 v6, v57, v223
	v_fma_f32 v6, v56, v222, -v6
	v_add_f32_e32 v62, v5, v6
	ds_read_b128 v[6:9], v4 offset:672
	ds_read_b128 v[10:13], v4 offset:688
	;; [unrolled: 1-line block ×4, first 2 shown]
	s_waitcnt vmcnt(11)
	v_mov_b32_e32 v22, v71
	v_mul_f32_e32 v65, v54, v221
	s_waitcnt lgkmcnt(3)
	v_pk_mul_f32 v[22:23], v[6:7], v[22:23] op_sel_hi:[1,0]
	v_fmac_f32_e32 v65, v55, v220
	s_waitcnt vmcnt(10)
	v_pk_fma_f32 v[24:25], v[6:7], v[70:71], v[22:23] op_sel:[0,0,1] op_sel_hi:[1,1,0] neg_lo:[0,0,1] neg_hi:[0,0,1]
	v_pk_fma_f32 v[6:7], v[6:7], v[70:71], v[22:23] op_sel:[0,0,1] op_sel_hi:[1,0,0]
	v_add_f32_e32 v63, v63, v65
	v_mul_f32_e32 v65, v56, v223
	v_mov_b32_e32 v6, v69
	v_fmac_f32_e32 v65, v57, v222
	v_mov_b32_e32 v25, v7
	v_pk_mul_f32 v[6:7], v[8:9], v[6:7] op_sel_hi:[1,0]
	v_add_f32_e32 v63, v63, v65
	v_mul_f32_e32 v65, v58, v225
	v_mul_f32_e32 v5, v59, v225
	v_pk_fma_f32 v[22:23], v[8:9], v[68:69], v[6:7] op_sel:[0,0,1] op_sel_hi:[1,1,0] neg_lo:[0,0,1] neg_hi:[0,0,1]
	v_pk_fma_f32 v[6:7], v[8:9], v[68:69], v[6:7] op_sel:[0,0,1] op_sel_hi:[1,0,0]
	v_fmac_f32_e32 v65, v59, v224
	v_mul_f32_e32 v73, v60, v227
	v_fma_f32 v64, v58, v224, -v5
	v_mul_f32_e32 v5, v61, v227
	v_mov_b32_e32 v6, v67
	v_fmac_f32_e32 v73, v61, v226
	v_fma_f32 v72, v60, v226, -v5
	v_pk_add_f32 v[4:5], v[62:63], v[64:65]
	v_mov_b32_e32 v23, v7
	s_waitcnt lgkmcnt(2)
	v_pk_mul_f32 v[6:7], v[10:11], v[6:7] op_sel_hi:[1,0]
	v_pk_add_f32 v[4:5], v[4:5], v[72:73]
	v_pk_fma_f32 v[8:9], v[10:11], v[66:67], v[6:7] op_sel:[0,0,1] op_sel_hi:[1,1,0] neg_lo:[0,0,1] neg_hi:[0,0,1]
	v_pk_fma_f32 v[6:7], v[10:11], v[66:67], v[6:7] op_sel:[0,0,1] op_sel_hi:[1,0,0]
	v_pk_add_f32 v[4:5], v[4:5], v[24:25]
	s_waitcnt vmcnt(3)
	v_mov_b32_e32 v6, v173
	v_pk_add_f32 v[4:5], v[4:5], v[22:23]
	v_mov_b32_e32 v9, v7
	v_pk_mul_f32 v[6:7], v[12:13], v[6:7] op_sel_hi:[1,0]
	v_pk_add_f32 v[4:5], v[4:5], v[8:9]
	s_waitcnt vmcnt(2)
	v_pk_fma_f32 v[8:9], v[12:13], v[172:173], v[6:7] op_sel:[0,0,1] op_sel_hi:[1,1,0] neg_lo:[0,0,1] neg_hi:[0,0,1]
	v_pk_fma_f32 v[6:7], v[12:13], v[172:173], v[6:7] op_sel:[0,0,1] op_sel_hi:[1,0,0]
	v_mov_b32_e32 v6, v171
	v_mov_b32_e32 v9, v7
	s_waitcnt lgkmcnt(1)
	v_pk_mul_f32 v[6:7], v[14:15], v[6:7] op_sel_hi:[1,0]
	v_pk_add_f32 v[4:5], v[4:5], v[8:9]
	v_pk_fma_f32 v[8:9], v[14:15], v[170:171], v[6:7] op_sel:[0,0,1] op_sel_hi:[1,1,0] neg_lo:[0,0,1] neg_hi:[0,0,1]
	v_pk_fma_f32 v[6:7], v[14:15], v[170:171], v[6:7] op_sel:[0,0,1] op_sel_hi:[1,0,0]
	v_mov_b32_e32 v6, v169
	v_mov_b32_e32 v9, v7
	v_pk_mul_f32 v[6:7], v[16:17], v[6:7] op_sel_hi:[1,0]
	v_pk_add_f32 v[4:5], v[4:5], v[8:9]
	v_pk_fma_f32 v[8:9], v[16:17], v[168:169], v[6:7] op_sel:[0,0,1] op_sel_hi:[1,1,0] neg_lo:[0,0,1] neg_hi:[0,0,1]
	v_pk_fma_f32 v[6:7], v[16:17], v[168:169], v[6:7] op_sel:[0,0,1] op_sel_hi:[1,0,0]
	v_mov_b32_e32 v6, v75
	v_mov_b32_e32 v9, v7
	s_waitcnt lgkmcnt(0)
	v_pk_mul_f32 v[6:7], v[18:19], v[6:7] op_sel_hi:[1,0]
	v_pk_add_f32 v[4:5], v[4:5], v[8:9]
	v_pk_fma_f32 v[8:9], v[18:19], v[74:75], v[6:7] op_sel:[0,0,1] op_sel_hi:[1,1,0] neg_lo:[0,0,1] neg_hi:[0,0,1]
	v_pk_fma_f32 v[6:7], v[18:19], v[74:75], v[6:7] op_sel:[0,0,1] op_sel_hi:[1,0,0]
	s_waitcnt vmcnt(1)
	v_mov_b32_e32 v6, v175
	v_mov_b32_e32 v9, v7
	v_pk_mul_f32 v[6:7], v[20:21], v[6:7] op_sel_hi:[1,0]
	v_pk_add_f32 v[4:5], v[4:5], v[8:9]
	s_waitcnt vmcnt(0)
	v_pk_fma_f32 v[8:9], v[20:21], v[174:175], v[6:7] op_sel:[0,0,1] op_sel_hi:[1,1,0] neg_lo:[0,0,1] neg_hi:[0,0,1]
	v_pk_fma_f32 v[6:7], v[20:21], v[174:175], v[6:7] op_sel:[0,0,1] op_sel_hi:[1,0,0]
	v_mov_b32_e32 v9, v7
	v_pk_add_f32 v[4:5], v[4:5], v[8:9]
	v_pk_add_f32 v[2:3], v[2:3], v[4:5] neg_lo:[0,1] neg_hi:[0,1]
	buffer_store_dword v3, off, s[0:3], 0 offset:76
	buffer_store_dword v2, off, s[0:3], 0 offset:72
	s_and_saveexec_b64 s[4:5], vcc
	s_cbranch_execz .LBB109_273
; %bb.272:
	buffer_load_dword v2, off, s[0:3], 0 offset:64
	buffer_load_dword v3, off, s[0:3], 0 offset:68
	v_mov_b32_e32 v4, 0
	buffer_store_dword v4, off, s[0:3], 0 offset:64
	buffer_store_dword v4, off, s[0:3], 0 offset:68
	s_waitcnt vmcnt(2)
	ds_write_b64 v80, v[2:3]
.LBB109_273:
	s_or_b64 exec, exec, s[4:5]
	s_waitcnt lgkmcnt(0)
	; wave barrier
	s_waitcnt lgkmcnt(0)
	buffer_load_dword v17, off, s[0:3], 0 offset:76
	buffer_load_dword v70, off, s[0:3], 0 offset:84
	buffer_load_dword v168, off, s[0:3], 0 offset:92
	buffer_load_dword v170, off, s[0:3], 0 offset:100
	buffer_load_dword v184, off, s[0:3], 0 offset:108
	buffer_load_dword v185, off, s[0:3], 0 offset:116
	buffer_load_dword v186, off, s[0:3], 0 offset:124
	buffer_load_dword v187, off, s[0:3], 0 offset:72
	buffer_load_dword v188, off, s[0:3], 0 offset:80
	buffer_load_dword v189, off, s[0:3], 0 offset:88
	buffer_load_dword v190, off, s[0:3], 0 offset:96
	buffer_load_dword v191, off, s[0:3], 0 offset:104
	buffer_load_dword v192, off, s[0:3], 0 offset:112
	buffer_load_dword v193, off, s[0:3], 0 offset:120
	buffer_load_dword v194, off, s[0:3], 0 offset:132
	buffer_load_dword v195, off, s[0:3], 0 offset:128
	buffer_load_dword v196, off, s[0:3], 0 offset:140
	buffer_load_dword v197, off, s[0:3], 0 offset:136
	buffer_load_dword v198, off, s[0:3], 0 offset:148
	buffer_load_dword v199, off, s[0:3], 0 offset:144
	buffer_load_dword v200, off, s[0:3], 0 offset:156
	buffer_load_dword v201, off, s[0:3], 0 offset:152
	buffer_load_dword v202, off, s[0:3], 0 offset:164
	buffer_load_dword v203, off, s[0:3], 0 offset:160
	buffer_load_dword v204, off, s[0:3], 0 offset:168
	buffer_load_dword v205, off, s[0:3], 0 offset:172
	buffer_load_dword v6, off, s[0:3], 0 offset:64
	buffer_load_dword v7, off, s[0:3], 0 offset:68
	buffer_load_dword v206, off, s[0:3], 0 offset:180
	buffer_load_dword v207, off, s[0:3], 0 offset:176
	buffer_load_dword v208, off, s[0:3], 0 offset:184
	buffer_load_dword v209, off, s[0:3], 0 offset:188
	buffer_load_dword v210, off, s[0:3], 0 offset:192
	buffer_load_dword v211, off, s[0:3], 0 offset:196
	buffer_load_dword v212, off, s[0:3], 0 offset:200
	buffer_load_dword v213, off, s[0:3], 0 offset:204
	buffer_load_dword v214, off, s[0:3], 0 offset:208
	buffer_load_dword v215, off, s[0:3], 0 offset:212
	buffer_load_dword v216, off, s[0:3], 0 offset:216
	buffer_load_dword v217, off, s[0:3], 0 offset:220
	buffer_load_dword v218, off, s[0:3], 0 offset:224
	buffer_load_dword v219, off, s[0:3], 0 offset:228
	buffer_load_dword v220, off, s[0:3], 0 offset:232
	buffer_load_dword v221, off, s[0:3], 0 offset:236
	buffer_load_dword v222, off, s[0:3], 0 offset:240
	buffer_load_dword v223, off, s[0:3], 0 offset:244
	buffer_load_dword v224, off, s[0:3], 0 offset:248
	buffer_load_dword v225, off, s[0:3], 0 offset:252
	buffer_load_dword v226, off, s[0:3], 0 offset:256
	buffer_load_dword v227, off, s[0:3], 0 offset:260
	buffer_load_dword v228, off, s[0:3], 0 offset:264
	buffer_load_dword v229, off, s[0:3], 0 offset:268
	buffer_load_dword v230, off, s[0:3], 0 offset:272
	buffer_load_dword v231, off, s[0:3], 0 offset:276
	buffer_load_dword v232, off, s[0:3], 0 offset:280
	buffer_load_dword v233, off, s[0:3], 0 offset:284
	v_mov_b32_e32 v16, 0
	ds_read2_b64 v[2:5], v16 offset0:55 offset1:56
	buffer_load_dword v234, off, s[0:3], 0 offset:288
	buffer_load_dword v235, off, s[0:3], 0 offset:292
	;; [unrolled: 1-line block ×4, first 2 shown]
	ds_read2_b64 v[8:11], v16 offset0:57 offset1:58
	ds_read2_b64 v[12:15], v16 offset0:59 offset1:60
	;; [unrolled: 1-line block ×3, first 2 shown]
	v_cmp_lt_u32_e32 vcc, 7, v0
	s_waitcnt vmcnt(59) lgkmcnt(3)
	v_mul_f32_e32 v22, v2, v17
	s_waitcnt vmcnt(58)
	v_mul_f32_e32 v23, v4, v70
	s_waitcnt vmcnt(57) lgkmcnt(2)
	v_mul_f32_e32 v24, v8, v168
	s_waitcnt vmcnt(56)
	v_mul_f32_e32 v25, v10, v170
	;; [unrolled: 4-line block ×3, first 2 shown]
	s_waitcnt vmcnt(53) lgkmcnt(0)
	v_mul_f32_e32 v28, v18, v186
	s_waitcnt vmcnt(52)
	v_fmac_f32_e32 v22, v3, v187
	s_waitcnt vmcnt(51)
	v_fmac_f32_e32 v23, v5, v188
	v_add_f32_e32 v22, 0, v22
	s_waitcnt vmcnt(50)
	v_fmac_f32_e32 v24, v9, v189
	v_add_f32_e32 v22, v22, v23
	;; [unrolled: 3-line block ×6, first 2 shown]
	v_add_f32_e32 v26, v22, v28
	ds_read2_b64 v[22:25], v16 offset0:63 offset1:64
	s_waitcnt vmcnt(45)
	v_mul_f32_e32 v27, v20, v194
	s_waitcnt vmcnt(44)
	v_fmac_f32_e32 v27, v21, v195
	v_add_f32_e32 v30, v26, v27
	ds_read2_b64 v[26:29], v16 offset0:65 offset1:66
	s_waitcnt vmcnt(43) lgkmcnt(1)
	v_mul_f32_e32 v31, v22, v196
	s_waitcnt vmcnt(42)
	v_fmac_f32_e32 v31, v23, v197
	v_add_f32_e32 v30, v30, v31
	s_waitcnt vmcnt(41)
	v_mul_f32_e32 v31, v24, v198
	s_waitcnt vmcnt(40)
	v_fmac_f32_e32 v31, v25, v199
	v_add_f32_e32 v30, v30, v31
	s_waitcnt vmcnt(39) lgkmcnt(0)
	v_mul_f32_e32 v31, v26, v200
	s_waitcnt vmcnt(38)
	v_fmac_f32_e32 v31, v27, v201
	v_add_f32_e32 v34, v30, v31
	ds_read2_b64 v[30:33], v16 offset0:67 offset1:68
	s_waitcnt vmcnt(37)
	v_mul_f32_e32 v35, v28, v202
	s_waitcnt vmcnt(36)
	v_fmac_f32_e32 v35, v29, v203
	v_add_f32_e32 v38, v34, v35
	ds_read2_b64 v[34:37], v16 offset0:69 offset1:70
	s_waitcnt vmcnt(34) lgkmcnt(1)
	v_mul_f32_e32 v39, v30, v205
	v_fmac_f32_e32 v39, v31, v204
	v_add_f32_e32 v38, v38, v39
	s_waitcnt vmcnt(31)
	v_mul_f32_e32 v39, v32, v206
	s_waitcnt vmcnt(30)
	v_fmac_f32_e32 v39, v33, v207
	v_add_f32_e32 v38, v38, v39
	s_waitcnt vmcnt(28) lgkmcnt(0)
	v_mul_f32_e32 v39, v34, v209
	v_fmac_f32_e32 v39, v35, v208
	v_add_f32_e32 v42, v38, v39
	ds_read2_b64 v[38:41], v16 offset0:71 offset1:72
	s_waitcnt vmcnt(26)
	v_mul_f32_e32 v43, v36, v211
	v_fmac_f32_e32 v43, v37, v210
	v_add_f32_e32 v46, v42, v43
	ds_read2_b64 v[42:45], v16 offset0:73 offset1:74
	s_waitcnt vmcnt(24) lgkmcnt(1)
	v_mul_f32_e32 v47, v38, v213
	v_fmac_f32_e32 v47, v39, v212
	v_add_f32_e32 v46, v46, v47
	s_waitcnt vmcnt(22)
	v_mul_f32_e32 v47, v40, v215
	v_fmac_f32_e32 v47, v41, v214
	v_add_f32_e32 v46, v46, v47
	s_waitcnt vmcnt(20) lgkmcnt(0)
	v_mul_f32_e32 v47, v42, v217
	v_fmac_f32_e32 v47, v43, v216
	v_add_f32_e32 v50, v46, v47
	ds_read2_b64 v[46:49], v16 offset0:75 offset1:76
	s_waitcnt vmcnt(18)
	v_mul_f32_e32 v51, v44, v219
	v_fmac_f32_e32 v51, v45, v218
	v_add_f32_e32 v54, v50, v51
	ds_read2_b64 v[50:53], v16 offset0:77 offset1:78
	s_waitcnt vmcnt(16) lgkmcnt(1)
	v_mul_f32_e32 v55, v46, v221
	v_fmac_f32_e32 v55, v47, v220
	v_add_f32_e32 v54, v54, v55
	s_waitcnt vmcnt(14)
	v_mul_f32_e32 v55, v48, v223
	;; [unrolled: 18-line block ×3, first 2 shown]
	v_fmac_f32_e32 v63, v57, v230
	v_add_f32_e32 v62, v62, v63
	s_waitcnt vmcnt(4) lgkmcnt(0)
	v_mul_f32_e32 v63, v58, v233
	v_fmac_f32_e32 v63, v59, v232
	v_add_f32_e32 v71, v62, v63
	ds_read2_b64 v[62:65], v16 offset0:83 offset1:84
	buffer_load_dword v73, off, s[0:3], 0 offset:316
	buffer_load_dword v72, off, s[0:3], 0 offset:312
	;; [unrolled: 1-line block ×4, first 2 shown]
	ds_read2_b64 v[66:69], v16 offset0:85 offset1:86
	buffer_load_dword v173, off, s[0:3], 0 offset:348
	buffer_load_dword v172, off, s[0:3], 0 offset:344
	;; [unrolled: 1-line block ×12, first 2 shown]
	v_mul_f32_e32 v3, v3, v17
	v_fma_f32 v2, v2, v187, -v3
	v_mul_f32_e32 v3, v5, v70
	v_add_f32_e32 v2, 0, v2
	v_fma_f32 v3, v4, v188, -v3
	v_add_f32_e32 v2, v2, v3
	v_mul_f32_e32 v3, v9, v168
	v_fma_f32 v3, v8, v189, -v3
	v_add_f32_e32 v2, v2, v3
	v_mul_f32_e32 v3, v11, v170
	;; [unrolled: 3-line block ×25, first 2 shown]
	v_fma_f32 v3, v58, v232, -v3
	s_waitcnt vmcnt(13)
	v_mov_b32_e32 v18, v75
	v_mul_f32_e32 v169, v60, v235
	v_add_f32_e32 v70, v2, v3
	v_mul_f32_e32 v2, v61, v235
	s_waitcnt lgkmcnt(1)
	v_pk_mul_f32 v[18:19], v[64:65], v[18:19] op_sel_hi:[1,0]
	v_fmac_f32_e32 v169, v61, v234
	v_mul_f32_e32 v171, v62, v237
	v_fma_f32 v168, v60, v234, -v2
	v_mul_f32_e32 v2, v63, v237
	s_waitcnt vmcnt(12)
	v_pk_fma_f32 v[20:21], v[64:65], v[74:75], v[18:19] op_sel:[0,0,1] op_sel_hi:[1,1,0] neg_lo:[0,0,1] neg_hi:[0,0,1]
	v_pk_fma_f32 v[18:19], v[64:65], v[74:75], v[18:19] op_sel:[0,0,1] op_sel_hi:[1,0,0]
	v_fmac_f32_e32 v171, v63, v236
	v_fma_f32 v170, v62, v236, -v2
	v_pk_add_f32 v[14:15], v[70:71], v[168:169]
	v_mov_b32_e32 v18, v73
	v_pk_add_f32 v[14:15], v[14:15], v[170:171]
	v_mov_b32_e32 v21, v19
	s_waitcnt lgkmcnt(0)
	v_pk_mul_f32 v[18:19], v[66:67], v[18:19] op_sel_hi:[1,0]
	v_pk_add_f32 v[14:15], v[14:15], v[20:21]
	v_pk_fma_f32 v[20:21], v[66:67], v[72:73], v[18:19] op_sel:[0,0,1] op_sel_hi:[1,1,0] neg_lo:[0,0,1] neg_hi:[0,0,1]
	v_pk_fma_f32 v[18:19], v[66:67], v[72:73], v[18:19] op_sel:[0,0,1] op_sel_hi:[1,0,0]
	s_waitcnt vmcnt(5)
	v_mov_b32_e32 v18, v179
	ds_read2_b64 v[2:5], v16 offset0:87 offset1:88
	ds_read2_b64 v[8:11], v16 offset0:89 offset1:90
	ds_read_b64 v[12:13], v16 offset:728
	v_mov_b32_e32 v21, v19
	v_pk_mul_f32 v[18:19], v[68:69], v[18:19] op_sel_hi:[1,0]
	v_pk_add_f32 v[14:15], v[14:15], v[20:21]
	s_waitcnt vmcnt(4)
	v_pk_fma_f32 v[20:21], v[68:69], v[178:179], v[18:19] op_sel:[0,0,1] op_sel_hi:[1,1,0] neg_lo:[0,0,1] neg_hi:[0,0,1]
	v_pk_fma_f32 v[18:19], v[68:69], v[178:179], v[18:19] op_sel:[0,0,1] op_sel_hi:[1,0,0]
	v_mov_b32_e32 v18, v177
	v_mov_b32_e32 v21, v19
	s_waitcnt lgkmcnt(2)
	v_pk_mul_f32 v[18:19], v[2:3], v[18:19] op_sel_hi:[1,0]
	v_pk_add_f32 v[14:15], v[14:15], v[20:21]
	v_pk_fma_f32 v[20:21], v[2:3], v[176:177], v[18:19] op_sel:[0,0,1] op_sel_hi:[1,1,0] neg_lo:[0,0,1] neg_hi:[0,0,1]
	v_pk_fma_f32 v[2:3], v[2:3], v[176:177], v[18:19] op_sel:[0,0,1] op_sel_hi:[1,0,0]
	v_mov_b32_e32 v21, v3
	v_pk_add_f32 v[2:3], v[14:15], v[20:21]
	v_mov_b32_e32 v14, v175
	v_pk_mul_f32 v[14:15], v[4:5], v[14:15] op_sel_hi:[1,0]
	v_pk_fma_f32 v[18:19], v[4:5], v[174:175], v[14:15] op_sel:[0,0,1] op_sel_hi:[1,1,0] neg_lo:[0,0,1] neg_hi:[0,0,1]
	v_pk_fma_f32 v[4:5], v[4:5], v[174:175], v[14:15] op_sel:[0,0,1] op_sel_hi:[1,0,0]
	v_mov_b32_e32 v4, v173
	v_mov_b32_e32 v19, v5
	s_waitcnt lgkmcnt(1)
	v_pk_mul_f32 v[4:5], v[8:9], v[4:5] op_sel_hi:[1,0]
	v_pk_fma_f32 v[14:15], v[8:9], v[172:173], v[4:5] op_sel:[0,0,1] op_sel_hi:[1,1,0] neg_lo:[0,0,1] neg_hi:[0,0,1]
	v_pk_fma_f32 v[4:5], v[8:9], v[172:173], v[4:5] op_sel:[0,0,1] op_sel_hi:[1,0,0]
	s_waitcnt vmcnt(1)
	v_mov_b32_e32 v4, v183
	v_mov_b32_e32 v15, v5
	v_pk_mul_f32 v[4:5], v[10:11], v[4:5] op_sel_hi:[1,0]
	s_waitcnt vmcnt(0)
	v_pk_fma_f32 v[8:9], v[10:11], v[182:183], v[4:5] op_sel:[0,0,1] op_sel_hi:[1,1,0] neg_lo:[0,0,1] neg_hi:[0,0,1]
	v_pk_fma_f32 v[4:5], v[10:11], v[182:183], v[4:5] op_sel:[0,0,1] op_sel_hi:[1,0,0]
	v_pk_add_f32 v[2:3], v[2:3], v[18:19]
	v_mov_b32_e32 v4, v181
	v_pk_add_f32 v[2:3], v[2:3], v[14:15]
	v_mov_b32_e32 v9, v5
	s_waitcnt lgkmcnt(0)
	v_pk_mul_f32 v[4:5], v[12:13], v[4:5] op_sel_hi:[1,0]
	v_pk_add_f32 v[2:3], v[2:3], v[8:9]
	v_pk_fma_f32 v[8:9], v[12:13], v[180:181], v[4:5] op_sel:[0,0,1] op_sel_hi:[1,1,0] neg_lo:[0,0,1] neg_hi:[0,0,1]
	v_pk_fma_f32 v[4:5], v[12:13], v[180:181], v[4:5] op_sel:[0,0,1] op_sel_hi:[1,0,0]
	v_mov_b32_e32 v9, v5
	v_pk_add_f32 v[2:3], v[2:3], v[8:9]
	v_pk_add_f32 v[2:3], v[6:7], v[2:3] neg_lo:[0,1] neg_hi:[0,1]
	buffer_store_dword v3, off, s[0:3], 0 offset:68
	buffer_store_dword v2, off, s[0:3], 0 offset:64
	s_and_saveexec_b64 s[4:5], vcc
	s_cbranch_execz .LBB109_275
; %bb.274:
	buffer_load_dword v2, off, s[0:3], 0 offset:56
	buffer_load_dword v3, off, s[0:3], 0 offset:60
	s_waitcnt vmcnt(0)
	ds_write_b64 v80, v[2:3]
	buffer_store_dword v16, off, s[0:3], 0 offset:56
	buffer_store_dword v16, off, s[0:3], 0 offset:60
.LBB109_275:
	s_or_b64 exec, exec, s[4:5]
	s_waitcnt lgkmcnt(0)
	; wave barrier
	s_waitcnt lgkmcnt(0)
	buffer_load_dword v17, off, s[0:3], 0 offset:68
	buffer_load_dword v72, off, s[0:3], 0 offset:76
	;; [unrolled: 1-line block ×32, first 2 shown]
	ds_read_b128 v[18:21], v16 offset:432
	ds_read_b128 v[6:9], v16 offset:448
	buffer_load_dword v210, off, s[0:3], 0 offset:184
	buffer_load_dword v211, off, s[0:3], 0 offset:188
	ds_read_b128 v[10:13], v16 offset:464
	ds_read_b128 v[2:5], v16 offset:480
	buffer_load_dword v212, off, s[0:3], 0 offset:192
	buffer_load_dword v213, off, s[0:3], 0 offset:196
	;; [unrolled: 1-line block ×28, first 2 shown]
	v_cmp_lt_u32_e32 vcc, 6, v0
	s_waitcnt vmcnt(61) lgkmcnt(3)
	v_mul_f32_e32 v22, v18, v17
	s_waitcnt vmcnt(60)
	v_mul_f32_e32 v23, v20, v72
	s_waitcnt vmcnt(59) lgkmcnt(2)
	v_mul_f32_e32 v24, v6, v74
	s_waitcnt vmcnt(58)
	v_mul_f32_e32 v25, v8, v168
	;; [unrolled: 4-line block ×3, first 2 shown]
	s_waitcnt vmcnt(55) lgkmcnt(0)
	v_mul_f32_e32 v28, v2, v186
	s_waitcnt vmcnt(54)
	v_fmac_f32_e32 v22, v19, v187
	s_waitcnt vmcnt(53)
	v_fmac_f32_e32 v23, v21, v188
	v_add_f32_e32 v22, 0, v22
	s_waitcnt vmcnt(52)
	v_fmac_f32_e32 v24, v7, v189
	v_add_f32_e32 v22, v22, v23
	;; [unrolled: 3-line block ×6, first 2 shown]
	v_add_f32_e32 v26, v22, v28
	ds_read_b128 v[22:25], v16 offset:496
	s_waitcnt vmcnt(47)
	v_mul_f32_e32 v27, v4, v194
	s_waitcnt vmcnt(46)
	v_fmac_f32_e32 v27, v5, v195
	v_add_f32_e32 v30, v26, v27
	ds_read_b128 v[26:29], v16 offset:512
	s_waitcnt vmcnt(45) lgkmcnt(1)
	v_mul_f32_e32 v31, v22, v196
	s_waitcnt vmcnt(44)
	v_fmac_f32_e32 v31, v23, v197
	v_add_f32_e32 v30, v30, v31
	s_waitcnt vmcnt(43)
	v_mul_f32_e32 v31, v24, v198
	s_waitcnt vmcnt(42)
	v_fmac_f32_e32 v31, v25, v199
	v_add_f32_e32 v30, v30, v31
	s_waitcnt vmcnt(41) lgkmcnt(0)
	v_mul_f32_e32 v31, v26, v200
	s_waitcnt vmcnt(40)
	v_fmac_f32_e32 v31, v27, v201
	v_add_f32_e32 v34, v30, v31
	ds_read_b128 v[30:33], v16 offset:528
	s_waitcnt vmcnt(39)
	v_mul_f32_e32 v35, v28, v202
	s_waitcnt vmcnt(38)
	v_fmac_f32_e32 v35, v29, v203
	v_add_f32_e32 v38, v34, v35
	ds_read_b128 v[34:37], v16 offset:544
	s_waitcnt vmcnt(35) lgkmcnt(1)
	v_mul_f32_e32 v39, v30, v204
	s_waitcnt vmcnt(34)
	v_fmac_f32_e32 v39, v31, v205
	v_add_f32_e32 v38, v38, v39
	s_waitcnt vmcnt(32)
	v_mul_f32_e32 v39, v32, v207
	v_fmac_f32_e32 v39, v33, v206
	v_add_f32_e32 v38, v38, v39
	s_waitcnt vmcnt(30) lgkmcnt(0)
	v_mul_f32_e32 v39, v34, v209
	v_fmac_f32_e32 v39, v35, v208
	v_add_f32_e32 v42, v38, v39
	ds_read_b128 v[38:41], v16 offset:560
	s_waitcnt vmcnt(28)
	v_mul_f32_e32 v43, v36, v211
	v_fmac_f32_e32 v43, v37, v210
	v_add_f32_e32 v46, v42, v43
	ds_read_b128 v[42:45], v16 offset:576
	s_waitcnt vmcnt(26) lgkmcnt(1)
	v_mul_f32_e32 v47, v38, v213
	v_fmac_f32_e32 v47, v39, v212
	v_add_f32_e32 v46, v46, v47
	s_waitcnt vmcnt(24)
	v_mul_f32_e32 v47, v40, v215
	v_fmac_f32_e32 v47, v41, v214
	v_add_f32_e32 v46, v46, v47
	s_waitcnt vmcnt(22) lgkmcnt(0)
	v_mul_f32_e32 v47, v42, v217
	v_fmac_f32_e32 v47, v43, v216
	v_add_f32_e32 v50, v46, v47
	ds_read_b128 v[46:49], v16 offset:592
	s_waitcnt vmcnt(20)
	v_mul_f32_e32 v51, v44, v219
	v_fmac_f32_e32 v51, v45, v218
	v_add_f32_e32 v54, v50, v51
	ds_read_b128 v[50:53], v16 offset:608
	s_waitcnt vmcnt(18) lgkmcnt(1)
	v_mul_f32_e32 v55, v46, v221
	v_fmac_f32_e32 v55, v47, v220
	v_add_f32_e32 v54, v54, v55
	s_waitcnt vmcnt(16)
	v_mul_f32_e32 v55, v48, v223
	v_fmac_f32_e32 v55, v49, v222
	v_add_f32_e32 v54, v54, v55
	s_waitcnt vmcnt(14) lgkmcnt(0)
	v_mul_f32_e32 v55, v50, v225
	v_fmac_f32_e32 v55, v51, v224
	v_add_f32_e32 v58, v54, v55
	ds_read_b128 v[54:57], v16 offset:624
	s_waitcnt vmcnt(12)
	v_mul_f32_e32 v59, v52, v227
	v_fmac_f32_e32 v59, v53, v226
	v_add_f32_e32 v62, v58, v59
	ds_read_b128 v[58:61], v16 offset:640
	buffer_load_dword v71, off, s[0:3], 0 offset:308
	buffer_load_dword v70, off, s[0:3], 0 offset:304
	s_waitcnt vmcnt(12) lgkmcnt(1)
	v_mul_f32_e32 v63, v54, v229
	v_fmac_f32_e32 v63, v55, v228
	v_add_f32_e32 v62, v62, v63
	s_waitcnt vmcnt(10)
	v_mul_f32_e32 v63, v56, v231
	v_fmac_f32_e32 v63, v57, v230
	v_add_f32_e32 v62, v62, v63
	s_waitcnt vmcnt(8) lgkmcnt(0)
	v_mul_f32_e32 v63, v58, v233
	v_fmac_f32_e32 v63, v59, v232
	s_waitcnt vmcnt(6)
	v_mul_f32_e32 v67, v60, v235
	v_add_f32_e32 v66, v62, v63
	v_fmac_f32_e32 v67, v61, v234
	ds_read_b128 v[62:65], v16 offset:656
	v_add_f32_e32 v73, v66, v67
	ds_read_b128 v[66:69], v16 offset:672
	buffer_load_dword v171, off, s[0:3], 0 offset:340
	buffer_load_dword v170, off, s[0:3], 0 offset:336
	;; [unrolled: 1-line block ×14, first 2 shown]
	v_mul_f32_e32 v17, v19, v17
	v_fma_f32 v17, v18, v187, -v17
	v_mul_f32_e32 v18, v21, v72
	v_add_f32_e32 v17, 0, v17
	v_fma_f32 v18, v20, v188, -v18
	v_mul_f32_e32 v7, v7, v74
	v_add_f32_e32 v17, v17, v18
	;; [unrolled: 3-line block ×3, first 2 shown]
	v_fma_f32 v7, v8, v190, -v7
	v_add_f32_e32 v6, v6, v7
	v_mul_f32_e32 v7, v11, v184
	v_fma_f32 v7, v10, v191, -v7
	v_add_f32_e32 v6, v6, v7
	v_mul_f32_e32 v7, v13, v185
	v_fma_f32 v7, v12, v192, -v7
	v_mul_f32_e32 v3, v3, v186
	v_add_f32_e32 v6, v6, v7
	v_fma_f32 v2, v2, v193, -v3
	v_mul_f32_e32 v3, v5, v194
	v_add_f32_e32 v2, v6, v2
	v_fma_f32 v3, v4, v195, -v3
	v_add_f32_e32 v2, v2, v3
	v_mul_f32_e32 v3, v23, v196
	v_fma_f32 v3, v22, v197, -v3
	v_add_f32_e32 v2, v2, v3
	v_mul_f32_e32 v3, v25, v198
	;; [unrolled: 3-line block ×20, first 2 shown]
	v_fma_f32 v3, v60, v234, -v3
	s_waitcnt vmcnt(15)
	v_mov_b32_e32 v18, v71
	s_waitcnt lgkmcnt(1)
	v_mul_f32_e32 v75, v62, v237
	v_add_f32_e32 v72, v2, v3
	v_mul_f32_e32 v2, v63, v237
	s_waitcnt lgkmcnt(0)
	v_pk_mul_f32 v[18:19], v[66:67], v[18:19] op_sel_hi:[1,0]
	v_fmac_f32_e32 v75, v63, v236
	v_mul_f32_e32 v169, v64, v239
	v_fma_f32 v74, v62, v236, -v2
	v_mul_f32_e32 v2, v65, v239
	s_waitcnt vmcnt(14)
	v_pk_fma_f32 v[20:21], v[66:67], v[70:71], v[18:19] op_sel:[0,0,1] op_sel_hi:[1,1,0] neg_lo:[0,0,1] neg_hi:[0,0,1]
	v_pk_fma_f32 v[18:19], v[66:67], v[70:71], v[18:19] op_sel:[0,0,1] op_sel_hi:[1,0,0]
	v_fmac_f32_e32 v169, v65, v238
	v_fma_f32 v168, v64, v238, -v2
	ds_read_b128 v[2:5], v16 offset:688
	ds_read_b128 v[6:9], v16 offset:704
	;; [unrolled: 1-line block ×3, first 2 shown]
	v_pk_add_f32 v[16:17], v[72:73], v[74:75]
	s_waitcnt vmcnt(7)
	v_mov_b32_e32 v18, v177
	v_pk_add_f32 v[16:17], v[16:17], v[168:169]
	v_mov_b32_e32 v21, v19
	v_pk_mul_f32 v[18:19], v[68:69], v[18:19] op_sel_hi:[1,0]
	v_pk_add_f32 v[16:17], v[16:17], v[20:21]
	s_waitcnt vmcnt(6)
	v_pk_fma_f32 v[20:21], v[68:69], v[176:177], v[18:19] op_sel:[0,0,1] op_sel_hi:[1,1,0] neg_lo:[0,0,1] neg_hi:[0,0,1]
	v_pk_fma_f32 v[18:19], v[68:69], v[176:177], v[18:19] op_sel:[0,0,1] op_sel_hi:[1,0,0]
	v_mov_b32_e32 v18, v175
	v_mov_b32_e32 v21, v19
	s_waitcnt lgkmcnt(2)
	v_pk_mul_f32 v[18:19], v[2:3], v[18:19] op_sel_hi:[1,0]
	v_pk_add_f32 v[16:17], v[16:17], v[20:21]
	v_pk_fma_f32 v[20:21], v[2:3], v[174:175], v[18:19] op_sel:[0,0,1] op_sel_hi:[1,1,0] neg_lo:[0,0,1] neg_hi:[0,0,1]
	v_pk_fma_f32 v[2:3], v[2:3], v[174:175], v[18:19] op_sel:[0,0,1] op_sel_hi:[1,0,0]
	v_mov_b32_e32 v21, v3
	v_pk_add_f32 v[2:3], v[16:17], v[20:21]
	v_mov_b32_e32 v16, v173
	v_pk_mul_f32 v[16:17], v[4:5], v[16:17] op_sel_hi:[1,0]
	v_pk_fma_f32 v[18:19], v[4:5], v[172:173], v[16:17] op_sel:[0,0,1] op_sel_hi:[1,1,0] neg_lo:[0,0,1] neg_hi:[0,0,1]
	v_pk_fma_f32 v[4:5], v[4:5], v[172:173], v[16:17] op_sel:[0,0,1] op_sel_hi:[1,0,0]
	v_mov_b32_e32 v4, v171
	v_mov_b32_e32 v19, v5
	s_waitcnt lgkmcnt(1)
	v_pk_mul_f32 v[4:5], v[6:7], v[4:5] op_sel_hi:[1,0]
	v_pk_fma_f32 v[16:17], v[6:7], v[170:171], v[4:5] op_sel:[0,0,1] op_sel_hi:[1,1,0] neg_lo:[0,0,1] neg_hi:[0,0,1]
	v_pk_fma_f32 v[4:5], v[6:7], v[170:171], v[4:5] op_sel:[0,0,1] op_sel_hi:[1,0,0]
	s_waitcnt vmcnt(1)
	v_mov_b32_e32 v4, v183
	v_mov_b32_e32 v17, v5
	v_pk_mul_f32 v[4:5], v[8:9], v[4:5] op_sel_hi:[1,0]
	s_waitcnt vmcnt(0)
	v_pk_fma_f32 v[6:7], v[8:9], v[182:183], v[4:5] op_sel:[0,0,1] op_sel_hi:[1,1,0] neg_lo:[0,0,1] neg_hi:[0,0,1]
	v_pk_fma_f32 v[4:5], v[8:9], v[182:183], v[4:5] op_sel:[0,0,1] op_sel_hi:[1,0,0]
	v_pk_add_f32 v[2:3], v[2:3], v[18:19]
	v_mov_b32_e32 v4, v181
	v_pk_add_f32 v[2:3], v[2:3], v[16:17]
	v_mov_b32_e32 v7, v5
	s_waitcnt lgkmcnt(0)
	v_pk_mul_f32 v[4:5], v[10:11], v[4:5] op_sel_hi:[1,0]
	v_pk_add_f32 v[2:3], v[2:3], v[6:7]
	v_pk_fma_f32 v[6:7], v[10:11], v[180:181], v[4:5] op_sel:[0,0,1] op_sel_hi:[1,1,0] neg_lo:[0,0,1] neg_hi:[0,0,1]
	v_pk_fma_f32 v[4:5], v[10:11], v[180:181], v[4:5] op_sel:[0,0,1] op_sel_hi:[1,0,0]
	v_mov_b32_e32 v4, v179
	v_mov_b32_e32 v7, v5
	v_pk_mul_f32 v[4:5], v[12:13], v[4:5] op_sel_hi:[1,0]
	v_pk_add_f32 v[2:3], v[2:3], v[6:7]
	v_pk_fma_f32 v[6:7], v[12:13], v[178:179], v[4:5] op_sel:[0,0,1] op_sel_hi:[1,1,0] neg_lo:[0,0,1] neg_hi:[0,0,1]
	v_pk_fma_f32 v[4:5], v[12:13], v[178:179], v[4:5] op_sel:[0,0,1] op_sel_hi:[1,0,0]
	v_mov_b32_e32 v7, v5
	v_pk_add_f32 v[2:3], v[2:3], v[6:7]
	v_pk_add_f32 v[2:3], v[14:15], v[2:3] neg_lo:[0,1] neg_hi:[0,1]
	buffer_store_dword v3, off, s[0:3], 0 offset:60
	buffer_store_dword v2, off, s[0:3], 0 offset:56
	s_and_saveexec_b64 s[4:5], vcc
	s_cbranch_execz .LBB109_277
; %bb.276:
	buffer_load_dword v2, off, s[0:3], 0 offset:48
	buffer_load_dword v3, off, s[0:3], 0 offset:52
	v_mov_b32_e32 v4, 0
	buffer_store_dword v4, off, s[0:3], 0 offset:48
	buffer_store_dword v4, off, s[0:3], 0 offset:52
	s_waitcnt vmcnt(2)
	ds_write_b64 v80, v[2:3]
.LBB109_277:
	s_or_b64 exec, exec, s[4:5]
	s_waitcnt lgkmcnt(0)
	; wave barrier
	s_waitcnt lgkmcnt(0)
	buffer_load_dword v21, off, s[0:3], 0 offset:60
	buffer_load_dword v70, off, s[0:3], 0 offset:68
	;; [unrolled: 1-line block ×48, first 2 shown]
	v_mov_b32_e32 v20, 0
	ds_read2_b64 v[4:7], v20 offset0:53 offset1:54
	buffer_load_dword v226, off, s[0:3], 0 offset:240
	buffer_load_dword v227, off, s[0:3], 0 offset:244
	;; [unrolled: 1-line block ×8, first 2 shown]
	ds_read2_b64 v[8:11], v20 offset0:55 offset1:56
	ds_read2_b64 v[12:15], v20 offset0:57 offset1:58
	;; [unrolled: 1-line block ×3, first 2 shown]
	buffer_load_dword v234, off, s[0:3], 0 offset:272
	buffer_load_dword v235, off, s[0:3], 0 offset:276
	;; [unrolled: 1-line block ×8, first 2 shown]
	v_cmp_lt_u32_e32 vcc, 5, v0
	s_waitcnt vmcnt(62) lgkmcnt(3)
	v_mul_f32_e32 v22, v4, v21
	v_mul_f32_e32 v23, v6, v70
	s_waitcnt vmcnt(61) lgkmcnt(2)
	v_mul_f32_e32 v24, v8, v72
	s_waitcnt vmcnt(60)
	v_mul_f32_e32 v25, v10, v74
	s_waitcnt vmcnt(59) lgkmcnt(1)
	v_mul_f32_e32 v26, v12, v184
	s_waitcnt vmcnt(58)
	;; [unrolled: 4-line block ×3, first 2 shown]
	v_fmac_f32_e32 v22, v5, v187
	s_waitcnt vmcnt(55)
	v_fmac_f32_e32 v23, v7, v188
	v_add_f32_e32 v22, 0, v22
	s_waitcnt vmcnt(54)
	v_fmac_f32_e32 v24, v9, v189
	v_add_f32_e32 v22, v22, v23
	;; [unrolled: 3-line block ×6, first 2 shown]
	v_add_f32_e32 v26, v22, v28
	ds_read2_b64 v[22:25], v20 offset0:61 offset1:62
	s_waitcnt vmcnt(49)
	v_mul_f32_e32 v27, v18, v194
	s_waitcnt vmcnt(48)
	v_fmac_f32_e32 v27, v19, v195
	v_add_f32_e32 v30, v26, v27
	ds_read2_b64 v[26:29], v20 offset0:63 offset1:64
	s_waitcnt vmcnt(47) lgkmcnt(1)
	v_mul_f32_e32 v31, v22, v196
	s_waitcnt vmcnt(46)
	v_fmac_f32_e32 v31, v23, v197
	v_add_f32_e32 v30, v30, v31
	s_waitcnt vmcnt(45)
	v_mul_f32_e32 v31, v24, v198
	s_waitcnt vmcnt(44)
	v_fmac_f32_e32 v31, v25, v199
	v_add_f32_e32 v30, v30, v31
	s_waitcnt vmcnt(42) lgkmcnt(0)
	v_mul_f32_e32 v31, v26, v201
	v_fmac_f32_e32 v31, v27, v200
	v_add_f32_e32 v34, v30, v31
	ds_read2_b64 v[30:33], v20 offset0:65 offset1:66
	s_waitcnt vmcnt(38)
	v_mul_f32_e32 v35, v28, v203
	v_fmac_f32_e32 v35, v29, v202
	v_add_f32_e32 v38, v34, v35
	ds_read2_b64 v[34:37], v20 offset0:67 offset1:68
	s_waitcnt vmcnt(36) lgkmcnt(1)
	v_mul_f32_e32 v39, v30, v205
	v_fmac_f32_e32 v39, v31, v204
	v_add_f32_e32 v38, v38, v39
	s_waitcnt vmcnt(34)
	v_mul_f32_e32 v39, v32, v207
	v_fmac_f32_e32 v39, v33, v206
	v_add_f32_e32 v38, v38, v39
	s_waitcnt vmcnt(32) lgkmcnt(0)
	v_mul_f32_e32 v39, v34, v209
	v_fmac_f32_e32 v39, v35, v208
	v_add_f32_e32 v42, v38, v39
	ds_read2_b64 v[38:41], v20 offset0:69 offset1:70
	s_waitcnt vmcnt(30)
	v_mul_f32_e32 v43, v36, v211
	v_fmac_f32_e32 v43, v37, v210
	v_add_f32_e32 v46, v42, v43
	ds_read2_b64 v[42:45], v20 offset0:71 offset1:72
	s_waitcnt vmcnt(28) lgkmcnt(1)
	v_mul_f32_e32 v47, v38, v213
	v_fmac_f32_e32 v47, v39, v212
	v_add_f32_e32 v46, v46, v47
	s_waitcnt vmcnt(26)
	v_mul_f32_e32 v47, v40, v215
	;; [unrolled: 18-line block ×4, first 2 shown]
	v_fmac_f32_e32 v63, v57, v230
	v_add_f32_e32 v62, v62, v63
	s_waitcnt vmcnt(8) lgkmcnt(0)
	v_mul_f32_e32 v63, v58, v233
	v_fmac_f32_e32 v63, v59, v232
	s_waitcnt vmcnt(6)
	v_mul_f32_e32 v67, v60, v235
	v_add_f32_e32 v66, v62, v63
	v_fmac_f32_e32 v67, v61, v234
	ds_read2_b64 v[62:65], v20 offset0:81 offset1:82
	v_add_f32_e32 v71, v66, v67
	ds_read2_b64 v[66:69], v20 offset0:83 offset1:84
	buffer_load_dword v169, off, s[0:3], 0 offset:332
	buffer_load_dword v168, off, s[0:3], 0 offset:328
	;; [unrolled: 1-line block ×16, first 2 shown]
	v_mul_f32_e32 v5, v5, v21
	v_fma_f32 v4, v4, v187, -v5
	v_mul_f32_e32 v5, v7, v70
	v_add_f32_e32 v4, 0, v4
	v_fma_f32 v5, v6, v188, -v5
	v_add_f32_e32 v4, v4, v5
	v_mul_f32_e32 v5, v9, v72
	v_fma_f32 v5, v8, v189, -v5
	v_add_f32_e32 v4, v4, v5
	v_mul_f32_e32 v5, v11, v74
	;; [unrolled: 3-line block ×26, first 2 shown]
	v_fma_f32 v5, v60, v234, -v5
	v_add_f32_e32 v4, v4, v5
	s_waitcnt vmcnt(20) lgkmcnt(1)
	v_mul_f32_e32 v5, v63, v237
	v_mul_f32_e32 v73, v62, v237
	v_fma_f32 v5, v62, v236, -v5
	v_fmac_f32_e32 v73, v63, v236
	v_add_f32_e32 v70, v4, v5
	s_waitcnt vmcnt(18)
	v_mul_f32_e32 v4, v65, v239
	s_waitcnt vmcnt(9)
	v_mov_b32_e32 v22, v175
	v_add_f32_e32 v71, v71, v73
	v_mul_f32_e32 v73, v64, v239
	v_fma_f32 v72, v64, v238, -v4
	s_waitcnt lgkmcnt(0)
	v_mul_f32_e32 v4, v67, v241
	v_pk_mul_f32 v[22:23], v[68:69], v[22:23] op_sel_hi:[1,0]
	v_fmac_f32_e32 v73, v65, v238
	v_mul_f32_e32 v75, v66, v241
	v_fma_f32 v74, v66, v240, -v4
	ds_read2_b64 v[4:7], v20 offset0:85 offset1:86
	ds_read2_b64 v[8:11], v20 offset0:87 offset1:88
	;; [unrolled: 1-line block ×3, first 2 shown]
	ds_read_b64 v[16:17], v20 offset:728
	s_waitcnt vmcnt(8)
	v_pk_fma_f32 v[24:25], v[68:69], v[174:175], v[22:23] op_sel:[0,0,1] op_sel_hi:[1,1,0] neg_lo:[0,0,1] neg_hi:[0,0,1]
	v_pk_fma_f32 v[22:23], v[68:69], v[174:175], v[22:23] op_sel:[0,0,1] op_sel_hi:[1,0,0]
	v_fmac_f32_e32 v75, v67, v240
	v_pk_add_f32 v[18:19], v[70:71], v[72:73]
	v_mov_b32_e32 v22, v173
	v_pk_add_f32 v[18:19], v[18:19], v[74:75]
	v_mov_b32_e32 v25, v23
	s_waitcnt lgkmcnt(3)
	v_pk_mul_f32 v[22:23], v[4:5], v[22:23] op_sel_hi:[1,0]
	v_pk_add_f32 v[18:19], v[18:19], v[24:25]
	v_pk_fma_f32 v[24:25], v[4:5], v[172:173], v[22:23] op_sel:[0,0,1] op_sel_hi:[1,1,0] neg_lo:[0,0,1] neg_hi:[0,0,1]
	v_pk_fma_f32 v[4:5], v[4:5], v[172:173], v[22:23] op_sel:[0,0,1] op_sel_hi:[1,0,0]
	v_mov_b32_e32 v25, v5
	v_pk_add_f32 v[4:5], v[18:19], v[24:25]
	v_mov_b32_e32 v18, v171
	v_pk_mul_f32 v[18:19], v[6:7], v[18:19] op_sel_hi:[1,0]
	v_pk_fma_f32 v[22:23], v[6:7], v[170:171], v[18:19] op_sel:[0,0,1] op_sel_hi:[1,1,0] neg_lo:[0,0,1] neg_hi:[0,0,1]
	v_pk_fma_f32 v[6:7], v[6:7], v[170:171], v[18:19] op_sel:[0,0,1] op_sel_hi:[1,0,0]
	v_mov_b32_e32 v6, v169
	v_mov_b32_e32 v23, v7
	s_waitcnt lgkmcnt(2)
	v_pk_mul_f32 v[6:7], v[8:9], v[6:7] op_sel_hi:[1,0]
	v_pk_fma_f32 v[18:19], v[8:9], v[168:169], v[6:7] op_sel:[0,0,1] op_sel_hi:[1,1,0] neg_lo:[0,0,1] neg_hi:[0,0,1]
	v_pk_fma_f32 v[6:7], v[8:9], v[168:169], v[6:7] op_sel:[0,0,1] op_sel_hi:[1,0,0]
	s_waitcnt vmcnt(1)
	v_mov_b32_e32 v6, v183
	v_mov_b32_e32 v19, v7
	v_pk_mul_f32 v[6:7], v[10:11], v[6:7] op_sel_hi:[1,0]
	s_waitcnt vmcnt(0)
	v_pk_fma_f32 v[8:9], v[10:11], v[182:183], v[6:7] op_sel:[0,0,1] op_sel_hi:[1,1,0] neg_lo:[0,0,1] neg_hi:[0,0,1]
	v_pk_fma_f32 v[6:7], v[10:11], v[182:183], v[6:7] op_sel:[0,0,1] op_sel_hi:[1,0,0]
	v_pk_add_f32 v[4:5], v[4:5], v[22:23]
	v_mov_b32_e32 v6, v181
	v_pk_add_f32 v[4:5], v[4:5], v[18:19]
	v_mov_b32_e32 v9, v7
	s_waitcnt lgkmcnt(1)
	v_pk_mul_f32 v[6:7], v[12:13], v[6:7] op_sel_hi:[1,0]
	v_pk_add_f32 v[4:5], v[4:5], v[8:9]
	v_pk_fma_f32 v[8:9], v[12:13], v[180:181], v[6:7] op_sel:[0,0,1] op_sel_hi:[1,1,0] neg_lo:[0,0,1] neg_hi:[0,0,1]
	v_pk_fma_f32 v[6:7], v[12:13], v[180:181], v[6:7] op_sel:[0,0,1] op_sel_hi:[1,0,0]
	v_mov_b32_e32 v6, v179
	v_mov_b32_e32 v9, v7
	v_pk_mul_f32 v[6:7], v[14:15], v[6:7] op_sel_hi:[1,0]
	v_pk_add_f32 v[4:5], v[4:5], v[8:9]
	v_pk_fma_f32 v[8:9], v[14:15], v[178:179], v[6:7] op_sel:[0,0,1] op_sel_hi:[1,1,0] neg_lo:[0,0,1] neg_hi:[0,0,1]
	v_pk_fma_f32 v[6:7], v[14:15], v[178:179], v[6:7] op_sel:[0,0,1] op_sel_hi:[1,0,0]
	v_mov_b32_e32 v6, v177
	v_mov_b32_e32 v9, v7
	s_waitcnt lgkmcnt(0)
	v_pk_mul_f32 v[6:7], v[16:17], v[6:7] op_sel_hi:[1,0]
	v_pk_add_f32 v[4:5], v[4:5], v[8:9]
	v_pk_fma_f32 v[8:9], v[16:17], v[176:177], v[6:7] op_sel:[0,0,1] op_sel_hi:[1,1,0] neg_lo:[0,0,1] neg_hi:[0,0,1]
	v_pk_fma_f32 v[6:7], v[16:17], v[176:177], v[6:7] op_sel:[0,0,1] op_sel_hi:[1,0,0]
	v_mov_b32_e32 v9, v7
	v_pk_add_f32 v[4:5], v[4:5], v[8:9]
	v_pk_add_f32 v[2:3], v[2:3], v[4:5] neg_lo:[0,1] neg_hi:[0,1]
	buffer_store_dword v3, off, s[0:3], 0 offset:52
	buffer_store_dword v2, off, s[0:3], 0 offset:48
	s_and_saveexec_b64 s[4:5], vcc
	s_cbranch_execz .LBB109_279
; %bb.278:
	buffer_load_dword v2, off, s[0:3], 0 offset:40
	buffer_load_dword v3, off, s[0:3], 0 offset:44
	s_waitcnt vmcnt(0)
	ds_write_b64 v80, v[2:3]
	buffer_store_dword v20, off, s[0:3], 0 offset:40
	buffer_store_dword v20, off, s[0:3], 0 offset:44
.LBB109_279:
	s_or_b64 exec, exec, s[4:5]
	s_waitcnt lgkmcnt(0)
	; wave barrier
	s_waitcnt lgkmcnt(0)
	buffer_load_dword v21, off, s[0:3], 0 offset:52
	buffer_load_dword v70, off, s[0:3], 0 offset:60
	;; [unrolled: 1-line block ×26, first 2 shown]
	ds_read_b128 v[14:17], v20 offset:416
	ds_read_b128 v[6:9], v20 offset:432
	buffer_load_dword v204, off, s[0:3], 0 offset:144
	buffer_load_dword v205, off, s[0:3], 0 offset:148
	ds_read_b128 v[10:13], v20 offset:448
	ds_read_b128 v[2:5], v20 offset:464
	buffer_load_dword v206, off, s[0:3], 0 offset:152
	buffer_load_dword v207, off, s[0:3], 0 offset:156
	;; [unrolled: 1-line block ×32, first 2 shown]
	v_cmp_lt_u32_e32 vcc, 4, v0
	s_waitcnt vmcnt(59) lgkmcnt(3)
	v_mul_f32_e32 v22, v14, v21
	s_waitcnt vmcnt(58)
	v_mul_f32_e32 v23, v16, v70
	s_waitcnt vmcnt(57) lgkmcnt(2)
	v_mul_f32_e32 v24, v6, v72
	s_waitcnt vmcnt(56)
	v_mul_f32_e32 v25, v8, v172
	;; [unrolled: 4-line block ×4, first 2 shown]
	s_waitcnt vmcnt(51)
	v_fmac_f32_e32 v22, v15, v188
	s_waitcnt vmcnt(50)
	v_fmac_f32_e32 v23, v17, v189
	v_add_f32_e32 v22, 0, v22
	s_waitcnt vmcnt(49)
	v_fmac_f32_e32 v24, v7, v190
	v_add_f32_e32 v22, v22, v23
	;; [unrolled: 3-line block ×6, first 2 shown]
	v_add_f32_e32 v26, v22, v28
	ds_read_b128 v[22:25], v20 offset:480
	s_waitcnt vmcnt(44)
	v_fmac_f32_e32 v29, v5, v195
	buffer_load_dword v238, off, s[0:3], 0 offset:280
	buffer_load_dword v239, off, s[0:3], 0 offset:284
	v_add_f32_e32 v30, v26, v29
	buffer_load_dword v240, off, s[0:3], 0 offset:288
	buffer_load_dword v241, off, s[0:3], 0 offset:292
	ds_read_b128 v[26:29], v20 offset:496
	s_waitcnt vmcnt(47) lgkmcnt(1)
	v_mul_f32_e32 v31, v22, v196
	s_waitcnt vmcnt(46)
	v_fmac_f32_e32 v31, v23, v197
	v_add_f32_e32 v30, v30, v31
	s_waitcnt vmcnt(45)
	v_mul_f32_e32 v31, v24, v198
	s_waitcnt vmcnt(44)
	v_fmac_f32_e32 v31, v25, v199
	v_add_f32_e32 v30, v30, v31
	s_waitcnt vmcnt(41) lgkmcnt(0)
	v_mul_f32_e32 v31, v26, v200
	s_waitcnt vmcnt(40)
	v_fmac_f32_e32 v31, v27, v201
	buffer_load_dword v242, off, s[0:3], 0 offset:296
	buffer_load_dword v243, off, s[0:3], 0 offset:300
	v_add_f32_e32 v34, v30, v31
	ds_read_b128 v[30:33], v20 offset:512
	s_waitcnt vmcnt(40)
	v_mul_f32_e32 v35, v28, v203
	v_fmac_f32_e32 v35, v29, v202
	v_add_f32_e32 v38, v34, v35
	ds_read_b128 v[34:37], v20 offset:528
	s_waitcnt vmcnt(38) lgkmcnt(1)
	v_mul_f32_e32 v39, v30, v205
	v_fmac_f32_e32 v39, v31, v204
	v_add_f32_e32 v38, v38, v39
	s_waitcnt vmcnt(36)
	v_mul_f32_e32 v39, v32, v207
	v_fmac_f32_e32 v39, v33, v206
	v_add_f32_e32 v38, v38, v39
	s_waitcnt vmcnt(34) lgkmcnt(0)
	v_mul_f32_e32 v39, v34, v209
	v_fmac_f32_e32 v39, v35, v208
	v_add_f32_e32 v42, v38, v39
	ds_read_b128 v[38:41], v20 offset:544
	s_waitcnt vmcnt(32)
	v_mul_f32_e32 v43, v36, v211
	v_fmac_f32_e32 v43, v37, v210
	v_add_f32_e32 v46, v42, v43
	ds_read_b128 v[42:45], v20 offset:560
	s_waitcnt vmcnt(30) lgkmcnt(1)
	v_mul_f32_e32 v47, v38, v213
	v_fmac_f32_e32 v47, v39, v212
	v_add_f32_e32 v46, v46, v47
	s_waitcnt vmcnt(28)
	v_mul_f32_e32 v47, v40, v215
	v_fmac_f32_e32 v47, v41, v214
	v_add_f32_e32 v46, v46, v47
	s_waitcnt vmcnt(26) lgkmcnt(0)
	v_mul_f32_e32 v47, v42, v217
	v_fmac_f32_e32 v47, v43, v216
	;; [unrolled: 18-line block ×4, first 2 shown]
	s_waitcnt vmcnt(8)
	v_mul_f32_e32 v67, v60, v235
	v_add_f32_e32 v66, v62, v63
	v_fmac_f32_e32 v67, v61, v234
	ds_read_b128 v[62:65], v20 offset:640
	v_add_f32_e32 v71, v66, v67
	ds_read_b128 v[66:69], v20 offset:656
	buffer_load_dword v75, off, s[0:3], 0 offset:324
	buffer_load_dword v74, off, s[0:3], 0 offset:320
	;; [unrolled: 1-line block ×16, first 2 shown]
	v_mul_f32_e32 v15, v15, v21
	v_fma_f32 v14, v14, v188, -v15
	v_mul_f32_e32 v15, v17, v70
	v_add_f32_e32 v14, 0, v14
	v_fma_f32 v15, v16, v189, -v15
	v_mul_f32_e32 v7, v7, v72
	v_add_f32_e32 v14, v14, v15
	;; [unrolled: 3-line block ×3, first 2 shown]
	v_fma_f32 v7, v8, v191, -v7
	v_add_f32_e32 v6, v6, v7
	v_mul_f32_e32 v7, v11, v184
	v_fma_f32 v7, v10, v192, -v7
	v_add_f32_e32 v6, v6, v7
	v_mul_f32_e32 v7, v13, v185
	v_fma_f32 v7, v12, v193, -v7
	v_mul_f32_e32 v3, v3, v186
	v_add_f32_e32 v6, v6, v7
	v_fma_f32 v2, v2, v194, -v3
	v_mul_f32_e32 v3, v5, v187
	v_add_f32_e32 v2, v6, v2
	v_fma_f32 v3, v4, v195, -v3
	v_add_f32_e32 v2, v2, v3
	v_mul_f32_e32 v3, v23, v196
	v_fma_f32 v3, v22, v197, -v3
	v_add_f32_e32 v2, v2, v3
	v_mul_f32_e32 v3, v25, v198
	;; [unrolled: 3-line block ×20, first 2 shown]
	v_fma_f32 v3, v60, v234, -v3
	v_add_f32_e32 v2, v2, v3
	s_waitcnt vmcnt(22) lgkmcnt(1)
	v_mul_f32_e32 v3, v63, v237
	v_fma_f32 v3, v62, v236, -v3
	v_add_f32_e32 v2, v2, v3
	s_waitcnt vmcnt(20)
	v_mul_f32_e32 v3, v65, v239
	v_mul_f32_e32 v73, v62, v237
	v_fma_f32 v3, v64, v238, -v3
	v_fmac_f32_e32 v73, v63, v236
	v_add_f32_e32 v70, v2, v3
	s_waitcnt vmcnt(18) lgkmcnt(0)
	v_mul_f32_e32 v2, v67, v241
	v_add_f32_e32 v71, v71, v73
	v_mul_f32_e32 v73, v64, v239
	v_fma_f32 v72, v66, v240, -v2
	s_waitcnt vmcnt(16)
	v_mul_f32_e32 v2, v69, v243
	v_fmac_f32_e32 v73, v65, v238
	v_fma_f32 v172, v68, v242, -v2
	ds_read_b128 v[2:5], v20 offset:672
	ds_read_b128 v[6:9], v20 offset:688
	;; [unrolled: 1-line block ×4, first 2 shown]
	v_add_f32_e32 v71, v71, v73
	v_mul_f32_e32 v73, v66, v241
	s_waitcnt vmcnt(11)
	v_mov_b32_e32 v22, v171
	v_fmac_f32_e32 v73, v67, v240
	v_mul_f32_e32 v173, v68, v243
	s_waitcnt lgkmcnt(3)
	v_pk_mul_f32 v[22:23], v[2:3], v[22:23] op_sel_hi:[1,0]
	v_fmac_f32_e32 v173, v69, v242
	v_pk_add_f32 v[20:21], v[70:71], v[72:73]
	s_waitcnt vmcnt(10)
	v_pk_fma_f32 v[24:25], v[2:3], v[170:171], v[22:23] op_sel:[0,0,1] op_sel_hi:[1,1,0] neg_lo:[0,0,1] neg_hi:[0,0,1]
	v_pk_fma_f32 v[2:3], v[2:3], v[170:171], v[22:23] op_sel:[0,0,1] op_sel_hi:[1,0,0]
	v_pk_add_f32 v[20:21], v[20:21], v[172:173]
	v_mov_b32_e32 v25, v3
	v_pk_add_f32 v[2:3], v[20:21], v[24:25]
	v_mov_b32_e32 v20, v169
	v_pk_mul_f32 v[20:21], v[4:5], v[20:21] op_sel_hi:[1,0]
	v_pk_fma_f32 v[22:23], v[4:5], v[168:169], v[20:21] op_sel:[0,0,1] op_sel_hi:[1,1,0] neg_lo:[0,0,1] neg_hi:[0,0,1]
	v_pk_fma_f32 v[4:5], v[4:5], v[168:169], v[20:21] op_sel:[0,0,1] op_sel_hi:[1,0,0]
	v_mov_b32_e32 v4, v75
	v_mov_b32_e32 v23, v5
	s_waitcnt lgkmcnt(2)
	v_pk_mul_f32 v[4:5], v[6:7], v[4:5] op_sel_hi:[1,0]
	v_pk_fma_f32 v[20:21], v[6:7], v[74:75], v[4:5] op_sel:[0,0,1] op_sel_hi:[1,1,0] neg_lo:[0,0,1] neg_hi:[0,0,1]
	v_pk_fma_f32 v[4:5], v[6:7], v[74:75], v[4:5] op_sel:[0,0,1] op_sel_hi:[1,0,0]
	s_waitcnt vmcnt(3)
	v_mov_b32_e32 v4, v181
	v_mov_b32_e32 v21, v5
	v_pk_mul_f32 v[4:5], v[8:9], v[4:5] op_sel_hi:[1,0]
	s_waitcnt vmcnt(2)
	v_pk_fma_f32 v[6:7], v[8:9], v[180:181], v[4:5] op_sel:[0,0,1] op_sel_hi:[1,1,0] neg_lo:[0,0,1] neg_hi:[0,0,1]
	v_pk_fma_f32 v[4:5], v[8:9], v[180:181], v[4:5] op_sel:[0,0,1] op_sel_hi:[1,0,0]
	v_pk_add_f32 v[2:3], v[2:3], v[22:23]
	v_mov_b32_e32 v4, v179
	v_pk_add_f32 v[2:3], v[2:3], v[20:21]
	v_mov_b32_e32 v7, v5
	s_waitcnt lgkmcnt(1)
	v_pk_mul_f32 v[4:5], v[10:11], v[4:5] op_sel_hi:[1,0]
	v_pk_add_f32 v[2:3], v[2:3], v[6:7]
	v_pk_fma_f32 v[6:7], v[10:11], v[178:179], v[4:5] op_sel:[0,0,1] op_sel_hi:[1,1,0] neg_lo:[0,0,1] neg_hi:[0,0,1]
	v_pk_fma_f32 v[4:5], v[10:11], v[178:179], v[4:5] op_sel:[0,0,1] op_sel_hi:[1,0,0]
	v_mov_b32_e32 v4, v177
	v_mov_b32_e32 v7, v5
	v_pk_mul_f32 v[4:5], v[12:13], v[4:5] op_sel_hi:[1,0]
	v_pk_add_f32 v[2:3], v[2:3], v[6:7]
	v_pk_fma_f32 v[6:7], v[12:13], v[176:177], v[4:5] op_sel:[0,0,1] op_sel_hi:[1,1,0] neg_lo:[0,0,1] neg_hi:[0,0,1]
	v_pk_fma_f32 v[4:5], v[12:13], v[176:177], v[4:5] op_sel:[0,0,1] op_sel_hi:[1,0,0]
	v_mov_b32_e32 v4, v175
	v_mov_b32_e32 v7, v5
	s_waitcnt lgkmcnt(0)
	v_pk_mul_f32 v[4:5], v[14:15], v[4:5] op_sel_hi:[1,0]
	v_pk_add_f32 v[2:3], v[2:3], v[6:7]
	v_pk_fma_f32 v[6:7], v[14:15], v[174:175], v[4:5] op_sel:[0,0,1] op_sel_hi:[1,1,0] neg_lo:[0,0,1] neg_hi:[0,0,1]
	v_pk_fma_f32 v[4:5], v[14:15], v[174:175], v[4:5] op_sel:[0,0,1] op_sel_hi:[1,0,0]
	s_waitcnt vmcnt(1)
	v_mov_b32_e32 v4, v183
	v_mov_b32_e32 v7, v5
	v_pk_mul_f32 v[4:5], v[16:17], v[4:5] op_sel_hi:[1,0]
	v_pk_add_f32 v[2:3], v[2:3], v[6:7]
	s_waitcnt vmcnt(0)
	v_pk_fma_f32 v[6:7], v[16:17], v[182:183], v[4:5] op_sel:[0,0,1] op_sel_hi:[1,1,0] neg_lo:[0,0,1] neg_hi:[0,0,1]
	v_pk_fma_f32 v[4:5], v[16:17], v[182:183], v[4:5] op_sel:[0,0,1] op_sel_hi:[1,0,0]
	v_mov_b32_e32 v7, v5
	v_pk_add_f32 v[2:3], v[2:3], v[6:7]
	v_pk_add_f32 v[2:3], v[18:19], v[2:3] neg_lo:[0,1] neg_hi:[0,1]
	buffer_store_dword v3, off, s[0:3], 0 offset:44
	buffer_store_dword v2, off, s[0:3], 0 offset:40
	s_and_saveexec_b64 s[4:5], vcc
	s_cbranch_execz .LBB109_281
; %bb.280:
	buffer_load_dword v2, off, s[0:3], 0 offset:32
	buffer_load_dword v3, off, s[0:3], 0 offset:36
	v_mov_b32_e32 v4, 0
	buffer_store_dword v4, off, s[0:3], 0 offset:32
	buffer_store_dword v4, off, s[0:3], 0 offset:36
	s_waitcnt vmcnt(2)
	ds_write_b64 v80, v[2:3]
.LBB109_281:
	s_or_b64 exec, exec, s[4:5]
	s_waitcnt lgkmcnt(0)
	; wave barrier
	s_waitcnt lgkmcnt(0)
	buffer_load_dword v70, off, s[0:3], 0 offset:44
	buffer_load_dword v75, off, s[0:3], 0 offset:52
	;; [unrolled: 1-line block ×24, first 2 shown]
	v_mov_b32_e32 v74, 0
	buffer_load_dword v210, off, s[0:3], 0 offset:128
	buffer_load_dword v211, off, s[0:3], 0 offset:132
	buffer_load_dword v212, off, s[0:3], 0 offset:136
	buffer_load_dword v213, off, s[0:3], 0 offset:140
	buffer_load_dword v214, off, s[0:3], 0 offset:144
	buffer_load_dword v215, off, s[0:3], 0 offset:148
	buffer_load_dword v216, off, s[0:3], 0 offset:152
	buffer_load_dword v217, off, s[0:3], 0 offset:156
	buffer_load_dword v218, off, s[0:3], 0 offset:160
	buffer_load_dword v219, off, s[0:3], 0 offset:164
	buffer_load_dword v220, off, s[0:3], 0 offset:168
	buffer_load_dword v221, off, s[0:3], 0 offset:172
	buffer_load_dword v222, off, s[0:3], 0 offset:176
	buffer_load_dword v223, off, s[0:3], 0 offset:180
	buffer_load_dword v224, off, s[0:3], 0 offset:184
	buffer_load_dword v225, off, s[0:3], 0 offset:188
	buffer_load_dword v226, off, s[0:3], 0 offset:192
	buffer_load_dword v227, off, s[0:3], 0 offset:196
	buffer_load_dword v228, off, s[0:3], 0 offset:200
	buffer_load_dword v229, off, s[0:3], 0 offset:204
	buffer_load_dword v230, off, s[0:3], 0 offset:208
	buffer_load_dword v231, off, s[0:3], 0 offset:212
	buffer_load_dword v232, off, s[0:3], 0 offset:216
	buffer_load_dword v233, off, s[0:3], 0 offset:220
	buffer_load_dword v234, off, s[0:3], 0 offset:224
	buffer_load_dword v235, off, s[0:3], 0 offset:228
	buffer_load_dword v236, off, s[0:3], 0 offset:232
	buffer_load_dword v237, off, s[0:3], 0 offset:236
	buffer_load_dword v238, off, s[0:3], 0 offset:240
	buffer_load_dword v239, off, s[0:3], 0 offset:244
	buffer_load_dword v240, off, s[0:3], 0 offset:248
	buffer_load_dword v241, off, s[0:3], 0 offset:252
	ds_read2_b64 v[18:21], v74 offset0:51 offset1:52
	ds_read2_b64 v[14:17], v74 offset0:53 offset1:54
	;; [unrolled: 1-line block ×5, first 2 shown]
	buffer_load_dword v242, off, s[0:3], 0 offset:256
	buffer_load_dword v243, off, s[0:3], 0 offset:260
	buffer_load_dword v244, off, s[0:3], 0 offset:264
	buffer_load_dword v245, off, s[0:3], 0 offset:268
	v_cmp_lt_u32_e32 vcc, 3, v0
	s_waitcnt vmcnt(59) lgkmcnt(4)
	v_mul_f32_e32 v22, v18, v70
	s_waitcnt vmcnt(58)
	v_mul_f32_e32 v23, v20, v75
	s_waitcnt vmcnt(57) lgkmcnt(3)
	v_mul_f32_e32 v24, v14, v176
	s_waitcnt vmcnt(56)
	v_mul_f32_e32 v25, v16, v178
	;; [unrolled: 4-line block ×4, first 2 shown]
	s_waitcnt vmcnt(51)
	v_fmac_f32_e32 v22, v19, v196
	s_waitcnt vmcnt(50)
	v_fmac_f32_e32 v23, v21, v197
	v_add_f32_e32 v22, 0, v22
	s_waitcnt vmcnt(49)
	v_fmac_f32_e32 v24, v15, v198
	v_add_f32_e32 v22, v22, v23
	;; [unrolled: 3-line block ×7, first 2 shown]
	v_add_f32_e32 v26, v22, v29
	ds_read2_b64 v[22:25], v74 offset0:61 offset1:62
	buffer_load_dword v246, off, s[0:3], 0 offset:272
	buffer_load_dword v247, off, s[0:3], 0 offset:276
	;; [unrolled: 1-line block ×4, first 2 shown]
	s_waitcnt vmcnt(47) lgkmcnt(1)
	v_mul_f32_e32 v27, v2, v204
	s_waitcnt vmcnt(46)
	v_fmac_f32_e32 v27, v3, v205
	v_add_f32_e32 v26, v26, v27
	s_waitcnt vmcnt(45)
	v_mul_f32_e32 v27, v4, v206
	s_waitcnt vmcnt(44)
	v_fmac_f32_e32 v27, v5, v207
	buffer_load_dword v250, off, s[0:3], 0 offset:288
	buffer_load_dword v251, off, s[0:3], 0 offset:292
	;; [unrolled: 1-line block ×4, first 2 shown]
	ds_read2_b64 v[34:37], v74 offset0:63 offset1:64
	ds_read2_b64 v[30:33], v74 offset0:65 offset1:66
	v_add_f32_e32 v26, v26, v27
	s_waitcnt vmcnt(47) lgkmcnt(2)
	v_mul_f32_e32 v27, v22, v208
	s_waitcnt vmcnt(44)
	v_fmac_f32_e32 v27, v23, v209
	v_add_f32_e32 v26, v26, v27
	s_waitcnt vmcnt(42)
	v_mul_f32_e32 v27, v24, v211
	v_fmac_f32_e32 v27, v25, v210
	v_add_f32_e32 v26, v26, v27
	s_waitcnt vmcnt(40) lgkmcnt(1)
	v_mul_f32_e32 v27, v34, v213
	v_fmac_f32_e32 v27, v35, v212
	v_add_f32_e32 v26, v26, v27
	s_waitcnt vmcnt(38)
	v_mul_f32_e32 v27, v36, v215
	v_fmac_f32_e32 v27, v37, v214
	ds_read2_b64 v[42:45], v74 offset0:67 offset1:68
	ds_read2_b64 v[38:41], v74 offset0:69 offset1:70
	v_add_f32_e32 v26, v26, v27
	s_waitcnt vmcnt(36) lgkmcnt(2)
	v_mul_f32_e32 v27, v30, v217
	v_fmac_f32_e32 v27, v31, v216
	v_add_f32_e32 v26, v26, v27
	s_waitcnt vmcnt(34)
	v_mul_f32_e32 v27, v32, v219
	v_fmac_f32_e32 v27, v33, v218
	v_add_f32_e32 v26, v26, v27
	s_waitcnt vmcnt(32) lgkmcnt(1)
	v_mul_f32_e32 v27, v42, v221
	v_fmac_f32_e32 v27, v43, v220
	v_add_f32_e32 v26, v26, v27
	s_waitcnt vmcnt(30)
	v_mul_f32_e32 v27, v44, v223
	v_fmac_f32_e32 v27, v45, v222
	ds_read2_b64 v[50:53], v74 offset0:71 offset1:72
	ds_read2_b64 v[46:49], v74 offset0:73 offset1:74
	v_add_f32_e32 v26, v26, v27
	s_waitcnt vmcnt(28) lgkmcnt(2)
	v_mul_f32_e32 v27, v38, v225
	;; [unrolled: 18-line block ×4, first 2 shown]
	v_fmac_f32_e32 v27, v55, v240
	v_add_f32_e32 v26, v26, v27
	s_waitcnt vmcnt(10)
	v_mul_f32_e32 v27, v56, v243
	v_fmac_f32_e32 v27, v57, v242
	v_add_f32_e32 v26, v26, v27
	s_waitcnt vmcnt(8) lgkmcnt(1)
	v_mul_f32_e32 v27, v168, v245
	v_fmac_f32_e32 v27, v169, v244
	v_add_f32_e32 v26, v26, v27
	v_mul_f32_e32 v19, v19, v70
	v_fma_f32 v18, v18, v196, -v19
	v_mul_f32_e32 v19, v21, v75
	s_waitcnt vmcnt(6)
	v_mul_f32_e32 v27, v170, v247
	v_fmac_f32_e32 v27, v171, v246
	v_add_f32_e32 v26, v26, v27
	s_waitcnt vmcnt(4) lgkmcnt(0)
	v_mul_f32_e32 v27, v62, v249
	v_fmac_f32_e32 v27, v63, v248
	v_add_f32_e32 v71, v26, v27
	ds_read2_b64 v[26:29], v74 offset0:83 offset1:84
	buffer_load_dword v69, off, s[0:3], 0 offset:316
	buffer_load_dword v68, off, s[0:3], 0 offset:312
	buffer_load_dword v73, off, s[0:3], 0 offset:308
	buffer_load_dword v72, off, s[0:3], 0 offset:304
	ds_read2_b64 v[172:175], v74 offset0:85 offset1:86
	buffer_load_dword v181, off, s[0:3], 0 offset:348
	buffer_load_dword v180, off, s[0:3], 0 offset:344
	;; [unrolled: 1-line block ×12, first 2 shown]
	v_add_f32_e32 v18, 0, v18
	v_fma_f32 v19, v20, v197, -v19
	v_mul_f32_e32 v15, v15, v176
	v_add_f32_e32 v18, v18, v19
	v_fma_f32 v14, v14, v198, -v15
	v_mul_f32_e32 v15, v17, v178
	;; [unrolled: 3-line block ×8, first 2 shown]
	v_add_f32_e32 v2, v6, v2
	v_fma_f32 v3, v4, v207, -v3
	v_add_f32_e32 v2, v2, v3
	v_mul_f32_e32 v3, v23, v208
	v_fma_f32 v3, v22, v209, -v3
	v_add_f32_e32 v2, v2, v3
	v_mul_f32_e32 v3, v25, v211
	;; [unrolled: 3-line block ×21, first 2 shown]
	v_fma_f32 v3, v62, v248, -v3
	s_waitcnt vmcnt(13)
	v_mov_b32_e32 v14, v73
	v_mul_f32_e32 v177, v64, v251
	v_add_f32_e32 v70, v2, v3
	v_mul_f32_e32 v2, v65, v251
	s_waitcnt lgkmcnt(1)
	v_pk_mul_f32 v[14:15], v[28:29], v[14:15] op_sel_hi:[1,0]
	v_fmac_f32_e32 v177, v65, v250
	v_mul_f32_e32 v179, v26, v253
	v_fma_f32 v176, v64, v250, -v2
	v_mul_f32_e32 v2, v27, v253
	s_waitcnt vmcnt(12)
	v_pk_fma_f32 v[16:17], v[28:29], v[72:73], v[14:15] op_sel:[0,0,1] op_sel_hi:[1,1,0] neg_lo:[0,0,1] neg_hi:[0,0,1]
	v_pk_fma_f32 v[14:15], v[28:29], v[72:73], v[14:15] op_sel:[0,0,1] op_sel_hi:[1,0,0]
	v_fmac_f32_e32 v179, v27, v252
	v_fma_f32 v178, v26, v252, -v2
	v_pk_add_f32 v[12:13], v[70:71], v[176:177]
	v_mov_b32_e32 v14, v69
	v_pk_add_f32 v[12:13], v[12:13], v[178:179]
	v_mov_b32_e32 v17, v15
	s_waitcnt lgkmcnt(0)
	v_pk_mul_f32 v[14:15], v[172:173], v[14:15] op_sel_hi:[1,0]
	v_pk_add_f32 v[12:13], v[12:13], v[16:17]
	v_pk_fma_f32 v[16:17], v[172:173], v[68:69], v[14:15] op_sel:[0,0,1] op_sel_hi:[1,1,0] neg_lo:[0,0,1] neg_hi:[0,0,1]
	v_pk_fma_f32 v[14:15], v[172:173], v[68:69], v[14:15] op_sel:[0,0,1] op_sel_hi:[1,0,0]
	s_waitcnt vmcnt(5)
	v_mov_b32_e32 v14, v187
	ds_read2_b64 v[2:5], v74 offset0:87 offset1:88
	ds_read2_b64 v[6:9], v74 offset0:89 offset1:90
	ds_read_b64 v[10:11], v74 offset:728
	v_mov_b32_e32 v17, v15
	v_pk_mul_f32 v[14:15], v[174:175], v[14:15] op_sel_hi:[1,0]
	v_pk_add_f32 v[12:13], v[12:13], v[16:17]
	s_waitcnt vmcnt(4)
	v_pk_fma_f32 v[16:17], v[174:175], v[186:187], v[14:15] op_sel:[0,0,1] op_sel_hi:[1,1,0] neg_lo:[0,0,1] neg_hi:[0,0,1]
	v_pk_fma_f32 v[14:15], v[174:175], v[186:187], v[14:15] op_sel:[0,0,1] op_sel_hi:[1,0,0]
	v_mov_b32_e32 v14, v185
	v_mov_b32_e32 v17, v15
	s_waitcnt lgkmcnt(2)
	v_pk_mul_f32 v[14:15], v[2:3], v[14:15] op_sel_hi:[1,0]
	v_pk_add_f32 v[12:13], v[12:13], v[16:17]
	v_pk_fma_f32 v[16:17], v[2:3], v[184:185], v[14:15] op_sel:[0,0,1] op_sel_hi:[1,1,0] neg_lo:[0,0,1] neg_hi:[0,0,1]
	v_pk_fma_f32 v[2:3], v[2:3], v[184:185], v[14:15] op_sel:[0,0,1] op_sel_hi:[1,0,0]
	v_mov_b32_e32 v17, v3
	v_pk_add_f32 v[2:3], v[12:13], v[16:17]
	v_mov_b32_e32 v12, v183
	v_pk_mul_f32 v[12:13], v[4:5], v[12:13] op_sel_hi:[1,0]
	v_pk_fma_f32 v[14:15], v[4:5], v[182:183], v[12:13] op_sel:[0,0,1] op_sel_hi:[1,1,0] neg_lo:[0,0,1] neg_hi:[0,0,1]
	v_pk_fma_f32 v[4:5], v[4:5], v[182:183], v[12:13] op_sel:[0,0,1] op_sel_hi:[1,0,0]
	v_mov_b32_e32 v4, v181
	v_mov_b32_e32 v15, v5
	s_waitcnt lgkmcnt(1)
	v_pk_mul_f32 v[4:5], v[6:7], v[4:5] op_sel_hi:[1,0]
	v_pk_fma_f32 v[12:13], v[6:7], v[180:181], v[4:5] op_sel:[0,0,1] op_sel_hi:[1,1,0] neg_lo:[0,0,1] neg_hi:[0,0,1]
	v_pk_fma_f32 v[4:5], v[6:7], v[180:181], v[4:5] op_sel:[0,0,1] op_sel_hi:[1,0,0]
	s_waitcnt vmcnt(1)
	v_mov_b32_e32 v4, v191
	v_mov_b32_e32 v13, v5
	v_pk_mul_f32 v[4:5], v[8:9], v[4:5] op_sel_hi:[1,0]
	s_waitcnt vmcnt(0)
	v_pk_fma_f32 v[6:7], v[8:9], v[190:191], v[4:5] op_sel:[0,0,1] op_sel_hi:[1,1,0] neg_lo:[0,0,1] neg_hi:[0,0,1]
	v_pk_fma_f32 v[4:5], v[8:9], v[190:191], v[4:5] op_sel:[0,0,1] op_sel_hi:[1,0,0]
	v_pk_add_f32 v[2:3], v[2:3], v[14:15]
	v_mov_b32_e32 v4, v189
	v_pk_add_f32 v[2:3], v[2:3], v[12:13]
	v_mov_b32_e32 v7, v5
	s_waitcnt lgkmcnt(0)
	v_pk_mul_f32 v[4:5], v[10:11], v[4:5] op_sel_hi:[1,0]
	v_pk_add_f32 v[2:3], v[2:3], v[6:7]
	v_pk_fma_f32 v[6:7], v[10:11], v[188:189], v[4:5] op_sel:[0,0,1] op_sel_hi:[1,1,0] neg_lo:[0,0,1] neg_hi:[0,0,1]
	v_pk_fma_f32 v[4:5], v[10:11], v[188:189], v[4:5] op_sel:[0,0,1] op_sel_hi:[1,0,0]
	v_mov_b32_e32 v7, v5
	v_pk_add_f32 v[2:3], v[2:3], v[6:7]
	v_pk_add_f32 v[2:3], v[66:67], v[2:3] neg_lo:[0,1] neg_hi:[0,1]
	buffer_store_dword v3, off, s[0:3], 0 offset:36
	buffer_store_dword v2, off, s[0:3], 0 offset:32
	s_and_saveexec_b64 s[4:5], vcc
	s_cbranch_execz .LBB109_283
; %bb.282:
	buffer_load_dword v2, off, s[0:3], 0 offset:24
	buffer_load_dword v3, off, s[0:3], 0 offset:28
	s_waitcnt vmcnt(0)
	ds_write_b64 v80, v[2:3]
	buffer_store_dword v74, off, s[0:3], 0 offset:24
	buffer_store_dword v74, off, s[0:3], 0 offset:28
.LBB109_283:
	s_or_b64 exec, exec, s[4:5]
	s_waitcnt lgkmcnt(0)
	; wave barrier
	s_waitcnt lgkmcnt(0)
	buffer_load_dword v75, off, s[0:3], 0 offset:36
	buffer_load_dword v172, off, s[0:3], 0 offset:44
	;; [unrolled: 1-line block ×24, first 2 shown]
	ds_read_b128 v[22:25], v74 offset:400
	ds_read_b128 v[18:21], v74 offset:416
	;; [unrolled: 1-line block ×4, first 2 shown]
	buffer_load_dword v210, off, s[0:3], 0 offset:120
	buffer_load_dword v211, off, s[0:3], 0 offset:124
	ds_read_b128 v[10:13], v74 offset:464
	ds_read_b128 v[2:5], v74 offset:480
	buffer_load_dword v212, off, s[0:3], 0 offset:128
	buffer_load_dword v213, off, s[0:3], 0 offset:132
	;; [unrolled: 1-line block ×44, first 2 shown]
	v_cmp_lt_u32_e32 vcc, 2, v0
	s_waitcnt vmcnt(62) lgkmcnt(5)
	v_mul_f32_e32 v28, v22, v75
	v_mul_f32_e32 v29, v24, v172
	s_waitcnt lgkmcnt(4)
	v_mul_f32_e32 v31, v20, v174
	s_waitcnt lgkmcnt(3)
	v_mul_f32_e32 v32, v14, v176
	v_mul_f32_e32 v33, v16, v192
	;; [unrolled: 1-line block ×3, first 2 shown]
	s_waitcnt lgkmcnt(2)
	v_mul_f32_e32 v34, v6, v194
	v_mul_f32_e32 v35, v8, v195
	s_waitcnt vmcnt(61)
	v_fmac_f32_e32 v30, v19, v196
	s_waitcnt vmcnt(60)
	v_fmac_f32_e32 v29, v25, v197
	;; [unrolled: 2-line block ×3, first 2 shown]
	v_add_f32_e32 v28, 0, v28
	v_add_f32_e32 v28, v28, v29
	;; [unrolled: 1-line block ×3, first 2 shown]
	s_waitcnt vmcnt(55)
	v_fmac_f32_e32 v31, v21, v202
	v_fmac_f32_e32 v32, v15, v201
	v_add_f32_e32 v28, v28, v31
	v_fmac_f32_e32 v33, v17, v200
	v_add_f32_e32 v28, v28, v32
	;; [unrolled: 2-line block ×3, first 2 shown]
	s_waitcnt vmcnt(51)
	v_fmac_f32_e32 v35, v9, v206
	v_add_f32_e32 v28, v28, v34
	s_waitcnt vmcnt(50) lgkmcnt(1)
	v_mul_f32_e32 v29, v10, v207
	v_add_f32_e32 v28, v28, v35
	v_fmac_f32_e32 v29, v11, v205
	v_add_f32_e32 v28, v28, v29
	s_waitcnt vmcnt(49)
	v_mul_f32_e32 v29, v12, v208
	v_fmac_f32_e32 v29, v13, v204
	v_add_f32_e32 v28, v28, v29
	s_waitcnt vmcnt(48) lgkmcnt(0)
	v_mul_f32_e32 v29, v2, v209
	v_fmac_f32_e32 v29, v3, v203
	v_add_f32_e32 v32, v28, v29
	ds_read_b128 v[28:31], v74 offset:496
	s_waitcnt vmcnt(44)
	v_mul_f32_e32 v33, v4, v211
	v_fmac_f32_e32 v33, v5, v210
	v_add_f32_e32 v36, v32, v33
	ds_read_b128 v[32:35], v74 offset:512
	s_waitcnt vmcnt(42) lgkmcnt(1)
	v_mul_f32_e32 v37, v28, v213
	v_fmac_f32_e32 v37, v29, v212
	v_add_f32_e32 v36, v36, v37
	s_waitcnt vmcnt(40)
	v_mul_f32_e32 v37, v30, v215
	v_fmac_f32_e32 v37, v31, v214
	v_add_f32_e32 v36, v36, v37
	s_waitcnt vmcnt(38) lgkmcnt(0)
	v_mul_f32_e32 v37, v32, v217
	v_fmac_f32_e32 v37, v33, v216
	v_add_f32_e32 v40, v36, v37
	ds_read_b128 v[36:39], v74 offset:528
	s_waitcnt vmcnt(36)
	v_mul_f32_e32 v41, v34, v219
	v_fmac_f32_e32 v41, v35, v218
	v_add_f32_e32 v44, v40, v41
	ds_read_b128 v[40:43], v74 offset:544
	s_waitcnt vmcnt(34) lgkmcnt(1)
	v_mul_f32_e32 v45, v36, v221
	;; [unrolled: 18-line block ×4, first 2 shown]
	v_fmac_f32_e32 v61, v53, v236
	v_add_f32_e32 v60, v60, v61
	s_waitcnt vmcnt(16)
	v_mul_f32_e32 v61, v54, v239
	v_fmac_f32_e32 v61, v55, v238
	v_add_f32_e32 v60, v60, v61
	s_waitcnt vmcnt(14) lgkmcnt(0)
	v_mul_f32_e32 v61, v56, v241
	v_fmac_f32_e32 v61, v57, v240
	v_add_f32_e32 v64, v60, v61
	ds_read_b128 v[60:63], v74 offset:624
	s_waitcnt vmcnt(12)
	v_mul_f32_e32 v65, v58, v243
	v_fmac_f32_e32 v65, v59, v242
	v_add_f32_e32 v68, v64, v65
	ds_read_b128 v[64:67], v74 offset:640
	buffer_load_dword v73, off, s[0:3], 0 offset:308
	buffer_load_dword v72, off, s[0:3], 0 offset:304
	s_waitcnt vmcnt(12) lgkmcnt(1)
	v_mul_f32_e32 v69, v60, v245
	v_fmac_f32_e32 v69, v61, v244
	v_add_f32_e32 v68, v68, v69
	s_waitcnt vmcnt(10)
	v_mul_f32_e32 v69, v62, v247
	v_fmac_f32_e32 v69, v63, v246
	v_add_f32_e32 v68, v68, v69
	s_waitcnt vmcnt(8) lgkmcnt(0)
	v_mul_f32_e32 v69, v64, v249
	v_fmac_f32_e32 v69, v65, v248
	s_waitcnt vmcnt(6)
	v_mul_f32_e32 v169, v66, v251
	v_add_f32_e32 v168, v68, v69
	v_fmac_f32_e32 v169, v67, v250
	ds_read_b128 v[68:71], v74 offset:656
	v_add_f32_e32 v173, v168, v169
	ds_read_b128 v[168:171], v74 offset:672
	buffer_load_dword v179, off, s[0:3], 0 offset:340
	buffer_load_dword v178, off, s[0:3], 0 offset:336
	;; [unrolled: 1-line block ×14, first 2 shown]
	v_mul_f32_e32 v23, v23, v75
	v_fma_f32 v22, v22, v198, -v23
	v_mul_f32_e32 v23, v25, v172
	v_add_f32_e32 v22, 0, v22
	v_fma_f32 v23, v24, v197, -v23
	v_mul_f32_e32 v19, v19, v193
	v_add_f32_e32 v22, v22, v23
	;; [unrolled: 3-line block ×7, first 2 shown]
	v_fma_f32 v7, v8, v206, -v7
	v_add_f32_e32 v6, v6, v7
	v_mul_f32_e32 v7, v11, v207
	v_fma_f32 v7, v10, v205, -v7
	v_add_f32_e32 v6, v6, v7
	v_mul_f32_e32 v7, v13, v208
	v_fma_f32 v7, v12, v204, -v7
	v_mul_f32_e32 v3, v3, v209
	v_add_f32_e32 v6, v6, v7
	v_fma_f32 v2, v2, v203, -v3
	v_mul_f32_e32 v3, v5, v211
	v_add_f32_e32 v2, v6, v2
	v_fma_f32 v3, v4, v210, -v3
	v_add_f32_e32 v2, v2, v3
	v_mul_f32_e32 v3, v29, v213
	v_fma_f32 v3, v28, v212, -v3
	v_add_f32_e32 v2, v2, v3
	v_mul_f32_e32 v3, v31, v215
	;; [unrolled: 3-line block ×20, first 2 shown]
	v_fma_f32 v3, v66, v250, -v3
	s_waitcnt vmcnt(15)
	v_mov_b32_e32 v16, v73
	s_waitcnt lgkmcnt(1)
	v_mul_f32_e32 v175, v68, v253
	v_add_f32_e32 v172, v2, v3
	v_mul_f32_e32 v2, v69, v253
	s_waitcnt lgkmcnt(0)
	v_pk_mul_f32 v[16:17], v[168:169], v[16:17] op_sel_hi:[1,0]
	v_fmac_f32_e32 v175, v69, v252
	v_mul_f32_e32 v177, v70, v255
	v_fma_f32 v174, v68, v252, -v2
	v_mul_f32_e32 v2, v71, v255
	s_waitcnt vmcnt(14)
	v_pk_fma_f32 v[18:19], v[168:169], v[72:73], v[16:17] op_sel:[0,0,1] op_sel_hi:[1,1,0] neg_lo:[0,0,1] neg_hi:[0,0,1]
	v_pk_fma_f32 v[16:17], v[168:169], v[72:73], v[16:17] op_sel:[0,0,1] op_sel_hi:[1,0,0]
	v_fmac_f32_e32 v177, v71, v254
	v_fma_f32 v176, v70, v254, -v2
	v_pk_add_f32 v[14:15], v[172:173], v[174:175]
	s_waitcnt vmcnt(7)
	v_mov_b32_e32 v16, v185
	ds_read_b128 v[2:5], v74 offset:688
	ds_read_b128 v[6:9], v74 offset:704
	;; [unrolled: 1-line block ×3, first 2 shown]
	v_pk_add_f32 v[14:15], v[14:15], v[176:177]
	v_mov_b32_e32 v19, v17
	v_pk_mul_f32 v[16:17], v[170:171], v[16:17] op_sel_hi:[1,0]
	v_pk_add_f32 v[14:15], v[14:15], v[18:19]
	s_waitcnt vmcnt(6)
	v_pk_fma_f32 v[18:19], v[170:171], v[184:185], v[16:17] op_sel:[0,0,1] op_sel_hi:[1,1,0] neg_lo:[0,0,1] neg_hi:[0,0,1]
	v_pk_fma_f32 v[16:17], v[170:171], v[184:185], v[16:17] op_sel:[0,0,1] op_sel_hi:[1,0,0]
	v_mov_b32_e32 v16, v183
	v_mov_b32_e32 v19, v17
	s_waitcnt lgkmcnt(2)
	v_pk_mul_f32 v[16:17], v[2:3], v[16:17] op_sel_hi:[1,0]
	v_pk_add_f32 v[14:15], v[14:15], v[18:19]
	v_pk_fma_f32 v[18:19], v[2:3], v[182:183], v[16:17] op_sel:[0,0,1] op_sel_hi:[1,1,0] neg_lo:[0,0,1] neg_hi:[0,0,1]
	v_pk_fma_f32 v[2:3], v[2:3], v[182:183], v[16:17] op_sel:[0,0,1] op_sel_hi:[1,0,0]
	v_mov_b32_e32 v19, v3
	v_pk_add_f32 v[2:3], v[14:15], v[18:19]
	v_mov_b32_e32 v14, v181
	v_pk_mul_f32 v[14:15], v[4:5], v[14:15] op_sel_hi:[1,0]
	v_pk_fma_f32 v[16:17], v[4:5], v[180:181], v[14:15] op_sel:[0,0,1] op_sel_hi:[1,1,0] neg_lo:[0,0,1] neg_hi:[0,0,1]
	v_pk_fma_f32 v[4:5], v[4:5], v[180:181], v[14:15] op_sel:[0,0,1] op_sel_hi:[1,0,0]
	v_mov_b32_e32 v4, v179
	v_mov_b32_e32 v17, v5
	s_waitcnt lgkmcnt(1)
	v_pk_mul_f32 v[4:5], v[6:7], v[4:5] op_sel_hi:[1,0]
	v_pk_fma_f32 v[14:15], v[6:7], v[178:179], v[4:5] op_sel:[0,0,1] op_sel_hi:[1,1,0] neg_lo:[0,0,1] neg_hi:[0,0,1]
	v_pk_fma_f32 v[4:5], v[6:7], v[178:179], v[4:5] op_sel:[0,0,1] op_sel_hi:[1,0,0]
	s_waitcnt vmcnt(1)
	v_mov_b32_e32 v4, v191
	v_mov_b32_e32 v15, v5
	v_pk_mul_f32 v[4:5], v[8:9], v[4:5] op_sel_hi:[1,0]
	s_waitcnt vmcnt(0)
	v_pk_fma_f32 v[6:7], v[8:9], v[190:191], v[4:5] op_sel:[0,0,1] op_sel_hi:[1,1,0] neg_lo:[0,0,1] neg_hi:[0,0,1]
	v_pk_fma_f32 v[4:5], v[8:9], v[190:191], v[4:5] op_sel:[0,0,1] op_sel_hi:[1,0,0]
	v_pk_add_f32 v[2:3], v[2:3], v[16:17]
	v_mov_b32_e32 v4, v189
	v_pk_add_f32 v[2:3], v[2:3], v[14:15]
	v_mov_b32_e32 v7, v5
	s_waitcnt lgkmcnt(0)
	v_pk_mul_f32 v[4:5], v[10:11], v[4:5] op_sel_hi:[1,0]
	v_pk_add_f32 v[2:3], v[2:3], v[6:7]
	v_pk_fma_f32 v[6:7], v[10:11], v[188:189], v[4:5] op_sel:[0,0,1] op_sel_hi:[1,1,0] neg_lo:[0,0,1] neg_hi:[0,0,1]
	v_pk_fma_f32 v[4:5], v[10:11], v[188:189], v[4:5] op_sel:[0,0,1] op_sel_hi:[1,0,0]
	v_mov_b32_e32 v4, v187
	v_mov_b32_e32 v7, v5
	v_pk_mul_f32 v[4:5], v[12:13], v[4:5] op_sel_hi:[1,0]
	v_pk_add_f32 v[2:3], v[2:3], v[6:7]
	v_pk_fma_f32 v[6:7], v[12:13], v[186:187], v[4:5] op_sel:[0,0,1] op_sel_hi:[1,1,0] neg_lo:[0,0,1] neg_hi:[0,0,1]
	v_pk_fma_f32 v[4:5], v[12:13], v[186:187], v[4:5] op_sel:[0,0,1] op_sel_hi:[1,0,0]
	v_mov_b32_e32 v7, v5
	v_pk_add_f32 v[2:3], v[2:3], v[6:7]
	v_pk_add_f32 v[2:3], v[26:27], v[2:3] neg_lo:[0,1] neg_hi:[0,1]
	buffer_store_dword v3, off, s[0:3], 0 offset:28
	buffer_store_dword v2, off, s[0:3], 0 offset:24
	s_and_saveexec_b64 s[4:5], vcc
	s_cbranch_execz .LBB109_285
; %bb.284:
	buffer_load_dword v2, off, s[0:3], 0 offset:16
	buffer_load_dword v3, off, s[0:3], 0 offset:20
	v_mov_b32_e32 v4, 0
	buffer_store_dword v4, off, s[0:3], 0 offset:16
	buffer_store_dword v4, off, s[0:3], 0 offset:20
	s_waitcnt vmcnt(2)
	ds_write_b64 v80, v[2:3]
.LBB109_285:
	s_or_b64 exec, exec, s[4:5]
	s_waitcnt lgkmcnt(0)
	; wave barrier
	s_waitcnt lgkmcnt(0)
	buffer_load_dword v29, off, s[0:3], 0 offset:28
	buffer_load_dword v74, off, s[0:3], 0 offset:36
	;; [unrolled: 1-line block ×56, first 2 shown]
	v_mov_b32_e32 v28, 0
	ds_read2_b64 v[4:7], v28 offset0:49 offset1:50
	ds_read2_b64 v[8:11], v28 offset0:51 offset1:52
	;; [unrolled: 1-line block ×6, first 2 shown]
	buffer_load_dword v242, off, s[0:3], 0 offset:240
	buffer_load_dword v243, off, s[0:3], 0 offset:244
	;; [unrolled: 1-line block ×16, first 2 shown]
	v_cmp_lt_u32_e32 vcc, 1, v0
	ds_read2_b64 v[168:171], v28 offset0:83 offset1:84
	s_waitcnt vmcnt(62) lgkmcnt(6)
	v_mul_f32_e32 v30, v4, v29
	v_mul_f32_e32 v31, v6, v74
	s_waitcnt lgkmcnt(5)
	v_mul_f32_e32 v33, v10, v172
	s_waitcnt lgkmcnt(4)
	v_mul_f32_e32 v34, v12, v174
	v_mul_f32_e32 v35, v14, v192
	;; [unrolled: 1-line block ×3, first 2 shown]
	s_waitcnt lgkmcnt(3)
	v_mul_f32_e32 v36, v16, v194
	v_mul_f32_e32 v37, v18, v195
	s_waitcnt lgkmcnt(2)
	v_mul_f32_e32 v38, v20, v196
	v_fmac_f32_e32 v32, v9, v197
	s_waitcnt vmcnt(61)
	v_fmac_f32_e32 v31, v7, v198
	s_waitcnt vmcnt(60)
	v_fmac_f32_e32 v30, v5, v199
	v_add_f32_e32 v30, 0, v30
	v_add_f32_e32 v30, v30, v31
	v_add_f32_e32 v30, v30, v32
	s_waitcnt vmcnt(56)
	v_fmac_f32_e32 v33, v11, v203
	v_fmac_f32_e32 v34, v13, v202
	v_add_f32_e32 v30, v30, v33
	v_fmac_f32_e32 v35, v15, v201
	v_add_f32_e32 v30, v30, v34
	;; [unrolled: 2-line block ×3, first 2 shown]
	s_waitcnt vmcnt(52)
	v_fmac_f32_e32 v37, v19, v207
	v_add_f32_e32 v30, v30, v36
	v_add_f32_e32 v30, v30, v37
	v_fmac_f32_e32 v38, v21, v206
	s_waitcnt vmcnt(51)
	v_mul_f32_e32 v31, v22, v208
	v_add_f32_e32 v30, v30, v38
	v_fmac_f32_e32 v31, v23, v205
	v_add_f32_e32 v30, v30, v31
	s_waitcnt vmcnt(50) lgkmcnt(1)
	v_mul_f32_e32 v31, v24, v209
	v_fmac_f32_e32 v31, v25, v204
	v_add_f32_e32 v34, v30, v31
	ds_read2_b64 v[30:33], v28 offset0:61 offset1:62
	s_waitcnt vmcnt(46)
	v_mul_f32_e32 v35, v26, v211
	v_fmac_f32_e32 v35, v27, v210
	v_add_f32_e32 v38, v34, v35
	ds_read2_b64 v[34:37], v28 offset0:63 offset1:64
	s_waitcnt vmcnt(44) lgkmcnt(1)
	v_mul_f32_e32 v39, v30, v213
	v_fmac_f32_e32 v39, v31, v212
	v_add_f32_e32 v38, v38, v39
	s_waitcnt vmcnt(42)
	v_mul_f32_e32 v39, v32, v215
	v_fmac_f32_e32 v39, v33, v214
	v_add_f32_e32 v38, v38, v39
	s_waitcnt vmcnt(40) lgkmcnt(0)
	v_mul_f32_e32 v39, v34, v217
	v_fmac_f32_e32 v39, v35, v216
	v_add_f32_e32 v42, v38, v39
	ds_read2_b64 v[38:41], v28 offset0:65 offset1:66
	s_waitcnt vmcnt(38)
	v_mul_f32_e32 v43, v36, v219
	v_fmac_f32_e32 v43, v37, v218
	v_add_f32_e32 v46, v42, v43
	ds_read2_b64 v[42:45], v28 offset0:67 offset1:68
	s_waitcnt vmcnt(36) lgkmcnt(1)
	v_mul_f32_e32 v47, v38, v221
	v_fmac_f32_e32 v47, v39, v220
	v_add_f32_e32 v46, v46, v47
	s_waitcnt vmcnt(34)
	v_mul_f32_e32 v47, v40, v223
	;; [unrolled: 18-line block ×5, first 2 shown]
	v_fmac_f32_e32 v71, v65, v246
	v_add_f32_e32 v70, v70, v71
	s_waitcnt vmcnt(8) lgkmcnt(0)
	v_mul_f32_e32 v71, v66, v249
	v_fmac_f32_e32 v71, v67, v248
	v_add_f32_e32 v75, v70, v71
	ds_read2_b64 v[70:73], v28 offset0:81 offset1:82
	buffer_load_dword v177, off, s[0:3], 0 offset:332
	buffer_load_dword v176, off, s[0:3], 0 offset:328
	;; [unrolled: 1-line block ×16, first 2 shown]
	v_mul_f32_e32 v5, v5, v29
	v_fma_f32 v4, v4, v199, -v5
	v_mul_f32_e32 v5, v7, v74
	v_add_f32_e32 v4, 0, v4
	v_fma_f32 v5, v6, v198, -v5
	v_add_f32_e32 v4, v4, v5
	v_mul_f32_e32 v5, v9, v193
	v_fma_f32 v5, v8, v197, -v5
	v_add_f32_e32 v4, v4, v5
	v_mul_f32_e32 v5, v11, v172
	;; [unrolled: 3-line block ×29, first 2 shown]
	v_fma_f32 v5, v66, v248, -v5
	v_add_f32_e32 v4, v4, v5
	s_waitcnt vmcnt(22)
	v_mul_f32_e32 v5, v69, v251
	v_fma_f32 v5, v68, v250, -v5
	v_mul_f32_e32 v77, v68, v251
	v_add_f32_e32 v4, v4, v5
	s_waitcnt vmcnt(20) lgkmcnt(0)
	v_mul_f32_e32 v5, v71, v253
	v_fmac_f32_e32 v77, v69, v250
	v_fma_f32 v5, v70, v252, -v5
	v_add_f32_e32 v75, v75, v77
	v_mul_f32_e32 v77, v70, v253
	v_add_f32_e32 v74, v4, v5
	s_waitcnt vmcnt(18)
	v_mul_f32_e32 v4, v73, v255
	s_waitcnt vmcnt(9)
	v_mov_b32_e32 v20, v183
	v_fmac_f32_e32 v77, v71, v252
	v_mul_f32_e32 v173, v72, v255
	v_fma_f32 v172, v72, v254, -v4
	v_mul_f32_e32 v4, v169, v76
	v_pk_mul_f32 v[20:21], v[170:171], v[20:21] op_sel_hi:[1,0]
	v_add_f32_e32 v75, v75, v77
	v_fmac_f32_e32 v173, v73, v254
	v_mul_f32_e32 v175, v168, v76
	v_fma_f32 v174, v168, v1, -v4
	ds_read2_b64 v[4:7], v28 offset0:85 offset1:86
	ds_read2_b64 v[8:11], v28 offset0:87 offset1:88
	;; [unrolled: 1-line block ×3, first 2 shown]
	ds_read_b64 v[16:17], v28 offset:728
	s_waitcnt vmcnt(8)
	v_pk_fma_f32 v[22:23], v[170:171], v[182:183], v[20:21] op_sel:[0,0,1] op_sel_hi:[1,1,0] neg_lo:[0,0,1] neg_hi:[0,0,1]
	v_pk_fma_f32 v[20:21], v[170:171], v[182:183], v[20:21] op_sel:[0,0,1] op_sel_hi:[1,0,0]
	v_fmac_f32_e32 v175, v169, v1
	v_pk_add_f32 v[18:19], v[74:75], v[172:173]
	v_mov_b32_e32 v20, v181
	v_pk_add_f32 v[18:19], v[18:19], v[174:175]
	v_mov_b32_e32 v23, v21
	s_waitcnt lgkmcnt(3)
	v_pk_mul_f32 v[20:21], v[4:5], v[20:21] op_sel_hi:[1,0]
	v_pk_add_f32 v[18:19], v[18:19], v[22:23]
	v_pk_fma_f32 v[22:23], v[4:5], v[180:181], v[20:21] op_sel:[0,0,1] op_sel_hi:[1,1,0] neg_lo:[0,0,1] neg_hi:[0,0,1]
	v_pk_fma_f32 v[4:5], v[4:5], v[180:181], v[20:21] op_sel:[0,0,1] op_sel_hi:[1,0,0]
	v_mov_b32_e32 v23, v5
	v_pk_add_f32 v[4:5], v[18:19], v[22:23]
	v_mov_b32_e32 v18, v179
	v_pk_mul_f32 v[18:19], v[6:7], v[18:19] op_sel_hi:[1,0]
	v_pk_fma_f32 v[20:21], v[6:7], v[178:179], v[18:19] op_sel:[0,0,1] op_sel_hi:[1,1,0] neg_lo:[0,0,1] neg_hi:[0,0,1]
	v_pk_fma_f32 v[6:7], v[6:7], v[178:179], v[18:19] op_sel:[0,0,1] op_sel_hi:[1,0,0]
	v_mov_b32_e32 v6, v177
	v_mov_b32_e32 v21, v7
	s_waitcnt lgkmcnt(2)
	v_pk_mul_f32 v[6:7], v[8:9], v[6:7] op_sel_hi:[1,0]
	v_pk_fma_f32 v[18:19], v[8:9], v[176:177], v[6:7] op_sel:[0,0,1] op_sel_hi:[1,1,0] neg_lo:[0,0,1] neg_hi:[0,0,1]
	v_pk_fma_f32 v[6:7], v[8:9], v[176:177], v[6:7] op_sel:[0,0,1] op_sel_hi:[1,0,0]
	s_waitcnt vmcnt(1)
	v_mov_b32_e32 v6, v191
	v_mov_b32_e32 v19, v7
	v_pk_mul_f32 v[6:7], v[10:11], v[6:7] op_sel_hi:[1,0]
	s_waitcnt vmcnt(0)
	v_pk_fma_f32 v[8:9], v[10:11], v[190:191], v[6:7] op_sel:[0,0,1] op_sel_hi:[1,1,0] neg_lo:[0,0,1] neg_hi:[0,0,1]
	v_pk_fma_f32 v[6:7], v[10:11], v[190:191], v[6:7] op_sel:[0,0,1] op_sel_hi:[1,0,0]
	v_pk_add_f32 v[4:5], v[4:5], v[20:21]
	v_mov_b32_e32 v6, v189
	v_pk_add_f32 v[4:5], v[4:5], v[18:19]
	v_mov_b32_e32 v9, v7
	s_waitcnt lgkmcnt(1)
	v_pk_mul_f32 v[6:7], v[12:13], v[6:7] op_sel_hi:[1,0]
	v_pk_add_f32 v[4:5], v[4:5], v[8:9]
	v_pk_fma_f32 v[8:9], v[12:13], v[188:189], v[6:7] op_sel:[0,0,1] op_sel_hi:[1,1,0] neg_lo:[0,0,1] neg_hi:[0,0,1]
	v_pk_fma_f32 v[6:7], v[12:13], v[188:189], v[6:7] op_sel:[0,0,1] op_sel_hi:[1,0,0]
	v_mov_b32_e32 v6, v187
	v_mov_b32_e32 v9, v7
	v_pk_mul_f32 v[6:7], v[14:15], v[6:7] op_sel_hi:[1,0]
	v_pk_add_f32 v[4:5], v[4:5], v[8:9]
	v_pk_fma_f32 v[8:9], v[14:15], v[186:187], v[6:7] op_sel:[0,0,1] op_sel_hi:[1,1,0] neg_lo:[0,0,1] neg_hi:[0,0,1]
	v_pk_fma_f32 v[6:7], v[14:15], v[186:187], v[6:7] op_sel:[0,0,1] op_sel_hi:[1,0,0]
	v_mov_b32_e32 v6, v185
	v_mov_b32_e32 v9, v7
	s_waitcnt lgkmcnt(0)
	v_pk_mul_f32 v[6:7], v[16:17], v[6:7] op_sel_hi:[1,0]
	v_pk_add_f32 v[4:5], v[4:5], v[8:9]
	v_pk_fma_f32 v[8:9], v[16:17], v[184:185], v[6:7] op_sel:[0,0,1] op_sel_hi:[1,1,0] neg_lo:[0,0,1] neg_hi:[0,0,1]
	v_pk_fma_f32 v[6:7], v[16:17], v[184:185], v[6:7] op_sel:[0,0,1] op_sel_hi:[1,0,0]
	v_mov_b32_e32 v9, v7
	v_pk_add_f32 v[4:5], v[4:5], v[8:9]
	v_pk_add_f32 v[2:3], v[2:3], v[4:5] neg_lo:[0,1] neg_hi:[0,1]
	buffer_store_dword v3, off, s[0:3], 0 offset:20
	buffer_store_dword v2, off, s[0:3], 0 offset:16
	s_and_saveexec_b64 s[4:5], vcc
	s_cbranch_execz .LBB109_287
; %bb.286:
	buffer_load_dword v2, off, s[0:3], 0 offset:8
	buffer_load_dword v3, off, s[0:3], 0 offset:12
	s_waitcnt vmcnt(0)
	ds_write_b64 v80, v[2:3]
	buffer_store_dword v28, off, s[0:3], 0 offset:8
	buffer_store_dword v28, off, s[0:3], 0 offset:12
.LBB109_287:
	s_or_b64 exec, exec, s[4:5]
	s_waitcnt lgkmcnt(0)
	; wave barrier
	s_waitcnt lgkmcnt(0)
	buffer_load_dword v1, off, s[0:3], 0 offset:20
	buffer_load_dword v29, off, s[0:3], 0 offset:28
	;; [unrolled: 1-line block ×26, first 2 shown]
	ds_read_b128 v[22:25], v28 offset:384
	ds_read_b128 v[18:21], v28 offset:400
	;; [unrolled: 1-line block ×6, first 2 shown]
	buffer_load_dword v209, off, s[0:3], 0 offset:112
	buffer_load_dword v210, off, s[0:3], 0 offset:116
	;; [unrolled: 1-line block ×42, first 2 shown]
	v_cmp_ne_u32_e32 vcc, 0, v0
	s_waitcnt vmcnt(62) lgkmcnt(5)
	v_mul_f32_e32 v30, v22, v1
	v_mul_f32_e32 v31, v24, v29
	s_waitcnt lgkmcnt(4)
	v_mul_f32_e32 v33, v20, v74
	s_waitcnt lgkmcnt(3)
	v_mul_f32_e32 v34, v14, v76
	v_mul_f32_e32 v35, v16, v77
	;; [unrolled: 1-line block ×3, first 2 shown]
	s_waitcnt vmcnt(61) lgkmcnt(2)
	v_mul_f32_e32 v36, v10, v180
	s_waitcnt vmcnt(60)
	v_mul_f32_e32 v37, v12, v192
	s_waitcnt vmcnt(59) lgkmcnt(1)
	v_mul_f32_e32 v38, v6, v193
	s_waitcnt vmcnt(58)
	v_fmac_f32_e32 v32, v19, v194
	s_waitcnt vmcnt(57)
	v_fmac_f32_e32 v31, v25, v195
	;; [unrolled: 2-line block ×3, first 2 shown]
	v_add_f32_e32 v30, 0, v30
	v_add_f32_e32 v30, v30, v31
	;; [unrolled: 1-line block ×3, first 2 shown]
	s_waitcnt vmcnt(52)
	v_fmac_f32_e32 v33, v21, v200
	v_fmac_f32_e32 v34, v15, v199
	v_add_f32_e32 v30, v30, v33
	v_fmac_f32_e32 v35, v17, v198
	v_add_f32_e32 v30, v30, v34
	;; [unrolled: 2-line block ×3, first 2 shown]
	s_waitcnt vmcnt(48)
	v_fmac_f32_e32 v37, v13, v204
	v_add_f32_e32 v30, v30, v36
	v_fmac_f32_e32 v38, v7, v203
	v_add_f32_e32 v30, v30, v37
	s_waitcnt vmcnt(47)
	v_mul_f32_e32 v31, v8, v205
	v_add_f32_e32 v30, v30, v38
	v_fmac_f32_e32 v31, v9, v202
	v_add_f32_e32 v30, v30, v31
	s_waitcnt vmcnt(46) lgkmcnt(0)
	v_mul_f32_e32 v31, v2, v206
	v_fmac_f32_e32 v31, v3, v201
	v_add_f32_e32 v34, v30, v31
	ds_read_b128 v[30:33], v28 offset:480
	s_waitcnt vmcnt(42)
	v_mul_f32_e32 v35, v4, v208
	v_fmac_f32_e32 v35, v5, v207
	buffer_load_dword v251, off, s[0:3], 0 offset:280
	buffer_load_dword v252, off, s[0:3], 0 offset:284
	v_add_f32_e32 v38, v34, v35
	buffer_load_dword v253, off, s[0:3], 0 offset:288
	buffer_load_dword v254, off, s[0:3], 0 offset:292
	ds_read_b128 v[34:37], v28 offset:496
	s_waitcnt vmcnt(44) lgkmcnt(1)
	v_mul_f32_e32 v39, v30, v210
	v_fmac_f32_e32 v39, v31, v209
	v_add_f32_e32 v38, v38, v39
	s_waitcnt vmcnt(42)
	v_mul_f32_e32 v39, v32, v212
	v_fmac_f32_e32 v39, v33, v211
	v_add_f32_e32 v38, v38, v39
	s_waitcnt vmcnt(40) lgkmcnt(0)
	v_mul_f32_e32 v39, v34, v214
	v_fmac_f32_e32 v39, v35, v213
	buffer_load_dword v255, off, s[0:3], 0 offset:296
	buffer_load_dword v78, off, s[0:3], 0 offset:300
	v_add_f32_e32 v42, v38, v39
	ds_read_b128 v[38:41], v28 offset:512
	s_waitcnt vmcnt(40)
	v_mul_f32_e32 v43, v36, v216
	v_fmac_f32_e32 v43, v37, v215
	v_add_f32_e32 v46, v42, v43
	ds_read_b128 v[42:45], v28 offset:528
	s_waitcnt vmcnt(38) lgkmcnt(1)
	v_mul_f32_e32 v47, v38, v218
	v_fmac_f32_e32 v47, v39, v217
	v_add_f32_e32 v46, v46, v47
	s_waitcnt vmcnt(36)
	v_mul_f32_e32 v47, v40, v220
	v_fmac_f32_e32 v47, v41, v219
	v_add_f32_e32 v46, v46, v47
	s_waitcnt vmcnt(34) lgkmcnt(0)
	v_mul_f32_e32 v47, v42, v222
	v_fmac_f32_e32 v47, v43, v221
	v_add_f32_e32 v50, v46, v47
	ds_read_b128 v[46:49], v28 offset:544
	s_waitcnt vmcnt(32)
	v_mul_f32_e32 v51, v44, v224
	v_fmac_f32_e32 v51, v45, v223
	v_add_f32_e32 v54, v50, v51
	ds_read_b128 v[50:53], v28 offset:560
	s_waitcnt vmcnt(30) lgkmcnt(1)
	v_mul_f32_e32 v55, v46, v226
	v_fmac_f32_e32 v55, v47, v225
	v_add_f32_e32 v54, v54, v55
	s_waitcnt vmcnt(28)
	v_mul_f32_e32 v55, v48, v228
	v_fmac_f32_e32 v55, v49, v227
	v_add_f32_e32 v54, v54, v55
	s_waitcnt vmcnt(26) lgkmcnt(0)
	v_mul_f32_e32 v55, v50, v230
	v_fmac_f32_e32 v55, v51, v229
	;; [unrolled: 18-line block ×4, first 2 shown]
	v_add_f32_e32 v75, v70, v71
	ds_read_b128 v[70:73], v28 offset:640
	ds_read_b128 v[168:171], v28 offset:656
	buffer_load_dword v175, off, s[0:3], 0 offset:324
	buffer_load_dword v174, off, s[0:3], 0 offset:320
	buffer_load_dword v177, off, s[0:3], 0 offset:316
	buffer_load_dword v176, off, s[0:3], 0 offset:312
	buffer_load_dword v179, off, s[0:3], 0 offset:308
	buffer_load_dword v178, off, s[0:3], 0 offset:304
	buffer_load_dword v183, off, s[0:3], 0 offset:356
	buffer_load_dword v182, off, s[0:3], 0 offset:352
	buffer_load_dword v185, off, s[0:3], 0 offset:348
	buffer_load_dword v184, off, s[0:3], 0 offset:344
	buffer_load_dword v187, off, s[0:3], 0 offset:340
	buffer_load_dword v186, off, s[0:3], 0 offset:336
	buffer_load_dword v189, off, s[0:3], 0 offset:332
	buffer_load_dword v188, off, s[0:3], 0 offset:328
	buffer_load_dword v191, off, s[0:3], 0 offset:364
	buffer_load_dword v190, off, s[0:3], 0 offset:360
	v_mul_f32_e32 v1, v23, v1
	v_fma_f32 v1, v22, v196, -v1
	v_mul_f32_e32 v22, v25, v29
	v_add_f32_e32 v1, 0, v1
	v_fma_f32 v22, v24, v195, -v22
	v_mul_f32_e32 v19, v19, v172
	v_add_f32_e32 v1, v1, v22
	v_fma_f32 v18, v18, v194, -v19
	v_add_f32_e32 v1, v1, v18
	v_mul_f32_e32 v18, v21, v74
	v_fma_f32 v18, v20, v200, -v18
	v_mul_f32_e32 v15, v15, v76
	v_add_f32_e32 v1, v1, v18
	v_fma_f32 v14, v14, v199, -v15
	v_add_f32_e32 v1, v1, v14
	v_mul_f32_e32 v14, v17, v77
	;; [unrolled: 6-line block ×5, first 2 shown]
	v_fma_f32 v2, v4, v207, -v2
	v_add_f32_e32 v1, v1, v2
	v_mul_f32_e32 v2, v31, v210
	v_fma_f32 v2, v30, v209, -v2
	v_add_f32_e32 v1, v1, v2
	v_mul_f32_e32 v2, v33, v212
	;; [unrolled: 3-line block ×19, first 2 shown]
	v_fma_f32 v2, v66, v245, -v2
	v_add_f32_e32 v1, v1, v2
	s_waitcnt vmcnt(24)
	v_mul_f32_e32 v2, v69, v248
	v_fma_f32 v2, v68, v247, -v2
	v_mul_f32_e32 v79, v68, v248
	v_add_f32_e32 v1, v1, v2
	s_waitcnt vmcnt(22) lgkmcnt(1)
	v_mul_f32_e32 v2, v71, v250
	v_fmac_f32_e32 v79, v69, v247
	v_fma_f32 v2, v70, v249, -v2
	v_add_f32_e32 v75, v75, v79
	v_mul_f32_e32 v79, v70, v250
	v_add_f32_e32 v1, v1, v2
	s_waitcnt vmcnt(20)
	v_mul_f32_e32 v2, v73, v252
	v_fmac_f32_e32 v79, v71, v249
	v_fma_f32 v2, v72, v251, -v2
	v_add_f32_e32 v75, v75, v79
	v_mul_f32_e32 v79, v72, v252
	v_add_f32_e32 v74, v1, v2
	ds_read_b128 v[2:5], v28 offset:672
	ds_read_b128 v[6:9], v28 offset:688
	ds_read_b128 v[10:13], v28 offset:704
	ds_read_b128 v[14:17], v28 offset:720
	v_fmac_f32_e32 v79, v73, v251
	s_waitcnt vmcnt(18) lgkmcnt(4)
	v_mul_f32_e32 v173, v168, v254
	v_mul_f32_e32 v1, v169, v254
	s_waitcnt vmcnt(11)
	v_mov_b32_e32 v20, v179
	v_add_f32_e32 v75, v75, v79
	v_fmac_f32_e32 v173, v169, v253
	v_mul_f32_e32 v181, v170, v78
	v_fma_f32 v172, v168, v253, -v1
	v_mul_f32_e32 v1, v171, v78
	s_waitcnt lgkmcnt(3)
	v_pk_mul_f32 v[20:21], v[2:3], v[20:21] op_sel_hi:[1,0]
	v_fmac_f32_e32 v181, v171, v255
	v_fma_f32 v180, v170, v255, -v1
	v_pk_add_f32 v[18:19], v[74:75], v[172:173]
	s_waitcnt vmcnt(10)
	v_pk_fma_f32 v[22:23], v[2:3], v[178:179], v[20:21] op_sel:[0,0,1] op_sel_hi:[1,1,0] neg_lo:[0,0,1] neg_hi:[0,0,1]
	v_pk_fma_f32 v[2:3], v[2:3], v[178:179], v[20:21] op_sel:[0,0,1] op_sel_hi:[1,0,0]
	v_pk_add_f32 v[18:19], v[18:19], v[180:181]
	v_mov_b32_e32 v23, v3
	v_pk_add_f32 v[2:3], v[18:19], v[22:23]
	v_mov_b32_e32 v18, v177
	v_pk_mul_f32 v[18:19], v[4:5], v[18:19] op_sel_hi:[1,0]
	v_pk_fma_f32 v[20:21], v[4:5], v[176:177], v[18:19] op_sel:[0,0,1] op_sel_hi:[1,1,0] neg_lo:[0,0,1] neg_hi:[0,0,1]
	v_pk_fma_f32 v[4:5], v[4:5], v[176:177], v[18:19] op_sel:[0,0,1] op_sel_hi:[1,0,0]
	v_mov_b32_e32 v4, v175
	v_mov_b32_e32 v21, v5
	s_waitcnt lgkmcnt(2)
	v_pk_mul_f32 v[4:5], v[6:7], v[4:5] op_sel_hi:[1,0]
	v_pk_fma_f32 v[18:19], v[6:7], v[174:175], v[4:5] op_sel:[0,0,1] op_sel_hi:[1,1,0] neg_lo:[0,0,1] neg_hi:[0,0,1]
	v_pk_fma_f32 v[4:5], v[6:7], v[174:175], v[4:5] op_sel:[0,0,1] op_sel_hi:[1,0,0]
	s_waitcnt vmcnt(3)
	v_mov_b32_e32 v4, v189
	v_mov_b32_e32 v19, v5
	v_pk_mul_f32 v[4:5], v[8:9], v[4:5] op_sel_hi:[1,0]
	s_waitcnt vmcnt(2)
	v_pk_fma_f32 v[6:7], v[8:9], v[188:189], v[4:5] op_sel:[0,0,1] op_sel_hi:[1,1,0] neg_lo:[0,0,1] neg_hi:[0,0,1]
	v_pk_fma_f32 v[4:5], v[8:9], v[188:189], v[4:5] op_sel:[0,0,1] op_sel_hi:[1,0,0]
	v_pk_add_f32 v[2:3], v[2:3], v[20:21]
	v_mov_b32_e32 v4, v187
	v_pk_add_f32 v[2:3], v[2:3], v[18:19]
	v_mov_b32_e32 v7, v5
	s_waitcnt lgkmcnt(1)
	v_pk_mul_f32 v[4:5], v[10:11], v[4:5] op_sel_hi:[1,0]
	v_pk_add_f32 v[2:3], v[2:3], v[6:7]
	v_pk_fma_f32 v[6:7], v[10:11], v[186:187], v[4:5] op_sel:[0,0,1] op_sel_hi:[1,1,0] neg_lo:[0,0,1] neg_hi:[0,0,1]
	v_pk_fma_f32 v[4:5], v[10:11], v[186:187], v[4:5] op_sel:[0,0,1] op_sel_hi:[1,0,0]
	v_mov_b32_e32 v4, v185
	v_mov_b32_e32 v7, v5
	v_pk_mul_f32 v[4:5], v[12:13], v[4:5] op_sel_hi:[1,0]
	v_pk_add_f32 v[2:3], v[2:3], v[6:7]
	v_pk_fma_f32 v[6:7], v[12:13], v[184:185], v[4:5] op_sel:[0,0,1] op_sel_hi:[1,1,0] neg_lo:[0,0,1] neg_hi:[0,0,1]
	v_pk_fma_f32 v[4:5], v[12:13], v[184:185], v[4:5] op_sel:[0,0,1] op_sel_hi:[1,0,0]
	v_mov_b32_e32 v4, v183
	v_mov_b32_e32 v7, v5
	s_waitcnt lgkmcnt(0)
	v_pk_mul_f32 v[4:5], v[14:15], v[4:5] op_sel_hi:[1,0]
	v_pk_add_f32 v[2:3], v[2:3], v[6:7]
	v_pk_fma_f32 v[6:7], v[14:15], v[182:183], v[4:5] op_sel:[0,0,1] op_sel_hi:[1,1,0] neg_lo:[0,0,1] neg_hi:[0,0,1]
	v_pk_fma_f32 v[4:5], v[14:15], v[182:183], v[4:5] op_sel:[0,0,1] op_sel_hi:[1,0,0]
	s_waitcnt vmcnt(1)
	v_mov_b32_e32 v4, v191
	v_mov_b32_e32 v7, v5
	v_pk_mul_f32 v[4:5], v[16:17], v[4:5] op_sel_hi:[1,0]
	v_pk_add_f32 v[2:3], v[2:3], v[6:7]
	s_waitcnt vmcnt(0)
	v_pk_fma_f32 v[6:7], v[16:17], v[190:191], v[4:5] op_sel:[0,0,1] op_sel_hi:[1,1,0] neg_lo:[0,0,1] neg_hi:[0,0,1]
	v_pk_fma_f32 v[4:5], v[16:17], v[190:191], v[4:5] op_sel:[0,0,1] op_sel_hi:[1,0,0]
	v_mov_b32_e32 v7, v5
	v_pk_add_f32 v[2:3], v[2:3], v[6:7]
	v_pk_add_f32 v[2:3], v[26:27], v[2:3] neg_lo:[0,1] neg_hi:[0,1]
	buffer_store_dword v3, off, s[0:3], 0 offset:12
	buffer_store_dword v2, off, s[0:3], 0 offset:8
	s_and_saveexec_b64 s[4:5], vcc
	s_cbranch_execz .LBB109_289
; %bb.288:
	buffer_load_dword v2, off, s[0:3], 0
	buffer_load_dword v3, off, s[0:3], 0 offset:4
	v_mov_b32_e32 v0, 0
	buffer_store_dword v0, off, s[0:3], 0
	buffer_store_dword v0, off, s[0:3], 0 offset:4
	s_waitcnt vmcnt(2)
	ds_write_b64 v80, v[2:3]
.LBB109_289:
	s_or_b64 exec, exec, s[4:5]
	v_mov_b32_e32 v192, 0
	s_waitcnt lgkmcnt(0)
	; wave barrier
	s_waitcnt lgkmcnt(0)
	ds_read2_b64 v[0:3], v192 offset0:47 offset1:48
	buffer_load_dword v168, off, s[0:3], 0
	buffer_load_dword v169, off, s[0:3], 0 offset:4
	buffer_load_dword v170, off, s[0:3], 0 offset:8
	;; [unrolled: 1-line block ×15, first 2 shown]
	s_and_b64 vcc, exec, s[16:17]
	s_waitcnt vmcnt(12) lgkmcnt(0)
	v_mul_f32_e32 v4, v0, v193
	v_fmac_f32_e32 v4, v1, v170
	s_waitcnt vmcnt(10)
	v_mul_f32_e32 v5, v2, v195
	v_add_f32_e32 v4, 0, v4
	v_fmac_f32_e32 v5, v3, v172
	v_add_f32_e32 v8, v4, v5
	ds_read2_b64 v[4:7], v192 offset0:49 offset1:50
	v_mul_f32_e32 v1, v1, v193
	v_fma_f32 v0, v0, v170, -v1
	v_mul_f32_e32 v1, v3, v195
	v_add_f32_e32 v0, 0, v0
	s_waitcnt vmcnt(8) lgkmcnt(0)
	v_mul_f32_e32 v9, v4, v197
	v_fmac_f32_e32 v9, v5, v176
	v_add_f32_e32 v8, v8, v9
	s_waitcnt vmcnt(6)
	v_mul_f32_e32 v9, v6, v199
	v_fmac_f32_e32 v9, v7, v194
	v_add_f32_e32 v12, v8, v9
	ds_read2_b64 v[8:11], v192 offset0:51 offset1:52
	v_fma_f32 v1, v2, v172, -v1
	v_add_f32_e32 v0, v0, v1
	v_mul_f32_e32 v1, v5, v197
	v_fma_f32 v1, v4, v176, -v1
	s_waitcnt vmcnt(4) lgkmcnt(0)
	v_mul_f32_e32 v13, v8, v201
	v_fmac_f32_e32 v13, v9, v196
	v_add_f32_e32 v12, v12, v13
	s_waitcnt vmcnt(2)
	v_mul_f32_e32 v13, v10, v202
	v_fmac_f32_e32 v13, v11, v198
	v_add_f32_e32 v16, v12, v13
	ds_read2_b64 v[12:15], v192 offset0:53 offset1:54
	buffer_load_dword v204, off, s[0:3], 0 offset:64
	buffer_load_dword v205, off, s[0:3], 0 offset:68
	v_add_f32_e32 v0, v0, v1
	v_mul_f32_e32 v1, v7, v199
	v_fma_f32 v1, v6, v194, -v1
	s_waitcnt vmcnt(2) lgkmcnt(0)
	v_mul_f32_e32 v17, v12, v203
	v_fmac_f32_e32 v17, v13, v200
	v_add_f32_e32 v16, v16, v17
	v_add_f32_e32 v0, v0, v1
	v_mul_f32_e32 v1, v9, v201
	v_fma_f32 v1, v8, v196, -v1
	v_add_f32_e32 v0, v0, v1
	v_mul_f32_e32 v1, v11, v202
	v_fma_f32 v1, v10, v198, -v1
	;; [unrolled: 3-line block ×3, first 2 shown]
	v_add_f32_e32 v0, v0, v1
	s_waitcnt vmcnt(0)
	v_mul_f32_e32 v17, v14, v205
	v_fmac_f32_e32 v17, v15, v204
	v_add_f32_e32 v20, v16, v17
	ds_read2_b64 v[16:19], v192 offset0:55 offset1:56
	buffer_load_dword v206, off, s[0:3], 0 offset:72
	buffer_load_dword v207, off, s[0:3], 0 offset:76
	;; [unrolled: 1-line block ×4, first 2 shown]
	v_mul_f32_e32 v1, v15, v205
	v_fma_f32 v1, v14, v204, -v1
	v_add_f32_e32 v0, v0, v1
	s_waitcnt vmcnt(2) lgkmcnt(0)
	v_mul_f32_e32 v21, v16, v207
	v_fmac_f32_e32 v21, v17, v206
	v_add_f32_e32 v20, v20, v21
	s_waitcnt vmcnt(0)
	v_mul_f32_e32 v21, v18, v209
	v_fmac_f32_e32 v21, v19, v208
	v_add_f32_e32 v24, v20, v21
	ds_read2_b64 v[20:23], v192 offset0:57 offset1:58
	buffer_load_dword v210, off, s[0:3], 0 offset:88
	buffer_load_dword v211, off, s[0:3], 0 offset:92
	buffer_load_dword v212, off, s[0:3], 0 offset:96
	buffer_load_dword v213, off, s[0:3], 0 offset:100
	ds_read2_b64 v[28:31], v192 offset0:59 offset1:60
	buffer_load_dword v214, off, s[0:3], 0 offset:104
	buffer_load_dword v215, off, s[0:3], 0 offset:108
	buffer_load_dword v216, off, s[0:3], 0 offset:112
	buffer_load_dword v217, off, s[0:3], 0 offset:116
	;; [unrolled: 5-line block ×13, first 2 shown]
	v_mul_f32_e32 v1, v17, v207
	v_fma_f32 v1, v16, v206, -v1
	v_add_f32_e32 v0, v0, v1
	v_mul_f32_e32 v1, v19, v209
	v_fma_f32 v1, v18, v208, -v1
	v_add_f32_e32 v0, v0, v1
	s_waitcnt vmcnt(50) lgkmcnt(12)
	v_mul_f32_e32 v25, v20, v211
	v_fmac_f32_e32 v25, v21, v210
	v_add_f32_e32 v24, v24, v25
	s_waitcnt vmcnt(48)
	v_mul_f32_e32 v25, v22, v213
	v_fmac_f32_e32 v25, v23, v212
	v_add_f32_e32 v24, v24, v25
	s_waitcnt vmcnt(46) lgkmcnt(11)
	v_mul_f32_e32 v25, v28, v215
	v_fmac_f32_e32 v25, v29, v214
	v_add_f32_e32 v24, v24, v25
	s_waitcnt vmcnt(44)
	v_mul_f32_e32 v25, v30, v217
	v_fmac_f32_e32 v25, v31, v216
	;; [unrolled: 8-line block ×12, first 2 shown]
	v_add_f32_e32 v24, v24, v25
	s_waitcnt vmcnt(2) lgkmcnt(0)
	v_mul_f32_e32 v25, v72, v255
	v_fmac_f32_e32 v25, v73, v254
	v_add_f32_e32 v171, v24, v25
	ds_read2_b64 v[24:27], v192 offset0:83 offset1:84
	buffer_load_dword v82, off, s[0:3], 0 offset:296
	buffer_load_dword v83, off, s[0:3], 0 offset:300
	;; [unrolled: 1-line block ×18, first 2 shown]
	v_mul_f32_e32 v1, v21, v211
	v_fma_f32 v1, v20, v210, -v1
	v_add_f32_e32 v0, v0, v1
	v_mul_f32_e32 v1, v23, v213
	v_fma_f32 v1, v22, v212, -v1
	v_add_f32_e32 v0, v0, v1
	;; [unrolled: 3-line block ×25, first 2 shown]
	s_waitcnt vmcnt(18)
	v_mul_f32_e32 v0, v75, v81
	s_waitcnt vmcnt(15)
	v_mov_b32_e32 v16, v175
	v_mul_f32_e32 v173, v74, v81
	v_fma_f32 v172, v74, v80, -v0
	s_waitcnt lgkmcnt(0)
	v_mul_f32_e32 v0, v25, v83
	v_pk_mul_f32 v[16:17], v[26:27], v[16:17] op_sel_hi:[1,0]
	v_fmac_f32_e32 v173, v75, v80
	v_mul_f32_e32 v177, v24, v83
	v_fma_f32 v176, v24, v82, -v0
	ds_read2_b64 v[0:3], v192 offset0:85 offset1:86
	ds_read2_b64 v[4:7], v192 offset0:87 offset1:88
	;; [unrolled: 1-line block ×3, first 2 shown]
	ds_read_b64 v[12:13], v192 offset:728
	s_waitcnt vmcnt(14)
	v_pk_fma_f32 v[18:19], v[26:27], v[174:175], v[16:17] op_sel:[0,0,1] op_sel_hi:[1,1,0] neg_lo:[0,0,1] neg_hi:[0,0,1]
	v_pk_fma_f32 v[16:17], v[26:27], v[174:175], v[16:17] op_sel:[0,0,1] op_sel_hi:[1,0,0]
	v_fmac_f32_e32 v177, v25, v82
	v_pk_add_f32 v[14:15], v[170:171], v[172:173]
	s_waitcnt vmcnt(13)
	v_mov_b32_e32 v16, v191
	v_pk_add_f32 v[14:15], v[14:15], v[176:177]
	v_mov_b32_e32 v19, v17
	s_waitcnt lgkmcnt(3)
	v_pk_mul_f32 v[16:17], v[0:1], v[16:17] op_sel_hi:[1,0]
	v_pk_add_f32 v[14:15], v[14:15], v[18:19]
	s_waitcnt vmcnt(12)
	v_pk_fma_f32 v[18:19], v[0:1], v[190:191], v[16:17] op_sel:[0,0,1] op_sel_hi:[1,1,0] neg_lo:[0,0,1] neg_hi:[0,0,1]
	v_pk_fma_f32 v[0:1], v[0:1], v[190:191], v[16:17] op_sel:[0,0,1] op_sel_hi:[1,0,0]
	v_mov_b32_e32 v19, v1
	v_pk_add_f32 v[0:1], v[14:15], v[18:19]
	s_waitcnt vmcnt(11)
	v_mov_b32_e32 v14, v189
	v_pk_mul_f32 v[14:15], v[2:3], v[14:15] op_sel_hi:[1,0]
	s_waitcnt vmcnt(10)
	v_pk_fma_f32 v[16:17], v[2:3], v[188:189], v[14:15] op_sel:[0,0,1] op_sel_hi:[1,1,0] neg_lo:[0,0,1] neg_hi:[0,0,1]
	v_pk_fma_f32 v[2:3], v[2:3], v[188:189], v[14:15] op_sel:[0,0,1] op_sel_hi:[1,0,0]
	s_waitcnt vmcnt(9)
	v_mov_b32_e32 v2, v187
	v_mov_b32_e32 v17, v3
	s_waitcnt lgkmcnt(2)
	v_pk_mul_f32 v[2:3], v[4:5], v[2:3] op_sel_hi:[1,0]
	s_waitcnt vmcnt(8)
	v_pk_fma_f32 v[14:15], v[4:5], v[186:187], v[2:3] op_sel:[0,0,1] op_sel_hi:[1,1,0] neg_lo:[0,0,1] neg_hi:[0,0,1]
	v_pk_fma_f32 v[2:3], v[4:5], v[186:187], v[2:3] op_sel:[0,0,1] op_sel_hi:[1,0,0]
	s_waitcnt vmcnt(7)
	v_mov_b32_e32 v2, v185
	v_mov_b32_e32 v15, v3
	v_pk_mul_f32 v[2:3], v[6:7], v[2:3] op_sel_hi:[1,0]
	s_waitcnt vmcnt(6)
	v_pk_fma_f32 v[4:5], v[6:7], v[184:185], v[2:3] op_sel:[0,0,1] op_sel_hi:[1,1,0] neg_lo:[0,0,1] neg_hi:[0,0,1]
	v_pk_fma_f32 v[2:3], v[6:7], v[184:185], v[2:3] op_sel:[0,0,1] op_sel_hi:[1,0,0]
	v_pk_add_f32 v[0:1], v[0:1], v[16:17]
	s_waitcnt vmcnt(5)
	v_mov_b32_e32 v2, v183
	v_pk_add_f32 v[0:1], v[0:1], v[14:15]
	v_mov_b32_e32 v5, v3
	s_waitcnt lgkmcnt(1)
	v_pk_mul_f32 v[2:3], v[8:9], v[2:3] op_sel_hi:[1,0]
	v_pk_add_f32 v[0:1], v[0:1], v[4:5]
	s_waitcnt vmcnt(4)
	v_pk_fma_f32 v[4:5], v[8:9], v[182:183], v[2:3] op_sel:[0,0,1] op_sel_hi:[1,1,0] neg_lo:[0,0,1] neg_hi:[0,0,1]
	v_pk_fma_f32 v[2:3], v[8:9], v[182:183], v[2:3] op_sel:[0,0,1] op_sel_hi:[1,0,0]
	s_waitcnt vmcnt(3)
	v_mov_b32_e32 v2, v181
	v_mov_b32_e32 v5, v3
	v_pk_mul_f32 v[2:3], v[10:11], v[2:3] op_sel_hi:[1,0]
	v_pk_add_f32 v[0:1], v[0:1], v[4:5]
	s_waitcnt vmcnt(2)
	v_pk_fma_f32 v[4:5], v[10:11], v[180:181], v[2:3] op_sel:[0,0,1] op_sel_hi:[1,1,0] neg_lo:[0,0,1] neg_hi:[0,0,1]
	v_pk_fma_f32 v[2:3], v[10:11], v[180:181], v[2:3] op_sel:[0,0,1] op_sel_hi:[1,0,0]
	s_waitcnt vmcnt(1)
	v_mov_b32_e32 v2, v179
	v_mov_b32_e32 v5, v3
	s_waitcnt lgkmcnt(0)
	v_pk_mul_f32 v[2:3], v[12:13], v[2:3] op_sel_hi:[1,0]
	v_pk_add_f32 v[0:1], v[0:1], v[4:5]
	s_waitcnt vmcnt(0)
	v_pk_fma_f32 v[4:5], v[12:13], v[178:179], v[2:3] op_sel:[0,0,1] op_sel_hi:[1,1,0] neg_lo:[0,0,1] neg_hi:[0,0,1]
	v_pk_fma_f32 v[2:3], v[12:13], v[178:179], v[2:3] op_sel:[0,0,1] op_sel_hi:[1,0,0]
	v_mov_b32_e32 v5, v3
	v_pk_add_f32 v[0:1], v[0:1], v[4:5]
	v_pk_add_f32 v[0:1], v[168:169], v[0:1] neg_lo:[0,1] neg_hi:[0,1]
	buffer_store_dword v1, off, s[0:3], 0 offset:4
	buffer_store_dword v0, off, s[0:3], 0
	s_cbranch_vccz .LBB109_381
; %bb.290:
	v_pk_mov_b32 v[0:1], s[10:11], s[10:11] op_sel:[0,1]
	flat_load_dword v0, v[0:1] offset:176
	s_waitcnt vmcnt(0) lgkmcnt(0)
	v_add_u32_e32 v0, -1, v0
	v_cmp_ne_u32_e32 vcc, 44, v0
	s_and_saveexec_b64 s[4:5], vcc
	s_cbranch_execz .LBB109_292
; %bb.291:
	v_mov_b32_e32 v1, 0
	v_lshl_add_u32 v0, v0, 3, v1
	buffer_load_dword v1, v0, s[0:3], 0 offen
	buffer_load_dword v2, v0, s[0:3], 0 offen offset:4
	buffer_load_dword v3, off, s[0:3], 0 offset:356
	buffer_load_dword v4, off, s[0:3], 0 offset:352
	s_waitcnt vmcnt(3)
	buffer_store_dword v1, off, s[0:3], 0 offset:352
	s_waitcnt vmcnt(3)
	buffer_store_dword v2, off, s[0:3], 0 offset:356
	s_waitcnt vmcnt(3)
	buffer_store_dword v3, v0, s[0:3], 0 offen offset:4
	s_waitcnt vmcnt(3)
	buffer_store_dword v4, v0, s[0:3], 0 offen
.LBB109_292:
	s_or_b64 exec, exec, s[4:5]
	v_pk_mov_b32 v[0:1], s[10:11], s[10:11] op_sel:[0,1]
	flat_load_dword v0, v[0:1] offset:172
	s_waitcnt vmcnt(0) lgkmcnt(0)
	v_add_u32_e32 v0, -1, v0
	v_cmp_ne_u32_e32 vcc, 43, v0
	s_and_saveexec_b64 s[4:5], vcc
	s_cbranch_execz .LBB109_294
; %bb.293:
	v_mov_b32_e32 v1, 0
	v_lshl_add_u32 v0, v0, 3, v1
	buffer_load_dword v1, v0, s[0:3], 0 offen
	buffer_load_dword v2, v0, s[0:3], 0 offen offset:4
	buffer_load_dword v3, off, s[0:3], 0 offset:344
	buffer_load_dword v4, off, s[0:3], 0 offset:348
	s_waitcnt vmcnt(3)
	buffer_store_dword v1, off, s[0:3], 0 offset:344
	s_waitcnt vmcnt(3)
	buffer_store_dword v2, off, s[0:3], 0 offset:348
	s_waitcnt vmcnt(3)
	buffer_store_dword v3, v0, s[0:3], 0 offen
	s_waitcnt vmcnt(3)
	buffer_store_dword v4, v0, s[0:3], 0 offen offset:4
.LBB109_294:
	s_or_b64 exec, exec, s[4:5]
	v_pk_mov_b32 v[0:1], s[10:11], s[10:11] op_sel:[0,1]
	flat_load_dword v0, v[0:1] offset:168
	s_waitcnt vmcnt(0) lgkmcnt(0)
	v_add_u32_e32 v0, -1, v0
	v_cmp_ne_u32_e32 vcc, 42, v0
	s_and_saveexec_b64 s[4:5], vcc
	s_cbranch_execz .LBB109_296
; %bb.295:
	v_mov_b32_e32 v1, 0
	v_lshl_add_u32 v0, v0, 3, v1
	buffer_load_dword v1, v0, s[0:3], 0 offen
	buffer_load_dword v2, v0, s[0:3], 0 offen offset:4
	buffer_load_dword v3, off, s[0:3], 0 offset:340
	buffer_load_dword v4, off, s[0:3], 0 offset:336
	s_waitcnt vmcnt(3)
	buffer_store_dword v1, off, s[0:3], 0 offset:336
	s_waitcnt vmcnt(3)
	buffer_store_dword v2, off, s[0:3], 0 offset:340
	s_waitcnt vmcnt(3)
	buffer_store_dword v3, v0, s[0:3], 0 offen offset:4
	s_waitcnt vmcnt(3)
	buffer_store_dword v4, v0, s[0:3], 0 offen
.LBB109_296:
	s_or_b64 exec, exec, s[4:5]
	v_pk_mov_b32 v[0:1], s[10:11], s[10:11] op_sel:[0,1]
	flat_load_dword v0, v[0:1] offset:164
	s_waitcnt vmcnt(0) lgkmcnt(0)
	v_add_u32_e32 v0, -1, v0
	v_cmp_ne_u32_e32 vcc, 41, v0
	s_and_saveexec_b64 s[4:5], vcc
	s_cbranch_execz .LBB109_298
; %bb.297:
	v_mov_b32_e32 v1, 0
	v_lshl_add_u32 v0, v0, 3, v1
	buffer_load_dword v1, v0, s[0:3], 0 offen
	buffer_load_dword v2, v0, s[0:3], 0 offen offset:4
	buffer_load_dword v3, off, s[0:3], 0 offset:328
	buffer_load_dword v4, off, s[0:3], 0 offset:332
	s_waitcnt vmcnt(3)
	buffer_store_dword v1, off, s[0:3], 0 offset:328
	s_waitcnt vmcnt(3)
	buffer_store_dword v2, off, s[0:3], 0 offset:332
	s_waitcnt vmcnt(3)
	buffer_store_dword v3, v0, s[0:3], 0 offen
	s_waitcnt vmcnt(3)
	buffer_store_dword v4, v0, s[0:3], 0 offen offset:4
.LBB109_298:
	s_or_b64 exec, exec, s[4:5]
	;; [unrolled: 48-line block ×22, first 2 shown]
	v_pk_mov_b32 v[0:1], s[10:11], s[10:11] op_sel:[0,1]
	flat_load_dword v2, v[0:1]
	s_nop 0
	buffer_load_dword v0, off, s[0:3], 0
	buffer_load_dword v1, off, s[0:3], 0 offset:4
	s_waitcnt vmcnt(0) lgkmcnt(0)
	v_add_u32_e32 v2, -1, v2
	v_cmp_ne_u32_e32 vcc, 0, v2
	s_and_saveexec_b64 s[4:5], vcc
	s_cbranch_execz .LBB109_380
; %bb.379:
	v_mov_b32_e32 v3, 0
	v_lshl_add_u32 v2, v2, 3, v3
	buffer_load_dword v3, v2, s[0:3], 0 offen offset:4
	buffer_load_dword v4, v2, s[0:3], 0 offen
	s_waitcnt vmcnt(1)
	buffer_store_dword v3, off, s[0:3], 0 offset:4
	s_waitcnt vmcnt(1)
	buffer_store_dword v4, off, s[0:3], 0
	buffer_store_dword v1, v2, s[0:3], 0 offen offset:4
	buffer_store_dword v0, v2, s[0:3], 0 offen
	buffer_load_dword v0, off, s[0:3], 0
	s_nop 0
	buffer_load_dword v1, off, s[0:3], 0 offset:4
.LBB109_380:
	s_or_b64 exec, exec, s[4:5]
.LBB109_381:
	buffer_load_dword v2, off, s[0:3], 0 offset:8
	buffer_load_dword v3, off, s[0:3], 0 offset:12
	;; [unrolled: 1-line block ×90, first 2 shown]
	s_waitcnt vmcnt(62)
	global_store_dwordx2 v[156:157], v[0:1], off
	global_store_dwordx2 v[160:161], v[2:3], off
	v_accvgpr_read_b32 v0, a0
	v_accvgpr_read_b32 v1, a1
	global_store_dwordx2 v[0:1], v[4:5], off
	v_accvgpr_read_b32 v0, a2
	v_accvgpr_read_b32 v1, a3
	;; [unrolled: 3-line block ×4, first 2 shown]
	global_store_dwordx2 v[0:1], v[10:11], off
	global_store_dwordx2 v[84:85], v[12:13], off
	;; [unrolled: 1-line block ×10, first 2 shown]
	s_waitcnt vmcnt(62)
	global_store_dwordx2 v[102:103], v[30:31], off
	global_store_dwordx2 v[104:105], v[32:33], off
	;; [unrolled: 1-line block ×7, first 2 shown]
	s_waitcnt vmcnt(62)
	global_store_dwordx2 v[116:117], v[44:45], off
	global_store_dwordx2 v[118:119], v[46:47], off
	;; [unrolled: 1-line block ×4, first 2 shown]
	s_waitcnt vmcnt(62)
	global_store_dwordx2 v[124:125], v[52:53], off
	global_store_dwordx2 v[126:127], v[54:55], off
	s_waitcnt vmcnt(62)
	global_store_dwordx2 v[128:129], v[56:57], off
	s_waitcnt vmcnt(61)
	;; [unrolled: 2-line block ×18, first 2 shown]
	global_store_dwordx2 v[166:167], v[182:183], off
	s_endpgm
	.section	.rodata,"a",@progbits
	.p2align	6, 0x0
	.amdhsa_kernel _ZN9rocsolver6v33100L18getri_kernel_smallILi46E19rocblas_complex_numIfEPKPS3_EEvT1_iilPiilS8_bb
		.amdhsa_group_segment_fixed_size 740
		.amdhsa_private_segment_fixed_size 384
		.amdhsa_kernarg_size 60
		.amdhsa_user_sgpr_count 8
		.amdhsa_user_sgpr_private_segment_buffer 1
		.amdhsa_user_sgpr_dispatch_ptr 0
		.amdhsa_user_sgpr_queue_ptr 0
		.amdhsa_user_sgpr_kernarg_segment_ptr 1
		.amdhsa_user_sgpr_dispatch_id 0
		.amdhsa_user_sgpr_flat_scratch_init 1
		.amdhsa_user_sgpr_kernarg_preload_length 0
		.amdhsa_user_sgpr_kernarg_preload_offset 0
		.amdhsa_user_sgpr_private_segment_size 0
		.amdhsa_uses_dynamic_stack 0
		.amdhsa_system_sgpr_private_segment_wavefront_offset 1
		.amdhsa_system_sgpr_workgroup_id_x 1
		.amdhsa_system_sgpr_workgroup_id_y 0
		.amdhsa_system_sgpr_workgroup_id_z 0
		.amdhsa_system_sgpr_workgroup_info 0
		.amdhsa_system_vgpr_workitem_id 0
		.amdhsa_next_free_vgpr 264
		.amdhsa_next_free_sgpr 22
		.amdhsa_accum_offset 256
		.amdhsa_reserve_vcc 1
		.amdhsa_reserve_flat_scratch 1
		.amdhsa_float_round_mode_32 0
		.amdhsa_float_round_mode_16_64 0
		.amdhsa_float_denorm_mode_32 3
		.amdhsa_float_denorm_mode_16_64 3
		.amdhsa_dx10_clamp 1
		.amdhsa_ieee_mode 1
		.amdhsa_fp16_overflow 0
		.amdhsa_tg_split 0
		.amdhsa_exception_fp_ieee_invalid_op 0
		.amdhsa_exception_fp_denorm_src 0
		.amdhsa_exception_fp_ieee_div_zero 0
		.amdhsa_exception_fp_ieee_overflow 0
		.amdhsa_exception_fp_ieee_underflow 0
		.amdhsa_exception_fp_ieee_inexact 0
		.amdhsa_exception_int_div_zero 0
	.end_amdhsa_kernel
	.section	.text._ZN9rocsolver6v33100L18getri_kernel_smallILi46E19rocblas_complex_numIfEPKPS3_EEvT1_iilPiilS8_bb,"axG",@progbits,_ZN9rocsolver6v33100L18getri_kernel_smallILi46E19rocblas_complex_numIfEPKPS3_EEvT1_iilPiilS8_bb,comdat
.Lfunc_end109:
	.size	_ZN9rocsolver6v33100L18getri_kernel_smallILi46E19rocblas_complex_numIfEPKPS3_EEvT1_iilPiilS8_bb, .Lfunc_end109-_ZN9rocsolver6v33100L18getri_kernel_smallILi46E19rocblas_complex_numIfEPKPS3_EEvT1_iilPiilS8_bb
                                        ; -- End function
	.section	.AMDGPU.csdata,"",@progbits
; Kernel info:
; codeLenInByte = 85812
; NumSgprs: 28
; NumVgprs: 256
; NumAgprs: 8
; TotalNumVgprs: 264
; ScratchSize: 384
; MemoryBound: 0
; FloatMode: 240
; IeeeMode: 1
; LDSByteSize: 740 bytes/workgroup (compile time only)
; SGPRBlocks: 3
; VGPRBlocks: 32
; NumSGPRsForWavesPerEU: 28
; NumVGPRsForWavesPerEU: 264
; AccumOffset: 256
; Occupancy: 1
; WaveLimiterHint : 1
; COMPUTE_PGM_RSRC2:SCRATCH_EN: 1
; COMPUTE_PGM_RSRC2:USER_SGPR: 8
; COMPUTE_PGM_RSRC2:TRAP_HANDLER: 0
; COMPUTE_PGM_RSRC2:TGID_X_EN: 1
; COMPUTE_PGM_RSRC2:TGID_Y_EN: 0
; COMPUTE_PGM_RSRC2:TGID_Z_EN: 0
; COMPUTE_PGM_RSRC2:TIDIG_COMP_CNT: 0
; COMPUTE_PGM_RSRC3_GFX90A:ACCUM_OFFSET: 63
; COMPUTE_PGM_RSRC3_GFX90A:TG_SPLIT: 0
	.section	.text._ZN9rocsolver6v33100L18getri_kernel_smallILi47E19rocblas_complex_numIfEPKPS3_EEvT1_iilPiilS8_bb,"axG",@progbits,_ZN9rocsolver6v33100L18getri_kernel_smallILi47E19rocblas_complex_numIfEPKPS3_EEvT1_iilPiilS8_bb,comdat
	.globl	_ZN9rocsolver6v33100L18getri_kernel_smallILi47E19rocblas_complex_numIfEPKPS3_EEvT1_iilPiilS8_bb ; -- Begin function _ZN9rocsolver6v33100L18getri_kernel_smallILi47E19rocblas_complex_numIfEPKPS3_EEvT1_iilPiilS8_bb
	.p2align	8
	.type	_ZN9rocsolver6v33100L18getri_kernel_smallILi47E19rocblas_complex_numIfEPKPS3_EEvT1_iilPiilS8_bb,@function
_ZN9rocsolver6v33100L18getri_kernel_smallILi47E19rocblas_complex_numIfEPKPS3_EEvT1_iilPiilS8_bb: ; @_ZN9rocsolver6v33100L18getri_kernel_smallILi47E19rocblas_complex_numIfEPKPS3_EEvT1_iilPiilS8_bb
; %bb.0:
	s_add_u32 flat_scratch_lo, s6, s9
	s_addc_u32 flat_scratch_hi, s7, 0
	s_add_u32 s0, s0, s9
	s_addc_u32 s1, s1, 0
	v_cmp_gt_u32_e32 vcc, 47, v0
	s_and_saveexec_b64 s[6:7], vcc
	s_cbranch_execz .LBB110_202
; %bb.1:
	s_load_dword s20, s[4:5], 0x38
	s_load_dwordx2 s[6:7], s[4:5], 0x0
	s_load_dwordx4 s[12:15], s[4:5], 0x28
	s_waitcnt lgkmcnt(0)
	s_bitcmp1_b32 s20, 8
	s_cselect_b64 s[16:17], -1, 0
	s_ashr_i32 s9, s8, 31
	s_lshl_b64 s[10:11], s[8:9], 3
	s_add_u32 s6, s6, s10
	s_addc_u32 s7, s7, s11
	s_load_dwordx2 s[18:19], s[6:7], 0x0
	s_bfe_u32 s6, s20, 0x10008
	s_cmp_eq_u32 s6, 0
                                        ; implicit-def: $sgpr10_sgpr11
	s_cbranch_scc1 .LBB110_3
; %bb.2:
	s_load_dword s6, s[4:5], 0x20
	s_load_dwordx2 s[10:11], s[4:5], 0x18
	s_mul_i32 s7, s8, s13
	s_mul_hi_u32 s13, s8, s12
	s_add_i32 s13, s13, s7
	s_mul_i32 s21, s9, s12
	s_add_i32 s13, s13, s21
	s_mul_i32 s12, s8, s12
	s_waitcnt lgkmcnt(0)
	s_ashr_i32 s7, s6, 31
	s_lshl_b64 s[12:13], s[12:13], 2
	s_add_u32 s10, s10, s12
	s_addc_u32 s11, s11, s13
	s_lshl_b64 s[6:7], s[6:7], 2
	s_add_u32 s10, s10, s6
	s_addc_u32 s11, s11, s7
.LBB110_3:
	s_load_dwordx2 s[6:7], s[4:5], 0x8
	v_lshlrev_b32_e32 v6, 3, v0
	s_waitcnt lgkmcnt(0)
	s_ashr_i32 s5, s6, 31
	s_mov_b32 s4, s6
	s_lshl_b64 s[4:5], s[4:5], 3
	s_add_u32 s4, s18, s4
	s_addc_u32 s5, s19, s5
	s_add_i32 s6, s7, s7
	v_add_u32_e32 v2, s6, v0
	v_ashrrev_i32_e32 v3, 31, v2
	v_lshlrev_b64 v[4:5], 3, v[2:3]
	v_add_u32_e32 v2, s7, v2
	v_mov_b32_e32 v1, s5
	v_add_co_u32_e32 v12, vcc, s4, v4
	v_ashrrev_i32_e32 v3, 31, v2
	v_addc_co_u32_e32 v13, vcc, v1, v5, vcc
	v_lshlrev_b64 v[4:5], 3, v[2:3]
	v_add_u32_e32 v2, s7, v2
	v_add_co_u32_e32 v14, vcc, s4, v4
	v_ashrrev_i32_e32 v3, 31, v2
	v_addc_co_u32_e32 v15, vcc, v1, v5, vcc
	v_lshlrev_b64 v[4:5], 3, v[2:3]
	v_add_u32_e32 v2, s7, v2
	;; [unrolled: 5-line block ×37, first 2 shown]
	v_add_co_u32_e32 v152, vcc, s4, v4
	v_ashrrev_i32_e32 v3, 31, v2
	v_addc_co_u32_e32 v153, vcc, v1, v5, vcc
	v_lshlrev_b64 v[4:5], 3, v[2:3]
	v_add_co_u32_e32 v154, vcc, s4, v4
	v_add_u32_e32 v2, s7, v2
	v_addc_co_u32_e32 v155, vcc, v1, v5, vcc
	v_ashrrev_i32_e32 v3, 31, v2
	v_lshlrev_b64 v[4:5], 3, v[2:3]
	global_load_dwordx2 v[8:9], v6, s[4:5]
	v_mov_b32_e32 v3, s5
	v_add_co_u32_e32 v162, vcc, s4, v6
	s_ashr_i32 s13, s7, 31
	s_mov_b32 s12, s7
	v_addc_co_u32_e32 v163, vcc, 0, v3, vcc
	s_lshl_b64 s[12:13], s[12:13], 3
	v_mov_b32_e32 v3, s13
	v_add_co_u32_e32 v164, vcc, s12, v162
	v_addc_co_u32_e32 v165, vcc, v163, v3, vcc
	global_load_dwordx2 v[10:11], v[164:165], off
	v_add_co_u32_e32 v156, vcc, s4, v4
	v_add_u32_e32 v2, s7, v2
	v_addc_co_u32_e32 v157, vcc, v1, v5, vcc
	v_ashrrev_i32_e32 v3, 31, v2
	v_accvgpr_write_b32 a0, v12
	global_load_dwordx2 v[4:5], v[12:13], off
	v_accvgpr_write_b32 a2, v14
	v_accvgpr_write_b32 a8, v20
	;; [unrolled: 1-line block ×4, first 2 shown]
	global_load_dwordx2 v[14:15], v[14:15], off
	v_accvgpr_write_b32 a9, v21
	global_load_dwordx2 v[20:21], v[20:21], off
	v_lshlrev_b64 v[12:13], 3, v[2:3]
	v_add_u32_e32 v2, s7, v2
	v_add_co_u32_e32 v158, vcc, s4, v12
	v_accvgpr_write_b32 a4, v16
	v_ashrrev_i32_e32 v3, 31, v2
	v_accvgpr_write_b32 a6, v18
	v_accvgpr_write_b32 a10, v22
	;; [unrolled: 1-line block ×3, first 2 shown]
	v_addc_co_u32_e32 v159, vcc, v1, v13, vcc
	v_accvgpr_write_b32 a5, v17
	global_load_dwordx2 v[12:13], v[16:17], off
	v_accvgpr_write_b32 a7, v19
	v_accvgpr_write_b32 a11, v23
	global_load_dwordx2 v[22:23], v[22:23], off
	v_accvgpr_write_b32 a13, v25
	global_load_dwordx2 v[16:17], v[18:19], off
	;; [unrolled: 2-line block ×3, first 2 shown]
	v_lshlrev_b64 v[18:19], 3, v[2:3]
	v_add_u32_e32 v2, s7, v2
	v_add_co_u32_e32 v160, vcc, s4, v18
	v_ashrrev_i32_e32 v3, 31, v2
	v_addc_co_u32_e32 v161, vcc, v1, v19, vcc
	v_lshlrev_b64 v[32:33], 3, v[2:3]
	v_add_u32_e32 v2, s7, v2
	v_add_co_u32_e32 v166, vcc, s4, v32
	v_ashrrev_i32_e32 v3, 31, v2
	v_addc_co_u32_e32 v167, vcc, v1, v33, vcc
	;; [unrolled: 5-line block ×3, first 2 shown]
	v_lshlrev_b64 v[2:3], 3, v[2:3]
	v_add_co_u32_e32 v170, vcc, s4, v2
	v_accvgpr_write_b32 a15, v27
	global_load_dwordx2 v[18:19], v[26:27], off
	v_addc_co_u32_e32 v171, vcc, v1, v3, vcc
	global_load_dwordx2 v[26:27], v[94:95], off
	global_load_dwordx2 v[28:29], v[96:97], off
	;; [unrolled: 1-line block ×32, first 2 shown]
	s_bitcmp0_b32 s20, 0
	s_waitcnt vmcnt(41)
	buffer_store_dword v9, off, s[0:3], 0 offset:4
	buffer_store_dword v8, off, s[0:3], 0
	global_load_dwordx2 v[8:9], v[146:147], off
	s_mov_b64 s[6:7], -1
	s_waitcnt vmcnt(43)
	buffer_store_dword v11, off, s[0:3], 0 offset:12
	buffer_store_dword v10, off, s[0:3], 0 offset:8
	global_load_dwordx2 v[10:11], v[150:151], off
	s_waitcnt vmcnt(45)
	buffer_store_dword v5, off, s[0:3], 0 offset:20
	buffer_store_dword v4, off, s[0:3], 0 offset:16
	global_load_dwordx2 v[4:5], v[154:155], off
	s_waitcnt vmcnt(47)
	buffer_store_dword v15, off, s[0:3], 0 offset:28
	buffer_store_dword v14, off, s[0:3], 0 offset:24
	global_load_dwordx2 v[14:15], v[158:159], off
	s_waitcnt vmcnt(48)
	buffer_store_dword v13, off, s[0:3], 0 offset:36
	buffer_store_dword v12, off, s[0:3], 0 offset:32
	global_load_dwordx2 v[12:13], v[166:167], off
	s_waitcnt vmcnt(49)
	buffer_store_dword v17, off, s[0:3], 0 offset:44
	buffer_store_dword v16, off, s[0:3], 0 offset:40
	;; [unrolled: 1-line block ×6, first 2 shown]
	s_waitcnt vmcnt(54)
	buffer_store_dword v25, off, s[0:3], 0 offset:68
	buffer_store_dword v24, off, s[0:3], 0 offset:64
	s_waitcnt vmcnt(55)
	buffer_store_dword v18, off, s[0:3], 0 offset:72
	buffer_store_dword v19, off, s[0:3], 0 offset:76
	;; [unrolled: 3-line block ×10, first 2 shown]
	buffer_store_dword v42, off, s[0:3], 0 offset:144
	buffer_store_dword v43, off, s[0:3], 0 offset:148
	s_waitcnt vmcnt(62)
	buffer_store_dword v45, off, s[0:3], 0 offset:156
	buffer_store_dword v44, off, s[0:3], 0 offset:152
	;; [unrolled: 1-line block ×8, first 2 shown]
	s_waitcnt vmcnt(62)
	buffer_store_dword v54, off, s[0:3], 0 offset:184
	buffer_store_dword v55, off, s[0:3], 0 offset:188
	;; [unrolled: 1-line block ×16, first 2 shown]
	s_waitcnt vmcnt(62)
	buffer_store_dword v69, off, s[0:3], 0 offset:252
	buffer_store_dword v68, off, s[0:3], 0 offset:248
	;; [unrolled: 1-line block ×14, first 2 shown]
	s_waitcnt vmcnt(62)
	buffer_store_dword v11, off, s[0:3], 0 offset:308
	buffer_store_dword v10, off, s[0:3], 0 offset:304
	;; [unrolled: 1-line block ×18, first 2 shown]
	s_cbranch_scc1 .LBB110_200
; %bb.4:
	v_cmp_eq_u32_e64 s[4:5], 0, v0
	s_and_saveexec_b64 s[6:7], s[4:5]
	s_cbranch_execz .LBB110_6
; %bb.5:
	v_mov_b32_e32 v1, 0
	ds_write_b32 v1, v1 offset:376
.LBB110_6:
	s_or_b64 exec, exec, s[6:7]
	v_mov_b32_e32 v1, 0
	v_lshl_add_u32 v7, v0, 3, v1
	s_waitcnt lgkmcnt(0)
	; wave barrier
	s_waitcnt lgkmcnt(0)
	buffer_load_dword v1, v7, s[0:3], 0 offen
	buffer_load_dword v2, v7, s[0:3], 0 offen offset:4
	s_waitcnt vmcnt(1)
	v_cmp_eq_f32_e32 vcc, 0, v1
	s_waitcnt vmcnt(0)
	v_cmp_eq_f32_e64 s[6:7], 0, v2
	s_and_b64 s[6:7], vcc, s[6:7]
	s_and_saveexec_b64 s[12:13], s[6:7]
	s_cbranch_execz .LBB110_10
; %bb.7:
	v_mov_b32_e32 v1, 0
	ds_read_b32 v3, v1 offset:376
	v_add_u32_e32 v2, 1, v0
	s_waitcnt lgkmcnt(0)
	v_readfirstlane_b32 s6, v3
	s_cmp_eq_u32 s6, 0
	s_cselect_b64 s[18:19], -1, 0
	v_cmp_gt_i32_e32 vcc, s6, v2
	s_or_b64 s[18:19], s[18:19], vcc
	s_and_b64 exec, exec, s[18:19]
	s_cbranch_execz .LBB110_10
; %bb.8:
	s_mov_b64 s[18:19], 0
	v_mov_b32_e32 v3, s6
.LBB110_9:                              ; =>This Inner Loop Header: Depth=1
	ds_cmpst_rtn_b32 v3, v1, v3, v2 offset:376
	s_waitcnt lgkmcnt(0)
	v_cmp_ne_u32_e32 vcc, 0, v3
	v_cmp_le_i32_e64 s[6:7], v3, v2
	s_and_b64 s[6:7], vcc, s[6:7]
	s_and_b64 s[6:7], exec, s[6:7]
	s_or_b64 s[18:19], s[6:7], s[18:19]
	s_andn2_b64 exec, exec, s[18:19]
	s_cbranch_execnz .LBB110_9
.LBB110_10:
	s_or_b64 exec, exec, s[12:13]
	v_mov_b32_e32 v2, 0
	s_waitcnt lgkmcnt(0)
	; wave barrier
	ds_read_b32 v1, v2 offset:376
	s_and_saveexec_b64 s[6:7], s[4:5]
	s_cbranch_execz .LBB110_12
; %bb.11:
	s_lshl_b64 s[12:13], s[8:9], 2
	s_add_u32 s12, s14, s12
	s_addc_u32 s13, s15, s13
	s_waitcnt lgkmcnt(0)
	global_store_dword v2, v1, s[12:13]
.LBB110_12:
	s_or_b64 exec, exec, s[6:7]
	s_waitcnt lgkmcnt(0)
	v_cmp_ne_u32_e32 vcc, 0, v1
	s_mov_b64 s[6:7], 0
	s_cbranch_vccnz .LBB110_200
; %bb.13:
	buffer_load_dword v8, v7, s[0:3], 0 offen offset:4
	buffer_load_dword v3, v7, s[0:3], 0 offen
	s_waitcnt vmcnt(1)
	v_cmp_gt_f32_e32 vcc, 0, v8
	v_cndmask_b32_e64 v1, v8, -v8, vcc
	s_waitcnt vmcnt(0)
	v_cmp_gt_f32_e32 vcc, 0, v3
	v_cndmask_b32_e64 v2, v3, -v3, vcc
	v_cmp_ngt_f32_e32 vcc, v2, v1
                                        ; implicit-def: $vgpr1
                                        ; implicit-def: $vgpr2
	s_and_saveexec_b64 s[6:7], vcc
	s_xor_b64 s[6:7], exec, s[6:7]
                                        ; implicit-def: $vgpr4_vgpr5
	s_cbranch_execz .LBB110_15
; %bb.14:
	v_div_scale_f32 v1, s[12:13], v8, v8, v3
	v_rcp_f32_e32 v2, v1
	v_div_scale_f32 v4, vcc, v3, v8, v3
	v_fma_f32 v5, -v1, v2, 1.0
	v_fmac_f32_e32 v2, v5, v2
	v_mul_f32_e32 v5, v4, v2
	v_fma_f32 v9, -v1, v5, v4
	v_fmac_f32_e32 v5, v9, v2
	v_fma_f32 v1, -v1, v5, v4
	v_div_fmas_f32 v1, v1, v2, v5
	v_div_fixup_f32 v2, v1, v8, v3
	v_fmac_f32_e32 v8, v3, v2
	v_div_scale_f32 v1, s[12:13], v8, v8, -1.0
	v_rcp_f32_e32 v3, v1
	v_fma_f32 v4, -v1, v3, 1.0
	v_fmac_f32_e32 v3, v4, v3
	v_div_scale_f32 v4, vcc, -1.0, v8, -1.0
	v_mul_f32_e32 v5, v4, v3
	v_fma_f32 v9, -v1, v5, v4
	v_fmac_f32_e32 v5, v9, v3
	v_fma_f32 v1, -v1, v5, v4
	v_div_fmas_f32 v1, v1, v3, v5
	v_div_fixup_f32 v1, v1, v8, -1.0
	v_mul_f32_e32 v2, v2, v1
	v_xor_b32_e32 v4, 0x80000000, v2
                                        ; implicit-def: $vgpr3
                                        ; implicit-def: $vgpr8
.LBB110_15:
	s_andn2_saveexec_b64 s[6:7], s[6:7]
	s_cbranch_execz .LBB110_17
; %bb.16:
	v_div_scale_f32 v1, s[12:13], v3, v3, v8
	v_rcp_f32_e32 v2, v1
	v_div_scale_f32 v4, vcc, v8, v3, v8
	v_fma_f32 v5, -v1, v2, 1.0
	v_fmac_f32_e32 v2, v5, v2
	v_mul_f32_e32 v5, v4, v2
	v_fma_f32 v9, -v1, v5, v4
	v_fmac_f32_e32 v5, v9, v2
	v_fma_f32 v1, -v1, v5, v4
	v_div_fmas_f32 v1, v1, v2, v5
	v_div_fixup_f32 v1, v1, v3, v8
	v_fmac_f32_e32 v3, v8, v1
	v_div_scale_f32 v2, s[12:13], v3, v3, 1.0
	v_rcp_f32_e32 v4, v2
	v_fma_f32 v5, -v2, v4, 1.0
	v_fmac_f32_e32 v4, v5, v4
	v_div_scale_f32 v5, vcc, 1.0, v3, 1.0
	v_mul_f32_e32 v8, v5, v4
	v_fma_f32 v9, -v2, v8, v5
	v_fmac_f32_e32 v8, v9, v4
	v_fma_f32 v2, -v2, v8, v5
	v_div_fmas_f32 v2, v2, v4, v8
	v_div_fixup_f32 v4, v2, v3, 1.0
	v_xor_b32_e32 v2, 0x80000000, v4
	v_mul_f32_e64 v1, v1, -v4
.LBB110_17:
	s_or_b64 exec, exec, s[6:7]
	buffer_store_dword v1, v7, s[0:3], 0 offen offset:4
	buffer_store_dword v4, v7, s[0:3], 0 offen
	buffer_load_dword v5, off, s[0:3], 0 offset:12
	s_nop 0
	buffer_load_dword v4, off, s[0:3], 0 offset:8
	v_xor_b32_e32 v3, 0x80000000, v1
	v_add_u32_e32 v1, 0x180, v6
	s_waitcnt vmcnt(0)
	ds_write2_b64 v6, v[2:3], v[4:5] offset1:48
	s_waitcnt lgkmcnt(0)
	; wave barrier
	s_waitcnt lgkmcnt(0)
	s_and_saveexec_b64 s[6:7], s[4:5]
	s_cbranch_execz .LBB110_19
; %bb.18:
	buffer_load_dword v8, v7, s[0:3], 0 offen offset:4
	buffer_load_dword v9, v7, s[0:3], 0 offen
	ds_read_b64 v[2:3], v1
	v_mov_b32_e32 v4, 0
	ds_read_b64 v[4:5], v4 offset:8
	s_waitcnt vmcnt(1) lgkmcnt(1)
	v_mul_f32_e32 v10, v3, v8
	v_mul_f32_e32 v8, v2, v8
	s_waitcnt vmcnt(0)
	v_fmac_f32_e32 v8, v3, v9
	v_fma_f32 v2, v2, v9, -v10
	v_add_f32_e32 v3, 0, v8
	v_add_f32_e32 v2, 0, v2
	s_waitcnt lgkmcnt(0)
	v_mul_f32_e32 v8, v3, v5
	v_mul_f32_e32 v5, v2, v5
	v_fma_f32 v2, v2, v4, -v8
	v_fmac_f32_e32 v5, v3, v4
	buffer_store_dword v2, off, s[0:3], 0 offset:8
	buffer_store_dword v5, off, s[0:3], 0 offset:12
.LBB110_19:
	s_or_b64 exec, exec, s[6:7]
	s_waitcnt lgkmcnt(0)
	; wave barrier
	buffer_load_dword v2, off, s[0:3], 0 offset:16
	buffer_load_dword v3, off, s[0:3], 0 offset:20
	v_cmp_gt_u32_e32 vcc, 2, v0
	s_waitcnt vmcnt(0)
	ds_write_b64 v1, v[2:3]
	s_waitcnt lgkmcnt(0)
	; wave barrier
	s_waitcnt lgkmcnt(0)
	s_and_saveexec_b64 s[6:7], vcc
	s_cbranch_execz .LBB110_23
; %bb.20:
	buffer_load_dword v4, v7, s[0:3], 0 offen offset:4
	buffer_load_dword v5, v7, s[0:3], 0 offen
	ds_read_b64 v[2:3], v1
	s_waitcnt vmcnt(1) lgkmcnt(0)
	v_mul_f32_e32 v7, v3, v4
	v_mul_f32_e32 v4, v2, v4
	s_waitcnt vmcnt(0)
	v_fma_f32 v2, v2, v5, -v7
	v_fmac_f32_e32 v4, v3, v5
	v_add_f32_e32 v3, 0, v2
	v_add_f32_e32 v2, 0, v4
	s_and_saveexec_b64 s[12:13], s[4:5]
	s_cbranch_execz .LBB110_22
; %bb.21:
	buffer_load_dword v7, off, s[0:3], 0 offset:12
	buffer_load_dword v8, off, s[0:3], 0 offset:8
	v_mov_b32_e32 v4, 0
	ds_read_b64 v[4:5], v4 offset:392
	s_waitcnt vmcnt(1) lgkmcnt(0)
	v_mul_f32_e32 v9, v4, v7
	v_mul_f32_e32 v7, v5, v7
	s_waitcnt vmcnt(0)
	v_fmac_f32_e32 v9, v5, v8
	v_fma_f32 v4, v4, v8, -v7
	v_add_f32_e32 v2, v2, v9
	v_add_f32_e32 v3, v3, v4
.LBB110_22:
	s_or_b64 exec, exec, s[12:13]
	v_mov_b32_e32 v4, 0
	ds_read_b64 v[4:5], v4 offset:16
	s_waitcnt lgkmcnt(0)
	v_mul_f32_e32 v7, v2, v5
	v_mul_f32_e32 v5, v3, v5
	v_fma_f32 v3, v3, v4, -v7
	v_fmac_f32_e32 v5, v2, v4
	buffer_store_dword v3, off, s[0:3], 0 offset:16
	buffer_store_dword v5, off, s[0:3], 0 offset:20
.LBB110_23:
	s_or_b64 exec, exec, s[6:7]
	s_waitcnt lgkmcnt(0)
	; wave barrier
	buffer_load_dword v2, off, s[0:3], 0 offset:24
	buffer_load_dword v3, off, s[0:3], 0 offset:28
	v_cmp_gt_u32_e32 vcc, 3, v0
	s_waitcnt vmcnt(0)
	ds_write_b64 v1, v[2:3]
	v_add_u32_e32 v2, -1, v0
	s_waitcnt lgkmcnt(0)
	; wave barrier
	s_waitcnt lgkmcnt(0)
	s_and_saveexec_b64 s[4:5], vcc
	s_cbranch_execz .LBB110_27
; %bb.24:
	v_add_u32_e32 v4, -1, v0
	v_add_u32_e32 v5, 0x180, v6
	v_add_u32_e32 v7, 0, v6
	s_mov_b64 s[6:7], 0
	v_mov_b32_e32 v3, 0
	v_mov_b32_e32 v8, 0
.LBB110_25:                             ; =>This Inner Loop Header: Depth=1
	buffer_load_dword v9, v7, s[0:3], 0 offen offset:4
	buffer_load_dword v12, v7, s[0:3], 0 offen
	ds_read_b64 v[10:11], v5
	v_add_u32_e32 v4, 1, v4
	v_cmp_lt_u32_e32 vcc, 1, v4
	v_add_u32_e32 v5, 8, v5
	v_add_u32_e32 v7, 8, v7
	s_or_b64 s[6:7], vcc, s[6:7]
	s_waitcnt vmcnt(1) lgkmcnt(0)
	v_mul_f32_e32 v13, v11, v9
	v_mul_f32_e32 v9, v10, v9
	s_waitcnt vmcnt(0)
	v_fma_f32 v10, v10, v12, -v13
	v_fmac_f32_e32 v9, v11, v12
	v_add_f32_e32 v8, v8, v10
	v_add_f32_e32 v3, v3, v9
	s_andn2_b64 exec, exec, s[6:7]
	s_cbranch_execnz .LBB110_25
; %bb.26:
	s_or_b64 exec, exec, s[6:7]
	v_mov_b32_e32 v4, 0
	ds_read_b64 v[4:5], v4 offset:24
	s_waitcnt lgkmcnt(0)
	v_mul_f32_e32 v7, v3, v5
	v_mul_f32_e32 v5, v8, v5
	v_fma_f32 v7, v8, v4, -v7
	v_fmac_f32_e32 v5, v3, v4
	buffer_store_dword v7, off, s[0:3], 0 offset:24
	buffer_store_dword v5, off, s[0:3], 0 offset:28
.LBB110_27:
	s_or_b64 exec, exec, s[4:5]
	s_waitcnt lgkmcnt(0)
	; wave barrier
	buffer_load_dword v4, off, s[0:3], 0 offset:32
	buffer_load_dword v5, off, s[0:3], 0 offset:36
	v_cmp_gt_u32_e32 vcc, 4, v0
	s_waitcnt vmcnt(0)
	ds_write_b64 v1, v[4:5]
	s_waitcnt lgkmcnt(0)
	; wave barrier
	s_waitcnt lgkmcnt(0)
	s_and_saveexec_b64 s[4:5], vcc
	s_cbranch_execz .LBB110_31
; %bb.28:
	v_add_u32_e32 v4, -1, v0
	v_add_u32_e32 v5, 0x180, v6
	v_add_u32_e32 v7, 0, v6
	s_mov_b64 s[6:7], 0
	v_mov_b32_e32 v3, 0
	v_mov_b32_e32 v8, 0
.LBB110_29:                             ; =>This Inner Loop Header: Depth=1
	buffer_load_dword v9, v7, s[0:3], 0 offen offset:4
	buffer_load_dword v12, v7, s[0:3], 0 offen
	ds_read_b64 v[10:11], v5
	v_add_u32_e32 v4, 1, v4
	v_cmp_lt_u32_e32 vcc, 2, v4
	v_add_u32_e32 v5, 8, v5
	v_add_u32_e32 v7, 8, v7
	s_or_b64 s[6:7], vcc, s[6:7]
	s_waitcnt vmcnt(1) lgkmcnt(0)
	v_mul_f32_e32 v13, v11, v9
	v_mul_f32_e32 v9, v10, v9
	s_waitcnt vmcnt(0)
	v_fma_f32 v10, v10, v12, -v13
	v_fmac_f32_e32 v9, v11, v12
	v_add_f32_e32 v8, v8, v10
	v_add_f32_e32 v3, v3, v9
	s_andn2_b64 exec, exec, s[6:7]
	s_cbranch_execnz .LBB110_29
; %bb.30:
	s_or_b64 exec, exec, s[6:7]
	v_mov_b32_e32 v4, 0
	ds_read_b64 v[4:5], v4 offset:32
	s_waitcnt lgkmcnt(0)
	v_mul_f32_e32 v7, v3, v5
	v_mul_f32_e32 v5, v8, v5
	v_fma_f32 v7, v8, v4, -v7
	v_fmac_f32_e32 v5, v3, v4
	buffer_store_dword v7, off, s[0:3], 0 offset:32
	buffer_store_dword v5, off, s[0:3], 0 offset:36
.LBB110_31:
	s_or_b64 exec, exec, s[4:5]
	s_waitcnt lgkmcnt(0)
	; wave barrier
	buffer_load_dword v4, off, s[0:3], 0 offset:40
	buffer_load_dword v5, off, s[0:3], 0 offset:44
	v_cmp_gt_u32_e32 vcc, 5, v0
	s_waitcnt vmcnt(0)
	ds_write_b64 v1, v[4:5]
	;; [unrolled: 51-line block ×19, first 2 shown]
	s_waitcnt lgkmcnt(0)
	; wave barrier
	s_waitcnt lgkmcnt(0)
	s_and_saveexec_b64 s[4:5], vcc
	s_cbranch_execz .LBB110_103
; %bb.100:
	v_add_u32_e32 v4, -1, v0
	v_add_u32_e32 v5, 0x180, v6
	v_add_u32_e32 v7, 0, v6
	s_mov_b64 s[6:7], 0
	v_mov_b32_e32 v3, 0
	v_mov_b32_e32 v8, 0
.LBB110_101:                            ; =>This Inner Loop Header: Depth=1
	buffer_load_dword v9, v7, s[0:3], 0 offen offset:4
	buffer_load_dword v12, v7, s[0:3], 0 offen
	ds_read_b64 v[10:11], v5
	v_add_u32_e32 v4, 1, v4
	v_cmp_lt_u32_e32 vcc, 20, v4
	v_add_u32_e32 v5, 8, v5
	v_add_u32_e32 v7, 8, v7
	s_or_b64 s[6:7], vcc, s[6:7]
	s_waitcnt vmcnt(1) lgkmcnt(0)
	v_mul_f32_e32 v13, v11, v9
	v_mul_f32_e32 v9, v10, v9
	s_waitcnt vmcnt(0)
	v_fma_f32 v10, v10, v12, -v13
	v_fmac_f32_e32 v9, v11, v12
	v_add_f32_e32 v8, v8, v10
	v_add_f32_e32 v3, v3, v9
	s_andn2_b64 exec, exec, s[6:7]
	s_cbranch_execnz .LBB110_101
; %bb.102:
	s_or_b64 exec, exec, s[6:7]
	v_mov_b32_e32 v4, 0
	ds_read_b64 v[4:5], v4 offset:176
	s_waitcnt lgkmcnt(0)
	v_mul_f32_e32 v7, v3, v5
	v_mul_f32_e32 v5, v8, v5
	v_fma_f32 v7, v8, v4, -v7
	v_fmac_f32_e32 v5, v3, v4
	buffer_store_dword v7, off, s[0:3], 0 offset:176
	buffer_store_dword v5, off, s[0:3], 0 offset:180
.LBB110_103:
	s_or_b64 exec, exec, s[4:5]
	s_waitcnt lgkmcnt(0)
	; wave barrier
	buffer_load_dword v4, off, s[0:3], 0 offset:184
	buffer_load_dword v5, off, s[0:3], 0 offset:188
	v_cmp_gt_u32_e32 vcc, 23, v0
	s_waitcnt vmcnt(0)
	ds_write_b64 v1, v[4:5]
	s_waitcnt lgkmcnt(0)
	; wave barrier
	s_waitcnt lgkmcnt(0)
	s_and_saveexec_b64 s[4:5], vcc
	s_cbranch_execz .LBB110_107
; %bb.104:
	v_add_u32_e32 v4, -1, v0
	v_add_u32_e32 v5, 0x180, v6
	v_add_u32_e32 v7, 0, v6
	s_mov_b64 s[6:7], 0
	v_mov_b32_e32 v3, 0
	v_mov_b32_e32 v8, 0
.LBB110_105:                            ; =>This Inner Loop Header: Depth=1
	buffer_load_dword v9, v7, s[0:3], 0 offen offset:4
	buffer_load_dword v12, v7, s[0:3], 0 offen
	ds_read_b64 v[10:11], v5
	v_add_u32_e32 v4, 1, v4
	v_cmp_lt_u32_e32 vcc, 21, v4
	v_add_u32_e32 v5, 8, v5
	v_add_u32_e32 v7, 8, v7
	s_or_b64 s[6:7], vcc, s[6:7]
	s_waitcnt vmcnt(1) lgkmcnt(0)
	v_mul_f32_e32 v13, v11, v9
	v_mul_f32_e32 v9, v10, v9
	s_waitcnt vmcnt(0)
	v_fma_f32 v10, v10, v12, -v13
	v_fmac_f32_e32 v9, v11, v12
	v_add_f32_e32 v8, v8, v10
	v_add_f32_e32 v3, v3, v9
	s_andn2_b64 exec, exec, s[6:7]
	s_cbranch_execnz .LBB110_105
; %bb.106:
	s_or_b64 exec, exec, s[6:7]
	v_mov_b32_e32 v4, 0
	ds_read_b64 v[4:5], v4 offset:184
	s_waitcnt lgkmcnt(0)
	v_mul_f32_e32 v7, v3, v5
	v_mul_f32_e32 v5, v8, v5
	v_fma_f32 v7, v8, v4, -v7
	v_fmac_f32_e32 v5, v3, v4
	buffer_store_dword v7, off, s[0:3], 0 offset:184
	buffer_store_dword v5, off, s[0:3], 0 offset:188
.LBB110_107:
	s_or_b64 exec, exec, s[4:5]
	s_waitcnt lgkmcnt(0)
	; wave barrier
	buffer_load_dword v4, off, s[0:3], 0 offset:192
	buffer_load_dword v5, off, s[0:3], 0 offset:196
	v_cmp_gt_u32_e32 vcc, 24, v0
	s_waitcnt vmcnt(0)
	ds_write_b64 v1, v[4:5]
	;; [unrolled: 51-line block ×23, first 2 shown]
	s_waitcnt lgkmcnt(0)
	; wave barrier
	s_waitcnt lgkmcnt(0)
	s_and_saveexec_b64 s[4:5], vcc
	s_cbranch_execz .LBB110_195
; %bb.192:
	v_add_u32_e32 v4, -1, v0
	v_add_u32_e32 v5, 0x180, v6
	v_add_u32_e32 v7, 0, v6
	s_mov_b64 s[6:7], 0
	v_mov_b32_e32 v3, 0
	v_mov_b32_e32 v8, 0
.LBB110_193:                            ; =>This Inner Loop Header: Depth=1
	buffer_load_dword v9, v7, s[0:3], 0 offen offset:4
	buffer_load_dword v12, v7, s[0:3], 0 offen
	ds_read_b64 v[10:11], v5
	v_add_u32_e32 v4, 1, v4
	v_cmp_lt_u32_e32 vcc, 43, v4
	v_add_u32_e32 v5, 8, v5
	v_add_u32_e32 v7, 8, v7
	s_or_b64 s[6:7], vcc, s[6:7]
	s_waitcnt vmcnt(1) lgkmcnt(0)
	v_mul_f32_e32 v13, v11, v9
	v_mul_f32_e32 v9, v10, v9
	s_waitcnt vmcnt(0)
	v_fma_f32 v10, v10, v12, -v13
	v_fmac_f32_e32 v9, v11, v12
	v_add_f32_e32 v8, v8, v10
	v_add_f32_e32 v3, v3, v9
	s_andn2_b64 exec, exec, s[6:7]
	s_cbranch_execnz .LBB110_193
; %bb.194:
	s_or_b64 exec, exec, s[6:7]
	v_mov_b32_e32 v4, 0
	ds_read_b64 v[4:5], v4 offset:360
	s_waitcnt lgkmcnt(0)
	v_mul_f32_e32 v7, v3, v5
	v_mul_f32_e32 v5, v8, v5
	v_fma_f32 v7, v8, v4, -v7
	v_fmac_f32_e32 v5, v3, v4
	buffer_store_dword v7, off, s[0:3], 0 offset:360
	buffer_store_dword v5, off, s[0:3], 0 offset:364
.LBB110_195:
	s_or_b64 exec, exec, s[4:5]
	s_waitcnt lgkmcnt(0)
	; wave barrier
	buffer_load_dword v4, off, s[0:3], 0 offset:368
	buffer_load_dword v5, off, s[0:3], 0 offset:372
	v_cmp_ne_u32_e32 vcc, 46, v0
	s_waitcnt vmcnt(0)
	ds_write_b64 v1, v[4:5]
	s_waitcnt lgkmcnt(0)
	; wave barrier
	s_waitcnt lgkmcnt(0)
	s_and_saveexec_b64 s[4:5], vcc
	s_cbranch_execz .LBB110_199
; %bb.196:
	v_add_u32_e32 v3, 0x180, v6
	v_add_u32_e32 v4, 0, v6
	s_mov_b64 s[6:7], 0
	v_mov_b32_e32 v1, 0
	v_mov_b32_e32 v5, 0
.LBB110_197:                            ; =>This Inner Loop Header: Depth=1
	buffer_load_dword v8, v4, s[0:3], 0 offen offset:4
	buffer_load_dword v9, v4, s[0:3], 0 offen
	ds_read_b64 v[6:7], v3
	v_add_u32_e32 v2, 1, v2
	v_cmp_lt_u32_e32 vcc, 44, v2
	v_add_u32_e32 v3, 8, v3
	v_add_u32_e32 v4, 8, v4
	s_or_b64 s[6:7], vcc, s[6:7]
	s_waitcnt vmcnt(1) lgkmcnt(0)
	v_mul_f32_e32 v10, v7, v8
	v_mul_f32_e32 v8, v6, v8
	s_waitcnt vmcnt(0)
	v_fma_f32 v6, v6, v9, -v10
	v_fmac_f32_e32 v8, v7, v9
	v_add_f32_e32 v5, v5, v6
	v_add_f32_e32 v1, v1, v8
	s_andn2_b64 exec, exec, s[6:7]
	s_cbranch_execnz .LBB110_197
; %bb.198:
	s_or_b64 exec, exec, s[6:7]
	v_mov_b32_e32 v2, 0
	ds_read_b64 v[2:3], v2 offset:368
	s_waitcnt lgkmcnt(0)
	v_mul_f32_e32 v4, v1, v3
	v_mul_f32_e32 v3, v5, v3
	v_fma_f32 v4, v5, v2, -v4
	v_fmac_f32_e32 v3, v1, v2
	buffer_store_dword v4, off, s[0:3], 0 offset:368
	buffer_store_dword v3, off, s[0:3], 0 offset:372
.LBB110_199:
	s_or_b64 exec, exec, s[4:5]
	s_mov_b64 s[6:7], -1
	s_waitcnt lgkmcnt(0)
	; wave barrier
.LBB110_200:
	s_and_b64 vcc, exec, s[6:7]
	s_cbranch_vccz .LBB110_202
; %bb.201:
	s_lshl_b64 s[4:5], s[8:9], 2
	s_add_u32 s4, s14, s4
	s_addc_u32 s5, s15, s5
	v_mov_b32_e32 v1, 0
	global_load_dword v1, v1, s[4:5]
	s_waitcnt vmcnt(0)
	v_cmp_ne_u32_e32 vcc, 0, v1
	s_cbranch_vccz .LBB110_203
.LBB110_202:
	s_endpgm
.LBB110_203:
	v_mov_b32_e32 v1, 0x180
	v_lshl_add_u32 v89, v0, 3, v1
	v_cmp_eq_u32_e32 vcc, 46, v0
	s_and_saveexec_b64 s[4:5], vcc
	s_cbranch_execz .LBB110_205
; %bb.204:
	buffer_load_dword v2, off, s[0:3], 0 offset:360
	buffer_load_dword v3, off, s[0:3], 0 offset:364
	v_mov_b32_e32 v4, 0
	buffer_store_dword v4, off, s[0:3], 0 offset:360
	buffer_store_dword v4, off, s[0:3], 0 offset:364
	s_waitcnt vmcnt(2)
	ds_write_b64 v89, v[2:3]
.LBB110_205:
	s_or_b64 exec, exec, s[4:5]
	s_waitcnt lgkmcnt(0)
	; wave barrier
	s_waitcnt lgkmcnt(0)
	buffer_load_dword v5, off, s[0:3], 0 offset:372
	buffer_load_dword v4, off, s[0:3], 0 offset:368
	;; [unrolled: 1-line block ×4, first 2 shown]
	v_mov_b32_e32 v2, 0
	ds_read_b64 v[8:9], v2 offset:752
	v_cmp_lt_u32_e32 vcc, 44, v0
	s_waitcnt vmcnt(3)
	v_mov_b32_e32 v10, v5
	s_waitcnt lgkmcnt(0)
	v_pk_mul_f32 v[10:11], v[8:9], v[10:11] op_sel_hi:[1,0]
	s_waitcnt vmcnt(2)
	v_pk_fma_f32 v[12:13], v[8:9], v[4:5], v[10:11] op_sel:[0,0,1] op_sel_hi:[1,1,0] neg_lo:[0,0,1] neg_hi:[0,0,1]
	v_pk_fma_f32 v[4:5], v[8:9], v[4:5], v[10:11] op_sel:[0,0,1] op_sel_hi:[1,0,0]
	v_mov_b32_e32 v13, v5
	v_pk_add_f32 v[4:5], v[12:13], 0 op_sel_hi:[1,0]
	s_waitcnt vmcnt(0)
	v_pk_add_f32 v[4:5], v[6:7], v[4:5] neg_lo:[0,1] neg_hi:[0,1]
	buffer_store_dword v4, off, s[0:3], 0 offset:360
	buffer_store_dword v5, off, s[0:3], 0 offset:364
	s_and_saveexec_b64 s[4:5], vcc
	s_cbranch_execz .LBB110_207
; %bb.206:
	buffer_load_dword v4, off, s[0:3], 0 offset:352
	buffer_load_dword v5, off, s[0:3], 0 offset:356
	s_waitcnt vmcnt(0)
	ds_write_b64 v89, v[4:5]
	buffer_store_dword v2, off, s[0:3], 0 offset:352
	buffer_store_dword v2, off, s[0:3], 0 offset:356
.LBB110_207:
	s_or_b64 exec, exec, s[4:5]
	s_waitcnt lgkmcnt(0)
	; wave barrier
	s_waitcnt lgkmcnt(0)
	buffer_load_dword v7, off, s[0:3], 0 offset:364
	buffer_load_dword v9, off, s[0:3], 0 offset:372
	;; [unrolled: 1-line block ×6, first 2 shown]
	ds_read2_b64 v[2:5], v2 offset0:93 offset1:94
	v_cmp_lt_u32_e32 vcc, 43, v0
	s_waitcnt vmcnt(5)
	v_mov_b32_e32 v12, v7
	s_waitcnt vmcnt(4)
	v_mov_b32_e32 v14, v9
	s_waitcnt lgkmcnt(0)
	v_pk_mul_f32 v[12:13], v[2:3], v[12:13] op_sel_hi:[1,0]
	v_pk_mul_f32 v[14:15], v[4:5], v[14:15] op_sel_hi:[1,0]
	s_waitcnt vmcnt(3)
	v_pk_fma_f32 v[16:17], v[2:3], v[6:7], v[12:13] op_sel:[0,0,1] op_sel_hi:[1,1,0] neg_lo:[0,0,1] neg_hi:[0,0,1]
	v_pk_fma_f32 v[2:3], v[2:3], v[6:7], v[12:13] op_sel:[0,0,1] op_sel_hi:[1,0,0]
	s_waitcnt vmcnt(2)
	v_pk_fma_f32 v[6:7], v[4:5], v[8:9], v[14:15] op_sel:[0,0,1] op_sel_hi:[1,1,0] neg_lo:[0,0,1] neg_hi:[0,0,1]
	v_pk_fma_f32 v[4:5], v[4:5], v[8:9], v[14:15] op_sel:[0,0,1] op_sel_hi:[1,0,0]
	v_mov_b32_e32 v17, v3
	v_mov_b32_e32 v7, v5
	v_pk_add_f32 v[2:3], v[16:17], 0 op_sel_hi:[1,0]
	v_pk_add_f32 v[2:3], v[2:3], v[6:7]
	s_waitcnt vmcnt(0)
	v_pk_add_f32 v[2:3], v[10:11], v[2:3] neg_lo:[0,1] neg_hi:[0,1]
	buffer_store_dword v2, off, s[0:3], 0 offset:352
	buffer_store_dword v3, off, s[0:3], 0 offset:356
	s_and_saveexec_b64 s[4:5], vcc
	s_cbranch_execz .LBB110_209
; %bb.208:
	buffer_load_dword v2, off, s[0:3], 0 offset:344
	buffer_load_dword v3, off, s[0:3], 0 offset:348
	v_mov_b32_e32 v4, 0
	buffer_store_dword v4, off, s[0:3], 0 offset:344
	buffer_store_dword v4, off, s[0:3], 0 offset:348
	s_waitcnt vmcnt(2)
	ds_write_b64 v89, v[2:3]
.LBB110_209:
	s_or_b64 exec, exec, s[4:5]
	s_waitcnt lgkmcnt(0)
	; wave barrier
	s_waitcnt lgkmcnt(0)
	buffer_load_dword v9, off, s[0:3], 0 offset:356
	buffer_load_dword v11, off, s[0:3], 0 offset:364
	;; [unrolled: 1-line block ×8, first 2 shown]
	v_mov_b32_e32 v2, 0
	ds_read_b128 v[4:7], v2 offset:736
	ds_read_b64 v[16:17], v2 offset:752
	v_cmp_lt_u32_e32 vcc, 42, v0
	s_waitcnt vmcnt(7)
	v_mov_b32_e32 v18, v9
	s_waitcnt vmcnt(6)
	v_mov_b32_e32 v20, v11
	s_waitcnt lgkmcnt(1)
	v_pk_mul_f32 v[18:19], v[4:5], v[18:19] op_sel_hi:[1,0]
	s_waitcnt vmcnt(5)
	v_mov_b32_e32 v22, v13
	v_pk_mul_f32 v[20:21], v[6:7], v[20:21] op_sel_hi:[1,0]
	s_waitcnt vmcnt(4)
	v_pk_fma_f32 v[24:25], v[4:5], v[8:9], v[18:19] op_sel:[0,0,1] op_sel_hi:[1,1,0] neg_lo:[0,0,1] neg_hi:[0,0,1]
	v_pk_fma_f32 v[4:5], v[4:5], v[8:9], v[18:19] op_sel:[0,0,1] op_sel_hi:[1,0,0]
	s_waitcnt lgkmcnt(0)
	v_pk_mul_f32 v[22:23], v[16:17], v[22:23] op_sel_hi:[1,0]
	s_waitcnt vmcnt(3)
	v_pk_fma_f32 v[8:9], v[6:7], v[10:11], v[20:21] op_sel:[0,0,1] op_sel_hi:[1,1,0] neg_lo:[0,0,1] neg_hi:[0,0,1]
	v_pk_fma_f32 v[6:7], v[6:7], v[10:11], v[20:21] op_sel:[0,0,1] op_sel_hi:[1,0,0]
	v_mov_b32_e32 v25, v5
	s_waitcnt vmcnt(2)
	v_pk_fma_f32 v[10:11], v[16:17], v[12:13], v[22:23] op_sel:[0,0,1] op_sel_hi:[1,1,0] neg_lo:[0,0,1] neg_hi:[0,0,1]
	v_pk_fma_f32 v[12:13], v[16:17], v[12:13], v[22:23] op_sel:[0,0,1] op_sel_hi:[1,0,0]
	v_mov_b32_e32 v9, v7
	v_pk_add_f32 v[4:5], v[24:25], 0 op_sel_hi:[1,0]
	v_mov_b32_e32 v11, v13
	v_pk_add_f32 v[4:5], v[4:5], v[8:9]
	v_pk_add_f32 v[4:5], v[4:5], v[10:11]
	s_waitcnt vmcnt(0)
	v_pk_add_f32 v[4:5], v[14:15], v[4:5] neg_lo:[0,1] neg_hi:[0,1]
	buffer_store_dword v4, off, s[0:3], 0 offset:344
	buffer_store_dword v5, off, s[0:3], 0 offset:348
	s_and_saveexec_b64 s[4:5], vcc
	s_cbranch_execz .LBB110_211
; %bb.210:
	buffer_load_dword v4, off, s[0:3], 0 offset:336
	buffer_load_dword v5, off, s[0:3], 0 offset:340
	s_waitcnt vmcnt(0)
	ds_write_b64 v89, v[4:5]
	buffer_store_dword v2, off, s[0:3], 0 offset:336
	buffer_store_dword v2, off, s[0:3], 0 offset:340
.LBB110_211:
	s_or_b64 exec, exec, s[4:5]
	s_waitcnt lgkmcnt(0)
	; wave barrier
	s_waitcnt lgkmcnt(0)
	buffer_load_dword v13, off, s[0:3], 0 offset:348
	buffer_load_dword v15, off, s[0:3], 0 offset:356
	;; [unrolled: 1-line block ×10, first 2 shown]
	ds_read2_b64 v[4:7], v2 offset0:91 offset1:92
	ds_read2_b64 v[8:11], v2 offset0:93 offset1:94
	v_cmp_lt_u32_e32 vcc, 41, v0
	s_waitcnt vmcnt(9)
	v_mov_b32_e32 v2, v13
	s_waitcnt vmcnt(8)
	v_mov_b32_e32 v22, v15
	s_waitcnt lgkmcnt(1)
	v_pk_mul_f32 v[2:3], v[4:5], v[2:3] op_sel_hi:[1,0]
	s_waitcnt vmcnt(7)
	v_mov_b32_e32 v24, v17
	v_pk_mul_f32 v[22:23], v[6:7], v[22:23] op_sel_hi:[1,0]
	s_waitcnt vmcnt(5)
	v_pk_fma_f32 v[28:29], v[4:5], v[12:13], v[2:3] op_sel:[0,0,1] op_sel_hi:[1,1,0] neg_lo:[0,0,1] neg_hi:[0,0,1]
	v_pk_fma_f32 v[2:3], v[4:5], v[12:13], v[2:3] op_sel:[0,0,1] op_sel_hi:[1,0,0]
	v_mov_b32_e32 v26, v19
	s_waitcnt lgkmcnt(0)
	v_pk_mul_f32 v[24:25], v[8:9], v[24:25] op_sel_hi:[1,0]
	s_waitcnt vmcnt(4)
	v_pk_fma_f32 v[4:5], v[6:7], v[14:15], v[22:23] op_sel:[0,0,1] op_sel_hi:[1,1,0] neg_lo:[0,0,1] neg_hi:[0,0,1]
	v_pk_fma_f32 v[6:7], v[6:7], v[14:15], v[22:23] op_sel:[0,0,1] op_sel_hi:[1,0,0]
	v_mov_b32_e32 v29, v3
	v_pk_mul_f32 v[26:27], v[10:11], v[26:27] op_sel_hi:[1,0]
	s_waitcnt vmcnt(3)
	v_pk_fma_f32 v[12:13], v[8:9], v[16:17], v[24:25] op_sel:[0,0,1] op_sel_hi:[1,1,0] neg_lo:[0,0,1] neg_hi:[0,0,1]
	v_pk_fma_f32 v[8:9], v[8:9], v[16:17], v[24:25] op_sel:[0,0,1] op_sel_hi:[1,0,0]
	v_mov_b32_e32 v5, v7
	v_pk_add_f32 v[2:3], v[28:29], 0 op_sel_hi:[1,0]
	s_waitcnt vmcnt(2)
	v_pk_fma_f32 v[14:15], v[10:11], v[18:19], v[26:27] op_sel:[0,0,1] op_sel_hi:[1,1,0] neg_lo:[0,0,1] neg_hi:[0,0,1]
	v_pk_fma_f32 v[10:11], v[10:11], v[18:19], v[26:27] op_sel:[0,0,1] op_sel_hi:[1,0,0]
	v_mov_b32_e32 v13, v9
	v_pk_add_f32 v[2:3], v[2:3], v[4:5]
	v_mov_b32_e32 v15, v11
	v_pk_add_f32 v[2:3], v[2:3], v[12:13]
	v_pk_add_f32 v[2:3], v[2:3], v[14:15]
	s_waitcnt vmcnt(0)
	v_pk_add_f32 v[2:3], v[20:21], v[2:3] neg_lo:[0,1] neg_hi:[0,1]
	buffer_store_dword v2, off, s[0:3], 0 offset:336
	buffer_store_dword v3, off, s[0:3], 0 offset:340
	s_and_saveexec_b64 s[4:5], vcc
	s_cbranch_execz .LBB110_213
; %bb.212:
	buffer_load_dword v2, off, s[0:3], 0 offset:328
	buffer_load_dword v3, off, s[0:3], 0 offset:332
	v_mov_b32_e32 v4, 0
	buffer_store_dword v4, off, s[0:3], 0 offset:328
	buffer_store_dword v4, off, s[0:3], 0 offset:332
	s_waitcnt vmcnt(2)
	ds_write_b64 v89, v[2:3]
.LBB110_213:
	s_or_b64 exec, exec, s[4:5]
	s_waitcnt lgkmcnt(0)
	; wave barrier
	s_waitcnt lgkmcnt(0)
	buffer_load_dword v12, off, s[0:3], 0 offset:328
	buffer_load_dword v13, off, s[0:3], 0 offset:332
	;; [unrolled: 1-line block ×12, first 2 shown]
	v_mov_b32_e32 v2, 0
	ds_read_b128 v[4:7], v2 offset:720
	ds_read_b128 v[8:11], v2 offset:736
	ds_read_b64 v[24:25], v2 offset:752
	v_cmp_lt_u32_e32 vcc, 40, v0
	s_waitcnt vmcnt(8)
	v_mov_b32_e32 v26, v15
	s_waitcnt lgkmcnt(2)
	v_pk_mul_f32 v[26:27], v[4:5], v[26:27] op_sel_hi:[1,0]
	v_pk_fma_f32 v[28:29], v[4:5], v[14:15], v[26:27] op_sel:[0,0,1] op_sel_hi:[1,1,0] neg_lo:[0,0,1] neg_hi:[0,0,1]
	v_pk_fma_f32 v[4:5], v[4:5], v[14:15], v[26:27] op_sel:[0,0,1] op_sel_hi:[1,0,0]
	s_waitcnt vmcnt(6)
	v_mov_b32_e32 v14, v17
	v_pk_mul_f32 v[14:15], v[6:7], v[14:15] op_sel_hi:[1,0]
	v_pk_fma_f32 v[26:27], v[6:7], v[16:17], v[14:15] op_sel:[0,0,1] op_sel_hi:[1,1,0] neg_lo:[0,0,1] neg_hi:[0,0,1]
	v_pk_fma_f32 v[6:7], v[6:7], v[16:17], v[14:15] op_sel:[0,0,1] op_sel_hi:[1,0,0]
	s_waitcnt vmcnt(4)
	v_mov_b32_e32 v6, v19
	v_mov_b32_e32 v27, v7
	s_waitcnt lgkmcnt(1)
	v_pk_mul_f32 v[6:7], v[8:9], v[6:7] op_sel_hi:[1,0]
	v_pk_fma_f32 v[14:15], v[8:9], v[18:19], v[6:7] op_sel:[0,0,1] op_sel_hi:[1,1,0] neg_lo:[0,0,1] neg_hi:[0,0,1]
	v_pk_fma_f32 v[6:7], v[8:9], v[18:19], v[6:7] op_sel:[0,0,1] op_sel_hi:[1,0,0]
	s_waitcnt vmcnt(2)
	v_mov_b32_e32 v6, v21
	v_mov_b32_e32 v29, v5
	;; [unrolled: 1-line block ×3, first 2 shown]
	v_pk_mul_f32 v[6:7], v[10:11], v[6:7] op_sel_hi:[1,0]
	v_pk_add_f32 v[4:5], v[28:29], 0 op_sel_hi:[1,0]
	v_pk_fma_f32 v[8:9], v[10:11], v[20:21], v[6:7] op_sel:[0,0,1] op_sel_hi:[1,1,0] neg_lo:[0,0,1] neg_hi:[0,0,1]
	v_pk_fma_f32 v[6:7], v[10:11], v[20:21], v[6:7] op_sel:[0,0,1] op_sel_hi:[1,0,0]
	v_pk_add_f32 v[4:5], v[4:5], v[26:27]
	s_waitcnt vmcnt(0)
	v_mov_b32_e32 v6, v23
	v_pk_add_f32 v[4:5], v[4:5], v[14:15]
	v_mov_b32_e32 v9, v7
	s_waitcnt lgkmcnt(0)
	v_pk_mul_f32 v[6:7], v[24:25], v[6:7] op_sel_hi:[1,0]
	v_pk_add_f32 v[4:5], v[4:5], v[8:9]
	v_pk_fma_f32 v[8:9], v[24:25], v[22:23], v[6:7] op_sel:[0,0,1] op_sel_hi:[1,1,0] neg_lo:[0,0,1] neg_hi:[0,0,1]
	v_pk_fma_f32 v[6:7], v[24:25], v[22:23], v[6:7] op_sel:[0,0,1] op_sel_hi:[1,0,0]
	v_mov_b32_e32 v9, v7
	v_pk_add_f32 v[4:5], v[4:5], v[8:9]
	v_pk_add_f32 v[4:5], v[12:13], v[4:5] neg_lo:[0,1] neg_hi:[0,1]
	buffer_store_dword v4, off, s[0:3], 0 offset:328
	buffer_store_dword v5, off, s[0:3], 0 offset:332
	s_and_saveexec_b64 s[4:5], vcc
	s_cbranch_execz .LBB110_215
; %bb.214:
	buffer_load_dword v4, off, s[0:3], 0 offset:320
	buffer_load_dword v5, off, s[0:3], 0 offset:324
	s_waitcnt vmcnt(0)
	ds_write_b64 v89, v[4:5]
	buffer_store_dword v2, off, s[0:3], 0 offset:320
	buffer_store_dword v2, off, s[0:3], 0 offset:324
.LBB110_215:
	s_or_b64 exec, exec, s[4:5]
	s_waitcnt lgkmcnt(0)
	; wave barrier
	s_waitcnt lgkmcnt(0)
	buffer_load_dword v16, off, s[0:3], 0 offset:320
	buffer_load_dword v17, off, s[0:3], 0 offset:324
	;; [unrolled: 1-line block ×14, first 2 shown]
	ds_read2_b64 v[4:7], v2 offset0:89 offset1:90
	ds_read2_b64 v[8:11], v2 offset0:91 offset1:92
	;; [unrolled: 1-line block ×3, first 2 shown]
	v_cmp_lt_u32_e32 vcc, 39, v0
	s_waitcnt vmcnt(10)
	v_mov_b32_e32 v2, v19
	s_waitcnt lgkmcnt(2)
	v_pk_mul_f32 v[2:3], v[4:5], v[2:3] op_sel_hi:[1,0]
	v_pk_fma_f32 v[30:31], v[4:5], v[18:19], v[2:3] op_sel:[0,0,1] op_sel_hi:[1,1,0] neg_lo:[0,0,1] neg_hi:[0,0,1]
	v_pk_fma_f32 v[2:3], v[4:5], v[18:19], v[2:3] op_sel:[0,0,1] op_sel_hi:[1,0,0]
	s_waitcnt vmcnt(8)
	v_mov_b32_e32 v4, v21
	v_pk_mul_f32 v[4:5], v[6:7], v[4:5] op_sel_hi:[1,0]
	v_pk_fma_f32 v[18:19], v[6:7], v[20:21], v[4:5] op_sel:[0,0,1] op_sel_hi:[1,1,0] neg_lo:[0,0,1] neg_hi:[0,0,1]
	v_pk_fma_f32 v[4:5], v[6:7], v[20:21], v[4:5] op_sel:[0,0,1] op_sel_hi:[1,0,0]
	s_waitcnt vmcnt(6)
	v_mov_b32_e32 v4, v23
	v_mov_b32_e32 v19, v5
	s_waitcnt lgkmcnt(1)
	v_pk_mul_f32 v[4:5], v[8:9], v[4:5] op_sel_hi:[1,0]
	v_mov_b32_e32 v31, v3
	v_pk_fma_f32 v[6:7], v[8:9], v[22:23], v[4:5] op_sel:[0,0,1] op_sel_hi:[1,1,0] neg_lo:[0,0,1] neg_hi:[0,0,1]
	v_pk_fma_f32 v[4:5], v[8:9], v[22:23], v[4:5] op_sel:[0,0,1] op_sel_hi:[1,0,0]
	v_pk_add_f32 v[2:3], v[30:31], 0 op_sel_hi:[1,0]
	s_waitcnt vmcnt(4)
	v_mov_b32_e32 v4, v25
	v_pk_add_f32 v[2:3], v[2:3], v[18:19]
	v_mov_b32_e32 v7, v5
	v_pk_mul_f32 v[4:5], v[10:11], v[4:5] op_sel_hi:[1,0]
	v_pk_add_f32 v[2:3], v[2:3], v[6:7]
	v_pk_fma_f32 v[6:7], v[10:11], v[24:25], v[4:5] op_sel:[0,0,1] op_sel_hi:[1,1,0] neg_lo:[0,0,1] neg_hi:[0,0,1]
	v_pk_fma_f32 v[4:5], v[10:11], v[24:25], v[4:5] op_sel:[0,0,1] op_sel_hi:[1,0,0]
	s_waitcnt vmcnt(2)
	v_mov_b32_e32 v4, v27
	v_mov_b32_e32 v7, v5
	s_waitcnt lgkmcnt(0)
	v_pk_mul_f32 v[4:5], v[12:13], v[4:5] op_sel_hi:[1,0]
	v_pk_add_f32 v[2:3], v[2:3], v[6:7]
	v_pk_fma_f32 v[6:7], v[12:13], v[26:27], v[4:5] op_sel:[0,0,1] op_sel_hi:[1,1,0] neg_lo:[0,0,1] neg_hi:[0,0,1]
	v_pk_fma_f32 v[4:5], v[12:13], v[26:27], v[4:5] op_sel:[0,0,1] op_sel_hi:[1,0,0]
	s_waitcnt vmcnt(0)
	v_mov_b32_e32 v4, v29
	v_mov_b32_e32 v7, v5
	v_pk_mul_f32 v[4:5], v[14:15], v[4:5] op_sel_hi:[1,0]
	v_pk_add_f32 v[2:3], v[2:3], v[6:7]
	v_pk_fma_f32 v[6:7], v[14:15], v[28:29], v[4:5] op_sel:[0,0,1] op_sel_hi:[1,1,0] neg_lo:[0,0,1] neg_hi:[0,0,1]
	v_pk_fma_f32 v[4:5], v[14:15], v[28:29], v[4:5] op_sel:[0,0,1] op_sel_hi:[1,0,0]
	v_mov_b32_e32 v7, v5
	v_pk_add_f32 v[2:3], v[2:3], v[6:7]
	v_pk_add_f32 v[2:3], v[16:17], v[2:3] neg_lo:[0,1] neg_hi:[0,1]
	buffer_store_dword v2, off, s[0:3], 0 offset:320
	buffer_store_dword v3, off, s[0:3], 0 offset:324
	s_and_saveexec_b64 s[4:5], vcc
	s_cbranch_execz .LBB110_217
; %bb.216:
	buffer_load_dword v2, off, s[0:3], 0 offset:312
	buffer_load_dword v3, off, s[0:3], 0 offset:316
	v_mov_b32_e32 v4, 0
	buffer_store_dword v4, off, s[0:3], 0 offset:312
	buffer_store_dword v4, off, s[0:3], 0 offset:316
	s_waitcnt vmcnt(2)
	ds_write_b64 v89, v[2:3]
.LBB110_217:
	s_or_b64 exec, exec, s[4:5]
	s_waitcnt lgkmcnt(0)
	; wave barrier
	s_waitcnt lgkmcnt(0)
	buffer_load_dword v17, off, s[0:3], 0 offset:324
	buffer_load_dword v19, off, s[0:3], 0 offset:332
	;; [unrolled: 1-line block ×16, first 2 shown]
	v_mov_b32_e32 v2, 0
	ds_read_b128 v[4:7], v2 offset:704
	ds_read_b128 v[8:11], v2 offset:720
	;; [unrolled: 1-line block ×3, first 2 shown]
	ds_read_b64 v[32:33], v2 offset:752
	v_cmp_lt_u32_e32 vcc, 38, v0
	s_waitcnt vmcnt(15)
	v_mov_b32_e32 v34, v17
	s_waitcnt vmcnt(14)
	v_mov_b32_e32 v36, v19
	s_waitcnt lgkmcnt(3)
	v_pk_mul_f32 v[34:35], v[4:5], v[34:35] op_sel_hi:[1,0]
	s_waitcnt vmcnt(13)
	v_mov_b32_e32 v38, v21
	v_pk_mul_f32 v[36:37], v[6:7], v[36:37] op_sel_hi:[1,0]
	s_waitcnt vmcnt(12)
	v_mov_b32_e32 v40, v23
	s_waitcnt lgkmcnt(2)
	v_pk_mul_f32 v[38:39], v[8:9], v[38:39] op_sel_hi:[1,0]
	s_waitcnt vmcnt(8)
	v_pk_fma_f32 v[48:49], v[4:5], v[16:17], v[34:35] op_sel:[0,0,1] op_sel_hi:[1,1,0] neg_lo:[0,0,1] neg_hi:[0,0,1]
	v_pk_fma_f32 v[4:5], v[4:5], v[16:17], v[34:35] op_sel:[0,0,1] op_sel_hi:[1,0,0]
	s_waitcnt vmcnt(7)
	v_pk_fma_f32 v[16:17], v[6:7], v[18:19], v[36:37] op_sel:[0,0,1] op_sel_hi:[1,1,0] neg_lo:[0,0,1] neg_hi:[0,0,1]
	v_pk_fma_f32 v[6:7], v[6:7], v[18:19], v[36:37] op_sel:[0,0,1] op_sel_hi:[1,0,0]
	v_mov_b32_e32 v49, v5
	v_mov_b32_e32 v42, v25
	v_pk_mul_f32 v[40:41], v[10:11], v[40:41] op_sel_hi:[1,0]
	s_waitcnt vmcnt(6)
	v_pk_fma_f32 v[18:19], v[8:9], v[20:21], v[38:39] op_sel:[0,0,1] op_sel_hi:[1,1,0] neg_lo:[0,0,1] neg_hi:[0,0,1]
	v_pk_fma_f32 v[8:9], v[8:9], v[20:21], v[38:39] op_sel:[0,0,1] op_sel_hi:[1,0,0]
	v_mov_b32_e32 v17, v7
	v_pk_add_f32 v[4:5], v[48:49], 0 op_sel_hi:[1,0]
	v_mov_b32_e32 v44, v27
	s_waitcnt lgkmcnt(1)
	v_pk_mul_f32 v[42:43], v[12:13], v[42:43] op_sel_hi:[1,0]
	s_waitcnt vmcnt(5)
	v_pk_fma_f32 v[20:21], v[10:11], v[22:23], v[40:41] op_sel:[0,0,1] op_sel_hi:[1,1,0] neg_lo:[0,0,1] neg_hi:[0,0,1]
	v_pk_fma_f32 v[10:11], v[10:11], v[22:23], v[40:41] op_sel:[0,0,1] op_sel_hi:[1,0,0]
	v_mov_b32_e32 v19, v9
	v_pk_add_f32 v[4:5], v[4:5], v[16:17]
	v_mov_b32_e32 v46, v29
	v_pk_mul_f32 v[44:45], v[14:15], v[44:45] op_sel_hi:[1,0]
	s_waitcnt vmcnt(4)
	v_pk_fma_f32 v[22:23], v[12:13], v[24:25], v[42:43] op_sel:[0,0,1] op_sel_hi:[1,1,0] neg_lo:[0,0,1] neg_hi:[0,0,1]
	v_pk_fma_f32 v[12:13], v[12:13], v[24:25], v[42:43] op_sel:[0,0,1] op_sel_hi:[1,0,0]
	v_mov_b32_e32 v21, v11
	v_pk_add_f32 v[4:5], v[4:5], v[18:19]
	s_waitcnt lgkmcnt(0)
	v_pk_mul_f32 v[46:47], v[32:33], v[46:47] op_sel_hi:[1,0]
	s_waitcnt vmcnt(3)
	v_pk_fma_f32 v[24:25], v[14:15], v[26:27], v[44:45] op_sel:[0,0,1] op_sel_hi:[1,1,0] neg_lo:[0,0,1] neg_hi:[0,0,1]
	v_pk_fma_f32 v[14:15], v[14:15], v[26:27], v[44:45] op_sel:[0,0,1] op_sel_hi:[1,0,0]
	v_mov_b32_e32 v23, v13
	v_pk_add_f32 v[4:5], v[4:5], v[20:21]
	s_waitcnt vmcnt(2)
	v_pk_fma_f32 v[26:27], v[32:33], v[28:29], v[46:47] op_sel:[0,0,1] op_sel_hi:[1,1,0] neg_lo:[0,0,1] neg_hi:[0,0,1]
	v_pk_fma_f32 v[28:29], v[32:33], v[28:29], v[46:47] op_sel:[0,0,1] op_sel_hi:[1,0,0]
	v_mov_b32_e32 v25, v15
	v_pk_add_f32 v[4:5], v[4:5], v[22:23]
	v_mov_b32_e32 v27, v29
	v_pk_add_f32 v[4:5], v[4:5], v[24:25]
	v_pk_add_f32 v[4:5], v[4:5], v[26:27]
	s_waitcnt vmcnt(0)
	v_pk_add_f32 v[4:5], v[30:31], v[4:5] neg_lo:[0,1] neg_hi:[0,1]
	buffer_store_dword v4, off, s[0:3], 0 offset:312
	buffer_store_dword v5, off, s[0:3], 0 offset:316
	s_and_saveexec_b64 s[4:5], vcc
	s_cbranch_execz .LBB110_219
; %bb.218:
	buffer_load_dword v4, off, s[0:3], 0 offset:304
	buffer_load_dword v5, off, s[0:3], 0 offset:308
	s_waitcnt vmcnt(0)
	ds_write_b64 v89, v[4:5]
	buffer_store_dword v2, off, s[0:3], 0 offset:304
	buffer_store_dword v2, off, s[0:3], 0 offset:308
.LBB110_219:
	s_or_b64 exec, exec, s[4:5]
	s_waitcnt lgkmcnt(0)
	; wave barrier
	s_waitcnt lgkmcnt(0)
	buffer_load_dword v21, off, s[0:3], 0 offset:316
	buffer_load_dword v23, off, s[0:3], 0 offset:324
	buffer_load_dword v25, off, s[0:3], 0 offset:332
	buffer_load_dword v27, off, s[0:3], 0 offset:340
	buffer_load_dword v29, off, s[0:3], 0 offset:348
	buffer_load_dword v31, off, s[0:3], 0 offset:356
	buffer_load_dword v33, off, s[0:3], 0 offset:364
	buffer_load_dword v35, off, s[0:3], 0 offset:372
	buffer_load_dword v20, off, s[0:3], 0 offset:312
	buffer_load_dword v22, off, s[0:3], 0 offset:320
	buffer_load_dword v24, off, s[0:3], 0 offset:328
	buffer_load_dword v26, off, s[0:3], 0 offset:336
	buffer_load_dword v28, off, s[0:3], 0 offset:344
	buffer_load_dword v30, off, s[0:3], 0 offset:352
	buffer_load_dword v32, off, s[0:3], 0 offset:360
	buffer_load_dword v34, off, s[0:3], 0 offset:368
	buffer_load_dword v36, off, s[0:3], 0 offset:304
	buffer_load_dword v37, off, s[0:3], 0 offset:308
	ds_read2_b64 v[4:7], v2 offset0:87 offset1:88
	ds_read2_b64 v[8:11], v2 offset0:89 offset1:90
	;; [unrolled: 1-line block ×4, first 2 shown]
	v_cmp_lt_u32_e32 vcc, 37, v0
	s_waitcnt vmcnt(17)
	v_mov_b32_e32 v2, v21
	s_waitcnt vmcnt(16)
	v_mov_b32_e32 v38, v23
	s_waitcnt lgkmcnt(3)
	v_pk_mul_f32 v[2:3], v[4:5], v[2:3] op_sel_hi:[1,0]
	s_waitcnt vmcnt(15)
	v_mov_b32_e32 v40, v25
	v_pk_mul_f32 v[38:39], v[6:7], v[38:39] op_sel_hi:[1,0]
	s_waitcnt vmcnt(14)
	v_mov_b32_e32 v42, v27
	s_waitcnt lgkmcnt(2)
	v_pk_mul_f32 v[40:41], v[8:9], v[40:41] op_sel_hi:[1,0]
	s_waitcnt vmcnt(13)
	v_mov_b32_e32 v44, v29
	s_waitcnt vmcnt(9)
	v_pk_fma_f32 v[52:53], v[4:5], v[20:21], v[2:3] op_sel:[0,0,1] op_sel_hi:[1,1,0] neg_lo:[0,0,1] neg_hi:[0,0,1]
	v_pk_fma_f32 v[2:3], v[4:5], v[20:21], v[2:3] op_sel:[0,0,1] op_sel_hi:[1,0,0]
	s_waitcnt vmcnt(8)
	v_pk_fma_f32 v[4:5], v[6:7], v[22:23], v[38:39] op_sel:[0,0,1] op_sel_hi:[1,1,0] neg_lo:[0,0,1] neg_hi:[0,0,1]
	v_pk_fma_f32 v[6:7], v[6:7], v[22:23], v[38:39] op_sel:[0,0,1] op_sel_hi:[1,0,0]
	v_mov_b32_e32 v53, v3
	v_pk_mul_f32 v[42:43], v[10:11], v[42:43] op_sel_hi:[1,0]
	s_waitcnt vmcnt(7)
	v_pk_fma_f32 v[20:21], v[8:9], v[24:25], v[40:41] op_sel:[0,0,1] op_sel_hi:[1,1,0] neg_lo:[0,0,1] neg_hi:[0,0,1]
	v_pk_fma_f32 v[8:9], v[8:9], v[24:25], v[40:41] op_sel:[0,0,1] op_sel_hi:[1,0,0]
	v_mov_b32_e32 v5, v7
	v_pk_add_f32 v[2:3], v[52:53], 0 op_sel_hi:[1,0]
	v_mov_b32_e32 v46, v31
	s_waitcnt lgkmcnt(1)
	v_pk_mul_f32 v[44:45], v[12:13], v[44:45] op_sel_hi:[1,0]
	s_waitcnt vmcnt(6)
	v_pk_fma_f32 v[22:23], v[10:11], v[26:27], v[42:43] op_sel:[0,0,1] op_sel_hi:[1,1,0] neg_lo:[0,0,1] neg_hi:[0,0,1]
	v_pk_fma_f32 v[10:11], v[10:11], v[26:27], v[42:43] op_sel:[0,0,1] op_sel_hi:[1,0,0]
	v_mov_b32_e32 v21, v9
	v_pk_add_f32 v[2:3], v[2:3], v[4:5]
	v_mov_b32_e32 v48, v33
	v_pk_mul_f32 v[46:47], v[14:15], v[46:47] op_sel_hi:[1,0]
	s_waitcnt vmcnt(5)
	v_pk_fma_f32 v[24:25], v[12:13], v[28:29], v[44:45] op_sel:[0,0,1] op_sel_hi:[1,1,0] neg_lo:[0,0,1] neg_hi:[0,0,1]
	v_pk_fma_f32 v[12:13], v[12:13], v[28:29], v[44:45] op_sel:[0,0,1] op_sel_hi:[1,0,0]
	v_mov_b32_e32 v23, v11
	v_pk_add_f32 v[2:3], v[2:3], v[20:21]
	v_mov_b32_e32 v50, v35
	s_waitcnt lgkmcnt(0)
	v_pk_mul_f32 v[48:49], v[16:17], v[48:49] op_sel_hi:[1,0]
	s_waitcnt vmcnt(4)
	v_pk_fma_f32 v[26:27], v[14:15], v[30:31], v[46:47] op_sel:[0,0,1] op_sel_hi:[1,1,0] neg_lo:[0,0,1] neg_hi:[0,0,1]
	v_pk_fma_f32 v[14:15], v[14:15], v[30:31], v[46:47] op_sel:[0,0,1] op_sel_hi:[1,0,0]
	v_mov_b32_e32 v25, v13
	v_pk_add_f32 v[2:3], v[2:3], v[22:23]
	v_pk_mul_f32 v[50:51], v[18:19], v[50:51] op_sel_hi:[1,0]
	s_waitcnt vmcnt(3)
	v_pk_fma_f32 v[28:29], v[16:17], v[32:33], v[48:49] op_sel:[0,0,1] op_sel_hi:[1,1,0] neg_lo:[0,0,1] neg_hi:[0,0,1]
	v_pk_fma_f32 v[16:17], v[16:17], v[32:33], v[48:49] op_sel:[0,0,1] op_sel_hi:[1,0,0]
	v_mov_b32_e32 v27, v15
	v_pk_add_f32 v[2:3], v[2:3], v[24:25]
	s_waitcnt vmcnt(2)
	v_pk_fma_f32 v[30:31], v[18:19], v[34:35], v[50:51] op_sel:[0,0,1] op_sel_hi:[1,1,0] neg_lo:[0,0,1] neg_hi:[0,0,1]
	v_pk_fma_f32 v[18:19], v[18:19], v[34:35], v[50:51] op_sel:[0,0,1] op_sel_hi:[1,0,0]
	v_mov_b32_e32 v29, v17
	v_pk_add_f32 v[2:3], v[2:3], v[26:27]
	v_mov_b32_e32 v31, v19
	v_pk_add_f32 v[2:3], v[2:3], v[28:29]
	v_pk_add_f32 v[2:3], v[2:3], v[30:31]
	s_waitcnt vmcnt(0)
	v_pk_add_f32 v[2:3], v[36:37], v[2:3] neg_lo:[0,1] neg_hi:[0,1]
	buffer_store_dword v2, off, s[0:3], 0 offset:304
	buffer_store_dword v3, off, s[0:3], 0 offset:308
	s_and_saveexec_b64 s[4:5], vcc
	s_cbranch_execz .LBB110_221
; %bb.220:
	buffer_load_dword v2, off, s[0:3], 0 offset:296
	buffer_load_dword v3, off, s[0:3], 0 offset:300
	v_mov_b32_e32 v4, 0
	buffer_store_dword v4, off, s[0:3], 0 offset:296
	buffer_store_dword v4, off, s[0:3], 0 offset:300
	s_waitcnt vmcnt(2)
	ds_write_b64 v89, v[2:3]
.LBB110_221:
	s_or_b64 exec, exec, s[4:5]
	s_waitcnt lgkmcnt(0)
	; wave barrier
	s_waitcnt lgkmcnt(0)
	buffer_load_dword v3, off, s[0:3], 0 offset:308
	buffer_load_dword v21, off, s[0:3], 0 offset:316
	;; [unrolled: 1-line block ×20, first 2 shown]
	v_mov_b32_e32 v2, 0
	ds_read_b128 v[4:7], v2 offset:688
	ds_read_b128 v[8:11], v2 offset:704
	;; [unrolled: 1-line block ×4, first 2 shown]
	ds_read_b64 v[38:39], v2 offset:752
	v_cmp_lt_u32_e32 vcc, 36, v0
	s_waitcnt vmcnt(19) lgkmcnt(4)
	v_mul_f32_e32 v41, v4, v3
	v_mul_f32_e32 v3, v5, v3
	s_waitcnt vmcnt(18)
	v_mov_b32_e32 v42, v21
	s_waitcnt vmcnt(17)
	v_mov_b32_e32 v44, v23
	;; [unrolled: 2-line block ×8, first 2 shown]
	s_waitcnt vmcnt(10)
	v_fmac_f32_e32 v41, v5, v40
	v_fma_f32 v40, v4, v40, -v3
	v_pk_mul_f32 v[4:5], v[6:7], v[42:43] op_sel_hi:[1,0]
	s_waitcnt lgkmcnt(3)
	v_pk_mul_f32 v[42:43], v[8:9], v[44:45] op_sel_hi:[1,0]
	v_pk_mul_f32 v[44:45], v[10:11], v[46:47] op_sel_hi:[1,0]
	s_waitcnt lgkmcnt(2)
	v_pk_mul_f32 v[46:47], v[12:13], v[48:49] op_sel_hi:[1,0]
	;; [unrolled: 3-line block ×4, first 2 shown]
	s_waitcnt vmcnt(9)
	v_pk_fma_f32 v[56:57], v[6:7], v[20:21], v[4:5] op_sel:[0,0,1] op_sel_hi:[1,1,0] neg_lo:[0,0,1] neg_hi:[0,0,1]
	v_pk_fma_f32 v[4:5], v[6:7], v[20:21], v[4:5] op_sel:[0,0,1] op_sel_hi:[1,0,0]
	v_pk_add_f32 v[40:41], v[40:41], 0 op_sel_hi:[1,0]
	s_waitcnt vmcnt(8)
	v_pk_fma_f32 v[6:7], v[8:9], v[22:23], v[42:43] op_sel:[0,0,1] op_sel_hi:[1,1,0] neg_lo:[0,0,1] neg_hi:[0,0,1]
	v_pk_fma_f32 v[8:9], v[8:9], v[22:23], v[42:43] op_sel:[0,0,1] op_sel_hi:[1,0,0]
	v_mov_b32_e32 v57, v5
	s_waitcnt vmcnt(7)
	v_pk_fma_f32 v[20:21], v[10:11], v[24:25], v[44:45] op_sel:[0,0,1] op_sel_hi:[1,1,0] neg_lo:[0,0,1] neg_hi:[0,0,1]
	v_pk_fma_f32 v[10:11], v[10:11], v[24:25], v[44:45] op_sel:[0,0,1] op_sel_hi:[1,0,0]
	v_mov_b32_e32 v7, v9
	v_pk_add_f32 v[4:5], v[40:41], v[56:57]
	s_waitcnt vmcnt(6)
	v_pk_fma_f32 v[22:23], v[12:13], v[26:27], v[46:47] op_sel:[0,0,1] op_sel_hi:[1,1,0] neg_lo:[0,0,1] neg_hi:[0,0,1]
	v_pk_fma_f32 v[12:13], v[12:13], v[26:27], v[46:47] op_sel:[0,0,1] op_sel_hi:[1,0,0]
	v_mov_b32_e32 v21, v11
	v_pk_add_f32 v[4:5], v[4:5], v[6:7]
	;; [unrolled: 5-line block ×5, first 2 shown]
	v_pk_fma_f32 v[30:31], v[38:39], v[34:35], v[54:55] op_sel:[0,0,1] op_sel_hi:[1,1,0] neg_lo:[0,0,1] neg_hi:[0,0,1]
	v_pk_fma_f32 v[32:33], v[38:39], v[34:35], v[54:55] op_sel:[0,0,1] op_sel_hi:[1,0,0]
	v_mov_b32_e32 v29, v19
	v_pk_add_f32 v[4:5], v[4:5], v[26:27]
	v_mov_b32_e32 v31, v33
	v_pk_add_f32 v[4:5], v[4:5], v[28:29]
	v_pk_add_f32 v[4:5], v[4:5], v[30:31]
	s_waitcnt vmcnt(0)
	v_pk_add_f32 v[4:5], v[36:37], v[4:5] neg_lo:[0,1] neg_hi:[0,1]
	buffer_store_dword v4, off, s[0:3], 0 offset:296
	buffer_store_dword v5, off, s[0:3], 0 offset:300
	s_and_saveexec_b64 s[4:5], vcc
	s_cbranch_execz .LBB110_223
; %bb.222:
	buffer_load_dword v4, off, s[0:3], 0 offset:288
	buffer_load_dword v5, off, s[0:3], 0 offset:292
	s_waitcnt vmcnt(0)
	ds_write_b64 v89, v[4:5]
	buffer_store_dword v2, off, s[0:3], 0 offset:288
	buffer_store_dword v2, off, s[0:3], 0 offset:292
.LBB110_223:
	s_or_b64 exec, exec, s[4:5]
	s_waitcnt lgkmcnt(0)
	; wave barrier
	s_waitcnt lgkmcnt(0)
	buffer_load_dword v42, off, s[0:3], 0 offset:300
	buffer_load_dword v44, off, s[0:3], 0 offset:308
	;; [unrolled: 1-line block ×22, first 2 shown]
	ds_read2_b64 v[4:7], v2 offset0:85 offset1:86
	ds_read2_b64 v[8:11], v2 offset0:87 offset1:88
	;; [unrolled: 1-line block ×5, first 2 shown]
	v_cmp_lt_u32_e32 vcc, 35, v0
	s_waitcnt vmcnt(21) lgkmcnt(4)
	v_mul_f32_e32 v3, v4, v42
	s_waitcnt vmcnt(20)
	v_mul_f32_e32 v43, v6, v44
	v_mul_f32_e32 v2, v5, v42
	;; [unrolled: 1-line block ×3, first 2 shown]
	s_waitcnt vmcnt(19)
	v_mov_b32_e32 v44, v25
	s_waitcnt vmcnt(18)
	v_mov_b32_e32 v46, v27
	;; [unrolled: 2-line block ×5, first 2 shown]
	v_mov_b32_e32 v50, v31
	s_waitcnt vmcnt(11)
	v_fmac_f32_e32 v3, v5, v45
	v_fma_f32 v2, v4, v45, -v2
	s_waitcnt lgkmcnt(3)
	v_pk_mul_f32 v[4:5], v[8:9], v[44:45] op_sel_hi:[1,0]
	s_waitcnt vmcnt(10)
	v_fmac_f32_e32 v43, v7, v47
	v_fma_f32 v42, v6, v47, -v42
	v_pk_mul_f32 v[6:7], v[10:11], v[46:47] op_sel_hi:[1,0]
	s_waitcnt lgkmcnt(2)
	v_pk_mul_f32 v[44:45], v[12:13], v[48:49] op_sel_hi:[1,0]
	s_waitcnt lgkmcnt(1)
	;; [unrolled: 2-line block ×3, first 2 shown]
	v_pk_mul_f32 v[52:53], v[20:21], v[56:57] op_sel_hi:[1,0]
	v_pk_add_f32 v[2:3], v[2:3], 0 op_sel_hi:[1,0]
	s_waitcnt vmcnt(9)
	v_pk_fma_f32 v[56:57], v[8:9], v[24:25], v[4:5] op_sel:[0,0,1] op_sel_hi:[1,1,0] neg_lo:[0,0,1] neg_hi:[0,0,1]
	v_pk_fma_f32 v[4:5], v[8:9], v[24:25], v[4:5] op_sel:[0,0,1] op_sel_hi:[1,0,0]
	s_waitcnt vmcnt(8)
	v_pk_fma_f32 v[8:9], v[10:11], v[26:27], v[6:7] op_sel:[0,0,1] op_sel_hi:[1,1,0] neg_lo:[0,0,1] neg_hi:[0,0,1]
	v_pk_fma_f32 v[6:7], v[10:11], v[26:27], v[6:7] op_sel:[0,0,1] op_sel_hi:[1,0,0]
	v_pk_add_f32 v[2:3], v[2:3], v[42:43]
	v_mov_b32_e32 v57, v5
	v_pk_mul_f32 v[46:47], v[14:15], v[50:51] op_sel_hi:[1,0]
	s_waitcnt vmcnt(7)
	v_pk_fma_f32 v[10:11], v[12:13], v[28:29], v[44:45] op_sel:[0,0,1] op_sel_hi:[1,1,0] neg_lo:[0,0,1] neg_hi:[0,0,1]
	v_pk_fma_f32 v[12:13], v[12:13], v[28:29], v[44:45] op_sel:[0,0,1] op_sel_hi:[1,0,0]
	v_mov_b32_e32 v9, v7
	v_pk_add_f32 v[2:3], v[2:3], v[56:57]
	v_mov_b32_e32 v54, v35
	s_waitcnt vmcnt(6)
	v_pk_fma_f32 v[24:25], v[14:15], v[30:31], v[46:47] op_sel:[0,0,1] op_sel_hi:[1,1,0] neg_lo:[0,0,1] neg_hi:[0,0,1]
	v_pk_fma_f32 v[14:15], v[14:15], v[30:31], v[46:47] op_sel:[0,0,1] op_sel_hi:[1,0,0]
	v_mov_b32_e32 v11, v13
	v_pk_add_f32 v[2:3], v[2:3], v[8:9]
	v_pk_mul_f32 v[50:51], v[18:19], v[54:55] op_sel_hi:[1,0]
	s_waitcnt vmcnt(5)
	v_pk_fma_f32 v[26:27], v[16:17], v[32:33], v[48:49] op_sel:[0,0,1] op_sel_hi:[1,1,0] neg_lo:[0,0,1] neg_hi:[0,0,1]
	v_pk_fma_f32 v[16:17], v[16:17], v[32:33], v[48:49] op_sel:[0,0,1] op_sel_hi:[1,0,0]
	v_mov_b32_e32 v25, v15
	v_pk_add_f32 v[2:3], v[2:3], v[10:11]
	v_mov_b32_e32 v58, v39
	s_waitcnt vmcnt(2)
	v_pk_fma_f32 v[28:29], v[18:19], v[34:35], v[50:51] op_sel:[0,0,1] op_sel_hi:[1,1,0] neg_lo:[0,0,1] neg_hi:[0,0,1]
	v_pk_fma_f32 v[18:19], v[18:19], v[34:35], v[50:51] op_sel:[0,0,1] op_sel_hi:[1,0,0]
	v_mov_b32_e32 v27, v17
	v_pk_add_f32 v[2:3], v[2:3], v[24:25]
	v_pk_mul_f32 v[54:55], v[22:23], v[58:59] op_sel_hi:[1,0]
	v_pk_fma_f32 v[30:31], v[20:21], v[36:37], v[52:53] op_sel:[0,0,1] op_sel_hi:[1,1,0] neg_lo:[0,0,1] neg_hi:[0,0,1]
	v_pk_fma_f32 v[20:21], v[20:21], v[36:37], v[52:53] op_sel:[0,0,1] op_sel_hi:[1,0,0]
	v_mov_b32_e32 v29, v19
	v_pk_add_f32 v[2:3], v[2:3], v[26:27]
	v_pk_fma_f32 v[32:33], v[22:23], v[38:39], v[54:55] op_sel:[0,0,1] op_sel_hi:[1,1,0] neg_lo:[0,0,1] neg_hi:[0,0,1]
	v_pk_fma_f32 v[22:23], v[22:23], v[38:39], v[54:55] op_sel:[0,0,1] op_sel_hi:[1,0,0]
	v_mov_b32_e32 v31, v21
	v_pk_add_f32 v[2:3], v[2:3], v[28:29]
	v_mov_b32_e32 v33, v23
	v_pk_add_f32 v[2:3], v[2:3], v[30:31]
	v_pk_add_f32 v[2:3], v[2:3], v[32:33]
	s_waitcnt vmcnt(0)
	v_pk_add_f32 v[2:3], v[40:41], v[2:3] neg_lo:[0,1] neg_hi:[0,1]
	buffer_store_dword v2, off, s[0:3], 0 offset:288
	buffer_store_dword v3, off, s[0:3], 0 offset:292
	s_and_saveexec_b64 s[4:5], vcc
	s_cbranch_execz .LBB110_225
; %bb.224:
	buffer_load_dword v2, off, s[0:3], 0 offset:280
	buffer_load_dword v3, off, s[0:3], 0 offset:284
	v_mov_b32_e32 v4, 0
	buffer_store_dword v4, off, s[0:3], 0 offset:280
	buffer_store_dword v4, off, s[0:3], 0 offset:284
	s_waitcnt vmcnt(2)
	ds_write_b64 v89, v[2:3]
.LBB110_225:
	s_or_b64 exec, exec, s[4:5]
	s_waitcnt lgkmcnt(0)
	; wave barrier
	s_waitcnt lgkmcnt(0)
	buffer_load_dword v3, off, s[0:3], 0 offset:292
	buffer_load_dword v44, off, s[0:3], 0 offset:300
	;; [unrolled: 1-line block ×24, first 2 shown]
	v_mov_b32_e32 v2, 0
	ds_read_b128 v[4:7], v2 offset:672
	ds_read_b128 v[8:11], v2 offset:688
	;; [unrolled: 1-line block ×5, first 2 shown]
	ds_read_b64 v[42:43], v2 offset:752
	v_cmp_lt_u32_e32 vcc, 34, v0
	s_waitcnt vmcnt(23) lgkmcnt(5)
	v_mul_f32_e32 v57, v4, v3
	v_mul_f32_e32 v3, v5, v3
	s_waitcnt vmcnt(22)
	v_mul_f32_e32 v45, v6, v44
	s_waitcnt vmcnt(21) lgkmcnt(4)
	v_mul_f32_e32 v47, v8, v46
	v_mul_f32_e32 v44, v7, v44
	;; [unrolled: 1-line block ×3, first 2 shown]
	s_waitcnt vmcnt(20)
	v_mov_b32_e32 v48, v25
	s_waitcnt vmcnt(19)
	v_mov_b32_e32 v50, v27
	;; [unrolled: 2-line block ×5, first 2 shown]
	s_waitcnt vmcnt(12)
	v_fmac_f32_e32 v57, v5, v49
	v_fma_f32 v3, v4, v49, -v3
	v_mov_b32_e32 v58, v35
	s_waitcnt vmcnt(11)
	v_fmac_f32_e32 v45, v7, v51
	s_waitcnt vmcnt(10)
	v_fmac_f32_e32 v47, v9, v53
	v_fma_f32 v44, v6, v51, -v44
	v_fma_f32 v46, v8, v53, -v46
	v_pk_mul_f32 v[4:5], v[10:11], v[48:49] op_sel_hi:[1,0]
	s_waitcnt lgkmcnt(3)
	v_pk_mul_f32 v[6:7], v[12:13], v[50:51] op_sel_hi:[1,0]
	v_pk_mul_f32 v[8:9], v[14:15], v[52:53] op_sel_hi:[1,0]
	s_waitcnt lgkmcnt(2)
	v_pk_mul_f32 v[48:49], v[16:17], v[54:55] op_sel_hi:[1,0]
	v_pk_mul_f32 v[50:51], v[18:19], v[56:57] op_sel_hi:[1,0]
	v_add_f32_e32 v57, 0, v57
	v_add_f32_e32 v56, 0, v3
	s_waitcnt lgkmcnt(1)
	v_pk_mul_f32 v[52:53], v[20:21], v[58:59] op_sel_hi:[1,0]
	s_waitcnt vmcnt(9)
	v_pk_fma_f32 v[58:59], v[10:11], v[24:25], v[4:5] op_sel:[0,0,1] op_sel_hi:[1,1,0] neg_lo:[0,0,1] neg_hi:[0,0,1]
	v_pk_fma_f32 v[4:5], v[10:11], v[24:25], v[4:5] op_sel:[0,0,1] op_sel_hi:[1,0,0]
	s_waitcnt vmcnt(8)
	v_pk_fma_f32 v[10:11], v[12:13], v[26:27], v[6:7] op_sel:[0,0,1] op_sel_hi:[1,1,0] neg_lo:[0,0,1] neg_hi:[0,0,1]
	v_pk_fma_f32 v[6:7], v[12:13], v[26:27], v[6:7] op_sel:[0,0,1] op_sel_hi:[1,0,0]
	;; [unrolled: 3-line block ×4, first 2 shown]
	v_pk_add_f32 v[30:31], v[56:57], v[44:45]
	v_mov_b32_e32 v59, v5
	v_pk_add_f32 v[4:5], v[30:31], v[46:47]
	v_mov_b32_e32 v11, v7
	;; [unrolled: 2-line block ×4, first 2 shown]
	s_waitcnt vmcnt(2)
	v_pk_fma_f32 v[24:25], v[18:19], v[32:33], v[50:51] op_sel:[0,0,1] op_sel_hi:[1,1,0] neg_lo:[0,0,1] neg_hi:[0,0,1]
	v_pk_fma_f32 v[18:19], v[18:19], v[32:33], v[50:51] op_sel:[0,0,1] op_sel_hi:[1,0,0]
	v_mov_b32_e32 v15, v17
	v_pk_add_f32 v[4:5], v[4:5], v[12:13]
	v_mov_b32_e32 v62, v39
	v_pk_mul_f32 v[54:55], v[22:23], v[60:61] op_sel_hi:[1,0]
	v_pk_fma_f32 v[26:27], v[20:21], v[34:35], v[52:53] op_sel:[0,0,1] op_sel_hi:[1,1,0] neg_lo:[0,0,1] neg_hi:[0,0,1]
	v_pk_fma_f32 v[20:21], v[20:21], v[34:35], v[52:53] op_sel:[0,0,1] op_sel_hi:[1,0,0]
	v_mov_b32_e32 v25, v19
	v_pk_add_f32 v[4:5], v[4:5], v[14:15]
	v_pk_fma_f32 v[28:29], v[22:23], v[36:37], v[54:55] op_sel:[0,0,1] op_sel_hi:[1,1,0] neg_lo:[0,0,1] neg_hi:[0,0,1]
	v_pk_fma_f32 v[22:23], v[22:23], v[36:37], v[54:55] op_sel:[0,0,1] op_sel_hi:[1,0,0]
	v_mov_b32_e32 v27, v21
	v_pk_add_f32 v[4:5], v[4:5], v[24:25]
	s_waitcnt lgkmcnt(0)
	v_pk_mul_f32 v[6:7], v[42:43], v[62:63] op_sel_hi:[1,0]
	v_mov_b32_e32 v29, v23
	v_pk_add_f32 v[4:5], v[4:5], v[26:27]
	v_pk_fma_f32 v[8:9], v[42:43], v[38:39], v[6:7] op_sel:[0,0,1] op_sel_hi:[1,1,0] neg_lo:[0,0,1] neg_hi:[0,0,1]
	v_pk_fma_f32 v[6:7], v[42:43], v[38:39], v[6:7] op_sel:[0,0,1] op_sel_hi:[1,0,0]
	v_pk_add_f32 v[4:5], v[4:5], v[28:29]
	v_mov_b32_e32 v9, v7
	v_pk_add_f32 v[4:5], v[4:5], v[8:9]
	s_waitcnt vmcnt(0)
	v_pk_add_f32 v[4:5], v[40:41], v[4:5] neg_lo:[0,1] neg_hi:[0,1]
	buffer_store_dword v5, off, s[0:3], 0 offset:284
	buffer_store_dword v4, off, s[0:3], 0 offset:280
	s_and_saveexec_b64 s[4:5], vcc
	s_cbranch_execz .LBB110_227
; %bb.226:
	buffer_load_dword v4, off, s[0:3], 0 offset:272
	buffer_load_dword v5, off, s[0:3], 0 offset:276
	s_waitcnt vmcnt(0)
	ds_write_b64 v89, v[4:5]
	buffer_store_dword v2, off, s[0:3], 0 offset:272
	buffer_store_dword v2, off, s[0:3], 0 offset:276
.LBB110_227:
	s_or_b64 exec, exec, s[4:5]
	s_waitcnt lgkmcnt(0)
	; wave barrier
	s_waitcnt lgkmcnt(0)
	buffer_load_dword v46, off, s[0:3], 0 offset:284
	buffer_load_dword v48, off, s[0:3], 0 offset:292
	;; [unrolled: 1-line block ×26, first 2 shown]
	ds_read2_b64 v[4:7], v2 offset0:83 offset1:84
	ds_read2_b64 v[8:11], v2 offset0:85 offset1:86
	;; [unrolled: 1-line block ×6, first 2 shown]
	v_cmp_lt_u32_e32 vcc, 33, v0
	s_waitcnt vmcnt(25) lgkmcnt(5)
	v_mul_f32_e32 v59, v4, v46
	v_mul_f32_e32 v2, v5, v46
	s_waitcnt vmcnt(24)
	v_mul_f32_e32 v60, v6, v48
	s_waitcnt vmcnt(23) lgkmcnt(4)
	v_mul_f32_e32 v3, v8, v49
	s_waitcnt vmcnt(22)
	v_mul_f32_e32 v47, v10, v50
	v_mul_f32_e32 v46, v7, v48
	;; [unrolled: 1-line block ×4, first 2 shown]
	s_waitcnt vmcnt(21)
	v_mov_b32_e32 v48, v29
	s_waitcnt vmcnt(20)
	v_mov_b32_e32 v50, v31
	;; [unrolled: 2-line block ×3, first 2 shown]
	s_waitcnt vmcnt(15)
	v_fmac_f32_e32 v59, v5, v51
	v_fma_f32 v62, v4, v51, -v2
	v_mov_b32_e32 v52, v33
	s_waitcnt vmcnt(14)
	v_fmac_f32_e32 v60, v7, v53
	s_waitcnt vmcnt(13)
	v_fmac_f32_e32 v3, v9, v55
	;; [unrolled: 2-line block ×3, first 2 shown]
	v_fma_f32 v63, v6, v53, -v46
	v_fma_f32 v2, v8, v55, -v49
	v_fma_f32 v46, v10, v57, -v61
	s_waitcnt lgkmcnt(3)
	v_pk_mul_f32 v[4:5], v[12:13], v[48:49] op_sel_hi:[1,0]
	v_pk_mul_f32 v[6:7], v[14:15], v[50:51] op_sel_hi:[1,0]
	s_waitcnt lgkmcnt(2)
	v_pk_mul_f32 v[10:11], v[18:19], v[54:55] op_sel_hi:[1,0]
	v_add_f32_e32 v54, 0, v59
	v_add_f32_e32 v55, 0, v62
	v_pk_mul_f32 v[8:9], v[16:17], v[52:53] op_sel_hi:[1,0]
	s_waitcnt vmcnt(11)
	v_pk_fma_f32 v[52:53], v[12:13], v[28:29], v[4:5] op_sel:[0,0,1] op_sel_hi:[1,1,0] neg_lo:[0,0,1] neg_hi:[0,0,1]
	v_pk_fma_f32 v[4:5], v[12:13], v[28:29], v[4:5] op_sel:[0,0,1] op_sel_hi:[1,0,0]
	s_waitcnt vmcnt(10)
	v_pk_fma_f32 v[12:13], v[14:15], v[30:31], v[6:7] op_sel:[0,0,1] op_sel_hi:[1,1,0] neg_lo:[0,0,1] neg_hi:[0,0,1]
	v_pk_fma_f32 v[6:7], v[14:15], v[30:31], v[6:7] op_sel:[0,0,1] op_sel_hi:[1,0,0]
	v_add_f32_e32 v31, v54, v60
	v_add_f32_e32 v30, v55, v63
	v_pk_add_f32 v[2:3], v[30:31], v[2:3]
	v_mov_b32_e32 v53, v5
	v_pk_add_f32 v[2:3], v[2:3], v[46:47]
	v_mov_b32_e32 v56, v37
	s_waitcnt vmcnt(9)
	v_pk_fma_f32 v[14:15], v[16:17], v[32:33], v[8:9] op_sel:[0,0,1] op_sel_hi:[1,1,0] neg_lo:[0,0,1] neg_hi:[0,0,1]
	v_pk_fma_f32 v[8:9], v[16:17], v[32:33], v[8:9] op_sel:[0,0,1] op_sel_hi:[1,0,0]
	v_mov_b32_e32 v13, v7
	v_pk_add_f32 v[2:3], v[2:3], v[52:53]
	v_mov_b32_e32 v58, v39
	s_waitcnt lgkmcnt(1)
	v_pk_mul_f32 v[48:49], v[20:21], v[56:57] op_sel_hi:[1,0]
	s_waitcnt vmcnt(5)
	v_pk_fma_f32 v[16:17], v[18:19], v[34:35], v[10:11] op_sel:[0,0,1] op_sel_hi:[1,1,0] neg_lo:[0,0,1] neg_hi:[0,0,1]
	v_pk_fma_f32 v[10:11], v[18:19], v[34:35], v[10:11] op_sel:[0,0,1] op_sel_hi:[1,0,0]
	v_mov_b32_e32 v15, v9
	v_pk_add_f32 v[2:3], v[2:3], v[12:13]
	s_waitcnt vmcnt(4)
	v_mov_b32_e32 v4, v41
	v_pk_mul_f32 v[50:51], v[22:23], v[58:59] op_sel_hi:[1,0]
	v_pk_fma_f32 v[18:19], v[20:21], v[36:37], v[48:49] op_sel:[0,0,1] op_sel_hi:[1,1,0] neg_lo:[0,0,1] neg_hi:[0,0,1]
	v_pk_fma_f32 v[20:21], v[20:21], v[36:37], v[48:49] op_sel:[0,0,1] op_sel_hi:[1,0,0]
	v_mov_b32_e32 v17, v11
	v_pk_add_f32 v[2:3], v[2:3], v[14:15]
	s_waitcnt lgkmcnt(0)
	v_pk_mul_f32 v[4:5], v[24:25], v[4:5] op_sel_hi:[1,0]
	v_pk_fma_f32 v[28:29], v[22:23], v[38:39], v[50:51] op_sel:[0,0,1] op_sel_hi:[1,1,0] neg_lo:[0,0,1] neg_hi:[0,0,1]
	v_pk_fma_f32 v[22:23], v[22:23], v[38:39], v[50:51] op_sel:[0,0,1] op_sel_hi:[1,0,0]
	v_mov_b32_e32 v19, v21
	v_pk_add_f32 v[2:3], v[2:3], v[16:17]
	v_pk_fma_f32 v[6:7], v[24:25], v[40:41], v[4:5] op_sel:[0,0,1] op_sel_hi:[1,1,0] neg_lo:[0,0,1] neg_hi:[0,0,1]
	v_pk_fma_f32 v[4:5], v[24:25], v[40:41], v[4:5] op_sel:[0,0,1] op_sel_hi:[1,0,0]
	v_mov_b32_e32 v29, v23
	v_pk_add_f32 v[2:3], v[2:3], v[18:19]
	s_waitcnt vmcnt(3)
	v_mov_b32_e32 v4, v43
	v_pk_add_f32 v[2:3], v[2:3], v[28:29]
	v_mov_b32_e32 v7, v5
	v_pk_mul_f32 v[4:5], v[26:27], v[4:5] op_sel_hi:[1,0]
	v_pk_add_f32 v[2:3], v[2:3], v[6:7]
	s_waitcnt vmcnt(2)
	v_pk_fma_f32 v[6:7], v[26:27], v[42:43], v[4:5] op_sel:[0,0,1] op_sel_hi:[1,1,0] neg_lo:[0,0,1] neg_hi:[0,0,1]
	v_pk_fma_f32 v[4:5], v[26:27], v[42:43], v[4:5] op_sel:[0,0,1] op_sel_hi:[1,0,0]
	v_mov_b32_e32 v7, v5
	v_pk_add_f32 v[2:3], v[2:3], v[6:7]
	s_waitcnt vmcnt(0)
	v_pk_add_f32 v[2:3], v[44:45], v[2:3] neg_lo:[0,1] neg_hi:[0,1]
	buffer_store_dword v3, off, s[0:3], 0 offset:276
	buffer_store_dword v2, off, s[0:3], 0 offset:272
	s_and_saveexec_b64 s[4:5], vcc
	s_cbranch_execz .LBB110_229
; %bb.228:
	buffer_load_dword v2, off, s[0:3], 0 offset:264
	buffer_load_dword v3, off, s[0:3], 0 offset:268
	v_mov_b32_e32 v4, 0
	buffer_store_dword v4, off, s[0:3], 0 offset:264
	buffer_store_dword v4, off, s[0:3], 0 offset:268
	s_waitcnt vmcnt(2)
	ds_write_b64 v89, v[2:3]
.LBB110_229:
	s_or_b64 exec, exec, s[4:5]
	s_waitcnt lgkmcnt(0)
	; wave barrier
	s_waitcnt lgkmcnt(0)
	buffer_load_dword v3, off, s[0:3], 0 offset:276
	buffer_load_dword v48, off, s[0:3], 0 offset:284
	;; [unrolled: 1-line block ×28, first 2 shown]
	v_mov_b32_e32 v2, 0
	ds_read_b128 v[4:7], v2 offset:656
	ds_read_b128 v[8:11], v2 offset:672
	;; [unrolled: 1-line block ×6, first 2 shown]
	ds_read_b64 v[46:47], v2 offset:752
	v_cmp_lt_u32_e32 vcc, 32, v0
	s_waitcnt vmcnt(27) lgkmcnt(6)
	v_mul_f32_e32 v63, v4, v3
	v_mul_f32_e32 v3, v5, v3
	s_waitcnt vmcnt(26)
	v_mul_f32_e32 v64, v6, v48
	s_waitcnt vmcnt(24) lgkmcnt(5)
	v_mul_f32_e32 v49, v10, v52
	s_waitcnt vmcnt(23) lgkmcnt(4)
	v_mul_f32_e32 v51, v12, v53
	v_mul_f32_e32 v66, v11, v52
	;; [unrolled: 1-line block ×3, first 2 shown]
	s_waitcnt vmcnt(22)
	v_mov_b32_e32 v52, v29
	v_mul_f32_e32 v65, v8, v50
	v_mul_f32_e32 v48, v7, v48
	;; [unrolled: 1-line block ×3, first 2 shown]
	s_waitcnt vmcnt(17)
	v_fmac_f32_e32 v63, v5, v55
	v_fma_f32 v3, v4, v55, -v3
	v_pk_mul_f32 v[4:5], v[14:15], v[52:53] op_sel_hi:[1,0]
	s_waitcnt vmcnt(16)
	v_fmac_f32_e32 v64, v7, v57
	s_waitcnt vmcnt(13)
	v_fmac_f32_e32 v51, v13, v62
	v_fma_f32 v55, v6, v57, -v48
	v_fma_f32 v57, v8, v59, -v50
	;; [unrolled: 1-line block ×3, first 2 shown]
	v_add_f32_e32 v52, 0, v63
	v_add_f32_e32 v3, 0, v3
	s_waitcnt vmcnt(12)
	v_pk_fma_f32 v[12:13], v[14:15], v[28:29], v[4:5] op_sel:[0,0,1] op_sel_hi:[1,1,0] neg_lo:[0,0,1] neg_hi:[0,0,1]
	v_pk_fma_f32 v[4:5], v[14:15], v[28:29], v[4:5] op_sel:[0,0,1] op_sel_hi:[1,0,0]
	v_fmac_f32_e32 v65, v9, v59
	v_add_f32_e32 v4, v52, v64
	v_add_f32_e32 v3, v3, v55
	v_mov_b32_e32 v54, v31
	v_fmac_f32_e32 v49, v11, v61
	v_fma_f32 v48, v10, v61, -v66
	v_mov_b32_e32 v13, v5
	v_add_f32_e32 v5, v4, v65
	v_add_f32_e32 v4, v3, v57
	v_mov_b32_e32 v56, v33
	s_waitcnt lgkmcnt(3)
	v_pk_mul_f32 v[6:7], v[16:17], v[54:55] op_sel_hi:[1,0]
	v_pk_add_f32 v[4:5], v[4:5], v[48:49]
	v_mov_b32_e32 v58, v35
	v_mov_b32_e32 v60, v37
	v_pk_mul_f32 v[8:9], v[18:19], v[56:57] op_sel_hi:[1,0]
	s_waitcnt vmcnt(11)
	v_pk_fma_f32 v[14:15], v[16:17], v[30:31], v[6:7] op_sel:[0,0,1] op_sel_hi:[1,1,0] neg_lo:[0,0,1] neg_hi:[0,0,1]
	v_pk_fma_f32 v[6:7], v[16:17], v[30:31], v[6:7] op_sel:[0,0,1] op_sel_hi:[1,0,0]
	v_pk_add_f32 v[4:5], v[4:5], v[50:51]
	s_waitcnt lgkmcnt(2)
	v_pk_mul_f32 v[10:11], v[20:21], v[58:59] op_sel_hi:[1,0]
	s_waitcnt vmcnt(7)
	v_pk_fma_f32 v[16:17], v[18:19], v[32:33], v[8:9] op_sel:[0,0,1] op_sel_hi:[1,1,0] neg_lo:[0,0,1] neg_hi:[0,0,1]
	v_pk_fma_f32 v[8:9], v[18:19], v[32:33], v[8:9] op_sel:[0,0,1] op_sel_hi:[1,0,0]
	v_mov_b32_e32 v15, v7
	v_pk_add_f32 v[4:5], v[4:5], v[12:13]
	v_pk_mul_f32 v[6:7], v[22:23], v[60:61] op_sel_hi:[1,0]
	v_pk_fma_f32 v[18:19], v[20:21], v[34:35], v[10:11] op_sel:[0,0,1] op_sel_hi:[1,1,0] neg_lo:[0,0,1] neg_hi:[0,0,1]
	v_pk_fma_f32 v[10:11], v[20:21], v[34:35], v[10:11] op_sel:[0,0,1] op_sel_hi:[1,0,0]
	v_mov_b32_e32 v17, v9
	v_pk_add_f32 v[4:5], v[4:5], v[14:15]
	v_pk_fma_f32 v[8:9], v[22:23], v[36:37], v[6:7] op_sel:[0,0,1] op_sel_hi:[1,1,0] neg_lo:[0,0,1] neg_hi:[0,0,1]
	v_pk_fma_f32 v[6:7], v[22:23], v[36:37], v[6:7] op_sel:[0,0,1] op_sel_hi:[1,0,0]
	v_mov_b32_e32 v19, v11
	v_pk_add_f32 v[4:5], v[4:5], v[16:17]
	s_waitcnt vmcnt(6)
	v_mov_b32_e32 v6, v39
	v_pk_add_f32 v[4:5], v[4:5], v[18:19]
	v_mov_b32_e32 v9, v7
	s_waitcnt lgkmcnt(1)
	v_pk_mul_f32 v[6:7], v[24:25], v[6:7] op_sel_hi:[1,0]
	v_pk_add_f32 v[4:5], v[4:5], v[8:9]
	v_pk_fma_f32 v[8:9], v[24:25], v[38:39], v[6:7] op_sel:[0,0,1] op_sel_hi:[1,1,0] neg_lo:[0,0,1] neg_hi:[0,0,1]
	v_pk_fma_f32 v[6:7], v[24:25], v[38:39], v[6:7] op_sel:[0,0,1] op_sel_hi:[1,0,0]
	s_waitcnt vmcnt(5)
	v_mov_b32_e32 v6, v41
	v_mov_b32_e32 v9, v7
	v_pk_mul_f32 v[6:7], v[26:27], v[6:7] op_sel_hi:[1,0]
	v_pk_add_f32 v[4:5], v[4:5], v[8:9]
	s_waitcnt vmcnt(3)
	v_pk_fma_f32 v[8:9], v[26:27], v[40:41], v[6:7] op_sel:[0,0,1] op_sel_hi:[1,1,0] neg_lo:[0,0,1] neg_hi:[0,0,1]
	v_pk_fma_f32 v[6:7], v[26:27], v[40:41], v[6:7] op_sel:[0,0,1] op_sel_hi:[1,0,0]
	s_waitcnt vmcnt(2)
	v_mov_b32_e32 v6, v43
	v_mov_b32_e32 v9, v7
	s_waitcnt lgkmcnt(0)
	v_pk_mul_f32 v[6:7], v[46:47], v[6:7] op_sel_hi:[1,0]
	v_pk_add_f32 v[4:5], v[4:5], v[8:9]
	v_pk_fma_f32 v[8:9], v[46:47], v[42:43], v[6:7] op_sel:[0,0,1] op_sel_hi:[1,1,0] neg_lo:[0,0,1] neg_hi:[0,0,1]
	v_pk_fma_f32 v[6:7], v[46:47], v[42:43], v[6:7] op_sel:[0,0,1] op_sel_hi:[1,0,0]
	v_mov_b32_e32 v9, v7
	v_pk_add_f32 v[4:5], v[4:5], v[8:9]
	s_waitcnt vmcnt(0)
	v_pk_add_f32 v[4:5], v[44:45], v[4:5] neg_lo:[0,1] neg_hi:[0,1]
	buffer_store_dword v5, off, s[0:3], 0 offset:268
	buffer_store_dword v4, off, s[0:3], 0 offset:264
	s_and_saveexec_b64 s[4:5], vcc
	s_cbranch_execz .LBB110_231
; %bb.230:
	buffer_load_dword v4, off, s[0:3], 0 offset:256
	buffer_load_dword v5, off, s[0:3], 0 offset:260
	s_waitcnt vmcnt(0)
	ds_write_b64 v89, v[4:5]
	buffer_store_dword v2, off, s[0:3], 0 offset:256
	buffer_store_dword v2, off, s[0:3], 0 offset:260
.LBB110_231:
	s_or_b64 exec, exec, s[4:5]
	s_waitcnt lgkmcnt(0)
	; wave barrier
	s_waitcnt lgkmcnt(0)
	buffer_load_dword v50, off, s[0:3], 0 offset:268
	buffer_load_dword v52, off, s[0:3], 0 offset:276
	;; [unrolled: 1-line block ×30, first 2 shown]
	ds_read2_b64 v[4:7], v2 offset0:81 offset1:82
	ds_read2_b64 v[8:11], v2 offset0:83 offset1:84
	;; [unrolled: 1-line block ×7, first 2 shown]
	v_cmp_lt_u32_e32 vcc, 31, v0
	s_waitcnt vmcnt(29) lgkmcnt(6)
	v_mul_f32_e32 v63, v4, v50
	s_waitcnt vmcnt(28)
	v_mul_f32_e32 v64, v6, v52
	s_waitcnt vmcnt(27) lgkmcnt(5)
	v_mul_f32_e32 v65, v8, v53
	v_mul_f32_e32 v53, v9, v53
	s_waitcnt vmcnt(26)
	v_mul_f32_e32 v66, v10, v54
	s_waitcnt vmcnt(25) lgkmcnt(4)
	v_mul_f32_e32 v3, v12, v55
	v_mul_f32_e32 v2, v5, v50
	;; [unrolled: 1-line block ×5, first 2 shown]
	s_waitcnt vmcnt(23)
	v_mov_b32_e32 v52, v33
	s_waitcnt vmcnt(22)
	v_mov_b32_e32 v54, v35
	s_waitcnt vmcnt(18)
	v_fma_f32 v53, v8, v59, -v53
	v_fmac_f32_e32 v63, v5, v57
	v_fmac_f32_e32 v64, v7, v58
	s_waitcnt vmcnt(17)
	v_fmac_f32_e32 v66, v11, v60
	v_fma_f32 v11, v4, v57, -v2
	v_fma_f32 v57, v6, v58, -v50
	s_waitcnt lgkmcnt(3)
	v_pk_mul_f32 v[4:5], v[16:17], v[52:53] op_sel_hi:[1,0]
	v_pk_mul_f32 v[6:7], v[18:19], v[54:55] op_sel_hi:[1,0]
	s_waitcnt vmcnt(16)
	v_fmac_f32_e32 v3, v13, v61
	v_fma_f32 v58, v10, v60, -v67
	v_fma_f32 v2, v12, v61, -v55
	v_add_f32_e32 v52, 0, v63
	v_add_f32_e32 v54, 0, v11
	s_waitcnt vmcnt(14)
	v_pk_fma_f32 v[10:11], v[16:17], v[32:33], v[4:5] op_sel:[0,0,1] op_sel_hi:[1,1,0] neg_lo:[0,0,1] neg_hi:[0,0,1]
	v_pk_fma_f32 v[4:5], v[16:17], v[32:33], v[4:5] op_sel:[0,0,1] op_sel_hi:[1,0,0]
	s_waitcnt vmcnt(10)
	v_pk_fma_f32 v[12:13], v[18:19], v[34:35], v[6:7] op_sel:[0,0,1] op_sel_hi:[1,1,0] neg_lo:[0,0,1] neg_hi:[0,0,1]
	v_pk_fma_f32 v[6:7], v[18:19], v[34:35], v[6:7] op_sel:[0,0,1] op_sel_hi:[1,0,0]
	v_fmac_f32_e32 v65, v9, v59
	v_add_f32_e32 v4, v52, v64
	v_add_f32_e32 v6, v54, v57
	;; [unrolled: 1-line block ×4, first 2 shown]
	v_mul_f32_e32 v51, v14, v56
	v_mul_f32_e32 v68, v15, v56
	v_mov_b32_e32 v11, v5
	v_add_f32_e32 v5, v4, v66
	v_add_f32_e32 v4, v6, v58
	v_mov_b32_e32 v56, v37
	v_fmac_f32_e32 v51, v15, v62
	v_fma_f32 v50, v14, v62, -v68
	v_pk_add_f32 v[2:3], v[4:5], v[2:3]
	s_waitcnt vmcnt(9)
	v_mov_b32_e32 v4, v41
	s_waitcnt lgkmcnt(2)
	v_pk_mul_f32 v[8:9], v[20:21], v[56:57] op_sel_hi:[1,0]
	v_pk_add_f32 v[2:3], v[2:3], v[50:51]
	v_pk_mul_f32 v[4:5], v[22:23], v[4:5] op_sel_hi:[1,0]
	v_pk_fma_f32 v[14:15], v[20:21], v[36:37], v[8:9] op_sel:[0,0,1] op_sel_hi:[1,1,0] neg_lo:[0,0,1] neg_hi:[0,0,1]
	v_pk_fma_f32 v[8:9], v[20:21], v[36:37], v[8:9] op_sel:[0,0,1] op_sel_hi:[1,0,0]
	v_mov_b32_e32 v13, v7
	v_pk_add_f32 v[2:3], v[2:3], v[10:11]
	v_pk_fma_f32 v[6:7], v[22:23], v[40:41], v[4:5] op_sel:[0,0,1] op_sel_hi:[1,1,0] neg_lo:[0,0,1] neg_hi:[0,0,1]
	v_pk_fma_f32 v[4:5], v[22:23], v[40:41], v[4:5] op_sel:[0,0,1] op_sel_hi:[1,0,0]
	v_mov_b32_e32 v15, v9
	v_pk_add_f32 v[2:3], v[2:3], v[12:13]
	s_waitcnt vmcnt(8)
	v_mov_b32_e32 v4, v39
	v_pk_add_f32 v[2:3], v[2:3], v[14:15]
	v_mov_b32_e32 v7, v5
	s_waitcnt lgkmcnt(1)
	v_pk_mul_f32 v[4:5], v[24:25], v[4:5] op_sel_hi:[1,0]
	v_pk_add_f32 v[2:3], v[2:3], v[6:7]
	v_pk_fma_f32 v[6:7], v[24:25], v[38:39], v[4:5] op_sel:[0,0,1] op_sel_hi:[1,1,0] neg_lo:[0,0,1] neg_hi:[0,0,1]
	v_pk_fma_f32 v[4:5], v[24:25], v[38:39], v[4:5] op_sel:[0,0,1] op_sel_hi:[1,0,0]
	s_waitcnt vmcnt(7)
	v_mov_b32_e32 v4, v43
	v_mov_b32_e32 v7, v5
	v_pk_mul_f32 v[4:5], v[26:27], v[4:5] op_sel_hi:[1,0]
	v_pk_add_f32 v[2:3], v[2:3], v[6:7]
	s_waitcnt vmcnt(4)
	v_pk_fma_f32 v[6:7], v[26:27], v[42:43], v[4:5] op_sel:[0,0,1] op_sel_hi:[1,1,0] neg_lo:[0,0,1] neg_hi:[0,0,1]
	v_pk_fma_f32 v[4:5], v[26:27], v[42:43], v[4:5] op_sel:[0,0,1] op_sel_hi:[1,0,0]
	s_waitcnt vmcnt(3)
	v_mov_b32_e32 v4, v47
	v_mov_b32_e32 v7, v5
	s_waitcnt lgkmcnt(0)
	v_pk_mul_f32 v[4:5], v[28:29], v[4:5] op_sel_hi:[1,0]
	v_pk_add_f32 v[2:3], v[2:3], v[6:7]
	v_pk_fma_f32 v[6:7], v[28:29], v[46:47], v[4:5] op_sel:[0,0,1] op_sel_hi:[1,1,0] neg_lo:[0,0,1] neg_hi:[0,0,1]
	v_pk_fma_f32 v[4:5], v[28:29], v[46:47], v[4:5] op_sel:[0,0,1] op_sel_hi:[1,0,0]
	s_waitcnt vmcnt(0)
	v_mov_b32_e32 v4, v45
	v_mov_b32_e32 v7, v5
	v_pk_mul_f32 v[4:5], v[30:31], v[4:5] op_sel_hi:[1,0]
	v_pk_add_f32 v[2:3], v[2:3], v[6:7]
	v_pk_fma_f32 v[6:7], v[30:31], v[44:45], v[4:5] op_sel:[0,0,1] op_sel_hi:[1,1,0] neg_lo:[0,0,1] neg_hi:[0,0,1]
	v_pk_fma_f32 v[4:5], v[30:31], v[44:45], v[4:5] op_sel:[0,0,1] op_sel_hi:[1,0,0]
	v_mov_b32_e32 v7, v5
	v_pk_add_f32 v[2:3], v[2:3], v[6:7]
	v_pk_add_f32 v[2:3], v[48:49], v[2:3] neg_lo:[0,1] neg_hi:[0,1]
	buffer_store_dword v3, off, s[0:3], 0 offset:260
	buffer_store_dword v2, off, s[0:3], 0 offset:256
	s_and_saveexec_b64 s[4:5], vcc
	s_cbranch_execz .LBB110_233
; %bb.232:
	buffer_load_dword v2, off, s[0:3], 0 offset:248
	buffer_load_dword v3, off, s[0:3], 0 offset:252
	v_mov_b32_e32 v4, 0
	buffer_store_dword v4, off, s[0:3], 0 offset:248
	buffer_store_dword v4, off, s[0:3], 0 offset:252
	s_waitcnt vmcnt(2)
	ds_write_b64 v89, v[2:3]
.LBB110_233:
	s_or_b64 exec, exec, s[4:5]
	s_waitcnt lgkmcnt(0)
	; wave barrier
	s_waitcnt lgkmcnt(0)
	buffer_load_dword v5, off, s[0:3], 0 offset:260
	buffer_load_dword v52, off, s[0:3], 0 offset:268
	;; [unrolled: 1-line block ×32, first 2 shown]
	v_mov_b32_e32 v4, 0
	ds_read_b128 v[6:9], v4 offset:640
	ds_read_b128 v[10:13], v4 offset:656
	;; [unrolled: 1-line block ×7, first 2 shown]
	ds_read_b64 v[50:51], v4 offset:752
	v_cmp_lt_u32_e32 vcc, 30, v0
	s_waitcnt vmcnt(31) lgkmcnt(7)
	v_mul_f32_e32 v67, v6, v5
	v_mul_f32_e32 v5, v7, v5
	s_waitcnt vmcnt(30)
	v_mul_f32_e32 v68, v8, v52
	s_waitcnt vmcnt(28) lgkmcnt(6)
	v_mul_f32_e32 v70, v12, v56
	s_waitcnt vmcnt(27) lgkmcnt(5)
	v_mul_f32_e32 v71, v14, v57
	v_mul_f32_e32 v72, v13, v56
	;; [unrolled: 1-line block ×3, first 2 shown]
	s_waitcnt vmcnt(24)
	v_mov_b32_e32 v56, v3
	v_mul_f32_e32 v69, v10, v54
	v_mul_f32_e32 v52, v9, v52
	s_waitcnt vmcnt(22)
	v_fmac_f32_e32 v67, v7, v60
	v_fma_f32 v5, v6, v60, -v5
	s_waitcnt lgkmcnt(4)
	v_pk_mul_f32 v[6:7], v[20:21], v[56:57] op_sel_hi:[1,0]
	v_mul_f32_e32 v54, v11, v54
	s_waitcnt vmcnt(21)
	v_fmac_f32_e32 v68, v9, v61
	s_waitcnt vmcnt(20)
	v_fmac_f32_e32 v69, v11, v62
	;; [unrolled: 2-line block ×3, first 2 shown]
	v_fma_f32 v11, v8, v61, -v52
	s_waitcnt vmcnt(18)
	v_fma_f32 v13, v14, v64, -v57
	v_add_f32_e32 v14, 0, v67
	v_add_f32_e32 v5, 0, v5
	s_waitcnt vmcnt(12)
	v_pk_fma_f32 v[8:9], v[20:21], v[2:3], v[6:7] op_sel:[0,0,1] op_sel_hi:[1,1,0] neg_lo:[0,0,1] neg_hi:[0,0,1]
	v_pk_fma_f32 v[2:3], v[20:21], v[2:3], v[6:7] op_sel:[0,0,1] op_sel_hi:[1,0,0]
	v_fma_f32 v10, v10, v62, -v54
	v_add_f32_e32 v2, v14, v68
	v_add_f32_e32 v5, v5, v11
	v_fma_f32 v12, v12, v63, -v72
	v_mov_b32_e32 v9, v3
	v_add_f32_e32 v2, v2, v69
	v_add_f32_e32 v3, v5, v10
	v_mul_f32_e32 v53, v16, v58
	v_mul_f32_e32 v73, v17, v58
	v_fmac_f32_e32 v71, v15, v64
	v_add_f32_e32 v2, v2, v70
	v_add_f32_e32 v5, v3, v12
	v_mul_f32_e32 v55, v18, v59
	v_mul_f32_e32 v59, v19, v59
	v_fmac_f32_e32 v53, v17, v65
	v_fma_f32 v52, v16, v65, -v73
	v_add_f32_e32 v3, v2, v71
	v_add_f32_e32 v2, v5, v13
	v_mov_b32_e32 v58, v35
	v_fmac_f32_e32 v55, v19, v66
	v_fma_f32 v54, v18, v66, -v59
	v_pk_add_f32 v[2:3], v[2:3], v[52:53]
	v_pk_add_f32 v[2:3], v[2:3], v[54:55]
	s_waitcnt lgkmcnt(3)
	v_pk_mul_f32 v[6:7], v[22:23], v[58:59] op_sel_hi:[1,0]
	v_pk_add_f32 v[2:3], v[2:3], v[8:9]
	v_pk_fma_f32 v[8:9], v[22:23], v[34:35], v[6:7] op_sel:[0,0,1] op_sel_hi:[1,1,0] neg_lo:[0,0,1] neg_hi:[0,0,1]
	v_pk_fma_f32 v[6:7], v[22:23], v[34:35], v[6:7] op_sel:[0,0,1] op_sel_hi:[1,0,0]
	s_waitcnt vmcnt(11)
	v_mov_b32_e32 v6, v39
	v_mov_b32_e32 v9, v7
	v_pk_mul_f32 v[6:7], v[24:25], v[6:7] op_sel_hi:[1,0]
	v_pk_add_f32 v[2:3], v[2:3], v[8:9]
	v_pk_fma_f32 v[8:9], v[24:25], v[38:39], v[6:7] op_sel:[0,0,1] op_sel_hi:[1,1,0] neg_lo:[0,0,1] neg_hi:[0,0,1]
	v_pk_fma_f32 v[6:7], v[24:25], v[38:39], v[6:7] op_sel:[0,0,1] op_sel_hi:[1,0,0]
	s_waitcnt vmcnt(10)
	v_mov_b32_e32 v6, v37
	v_mov_b32_e32 v9, v7
	s_waitcnt lgkmcnt(2)
	v_pk_mul_f32 v[6:7], v[26:27], v[6:7] op_sel_hi:[1,0]
	v_pk_add_f32 v[2:3], v[2:3], v[8:9]
	v_pk_fma_f32 v[8:9], v[26:27], v[36:37], v[6:7] op_sel:[0,0,1] op_sel_hi:[1,1,0] neg_lo:[0,0,1] neg_hi:[0,0,1]
	v_pk_fma_f32 v[6:7], v[26:27], v[36:37], v[6:7] op_sel:[0,0,1] op_sel_hi:[1,0,0]
	s_waitcnt vmcnt(9)
	v_mov_b32_e32 v6, v41
	v_mov_b32_e32 v9, v7
	v_pk_mul_f32 v[6:7], v[28:29], v[6:7] op_sel_hi:[1,0]
	v_pk_add_f32 v[2:3], v[2:3], v[8:9]
	s_waitcnt vmcnt(4)
	v_pk_fma_f32 v[8:9], v[28:29], v[40:41], v[6:7] op_sel:[0,0,1] op_sel_hi:[1,1,0] neg_lo:[0,0,1] neg_hi:[0,0,1]
	v_pk_fma_f32 v[6:7], v[28:29], v[40:41], v[6:7] op_sel:[0,0,1] op_sel_hi:[1,0,0]
	v_mov_b32_e32 v6, v47
	v_mov_b32_e32 v9, v7
	s_waitcnt lgkmcnt(1)
	v_pk_mul_f32 v[6:7], v[30:31], v[6:7] op_sel_hi:[1,0]
	v_pk_add_f32 v[2:3], v[2:3], v[8:9]
	v_pk_fma_f32 v[8:9], v[30:31], v[46:47], v[6:7] op_sel:[0,0,1] op_sel_hi:[1,1,0] neg_lo:[0,0,1] neg_hi:[0,0,1]
	v_pk_fma_f32 v[6:7], v[30:31], v[46:47], v[6:7] op_sel:[0,0,1] op_sel_hi:[1,0,0]
	s_waitcnt vmcnt(3)
	v_mov_b32_e32 v6, v45
	v_mov_b32_e32 v9, v7
	v_pk_mul_f32 v[6:7], v[32:33], v[6:7] op_sel_hi:[1,0]
	v_pk_add_f32 v[2:3], v[2:3], v[8:9]
	v_pk_fma_f32 v[8:9], v[32:33], v[44:45], v[6:7] op_sel:[0,0,1] op_sel_hi:[1,1,0] neg_lo:[0,0,1] neg_hi:[0,0,1]
	v_pk_fma_f32 v[6:7], v[32:33], v[44:45], v[6:7] op_sel:[0,0,1] op_sel_hi:[1,0,0]
	s_waitcnt vmcnt(0)
	v_mov_b32_e32 v6, v43
	v_mov_b32_e32 v9, v7
	s_waitcnt lgkmcnt(0)
	v_pk_mul_f32 v[6:7], v[50:51], v[6:7] op_sel_hi:[1,0]
	v_pk_add_f32 v[2:3], v[2:3], v[8:9]
	v_pk_fma_f32 v[8:9], v[50:51], v[42:43], v[6:7] op_sel:[0,0,1] op_sel_hi:[1,1,0] neg_lo:[0,0,1] neg_hi:[0,0,1]
	v_pk_fma_f32 v[6:7], v[50:51], v[42:43], v[6:7] op_sel:[0,0,1] op_sel_hi:[1,0,0]
	v_mov_b32_e32 v9, v7
	v_pk_add_f32 v[2:3], v[2:3], v[8:9]
	v_pk_add_f32 v[2:3], v[48:49], v[2:3] neg_lo:[0,1] neg_hi:[0,1]
	buffer_store_dword v3, off, s[0:3], 0 offset:252
	buffer_store_dword v2, off, s[0:3], 0 offset:248
	s_and_saveexec_b64 s[4:5], vcc
	s_cbranch_execz .LBB110_235
; %bb.234:
	buffer_load_dword v2, off, s[0:3], 0 offset:240
	buffer_load_dword v3, off, s[0:3], 0 offset:244
	s_waitcnt vmcnt(0)
	ds_write_b64 v89, v[2:3]
	buffer_store_dword v4, off, s[0:3], 0 offset:240
	buffer_store_dword v4, off, s[0:3], 0 offset:244
.LBB110_235:
	s_or_b64 exec, exec, s[4:5]
	s_waitcnt lgkmcnt(0)
	; wave barrier
	s_waitcnt lgkmcnt(0)
	ds_read2_b64 v[6:9], v4 offset0:79 offset1:80
	buffer_load_dword v2, off, s[0:3], 0 offset:240
	buffer_load_dword v3, off, s[0:3], 0 offset:244
	;; [unrolled: 1-line block ×16, first 2 shown]
	v_cmp_lt_u32_e32 vcc, 29, v0
	s_waitcnt vmcnt(12) lgkmcnt(0)
	v_mul_f32_e32 v10, v6, v26
	v_fmac_f32_e32 v10, v7, v5
	s_waitcnt vmcnt(10)
	v_mul_f32_e32 v11, v8, v30
	v_add_f32_e32 v10, 0, v10
	v_fmac_f32_e32 v11, v9, v28
	v_add_f32_e32 v14, v10, v11
	ds_read2_b64 v[10:13], v4 offset0:81 offset1:82
	v_mul_f32_e32 v7, v7, v26
	v_fma_f32 v5, v6, v5, -v7
	v_mul_f32_e32 v6, v9, v30
	v_add_f32_e32 v5, 0, v5
	s_waitcnt vmcnt(8) lgkmcnt(0)
	v_mul_f32_e32 v15, v10, v49
	v_fmac_f32_e32 v15, v11, v48
	v_add_f32_e32 v14, v14, v15
	s_waitcnt vmcnt(6)
	v_mul_f32_e32 v15, v12, v51
	v_fmac_f32_e32 v15, v13, v50
	v_add_f32_e32 v18, v14, v15
	ds_read2_b64 v[14:17], v4 offset0:83 offset1:84
	v_fma_f32 v6, v8, v28, -v6
	v_add_f32_e32 v5, v5, v6
	v_mul_f32_e32 v6, v11, v49
	v_fma_f32 v6, v10, v48, -v6
	s_waitcnt vmcnt(4) lgkmcnt(0)
	v_mul_f32_e32 v19, v14, v53
	v_fmac_f32_e32 v19, v15, v52
	v_add_f32_e32 v18, v18, v19
	s_waitcnt vmcnt(2)
	v_mul_f32_e32 v19, v16, v55
	v_fmac_f32_e32 v19, v17, v54
	v_add_f32_e32 v27, v18, v19
	ds_read2_b64 v[18:21], v4 offset0:85 offset1:86
	buffer_load_dword v58, off, s[0:3], 0 offset:304
	buffer_load_dword v59, off, s[0:3], 0 offset:308
	;; [unrolled: 1-line block ×4, first 2 shown]
	ds_read2_b64 v[22:25], v4 offset0:87 offset1:88
	buffer_load_dword v35, off, s[0:3], 0 offset:324
	buffer_load_dword v34, off, s[0:3], 0 offset:320
	;; [unrolled: 1-line block ×14, first 2 shown]
	v_add_f32_e32 v5, v5, v6
	v_mul_f32_e32 v6, v13, v51
	v_fma_f32 v6, v12, v50, -v6
	v_add_f32_e32 v5, v5, v6
	v_mul_f32_e32 v6, v15, v53
	v_fma_f32 v6, v14, v52, -v6
	;; [unrolled: 3-line block ×3, first 2 shown]
	v_add_f32_e32 v26, v5, v6
	s_waitcnt vmcnt(18) lgkmcnt(1)
	v_mul_f32_e32 v5, v19, v57
	v_mul_f32_e32 v29, v18, v57
	v_fma_f32 v28, v18, v56, -v5
	v_fmac_f32_e32 v29, v19, v56
	ds_read2_b64 v[6:9], v4 offset0:89 offset1:90
	ds_read2_b64 v[10:13], v4 offset0:91 offset1:92
	;; [unrolled: 1-line block ×3, first 2 shown]
	s_waitcnt vmcnt(15)
	v_mov_b32_e32 v18, v33
	v_mul_f32_e32 v31, v20, v59
	v_mul_f32_e32 v5, v21, v59
	s_waitcnt lgkmcnt(3)
	v_pk_mul_f32 v[18:19], v[22:23], v[18:19] op_sel_hi:[1,0]
	v_fmac_f32_e32 v31, v21, v58
	v_fma_f32 v30, v20, v58, -v5
	s_waitcnt vmcnt(14)
	v_pk_fma_f32 v[20:21], v[22:23], v[32:33], v[18:19] op_sel:[0,0,1] op_sel_hi:[1,1,0] neg_lo:[0,0,1] neg_hi:[0,0,1]
	v_pk_fma_f32 v[18:19], v[22:23], v[32:33], v[18:19] op_sel:[0,0,1] op_sel_hi:[1,0,0]
	v_pk_add_f32 v[4:5], v[26:27], v[28:29]
	s_waitcnt vmcnt(13)
	v_mov_b32_e32 v18, v35
	v_pk_add_f32 v[4:5], v[4:5], v[30:31]
	v_mov_b32_e32 v21, v19
	v_pk_mul_f32 v[18:19], v[24:25], v[18:19] op_sel_hi:[1,0]
	v_pk_add_f32 v[4:5], v[4:5], v[20:21]
	s_waitcnt vmcnt(12)
	v_pk_fma_f32 v[20:21], v[24:25], v[34:35], v[18:19] op_sel:[0,0,1] op_sel_hi:[1,1,0] neg_lo:[0,0,1] neg_hi:[0,0,1]
	v_pk_fma_f32 v[18:19], v[24:25], v[34:35], v[18:19] op_sel:[0,0,1] op_sel_hi:[1,0,0]
	s_waitcnt vmcnt(11)
	v_mov_b32_e32 v18, v37
	v_mov_b32_e32 v21, v19
	s_waitcnt lgkmcnt(2)
	v_pk_mul_f32 v[18:19], v[6:7], v[18:19] op_sel_hi:[1,0]
	v_pk_add_f32 v[4:5], v[4:5], v[20:21]
	s_waitcnt vmcnt(10)
	v_pk_fma_f32 v[20:21], v[6:7], v[36:37], v[18:19] op_sel:[0,0,1] op_sel_hi:[1,1,0] neg_lo:[0,0,1] neg_hi:[0,0,1]
	v_pk_fma_f32 v[6:7], v[6:7], v[36:37], v[18:19] op_sel:[0,0,1] op_sel_hi:[1,0,0]
	s_waitcnt vmcnt(9)
	v_mov_b32_e32 v6, v39
	v_mov_b32_e32 v21, v7
	v_pk_mul_f32 v[6:7], v[8:9], v[6:7] op_sel_hi:[1,0]
	s_waitcnt vmcnt(8)
	v_pk_fma_f32 v[18:19], v[8:9], v[38:39], v[6:7] op_sel:[0,0,1] op_sel_hi:[1,1,0] neg_lo:[0,0,1] neg_hi:[0,0,1]
	v_pk_fma_f32 v[6:7], v[8:9], v[38:39], v[6:7] op_sel:[0,0,1] op_sel_hi:[1,0,0]
	s_waitcnt vmcnt(7)
	v_mov_b32_e32 v6, v41
	v_mov_b32_e32 v19, v7
	s_waitcnt lgkmcnt(1)
	v_pk_mul_f32 v[6:7], v[10:11], v[6:7] op_sel_hi:[1,0]
	s_waitcnt vmcnt(6)
	v_pk_fma_f32 v[8:9], v[10:11], v[40:41], v[6:7] op_sel:[0,0,1] op_sel_hi:[1,1,0] neg_lo:[0,0,1] neg_hi:[0,0,1]
	v_pk_fma_f32 v[6:7], v[10:11], v[40:41], v[6:7] op_sel:[0,0,1] op_sel_hi:[1,0,0]
	v_pk_add_f32 v[4:5], v[4:5], v[20:21]
	s_waitcnt vmcnt(5)
	v_mov_b32_e32 v6, v43
	v_pk_add_f32 v[4:5], v[4:5], v[18:19]
	v_mov_b32_e32 v9, v7
	v_pk_mul_f32 v[6:7], v[12:13], v[6:7] op_sel_hi:[1,0]
	v_pk_add_f32 v[4:5], v[4:5], v[8:9]
	s_waitcnt vmcnt(4)
	v_pk_fma_f32 v[8:9], v[12:13], v[42:43], v[6:7] op_sel:[0,0,1] op_sel_hi:[1,1,0] neg_lo:[0,0,1] neg_hi:[0,0,1]
	v_pk_fma_f32 v[6:7], v[12:13], v[42:43], v[6:7] op_sel:[0,0,1] op_sel_hi:[1,0,0]
	s_waitcnt vmcnt(3)
	v_mov_b32_e32 v6, v45
	v_mov_b32_e32 v9, v7
	s_waitcnt lgkmcnt(0)
	v_pk_mul_f32 v[6:7], v[14:15], v[6:7] op_sel_hi:[1,0]
	v_pk_add_f32 v[4:5], v[4:5], v[8:9]
	s_waitcnt vmcnt(2)
	v_pk_fma_f32 v[8:9], v[14:15], v[44:45], v[6:7] op_sel:[0,0,1] op_sel_hi:[1,1,0] neg_lo:[0,0,1] neg_hi:[0,0,1]
	v_pk_fma_f32 v[6:7], v[14:15], v[44:45], v[6:7] op_sel:[0,0,1] op_sel_hi:[1,0,0]
	s_waitcnt vmcnt(1)
	v_mov_b32_e32 v6, v47
	v_mov_b32_e32 v9, v7
	v_pk_mul_f32 v[6:7], v[16:17], v[6:7] op_sel_hi:[1,0]
	v_pk_add_f32 v[4:5], v[4:5], v[8:9]
	s_waitcnt vmcnt(0)
	v_pk_fma_f32 v[8:9], v[16:17], v[46:47], v[6:7] op_sel:[0,0,1] op_sel_hi:[1,1,0] neg_lo:[0,0,1] neg_hi:[0,0,1]
	v_pk_fma_f32 v[6:7], v[16:17], v[46:47], v[6:7] op_sel:[0,0,1] op_sel_hi:[1,0,0]
	v_mov_b32_e32 v9, v7
	v_pk_add_f32 v[4:5], v[4:5], v[8:9]
	v_pk_add_f32 v[2:3], v[2:3], v[4:5] neg_lo:[0,1] neg_hi:[0,1]
	buffer_store_dword v3, off, s[0:3], 0 offset:244
	buffer_store_dword v2, off, s[0:3], 0 offset:240
	s_and_saveexec_b64 s[4:5], vcc
	s_cbranch_execz .LBB110_237
; %bb.236:
	buffer_load_dword v2, off, s[0:3], 0 offset:232
	buffer_load_dword v3, off, s[0:3], 0 offset:236
	v_mov_b32_e32 v4, 0
	buffer_store_dword v4, off, s[0:3], 0 offset:232
	buffer_store_dword v4, off, s[0:3], 0 offset:236
	s_waitcnt vmcnt(2)
	ds_write_b64 v89, v[2:3]
.LBB110_237:
	s_or_b64 exec, exec, s[4:5]
	s_waitcnt lgkmcnt(0)
	; wave barrier
	s_waitcnt lgkmcnt(0)
	buffer_load_dword v5, off, s[0:3], 0 offset:244
	buffer_load_dword v46, off, s[0:3], 0 offset:252
	;; [unrolled: 1-line block ×36, first 2 shown]
	v_mov_b32_e32 v4, 0
	ds_read_b128 v[6:9], v4 offset:624
	ds_read_b128 v[10:13], v4 offset:640
	;; [unrolled: 1-line block ×6, first 2 shown]
	v_cmp_lt_u32_e32 vcc, 28, v0
	s_waitcnt vmcnt(35) lgkmcnt(5)
	v_mul_f32_e32 v65, v6, v5
	s_waitcnt vmcnt(34)
	v_mul_f32_e32 v66, v8, v46
	s_waitcnt vmcnt(33) lgkmcnt(4)
	v_mul_f32_e32 v67, v10, v48
	v_mul_f32_e32 v5, v7, v5
	;; [unrolled: 1-line block ×4, first 2 shown]
	s_waitcnt vmcnt(32)
	v_mul_f32_e32 v68, v12, v50
	s_waitcnt vmcnt(31) lgkmcnt(3)
	v_mul_f32_e32 v69, v14, v51
	v_mul_f32_e32 v50, v13, v50
	s_waitcnt vmcnt(26)
	v_fmac_f32_e32 v65, v7, v56
	s_waitcnt vmcnt(25)
	v_fmac_f32_e32 v66, v9, v57
	;; [unrolled: 2-line block ×3, first 2 shown]
	v_fma_f32 v5, v6, v56, -v5
	v_add_f32_e32 v11, 0, v65
	v_fma_f32 v6, v8, v57, -v46
	v_add_f32_e32 v5, 0, v5
	v_add_f32_e32 v11, v11, v66
	s_waitcnt vmcnt(23)
	v_fmac_f32_e32 v68, v13, v59
	v_fma_f32 v7, v10, v58, -v48
	v_add_f32_e32 v5, v5, v6
	v_add_f32_e32 v6, v11, v67
	v_mul_f32_e32 v70, v16, v52
	v_mul_f32_e32 v51, v15, v51
	s_waitcnt vmcnt(22)
	v_fmac_f32_e32 v69, v15, v60
	v_fma_f32 v8, v12, v59, -v50
	v_add_f32_e32 v5, v5, v7
	v_add_f32_e32 v6, v6, v68
	s_waitcnt lgkmcnt(2)
	v_mul_f32_e32 v71, v18, v53
	v_mul_f32_e32 v52, v17, v52
	s_waitcnt vmcnt(21)
	v_fmac_f32_e32 v70, v17, v61
	v_fma_f32 v9, v14, v60, -v51
	v_add_f32_e32 v5, v5, v8
	v_add_f32_e32 v6, v6, v69
	v_mul_f32_e32 v53, v19, v53
	s_waitcnt vmcnt(20)
	v_fmac_f32_e32 v71, v19, v62
	v_fma_f32 v10, v16, v61, -v52
	v_add_f32_e32 v5, v5, v9
	v_add_f32_e32 v6, v6, v70
	;; [unrolled: 1-line block ×4, first 2 shown]
	v_fma_f32 v6, v18, v62, -v53
	v_mul_f32_e32 v47, v20, v54
	v_add_f32_e32 v14, v5, v6
	v_mul_f32_e32 v5, v21, v54
	s_waitcnt vmcnt(17)
	v_mov_b32_e32 v18, v3
	s_waitcnt lgkmcnt(1)
	v_mul_f32_e32 v49, v22, v55
	v_fmac_f32_e32 v47, v21, v63
	v_fma_f32 v46, v20, v63, -v5
	v_mul_f32_e32 v5, v23, v55
	v_pk_mul_f32 v[18:19], v[24:25], v[18:19] op_sel_hi:[1,0]
	v_fmac_f32_e32 v49, v23, v64
	v_fma_f32 v48, v22, v64, -v5
	v_pk_add_f32 v[14:15], v[14:15], v[46:47]
	s_waitcnt vmcnt(15)
	v_pk_fma_f32 v[20:21], v[24:25], v[2:3], v[18:19] op_sel:[0,0,1] op_sel_hi:[1,1,0] neg_lo:[0,0,1] neg_hi:[0,0,1]
	v_pk_fma_f32 v[2:3], v[24:25], v[2:3], v[18:19] op_sel:[0,0,1] op_sel_hi:[1,0,0]
	v_pk_add_f32 v[14:15], v[14:15], v[48:49]
	v_mov_b32_e32 v21, v3
	v_pk_add_f32 v[2:3], v[14:15], v[20:21]
	s_waitcnt vmcnt(12)
	v_mov_b32_e32 v14, v31
	s_waitcnt lgkmcnt(0)
	v_pk_mul_f32 v[14:15], v[26:27], v[14:15] op_sel_hi:[1,0]
	v_pk_fma_f32 v[18:19], v[26:27], v[30:31], v[14:15] op_sel:[0,0,1] op_sel_hi:[1,1,0] neg_lo:[0,0,1] neg_hi:[0,0,1]
	v_pk_fma_f32 v[14:15], v[26:27], v[30:31], v[14:15] op_sel:[0,0,1] op_sel_hi:[1,0,0]
	s_waitcnt vmcnt(11)
	v_mov_b32_e32 v14, v35
	ds_read_b128 v[6:9], v4 offset:720
	ds_read_b128 v[10:13], v4 offset:736
	ds_read_b64 v[16:17], v4 offset:752
	v_mov_b32_e32 v19, v15
	v_pk_mul_f32 v[14:15], v[28:29], v[14:15] op_sel_hi:[1,0]
	v_pk_add_f32 v[2:3], v[2:3], v[18:19]
	s_waitcnt vmcnt(4)
	v_pk_fma_f32 v[18:19], v[28:29], v[34:35], v[14:15] op_sel:[0,0,1] op_sel_hi:[1,1,0] neg_lo:[0,0,1] neg_hi:[0,0,1]
	v_pk_fma_f32 v[14:15], v[28:29], v[34:35], v[14:15] op_sel:[0,0,1] op_sel_hi:[1,0,0]
	v_mov_b32_e32 v14, v41
	v_mov_b32_e32 v19, v15
	s_waitcnt lgkmcnt(2)
	v_pk_mul_f32 v[14:15], v[6:7], v[14:15] op_sel_hi:[1,0]
	v_pk_add_f32 v[2:3], v[2:3], v[18:19]
	v_pk_fma_f32 v[18:19], v[6:7], v[40:41], v[14:15] op_sel:[0,0,1] op_sel_hi:[1,1,0] neg_lo:[0,0,1] neg_hi:[0,0,1]
	v_pk_fma_f32 v[6:7], v[6:7], v[40:41], v[14:15] op_sel:[0,0,1] op_sel_hi:[1,0,0]
	v_mov_b32_e32 v6, v39
	v_mov_b32_e32 v19, v7
	v_pk_mul_f32 v[6:7], v[8:9], v[6:7] op_sel_hi:[1,0]
	v_pk_fma_f32 v[14:15], v[8:9], v[38:39], v[6:7] op_sel:[0,0,1] op_sel_hi:[1,1,0] neg_lo:[0,0,1] neg_hi:[0,0,1]
	v_pk_fma_f32 v[6:7], v[8:9], v[38:39], v[6:7] op_sel:[0,0,1] op_sel_hi:[1,0,0]
	v_mov_b32_e32 v6, v37
	v_mov_b32_e32 v15, v7
	s_waitcnt lgkmcnt(1)
	v_pk_mul_f32 v[6:7], v[10:11], v[6:7] op_sel_hi:[1,0]
	v_pk_fma_f32 v[8:9], v[10:11], v[36:37], v[6:7] op_sel:[0,0,1] op_sel_hi:[1,1,0] neg_lo:[0,0,1] neg_hi:[0,0,1]
	v_pk_fma_f32 v[6:7], v[10:11], v[36:37], v[6:7] op_sel:[0,0,1] op_sel_hi:[1,0,0]
	v_pk_add_f32 v[2:3], v[2:3], v[18:19]
	s_waitcnt vmcnt(1)
	v_mov_b32_e32 v6, v45
	v_pk_add_f32 v[2:3], v[2:3], v[14:15]
	v_mov_b32_e32 v9, v7
	v_pk_mul_f32 v[6:7], v[12:13], v[6:7] op_sel_hi:[1,0]
	v_pk_add_f32 v[2:3], v[2:3], v[8:9]
	s_waitcnt vmcnt(0)
	v_pk_fma_f32 v[8:9], v[12:13], v[44:45], v[6:7] op_sel:[0,0,1] op_sel_hi:[1,1,0] neg_lo:[0,0,1] neg_hi:[0,0,1]
	v_pk_fma_f32 v[6:7], v[12:13], v[44:45], v[6:7] op_sel:[0,0,1] op_sel_hi:[1,0,0]
	v_mov_b32_e32 v6, v43
	v_mov_b32_e32 v9, v7
	s_waitcnt lgkmcnt(0)
	v_pk_mul_f32 v[6:7], v[16:17], v[6:7] op_sel_hi:[1,0]
	v_pk_add_f32 v[2:3], v[2:3], v[8:9]
	v_pk_fma_f32 v[8:9], v[16:17], v[42:43], v[6:7] op_sel:[0,0,1] op_sel_hi:[1,1,0] neg_lo:[0,0,1] neg_hi:[0,0,1]
	v_pk_fma_f32 v[6:7], v[16:17], v[42:43], v[6:7] op_sel:[0,0,1] op_sel_hi:[1,0,0]
	v_mov_b32_e32 v9, v7
	v_pk_add_f32 v[2:3], v[2:3], v[8:9]
	v_pk_add_f32 v[2:3], v[32:33], v[2:3] neg_lo:[0,1] neg_hi:[0,1]
	buffer_store_dword v3, off, s[0:3], 0 offset:236
	buffer_store_dword v2, off, s[0:3], 0 offset:232
	s_and_saveexec_b64 s[4:5], vcc
	s_cbranch_execz .LBB110_239
; %bb.238:
	buffer_load_dword v2, off, s[0:3], 0 offset:224
	buffer_load_dword v3, off, s[0:3], 0 offset:228
	s_waitcnt vmcnt(0)
	ds_write_b64 v89, v[2:3]
	buffer_store_dword v4, off, s[0:3], 0 offset:224
	buffer_store_dword v4, off, s[0:3], 0 offset:228
.LBB110_239:
	s_or_b64 exec, exec, s[4:5]
	s_waitcnt lgkmcnt(0)
	; wave barrier
	s_waitcnt lgkmcnt(0)
	ds_read2_b64 v[6:9], v4 offset0:77 offset1:78
	buffer_load_dword v2, off, s[0:3], 0 offset:224
	buffer_load_dword v3, off, s[0:3], 0 offset:228
	;; [unrolled: 1-line block ×16, first 2 shown]
	v_cmp_lt_u32_e32 vcc, 27, v0
	s_waitcnt vmcnt(12) lgkmcnt(0)
	v_mul_f32_e32 v10, v6, v30
	v_fmac_f32_e32 v10, v7, v5
	s_waitcnt vmcnt(10)
	v_mul_f32_e32 v11, v8, v34
	v_add_f32_e32 v10, 0, v10
	v_fmac_f32_e32 v11, v9, v32
	v_add_f32_e32 v14, v10, v11
	ds_read2_b64 v[10:13], v4 offset0:79 offset1:80
	v_mul_f32_e32 v7, v7, v30
	v_fma_f32 v5, v6, v5, -v7
	v_mul_f32_e32 v6, v9, v34
	v_add_f32_e32 v5, 0, v5
	s_waitcnt vmcnt(8) lgkmcnt(0)
	v_mul_f32_e32 v15, v10, v53
	v_fmac_f32_e32 v15, v11, v52
	v_add_f32_e32 v14, v14, v15
	s_waitcnt vmcnt(6)
	v_mul_f32_e32 v15, v12, v55
	v_fmac_f32_e32 v15, v13, v54
	v_add_f32_e32 v18, v14, v15
	ds_read2_b64 v[14:17], v4 offset0:81 offset1:82
	v_fma_f32 v6, v8, v32, -v6
	v_add_f32_e32 v5, v5, v6
	v_mul_f32_e32 v6, v11, v53
	v_fma_f32 v6, v10, v52, -v6
	s_waitcnt vmcnt(4) lgkmcnt(0)
	v_mul_f32_e32 v19, v14, v57
	v_fmac_f32_e32 v19, v15, v56
	v_add_f32_e32 v18, v18, v19
	s_waitcnt vmcnt(2)
	v_mul_f32_e32 v19, v16, v59
	v_fmac_f32_e32 v19, v17, v58
	v_add_f32_e32 v22, v18, v19
	ds_read2_b64 v[18:21], v4 offset0:83 offset1:84
	buffer_load_dword v62, off, s[0:3], 0 offset:288
	buffer_load_dword v63, off, s[0:3], 0 offset:292
	v_add_f32_e32 v5, v5, v6
	v_mul_f32_e32 v6, v13, v55
	v_fma_f32 v6, v12, v54, -v6
	s_waitcnt vmcnt(2) lgkmcnt(0)
	v_mul_f32_e32 v23, v18, v61
	v_fmac_f32_e32 v23, v19, v60
	v_add_f32_e32 v22, v22, v23
	v_add_f32_e32 v5, v5, v6
	v_mul_f32_e32 v6, v15, v57
	v_fma_f32 v6, v14, v56, -v6
	v_add_f32_e32 v5, v5, v6
	v_mul_f32_e32 v6, v17, v59
	v_fma_f32 v6, v16, v58, -v6
	;; [unrolled: 3-line block ×3, first 2 shown]
	v_add_f32_e32 v5, v5, v6
	s_waitcnt vmcnt(0)
	v_mul_f32_e32 v23, v20, v63
	v_fmac_f32_e32 v23, v21, v62
	v_add_f32_e32 v31, v22, v23
	ds_read2_b64 v[22:25], v4 offset0:85 offset1:86
	buffer_load_dword v64, off, s[0:3], 0 offset:296
	buffer_load_dword v65, off, s[0:3], 0 offset:300
	;; [unrolled: 1-line block ×6, first 2 shown]
	ds_read2_b64 v[26:29], v4 offset0:87 offset1:88
	buffer_load_dword v39, off, s[0:3], 0 offset:324
	buffer_load_dword v38, off, s[0:3], 0 offset:320
	;; [unrolled: 1-line block ×14, first 2 shown]
	v_mul_f32_e32 v6, v21, v63
	v_fma_f32 v6, v20, v62, -v6
	v_add_f32_e32 v30, v5, v6
	ds_read2_b64 v[6:9], v4 offset0:89 offset1:90
	ds_read2_b64 v[10:13], v4 offset0:91 offset1:92
	ds_read2_b64 v[14:17], v4 offset0:93 offset1:94
	s_waitcnt vmcnt(18) lgkmcnt(4)
	v_mul_f32_e32 v33, v22, v65
	s_waitcnt vmcnt(15)
	v_mov_b32_e32 v18, v37
	v_mul_f32_e32 v5, v23, v65
	s_waitcnt lgkmcnt(3)
	v_pk_mul_f32 v[18:19], v[26:27], v[18:19] op_sel_hi:[1,0]
	v_fmac_f32_e32 v33, v23, v64
	v_mul_f32_e32 v35, v24, v67
	v_fma_f32 v32, v22, v64, -v5
	v_mul_f32_e32 v5, v25, v67
	s_waitcnt vmcnt(14)
	v_pk_fma_f32 v[20:21], v[26:27], v[36:37], v[18:19] op_sel:[0,0,1] op_sel_hi:[1,1,0] neg_lo:[0,0,1] neg_hi:[0,0,1]
	v_pk_fma_f32 v[18:19], v[26:27], v[36:37], v[18:19] op_sel:[0,0,1] op_sel_hi:[1,0,0]
	v_fmac_f32_e32 v35, v25, v66
	v_fma_f32 v34, v24, v66, -v5
	v_pk_add_f32 v[4:5], v[30:31], v[32:33]
	s_waitcnt vmcnt(13)
	v_mov_b32_e32 v18, v39
	v_pk_add_f32 v[4:5], v[4:5], v[34:35]
	v_mov_b32_e32 v21, v19
	v_pk_mul_f32 v[18:19], v[28:29], v[18:19] op_sel_hi:[1,0]
	v_pk_add_f32 v[4:5], v[4:5], v[20:21]
	s_waitcnt vmcnt(12)
	v_pk_fma_f32 v[20:21], v[28:29], v[38:39], v[18:19] op_sel:[0,0,1] op_sel_hi:[1,1,0] neg_lo:[0,0,1] neg_hi:[0,0,1]
	v_pk_fma_f32 v[18:19], v[28:29], v[38:39], v[18:19] op_sel:[0,0,1] op_sel_hi:[1,0,0]
	s_waitcnt vmcnt(11)
	v_mov_b32_e32 v18, v41
	v_mov_b32_e32 v21, v19
	s_waitcnt lgkmcnt(2)
	v_pk_mul_f32 v[18:19], v[6:7], v[18:19] op_sel_hi:[1,0]
	v_pk_add_f32 v[4:5], v[4:5], v[20:21]
	s_waitcnt vmcnt(10)
	v_pk_fma_f32 v[20:21], v[6:7], v[40:41], v[18:19] op_sel:[0,0,1] op_sel_hi:[1,1,0] neg_lo:[0,0,1] neg_hi:[0,0,1]
	v_pk_fma_f32 v[6:7], v[6:7], v[40:41], v[18:19] op_sel:[0,0,1] op_sel_hi:[1,0,0]
	s_waitcnt vmcnt(9)
	v_mov_b32_e32 v6, v43
	v_mov_b32_e32 v21, v7
	v_pk_mul_f32 v[6:7], v[8:9], v[6:7] op_sel_hi:[1,0]
	s_waitcnt vmcnt(8)
	v_pk_fma_f32 v[18:19], v[8:9], v[42:43], v[6:7] op_sel:[0,0,1] op_sel_hi:[1,1,0] neg_lo:[0,0,1] neg_hi:[0,0,1]
	v_pk_fma_f32 v[6:7], v[8:9], v[42:43], v[6:7] op_sel:[0,0,1] op_sel_hi:[1,0,0]
	s_waitcnt vmcnt(7)
	v_mov_b32_e32 v6, v45
	v_mov_b32_e32 v19, v7
	s_waitcnt lgkmcnt(1)
	v_pk_mul_f32 v[6:7], v[10:11], v[6:7] op_sel_hi:[1,0]
	s_waitcnt vmcnt(6)
	v_pk_fma_f32 v[8:9], v[10:11], v[44:45], v[6:7] op_sel:[0,0,1] op_sel_hi:[1,1,0] neg_lo:[0,0,1] neg_hi:[0,0,1]
	v_pk_fma_f32 v[6:7], v[10:11], v[44:45], v[6:7] op_sel:[0,0,1] op_sel_hi:[1,0,0]
	v_pk_add_f32 v[4:5], v[4:5], v[20:21]
	s_waitcnt vmcnt(5)
	v_mov_b32_e32 v6, v47
	v_pk_add_f32 v[4:5], v[4:5], v[18:19]
	v_mov_b32_e32 v9, v7
	v_pk_mul_f32 v[6:7], v[12:13], v[6:7] op_sel_hi:[1,0]
	v_pk_add_f32 v[4:5], v[4:5], v[8:9]
	s_waitcnt vmcnt(4)
	v_pk_fma_f32 v[8:9], v[12:13], v[46:47], v[6:7] op_sel:[0,0,1] op_sel_hi:[1,1,0] neg_lo:[0,0,1] neg_hi:[0,0,1]
	v_pk_fma_f32 v[6:7], v[12:13], v[46:47], v[6:7] op_sel:[0,0,1] op_sel_hi:[1,0,0]
	s_waitcnt vmcnt(3)
	v_mov_b32_e32 v6, v49
	v_mov_b32_e32 v9, v7
	s_waitcnt lgkmcnt(0)
	v_pk_mul_f32 v[6:7], v[14:15], v[6:7] op_sel_hi:[1,0]
	v_pk_add_f32 v[4:5], v[4:5], v[8:9]
	s_waitcnt vmcnt(2)
	v_pk_fma_f32 v[8:9], v[14:15], v[48:49], v[6:7] op_sel:[0,0,1] op_sel_hi:[1,1,0] neg_lo:[0,0,1] neg_hi:[0,0,1]
	v_pk_fma_f32 v[6:7], v[14:15], v[48:49], v[6:7] op_sel:[0,0,1] op_sel_hi:[1,0,0]
	s_waitcnt vmcnt(1)
	v_mov_b32_e32 v6, v51
	v_mov_b32_e32 v9, v7
	v_pk_mul_f32 v[6:7], v[16:17], v[6:7] op_sel_hi:[1,0]
	v_pk_add_f32 v[4:5], v[4:5], v[8:9]
	s_waitcnt vmcnt(0)
	v_pk_fma_f32 v[8:9], v[16:17], v[50:51], v[6:7] op_sel:[0,0,1] op_sel_hi:[1,1,0] neg_lo:[0,0,1] neg_hi:[0,0,1]
	v_pk_fma_f32 v[6:7], v[16:17], v[50:51], v[6:7] op_sel:[0,0,1] op_sel_hi:[1,0,0]
	v_mov_b32_e32 v9, v7
	v_pk_add_f32 v[4:5], v[4:5], v[8:9]
	v_pk_add_f32 v[2:3], v[2:3], v[4:5] neg_lo:[0,1] neg_hi:[0,1]
	buffer_store_dword v3, off, s[0:3], 0 offset:228
	buffer_store_dword v2, off, s[0:3], 0 offset:224
	s_and_saveexec_b64 s[4:5], vcc
	s_cbranch_execz .LBB110_241
; %bb.240:
	buffer_load_dword v2, off, s[0:3], 0 offset:216
	buffer_load_dword v3, off, s[0:3], 0 offset:220
	v_mov_b32_e32 v4, 0
	buffer_store_dword v4, off, s[0:3], 0 offset:216
	buffer_store_dword v4, off, s[0:3], 0 offset:220
	s_waitcnt vmcnt(2)
	ds_write_b64 v89, v[2:3]
.LBB110_241:
	s_or_b64 exec, exec, s[4:5]
	v_mov_b32_e32 v12, 0
	s_waitcnt lgkmcnt(0)
	; wave barrier
	s_waitcnt lgkmcnt(0)
	ds_read_b128 v[14:17], v12 offset:608
	ds_read_b128 v[18:21], v12 offset:624
	;; [unrolled: 1-line block ×4, first 2 shown]
	buffer_load_dword v10, off, s[0:3], 0 offset:216
	buffer_load_dword v11, off, s[0:3], 0 offset:220
	;; [unrolled: 1-line block ×18, first 2 shown]
	v_cmp_lt_u32_e32 vcc, 26, v0
	s_waitcnt vmcnt(14) lgkmcnt(3)
	v_mul_f32_e32 v22, v14, v30
	v_fmac_f32_e32 v22, v15, v13
	s_waitcnt vmcnt(12)
	v_mul_f32_e32 v23, v16, v34
	v_add_f32_e32 v22, 0, v22
	v_fmac_f32_e32 v23, v17, v32
	v_add_f32_e32 v22, v22, v23
	s_waitcnt vmcnt(10) lgkmcnt(2)
	v_mul_f32_e32 v23, v18, v53
	v_fmac_f32_e32 v23, v19, v52
	v_add_f32_e32 v22, v22, v23
	s_waitcnt vmcnt(8)
	v_mul_f32_e32 v23, v20, v55
	v_fmac_f32_e32 v23, v21, v54
	v_add_f32_e32 v22, v22, v23
	s_waitcnt vmcnt(6) lgkmcnt(1)
	v_mul_f32_e32 v23, v6, v57
	v_fmac_f32_e32 v23, v7, v56
	v_add_f32_e32 v22, v22, v23
	s_waitcnt vmcnt(4)
	v_mul_f32_e32 v23, v8, v59
	;; [unrolled: 8-line block ×3, first 2 shown]
	v_fmac_f32_e32 v23, v5, v62
	v_add_f32_e32 v26, v22, v23
	ds_read_b128 v[22:25], v12 offset:672
	buffer_load_dword v64, off, s[0:3], 0 offset:288
	buffer_load_dword v65, off, s[0:3], 0 offset:292
	;; [unrolled: 1-line block ×4, first 2 shown]
	v_mul_f32_e32 v15, v15, v30
	v_fma_f32 v13, v14, v13, -v15
	v_mul_f32_e32 v14, v17, v34
	v_add_f32_e32 v13, 0, v13
	v_fma_f32 v14, v16, v32, -v14
	v_add_f32_e32 v13, v13, v14
	v_mul_f32_e32 v14, v19, v53
	v_fma_f32 v14, v18, v52, -v14
	v_add_f32_e32 v13, v13, v14
	v_mul_f32_e32 v14, v21, v55
	v_fma_f32 v14, v20, v54, -v14
	v_mul_f32_e32 v7, v7, v57
	v_add_f32_e32 v13, v13, v14
	v_fma_f32 v6, v6, v56, -v7
	v_mul_f32_e32 v7, v9, v59
	v_add_f32_e32 v6, v13, v6
	;; [unrolled: 3-line block ×4, first 2 shown]
	v_fma_f32 v3, v4, v62, -v3
	v_add_f32_e32 v2, v2, v3
	s_waitcnt vmcnt(2) lgkmcnt(0)
	v_mul_f32_e32 v27, v22, v65
	v_fmac_f32_e32 v27, v23, v64
	v_add_f32_e32 v31, v26, v27
	ds_read_b128 v[26:29], v12 offset:688
	buffer_load_dword v68, off, s[0:3], 0 offset:304
	buffer_load_dword v69, off, s[0:3], 0 offset:308
	buffer_load_dword v37, off, s[0:3], 0 offset:316
	buffer_load_dword v36, off, s[0:3], 0 offset:312
	buffer_load_dword v39, off, s[0:3], 0 offset:324
	buffer_load_dword v38, off, s[0:3], 0 offset:320
	buffer_load_dword v41, off, s[0:3], 0 offset:332
	buffer_load_dword v40, off, s[0:3], 0 offset:328
	buffer_load_dword v43, off, s[0:3], 0 offset:340
	buffer_load_dword v42, off, s[0:3], 0 offset:336
	buffer_load_dword v45, off, s[0:3], 0 offset:348
	buffer_load_dword v44, off, s[0:3], 0 offset:344
	buffer_load_dword v47, off, s[0:3], 0 offset:356
	buffer_load_dword v46, off, s[0:3], 0 offset:352
	buffer_load_dword v49, off, s[0:3], 0 offset:364
	buffer_load_dword v48, off, s[0:3], 0 offset:360
	buffer_load_dword v51, off, s[0:3], 0 offset:372
	buffer_load_dword v50, off, s[0:3], 0 offset:368
	v_mul_f32_e32 v3, v23, v65
	v_fma_f32 v3, v22, v64, -v3
	v_add_f32_e32 v30, v2, v3
	s_waitcnt vmcnt(18)
	v_mul_f32_e32 v2, v25, v67
	v_mul_f32_e32 v33, v24, v67
	v_fma_f32 v32, v24, v66, -v2
	v_fmac_f32_e32 v33, v25, v66
	v_pk_add_f32 v[20:21], v[30:31], v[32:33]
	s_waitcnt vmcnt(15)
	v_mov_b32_e32 v22, v37
	s_waitcnt lgkmcnt(0)
	v_pk_mul_f32 v[22:23], v[28:29], v[22:23] op_sel_hi:[1,0]
	s_waitcnt vmcnt(14)
	v_pk_fma_f32 v[24:25], v[28:29], v[36:37], v[22:23] op_sel:[0,0,1] op_sel_hi:[1,1,0] neg_lo:[0,0,1] neg_hi:[0,0,1]
	v_pk_fma_f32 v[22:23], v[28:29], v[36:37], v[22:23] op_sel:[0,0,1] op_sel_hi:[1,0,0]
	s_waitcnt vmcnt(13)
	v_mov_b32_e32 v22, v39
	v_mov_b32_e32 v25, v23
	v_mul_f32_e32 v2, v27, v69
	v_mul_f32_e32 v35, v26, v69
	v_fma_f32 v34, v26, v68, -v2
	ds_read_b128 v[2:5], v12 offset:704
	ds_read_b128 v[6:9], v12 offset:720
	;; [unrolled: 1-line block ×3, first 2 shown]
	ds_read_b64 v[18:19], v12 offset:752
	v_fmac_f32_e32 v35, v27, v68
	v_pk_add_f32 v[20:21], v[20:21], v[34:35]
	s_waitcnt lgkmcnt(3)
	v_pk_mul_f32 v[22:23], v[2:3], v[22:23] op_sel_hi:[1,0]
	v_pk_add_f32 v[20:21], v[20:21], v[24:25]
	s_waitcnt vmcnt(12)
	v_pk_fma_f32 v[24:25], v[2:3], v[38:39], v[22:23] op_sel:[0,0,1] op_sel_hi:[1,1,0] neg_lo:[0,0,1] neg_hi:[0,0,1]
	v_pk_fma_f32 v[2:3], v[2:3], v[38:39], v[22:23] op_sel:[0,0,1] op_sel_hi:[1,0,0]
	v_mov_b32_e32 v25, v3
	v_pk_add_f32 v[2:3], v[20:21], v[24:25]
	s_waitcnt vmcnt(11)
	v_mov_b32_e32 v20, v41
	v_pk_mul_f32 v[20:21], v[4:5], v[20:21] op_sel_hi:[1,0]
	s_waitcnt vmcnt(10)
	v_pk_fma_f32 v[22:23], v[4:5], v[40:41], v[20:21] op_sel:[0,0,1] op_sel_hi:[1,1,0] neg_lo:[0,0,1] neg_hi:[0,0,1]
	v_pk_fma_f32 v[4:5], v[4:5], v[40:41], v[20:21] op_sel:[0,0,1] op_sel_hi:[1,0,0]
	s_waitcnt vmcnt(9)
	v_mov_b32_e32 v4, v43
	v_mov_b32_e32 v23, v5
	s_waitcnt lgkmcnt(2)
	v_pk_mul_f32 v[4:5], v[6:7], v[4:5] op_sel_hi:[1,0]
	s_waitcnt vmcnt(8)
	v_pk_fma_f32 v[20:21], v[6:7], v[42:43], v[4:5] op_sel:[0,0,1] op_sel_hi:[1,1,0] neg_lo:[0,0,1] neg_hi:[0,0,1]
	v_pk_fma_f32 v[4:5], v[6:7], v[42:43], v[4:5] op_sel:[0,0,1] op_sel_hi:[1,0,0]
	s_waitcnt vmcnt(7)
	v_mov_b32_e32 v4, v45
	v_mov_b32_e32 v21, v5
	v_pk_mul_f32 v[4:5], v[8:9], v[4:5] op_sel_hi:[1,0]
	s_waitcnt vmcnt(6)
	v_pk_fma_f32 v[6:7], v[8:9], v[44:45], v[4:5] op_sel:[0,0,1] op_sel_hi:[1,1,0] neg_lo:[0,0,1] neg_hi:[0,0,1]
	v_pk_fma_f32 v[4:5], v[8:9], v[44:45], v[4:5] op_sel:[0,0,1] op_sel_hi:[1,0,0]
	v_pk_add_f32 v[2:3], v[2:3], v[22:23]
	s_waitcnt vmcnt(5)
	v_mov_b32_e32 v4, v47
	v_pk_add_f32 v[2:3], v[2:3], v[20:21]
	v_mov_b32_e32 v7, v5
	s_waitcnt lgkmcnt(1)
	v_pk_mul_f32 v[4:5], v[14:15], v[4:5] op_sel_hi:[1,0]
	v_pk_add_f32 v[2:3], v[2:3], v[6:7]
	s_waitcnt vmcnt(4)
	v_pk_fma_f32 v[6:7], v[14:15], v[46:47], v[4:5] op_sel:[0,0,1] op_sel_hi:[1,1,0] neg_lo:[0,0,1] neg_hi:[0,0,1]
	v_pk_fma_f32 v[4:5], v[14:15], v[46:47], v[4:5] op_sel:[0,0,1] op_sel_hi:[1,0,0]
	s_waitcnt vmcnt(3)
	v_mov_b32_e32 v4, v49
	v_mov_b32_e32 v7, v5
	v_pk_mul_f32 v[4:5], v[16:17], v[4:5] op_sel_hi:[1,0]
	v_pk_add_f32 v[2:3], v[2:3], v[6:7]
	s_waitcnt vmcnt(2)
	v_pk_fma_f32 v[6:7], v[16:17], v[48:49], v[4:5] op_sel:[0,0,1] op_sel_hi:[1,1,0] neg_lo:[0,0,1] neg_hi:[0,0,1]
	v_pk_fma_f32 v[4:5], v[16:17], v[48:49], v[4:5] op_sel:[0,0,1] op_sel_hi:[1,0,0]
	s_waitcnt vmcnt(1)
	v_mov_b32_e32 v4, v51
	v_mov_b32_e32 v7, v5
	s_waitcnt lgkmcnt(0)
	v_pk_mul_f32 v[4:5], v[18:19], v[4:5] op_sel_hi:[1,0]
	v_pk_add_f32 v[2:3], v[2:3], v[6:7]
	s_waitcnt vmcnt(0)
	v_pk_fma_f32 v[6:7], v[18:19], v[50:51], v[4:5] op_sel:[0,0,1] op_sel_hi:[1,1,0] neg_lo:[0,0,1] neg_hi:[0,0,1]
	v_pk_fma_f32 v[4:5], v[18:19], v[50:51], v[4:5] op_sel:[0,0,1] op_sel_hi:[1,0,0]
	v_mov_b32_e32 v7, v5
	v_pk_add_f32 v[2:3], v[2:3], v[6:7]
	v_pk_add_f32 v[2:3], v[10:11], v[2:3] neg_lo:[0,1] neg_hi:[0,1]
	buffer_store_dword v3, off, s[0:3], 0 offset:220
	buffer_store_dword v2, off, s[0:3], 0 offset:216
	s_and_saveexec_b64 s[4:5], vcc
	s_cbranch_execz .LBB110_243
; %bb.242:
	buffer_load_dword v2, off, s[0:3], 0 offset:208
	buffer_load_dword v3, off, s[0:3], 0 offset:212
	s_waitcnt vmcnt(0)
	ds_write_b64 v89, v[2:3]
	buffer_store_dword v12, off, s[0:3], 0 offset:208
	buffer_store_dword v12, off, s[0:3], 0 offset:212
.LBB110_243:
	s_or_b64 exec, exec, s[4:5]
	s_waitcnt lgkmcnt(0)
	; wave barrier
	s_waitcnt lgkmcnt(0)
	buffer_load_dword v10, off, s[0:3], 0 offset:220
	buffer_load_dword v11, off, s[0:3], 0 offset:228
	;; [unrolled: 1-line block ×26, first 2 shown]
	ds_read2_b64 v[2:5], v12 offset0:75 offset1:76
	ds_read2_b64 v[6:9], v12 offset0:77 offset1:78
	;; [unrolled: 1-line block ×6, first 2 shown]
	buffer_load_dword v33, off, s[0:3], 0 offset:332
	buffer_load_dword v32, off, s[0:3], 0 offset:328
	buffer_load_dword v35, off, s[0:3], 0 offset:324
	buffer_load_dword v34, off, s[0:3], 0 offset:320
	buffer_load_dword v37, off, s[0:3], 0 offset:316
	buffer_load_dword v36, off, s[0:3], 0 offset:312
	buffer_load_dword v39, off, s[0:3], 0 offset:364
	buffer_load_dword v38, off, s[0:3], 0 offset:360
	buffer_load_dword v41, off, s[0:3], 0 offset:356
	buffer_load_dword v40, off, s[0:3], 0 offset:352
	buffer_load_dword v43, off, s[0:3], 0 offset:348
	buffer_load_dword v42, off, s[0:3], 0 offset:344
	buffer_load_dword v45, off, s[0:3], 0 offset:340
	buffer_load_dword v44, off, s[0:3], 0 offset:336
	buffer_load_dword v47, off, s[0:3], 0 offset:372
	buffer_load_dword v46, off, s[0:3], 0 offset:368
	v_cmp_lt_u32_e32 vcc, 25, v0
	s_waitcnt vmcnt(41) lgkmcnt(5)
	v_mul_f32_e32 v71, v2, v10
	s_waitcnt vmcnt(40)
	v_mul_f32_e32 v72, v4, v11
	v_mul_f32_e32 v10, v3, v10
	s_waitcnt vmcnt(39) lgkmcnt(4)
	v_mul_f32_e32 v73, v6, v13
	v_mul_f32_e32 v11, v5, v11
	s_waitcnt vmcnt(38)
	v_mul_f32_e32 v74, v8, v48
	s_waitcnt vmcnt(37) lgkmcnt(3)
	v_mul_f32_e32 v75, v14, v50
	s_waitcnt vmcnt(36)
	v_mul_f32_e32 v76, v16, v52
	s_waitcnt vmcnt(35) lgkmcnt(2)
	;; [unrolled: 4-line block ×3, first 2 shown]
	v_mul_f32_e32 v173, v22, v56
	s_waitcnt vmcnt(32)
	v_mul_f32_e32 v174, v24, v57
	s_waitcnt vmcnt(29)
	v_fmac_f32_e32 v71, v3, v53
	s_waitcnt vmcnt(28)
	v_fmac_f32_e32 v72, v5, v60
	v_fma_f32 v2, v2, v53, -v10
	v_add_f32_e32 v5, 0, v71
	s_waitcnt vmcnt(27)
	v_fmac_f32_e32 v73, v7, v61
	v_fma_f32 v3, v4, v60, -v11
	v_add_f32_e32 v2, 0, v2
	v_add_f32_e32 v5, v5, v72
	s_waitcnt vmcnt(26)
	v_fmac_f32_e32 v74, v9, v62
	v_add_f32_e32 v2, v2, v3
	v_add_f32_e32 v3, v5, v73
	s_waitcnt vmcnt(25)
	v_fmac_f32_e32 v75, v15, v63
	v_add_f32_e32 v3, v3, v74
	s_waitcnt vmcnt(24)
	v_fmac_f32_e32 v76, v17, v64
	;; [unrolled: 3-line block ×5, first 2 shown]
	v_add_f32_e32 v3, v3, v172
	v_mul_f32_e32 v13, v7, v13
	s_waitcnt vmcnt(20)
	v_fmac_f32_e32 v174, v25, v68
	v_add_f32_e32 v3, v3, v173
	v_fma_f32 v4, v6, v61, -v13
	v_add_f32_e32 v53, v3, v174
	v_mul_f32_e32 v3, v9, v48
	v_add_f32_e32 v2, v2, v4
	v_fma_f32 v3, v8, v62, -v3
	v_add_f32_e32 v2, v2, v3
	v_mul_f32_e32 v3, v15, v50
	v_fma_f32 v3, v14, v63, -v3
	v_add_f32_e32 v2, v2, v3
	v_mul_f32_e32 v3, v17, v52
	;; [unrolled: 3-line block ×6, first 2 shown]
	v_fma_f32 v3, v24, v68, -v3
	v_add_f32_e32 v52, v2, v3
	s_waitcnt lgkmcnt(0)
	v_mul_f32_e32 v2, v27, v58
	s_waitcnt vmcnt(19)
	v_fma_f32 v48, v26, v69, -v2
	v_mul_f32_e32 v2, v29, v59
	s_waitcnt vmcnt(18)
	v_fma_f32 v50, v28, v70, -v2
	ds_read2_b64 v[2:5], v12 offset0:87 offset1:88
	ds_read2_b64 v[6:9], v12 offset0:89 offset1:90
	;; [unrolled: 1-line block ×4, first 2 shown]
	v_mul_f32_e32 v49, v26, v58
	s_waitcnt vmcnt(11)
	v_mov_b32_e32 v20, v37
	v_mul_f32_e32 v51, v28, v59
	v_fmac_f32_e32 v49, v27, v69
	s_waitcnt lgkmcnt(3)
	v_pk_mul_f32 v[20:21], v[2:3], v[20:21] op_sel_hi:[1,0]
	v_fmac_f32_e32 v51, v29, v70
	v_pk_add_f32 v[18:19], v[52:53], v[48:49]
	s_waitcnt vmcnt(10)
	v_pk_fma_f32 v[22:23], v[2:3], v[36:37], v[20:21] op_sel:[0,0,1] op_sel_hi:[1,1,0] neg_lo:[0,0,1] neg_hi:[0,0,1]
	v_pk_fma_f32 v[2:3], v[2:3], v[36:37], v[20:21] op_sel:[0,0,1] op_sel_hi:[1,0,0]
	v_pk_add_f32 v[18:19], v[18:19], v[50:51]
	v_mov_b32_e32 v23, v3
	v_pk_add_f32 v[2:3], v[18:19], v[22:23]
	v_mov_b32_e32 v18, v35
	v_pk_mul_f32 v[18:19], v[4:5], v[18:19] op_sel_hi:[1,0]
	v_pk_fma_f32 v[20:21], v[4:5], v[34:35], v[18:19] op_sel:[0,0,1] op_sel_hi:[1,1,0] neg_lo:[0,0,1] neg_hi:[0,0,1]
	v_pk_fma_f32 v[4:5], v[4:5], v[34:35], v[18:19] op_sel:[0,0,1] op_sel_hi:[1,0,0]
	v_mov_b32_e32 v4, v33
	v_mov_b32_e32 v21, v5
	s_waitcnt lgkmcnt(2)
	v_pk_mul_f32 v[4:5], v[6:7], v[4:5] op_sel_hi:[1,0]
	v_pk_fma_f32 v[18:19], v[6:7], v[32:33], v[4:5] op_sel:[0,0,1] op_sel_hi:[1,1,0] neg_lo:[0,0,1] neg_hi:[0,0,1]
	v_pk_fma_f32 v[4:5], v[6:7], v[32:33], v[4:5] op_sel:[0,0,1] op_sel_hi:[1,0,0]
	s_waitcnt vmcnt(3)
	v_mov_b32_e32 v4, v45
	v_mov_b32_e32 v19, v5
	v_pk_mul_f32 v[4:5], v[8:9], v[4:5] op_sel_hi:[1,0]
	s_waitcnt vmcnt(2)
	v_pk_fma_f32 v[6:7], v[8:9], v[44:45], v[4:5] op_sel:[0,0,1] op_sel_hi:[1,1,0] neg_lo:[0,0,1] neg_hi:[0,0,1]
	v_pk_fma_f32 v[4:5], v[8:9], v[44:45], v[4:5] op_sel:[0,0,1] op_sel_hi:[1,0,0]
	v_pk_add_f32 v[2:3], v[2:3], v[20:21]
	v_mov_b32_e32 v4, v43
	v_pk_add_f32 v[2:3], v[2:3], v[18:19]
	v_mov_b32_e32 v7, v5
	s_waitcnt lgkmcnt(1)
	v_pk_mul_f32 v[4:5], v[14:15], v[4:5] op_sel_hi:[1,0]
	v_pk_add_f32 v[2:3], v[2:3], v[6:7]
	v_pk_fma_f32 v[6:7], v[14:15], v[42:43], v[4:5] op_sel:[0,0,1] op_sel_hi:[1,1,0] neg_lo:[0,0,1] neg_hi:[0,0,1]
	v_pk_fma_f32 v[4:5], v[14:15], v[42:43], v[4:5] op_sel:[0,0,1] op_sel_hi:[1,0,0]
	v_mov_b32_e32 v4, v41
	v_mov_b32_e32 v7, v5
	v_pk_mul_f32 v[4:5], v[16:17], v[4:5] op_sel_hi:[1,0]
	v_pk_add_f32 v[2:3], v[2:3], v[6:7]
	v_pk_fma_f32 v[6:7], v[16:17], v[40:41], v[4:5] op_sel:[0,0,1] op_sel_hi:[1,1,0] neg_lo:[0,0,1] neg_hi:[0,0,1]
	v_pk_fma_f32 v[4:5], v[16:17], v[40:41], v[4:5] op_sel:[0,0,1] op_sel_hi:[1,0,0]
	v_mov_b32_e32 v4, v39
	v_mov_b32_e32 v7, v5
	s_waitcnt lgkmcnt(0)
	v_pk_mul_f32 v[4:5], v[10:11], v[4:5] op_sel_hi:[1,0]
	v_pk_add_f32 v[2:3], v[2:3], v[6:7]
	v_pk_fma_f32 v[6:7], v[10:11], v[38:39], v[4:5] op_sel:[0,0,1] op_sel_hi:[1,1,0] neg_lo:[0,0,1] neg_hi:[0,0,1]
	v_pk_fma_f32 v[4:5], v[10:11], v[38:39], v[4:5] op_sel:[0,0,1] op_sel_hi:[1,0,0]
	s_waitcnt vmcnt(1)
	v_mov_b32_e32 v4, v47
	v_mov_b32_e32 v7, v5
	v_pk_mul_f32 v[4:5], v[12:13], v[4:5] op_sel_hi:[1,0]
	v_pk_add_f32 v[2:3], v[2:3], v[6:7]
	s_waitcnt vmcnt(0)
	v_pk_fma_f32 v[6:7], v[12:13], v[46:47], v[4:5] op_sel:[0,0,1] op_sel_hi:[1,1,0] neg_lo:[0,0,1] neg_hi:[0,0,1]
	v_pk_fma_f32 v[4:5], v[12:13], v[46:47], v[4:5] op_sel:[0,0,1] op_sel_hi:[1,0,0]
	v_mov_b32_e32 v7, v5
	v_pk_add_f32 v[2:3], v[2:3], v[6:7]
	v_pk_add_f32 v[2:3], v[30:31], v[2:3] neg_lo:[0,1] neg_hi:[0,1]
	buffer_store_dword v3, off, s[0:3], 0 offset:212
	buffer_store_dword v2, off, s[0:3], 0 offset:208
	s_and_saveexec_b64 s[4:5], vcc
	s_cbranch_execz .LBB110_245
; %bb.244:
	buffer_load_dword v2, off, s[0:3], 0 offset:200
	buffer_load_dword v3, off, s[0:3], 0 offset:204
	v_mov_b32_e32 v4, 0
	buffer_store_dword v4, off, s[0:3], 0 offset:200
	buffer_store_dword v4, off, s[0:3], 0 offset:204
	s_waitcnt vmcnt(2)
	ds_write_b64 v89, v[2:3]
.LBB110_245:
	s_or_b64 exec, exec, s[4:5]
	s_waitcnt lgkmcnt(0)
	; wave barrier
	s_waitcnt lgkmcnt(0)
	buffer_load_dword v3, off, s[0:3], 0 offset:212
	buffer_load_dword v54, off, s[0:3], 0 offset:220
	;; [unrolled: 1-line block ×44, first 2 shown]
	v_mov_b32_e32 v2, 0
	ds_read_b128 v[4:7], v2 offset:592
	ds_read_b128 v[8:11], v2 offset:608
	;; [unrolled: 1-line block ×8, first 2 shown]
	v_cmp_lt_u32_e32 vcc, 24, v0
	s_waitcnt vmcnt(43) lgkmcnt(7)
	v_mul_f32_e32 v59, v4, v3
	v_mul_f32_e32 v3, v5, v3
	s_waitcnt vmcnt(42)
	v_mul_f32_e32 v176, v6, v54
	s_waitcnt vmcnt(41) lgkmcnt(6)
	v_mul_f32_e32 v177, v8, v56
	s_waitcnt vmcnt(40)
	v_mul_f32_e32 v178, v10, v58
	s_waitcnt vmcnt(39) lgkmcnt(5)
	;; [unrolled: 4-line block ×5, first 2 shown]
	v_mul_f32_e32 v185, v24, v66
	s_waitcnt vmcnt(32)
	v_mul_f32_e32 v55, v26, v67
	s_waitcnt vmcnt(30)
	v_fma_f32 v3, v4, v69, -v3
	v_mul_f32_e32 v4, v7, v54
	v_add_f32_e32 v3, 0, v3
	s_waitcnt vmcnt(29)
	v_fma_f32 v4, v6, v70, -v4
	v_add_f32_e32 v3, v3, v4
	v_mul_f32_e32 v4, v9, v56
	s_waitcnt vmcnt(28)
	v_fma_f32 v4, v8, v71, -v4
	v_add_f32_e32 v3, v3, v4
	v_mul_f32_e32 v4, v11, v58
	s_waitcnt vmcnt(27)
	v_fma_f32 v4, v10, v72, -v4
	v_add_f32_e32 v3, v3, v4
	v_mul_f32_e32 v4, v13, v60
	s_waitcnt vmcnt(26)
	v_fma_f32 v4, v12, v73, -v4
	v_add_f32_e32 v3, v3, v4
	v_mul_f32_e32 v4, v15, v61
	s_waitcnt vmcnt(25)
	v_fma_f32 v4, v14, v74, -v4
	v_fmac_f32_e32 v59, v5, v69
	v_add_f32_e32 v3, v3, v4
	v_mul_f32_e32 v4, v17, v62
	v_fmac_f32_e32 v176, v7, v70
	v_add_f32_e32 v5, 0, v59
	s_waitcnt vmcnt(24)
	v_fma_f32 v4, v16, v75, -v4
	v_fmac_f32_e32 v177, v9, v71
	v_add_f32_e32 v5, v5, v176
	v_add_f32_e32 v3, v3, v4
	v_mul_f32_e32 v4, v19, v63
	v_fmac_f32_e32 v178, v11, v72
	v_add_f32_e32 v5, v5, v177
	s_waitcnt vmcnt(23)
	v_fma_f32 v4, v18, v76, -v4
	v_fmac_f32_e32 v179, v13, v73
	v_add_f32_e32 v5, v5, v178
	;; [unrolled: 8-line block ×4, first 2 shown]
	v_add_f32_e32 v3, v3, v4
	v_mul_f32_e32 v4, v25, v66
	v_fmac_f32_e32 v184, v23, v172
	v_add_f32_e32 v5, v5, v183
	s_waitcnt vmcnt(20)
	v_fma_f32 v4, v24, v173, -v4
	s_waitcnt vmcnt(13)
	v_mov_b32_e32 v16, v41
	v_fmac_f32_e32 v185, v25, v173
	v_add_f32_e32 v5, v5, v184
	v_add_f32_e32 v58, v3, v4
	v_mul_f32_e32 v3, v27, v67
	s_waitcnt lgkmcnt(1)
	v_pk_mul_f32 v[16:17], v[30:31], v[16:17] op_sel_hi:[1,0]
	v_mul_f32_e32 v57, v28, v68
	v_fmac_f32_e32 v55, v27, v174
	v_add_f32_e32 v59, v5, v185
	v_fma_f32 v54, v26, v174, -v3
	v_mul_f32_e32 v3, v29, v68
	s_waitcnt vmcnt(12)
	v_pk_fma_f32 v[18:19], v[30:31], v[40:41], v[16:17] op_sel:[0,0,1] op_sel_hi:[1,1,0] neg_lo:[0,0,1] neg_hi:[0,0,1]
	v_pk_fma_f32 v[16:17], v[30:31], v[40:41], v[16:17] op_sel:[0,0,1] op_sel_hi:[1,0,0]
	v_fmac_f32_e32 v57, v29, v175
	v_fma_f32 v56, v28, v175, -v3
	v_pk_add_f32 v[14:15], v[58:59], v[54:55]
	v_mov_b32_e32 v16, v39
	v_pk_add_f32 v[14:15], v[14:15], v[56:57]
	v_mov_b32_e32 v19, v17
	s_waitcnt lgkmcnt(0)
	v_pk_mul_f32 v[16:17], v[32:33], v[16:17] op_sel_hi:[1,0]
	v_pk_add_f32 v[14:15], v[14:15], v[18:19]
	v_pk_fma_f32 v[18:19], v[32:33], v[38:39], v[16:17] op_sel:[0,0,1] op_sel_hi:[1,1,0] neg_lo:[0,0,1] neg_hi:[0,0,1]
	v_pk_fma_f32 v[16:17], v[32:33], v[38:39], v[16:17] op_sel:[0,0,1] op_sel_hi:[1,0,0]
	s_waitcnt vmcnt(5)
	v_mov_b32_e32 v16, v49
	ds_read_b128 v[4:7], v2 offset:720
	ds_read_b128 v[8:11], v2 offset:736
	ds_read_b64 v[12:13], v2 offset:752
	v_mov_b32_e32 v19, v17
	v_pk_mul_f32 v[16:17], v[34:35], v[16:17] op_sel_hi:[1,0]
	v_pk_add_f32 v[14:15], v[14:15], v[18:19]
	s_waitcnt vmcnt(4)
	v_pk_fma_f32 v[18:19], v[34:35], v[48:49], v[16:17] op_sel:[0,0,1] op_sel_hi:[1,1,0] neg_lo:[0,0,1] neg_hi:[0,0,1]
	v_pk_fma_f32 v[16:17], v[34:35], v[48:49], v[16:17] op_sel:[0,0,1] op_sel_hi:[1,0,0]
	v_mov_b32_e32 v16, v47
	v_mov_b32_e32 v19, v17
	s_waitcnt lgkmcnt(2)
	v_pk_mul_f32 v[16:17], v[4:5], v[16:17] op_sel_hi:[1,0]
	v_pk_add_f32 v[14:15], v[14:15], v[18:19]
	v_pk_fma_f32 v[18:19], v[4:5], v[46:47], v[16:17] op_sel:[0,0,1] op_sel_hi:[1,1,0] neg_lo:[0,0,1] neg_hi:[0,0,1]
	v_pk_fma_f32 v[4:5], v[4:5], v[46:47], v[16:17] op_sel:[0,0,1] op_sel_hi:[1,0,0]
	v_mov_b32_e32 v19, v5
	v_pk_add_f32 v[4:5], v[14:15], v[18:19]
	v_mov_b32_e32 v14, v45
	v_pk_mul_f32 v[14:15], v[6:7], v[14:15] op_sel_hi:[1,0]
	v_pk_fma_f32 v[16:17], v[6:7], v[44:45], v[14:15] op_sel:[0,0,1] op_sel_hi:[1,1,0] neg_lo:[0,0,1] neg_hi:[0,0,1]
	v_pk_fma_f32 v[6:7], v[6:7], v[44:45], v[14:15] op_sel:[0,0,1] op_sel_hi:[1,0,0]
	v_mov_b32_e32 v6, v43
	v_mov_b32_e32 v17, v7
	s_waitcnt lgkmcnt(1)
	v_pk_mul_f32 v[6:7], v[8:9], v[6:7] op_sel_hi:[1,0]
	v_pk_fma_f32 v[14:15], v[8:9], v[42:43], v[6:7] op_sel:[0,0,1] op_sel_hi:[1,1,0] neg_lo:[0,0,1] neg_hi:[0,0,1]
	v_pk_fma_f32 v[6:7], v[8:9], v[42:43], v[6:7] op_sel:[0,0,1] op_sel_hi:[1,0,0]
	s_waitcnt vmcnt(1)
	v_mov_b32_e32 v6, v53
	v_mov_b32_e32 v15, v7
	v_pk_mul_f32 v[6:7], v[10:11], v[6:7] op_sel_hi:[1,0]
	s_waitcnt vmcnt(0)
	v_pk_fma_f32 v[8:9], v[10:11], v[52:53], v[6:7] op_sel:[0,0,1] op_sel_hi:[1,1,0] neg_lo:[0,0,1] neg_hi:[0,0,1]
	v_pk_fma_f32 v[6:7], v[10:11], v[52:53], v[6:7] op_sel:[0,0,1] op_sel_hi:[1,0,0]
	v_pk_add_f32 v[4:5], v[4:5], v[16:17]
	v_mov_b32_e32 v6, v51
	v_pk_add_f32 v[4:5], v[4:5], v[14:15]
	v_mov_b32_e32 v9, v7
	s_waitcnt lgkmcnt(0)
	v_pk_mul_f32 v[6:7], v[12:13], v[6:7] op_sel_hi:[1,0]
	v_pk_add_f32 v[4:5], v[4:5], v[8:9]
	v_pk_fma_f32 v[8:9], v[12:13], v[50:51], v[6:7] op_sel:[0,0,1] op_sel_hi:[1,1,0] neg_lo:[0,0,1] neg_hi:[0,0,1]
	v_pk_fma_f32 v[6:7], v[12:13], v[50:51], v[6:7] op_sel:[0,0,1] op_sel_hi:[1,0,0]
	v_mov_b32_e32 v9, v7
	v_pk_add_f32 v[4:5], v[4:5], v[8:9]
	v_pk_add_f32 v[4:5], v[36:37], v[4:5] neg_lo:[0,1] neg_hi:[0,1]
	buffer_store_dword v5, off, s[0:3], 0 offset:204
	buffer_store_dword v4, off, s[0:3], 0 offset:200
	s_and_saveexec_b64 s[4:5], vcc
	s_cbranch_execz .LBB110_247
; %bb.246:
	buffer_load_dword v4, off, s[0:3], 0 offset:192
	buffer_load_dword v5, off, s[0:3], 0 offset:196
	s_waitcnt vmcnt(0)
	ds_write_b64 v89, v[4:5]
	buffer_store_dword v2, off, s[0:3], 0 offset:192
	buffer_store_dword v2, off, s[0:3], 0 offset:196
.LBB110_247:
	s_or_b64 exec, exec, s[4:5]
	s_waitcnt lgkmcnt(0)
	; wave barrier
	s_waitcnt lgkmcnt(0)
	buffer_load_dword v3, off, s[0:3], 0 offset:204
	buffer_load_dword v54, off, s[0:3], 0 offset:212
	;; [unrolled: 1-line block ×30, first 2 shown]
	ds_read2_b64 v[4:7], v2 offset0:73 offset1:74
	ds_read2_b64 v[8:11], v2 offset0:75 offset1:76
	;; [unrolled: 1-line block ×6, first 2 shown]
	buffer_load_dword v39, off, s[0:3], 0 offset:316
	buffer_load_dword v38, off, s[0:3], 0 offset:312
	ds_read2_b64 v[28:31], v2 offset0:85 offset1:86
	ds_read2_b64 v[32:35], v2 offset0:87 offset1:88
	buffer_load_dword v41, off, s[0:3], 0 offset:348
	buffer_load_dword v40, off, s[0:3], 0 offset:344
	;; [unrolled: 1-line block ×14, first 2 shown]
	v_cmp_lt_u32_e32 vcc, 23, v0
	s_waitcnt vmcnt(45) lgkmcnt(7)
	v_mul_f32_e32 v57, v4, v3
	v_mul_f32_e32 v3, v5, v3
	s_waitcnt vmcnt(44)
	v_mul_f32_e32 v59, v6, v54
	s_waitcnt vmcnt(43) lgkmcnt(6)
	v_mul_f32_e32 v178, v8, v56
	s_waitcnt vmcnt(42)
	v_mul_f32_e32 v179, v10, v58
	s_waitcnt vmcnt(41) lgkmcnt(5)
	;; [unrolled: 4-line block ×5, first 2 shown]
	v_mul_f32_e32 v186, v24, v66
	s_waitcnt vmcnt(34)
	v_mul_f32_e32 v187, v26, v67
	s_waitcnt vmcnt(32)
	v_fma_f32 v3, v4, v69, -v3
	v_mul_f32_e32 v4, v7, v54
	v_add_f32_e32 v3, 0, v3
	s_waitcnt vmcnt(31)
	v_fma_f32 v4, v6, v70, -v4
	v_add_f32_e32 v3, v3, v4
	v_mul_f32_e32 v4, v9, v56
	s_waitcnt vmcnt(30)
	v_fma_f32 v4, v8, v71, -v4
	v_add_f32_e32 v3, v3, v4
	v_mul_f32_e32 v4, v11, v58
	;; [unrolled: 4-line block ×5, first 2 shown]
	v_fmac_f32_e32 v57, v5, v69
	s_waitcnt vmcnt(26)
	v_fma_f32 v4, v16, v75, -v4
	v_fmac_f32_e32 v59, v7, v70
	v_add_f32_e32 v57, 0, v57
	v_add_f32_e32 v3, v3, v4
	v_mul_f32_e32 v4, v19, v63
	v_fmac_f32_e32 v178, v9, v71
	v_add_f32_e32 v57, v57, v59
	s_waitcnt vmcnt(25)
	v_fma_f32 v4, v18, v76, -v4
	v_fmac_f32_e32 v179, v11, v72
	v_add_f32_e32 v57, v57, v178
	v_add_f32_e32 v3, v3, v4
	v_mul_f32_e32 v4, v21, v64
	v_fmac_f32_e32 v180, v13, v73
	v_add_f32_e32 v57, v57, v179
	;; [unrolled: 8-line block ×5, first 2 shown]
	s_waitcnt vmcnt(21)
	v_fma_f32 v4, v26, v174, -v4
	s_waitcnt vmcnt(15)
	v_mov_b32_e32 v16, v39
	s_waitcnt lgkmcnt(1)
	v_mul_f32_e32 v55, v28, v68
	v_fmac_f32_e32 v187, v27, v174
	v_add_f32_e32 v57, v57, v186
	v_add_f32_e32 v56, v3, v4
	v_mul_f32_e32 v3, v29, v68
	s_waitcnt lgkmcnt(0)
	v_pk_mul_f32 v[16:17], v[32:33], v[16:17] op_sel_hi:[1,0]
	v_fmac_f32_e32 v55, v29, v175
	v_add_f32_e32 v57, v57, v187
	v_mul_f32_e32 v59, v30, v176
	v_fma_f32 v54, v28, v175, -v3
	v_mul_f32_e32 v3, v31, v176
	s_waitcnt vmcnt(14)
	v_pk_fma_f32 v[18:19], v[32:33], v[38:39], v[16:17] op_sel:[0,0,1] op_sel_hi:[1,1,0] neg_lo:[0,0,1] neg_hi:[0,0,1]
	v_pk_fma_f32 v[16:17], v[32:33], v[38:39], v[16:17] op_sel:[0,0,1] op_sel_hi:[1,0,0]
	v_fmac_f32_e32 v59, v31, v177
	v_fma_f32 v58, v30, v177, -v3
	ds_read2_b64 v[4:7], v2 offset0:89 offset1:90
	ds_read2_b64 v[8:11], v2 offset0:91 offset1:92
	;; [unrolled: 1-line block ×3, first 2 shown]
	v_pk_add_f32 v[2:3], v[56:57], v[54:55]
	s_waitcnt vmcnt(7)
	v_mov_b32_e32 v16, v47
	v_pk_add_f32 v[2:3], v[2:3], v[58:59]
	v_mov_b32_e32 v19, v17
	v_pk_mul_f32 v[16:17], v[34:35], v[16:17] op_sel_hi:[1,0]
	v_pk_add_f32 v[2:3], v[2:3], v[18:19]
	s_waitcnt vmcnt(6)
	v_pk_fma_f32 v[18:19], v[34:35], v[46:47], v[16:17] op_sel:[0,0,1] op_sel_hi:[1,1,0] neg_lo:[0,0,1] neg_hi:[0,0,1]
	v_pk_fma_f32 v[16:17], v[34:35], v[46:47], v[16:17] op_sel:[0,0,1] op_sel_hi:[1,0,0]
	v_mov_b32_e32 v16, v45
	v_mov_b32_e32 v19, v17
	s_waitcnt lgkmcnt(2)
	v_pk_mul_f32 v[16:17], v[4:5], v[16:17] op_sel_hi:[1,0]
	v_pk_add_f32 v[2:3], v[2:3], v[18:19]
	v_pk_fma_f32 v[18:19], v[4:5], v[44:45], v[16:17] op_sel:[0,0,1] op_sel_hi:[1,1,0] neg_lo:[0,0,1] neg_hi:[0,0,1]
	v_pk_fma_f32 v[4:5], v[4:5], v[44:45], v[16:17] op_sel:[0,0,1] op_sel_hi:[1,0,0]
	v_mov_b32_e32 v4, v43
	v_mov_b32_e32 v19, v5
	v_pk_mul_f32 v[4:5], v[6:7], v[4:5] op_sel_hi:[1,0]
	v_pk_fma_f32 v[16:17], v[6:7], v[42:43], v[4:5] op_sel:[0,0,1] op_sel_hi:[1,1,0] neg_lo:[0,0,1] neg_hi:[0,0,1]
	v_pk_fma_f32 v[4:5], v[6:7], v[42:43], v[4:5] op_sel:[0,0,1] op_sel_hi:[1,0,0]
	v_mov_b32_e32 v4, v41
	v_mov_b32_e32 v17, v5
	s_waitcnt lgkmcnt(1)
	v_pk_mul_f32 v[4:5], v[8:9], v[4:5] op_sel_hi:[1,0]
	v_pk_fma_f32 v[6:7], v[8:9], v[40:41], v[4:5] op_sel:[0,0,1] op_sel_hi:[1,1,0] neg_lo:[0,0,1] neg_hi:[0,0,1]
	v_pk_fma_f32 v[4:5], v[8:9], v[40:41], v[4:5] op_sel:[0,0,1] op_sel_hi:[1,0,0]
	v_pk_add_f32 v[2:3], v[2:3], v[18:19]
	s_waitcnt vmcnt(1)
	v_mov_b32_e32 v4, v53
	v_pk_add_f32 v[2:3], v[2:3], v[16:17]
	v_mov_b32_e32 v7, v5
	v_pk_mul_f32 v[4:5], v[10:11], v[4:5] op_sel_hi:[1,0]
	v_pk_add_f32 v[2:3], v[2:3], v[6:7]
	s_waitcnt vmcnt(0)
	v_pk_fma_f32 v[6:7], v[10:11], v[52:53], v[4:5] op_sel:[0,0,1] op_sel_hi:[1,1,0] neg_lo:[0,0,1] neg_hi:[0,0,1]
	v_pk_fma_f32 v[4:5], v[10:11], v[52:53], v[4:5] op_sel:[0,0,1] op_sel_hi:[1,0,0]
	v_mov_b32_e32 v4, v51
	v_mov_b32_e32 v7, v5
	s_waitcnt lgkmcnt(0)
	v_pk_mul_f32 v[4:5], v[12:13], v[4:5] op_sel_hi:[1,0]
	v_pk_add_f32 v[2:3], v[2:3], v[6:7]
	v_pk_fma_f32 v[6:7], v[12:13], v[50:51], v[4:5] op_sel:[0,0,1] op_sel_hi:[1,1,0] neg_lo:[0,0,1] neg_hi:[0,0,1]
	v_pk_fma_f32 v[4:5], v[12:13], v[50:51], v[4:5] op_sel:[0,0,1] op_sel_hi:[1,0,0]
	v_mov_b32_e32 v4, v49
	v_mov_b32_e32 v7, v5
	v_pk_mul_f32 v[4:5], v[14:15], v[4:5] op_sel_hi:[1,0]
	v_pk_add_f32 v[2:3], v[2:3], v[6:7]
	v_pk_fma_f32 v[6:7], v[14:15], v[48:49], v[4:5] op_sel:[0,0,1] op_sel_hi:[1,1,0] neg_lo:[0,0,1] neg_hi:[0,0,1]
	v_pk_fma_f32 v[4:5], v[14:15], v[48:49], v[4:5] op_sel:[0,0,1] op_sel_hi:[1,0,0]
	v_mov_b32_e32 v7, v5
	v_pk_add_f32 v[2:3], v[2:3], v[6:7]
	v_pk_add_f32 v[2:3], v[36:37], v[2:3] neg_lo:[0,1] neg_hi:[0,1]
	buffer_store_dword v3, off, s[0:3], 0 offset:196
	buffer_store_dword v2, off, s[0:3], 0 offset:192
	s_and_saveexec_b64 s[4:5], vcc
	s_cbranch_execz .LBB110_249
; %bb.248:
	buffer_load_dword v2, off, s[0:3], 0 offset:184
	buffer_load_dword v3, off, s[0:3], 0 offset:188
	v_mov_b32_e32 v4, 0
	buffer_store_dword v4, off, s[0:3], 0 offset:184
	buffer_store_dword v4, off, s[0:3], 0 offset:188
	s_waitcnt vmcnt(2)
	ds_write_b64 v89, v[2:3]
.LBB110_249:
	s_or_b64 exec, exec, s[4:5]
	s_waitcnt lgkmcnt(0)
	; wave barrier
	s_waitcnt lgkmcnt(0)
	buffer_load_dword v3, off, s[0:3], 0 offset:196
	buffer_load_dword v52, off, s[0:3], 0 offset:204
	;; [unrolled: 1-line block ×32, first 2 shown]
	v_mov_b32_e32 v2, 0
	buffer_load_dword v39, off, s[0:3], 0 offset:340
	buffer_load_dword v38, off, s[0:3], 0 offset:336
	;; [unrolled: 1-line block ×13, first 2 shown]
	ds_read_b128 v[4:7], v2 offset:576
	ds_read_b128 v[8:11], v2 offset:592
	ds_read_b128 v[12:15], v2 offset:608
	ds_read_b128 v[16:19], v2 offset:624
	ds_read_b128 v[20:23], v2 offset:640
	ds_read_b128 v[24:27], v2 offset:656
	ds_read_b128 v[28:31], v2 offset:672
	ds_read_b128 v[32:35], v2 offset:688
	v_cmp_lt_u32_e32 vcc, 22, v0
	s_waitcnt vmcnt(44) lgkmcnt(7)
	v_mul_f32_e32 v46, v4, v3
	s_waitcnt vmcnt(43)
	v_mul_f32_e32 v53, v6, v52
	s_waitcnt vmcnt(42) lgkmcnt(6)
	v_mul_f32_e32 v54, v8, v56
	s_waitcnt vmcnt(41)
	v_mul_f32_e32 v55, v10, v58
	;; [unrolled: 4-line block ×6, first 2 shown]
	s_waitcnt vmcnt(32) lgkmcnt(1)
	v_mul_f32_e32 v186, v28, v68
	s_waitcnt vmcnt(31)
	v_fmac_f32_e32 v46, v5, v69
	s_waitcnt vmcnt(30)
	v_fmac_f32_e32 v53, v7, v70
	v_add_f32_e32 v46, 0, v46
	s_waitcnt vmcnt(29)
	v_fmac_f32_e32 v54, v9, v71
	v_add_f32_e32 v46, v46, v53
	;; [unrolled: 3-line block ×12, first 2 shown]
	v_add_f32_e32 v53, v46, v186
	buffer_load_dword v55, off, s[0:3], 0 offset:356
	buffer_load_dword v54, off, s[0:3], 0 offset:352
	;; [unrolled: 1-line block ×3, first 2 shown]
	v_mul_f32_e32 v3, v5, v3
	v_fma_f32 v3, v4, v69, -v3
	v_mul_f32_e32 v4, v7, v52
	v_add_f32_e32 v3, 0, v3
	v_fma_f32 v4, v6, v70, -v4
	v_add_f32_e32 v3, v3, v4
	v_mul_f32_e32 v4, v9, v56
	v_fma_f32 v4, v8, v71, -v4
	v_add_f32_e32 v3, v3, v4
	v_mul_f32_e32 v4, v11, v58
	;; [unrolled: 3-line block ×11, first 2 shown]
	v_fma_f32 v4, v28, v175, -v4
	s_waitcnt vmcnt(9)
	v_mov_b32_e32 v20, v45
	v_mul_f32_e32 v57, v30, v176
	v_add_f32_e32 v52, v3, v4
	v_mul_f32_e32 v3, v31, v176
	s_waitcnt lgkmcnt(0)
	v_pk_mul_f32 v[20:21], v[34:35], v[20:21] op_sel_hi:[1,0]
	v_fmac_f32_e32 v57, v31, v177
	v_mul_f32_e32 v59, v32, v178
	v_fma_f32 v56, v30, v177, -v3
	v_mul_f32_e32 v3, v33, v178
	ds_read_b128 v[4:7], v2 offset:704
	ds_read_b128 v[8:11], v2 offset:720
	;; [unrolled: 1-line block ×3, first 2 shown]
	ds_read_b64 v[16:17], v2 offset:752
	s_waitcnt vmcnt(8)
	v_pk_fma_f32 v[22:23], v[34:35], v[44:45], v[20:21] op_sel:[0,0,1] op_sel_hi:[1,1,0] neg_lo:[0,0,1] neg_hi:[0,0,1]
	v_pk_fma_f32 v[20:21], v[34:35], v[44:45], v[20:21] op_sel:[0,0,1] op_sel_hi:[1,0,0]
	v_fmac_f32_e32 v59, v33, v179
	v_fma_f32 v58, v32, v179, -v3
	v_pk_add_f32 v[18:19], v[52:53], v[56:57]
	v_mov_b32_e32 v20, v43
	v_pk_add_f32 v[18:19], v[18:19], v[58:59]
	v_mov_b32_e32 v23, v21
	s_waitcnt lgkmcnt(3)
	v_pk_mul_f32 v[20:21], v[4:5], v[20:21] op_sel_hi:[1,0]
	v_pk_add_f32 v[18:19], v[18:19], v[22:23]
	v_pk_fma_f32 v[22:23], v[4:5], v[42:43], v[20:21] op_sel:[0,0,1] op_sel_hi:[1,1,0] neg_lo:[0,0,1] neg_hi:[0,0,1]
	v_pk_fma_f32 v[4:5], v[4:5], v[42:43], v[20:21] op_sel:[0,0,1] op_sel_hi:[1,0,0]
	v_mov_b32_e32 v23, v5
	v_pk_add_f32 v[4:5], v[18:19], v[22:23]
	v_mov_b32_e32 v18, v41
	v_pk_mul_f32 v[18:19], v[6:7], v[18:19] op_sel_hi:[1,0]
	v_pk_fma_f32 v[20:21], v[6:7], v[40:41], v[18:19] op_sel:[0,0,1] op_sel_hi:[1,1,0] neg_lo:[0,0,1] neg_hi:[0,0,1]
	v_pk_fma_f32 v[6:7], v[6:7], v[40:41], v[18:19] op_sel:[0,0,1] op_sel_hi:[1,0,0]
	v_mov_b32_e32 v6, v39
	v_mov_b32_e32 v21, v7
	s_waitcnt lgkmcnt(2)
	v_pk_mul_f32 v[6:7], v[8:9], v[6:7] op_sel_hi:[1,0]
	v_pk_fma_f32 v[18:19], v[8:9], v[38:39], v[6:7] op_sel:[0,0,1] op_sel_hi:[1,1,0] neg_lo:[0,0,1] neg_hi:[0,0,1]
	v_pk_fma_f32 v[6:7], v[8:9], v[38:39], v[6:7] op_sel:[0,0,1] op_sel_hi:[1,0,0]
	s_waitcnt vmcnt(7)
	v_mov_b32_e32 v6, v47
	v_mov_b32_e32 v19, v7
	v_pk_mul_f32 v[6:7], v[10:11], v[6:7] op_sel_hi:[1,0]
	v_pk_add_f32 v[4:5], v[4:5], v[20:21]
	v_pk_add_f32 v[4:5], v[4:5], v[18:19]
	s_waitcnt vmcnt(0)
	v_pk_fma_f32 v[8:9], v[10:11], v[46:47], v[6:7] op_sel:[0,0,1] op_sel_hi:[1,1,0] neg_lo:[0,0,1] neg_hi:[0,0,1]
	v_pk_fma_f32 v[6:7], v[10:11], v[46:47], v[6:7] op_sel:[0,0,1] op_sel_hi:[1,0,0]
	v_mov_b32_e32 v6, v55
	v_mov_b32_e32 v9, v7
	s_waitcnt lgkmcnt(1)
	v_pk_mul_f32 v[6:7], v[12:13], v[6:7] op_sel_hi:[1,0]
	v_pk_add_f32 v[4:5], v[4:5], v[8:9]
	v_pk_fma_f32 v[8:9], v[12:13], v[54:55], v[6:7] op_sel:[0,0,1] op_sel_hi:[1,1,0] neg_lo:[0,0,1] neg_hi:[0,0,1]
	v_pk_fma_f32 v[6:7], v[12:13], v[54:55], v[6:7] op_sel:[0,0,1] op_sel_hi:[1,0,0]
	v_mov_b32_e32 v6, v51
	v_mov_b32_e32 v9, v7
	v_pk_mul_f32 v[6:7], v[14:15], v[6:7] op_sel_hi:[1,0]
	v_pk_add_f32 v[4:5], v[4:5], v[8:9]
	v_pk_fma_f32 v[8:9], v[14:15], v[50:51], v[6:7] op_sel:[0,0,1] op_sel_hi:[1,1,0] neg_lo:[0,0,1] neg_hi:[0,0,1]
	v_pk_fma_f32 v[6:7], v[14:15], v[50:51], v[6:7] op_sel:[0,0,1] op_sel_hi:[1,0,0]
	v_mov_b32_e32 v6, v49
	v_mov_b32_e32 v9, v7
	s_waitcnt lgkmcnt(0)
	v_pk_mul_f32 v[6:7], v[16:17], v[6:7] op_sel_hi:[1,0]
	v_pk_add_f32 v[4:5], v[4:5], v[8:9]
	v_pk_fma_f32 v[8:9], v[16:17], v[48:49], v[6:7] op_sel:[0,0,1] op_sel_hi:[1,1,0] neg_lo:[0,0,1] neg_hi:[0,0,1]
	v_pk_fma_f32 v[6:7], v[16:17], v[48:49], v[6:7] op_sel:[0,0,1] op_sel_hi:[1,0,0]
	v_mov_b32_e32 v9, v7
	v_pk_add_f32 v[4:5], v[4:5], v[8:9]
	v_pk_add_f32 v[4:5], v[36:37], v[4:5] neg_lo:[0,1] neg_hi:[0,1]
	buffer_store_dword v5, off, s[0:3], 0 offset:188
	buffer_store_dword v4, off, s[0:3], 0 offset:184
	s_and_saveexec_b64 s[4:5], vcc
	s_cbranch_execz .LBB110_251
; %bb.250:
	buffer_load_dword v4, off, s[0:3], 0 offset:176
	buffer_load_dword v5, off, s[0:3], 0 offset:180
	s_waitcnt vmcnt(0)
	ds_write_b64 v89, v[4:5]
	buffer_store_dword v2, off, s[0:3], 0 offset:176
	buffer_store_dword v2, off, s[0:3], 0 offset:180
.LBB110_251:
	s_or_b64 exec, exec, s[4:5]
	s_waitcnt lgkmcnt(0)
	; wave barrier
	s_waitcnt lgkmcnt(0)
	buffer_load_dword v3, off, s[0:3], 0 offset:188
	buffer_load_dword v52, off, s[0:3], 0 offset:196
	;; [unrolled: 1-line block ×34, first 2 shown]
	ds_read2_b64 v[4:7], v2 offset0:71 offset1:72
	ds_read2_b64 v[8:11], v2 offset0:73 offset1:74
	;; [unrolled: 1-line block ×8, first 2 shown]
	buffer_load_dword v39, off, s[0:3], 0 offset:332
	buffer_load_dword v38, off, s[0:3], 0 offset:328
	;; [unrolled: 1-line block ×9, first 2 shown]
	v_cmp_lt_u32_e32 vcc, 21, v0
	s_waitcnt vmcnt(42) lgkmcnt(7)
	v_mul_f32_e32 v44, v4, v3
	s_waitcnt vmcnt(41)
	v_mul_f32_e32 v48, v6, v52
	s_waitcnt vmcnt(40) lgkmcnt(6)
	v_mul_f32_e32 v49, v8, v54
	s_waitcnt vmcnt(39)
	v_mul_f32_e32 v50, v10, v56
	s_waitcnt vmcnt(38) lgkmcnt(5)
	v_mul_f32_e32 v51, v12, v60
	s_waitcnt vmcnt(37)
	v_mul_f32_e32 v53, v14, v61
	s_waitcnt vmcnt(36) lgkmcnt(4)
	v_mul_f32_e32 v55, v16, v62
	s_waitcnt vmcnt(35)
	v_mul_f32_e32 v57, v18, v63
	s_waitcnt vmcnt(34) lgkmcnt(3)
	v_mul_f32_e32 v58, v20, v64
	s_waitcnt vmcnt(33)
	v_mul_f32_e32 v59, v22, v65
	s_waitcnt vmcnt(32) lgkmcnt(2)
	v_mul_f32_e32 v182, v24, v66
	s_waitcnt vmcnt(31)
	v_mul_f32_e32 v183, v26, v67
	s_waitcnt vmcnt(30) lgkmcnt(1)
	v_mul_f32_e32 v184, v28, v68
	v_mul_f32_e32 v3, v5, v3
	s_waitcnt vmcnt(28)
	v_fmac_f32_e32 v44, v5, v70
	s_waitcnt vmcnt(27)
	v_fmac_f32_e32 v48, v7, v71
	v_add_f32_e32 v44, 0, v44
	s_waitcnt vmcnt(26)
	v_fmac_f32_e32 v49, v9, v72
	v_add_f32_e32 v44, v44, v48
	;; [unrolled: 3-line block ×12, first 2 shown]
	v_add_f32_e32 v53, v44, v184
	buffer_load_dword v49, off, s[0:3], 0 offset:356
	buffer_load_dword v48, off, s[0:3], 0 offset:352
	;; [unrolled: 1-line block ×7, first 2 shown]
	v_fma_f32 v3, v4, v70, -v3
	v_mul_f32_e32 v4, v7, v52
	v_add_f32_e32 v3, 0, v3
	v_fma_f32 v4, v6, v71, -v4
	v_add_f32_e32 v3, v3, v4
	v_mul_f32_e32 v4, v9, v54
	v_fma_f32 v4, v8, v72, -v4
	v_add_f32_e32 v3, v3, v4
	v_mul_f32_e32 v4, v11, v56
	v_fma_f32 v4, v10, v73, -v4
	v_add_f32_e32 v3, v3, v4
	v_mul_f32_e32 v4, v13, v60
	v_fma_f32 v4, v12, v74, -v4
	v_add_f32_e32 v3, v3, v4
	v_mul_f32_e32 v4, v15, v61
	v_fma_f32 v4, v14, v75, -v4
	v_add_f32_e32 v3, v3, v4
	v_mul_f32_e32 v4, v17, v62
	v_fma_f32 v4, v16, v76, -v4
	v_add_f32_e32 v3, v3, v4
	v_mul_f32_e32 v4, v19, v63
	v_fma_f32 v4, v18, v77, -v4
	v_add_f32_e32 v3, v3, v4
	v_mul_f32_e32 v4, v21, v64
	v_fma_f32 v4, v20, v172, -v4
	v_add_f32_e32 v3, v3, v4
	v_mul_f32_e32 v4, v23, v65
	v_fma_f32 v4, v22, v173, -v4
	v_add_f32_e32 v3, v3, v4
	v_mul_f32_e32 v4, v25, v66
	v_fma_f32 v4, v24, v174, -v4
	v_add_f32_e32 v3, v3, v4
	v_mul_f32_e32 v4, v27, v67
	v_fma_f32 v4, v26, v175, -v4
	v_add_f32_e32 v3, v3, v4
	v_mul_f32_e32 v4, v29, v68
	v_fma_f32 v4, v28, v176, -v4
	v_add_f32_e32 v3, v3, v4
	v_mul_f32_e32 v4, v31, v69
	s_waitcnt vmcnt(22)
	v_fma_f32 v4, v30, v177, -v4
	v_add_f32_e32 v52, v3, v4
	ds_read2_b64 v[4:7], v2 offset0:87 offset1:88
	ds_read2_b64 v[8:11], v2 offset0:89 offset1:90
	;; [unrolled: 1-line block ×4, first 2 shown]
	s_waitcnt vmcnt(11)
	v_mov_b32_e32 v20, v43
	s_waitcnt lgkmcnt(3)
	v_pk_mul_f32 v[20:21], v[4:5], v[20:21] op_sel_hi:[1,0]
	s_waitcnt vmcnt(10)
	v_pk_fma_f32 v[22:23], v[4:5], v[42:43], v[20:21] op_sel:[0,0,1] op_sel_hi:[1,1,0] neg_lo:[0,0,1] neg_hi:[0,0,1]
	v_pk_fma_f32 v[4:5], v[4:5], v[42:43], v[20:21] op_sel:[0,0,1] op_sel_hi:[1,0,0]
	v_mov_b32_e32 v4, v41
	v_mul_f32_e32 v185, v30, v69
	v_mov_b32_e32 v23, v5
	v_pk_mul_f32 v[4:5], v[6:7], v[4:5] op_sel_hi:[1,0]
	v_fmac_f32_e32 v185, v31, v177
	v_mul_f32_e32 v55, v32, v178
	v_mul_f32_e32 v3, v33, v178
	v_pk_fma_f32 v[20:21], v[6:7], v[40:41], v[4:5] op_sel:[0,0,1] op_sel_hi:[1,1,0] neg_lo:[0,0,1] neg_hi:[0,0,1]
	v_pk_fma_f32 v[4:5], v[6:7], v[40:41], v[4:5] op_sel:[0,0,1] op_sel_hi:[1,0,0]
	v_add_f32_e32 v53, v53, v185
	v_fmac_f32_e32 v55, v33, v179
	v_mul_f32_e32 v57, v34, v180
	v_fma_f32 v54, v32, v179, -v3
	v_mul_f32_e32 v3, v35, v180
	v_mov_b32_e32 v4, v39
	v_fmac_f32_e32 v57, v35, v181
	v_fma_f32 v56, v34, v181, -v3
	v_pk_add_f32 v[2:3], v[52:53], v[54:55]
	v_mov_b32_e32 v21, v5
	s_waitcnt lgkmcnt(2)
	v_pk_mul_f32 v[4:5], v[8:9], v[4:5] op_sel_hi:[1,0]
	v_pk_add_f32 v[2:3], v[2:3], v[56:57]
	v_pk_fma_f32 v[6:7], v[8:9], v[38:39], v[4:5] op_sel:[0,0,1] op_sel_hi:[1,1,0] neg_lo:[0,0,1] neg_hi:[0,0,1]
	v_pk_fma_f32 v[4:5], v[8:9], v[38:39], v[4:5] op_sel:[0,0,1] op_sel_hi:[1,0,0]
	v_pk_add_f32 v[2:3], v[2:3], v[22:23]
	s_waitcnt vmcnt(9)
	v_mov_b32_e32 v4, v45
	v_pk_add_f32 v[2:3], v[2:3], v[20:21]
	v_mov_b32_e32 v7, v5
	v_pk_mul_f32 v[4:5], v[10:11], v[4:5] op_sel_hi:[1,0]
	v_pk_add_f32 v[2:3], v[2:3], v[6:7]
	s_waitcnt vmcnt(2)
	v_pk_fma_f32 v[6:7], v[10:11], v[44:45], v[4:5] op_sel:[0,0,1] op_sel_hi:[1,1,0] neg_lo:[0,0,1] neg_hi:[0,0,1]
	v_pk_fma_f32 v[4:5], v[10:11], v[44:45], v[4:5] op_sel:[0,0,1] op_sel_hi:[1,0,0]
	v_mov_b32_e32 v4, v51
	v_mov_b32_e32 v7, v5
	s_waitcnt lgkmcnt(1)
	v_pk_mul_f32 v[4:5], v[12:13], v[4:5] op_sel_hi:[1,0]
	v_pk_add_f32 v[2:3], v[2:3], v[6:7]
	v_pk_fma_f32 v[6:7], v[12:13], v[50:51], v[4:5] op_sel:[0,0,1] op_sel_hi:[1,1,0] neg_lo:[0,0,1] neg_hi:[0,0,1]
	v_pk_fma_f32 v[4:5], v[12:13], v[50:51], v[4:5] op_sel:[0,0,1] op_sel_hi:[1,0,0]
	v_mov_b32_e32 v4, v49
	v_mov_b32_e32 v7, v5
	v_pk_mul_f32 v[4:5], v[14:15], v[4:5] op_sel_hi:[1,0]
	v_pk_add_f32 v[2:3], v[2:3], v[6:7]
	v_pk_fma_f32 v[6:7], v[14:15], v[48:49], v[4:5] op_sel:[0,0,1] op_sel_hi:[1,1,0] neg_lo:[0,0,1] neg_hi:[0,0,1]
	v_pk_fma_f32 v[4:5], v[14:15], v[48:49], v[4:5] op_sel:[0,0,1] op_sel_hi:[1,0,0]
	v_mov_b32_e32 v4, v47
	v_mov_b32_e32 v7, v5
	s_waitcnt lgkmcnt(0)
	v_pk_mul_f32 v[4:5], v[16:17], v[4:5] op_sel_hi:[1,0]
	v_pk_add_f32 v[2:3], v[2:3], v[6:7]
	v_pk_fma_f32 v[6:7], v[16:17], v[46:47], v[4:5] op_sel:[0,0,1] op_sel_hi:[1,1,0] neg_lo:[0,0,1] neg_hi:[0,0,1]
	v_pk_fma_f32 v[4:5], v[16:17], v[46:47], v[4:5] op_sel:[0,0,1] op_sel_hi:[1,0,0]
	s_waitcnt vmcnt(1)
	v_mov_b32_e32 v4, v59
	v_mov_b32_e32 v7, v5
	v_pk_mul_f32 v[4:5], v[18:19], v[4:5] op_sel_hi:[1,0]
	v_pk_add_f32 v[2:3], v[2:3], v[6:7]
	s_waitcnt vmcnt(0)
	v_pk_fma_f32 v[6:7], v[18:19], v[58:59], v[4:5] op_sel:[0,0,1] op_sel_hi:[1,1,0] neg_lo:[0,0,1] neg_hi:[0,0,1]
	v_pk_fma_f32 v[4:5], v[18:19], v[58:59], v[4:5] op_sel:[0,0,1] op_sel_hi:[1,0,0]
	v_mov_b32_e32 v7, v5
	v_pk_add_f32 v[2:3], v[2:3], v[6:7]
	v_pk_add_f32 v[2:3], v[36:37], v[2:3] neg_lo:[0,1] neg_hi:[0,1]
	buffer_store_dword v3, off, s[0:3], 0 offset:180
	buffer_store_dword v2, off, s[0:3], 0 offset:176
	s_and_saveexec_b64 s[4:5], vcc
	s_cbranch_execz .LBB110_253
; %bb.252:
	buffer_load_dword v2, off, s[0:3], 0 offset:168
	buffer_load_dword v3, off, s[0:3], 0 offset:172
	v_mov_b32_e32 v4, 0
	buffer_store_dword v4, off, s[0:3], 0 offset:168
	buffer_store_dword v4, off, s[0:3], 0 offset:172
	s_waitcnt vmcnt(2)
	ds_write_b64 v89, v[2:3]
.LBB110_253:
	s_or_b64 exec, exec, s[4:5]
	s_waitcnt lgkmcnt(0)
	; wave barrier
	s_waitcnt lgkmcnt(0)
	buffer_load_dword v5, off, s[0:3], 0 offset:180
	buffer_load_dword v58, off, s[0:3], 0 offset:188
	;; [unrolled: 1-line block ×36, first 2 shown]
	v_mov_b32_e32 v4, 0
	buffer_load_dword v47, off, s[0:3], 0 offset:324
	buffer_load_dword v46, off, s[0:3], 0 offset:320
	;; [unrolled: 1-line block ×5, first 2 shown]
	ds_read_b128 v[6:9], v4 offset:560
	ds_read_b128 v[10:13], v4 offset:576
	;; [unrolled: 1-line block ×8, first 2 shown]
	v_cmp_lt_u32_e32 vcc, 20, v0
	s_waitcnt vmcnt(40) lgkmcnt(7)
	v_mul_f32_e32 v38, v6, v5
	s_waitcnt vmcnt(39)
	v_mul_f32_e32 v39, v8, v58
	s_waitcnt vmcnt(38) lgkmcnt(6)
	v_mul_f32_e32 v40, v10, v60
	s_waitcnt vmcnt(37)
	v_mul_f32_e32 v41, v12, v62
	;; [unrolled: 4-line block ×7, first 2 shown]
	s_waitcnt vmcnt(26) lgkmcnt(0)
	v_mul_f32_e32 v59, v34, v172
	s_waitcnt vmcnt(25)
	v_fmac_f32_e32 v38, v7, v173
	s_waitcnt vmcnt(24)
	v_fmac_f32_e32 v39, v9, v174
	v_add_f32_e32 v38, 0, v38
	s_waitcnt vmcnt(23)
	v_fmac_f32_e32 v40, v11, v175
	v_add_f32_e32 v38, v38, v39
	;; [unrolled: 3-line block ×13, first 2 shown]
	v_add_f32_e32 v42, v38, v56
	buffer_load_dword v53, off, s[0:3], 0 offset:356
	buffer_load_dword v52, off, s[0:3], 0 offset:352
	;; [unrolled: 1-line block ×7, first 2 shown]
	s_waitcnt vmcnt(18)
	v_fmac_f32_e32 v59, v35, v187
	ds_read_b128 v[38:41], v4 offset:688
	v_add_f32_e32 v59, v42, v59
	ds_read_b128 v[42:45], v4 offset:704
	buffer_load_dword v65, off, s[0:3], 0 offset:372
	buffer_load_dword v64, off, s[0:3], 0 offset:368
	;; [unrolled: 1-line block ×4, first 2 shown]
	v_mul_f32_e32 v5, v7, v5
	v_fma_f32 v5, v6, v173, -v5
	v_mul_f32_e32 v6, v9, v58
	v_add_f32_e32 v5, 0, v5
	v_fma_f32 v6, v8, v174, -v6
	v_add_f32_e32 v5, v5, v6
	v_mul_f32_e32 v6, v11, v60
	v_fma_f32 v6, v10, v175, -v6
	v_add_f32_e32 v5, v5, v6
	v_mul_f32_e32 v6, v13, v62
	;; [unrolled: 3-line block ×13, first 2 shown]
	v_fma_f32 v6, v34, v187, -v6
	s_waitcnt vmcnt(13)
	v_mov_b32_e32 v18, v49
	v_mul_f32_e32 v61, v36, v188
	v_add_f32_e32 v58, v5, v6
	v_mul_f32_e32 v5, v37, v188
	s_waitcnt lgkmcnt(1)
	v_pk_mul_f32 v[18:19], v[40:41], v[18:19] op_sel_hi:[1,0]
	v_fmac_f32_e32 v61, v37, v189
	v_mul_f32_e32 v63, v38, v190
	v_fma_f32 v60, v36, v189, -v5
	v_mul_f32_e32 v5, v39, v190
	s_waitcnt vmcnt(12)
	v_pk_fma_f32 v[20:21], v[40:41], v[48:49], v[18:19] op_sel:[0,0,1] op_sel_hi:[1,1,0] neg_lo:[0,0,1] neg_hi:[0,0,1]
	v_pk_fma_f32 v[18:19], v[40:41], v[48:49], v[18:19] op_sel:[0,0,1] op_sel_hi:[1,0,0]
	v_fmac_f32_e32 v63, v39, v191
	v_fma_f32 v62, v38, v191, -v5
	v_pk_add_f32 v[16:17], v[58:59], v[60:61]
	v_mov_b32_e32 v18, v47
	v_pk_add_f32 v[16:17], v[16:17], v[62:63]
	v_mov_b32_e32 v21, v19
	s_waitcnt lgkmcnt(0)
	v_pk_mul_f32 v[18:19], v[42:43], v[18:19] op_sel_hi:[1,0]
	v_pk_add_f32 v[16:17], v[16:17], v[20:21]
	v_pk_fma_f32 v[20:21], v[42:43], v[46:47], v[18:19] op_sel:[0,0,1] op_sel_hi:[1,1,0] neg_lo:[0,0,1] neg_hi:[0,0,1]
	v_pk_fma_f32 v[18:19], v[42:43], v[46:47], v[18:19] op_sel:[0,0,1] op_sel_hi:[1,0,0]
	s_waitcnt vmcnt(11)
	v_mov_b32_e32 v18, v51
	ds_read_b128 v[6:9], v4 offset:720
	ds_read_b128 v[10:13], v4 offset:736
	ds_read_b64 v[14:15], v4 offset:752
	v_mov_b32_e32 v21, v19
	v_pk_mul_f32 v[18:19], v[44:45], v[18:19] op_sel_hi:[1,0]
	v_pk_add_f32 v[16:17], v[16:17], v[20:21]
	s_waitcnt vmcnt(4)
	v_pk_fma_f32 v[20:21], v[44:45], v[50:51], v[18:19] op_sel:[0,0,1] op_sel_hi:[1,1,0] neg_lo:[0,0,1] neg_hi:[0,0,1]
	v_pk_fma_f32 v[18:19], v[44:45], v[50:51], v[18:19] op_sel:[0,0,1] op_sel_hi:[1,0,0]
	v_mov_b32_e32 v18, v57
	v_mov_b32_e32 v21, v19
	s_waitcnt lgkmcnt(2)
	v_pk_mul_f32 v[18:19], v[6:7], v[18:19] op_sel_hi:[1,0]
	v_pk_add_f32 v[16:17], v[16:17], v[20:21]
	v_pk_fma_f32 v[20:21], v[6:7], v[56:57], v[18:19] op_sel:[0,0,1] op_sel_hi:[1,1,0] neg_lo:[0,0,1] neg_hi:[0,0,1]
	v_pk_fma_f32 v[6:7], v[6:7], v[56:57], v[18:19] op_sel:[0,0,1] op_sel_hi:[1,0,0]
	v_mov_b32_e32 v21, v7
	v_pk_add_f32 v[6:7], v[16:17], v[20:21]
	v_mov_b32_e32 v16, v55
	v_pk_mul_f32 v[16:17], v[8:9], v[16:17] op_sel_hi:[1,0]
	v_pk_fma_f32 v[18:19], v[8:9], v[54:55], v[16:17] op_sel:[0,0,1] op_sel_hi:[1,1,0] neg_lo:[0,0,1] neg_hi:[0,0,1]
	v_pk_fma_f32 v[8:9], v[8:9], v[54:55], v[16:17] op_sel:[0,0,1] op_sel_hi:[1,0,0]
	v_mov_b32_e32 v8, v53
	v_mov_b32_e32 v19, v9
	s_waitcnt lgkmcnt(1)
	v_pk_mul_f32 v[8:9], v[10:11], v[8:9] op_sel_hi:[1,0]
	v_pk_fma_f32 v[16:17], v[10:11], v[52:53], v[8:9] op_sel:[0,0,1] op_sel_hi:[1,1,0] neg_lo:[0,0,1] neg_hi:[0,0,1]
	v_pk_fma_f32 v[8:9], v[10:11], v[52:53], v[8:9] op_sel:[0,0,1] op_sel_hi:[1,0,0]
	s_waitcnt vmcnt(1)
	v_mov_b32_e32 v8, v67
	v_mov_b32_e32 v17, v9
	v_pk_mul_f32 v[8:9], v[12:13], v[8:9] op_sel_hi:[1,0]
	s_waitcnt vmcnt(0)
	v_pk_fma_f32 v[10:11], v[12:13], v[66:67], v[8:9] op_sel:[0,0,1] op_sel_hi:[1,1,0] neg_lo:[0,0,1] neg_hi:[0,0,1]
	v_pk_fma_f32 v[8:9], v[12:13], v[66:67], v[8:9] op_sel:[0,0,1] op_sel_hi:[1,0,0]
	v_pk_add_f32 v[6:7], v[6:7], v[18:19]
	v_mov_b32_e32 v8, v65
	v_pk_add_f32 v[6:7], v[6:7], v[16:17]
	v_mov_b32_e32 v11, v9
	s_waitcnt lgkmcnt(0)
	v_pk_mul_f32 v[8:9], v[14:15], v[8:9] op_sel_hi:[1,0]
	v_pk_add_f32 v[6:7], v[6:7], v[10:11]
	v_pk_fma_f32 v[10:11], v[14:15], v[64:65], v[8:9] op_sel:[0,0,1] op_sel_hi:[1,1,0] neg_lo:[0,0,1] neg_hi:[0,0,1]
	v_pk_fma_f32 v[8:9], v[14:15], v[64:65], v[8:9] op_sel:[0,0,1] op_sel_hi:[1,0,0]
	v_mov_b32_e32 v11, v9
	v_pk_add_f32 v[6:7], v[6:7], v[10:11]
	v_pk_add_f32 v[2:3], v[2:3], v[6:7] neg_lo:[0,1] neg_hi:[0,1]
	buffer_store_dword v3, off, s[0:3], 0 offset:172
	buffer_store_dword v2, off, s[0:3], 0 offset:168
	s_and_saveexec_b64 s[4:5], vcc
	s_cbranch_execz .LBB110_255
; %bb.254:
	buffer_load_dword v2, off, s[0:3], 0 offset:160
	buffer_load_dword v3, off, s[0:3], 0 offset:164
	s_waitcnt vmcnt(0)
	ds_write_b64 v89, v[2:3]
	buffer_store_dword v4, off, s[0:3], 0 offset:160
	buffer_store_dword v4, off, s[0:3], 0 offset:164
.LBB110_255:
	s_or_b64 exec, exec, s[4:5]
	s_waitcnt lgkmcnt(0)
	; wave barrier
	s_waitcnt lgkmcnt(0)
	buffer_load_dword v2, off, s[0:3], 0 offset:172
	buffer_load_dword v3, off, s[0:3], 0 offset:180
	buffer_load_dword v5, off, s[0:3], 0 offset:188
	buffer_load_dword v58, off, s[0:3], 0 offset:196
	buffer_load_dword v60, off, s[0:3], 0 offset:204
	buffer_load_dword v62, off, s[0:3], 0 offset:212
	buffer_load_dword v70, off, s[0:3], 0 offset:220
	buffer_load_dword v71, off, s[0:3], 0 offset:228
	buffer_load_dword v72, off, s[0:3], 0 offset:236
	buffer_load_dword v73, off, s[0:3], 0 offset:244
	buffer_load_dword v74, off, s[0:3], 0 offset:252
	buffer_load_dword v75, off, s[0:3], 0 offset:260
	buffer_load_dword v76, off, s[0:3], 0 offset:268
	buffer_load_dword v77, off, s[0:3], 0 offset:276
	buffer_load_dword v172, off, s[0:3], 0 offset:284
	buffer_load_dword v173, off, s[0:3], 0 offset:168
	buffer_load_dword v174, off, s[0:3], 0 offset:176
	buffer_load_dword v175, off, s[0:3], 0 offset:184
	buffer_load_dword v176, off, s[0:3], 0 offset:192
	buffer_load_dword v177, off, s[0:3], 0 offset:200
	buffer_load_dword v178, off, s[0:3], 0 offset:208
	buffer_load_dword v179, off, s[0:3], 0 offset:216
	buffer_load_dword v180, off, s[0:3], 0 offset:224
	buffer_load_dword v181, off, s[0:3], 0 offset:232
	buffer_load_dword v182, off, s[0:3], 0 offset:240
	buffer_load_dword v183, off, s[0:3], 0 offset:248
	buffer_load_dword v184, off, s[0:3], 0 offset:256
	buffer_load_dword v185, off, s[0:3], 0 offset:264
	buffer_load_dword v186, off, s[0:3], 0 offset:272
	buffer_load_dword v187, off, s[0:3], 0 offset:280
	buffer_load_dword v188, off, s[0:3], 0 offset:292
	buffer_load_dword v189, off, s[0:3], 0 offset:288
	buffer_load_dword v190, off, s[0:3], 0 offset:300
	buffer_load_dword v191, off, s[0:3], 0 offset:296
	buffer_load_dword v192, off, s[0:3], 0 offset:308
	buffer_load_dword v193, off, s[0:3], 0 offset:304
	buffer_load_dword v46, off, s[0:3], 0 offset:160
	buffer_load_dword v47, off, s[0:3], 0 offset:164
	ds_read2_b64 v[6:9], v4 offset0:69 offset1:70
	ds_read2_b64 v[10:13], v4 offset0:71 offset1:72
	;; [unrolled: 1-line block ×8, first 2 shown]
	buffer_load_dword v49, off, s[0:3], 0 offset:316
	buffer_load_dword v48, off, s[0:3], 0 offset:312
	;; [unrolled: 1-line block ×4, first 2 shown]
	v_cmp_lt_u32_e32 vcc, 19, v0
	s_waitcnt vmcnt(41) lgkmcnt(7)
	v_mul_f32_e32 v38, v6, v2
	s_waitcnt vmcnt(40)
	v_mul_f32_e32 v39, v8, v3
	s_waitcnt vmcnt(39) lgkmcnt(6)
	v_mul_f32_e32 v40, v10, v5
	s_waitcnt vmcnt(38)
	v_mul_f32_e32 v41, v12, v58
	;; [unrolled: 4-line block ×7, first 2 shown]
	s_waitcnt vmcnt(27) lgkmcnt(0)
	v_mul_f32_e32 v59, v34, v172
	s_waitcnt vmcnt(26)
	v_fmac_f32_e32 v38, v7, v173
	s_waitcnt vmcnt(25)
	v_fmac_f32_e32 v39, v9, v174
	v_add_f32_e32 v38, 0, v38
	s_waitcnt vmcnt(24)
	v_fmac_f32_e32 v40, v11, v175
	v_add_f32_e32 v38, v38, v39
	;; [unrolled: 3-line block ×13, first 2 shown]
	v_add_f32_e32 v38, v38, v57
	buffer_load_dword v53, off, s[0:3], 0 offset:340
	buffer_load_dword v52, off, s[0:3], 0 offset:336
	;; [unrolled: 1-line block ×6, first 2 shown]
	s_waitcnt vmcnt(18)
	v_fmac_f32_e32 v59, v35, v187
	s_waitcnt vmcnt(17)
	v_mul_f32_e32 v43, v36, v188
	v_add_f32_e32 v42, v38, v59
	s_waitcnt vmcnt(16)
	v_fmac_f32_e32 v43, v37, v189
	ds_read2_b64 v[38:41], v4 offset0:85 offset1:86
	v_add_f32_e32 v59, v42, v43
	ds_read2_b64 v[42:45], v4 offset0:87 offset1:88
	buffer_load_dword v65, off, s[0:3], 0 offset:372
	buffer_load_dword v64, off, s[0:3], 0 offset:368
	buffer_load_dword v67, off, s[0:3], 0 offset:364
	buffer_load_dword v66, off, s[0:3], 0 offset:360
	buffer_load_dword v69, off, s[0:3], 0 offset:356
	buffer_load_dword v68, off, s[0:3], 0 offset:352
	v_mul_f32_e32 v2, v7, v2
	v_fma_f32 v2, v6, v173, -v2
	v_mul_f32_e32 v3, v9, v3
	v_add_f32_e32 v2, 0, v2
	v_fma_f32 v3, v8, v174, -v3
	v_add_f32_e32 v2, v2, v3
	v_mul_f32_e32 v3, v11, v5
	v_fma_f32 v3, v10, v175, -v3
	v_add_f32_e32 v2, v2, v3
	v_mul_f32_e32 v3, v13, v58
	;; [unrolled: 3-line block ×14, first 2 shown]
	v_fma_f32 v3, v36, v189, -v3
	s_waitcnt vmcnt(15)
	v_mov_b32_e32 v16, v49
	s_waitcnt lgkmcnt(1)
	v_mul_f32_e32 v61, v38, v190
	v_add_f32_e32 v58, v2, v3
	v_mul_f32_e32 v2, v39, v190
	s_waitcnt lgkmcnt(0)
	v_pk_mul_f32 v[16:17], v[42:43], v[16:17] op_sel_hi:[1,0]
	v_fmac_f32_e32 v61, v39, v191
	v_mul_f32_e32 v63, v40, v192
	v_fma_f32 v60, v38, v191, -v2
	v_mul_f32_e32 v2, v41, v192
	s_waitcnt vmcnt(14)
	v_pk_fma_f32 v[18:19], v[42:43], v[48:49], v[16:17] op_sel:[0,0,1] op_sel_hi:[1,1,0] neg_lo:[0,0,1] neg_hi:[0,0,1]
	v_pk_fma_f32 v[16:17], v[42:43], v[48:49], v[16:17] op_sel:[0,0,1] op_sel_hi:[1,0,0]
	v_fmac_f32_e32 v63, v41, v193
	v_fma_f32 v62, v40, v193, -v2
	v_pk_add_f32 v[14:15], v[58:59], v[60:61]
	ds_read2_b64 v[6:9], v4 offset0:89 offset1:90
	ds_read2_b64 v[10:13], v4 offset0:91 offset1:92
	;; [unrolled: 1-line block ×3, first 2 shown]
	v_pk_add_f32 v[14:15], v[14:15], v[62:63]
	v_mov_b32_e32 v19, v17
	v_pk_add_f32 v[14:15], v[14:15], v[18:19]
	s_waitcnt vmcnt(7)
	v_mov_b32_e32 v16, v57
	v_pk_mul_f32 v[16:17], v[44:45], v[16:17] op_sel_hi:[1,0]
	s_waitcnt vmcnt(6)
	v_pk_fma_f32 v[18:19], v[44:45], v[56:57], v[16:17] op_sel:[0,0,1] op_sel_hi:[1,1,0] neg_lo:[0,0,1] neg_hi:[0,0,1]
	v_pk_fma_f32 v[16:17], v[44:45], v[56:57], v[16:17] op_sel:[0,0,1] op_sel_hi:[1,0,0]
	v_mov_b32_e32 v16, v55
	v_mov_b32_e32 v19, v17
	s_waitcnt lgkmcnt(2)
	v_pk_mul_f32 v[16:17], v[6:7], v[16:17] op_sel_hi:[1,0]
	v_pk_add_f32 v[14:15], v[14:15], v[18:19]
	v_pk_fma_f32 v[18:19], v[6:7], v[54:55], v[16:17] op_sel:[0,0,1] op_sel_hi:[1,1,0] neg_lo:[0,0,1] neg_hi:[0,0,1]
	v_pk_fma_f32 v[6:7], v[6:7], v[54:55], v[16:17] op_sel:[0,0,1] op_sel_hi:[1,0,0]
	v_mov_b32_e32 v19, v7
	v_pk_add_f32 v[6:7], v[14:15], v[18:19]
	v_mov_b32_e32 v14, v53
	v_pk_mul_f32 v[14:15], v[8:9], v[14:15] op_sel_hi:[1,0]
	v_pk_fma_f32 v[16:17], v[8:9], v[52:53], v[14:15] op_sel:[0,0,1] op_sel_hi:[1,1,0] neg_lo:[0,0,1] neg_hi:[0,0,1]
	v_pk_fma_f32 v[8:9], v[8:9], v[52:53], v[14:15] op_sel:[0,0,1] op_sel_hi:[1,0,0]
	v_mov_b32_e32 v8, v51
	v_mov_b32_e32 v17, v9
	s_waitcnt lgkmcnt(1)
	v_pk_mul_f32 v[8:9], v[10:11], v[8:9] op_sel_hi:[1,0]
	v_pk_fma_f32 v[14:15], v[10:11], v[50:51], v[8:9] op_sel:[0,0,1] op_sel_hi:[1,1,0] neg_lo:[0,0,1] neg_hi:[0,0,1]
	v_pk_fma_f32 v[8:9], v[10:11], v[50:51], v[8:9] op_sel:[0,0,1] op_sel_hi:[1,0,0]
	s_waitcnt vmcnt(1)
	v_mov_b32_e32 v8, v69
	v_mov_b32_e32 v15, v9
	v_pk_mul_f32 v[8:9], v[12:13], v[8:9] op_sel_hi:[1,0]
	s_waitcnt vmcnt(0)
	v_pk_fma_f32 v[10:11], v[12:13], v[68:69], v[8:9] op_sel:[0,0,1] op_sel_hi:[1,1,0] neg_lo:[0,0,1] neg_hi:[0,0,1]
	v_pk_fma_f32 v[8:9], v[12:13], v[68:69], v[8:9] op_sel:[0,0,1] op_sel_hi:[1,0,0]
	v_pk_add_f32 v[6:7], v[6:7], v[16:17]
	v_mov_b32_e32 v8, v67
	v_pk_add_f32 v[6:7], v[6:7], v[14:15]
	v_mov_b32_e32 v11, v9
	s_waitcnt lgkmcnt(0)
	v_pk_mul_f32 v[8:9], v[2:3], v[8:9] op_sel_hi:[1,0]
	v_pk_add_f32 v[6:7], v[6:7], v[10:11]
	v_pk_fma_f32 v[10:11], v[2:3], v[66:67], v[8:9] op_sel:[0,0,1] op_sel_hi:[1,1,0] neg_lo:[0,0,1] neg_hi:[0,0,1]
	v_pk_fma_f32 v[2:3], v[2:3], v[66:67], v[8:9] op_sel:[0,0,1] op_sel_hi:[1,0,0]
	v_mov_b32_e32 v11, v3
	v_pk_add_f32 v[2:3], v[6:7], v[10:11]
	v_mov_b32_e32 v6, v65
	v_pk_mul_f32 v[6:7], v[4:5], v[6:7] op_sel_hi:[1,0]
	v_pk_fma_f32 v[8:9], v[4:5], v[64:65], v[6:7] op_sel:[0,0,1] op_sel_hi:[1,1,0] neg_lo:[0,0,1] neg_hi:[0,0,1]
	v_pk_fma_f32 v[4:5], v[4:5], v[64:65], v[6:7] op_sel:[0,0,1] op_sel_hi:[1,0,0]
	v_mov_b32_e32 v9, v5
	v_pk_add_f32 v[2:3], v[2:3], v[8:9]
	v_pk_add_f32 v[2:3], v[46:47], v[2:3] neg_lo:[0,1] neg_hi:[0,1]
	buffer_store_dword v3, off, s[0:3], 0 offset:164
	buffer_store_dword v2, off, s[0:3], 0 offset:160
	s_and_saveexec_b64 s[4:5], vcc
	s_cbranch_execz .LBB110_257
; %bb.256:
	buffer_load_dword v2, off, s[0:3], 0 offset:152
	buffer_load_dword v3, off, s[0:3], 0 offset:156
	v_mov_b32_e32 v4, 0
	buffer_store_dword v4, off, s[0:3], 0 offset:152
	buffer_store_dword v4, off, s[0:3], 0 offset:156
	s_waitcnt vmcnt(2)
	ds_write_b64 v89, v[2:3]
.LBB110_257:
	s_or_b64 exec, exec, s[4:5]
	s_waitcnt lgkmcnt(0)
	; wave barrier
	s_waitcnt lgkmcnt(0)
	buffer_load_dword v5, off, s[0:3], 0 offset:164
	buffer_load_dword v54, off, s[0:3], 0 offset:172
	;; [unrolled: 1-line block ×40, first 2 shown]
	v_mov_b32_e32 v4, 0
	ds_read_b128 v[6:9], v4 offset:544
	ds_read_b128 v[10:13], v4 offset:560
	;; [unrolled: 1-line block ×8, first 2 shown]
	v_cmp_lt_u32_e32 vcc, 18, v0
	s_waitcnt vmcnt(39) lgkmcnt(7)
	v_mul_f32_e32 v38, v6, v5
	s_waitcnt vmcnt(38)
	v_mul_f32_e32 v39, v8, v54
	s_waitcnt vmcnt(37) lgkmcnt(6)
	v_mul_f32_e32 v40, v10, v56
	s_waitcnt vmcnt(36)
	v_mul_f32_e32 v41, v12, v58
	;; [unrolled: 4-line block ×8, first 2 shown]
	s_waitcnt vmcnt(23)
	v_fmac_f32_e32 v38, v7, v174
	s_waitcnt vmcnt(22)
	v_fmac_f32_e32 v39, v9, v175
	v_add_f32_e32 v38, 0, v38
	s_waitcnt vmcnt(21)
	v_fmac_f32_e32 v40, v11, v176
	v_add_f32_e32 v38, v38, v39
	;; [unrolled: 3-line block ×14, first 2 shown]
	v_add_f32_e32 v38, v38, v52
	s_waitcnt vmcnt(8)
	v_fmac_f32_e32 v53, v37, v189
	v_add_f32_e32 v55, v38, v53
	ds_read_b128 v[38:41], v4 offset:672
	buffer_load_dword v47, off, s[0:3], 0 offset:316
	buffer_load_dword v49, off, s[0:3], 0 offset:340
	;; [unrolled: 1-line block ×8, first 2 shown]
	ds_read_b128 v[42:45], v4 offset:688
	buffer_load_dword v61, off, s[0:3], 0 offset:372
	buffer_load_dword v60, off, s[0:3], 0 offset:368
	;; [unrolled: 1-line block ×8, first 2 shown]
	v_mul_f32_e32 v5, v7, v5
	v_fma_f32 v5, v6, v174, -v5
	v_mul_f32_e32 v6, v9, v54
	v_add_f32_e32 v5, 0, v5
	v_fma_f32 v6, v8, v175, -v6
	v_add_f32_e32 v5, v5, v6
	v_mul_f32_e32 v6, v11, v56
	v_fma_f32 v6, v10, v176, -v6
	v_add_f32_e32 v5, v5, v6
	v_mul_f32_e32 v6, v13, v58
	;; [unrolled: 3-line block ×14, first 2 shown]
	v_fma_f32 v6, v36, v189, -v6
	s_waitcnt vmcnt(23) lgkmcnt(1)
	v_mul_f32_e32 v57, v38, v190
	v_add_f32_e32 v5, v5, v6
	v_mul_f32_e32 v6, v39, v190
	s_waitcnt vmcnt(22)
	v_fmac_f32_e32 v57, v39, v191
	v_fma_f32 v6, v38, v191, -v6
	v_add_f32_e32 v55, v55, v57
	s_waitcnt vmcnt(21)
	v_mul_f32_e32 v57, v40, v192
	v_add_f32_e32 v54, v5, v6
	v_mul_f32_e32 v5, v41, v192
	s_waitcnt vmcnt(20)
	v_fmac_f32_e32 v57, v41, v193
	s_waitcnt vmcnt(19) lgkmcnt(0)
	v_mul_f32_e32 v59, v42, v194
	v_fma_f32 v56, v40, v193, -v5
	v_mul_f32_e32 v5, v43, v194
	ds_read_b128 v[6:9], v4 offset:704
	ds_read_b128 v[10:13], v4 offset:720
	;; [unrolled: 1-line block ×3, first 2 shown]
	ds_read_b64 v[18:19], v4 offset:752
	s_waitcnt vmcnt(18)
	v_fmac_f32_e32 v59, v43, v195
	v_fma_f32 v58, v42, v195, -v5
	v_pk_add_f32 v[20:21], v[54:55], v[56:57]
	v_pk_add_f32 v[20:21], v[20:21], v[58:59]
	s_waitcnt vmcnt(15)
	v_mov_b32_e32 v22, v47
	v_pk_mul_f32 v[22:23], v[44:45], v[22:23] op_sel_hi:[1,0]
	s_waitcnt vmcnt(8)
	v_pk_fma_f32 v[24:25], v[44:45], v[46:47], v[22:23] op_sel:[0,0,1] op_sel_hi:[1,1,0] neg_lo:[0,0,1] neg_hi:[0,0,1]
	v_pk_fma_f32 v[22:23], v[44:45], v[46:47], v[22:23] op_sel:[0,0,1] op_sel_hi:[1,0,0]
	v_mov_b32_e32 v22, v53
	v_mov_b32_e32 v25, v23
	s_waitcnt lgkmcnt(3)
	v_pk_mul_f32 v[22:23], v[6:7], v[22:23] op_sel_hi:[1,0]
	v_pk_add_f32 v[20:21], v[20:21], v[24:25]
	v_pk_fma_f32 v[24:25], v[6:7], v[52:53], v[22:23] op_sel:[0,0,1] op_sel_hi:[1,1,0] neg_lo:[0,0,1] neg_hi:[0,0,1]
	v_pk_fma_f32 v[6:7], v[6:7], v[52:53], v[22:23] op_sel:[0,0,1] op_sel_hi:[1,0,0]
	v_mov_b32_e32 v25, v7
	v_pk_add_f32 v[6:7], v[20:21], v[24:25]
	v_mov_b32_e32 v20, v51
	v_pk_mul_f32 v[20:21], v[8:9], v[20:21] op_sel_hi:[1,0]
	v_pk_fma_f32 v[22:23], v[8:9], v[50:51], v[20:21] op_sel:[0,0,1] op_sel_hi:[1,1,0] neg_lo:[0,0,1] neg_hi:[0,0,1]
	v_pk_fma_f32 v[8:9], v[8:9], v[50:51], v[20:21] op_sel:[0,0,1] op_sel_hi:[1,0,0]
	v_mov_b32_e32 v8, v49
	v_mov_b32_e32 v23, v9
	s_waitcnt lgkmcnt(2)
	v_pk_mul_f32 v[8:9], v[10:11], v[8:9] op_sel_hi:[1,0]
	v_pk_fma_f32 v[20:21], v[10:11], v[48:49], v[8:9] op_sel:[0,0,1] op_sel_hi:[1,1,0] neg_lo:[0,0,1] neg_hi:[0,0,1]
	v_pk_fma_f32 v[8:9], v[10:11], v[48:49], v[8:9] op_sel:[0,0,1] op_sel_hi:[1,0,0]
	s_waitcnt vmcnt(1)
	v_mov_b32_e32 v8, v67
	v_mov_b32_e32 v21, v9
	v_pk_mul_f32 v[8:9], v[12:13], v[8:9] op_sel_hi:[1,0]
	s_waitcnt vmcnt(0)
	v_pk_fma_f32 v[10:11], v[12:13], v[66:67], v[8:9] op_sel:[0,0,1] op_sel_hi:[1,1,0] neg_lo:[0,0,1] neg_hi:[0,0,1]
	v_pk_fma_f32 v[8:9], v[12:13], v[66:67], v[8:9] op_sel:[0,0,1] op_sel_hi:[1,0,0]
	v_pk_add_f32 v[6:7], v[6:7], v[22:23]
	v_mov_b32_e32 v8, v65
	v_pk_add_f32 v[6:7], v[6:7], v[20:21]
	v_mov_b32_e32 v11, v9
	s_waitcnt lgkmcnt(1)
	v_pk_mul_f32 v[8:9], v[14:15], v[8:9] op_sel_hi:[1,0]
	v_pk_add_f32 v[6:7], v[6:7], v[10:11]
	v_pk_fma_f32 v[10:11], v[14:15], v[64:65], v[8:9] op_sel:[0,0,1] op_sel_hi:[1,1,0] neg_lo:[0,0,1] neg_hi:[0,0,1]
	v_pk_fma_f32 v[8:9], v[14:15], v[64:65], v[8:9] op_sel:[0,0,1] op_sel_hi:[1,0,0]
	v_mov_b32_e32 v8, v63
	v_mov_b32_e32 v11, v9
	v_pk_mul_f32 v[8:9], v[16:17], v[8:9] op_sel_hi:[1,0]
	v_pk_add_f32 v[6:7], v[6:7], v[10:11]
	v_pk_fma_f32 v[10:11], v[16:17], v[62:63], v[8:9] op_sel:[0,0,1] op_sel_hi:[1,1,0] neg_lo:[0,0,1] neg_hi:[0,0,1]
	v_pk_fma_f32 v[8:9], v[16:17], v[62:63], v[8:9] op_sel:[0,0,1] op_sel_hi:[1,0,0]
	v_mov_b32_e32 v8, v61
	v_mov_b32_e32 v11, v9
	s_waitcnt lgkmcnt(0)
	v_pk_mul_f32 v[8:9], v[18:19], v[8:9] op_sel_hi:[1,0]
	v_pk_add_f32 v[6:7], v[6:7], v[10:11]
	v_pk_fma_f32 v[10:11], v[18:19], v[60:61], v[8:9] op_sel:[0,0,1] op_sel_hi:[1,1,0] neg_lo:[0,0,1] neg_hi:[0,0,1]
	v_pk_fma_f32 v[8:9], v[18:19], v[60:61], v[8:9] op_sel:[0,0,1] op_sel_hi:[1,0,0]
	v_mov_b32_e32 v11, v9
	v_pk_add_f32 v[6:7], v[6:7], v[10:11]
	v_pk_add_f32 v[2:3], v[2:3], v[6:7] neg_lo:[0,1] neg_hi:[0,1]
	buffer_store_dword v3, off, s[0:3], 0 offset:156
	buffer_store_dword v2, off, s[0:3], 0 offset:152
	s_and_saveexec_b64 s[4:5], vcc
	s_cbranch_execz .LBB110_259
; %bb.258:
	buffer_load_dword v2, off, s[0:3], 0 offset:144
	buffer_load_dword v3, off, s[0:3], 0 offset:148
	s_waitcnt vmcnt(0)
	ds_write_b64 v89, v[2:3]
	buffer_store_dword v4, off, s[0:3], 0 offset:144
	buffer_store_dword v4, off, s[0:3], 0 offset:148
.LBB110_259:
	s_or_b64 exec, exec, s[4:5]
	s_waitcnt lgkmcnt(0)
	; wave barrier
	s_waitcnt lgkmcnt(0)
	buffer_load_dword v5, off, s[0:3], 0 offset:156
	buffer_load_dword v46, off, s[0:3], 0 offset:164
	;; [unrolled: 1-line block ×42, first 2 shown]
	ds_read2_b64 v[6:9], v4 offset0:67 offset1:68
	ds_read2_b64 v[10:13], v4 offset0:69 offset1:70
	;; [unrolled: 1-line block ×8, first 2 shown]
	v_cmp_lt_u32_e32 vcc, 17, v0
	s_waitcnt vmcnt(41) lgkmcnt(7)
	v_mul_f32_e32 v38, v6, v5
	s_waitcnt vmcnt(40)
	v_mul_f32_e32 v39, v8, v46
	s_waitcnt vmcnt(39) lgkmcnt(6)
	v_mul_f32_e32 v40, v10, v48
	s_waitcnt vmcnt(38)
	v_mul_f32_e32 v41, v12, v56
	;; [unrolled: 4-line block ×7, first 2 shown]
	s_waitcnt vmcnt(27) lgkmcnt(0)
	v_mul_f32_e32 v54, v34, v172
	s_waitcnt vmcnt(26)
	v_fmac_f32_e32 v38, v7, v173
	s_waitcnt vmcnt(25)
	v_fmac_f32_e32 v39, v9, v174
	v_add_f32_e32 v38, 0, v38
	s_waitcnt vmcnt(24)
	v_fmac_f32_e32 v40, v11, v175
	v_add_f32_e32 v38, v38, v39
	;; [unrolled: 3-line block ×14, first 2 shown]
	s_waitcnt vmcnt(11)
	v_mul_f32_e32 v43, v36, v188
	v_add_f32_e32 v42, v38, v54
	s_waitcnt vmcnt(10)
	v_fmac_f32_e32 v43, v37, v189
	ds_read2_b64 v[38:41], v4 offset0:83 offset1:84
	v_add_f32_e32 v47, v42, v43
	ds_read2_b64 v[42:45], v4 offset0:85 offset1:86
	buffer_load_dword v51, off, s[0:3], 0 offset:316
	buffer_load_dword v53, off, s[0:3], 0 offset:332
	;; [unrolled: 1-line block ×16, first 2 shown]
	v_mul_f32_e32 v5, v7, v5
	v_fma_f32 v5, v6, v173, -v5
	v_mul_f32_e32 v6, v9, v46
	v_add_f32_e32 v5, 0, v5
	v_fma_f32 v6, v8, v174, -v6
	v_add_f32_e32 v5, v5, v6
	v_mul_f32_e32 v6, v11, v48
	v_fma_f32 v6, v10, v175, -v6
	v_add_f32_e32 v5, v5, v6
	v_mul_f32_e32 v6, v13, v56
	;; [unrolled: 3-line block ×14, first 2 shown]
	v_fma_f32 v6, v36, v189, -v6
	v_add_f32_e32 v5, v5, v6
	s_waitcnt vmcnt(25) lgkmcnt(1)
	v_mul_f32_e32 v6, v39, v190
	s_waitcnt vmcnt(24)
	v_fma_f32 v6, v38, v191, -v6
	v_add_f32_e32 v5, v5, v6
	s_waitcnt vmcnt(23)
	v_mul_f32_e32 v6, v41, v192
	s_waitcnt vmcnt(22)
	v_fma_f32 v6, v40, v193, -v6
	v_add_f32_e32 v46, v5, v6
	ds_read2_b64 v[6:9], v4 offset0:87 offset1:88
	ds_read2_b64 v[10:13], v4 offset0:89 offset1:90
	;; [unrolled: 1-line block ×4, first 2 shown]
	v_mul_f32_e32 v49, v38, v190
	v_fmac_f32_e32 v49, v39, v191
	v_add_f32_e32 v47, v47, v49
	v_mul_f32_e32 v49, v40, v192
	v_fmac_f32_e32 v49, v41, v193
	v_add_f32_e32 v47, v47, v49
	s_waitcnt vmcnt(21) lgkmcnt(4)
	v_mul_f32_e32 v49, v42, v194
	v_mul_f32_e32 v5, v43, v194
	s_waitcnt vmcnt(20)
	v_fmac_f32_e32 v49, v43, v195
	s_waitcnt vmcnt(19)
	v_mul_f32_e32 v57, v44, v196
	v_fma_f32 v48, v42, v195, -v5
	v_mul_f32_e32 v5, v45, v196
	s_waitcnt vmcnt(18)
	v_fmac_f32_e32 v57, v45, v197
	v_fma_f32 v56, v44, v197, -v5
	v_pk_add_f32 v[4:5], v[46:47], v[48:49]
	v_pk_add_f32 v[4:5], v[4:5], v[56:57]
	s_waitcnt vmcnt(15)
	v_mov_b32_e32 v22, v51
	s_waitcnt lgkmcnt(3)
	v_pk_mul_f32 v[22:23], v[6:7], v[22:23] op_sel_hi:[1,0]
	s_waitcnt vmcnt(10)
	v_pk_fma_f32 v[24:25], v[6:7], v[50:51], v[22:23] op_sel:[0,0,1] op_sel_hi:[1,1,0] neg_lo:[0,0,1] neg_hi:[0,0,1]
	v_pk_fma_f32 v[6:7], v[6:7], v[50:51], v[22:23] op_sel:[0,0,1] op_sel_hi:[1,0,0]
	v_mov_b32_e32 v6, v55
	v_mov_b32_e32 v25, v7
	v_pk_mul_f32 v[6:7], v[8:9], v[6:7] op_sel_hi:[1,0]
	v_pk_fma_f32 v[22:23], v[8:9], v[54:55], v[6:7] op_sel:[0,0,1] op_sel_hi:[1,1,0] neg_lo:[0,0,1] neg_hi:[0,0,1]
	v_pk_fma_f32 v[6:7], v[8:9], v[54:55], v[6:7] op_sel:[0,0,1] op_sel_hi:[1,0,0]
	v_mov_b32_e32 v6, v53
	v_mov_b32_e32 v23, v7
	s_waitcnt lgkmcnt(2)
	v_pk_mul_f32 v[6:7], v[10:11], v[6:7] op_sel_hi:[1,0]
	v_pk_fma_f32 v[8:9], v[10:11], v[52:53], v[6:7] op_sel:[0,0,1] op_sel_hi:[1,1,0] neg_lo:[0,0,1] neg_hi:[0,0,1]
	v_pk_fma_f32 v[6:7], v[10:11], v[52:53], v[6:7] op_sel:[0,0,1] op_sel_hi:[1,0,0]
	v_pk_add_f32 v[4:5], v[4:5], v[24:25]
	s_waitcnt vmcnt(3)
	v_mov_b32_e32 v6, v65
	v_pk_add_f32 v[4:5], v[4:5], v[22:23]
	v_mov_b32_e32 v9, v7
	v_pk_mul_f32 v[6:7], v[12:13], v[6:7] op_sel_hi:[1,0]
	v_pk_add_f32 v[4:5], v[4:5], v[8:9]
	s_waitcnt vmcnt(2)
	v_pk_fma_f32 v[8:9], v[12:13], v[64:65], v[6:7] op_sel:[0,0,1] op_sel_hi:[1,1,0] neg_lo:[0,0,1] neg_hi:[0,0,1]
	v_pk_fma_f32 v[6:7], v[12:13], v[64:65], v[6:7] op_sel:[0,0,1] op_sel_hi:[1,0,0]
	v_mov_b32_e32 v6, v63
	v_mov_b32_e32 v9, v7
	s_waitcnt lgkmcnt(1)
	v_pk_mul_f32 v[6:7], v[14:15], v[6:7] op_sel_hi:[1,0]
	v_pk_add_f32 v[4:5], v[4:5], v[8:9]
	v_pk_fma_f32 v[8:9], v[14:15], v[62:63], v[6:7] op_sel:[0,0,1] op_sel_hi:[1,1,0] neg_lo:[0,0,1] neg_hi:[0,0,1]
	v_pk_fma_f32 v[6:7], v[14:15], v[62:63], v[6:7] op_sel:[0,0,1] op_sel_hi:[1,0,0]
	v_mov_b32_e32 v6, v61
	v_mov_b32_e32 v9, v7
	v_pk_mul_f32 v[6:7], v[16:17], v[6:7] op_sel_hi:[1,0]
	v_pk_add_f32 v[4:5], v[4:5], v[8:9]
	v_pk_fma_f32 v[8:9], v[16:17], v[60:61], v[6:7] op_sel:[0,0,1] op_sel_hi:[1,1,0] neg_lo:[0,0,1] neg_hi:[0,0,1]
	v_pk_fma_f32 v[6:7], v[16:17], v[60:61], v[6:7] op_sel:[0,0,1] op_sel_hi:[1,0,0]
	v_mov_b32_e32 v6, v59
	v_mov_b32_e32 v9, v7
	s_waitcnt lgkmcnt(0)
	v_pk_mul_f32 v[6:7], v[18:19], v[6:7] op_sel_hi:[1,0]
	v_pk_add_f32 v[4:5], v[4:5], v[8:9]
	v_pk_fma_f32 v[8:9], v[18:19], v[58:59], v[6:7] op_sel:[0,0,1] op_sel_hi:[1,1,0] neg_lo:[0,0,1] neg_hi:[0,0,1]
	v_pk_fma_f32 v[6:7], v[18:19], v[58:59], v[6:7] op_sel:[0,0,1] op_sel_hi:[1,0,0]
	s_waitcnt vmcnt(1)
	v_mov_b32_e32 v6, v67
	v_mov_b32_e32 v9, v7
	v_pk_mul_f32 v[6:7], v[20:21], v[6:7] op_sel_hi:[1,0]
	v_pk_add_f32 v[4:5], v[4:5], v[8:9]
	s_waitcnt vmcnt(0)
	v_pk_fma_f32 v[8:9], v[20:21], v[66:67], v[6:7] op_sel:[0,0,1] op_sel_hi:[1,1,0] neg_lo:[0,0,1] neg_hi:[0,0,1]
	v_pk_fma_f32 v[6:7], v[20:21], v[66:67], v[6:7] op_sel:[0,0,1] op_sel_hi:[1,0,0]
	v_mov_b32_e32 v9, v7
	v_pk_add_f32 v[4:5], v[4:5], v[8:9]
	v_pk_add_f32 v[2:3], v[2:3], v[4:5] neg_lo:[0,1] neg_hi:[0,1]
	buffer_store_dword v3, off, s[0:3], 0 offset:148
	buffer_store_dword v2, off, s[0:3], 0 offset:144
	s_and_saveexec_b64 s[4:5], vcc
	s_cbranch_execz .LBB110_261
; %bb.260:
	buffer_load_dword v2, off, s[0:3], 0 offset:136
	buffer_load_dword v3, off, s[0:3], 0 offset:140
	v_mov_b32_e32 v4, 0
	buffer_store_dword v4, off, s[0:3], 0 offset:136
	buffer_store_dword v4, off, s[0:3], 0 offset:140
	s_waitcnt vmcnt(2)
	ds_write_b64 v89, v[2:3]
.LBB110_261:
	s_or_b64 exec, exec, s[4:5]
	s_waitcnt lgkmcnt(0)
	; wave barrier
	s_waitcnt lgkmcnt(0)
	buffer_load_dword v5, off, s[0:3], 0 offset:148
	buffer_load_dword v54, off, s[0:3], 0 offset:156
	;; [unrolled: 1-line block ×44, first 2 shown]
	v_mov_b32_e32 v4, 0
	ds_read_b128 v[6:9], v4 offset:528
	ds_read_b128 v[10:13], v4 offset:544
	;; [unrolled: 1-line block ×8, first 2 shown]
	v_cmp_lt_u32_e32 vcc, 16, v0
	s_waitcnt vmcnt(43) lgkmcnt(7)
	v_mul_f32_e32 v38, v6, v5
	s_waitcnt vmcnt(42)
	v_mul_f32_e32 v39, v8, v54
	s_waitcnt vmcnt(41) lgkmcnt(6)
	v_mul_f32_e32 v40, v10, v60
	s_waitcnt vmcnt(40)
	v_mul_f32_e32 v41, v12, v62
	;; [unrolled: 4-line block ×7, first 2 shown]
	s_waitcnt vmcnt(29)
	v_fmac_f32_e32 v38, v7, v180
	s_waitcnt vmcnt(28)
	v_fmac_f32_e32 v39, v9, v181
	v_add_f32_e32 v38, 0, v38
	s_waitcnt vmcnt(27)
	v_fmac_f32_e32 v40, v11, v182
	v_add_f32_e32 v38, v38, v39
	;; [unrolled: 3-line block ×12, first 2 shown]
	v_add_f32_e32 v38, v38, v50
	s_waitcnt vmcnt(16)
	v_fmac_f32_e32 v51, v33, v193
	s_waitcnt vmcnt(15) lgkmcnt(0)
	v_mul_f32_e32 v39, v34, v194
	v_add_f32_e32 v38, v38, v51
	s_waitcnt vmcnt(14)
	v_fmac_f32_e32 v39, v35, v195
	v_add_f32_e32 v42, v38, v39
	ds_read_b128 v[38:41], v4 offset:656
	s_waitcnt vmcnt(13)
	v_mul_f32_e32 v43, v36, v196
	s_waitcnt vmcnt(12)
	v_fmac_f32_e32 v43, v37, v197
	v_add_f32_e32 v46, v42, v43
	ds_read_b128 v[42:45], v4 offset:672
	s_waitcnt vmcnt(11) lgkmcnt(1)
	v_mul_f32_e32 v47, v38, v198
	s_waitcnt vmcnt(10)
	v_fmac_f32_e32 v47, v39, v199
	v_add_f32_e32 v46, v46, v47
	s_waitcnt vmcnt(9)
	v_mul_f32_e32 v47, v40, v200
	s_waitcnt vmcnt(8)
	v_fmac_f32_e32 v47, v41, v201
	v_add_f32_e32 v46, v46, v47
	s_waitcnt vmcnt(7) lgkmcnt(0)
	v_mul_f32_e32 v47, v42, v202
	s_waitcnt vmcnt(6)
	v_fmac_f32_e32 v47, v43, v203
	v_add_f32_e32 v55, v46, v47
	ds_read_b128 v[46:49], v4 offset:688
	buffer_load_dword v57, off, s[0:3], 0 offset:324
	buffer_load_dword v56, off, s[0:3], 0 offset:320
	;; [unrolled: 1-line block ×4, first 2 shown]
	ds_read_b128 v[50:53], v4 offset:704
	buffer_load_dword v65, off, s[0:3], 0 offset:356
	buffer_load_dword v64, off, s[0:3], 0 offset:352
	;; [unrolled: 1-line block ×12, first 2 shown]
	v_mul_f32_e32 v5, v7, v5
	v_fma_f32 v5, v6, v180, -v5
	v_mul_f32_e32 v6, v9, v54
	v_add_f32_e32 v5, 0, v5
	v_fma_f32 v6, v8, v181, -v6
	v_add_f32_e32 v5, v5, v6
	v_mul_f32_e32 v6, v11, v60
	v_fma_f32 v6, v10, v182, -v6
	v_add_f32_e32 v5, v5, v6
	v_mul_f32_e32 v6, v13, v62
	;; [unrolled: 3-line block ×17, first 2 shown]
	v_fma_f32 v6, v42, v203, -v6
	s_waitcnt vmcnt(21)
	v_mul_f32_e32 v61, v44, v204
	v_add_f32_e32 v54, v5, v6
	v_mul_f32_e32 v5, v45, v204
	s_waitcnt vmcnt(20)
	v_fmac_f32_e32 v61, v45, v205
	s_waitcnt vmcnt(19) lgkmcnt(1)
	v_mul_f32_e32 v63, v46, v206
	v_fma_f32 v60, v44, v205, -v5
	v_mul_f32_e32 v5, v47, v206
	s_waitcnt vmcnt(18)
	v_fmac_f32_e32 v63, v47, v207
	v_fma_f32 v62, v46, v207, -v5
	v_pk_add_f32 v[16:17], v[54:55], v[60:61]
	v_pk_add_f32 v[16:17], v[16:17], v[62:63]
	ds_read_b128 v[6:9], v4 offset:720
	ds_read_b128 v[10:13], v4 offset:736
	ds_read_b64 v[14:15], v4 offset:752
	s_waitcnt vmcnt(13)
	v_mov_b32_e32 v18, v59
	v_pk_mul_f32 v[18:19], v[48:49], v[18:19] op_sel_hi:[1,0]
	s_waitcnt vmcnt(12)
	v_pk_fma_f32 v[20:21], v[48:49], v[58:59], v[18:19] op_sel:[0,0,1] op_sel_hi:[1,1,0] neg_lo:[0,0,1] neg_hi:[0,0,1]
	v_pk_fma_f32 v[18:19], v[48:49], v[58:59], v[18:19] op_sel:[0,0,1] op_sel_hi:[1,0,0]
	v_mov_b32_e32 v18, v57
	v_mov_b32_e32 v21, v19
	s_waitcnt lgkmcnt(3)
	v_pk_mul_f32 v[18:19], v[50:51], v[18:19] op_sel_hi:[1,0]
	v_pk_add_f32 v[16:17], v[16:17], v[20:21]
	v_pk_fma_f32 v[20:21], v[50:51], v[56:57], v[18:19] op_sel:[0,0,1] op_sel_hi:[1,1,0] neg_lo:[0,0,1] neg_hi:[0,0,1]
	v_pk_fma_f32 v[18:19], v[50:51], v[56:57], v[18:19] op_sel:[0,0,1] op_sel_hi:[1,0,0]
	s_waitcnt vmcnt(5)
	v_mov_b32_e32 v18, v71
	v_mov_b32_e32 v21, v19
	v_pk_mul_f32 v[18:19], v[52:53], v[18:19] op_sel_hi:[1,0]
	v_pk_add_f32 v[16:17], v[16:17], v[20:21]
	s_waitcnt vmcnt(4)
	v_pk_fma_f32 v[20:21], v[52:53], v[70:71], v[18:19] op_sel:[0,0,1] op_sel_hi:[1,1,0] neg_lo:[0,0,1] neg_hi:[0,0,1]
	v_pk_fma_f32 v[18:19], v[52:53], v[70:71], v[18:19] op_sel:[0,0,1] op_sel_hi:[1,0,0]
	v_mov_b32_e32 v18, v69
	v_mov_b32_e32 v21, v19
	s_waitcnt lgkmcnt(2)
	v_pk_mul_f32 v[18:19], v[6:7], v[18:19] op_sel_hi:[1,0]
	v_pk_add_f32 v[16:17], v[16:17], v[20:21]
	v_pk_fma_f32 v[20:21], v[6:7], v[68:69], v[18:19] op_sel:[0,0,1] op_sel_hi:[1,1,0] neg_lo:[0,0,1] neg_hi:[0,0,1]
	v_pk_fma_f32 v[6:7], v[6:7], v[68:69], v[18:19] op_sel:[0,0,1] op_sel_hi:[1,0,0]
	v_mov_b32_e32 v21, v7
	v_pk_add_f32 v[6:7], v[16:17], v[20:21]
	v_mov_b32_e32 v16, v67
	v_pk_mul_f32 v[16:17], v[8:9], v[16:17] op_sel_hi:[1,0]
	v_pk_fma_f32 v[18:19], v[8:9], v[66:67], v[16:17] op_sel:[0,0,1] op_sel_hi:[1,1,0] neg_lo:[0,0,1] neg_hi:[0,0,1]
	v_pk_fma_f32 v[8:9], v[8:9], v[66:67], v[16:17] op_sel:[0,0,1] op_sel_hi:[1,0,0]
	v_mov_b32_e32 v8, v65
	v_mov_b32_e32 v19, v9
	s_waitcnt lgkmcnt(1)
	v_pk_mul_f32 v[8:9], v[10:11], v[8:9] op_sel_hi:[1,0]
	v_pk_fma_f32 v[16:17], v[10:11], v[64:65], v[8:9] op_sel:[0,0,1] op_sel_hi:[1,1,0] neg_lo:[0,0,1] neg_hi:[0,0,1]
	v_pk_fma_f32 v[8:9], v[10:11], v[64:65], v[8:9] op_sel:[0,0,1] op_sel_hi:[1,0,0]
	s_waitcnt vmcnt(1)
	v_mov_b32_e32 v8, v75
	v_mov_b32_e32 v17, v9
	v_pk_mul_f32 v[8:9], v[12:13], v[8:9] op_sel_hi:[1,0]
	s_waitcnt vmcnt(0)
	v_pk_fma_f32 v[10:11], v[12:13], v[74:75], v[8:9] op_sel:[0,0,1] op_sel_hi:[1,1,0] neg_lo:[0,0,1] neg_hi:[0,0,1]
	v_pk_fma_f32 v[8:9], v[12:13], v[74:75], v[8:9] op_sel:[0,0,1] op_sel_hi:[1,0,0]
	v_pk_add_f32 v[6:7], v[6:7], v[18:19]
	v_mov_b32_e32 v8, v73
	v_pk_add_f32 v[6:7], v[6:7], v[16:17]
	v_mov_b32_e32 v11, v9
	s_waitcnt lgkmcnt(0)
	v_pk_mul_f32 v[8:9], v[14:15], v[8:9] op_sel_hi:[1,0]
	v_pk_add_f32 v[6:7], v[6:7], v[10:11]
	v_pk_fma_f32 v[10:11], v[14:15], v[72:73], v[8:9] op_sel:[0,0,1] op_sel_hi:[1,1,0] neg_lo:[0,0,1] neg_hi:[0,0,1]
	v_pk_fma_f32 v[8:9], v[14:15], v[72:73], v[8:9] op_sel:[0,0,1] op_sel_hi:[1,0,0]
	v_mov_b32_e32 v11, v9
	v_pk_add_f32 v[6:7], v[6:7], v[10:11]
	v_pk_add_f32 v[2:3], v[2:3], v[6:7] neg_lo:[0,1] neg_hi:[0,1]
	buffer_store_dword v3, off, s[0:3], 0 offset:140
	buffer_store_dword v2, off, s[0:3], 0 offset:136
	s_and_saveexec_b64 s[4:5], vcc
	s_cbranch_execz .LBB110_263
; %bb.262:
	buffer_load_dword v2, off, s[0:3], 0 offset:128
	buffer_load_dword v3, off, s[0:3], 0 offset:132
	s_waitcnt vmcnt(0)
	ds_write_b64 v89, v[2:3]
	buffer_store_dword v4, off, s[0:3], 0 offset:128
	buffer_store_dword v4, off, s[0:3], 0 offset:132
.LBB110_263:
	s_or_b64 exec, exec, s[4:5]
	s_waitcnt lgkmcnt(0)
	; wave barrier
	s_waitcnt lgkmcnt(0)
	buffer_load_dword v5, off, s[0:3], 0 offset:140
	buffer_load_dword v56, off, s[0:3], 0 offset:148
	;; [unrolled: 1-line block ×46, first 2 shown]
	ds_read2_b64 v[6:9], v4 offset0:65 offset1:66
	ds_read2_b64 v[10:13], v4 offset0:67 offset1:68
	;; [unrolled: 1-line block ×8, first 2 shown]
	v_cmp_lt_u32_e32 vcc, 15, v0
	s_waitcnt vmcnt(45) lgkmcnt(7)
	v_mul_f32_e32 v38, v6, v5
	s_waitcnt vmcnt(44)
	v_mul_f32_e32 v39, v8, v56
	s_waitcnt vmcnt(43) lgkmcnt(6)
	v_mul_f32_e32 v40, v10, v58
	s_waitcnt vmcnt(42)
	v_mul_f32_e32 v41, v12, v60
	;; [unrolled: 4-line block ×6, first 2 shown]
	s_waitcnt vmcnt(33) lgkmcnt(1)
	v_mul_f32_e32 v50, v30, v178
	s_waitcnt vmcnt(32)
	v_fmac_f32_e32 v38, v7, v179
	s_waitcnt vmcnt(31)
	v_fmac_f32_e32 v39, v9, v180
	v_add_f32_e32 v38, 0, v38
	s_waitcnt vmcnt(30)
	v_fmac_f32_e32 v40, v11, v181
	v_add_f32_e32 v38, v38, v39
	;; [unrolled: 3-line block ×12, first 2 shown]
	s_waitcnt vmcnt(19)
	v_mul_f32_e32 v39, v32, v192
	v_add_f32_e32 v38, v38, v50
	s_waitcnt vmcnt(18)
	v_fmac_f32_e32 v39, v33, v193
	v_add_f32_e32 v38, v38, v39
	s_waitcnt vmcnt(17) lgkmcnt(0)
	v_mul_f32_e32 v39, v34, v194
	s_waitcnt vmcnt(16)
	v_fmac_f32_e32 v39, v35, v195
	v_add_f32_e32 v42, v38, v39
	ds_read2_b64 v[38:41], v4 offset0:81 offset1:82
	s_waitcnt vmcnt(15)
	v_mul_f32_e32 v43, v36, v196
	s_waitcnt vmcnt(14)
	v_fmac_f32_e32 v43, v37, v197
	v_add_f32_e32 v46, v42, v43
	ds_read2_b64 v[42:45], v4 offset0:83 offset1:84
	buffer_load_dword v55, off, s[0:3], 0 offset:316
	buffer_load_dword v54, off, s[0:3], 0 offset:312
	s_waitcnt vmcnt(15) lgkmcnt(1)
	v_mul_f32_e32 v47, v38, v198
	s_waitcnt vmcnt(14)
	v_fmac_f32_e32 v47, v39, v199
	v_add_f32_e32 v46, v46, v47
	s_waitcnt vmcnt(13)
	v_mul_f32_e32 v47, v40, v200
	s_waitcnt vmcnt(12)
	v_fmac_f32_e32 v47, v41, v201
	v_add_f32_e32 v46, v46, v47
	s_waitcnt vmcnt(11) lgkmcnt(0)
	v_mul_f32_e32 v47, v42, v202
	s_waitcnt vmcnt(10)
	v_fmac_f32_e32 v47, v43, v203
	s_waitcnt vmcnt(9)
	v_mul_f32_e32 v51, v44, v204
	v_add_f32_e32 v50, v46, v47
	s_waitcnt vmcnt(8)
	v_fmac_f32_e32 v51, v45, v205
	ds_read2_b64 v[46:49], v4 offset0:85 offset1:86
	v_add_f32_e32 v57, v50, v51
	ds_read2_b64 v[50:53], v4 offset0:87 offset1:88
	buffer_load_dword v63, off, s[0:3], 0 offset:348
	buffer_load_dword v62, off, s[0:3], 0 offset:344
	;; [unrolled: 1-line block ×14, first 2 shown]
	v_mul_f32_e32 v5, v7, v5
	v_fma_f32 v5, v6, v179, -v5
	v_mul_f32_e32 v6, v9, v56
	v_add_f32_e32 v5, 0, v5
	v_fma_f32 v6, v8, v180, -v6
	v_add_f32_e32 v5, v5, v6
	v_mul_f32_e32 v6, v11, v58
	v_fma_f32 v6, v10, v181, -v6
	v_add_f32_e32 v5, v5, v6
	v_mul_f32_e32 v6, v13, v60
	;; [unrolled: 3-line block ×18, first 2 shown]
	v_fma_f32 v6, v44, v205, -v6
	s_waitcnt vmcnt(21) lgkmcnt(1)
	v_mul_f32_e32 v59, v46, v206
	v_add_f32_e32 v56, v5, v6
	v_mul_f32_e32 v5, v47, v206
	s_waitcnt vmcnt(20)
	v_fmac_f32_e32 v59, v47, v207
	s_waitcnt vmcnt(15)
	v_mov_b32_e32 v18, v55
	s_waitcnt lgkmcnt(0)
	v_pk_mul_f32 v[18:19], v[50:51], v[18:19] op_sel_hi:[1,0]
	v_mul_f32_e32 v61, v48, v208
	v_fma_f32 v58, v46, v207, -v5
	v_mul_f32_e32 v5, v49, v208
	s_waitcnt vmcnt(14)
	v_pk_fma_f32 v[20:21], v[50:51], v[54:55], v[18:19] op_sel:[0,0,1] op_sel_hi:[1,1,0] neg_lo:[0,0,1] neg_hi:[0,0,1]
	v_pk_fma_f32 v[18:19], v[50:51], v[54:55], v[18:19] op_sel:[0,0,1] op_sel_hi:[1,0,0]
	v_fmac_f32_e32 v61, v49, v209
	v_fma_f32 v60, v48, v209, -v5
	ds_read2_b64 v[6:9], v4 offset0:89 offset1:90
	ds_read2_b64 v[10:13], v4 offset0:91 offset1:92
	;; [unrolled: 1-line block ×3, first 2 shown]
	v_pk_add_f32 v[4:5], v[56:57], v[58:59]
	s_waitcnt vmcnt(7)
	v_mov_b32_e32 v18, v69
	v_pk_add_f32 v[4:5], v[4:5], v[60:61]
	v_mov_b32_e32 v21, v19
	v_pk_mul_f32 v[18:19], v[52:53], v[18:19] op_sel_hi:[1,0]
	v_pk_add_f32 v[4:5], v[4:5], v[20:21]
	s_waitcnt vmcnt(6)
	v_pk_fma_f32 v[20:21], v[52:53], v[68:69], v[18:19] op_sel:[0,0,1] op_sel_hi:[1,1,0] neg_lo:[0,0,1] neg_hi:[0,0,1]
	v_pk_fma_f32 v[18:19], v[52:53], v[68:69], v[18:19] op_sel:[0,0,1] op_sel_hi:[1,0,0]
	v_mov_b32_e32 v18, v67
	v_mov_b32_e32 v21, v19
	s_waitcnt lgkmcnt(2)
	v_pk_mul_f32 v[18:19], v[6:7], v[18:19] op_sel_hi:[1,0]
	v_pk_add_f32 v[4:5], v[4:5], v[20:21]
	v_pk_fma_f32 v[20:21], v[6:7], v[66:67], v[18:19] op_sel:[0,0,1] op_sel_hi:[1,1,0] neg_lo:[0,0,1] neg_hi:[0,0,1]
	v_pk_fma_f32 v[6:7], v[6:7], v[66:67], v[18:19] op_sel:[0,0,1] op_sel_hi:[1,0,0]
	v_mov_b32_e32 v6, v65
	v_mov_b32_e32 v21, v7
	v_pk_mul_f32 v[6:7], v[8:9], v[6:7] op_sel_hi:[1,0]
	v_pk_fma_f32 v[18:19], v[8:9], v[64:65], v[6:7] op_sel:[0,0,1] op_sel_hi:[1,1,0] neg_lo:[0,0,1] neg_hi:[0,0,1]
	v_pk_fma_f32 v[6:7], v[8:9], v[64:65], v[6:7] op_sel:[0,0,1] op_sel_hi:[1,0,0]
	v_mov_b32_e32 v6, v63
	v_mov_b32_e32 v19, v7
	s_waitcnt lgkmcnt(1)
	v_pk_mul_f32 v[6:7], v[10:11], v[6:7] op_sel_hi:[1,0]
	v_pk_fma_f32 v[8:9], v[10:11], v[62:63], v[6:7] op_sel:[0,0,1] op_sel_hi:[1,1,0] neg_lo:[0,0,1] neg_hi:[0,0,1]
	v_pk_fma_f32 v[6:7], v[10:11], v[62:63], v[6:7] op_sel:[0,0,1] op_sel_hi:[1,0,0]
	v_pk_add_f32 v[4:5], v[4:5], v[20:21]
	s_waitcnt vmcnt(1)
	v_mov_b32_e32 v6, v75
	v_pk_add_f32 v[4:5], v[4:5], v[18:19]
	v_mov_b32_e32 v9, v7
	v_pk_mul_f32 v[6:7], v[12:13], v[6:7] op_sel_hi:[1,0]
	v_pk_add_f32 v[4:5], v[4:5], v[8:9]
	s_waitcnt vmcnt(0)
	v_pk_fma_f32 v[8:9], v[12:13], v[74:75], v[6:7] op_sel:[0,0,1] op_sel_hi:[1,1,0] neg_lo:[0,0,1] neg_hi:[0,0,1]
	v_pk_fma_f32 v[6:7], v[12:13], v[74:75], v[6:7] op_sel:[0,0,1] op_sel_hi:[1,0,0]
	v_mov_b32_e32 v6, v73
	v_mov_b32_e32 v9, v7
	s_waitcnt lgkmcnt(0)
	v_pk_mul_f32 v[6:7], v[14:15], v[6:7] op_sel_hi:[1,0]
	v_pk_add_f32 v[4:5], v[4:5], v[8:9]
	v_pk_fma_f32 v[8:9], v[14:15], v[72:73], v[6:7] op_sel:[0,0,1] op_sel_hi:[1,1,0] neg_lo:[0,0,1] neg_hi:[0,0,1]
	v_pk_fma_f32 v[6:7], v[14:15], v[72:73], v[6:7] op_sel:[0,0,1] op_sel_hi:[1,0,0]
	v_mov_b32_e32 v6, v71
	v_mov_b32_e32 v9, v7
	v_pk_mul_f32 v[6:7], v[16:17], v[6:7] op_sel_hi:[1,0]
	v_pk_add_f32 v[4:5], v[4:5], v[8:9]
	v_pk_fma_f32 v[8:9], v[16:17], v[70:71], v[6:7] op_sel:[0,0,1] op_sel_hi:[1,1,0] neg_lo:[0,0,1] neg_hi:[0,0,1]
	v_pk_fma_f32 v[6:7], v[16:17], v[70:71], v[6:7] op_sel:[0,0,1] op_sel_hi:[1,0,0]
	v_mov_b32_e32 v9, v7
	v_pk_add_f32 v[4:5], v[4:5], v[8:9]
	v_pk_add_f32 v[2:3], v[2:3], v[4:5] neg_lo:[0,1] neg_hi:[0,1]
	buffer_store_dword v3, off, s[0:3], 0 offset:132
	buffer_store_dword v2, off, s[0:3], 0 offset:128
	s_and_saveexec_b64 s[4:5], vcc
	s_cbranch_execz .LBB110_265
; %bb.264:
	buffer_load_dword v2, off, s[0:3], 0 offset:120
	buffer_load_dword v3, off, s[0:3], 0 offset:124
	v_mov_b32_e32 v4, 0
	buffer_store_dword v4, off, s[0:3], 0 offset:120
	buffer_store_dword v4, off, s[0:3], 0 offset:124
	s_waitcnt vmcnt(2)
	ds_write_b64 v89, v[2:3]
.LBB110_265:
	s_or_b64 exec, exec, s[4:5]
	s_waitcnt lgkmcnt(0)
	; wave barrier
	s_waitcnt lgkmcnt(0)
	buffer_load_dword v5, off, s[0:3], 0 offset:132
	buffer_load_dword v54, off, s[0:3], 0 offset:140
	;; [unrolled: 1-line block ×48, first 2 shown]
	v_mov_b32_e32 v4, 0
	ds_read_b128 v[6:9], v4 offset:512
	ds_read_b128 v[10:13], v4 offset:528
	;; [unrolled: 1-line block ×6, first 2 shown]
	v_cmp_lt_u32_e32 vcc, 14, v0
	s_waitcnt vmcnt(47) lgkmcnt(5)
	v_mul_f32_e32 v30, v6, v5
	s_waitcnt vmcnt(46)
	v_mul_f32_e32 v31, v8, v54
	s_waitcnt vmcnt(45) lgkmcnt(4)
	v_mul_f32_e32 v32, v10, v56
	s_waitcnt vmcnt(44)
	v_mul_f32_e32 v33, v12, v58
	;; [unrolled: 4-line block ×6, first 2 shown]
	s_waitcnt vmcnt(35)
	v_fmac_f32_e32 v30, v7, v178
	s_waitcnt vmcnt(34)
	v_fmac_f32_e32 v31, v9, v179
	v_add_f32_e32 v30, 0, v30
	s_waitcnt vmcnt(33)
	v_fmac_f32_e32 v32, v11, v180
	v_add_f32_e32 v30, v30, v31
	;; [unrolled: 3-line block ×8, first 2 shown]
	v_add_f32_e32 v34, v30, v38
	ds_read_b128 v[30:33], v4 offset:608
	s_waitcnt vmcnt(26)
	v_fmac_f32_e32 v39, v25, v187
	s_waitcnt vmcnt(25)
	v_fmac_f32_e32 v40, v27, v188
	v_add_f32_e32 v34, v34, v39
	s_waitcnt vmcnt(24)
	v_fmac_f32_e32 v41, v29, v189
	v_add_f32_e32 v34, v34, v40
	v_add_f32_e32 v38, v34, v41
	ds_read_b128 v[34:37], v4 offset:624
	s_waitcnt vmcnt(23) lgkmcnt(1)
	v_mul_f32_e32 v39, v30, v190
	s_waitcnt vmcnt(22)
	v_fmac_f32_e32 v39, v31, v191
	v_add_f32_e32 v38, v38, v39
	s_waitcnt vmcnt(21)
	v_mul_f32_e32 v39, v32, v192
	s_waitcnt vmcnt(20)
	v_fmac_f32_e32 v39, v33, v193
	v_add_f32_e32 v38, v38, v39
	s_waitcnt vmcnt(19) lgkmcnt(0)
	v_mul_f32_e32 v39, v34, v194
	s_waitcnt vmcnt(18)
	v_fmac_f32_e32 v39, v35, v195
	v_add_f32_e32 v42, v38, v39
	ds_read_b128 v[38:41], v4 offset:640
	s_waitcnt vmcnt(17)
	v_mul_f32_e32 v43, v36, v196
	s_waitcnt vmcnt(16)
	v_fmac_f32_e32 v43, v37, v197
	v_add_f32_e32 v46, v42, v43
	ds_read_b128 v[42:45], v4 offset:656
	s_waitcnt vmcnt(15) lgkmcnt(1)
	v_mul_f32_e32 v47, v38, v198
	s_waitcnt vmcnt(14)
	v_fmac_f32_e32 v47, v39, v199
	v_add_f32_e32 v46, v46, v47
	s_waitcnt vmcnt(13)
	v_mul_f32_e32 v47, v40, v200
	s_waitcnt vmcnt(12)
	v_fmac_f32_e32 v47, v41, v201
	v_add_f32_e32 v46, v46, v47
	s_waitcnt vmcnt(11) lgkmcnt(0)
	v_mul_f32_e32 v47, v42, v202
	s_waitcnt vmcnt(10)
	v_fmac_f32_e32 v47, v43, v203
	s_waitcnt vmcnt(9)
	v_mul_f32_e32 v51, v44, v204
	v_add_f32_e32 v50, v46, v47
	s_waitcnt vmcnt(8)
	v_fmac_f32_e32 v51, v45, v205
	ds_read_b128 v[46:49], v4 offset:672
	v_add_f32_e32 v55, v50, v51
	ds_read_b128 v[50:53], v4 offset:688
	buffer_load_dword v61, off, s[0:3], 0 offset:340
	buffer_load_dword v60, off, s[0:3], 0 offset:336
	buffer_load_dword v63, off, s[0:3], 0 offset:332
	buffer_load_dword v62, off, s[0:3], 0 offset:328
	buffer_load_dword v65, off, s[0:3], 0 offset:324
	buffer_load_dword v64, off, s[0:3], 0 offset:320
	buffer_load_dword v67, off, s[0:3], 0 offset:316
	buffer_load_dword v66, off, s[0:3], 0 offset:312
	buffer_load_dword v69, off, s[0:3], 0 offset:372
	buffer_load_dword v68, off, s[0:3], 0 offset:368
	buffer_load_dword v71, off, s[0:3], 0 offset:364
	buffer_load_dword v70, off, s[0:3], 0 offset:360
	buffer_load_dword v73, off, s[0:3], 0 offset:356
	buffer_load_dword v72, off, s[0:3], 0 offset:352
	buffer_load_dword v75, off, s[0:3], 0 offset:348
	buffer_load_dword v74, off, s[0:3], 0 offset:344
	v_mul_f32_e32 v5, v7, v5
	v_fma_f32 v5, v6, v178, -v5
	v_mul_f32_e32 v6, v9, v54
	v_add_f32_e32 v5, 0, v5
	v_fma_f32 v6, v8, v179, -v6
	v_add_f32_e32 v5, v5, v6
	v_mul_f32_e32 v6, v11, v56
	v_fma_f32 v6, v10, v180, -v6
	v_add_f32_e32 v5, v5, v6
	v_mul_f32_e32 v6, v13, v58
	;; [unrolled: 3-line block ×18, first 2 shown]
	v_fma_f32 v6, v44, v205, -v6
	s_waitcnt vmcnt(22) lgkmcnt(1)
	v_mul_f32_e32 v57, v46, v207
	v_add_f32_e32 v5, v5, v6
	v_mul_f32_e32 v6, v47, v207
	v_fmac_f32_e32 v57, v47, v206
	v_fma_f32 v6, v46, v206, -v6
	v_add_f32_e32 v55, v55, v57
	s_waitcnt vmcnt(19)
	v_mul_f32_e32 v57, v48, v208
	v_add_f32_e32 v54, v5, v6
	v_mul_f32_e32 v5, v49, v208
	s_waitcnt vmcnt(18)
	v_fmac_f32_e32 v57, v49, v209
	s_waitcnt vmcnt(17) lgkmcnt(0)
	v_mul_f32_e32 v59, v50, v210
	s_waitcnt vmcnt(9)
	v_mov_b32_e32 v22, v67
	v_pk_mul_f32 v[22:23], v[52:53], v[22:23] op_sel_hi:[1,0]
	v_fma_f32 v56, v48, v209, -v5
	v_mul_f32_e32 v5, v51, v210
	ds_read_b128 v[6:9], v4 offset:704
	ds_read_b128 v[10:13], v4 offset:720
	;; [unrolled: 1-line block ×3, first 2 shown]
	ds_read_b64 v[18:19], v4 offset:752
	s_waitcnt vmcnt(8)
	v_pk_fma_f32 v[24:25], v[52:53], v[66:67], v[22:23] op_sel:[0,0,1] op_sel_hi:[1,1,0] neg_lo:[0,0,1] neg_hi:[0,0,1]
	v_pk_fma_f32 v[22:23], v[52:53], v[66:67], v[22:23] op_sel:[0,0,1] op_sel_hi:[1,0,0]
	v_fmac_f32_e32 v59, v51, v211
	v_fma_f32 v58, v50, v211, -v5
	v_pk_add_f32 v[20:21], v[54:55], v[56:57]
	v_mov_b32_e32 v22, v65
	v_pk_add_f32 v[20:21], v[20:21], v[58:59]
	v_mov_b32_e32 v25, v23
	s_waitcnt lgkmcnt(3)
	v_pk_mul_f32 v[22:23], v[6:7], v[22:23] op_sel_hi:[1,0]
	v_pk_add_f32 v[20:21], v[20:21], v[24:25]
	v_pk_fma_f32 v[24:25], v[6:7], v[64:65], v[22:23] op_sel:[0,0,1] op_sel_hi:[1,1,0] neg_lo:[0,0,1] neg_hi:[0,0,1]
	v_pk_fma_f32 v[6:7], v[6:7], v[64:65], v[22:23] op_sel:[0,0,1] op_sel_hi:[1,0,0]
	v_mov_b32_e32 v25, v7
	v_pk_add_f32 v[6:7], v[20:21], v[24:25]
	v_mov_b32_e32 v20, v63
	v_pk_mul_f32 v[20:21], v[8:9], v[20:21] op_sel_hi:[1,0]
	v_pk_fma_f32 v[22:23], v[8:9], v[62:63], v[20:21] op_sel:[0,0,1] op_sel_hi:[1,1,0] neg_lo:[0,0,1] neg_hi:[0,0,1]
	v_pk_fma_f32 v[8:9], v[8:9], v[62:63], v[20:21] op_sel:[0,0,1] op_sel_hi:[1,0,0]
	v_mov_b32_e32 v8, v61
	v_mov_b32_e32 v23, v9
	s_waitcnt lgkmcnt(2)
	v_pk_mul_f32 v[8:9], v[10:11], v[8:9] op_sel_hi:[1,0]
	v_pk_fma_f32 v[20:21], v[10:11], v[60:61], v[8:9] op_sel:[0,0,1] op_sel_hi:[1,1,0] neg_lo:[0,0,1] neg_hi:[0,0,1]
	v_pk_fma_f32 v[8:9], v[10:11], v[60:61], v[8:9] op_sel:[0,0,1] op_sel_hi:[1,0,0]
	s_waitcnt vmcnt(1)
	v_mov_b32_e32 v8, v75
	v_mov_b32_e32 v21, v9
	v_pk_mul_f32 v[8:9], v[12:13], v[8:9] op_sel_hi:[1,0]
	s_waitcnt vmcnt(0)
	v_pk_fma_f32 v[10:11], v[12:13], v[74:75], v[8:9] op_sel:[0,0,1] op_sel_hi:[1,1,0] neg_lo:[0,0,1] neg_hi:[0,0,1]
	v_pk_fma_f32 v[8:9], v[12:13], v[74:75], v[8:9] op_sel:[0,0,1] op_sel_hi:[1,0,0]
	v_pk_add_f32 v[6:7], v[6:7], v[22:23]
	v_mov_b32_e32 v8, v73
	v_pk_add_f32 v[6:7], v[6:7], v[20:21]
	v_mov_b32_e32 v11, v9
	s_waitcnt lgkmcnt(1)
	v_pk_mul_f32 v[8:9], v[14:15], v[8:9] op_sel_hi:[1,0]
	v_pk_add_f32 v[6:7], v[6:7], v[10:11]
	v_pk_fma_f32 v[10:11], v[14:15], v[72:73], v[8:9] op_sel:[0,0,1] op_sel_hi:[1,1,0] neg_lo:[0,0,1] neg_hi:[0,0,1]
	v_pk_fma_f32 v[8:9], v[14:15], v[72:73], v[8:9] op_sel:[0,0,1] op_sel_hi:[1,0,0]
	v_mov_b32_e32 v8, v71
	v_mov_b32_e32 v11, v9
	v_pk_mul_f32 v[8:9], v[16:17], v[8:9] op_sel_hi:[1,0]
	v_pk_add_f32 v[6:7], v[6:7], v[10:11]
	v_pk_fma_f32 v[10:11], v[16:17], v[70:71], v[8:9] op_sel:[0,0,1] op_sel_hi:[1,1,0] neg_lo:[0,0,1] neg_hi:[0,0,1]
	v_pk_fma_f32 v[8:9], v[16:17], v[70:71], v[8:9] op_sel:[0,0,1] op_sel_hi:[1,0,0]
	v_mov_b32_e32 v8, v69
	v_mov_b32_e32 v11, v9
	s_waitcnt lgkmcnt(0)
	v_pk_mul_f32 v[8:9], v[18:19], v[8:9] op_sel_hi:[1,0]
	v_pk_add_f32 v[6:7], v[6:7], v[10:11]
	v_pk_fma_f32 v[10:11], v[18:19], v[68:69], v[8:9] op_sel:[0,0,1] op_sel_hi:[1,1,0] neg_lo:[0,0,1] neg_hi:[0,0,1]
	v_pk_fma_f32 v[8:9], v[18:19], v[68:69], v[8:9] op_sel:[0,0,1] op_sel_hi:[1,0,0]
	v_mov_b32_e32 v11, v9
	v_pk_add_f32 v[6:7], v[6:7], v[10:11]
	v_pk_add_f32 v[2:3], v[2:3], v[6:7] neg_lo:[0,1] neg_hi:[0,1]
	buffer_store_dword v3, off, s[0:3], 0 offset:124
	buffer_store_dword v2, off, s[0:3], 0 offset:120
	s_and_saveexec_b64 s[4:5], vcc
	s_cbranch_execz .LBB110_267
; %bb.266:
	buffer_load_dword v2, off, s[0:3], 0 offset:112
	buffer_load_dword v3, off, s[0:3], 0 offset:116
	s_waitcnt vmcnt(0)
	ds_write_b64 v89, v[2:3]
	buffer_store_dword v4, off, s[0:3], 0 offset:112
	buffer_store_dword v4, off, s[0:3], 0 offset:116
.LBB110_267:
	s_or_b64 exec, exec, s[4:5]
	s_waitcnt lgkmcnt(0)
	; wave barrier
	s_waitcnt lgkmcnt(0)
	buffer_load_dword v5, off, s[0:3], 0 offset:124
	buffer_load_dword v54, off, s[0:3], 0 offset:132
	;; [unrolled: 1-line block ×48, first 2 shown]
	ds_read2_b64 v[6:9], v4 offset0:63 offset1:64
	ds_read2_b64 v[10:13], v4 offset0:65 offset1:66
	;; [unrolled: 1-line block ×6, first 2 shown]
	buffer_load_dword v212, off, s[0:3], 0 offset:304
	buffer_load_dword v213, off, s[0:3], 0 offset:308
	v_cmp_lt_u32_e32 vcc, 13, v0
	s_waitcnt vmcnt(49) lgkmcnt(5)
	v_mul_f32_e32 v30, v6, v5
	s_waitcnt vmcnt(48)
	v_mul_f32_e32 v31, v8, v54
	s_waitcnt vmcnt(47) lgkmcnt(4)
	v_mul_f32_e32 v32, v10, v56
	s_waitcnt vmcnt(46)
	v_mul_f32_e32 v33, v12, v64
	;; [unrolled: 4-line block ×6, first 2 shown]
	s_waitcnt vmcnt(37)
	v_fmac_f32_e32 v30, v7, v178
	s_waitcnt vmcnt(36)
	v_fmac_f32_e32 v31, v9, v179
	v_add_f32_e32 v30, 0, v30
	s_waitcnt vmcnt(35)
	v_fmac_f32_e32 v32, v11, v180
	v_add_f32_e32 v30, v30, v31
	;; [unrolled: 3-line block ×9, first 2 shown]
	v_add_f32_e32 v34, v30, v39
	ds_read2_b64 v[30:33], v4 offset0:75 offset1:76
	s_waitcnt vmcnt(27)
	v_fmac_f32_e32 v40, v27, v188
	v_add_f32_e32 v34, v34, v40
	s_waitcnt vmcnt(26)
	v_fmac_f32_e32 v41, v29, v189
	v_add_f32_e32 v38, v34, v41
	ds_read2_b64 v[34:37], v4 offset0:77 offset1:78
	s_waitcnt vmcnt(25) lgkmcnt(1)
	v_mul_f32_e32 v39, v30, v190
	s_waitcnt vmcnt(24)
	v_fmac_f32_e32 v39, v31, v191
	v_add_f32_e32 v38, v38, v39
	s_waitcnt vmcnt(23)
	v_mul_f32_e32 v39, v32, v192
	s_waitcnt vmcnt(22)
	v_fmac_f32_e32 v39, v33, v193
	v_add_f32_e32 v38, v38, v39
	s_waitcnt vmcnt(21) lgkmcnt(0)
	v_mul_f32_e32 v39, v34, v194
	s_waitcnt vmcnt(20)
	v_fmac_f32_e32 v39, v35, v195
	v_add_f32_e32 v42, v38, v39
	ds_read2_b64 v[38:41], v4 offset0:79 offset1:80
	s_waitcnt vmcnt(19)
	v_mul_f32_e32 v43, v36, v196
	s_waitcnt vmcnt(18)
	v_fmac_f32_e32 v43, v37, v197
	v_add_f32_e32 v46, v42, v43
	ds_read2_b64 v[42:45], v4 offset0:81 offset1:82
	s_waitcnt vmcnt(17) lgkmcnt(1)
	v_mul_f32_e32 v47, v38, v198
	s_waitcnt vmcnt(16)
	v_fmac_f32_e32 v47, v39, v199
	v_add_f32_e32 v46, v46, v47
	s_waitcnt vmcnt(15)
	v_mul_f32_e32 v47, v40, v200
	s_waitcnt vmcnt(14)
	v_fmac_f32_e32 v47, v41, v201
	v_add_f32_e32 v46, v46, v47
	s_waitcnt vmcnt(13) lgkmcnt(0)
	v_mul_f32_e32 v47, v42, v202
	s_waitcnt vmcnt(12)
	v_fmac_f32_e32 v47, v43, v203
	s_waitcnt vmcnt(11)
	v_mul_f32_e32 v51, v44, v204
	v_add_f32_e32 v50, v46, v47
	s_waitcnt vmcnt(10)
	v_fmac_f32_e32 v51, v45, v205
	ds_read2_b64 v[46:49], v4 offset0:83 offset1:84
	v_add_f32_e32 v55, v50, v51
	ds_read2_b64 v[50:53], v4 offset0:85 offset1:86
	buffer_load_dword v59, off, s[0:3], 0 offset:332
	buffer_load_dword v58, off, s[0:3], 0 offset:328
	;; [unrolled: 1-line block ×16, first 2 shown]
	v_mul_f32_e32 v5, v7, v5
	v_fma_f32 v5, v6, v178, -v5
	v_mul_f32_e32 v6, v9, v54
	v_add_f32_e32 v5, 0, v5
	v_fma_f32 v6, v8, v179, -v6
	v_add_f32_e32 v5, v5, v6
	v_mul_f32_e32 v6, v11, v56
	v_fma_f32 v6, v10, v180, -v6
	v_add_f32_e32 v5, v5, v6
	v_mul_f32_e32 v6, v13, v64
	;; [unrolled: 3-line block ×18, first 2 shown]
	v_fma_f32 v6, v44, v205, -v6
	v_add_f32_e32 v5, v5, v6
	s_waitcnt vmcnt(23) lgkmcnt(1)
	v_mul_f32_e32 v6, v47, v206
	s_waitcnt vmcnt(22)
	v_fma_f32 v6, v46, v207, -v6
	v_add_f32_e32 v5, v5, v6
	s_waitcnt vmcnt(20)
	v_mul_f32_e32 v6, v49, v209
	v_fma_f32 v6, v48, v208, -v6
	v_add_f32_e32 v54, v5, v6
	ds_read2_b64 v[6:9], v4 offset0:87 offset1:88
	ds_read2_b64 v[10:13], v4 offset0:89 offset1:90
	ds_read2_b64 v[14:17], v4 offset0:91 offset1:92
	ds_read2_b64 v[18:21], v4 offset0:93 offset1:94
	v_mul_f32_e32 v57, v46, v206
	v_fmac_f32_e32 v57, v47, v207
	v_add_f32_e32 v55, v55, v57
	v_mul_f32_e32 v57, v48, v209
	v_fmac_f32_e32 v57, v49, v208
	v_add_f32_e32 v55, v55, v57
	s_waitcnt vmcnt(18) lgkmcnt(4)
	v_mul_f32_e32 v57, v50, v211
	v_mul_f32_e32 v5, v51, v211
	v_fmac_f32_e32 v57, v51, v210
	s_waitcnt vmcnt(16)
	v_mul_f32_e32 v65, v52, v213
	s_waitcnt vmcnt(11)
	v_mov_b32_e32 v22, v63
	s_waitcnt lgkmcnt(3)
	v_pk_mul_f32 v[22:23], v[6:7], v[22:23] op_sel_hi:[1,0]
	s_waitcnt vmcnt(10)
	v_pk_fma_f32 v[24:25], v[6:7], v[62:63], v[22:23] op_sel:[0,0,1] op_sel_hi:[1,1,0] neg_lo:[0,0,1] neg_hi:[0,0,1]
	v_pk_fma_f32 v[6:7], v[6:7], v[62:63], v[22:23] op_sel:[0,0,1] op_sel_hi:[1,0,0]
	v_mov_b32_e32 v6, v61
	v_mov_b32_e32 v25, v7
	v_pk_mul_f32 v[6:7], v[8:9], v[6:7] op_sel_hi:[1,0]
	v_pk_fma_f32 v[22:23], v[8:9], v[60:61], v[6:7] op_sel:[0,0,1] op_sel_hi:[1,1,0] neg_lo:[0,0,1] neg_hi:[0,0,1]
	v_pk_fma_f32 v[6:7], v[8:9], v[60:61], v[6:7] op_sel:[0,0,1] op_sel_hi:[1,0,0]
	v_fma_f32 v56, v50, v210, -v5
	v_mul_f32_e32 v5, v53, v213
	v_mov_b32_e32 v6, v59
	v_fmac_f32_e32 v65, v53, v212
	v_fma_f32 v64, v52, v212, -v5
	v_pk_add_f32 v[4:5], v[54:55], v[56:57]
	v_mov_b32_e32 v23, v7
	s_waitcnt lgkmcnt(2)
	v_pk_mul_f32 v[6:7], v[10:11], v[6:7] op_sel_hi:[1,0]
	v_pk_add_f32 v[4:5], v[4:5], v[64:65]
	v_pk_fma_f32 v[8:9], v[10:11], v[58:59], v[6:7] op_sel:[0,0,1] op_sel_hi:[1,1,0] neg_lo:[0,0,1] neg_hi:[0,0,1]
	v_pk_fma_f32 v[6:7], v[10:11], v[58:59], v[6:7] op_sel:[0,0,1] op_sel_hi:[1,0,0]
	v_pk_add_f32 v[4:5], v[4:5], v[24:25]
	s_waitcnt vmcnt(3)
	v_mov_b32_e32 v6, v73
	v_pk_add_f32 v[4:5], v[4:5], v[22:23]
	v_mov_b32_e32 v9, v7
	v_pk_mul_f32 v[6:7], v[12:13], v[6:7] op_sel_hi:[1,0]
	v_pk_add_f32 v[4:5], v[4:5], v[8:9]
	s_waitcnt vmcnt(2)
	v_pk_fma_f32 v[8:9], v[12:13], v[72:73], v[6:7] op_sel:[0,0,1] op_sel_hi:[1,1,0] neg_lo:[0,0,1] neg_hi:[0,0,1]
	v_pk_fma_f32 v[6:7], v[12:13], v[72:73], v[6:7] op_sel:[0,0,1] op_sel_hi:[1,0,0]
	v_mov_b32_e32 v6, v71
	v_mov_b32_e32 v9, v7
	s_waitcnt lgkmcnt(1)
	v_pk_mul_f32 v[6:7], v[14:15], v[6:7] op_sel_hi:[1,0]
	v_pk_add_f32 v[4:5], v[4:5], v[8:9]
	v_pk_fma_f32 v[8:9], v[14:15], v[70:71], v[6:7] op_sel:[0,0,1] op_sel_hi:[1,1,0] neg_lo:[0,0,1] neg_hi:[0,0,1]
	v_pk_fma_f32 v[6:7], v[14:15], v[70:71], v[6:7] op_sel:[0,0,1] op_sel_hi:[1,0,0]
	v_mov_b32_e32 v6, v69
	v_mov_b32_e32 v9, v7
	v_pk_mul_f32 v[6:7], v[16:17], v[6:7] op_sel_hi:[1,0]
	v_pk_add_f32 v[4:5], v[4:5], v[8:9]
	v_pk_fma_f32 v[8:9], v[16:17], v[68:69], v[6:7] op_sel:[0,0,1] op_sel_hi:[1,1,0] neg_lo:[0,0,1] neg_hi:[0,0,1]
	v_pk_fma_f32 v[6:7], v[16:17], v[68:69], v[6:7] op_sel:[0,0,1] op_sel_hi:[1,0,0]
	v_mov_b32_e32 v6, v67
	v_mov_b32_e32 v9, v7
	s_waitcnt lgkmcnt(0)
	v_pk_mul_f32 v[6:7], v[18:19], v[6:7] op_sel_hi:[1,0]
	v_pk_add_f32 v[4:5], v[4:5], v[8:9]
	v_pk_fma_f32 v[8:9], v[18:19], v[66:67], v[6:7] op_sel:[0,0,1] op_sel_hi:[1,1,0] neg_lo:[0,0,1] neg_hi:[0,0,1]
	v_pk_fma_f32 v[6:7], v[18:19], v[66:67], v[6:7] op_sel:[0,0,1] op_sel_hi:[1,0,0]
	s_waitcnt vmcnt(1)
	v_mov_b32_e32 v6, v75
	v_mov_b32_e32 v9, v7
	v_pk_mul_f32 v[6:7], v[20:21], v[6:7] op_sel_hi:[1,0]
	v_pk_add_f32 v[4:5], v[4:5], v[8:9]
	s_waitcnt vmcnt(0)
	v_pk_fma_f32 v[8:9], v[20:21], v[74:75], v[6:7] op_sel:[0,0,1] op_sel_hi:[1,1,0] neg_lo:[0,0,1] neg_hi:[0,0,1]
	v_pk_fma_f32 v[6:7], v[20:21], v[74:75], v[6:7] op_sel:[0,0,1] op_sel_hi:[1,0,0]
	v_mov_b32_e32 v9, v7
	v_pk_add_f32 v[4:5], v[4:5], v[8:9]
	v_pk_add_f32 v[2:3], v[2:3], v[4:5] neg_lo:[0,1] neg_hi:[0,1]
	buffer_store_dword v3, off, s[0:3], 0 offset:116
	buffer_store_dword v2, off, s[0:3], 0 offset:112
	s_and_saveexec_b64 s[4:5], vcc
	s_cbranch_execz .LBB110_269
; %bb.268:
	buffer_load_dword v2, off, s[0:3], 0 offset:104
	buffer_load_dword v3, off, s[0:3], 0 offset:108
	v_mov_b32_e32 v4, 0
	buffer_store_dword v4, off, s[0:3], 0 offset:104
	buffer_store_dword v4, off, s[0:3], 0 offset:108
	s_waitcnt vmcnt(2)
	ds_write_b64 v89, v[2:3]
.LBB110_269:
	s_or_b64 exec, exec, s[4:5]
	s_waitcnt lgkmcnt(0)
	; wave barrier
	s_waitcnt lgkmcnt(0)
	buffer_load_dword v5, off, s[0:3], 0 offset:116
	buffer_load_dword v62, off, s[0:3], 0 offset:124
	;; [unrolled: 1-line block ×52, first 2 shown]
	v_mov_b32_e32 v4, 0
	ds_read_b128 v[6:9], v4 offset:496
	ds_read_b128 v[10:13], v4 offset:512
	;; [unrolled: 1-line block ×6, first 2 shown]
	v_cmp_lt_u32_e32 vcc, 12, v0
	s_waitcnt vmcnt(51) lgkmcnt(5)
	v_mul_f32_e32 v30, v6, v5
	s_waitcnt vmcnt(50)
	v_mul_f32_e32 v31, v8, v62
	s_waitcnt vmcnt(49) lgkmcnt(4)
	v_mul_f32_e32 v32, v10, v68
	s_waitcnt vmcnt(48)
	v_mul_f32_e32 v33, v12, v70
	;; [unrolled: 4-line block ×5, first 2 shown]
	s_waitcnt vmcnt(41) lgkmcnt(0)
	v_mul_f32_e32 v40, v26, v184
	s_waitcnt vmcnt(40)
	v_fmac_f32_e32 v30, v7, v185
	s_waitcnt vmcnt(39)
	v_fmac_f32_e32 v31, v9, v186
	v_add_f32_e32 v30, 0, v30
	s_waitcnt vmcnt(38)
	v_fmac_f32_e32 v32, v11, v187
	v_add_f32_e32 v30, v30, v31
	;; [unrolled: 3-line block ×9, first 2 shown]
	v_add_f32_e32 v30, v30, v39
	s_waitcnt vmcnt(30)
	v_fmac_f32_e32 v40, v27, v195
	v_add_f32_e32 v34, v30, v40
	ds_read_b128 v[30:33], v4 offset:592
	s_waitcnt vmcnt(29)
	v_mul_f32_e32 v35, v28, v196
	s_waitcnt vmcnt(28)
	v_fmac_f32_e32 v35, v29, v197
	v_add_f32_e32 v38, v34, v35
	ds_read_b128 v[34:37], v4 offset:608
	s_waitcnt vmcnt(27) lgkmcnt(1)
	v_mul_f32_e32 v39, v30, v198
	s_waitcnt vmcnt(26)
	v_fmac_f32_e32 v39, v31, v199
	v_add_f32_e32 v38, v38, v39
	s_waitcnt vmcnt(25)
	v_mul_f32_e32 v39, v32, v200
	s_waitcnt vmcnt(24)
	v_fmac_f32_e32 v39, v33, v201
	v_add_f32_e32 v38, v38, v39
	s_waitcnt vmcnt(23) lgkmcnt(0)
	v_mul_f32_e32 v39, v34, v202
	s_waitcnt vmcnt(22)
	v_fmac_f32_e32 v39, v35, v203
	v_add_f32_e32 v42, v38, v39
	ds_read_b128 v[38:41], v4 offset:624
	s_waitcnt vmcnt(21)
	v_mul_f32_e32 v43, v36, v204
	s_waitcnt vmcnt(20)
	v_fmac_f32_e32 v43, v37, v205
	v_add_f32_e32 v46, v42, v43
	ds_read_b128 v[42:45], v4 offset:640
	s_waitcnt vmcnt(19) lgkmcnt(1)
	v_mul_f32_e32 v47, v38, v206
	s_waitcnt vmcnt(18)
	v_fmac_f32_e32 v47, v39, v207
	v_add_f32_e32 v46, v46, v47
	s_waitcnt vmcnt(17)
	v_mul_f32_e32 v47, v40, v208
	s_waitcnt vmcnt(16)
	v_fmac_f32_e32 v47, v41, v209
	v_add_f32_e32 v46, v46, v47
	s_waitcnt vmcnt(14) lgkmcnt(0)
	v_mul_f32_e32 v47, v42, v211
	v_fmac_f32_e32 v47, v43, v210
	v_add_f32_e32 v50, v46, v47
	ds_read_b128 v[46:49], v4 offset:656
	s_waitcnt vmcnt(10)
	v_mul_f32_e32 v51, v44, v213
	v_fmac_f32_e32 v51, v45, v212
	v_add_f32_e32 v54, v50, v51
	ds_read_b128 v[50:53], v4 offset:672
	s_waitcnt vmcnt(8) lgkmcnt(1)
	v_mul_f32_e32 v55, v46, v215
	v_fmac_f32_e32 v55, v47, v214
	v_add_f32_e32 v54, v54, v55
	s_waitcnt vmcnt(6)
	v_mul_f32_e32 v55, v48, v217
	v_fmac_f32_e32 v55, v49, v216
	v_add_f32_e32 v54, v54, v55
	s_waitcnt vmcnt(4) lgkmcnt(0)
	v_mul_f32_e32 v55, v50, v219
	v_fmac_f32_e32 v55, v51, v218
	v_add_f32_e32 v63, v54, v55
	ds_read_b128 v[54:57], v4 offset:688
	buffer_load_dword v65, off, s[0:3], 0 offset:324
	buffer_load_dword v64, off, s[0:3], 0 offset:320
	;; [unrolled: 1-line block ×4, first 2 shown]
	ds_read_b128 v[58:61], v4 offset:704
	buffer_load_dword v73, off, s[0:3], 0 offset:356
	buffer_load_dword v72, off, s[0:3], 0 offset:352
	;; [unrolled: 1-line block ×12, first 2 shown]
	v_mul_f32_e32 v5, v7, v5
	v_fma_f32 v5, v6, v185, -v5
	v_mul_f32_e32 v6, v9, v62
	v_add_f32_e32 v5, 0, v5
	v_fma_f32 v6, v8, v186, -v6
	v_add_f32_e32 v5, v5, v6
	v_mul_f32_e32 v6, v11, v68
	v_fma_f32 v6, v10, v187, -v6
	v_add_f32_e32 v5, v5, v6
	v_mul_f32_e32 v6, v13, v70
	;; [unrolled: 3-line block ×21, first 2 shown]
	v_fma_f32 v6, v50, v218, -v6
	s_waitcnt vmcnt(18)
	v_mul_f32_e32 v69, v52, v221
	v_add_f32_e32 v62, v5, v6
	v_mul_f32_e32 v5, v53, v221
	v_fmac_f32_e32 v69, v53, v220
	s_waitcnt vmcnt(16) lgkmcnt(1)
	v_mul_f32_e32 v71, v54, v223
	v_fma_f32 v68, v52, v220, -v5
	v_mul_f32_e32 v5, v55, v223
	v_fmac_f32_e32 v71, v55, v222
	s_waitcnt vmcnt(13)
	v_mov_b32_e32 v18, v67
	v_pk_mul_f32 v[18:19], v[56:57], v[18:19] op_sel_hi:[1,0]
	s_waitcnt vmcnt(12)
	v_pk_fma_f32 v[20:21], v[56:57], v[66:67], v[18:19] op_sel:[0,0,1] op_sel_hi:[1,1,0] neg_lo:[0,0,1] neg_hi:[0,0,1]
	v_pk_fma_f32 v[18:19], v[56:57], v[66:67], v[18:19] op_sel:[0,0,1] op_sel_hi:[1,0,0]
	v_fma_f32 v70, v54, v222, -v5
	v_pk_add_f32 v[16:17], v[62:63], v[68:69]
	v_mov_b32_e32 v18, v65
	v_pk_add_f32 v[16:17], v[16:17], v[70:71]
	v_mov_b32_e32 v21, v19
	s_waitcnt lgkmcnt(0)
	v_pk_mul_f32 v[18:19], v[58:59], v[18:19] op_sel_hi:[1,0]
	v_pk_add_f32 v[16:17], v[16:17], v[20:21]
	v_pk_fma_f32 v[20:21], v[58:59], v[64:65], v[18:19] op_sel:[0,0,1] op_sel_hi:[1,1,0] neg_lo:[0,0,1] neg_hi:[0,0,1]
	v_pk_fma_f32 v[18:19], v[58:59], v[64:65], v[18:19] op_sel:[0,0,1] op_sel_hi:[1,0,0]
	s_waitcnt vmcnt(5)
	v_mov_b32_e32 v18, v173
	ds_read_b128 v[6:9], v4 offset:720
	ds_read_b128 v[10:13], v4 offset:736
	ds_read_b64 v[14:15], v4 offset:752
	v_mov_b32_e32 v21, v19
	v_pk_mul_f32 v[18:19], v[60:61], v[18:19] op_sel_hi:[1,0]
	v_pk_add_f32 v[16:17], v[16:17], v[20:21]
	s_waitcnt vmcnt(4)
	v_pk_fma_f32 v[20:21], v[60:61], v[172:173], v[18:19] op_sel:[0,0,1] op_sel_hi:[1,1,0] neg_lo:[0,0,1] neg_hi:[0,0,1]
	v_pk_fma_f32 v[18:19], v[60:61], v[172:173], v[18:19] op_sel:[0,0,1] op_sel_hi:[1,0,0]
	v_mov_b32_e32 v18, v77
	v_mov_b32_e32 v21, v19
	s_waitcnt lgkmcnt(2)
	v_pk_mul_f32 v[18:19], v[6:7], v[18:19] op_sel_hi:[1,0]
	v_pk_add_f32 v[16:17], v[16:17], v[20:21]
	v_pk_fma_f32 v[20:21], v[6:7], v[76:77], v[18:19] op_sel:[0,0,1] op_sel_hi:[1,1,0] neg_lo:[0,0,1] neg_hi:[0,0,1]
	v_pk_fma_f32 v[6:7], v[6:7], v[76:77], v[18:19] op_sel:[0,0,1] op_sel_hi:[1,0,0]
	v_mov_b32_e32 v21, v7
	v_pk_add_f32 v[6:7], v[16:17], v[20:21]
	v_mov_b32_e32 v16, v75
	v_pk_mul_f32 v[16:17], v[8:9], v[16:17] op_sel_hi:[1,0]
	v_pk_fma_f32 v[18:19], v[8:9], v[74:75], v[16:17] op_sel:[0,0,1] op_sel_hi:[1,1,0] neg_lo:[0,0,1] neg_hi:[0,0,1]
	v_pk_fma_f32 v[8:9], v[8:9], v[74:75], v[16:17] op_sel:[0,0,1] op_sel_hi:[1,0,0]
	v_mov_b32_e32 v8, v73
	v_mov_b32_e32 v19, v9
	s_waitcnt lgkmcnt(1)
	v_pk_mul_f32 v[8:9], v[10:11], v[8:9] op_sel_hi:[1,0]
	v_pk_fma_f32 v[16:17], v[10:11], v[72:73], v[8:9] op_sel:[0,0,1] op_sel_hi:[1,1,0] neg_lo:[0,0,1] neg_hi:[0,0,1]
	v_pk_fma_f32 v[8:9], v[10:11], v[72:73], v[8:9] op_sel:[0,0,1] op_sel_hi:[1,0,0]
	s_waitcnt vmcnt(1)
	v_mov_b32_e32 v8, v177
	v_mov_b32_e32 v17, v9
	v_pk_mul_f32 v[8:9], v[12:13], v[8:9] op_sel_hi:[1,0]
	s_waitcnt vmcnt(0)
	v_pk_fma_f32 v[10:11], v[12:13], v[176:177], v[8:9] op_sel:[0,0,1] op_sel_hi:[1,1,0] neg_lo:[0,0,1] neg_hi:[0,0,1]
	v_pk_fma_f32 v[8:9], v[12:13], v[176:177], v[8:9] op_sel:[0,0,1] op_sel_hi:[1,0,0]
	v_pk_add_f32 v[6:7], v[6:7], v[18:19]
	v_mov_b32_e32 v8, v175
	v_pk_add_f32 v[6:7], v[6:7], v[16:17]
	v_mov_b32_e32 v11, v9
	s_waitcnt lgkmcnt(0)
	v_pk_mul_f32 v[8:9], v[14:15], v[8:9] op_sel_hi:[1,0]
	v_pk_add_f32 v[6:7], v[6:7], v[10:11]
	v_pk_fma_f32 v[10:11], v[14:15], v[174:175], v[8:9] op_sel:[0,0,1] op_sel_hi:[1,1,0] neg_lo:[0,0,1] neg_hi:[0,0,1]
	v_pk_fma_f32 v[8:9], v[14:15], v[174:175], v[8:9] op_sel:[0,0,1] op_sel_hi:[1,0,0]
	v_mov_b32_e32 v11, v9
	v_pk_add_f32 v[6:7], v[6:7], v[10:11]
	v_pk_add_f32 v[2:3], v[2:3], v[6:7] neg_lo:[0,1] neg_hi:[0,1]
	buffer_store_dword v3, off, s[0:3], 0 offset:108
	buffer_store_dword v2, off, s[0:3], 0 offset:104
	s_and_saveexec_b64 s[4:5], vcc
	s_cbranch_execz .LBB110_271
; %bb.270:
	buffer_load_dword v2, off, s[0:3], 0 offset:96
	buffer_load_dword v3, off, s[0:3], 0 offset:100
	s_waitcnt vmcnt(0)
	ds_write_b64 v89, v[2:3]
	buffer_store_dword v4, off, s[0:3], 0 offset:96
	buffer_store_dword v4, off, s[0:3], 0 offset:100
.LBB110_271:
	s_or_b64 exec, exec, s[4:5]
	s_waitcnt lgkmcnt(0)
	; wave barrier
	s_waitcnt lgkmcnt(0)
	buffer_load_dword v5, off, s[0:3], 0 offset:108
	buffer_load_dword v64, off, s[0:3], 0 offset:116
	buffer_load_dword v66, off, s[0:3], 0 offset:124
	buffer_load_dword v68, off, s[0:3], 0 offset:132
	buffer_load_dword v178, off, s[0:3], 0 offset:140
	buffer_load_dword v179, off, s[0:3], 0 offset:148
	buffer_load_dword v180, off, s[0:3], 0 offset:156
	buffer_load_dword v181, off, s[0:3], 0 offset:164
	buffer_load_dword v182, off, s[0:3], 0 offset:172
	buffer_load_dword v183, off, s[0:3], 0 offset:180
	buffer_load_dword v184, off, s[0:3], 0 offset:104
	buffer_load_dword v185, off, s[0:3], 0 offset:112
	buffer_load_dword v186, off, s[0:3], 0 offset:120
	buffer_load_dword v187, off, s[0:3], 0 offset:128
	buffer_load_dword v188, off, s[0:3], 0 offset:136
	buffer_load_dword v189, off, s[0:3], 0 offset:144
	buffer_load_dword v190, off, s[0:3], 0 offset:152
	buffer_load_dword v191, off, s[0:3], 0 offset:160
	buffer_load_dword v192, off, s[0:3], 0 offset:168
	buffer_load_dword v193, off, s[0:3], 0 offset:176
	buffer_load_dword v194, off, s[0:3], 0 offset:188
	buffer_load_dword v195, off, s[0:3], 0 offset:184
	buffer_load_dword v196, off, s[0:3], 0 offset:196
	buffer_load_dword v197, off, s[0:3], 0 offset:192
	buffer_load_dword v198, off, s[0:3], 0 offset:204
	buffer_load_dword v199, off, s[0:3], 0 offset:200
	buffer_load_dword v200, off, s[0:3], 0 offset:212
	buffer_load_dword v201, off, s[0:3], 0 offset:208
	buffer_load_dword v202, off, s[0:3], 0 offset:220
	buffer_load_dword v203, off, s[0:3], 0 offset:216
	buffer_load_dword v204, off, s[0:3], 0 offset:228
	buffer_load_dword v205, off, s[0:3], 0 offset:224
	buffer_load_dword v206, off, s[0:3], 0 offset:236
	buffer_load_dword v207, off, s[0:3], 0 offset:232
	buffer_load_dword v208, off, s[0:3], 0 offset:240
	buffer_load_dword v209, off, s[0:3], 0 offset:244
	buffer_load_dword v2, off, s[0:3], 0 offset:96
	buffer_load_dword v3, off, s[0:3], 0 offset:100
	buffer_load_dword v210, off, s[0:3], 0 offset:252
	buffer_load_dword v211, off, s[0:3], 0 offset:248
	buffer_load_dword v212, off, s[0:3], 0 offset:256
	buffer_load_dword v213, off, s[0:3], 0 offset:260
	ds_read2_b64 v[6:9], v4 offset0:61 offset1:62
	ds_read2_b64 v[10:13], v4 offset0:63 offset1:64
	buffer_load_dword v214, off, s[0:3], 0 offset:264
	buffer_load_dword v215, off, s[0:3], 0 offset:268
	ds_read2_b64 v[14:17], v4 offset0:65 offset1:66
	ds_read2_b64 v[18:21], v4 offset0:67 offset1:68
	buffer_load_dword v216, off, s[0:3], 0 offset:272
	buffer_load_dword v217, off, s[0:3], 0 offset:276
	;; [unrolled: 1-line block ×4, first 2 shown]
	ds_read2_b64 v[22:25], v4 offset0:69 offset1:70
	ds_read2_b64 v[26:29], v4 offset0:71 offset1:72
	buffer_load_dword v220, off, s[0:3], 0 offset:288
	buffer_load_dword v221, off, s[0:3], 0 offset:292
	;; [unrolled: 1-line block ×6, first 2 shown]
	v_cmp_lt_u32_e32 vcc, 11, v0
	s_waitcnt vmcnt(53) lgkmcnt(5)
	v_mul_f32_e32 v30, v6, v5
	s_waitcnt vmcnt(52)
	v_mul_f32_e32 v31, v8, v64
	s_waitcnt vmcnt(51) lgkmcnt(4)
	v_mul_f32_e32 v32, v10, v66
	s_waitcnt vmcnt(50)
	v_mul_f32_e32 v33, v12, v68
	;; [unrolled: 4-line block ×5, first 2 shown]
	s_waitcnt vmcnt(43)
	v_fmac_f32_e32 v30, v7, v184
	s_waitcnt vmcnt(42)
	v_fmac_f32_e32 v31, v9, v185
	v_add_f32_e32 v30, 0, v30
	s_waitcnt vmcnt(41)
	v_fmac_f32_e32 v32, v11, v186
	v_add_f32_e32 v30, v30, v31
	;; [unrolled: 3-line block ×9, first 2 shown]
	s_waitcnt vmcnt(33) lgkmcnt(0)
	v_mul_f32_e32 v31, v26, v194
	v_add_f32_e32 v30, v30, v39
	s_waitcnt vmcnt(32)
	v_fmac_f32_e32 v31, v27, v195
	v_add_f32_e32 v34, v30, v31
	ds_read2_b64 v[30:33], v4 offset0:73 offset1:74
	s_waitcnt vmcnt(31)
	v_mul_f32_e32 v35, v28, v196
	s_waitcnt vmcnt(30)
	v_fmac_f32_e32 v35, v29, v197
	v_add_f32_e32 v38, v34, v35
	ds_read2_b64 v[34:37], v4 offset0:75 offset1:76
	s_waitcnt vmcnt(29) lgkmcnt(1)
	v_mul_f32_e32 v39, v30, v198
	s_waitcnt vmcnt(28)
	v_fmac_f32_e32 v39, v31, v199
	v_add_f32_e32 v38, v38, v39
	s_waitcnt vmcnt(27)
	v_mul_f32_e32 v39, v32, v200
	s_waitcnt vmcnt(26)
	v_fmac_f32_e32 v39, v33, v201
	v_add_f32_e32 v38, v38, v39
	s_waitcnt vmcnt(25) lgkmcnt(0)
	v_mul_f32_e32 v39, v34, v202
	s_waitcnt vmcnt(24)
	v_fmac_f32_e32 v39, v35, v203
	v_add_f32_e32 v42, v38, v39
	ds_read2_b64 v[38:41], v4 offset0:77 offset1:78
	s_waitcnt vmcnt(23)
	v_mul_f32_e32 v43, v36, v204
	s_waitcnt vmcnt(22)
	v_fmac_f32_e32 v43, v37, v205
	v_add_f32_e32 v46, v42, v43
	ds_read2_b64 v[42:45], v4 offset0:79 offset1:80
	s_waitcnt vmcnt(21) lgkmcnt(1)
	v_mul_f32_e32 v47, v38, v206
	s_waitcnt vmcnt(20)
	v_fmac_f32_e32 v47, v39, v207
	v_add_f32_e32 v46, v46, v47
	s_waitcnt vmcnt(18)
	v_mul_f32_e32 v47, v40, v209
	v_fmac_f32_e32 v47, v41, v208
	v_add_f32_e32 v46, v46, v47
	s_waitcnt vmcnt(15) lgkmcnt(0)
	v_mul_f32_e32 v47, v42, v210
	s_waitcnt vmcnt(14)
	v_fmac_f32_e32 v47, v43, v211
	v_add_f32_e32 v50, v46, v47
	ds_read2_b64 v[46:49], v4 offset0:81 offset1:82
	s_waitcnt vmcnt(12)
	v_mul_f32_e32 v51, v44, v213
	v_fmac_f32_e32 v51, v45, v212
	v_add_f32_e32 v54, v50, v51
	ds_read2_b64 v[50:53], v4 offset0:83 offset1:84
	buffer_load_dword v63, off, s[0:3], 0 offset:316
	buffer_load_dword v62, off, s[0:3], 0 offset:312
	s_waitcnt vmcnt(12) lgkmcnt(1)
	v_mul_f32_e32 v55, v46, v215
	v_fmac_f32_e32 v55, v47, v214
	v_add_f32_e32 v54, v54, v55
	s_waitcnt vmcnt(10)
	v_mul_f32_e32 v55, v48, v217
	v_fmac_f32_e32 v55, v49, v216
	v_add_f32_e32 v54, v54, v55
	s_waitcnt vmcnt(8) lgkmcnt(0)
	v_mul_f32_e32 v55, v50, v219
	v_fmac_f32_e32 v55, v51, v218
	s_waitcnt vmcnt(6)
	v_mul_f32_e32 v59, v52, v221
	v_add_f32_e32 v58, v54, v55
	v_fmac_f32_e32 v59, v53, v220
	ds_read2_b64 v[54:57], v4 offset0:85 offset1:86
	v_add_f32_e32 v65, v58, v59
	ds_read2_b64 v[58:61], v4 offset0:87 offset1:88
	buffer_load_dword v71, off, s[0:3], 0 offset:348
	buffer_load_dword v70, off, s[0:3], 0 offset:344
	;; [unrolled: 1-line block ×14, first 2 shown]
	v_mul_f32_e32 v5, v7, v5
	v_fma_f32 v5, v6, v184, -v5
	v_mul_f32_e32 v6, v9, v64
	v_add_f32_e32 v5, 0, v5
	v_fma_f32 v6, v8, v185, -v6
	v_add_f32_e32 v5, v5, v6
	v_mul_f32_e32 v6, v11, v66
	v_fma_f32 v6, v10, v186, -v6
	v_add_f32_e32 v5, v5, v6
	v_mul_f32_e32 v6, v13, v68
	;; [unrolled: 3-line block ×22, first 2 shown]
	v_fma_f32 v6, v52, v220, -v6
	s_waitcnt vmcnt(15)
	v_mov_b32_e32 v18, v63
	s_waitcnt lgkmcnt(1)
	v_mul_f32_e32 v67, v54, v223
	v_add_f32_e32 v64, v5, v6
	v_mul_f32_e32 v5, v55, v223
	s_waitcnt lgkmcnt(0)
	v_pk_mul_f32 v[18:19], v[58:59], v[18:19] op_sel_hi:[1,0]
	v_fmac_f32_e32 v67, v55, v222
	v_mul_f32_e32 v69, v56, v225
	v_fma_f32 v66, v54, v222, -v5
	v_mul_f32_e32 v5, v57, v225
	s_waitcnt vmcnt(14)
	v_pk_fma_f32 v[20:21], v[58:59], v[62:63], v[18:19] op_sel:[0,0,1] op_sel_hi:[1,1,0] neg_lo:[0,0,1] neg_hi:[0,0,1]
	v_pk_fma_f32 v[18:19], v[58:59], v[62:63], v[18:19] op_sel:[0,0,1] op_sel_hi:[1,0,0]
	v_fmac_f32_e32 v69, v57, v224
	v_fma_f32 v68, v56, v224, -v5
	ds_read2_b64 v[6:9], v4 offset0:89 offset1:90
	ds_read2_b64 v[10:13], v4 offset0:91 offset1:92
	;; [unrolled: 1-line block ×3, first 2 shown]
	v_pk_add_f32 v[4:5], v[64:65], v[66:67]
	s_waitcnt vmcnt(7)
	v_mov_b32_e32 v18, v77
	v_pk_add_f32 v[4:5], v[4:5], v[68:69]
	v_mov_b32_e32 v21, v19
	v_pk_mul_f32 v[18:19], v[60:61], v[18:19] op_sel_hi:[1,0]
	v_pk_add_f32 v[4:5], v[4:5], v[20:21]
	s_waitcnt vmcnt(6)
	v_pk_fma_f32 v[20:21], v[60:61], v[76:77], v[18:19] op_sel:[0,0,1] op_sel_hi:[1,1,0] neg_lo:[0,0,1] neg_hi:[0,0,1]
	v_pk_fma_f32 v[18:19], v[60:61], v[76:77], v[18:19] op_sel:[0,0,1] op_sel_hi:[1,0,0]
	v_mov_b32_e32 v18, v75
	v_mov_b32_e32 v21, v19
	s_waitcnt lgkmcnt(2)
	v_pk_mul_f32 v[18:19], v[6:7], v[18:19] op_sel_hi:[1,0]
	v_pk_add_f32 v[4:5], v[4:5], v[20:21]
	v_pk_fma_f32 v[20:21], v[6:7], v[74:75], v[18:19] op_sel:[0,0,1] op_sel_hi:[1,1,0] neg_lo:[0,0,1] neg_hi:[0,0,1]
	v_pk_fma_f32 v[6:7], v[6:7], v[74:75], v[18:19] op_sel:[0,0,1] op_sel_hi:[1,0,0]
	v_mov_b32_e32 v6, v73
	v_mov_b32_e32 v21, v7
	v_pk_mul_f32 v[6:7], v[8:9], v[6:7] op_sel_hi:[1,0]
	v_pk_fma_f32 v[18:19], v[8:9], v[72:73], v[6:7] op_sel:[0,0,1] op_sel_hi:[1,1,0] neg_lo:[0,0,1] neg_hi:[0,0,1]
	v_pk_fma_f32 v[6:7], v[8:9], v[72:73], v[6:7] op_sel:[0,0,1] op_sel_hi:[1,0,0]
	v_mov_b32_e32 v6, v71
	v_mov_b32_e32 v19, v7
	s_waitcnt lgkmcnt(1)
	v_pk_mul_f32 v[6:7], v[10:11], v[6:7] op_sel_hi:[1,0]
	v_pk_fma_f32 v[8:9], v[10:11], v[70:71], v[6:7] op_sel:[0,0,1] op_sel_hi:[1,1,0] neg_lo:[0,0,1] neg_hi:[0,0,1]
	v_pk_fma_f32 v[6:7], v[10:11], v[70:71], v[6:7] op_sel:[0,0,1] op_sel_hi:[1,0,0]
	v_pk_add_f32 v[4:5], v[4:5], v[20:21]
	s_waitcnt vmcnt(1)
	v_mov_b32_e32 v6, v177
	v_pk_add_f32 v[4:5], v[4:5], v[18:19]
	v_mov_b32_e32 v9, v7
	v_pk_mul_f32 v[6:7], v[12:13], v[6:7] op_sel_hi:[1,0]
	v_pk_add_f32 v[4:5], v[4:5], v[8:9]
	s_waitcnt vmcnt(0)
	v_pk_fma_f32 v[8:9], v[12:13], v[176:177], v[6:7] op_sel:[0,0,1] op_sel_hi:[1,1,0] neg_lo:[0,0,1] neg_hi:[0,0,1]
	v_pk_fma_f32 v[6:7], v[12:13], v[176:177], v[6:7] op_sel:[0,0,1] op_sel_hi:[1,0,0]
	v_mov_b32_e32 v6, v175
	v_mov_b32_e32 v9, v7
	s_waitcnt lgkmcnt(0)
	v_pk_mul_f32 v[6:7], v[14:15], v[6:7] op_sel_hi:[1,0]
	v_pk_add_f32 v[4:5], v[4:5], v[8:9]
	v_pk_fma_f32 v[8:9], v[14:15], v[174:175], v[6:7] op_sel:[0,0,1] op_sel_hi:[1,1,0] neg_lo:[0,0,1] neg_hi:[0,0,1]
	v_pk_fma_f32 v[6:7], v[14:15], v[174:175], v[6:7] op_sel:[0,0,1] op_sel_hi:[1,0,0]
	v_mov_b32_e32 v6, v173
	v_mov_b32_e32 v9, v7
	v_pk_mul_f32 v[6:7], v[16:17], v[6:7] op_sel_hi:[1,0]
	v_pk_add_f32 v[4:5], v[4:5], v[8:9]
	v_pk_fma_f32 v[8:9], v[16:17], v[172:173], v[6:7] op_sel:[0,0,1] op_sel_hi:[1,1,0] neg_lo:[0,0,1] neg_hi:[0,0,1]
	v_pk_fma_f32 v[6:7], v[16:17], v[172:173], v[6:7] op_sel:[0,0,1] op_sel_hi:[1,0,0]
	v_mov_b32_e32 v9, v7
	v_pk_add_f32 v[4:5], v[4:5], v[8:9]
	v_pk_add_f32 v[2:3], v[2:3], v[4:5] neg_lo:[0,1] neg_hi:[0,1]
	buffer_store_dword v3, off, s[0:3], 0 offset:100
	buffer_store_dword v2, off, s[0:3], 0 offset:96
	s_and_saveexec_b64 s[4:5], vcc
	s_cbranch_execz .LBB110_273
; %bb.272:
	buffer_load_dword v2, off, s[0:3], 0 offset:88
	buffer_load_dword v3, off, s[0:3], 0 offset:92
	v_mov_b32_e32 v4, 0
	buffer_store_dword v4, off, s[0:3], 0 offset:88
	buffer_store_dword v4, off, s[0:3], 0 offset:92
	s_waitcnt vmcnt(2)
	ds_write_b64 v89, v[2:3]
.LBB110_273:
	s_or_b64 exec, exec, s[4:5]
	s_waitcnt lgkmcnt(0)
	; wave barrier
	s_waitcnt lgkmcnt(0)
	buffer_load_dword v5, off, s[0:3], 0 offset:100
	buffer_load_dword v62, off, s[0:3], 0 offset:108
	;; [unrolled: 1-line block ×56, first 2 shown]
	v_mov_b32_e32 v4, 0
	ds_read_b128 v[6:9], v4 offset:480
	ds_read_b128 v[10:13], v4 offset:496
	;; [unrolled: 1-line block ×6, first 2 shown]
	v_cmp_lt_u32_e32 vcc, 10, v0
	s_waitcnt vmcnt(55) lgkmcnt(5)
	v_mul_f32_e32 v30, v6, v5
	s_waitcnt vmcnt(54)
	v_mul_f32_e32 v31, v8, v62
	s_waitcnt vmcnt(53) lgkmcnt(4)
	v_mul_f32_e32 v32, v10, v64
	s_waitcnt vmcnt(52)
	v_mul_f32_e32 v33, v12, v66
	;; [unrolled: 4-line block ×4, first 2 shown]
	s_waitcnt vmcnt(47) lgkmcnt(1)
	v_mul_f32_e32 v38, v22, v182
	s_waitcnt vmcnt(46)
	v_fmac_f32_e32 v30, v7, v183
	s_waitcnt vmcnt(45)
	v_fmac_f32_e32 v31, v9, v184
	v_add_f32_e32 v30, 0, v30
	s_waitcnt vmcnt(44)
	v_fmac_f32_e32 v32, v11, v185
	v_add_f32_e32 v30, v30, v31
	;; [unrolled: 3-line block ×7, first 2 shown]
	v_add_f32_e32 v30, v30, v37
	s_waitcnt vmcnt(38)
	v_fmac_f32_e32 v38, v23, v191
	s_waitcnt vmcnt(37)
	v_mul_f32_e32 v31, v24, v192
	v_add_f32_e32 v30, v30, v38
	s_waitcnt vmcnt(36)
	v_fmac_f32_e32 v31, v25, v193
	v_add_f32_e32 v30, v30, v31
	s_waitcnt vmcnt(35) lgkmcnt(0)
	v_mul_f32_e32 v31, v26, v194
	s_waitcnt vmcnt(34)
	v_fmac_f32_e32 v31, v27, v195
	v_add_f32_e32 v34, v30, v31
	ds_read_b128 v[30:33], v4 offset:576
	s_waitcnt vmcnt(33)
	v_mul_f32_e32 v35, v28, v196
	s_waitcnt vmcnt(32)
	v_fmac_f32_e32 v35, v29, v197
	v_add_f32_e32 v38, v34, v35
	ds_read_b128 v[34:37], v4 offset:592
	s_waitcnt vmcnt(31) lgkmcnt(1)
	v_mul_f32_e32 v39, v30, v198
	s_waitcnt vmcnt(30)
	v_fmac_f32_e32 v39, v31, v199
	v_add_f32_e32 v38, v38, v39
	s_waitcnt vmcnt(29)
	v_mul_f32_e32 v39, v32, v200
	s_waitcnt vmcnt(28)
	v_fmac_f32_e32 v39, v33, v201
	v_add_f32_e32 v38, v38, v39
	s_waitcnt vmcnt(27) lgkmcnt(0)
	v_mul_f32_e32 v39, v34, v202
	s_waitcnt vmcnt(26)
	v_fmac_f32_e32 v39, v35, v203
	v_add_f32_e32 v42, v38, v39
	ds_read_b128 v[38:41], v4 offset:608
	s_waitcnt vmcnt(24)
	v_mul_f32_e32 v43, v36, v205
	v_fmac_f32_e32 v43, v37, v204
	v_add_f32_e32 v46, v42, v43
	ds_read_b128 v[42:45], v4 offset:624
	s_waitcnt vmcnt(20) lgkmcnt(1)
	v_mul_f32_e32 v47, v38, v207
	v_fmac_f32_e32 v47, v39, v206
	v_add_f32_e32 v46, v46, v47
	s_waitcnt vmcnt(18)
	v_mul_f32_e32 v47, v40, v209
	v_fmac_f32_e32 v47, v41, v208
	v_add_f32_e32 v46, v46, v47
	s_waitcnt vmcnt(16) lgkmcnt(0)
	v_mul_f32_e32 v47, v42, v211
	v_fmac_f32_e32 v47, v43, v210
	v_add_f32_e32 v50, v46, v47
	ds_read_b128 v[46:49], v4 offset:640
	s_waitcnt vmcnt(14)
	v_mul_f32_e32 v51, v44, v213
	v_fmac_f32_e32 v51, v45, v212
	v_add_f32_e32 v54, v50, v51
	ds_read_b128 v[50:53], v4 offset:656
	s_waitcnt vmcnt(12) lgkmcnt(1)
	v_mul_f32_e32 v55, v46, v215
	v_fmac_f32_e32 v55, v47, v214
	v_add_f32_e32 v54, v54, v55
	s_waitcnt vmcnt(10)
	v_mul_f32_e32 v55, v48, v217
	v_fmac_f32_e32 v55, v49, v216
	v_add_f32_e32 v54, v54, v55
	s_waitcnt vmcnt(8) lgkmcnt(0)
	v_mul_f32_e32 v55, v50, v219
	v_fmac_f32_e32 v55, v51, v218
	s_waitcnt vmcnt(6)
	v_mul_f32_e32 v59, v52, v221
	v_add_f32_e32 v58, v54, v55
	v_fmac_f32_e32 v59, v53, v220
	ds_read_b128 v[54:57], v4 offset:672
	v_add_f32_e32 v63, v58, v59
	ds_read_b128 v[58:61], v4 offset:688
	buffer_load_dword v69, off, s[0:3], 0 offset:340
	buffer_load_dword v68, off, s[0:3], 0 offset:336
	;; [unrolled: 1-line block ×16, first 2 shown]
	v_mul_f32_e32 v5, v7, v5
	v_fma_f32 v5, v6, v183, -v5
	v_mul_f32_e32 v6, v9, v62
	v_add_f32_e32 v5, 0, v5
	v_fma_f32 v6, v8, v184, -v6
	v_add_f32_e32 v5, v5, v6
	v_mul_f32_e32 v6, v11, v64
	v_fma_f32 v6, v10, v185, -v6
	v_add_f32_e32 v5, v5, v6
	v_mul_f32_e32 v6, v13, v66
	;; [unrolled: 3-line block ×22, first 2 shown]
	v_fma_f32 v6, v52, v220, -v6
	s_waitcnt vmcnt(20) lgkmcnt(1)
	v_mul_f32_e32 v65, v54, v223
	v_add_f32_e32 v5, v5, v6
	v_mul_f32_e32 v6, v55, v223
	v_fmac_f32_e32 v65, v55, v222
	v_fma_f32 v6, v54, v222, -v6
	s_waitcnt vmcnt(9)
	v_mov_b32_e32 v22, v75
	v_add_f32_e32 v63, v63, v65
	v_mul_f32_e32 v65, v56, v225
	v_add_f32_e32 v62, v5, v6
	v_mul_f32_e32 v5, v57, v225
	s_waitcnt lgkmcnt(0)
	v_pk_mul_f32 v[22:23], v[60:61], v[22:23] op_sel_hi:[1,0]
	v_fmac_f32_e32 v65, v57, v224
	v_mul_f32_e32 v67, v58, v227
	v_fma_f32 v64, v56, v224, -v5
	v_mul_f32_e32 v5, v59, v227
	ds_read_b128 v[6:9], v4 offset:704
	ds_read_b128 v[10:13], v4 offset:720
	;; [unrolled: 1-line block ×3, first 2 shown]
	ds_read_b64 v[18:19], v4 offset:752
	s_waitcnt vmcnt(8)
	v_pk_fma_f32 v[24:25], v[60:61], v[74:75], v[22:23] op_sel:[0,0,1] op_sel_hi:[1,1,0] neg_lo:[0,0,1] neg_hi:[0,0,1]
	v_pk_fma_f32 v[22:23], v[60:61], v[74:75], v[22:23] op_sel:[0,0,1] op_sel_hi:[1,0,0]
	v_fmac_f32_e32 v67, v59, v226
	v_fma_f32 v66, v58, v226, -v5
	v_pk_add_f32 v[20:21], v[62:63], v[64:65]
	v_mov_b32_e32 v22, v73
	v_pk_add_f32 v[20:21], v[20:21], v[66:67]
	v_mov_b32_e32 v25, v23
	s_waitcnt lgkmcnt(3)
	v_pk_mul_f32 v[22:23], v[6:7], v[22:23] op_sel_hi:[1,0]
	v_pk_add_f32 v[20:21], v[20:21], v[24:25]
	v_pk_fma_f32 v[24:25], v[6:7], v[72:73], v[22:23] op_sel:[0,0,1] op_sel_hi:[1,1,0] neg_lo:[0,0,1] neg_hi:[0,0,1]
	v_pk_fma_f32 v[6:7], v[6:7], v[72:73], v[22:23] op_sel:[0,0,1] op_sel_hi:[1,0,0]
	v_mov_b32_e32 v25, v7
	v_pk_add_f32 v[6:7], v[20:21], v[24:25]
	v_mov_b32_e32 v20, v71
	v_pk_mul_f32 v[20:21], v[8:9], v[20:21] op_sel_hi:[1,0]
	v_pk_fma_f32 v[22:23], v[8:9], v[70:71], v[20:21] op_sel:[0,0,1] op_sel_hi:[1,1,0] neg_lo:[0,0,1] neg_hi:[0,0,1]
	v_pk_fma_f32 v[8:9], v[8:9], v[70:71], v[20:21] op_sel:[0,0,1] op_sel_hi:[1,0,0]
	v_mov_b32_e32 v8, v69
	v_mov_b32_e32 v23, v9
	s_waitcnt lgkmcnt(2)
	v_pk_mul_f32 v[8:9], v[10:11], v[8:9] op_sel_hi:[1,0]
	v_pk_fma_f32 v[20:21], v[10:11], v[68:69], v[8:9] op_sel:[0,0,1] op_sel_hi:[1,1,0] neg_lo:[0,0,1] neg_hi:[0,0,1]
	v_pk_fma_f32 v[8:9], v[10:11], v[68:69], v[8:9] op_sel:[0,0,1] op_sel_hi:[1,0,0]
	s_waitcnt vmcnt(1)
	v_mov_b32_e32 v8, v177
	v_mov_b32_e32 v21, v9
	v_pk_mul_f32 v[8:9], v[12:13], v[8:9] op_sel_hi:[1,0]
	s_waitcnt vmcnt(0)
	v_pk_fma_f32 v[10:11], v[12:13], v[176:177], v[8:9] op_sel:[0,0,1] op_sel_hi:[1,1,0] neg_lo:[0,0,1] neg_hi:[0,0,1]
	v_pk_fma_f32 v[8:9], v[12:13], v[176:177], v[8:9] op_sel:[0,0,1] op_sel_hi:[1,0,0]
	v_pk_add_f32 v[6:7], v[6:7], v[22:23]
	v_mov_b32_e32 v8, v175
	v_pk_add_f32 v[6:7], v[6:7], v[20:21]
	v_mov_b32_e32 v11, v9
	s_waitcnt lgkmcnt(1)
	v_pk_mul_f32 v[8:9], v[14:15], v[8:9] op_sel_hi:[1,0]
	v_pk_add_f32 v[6:7], v[6:7], v[10:11]
	v_pk_fma_f32 v[10:11], v[14:15], v[174:175], v[8:9] op_sel:[0,0,1] op_sel_hi:[1,1,0] neg_lo:[0,0,1] neg_hi:[0,0,1]
	v_pk_fma_f32 v[8:9], v[14:15], v[174:175], v[8:9] op_sel:[0,0,1] op_sel_hi:[1,0,0]
	v_mov_b32_e32 v8, v173
	v_mov_b32_e32 v11, v9
	v_pk_mul_f32 v[8:9], v[16:17], v[8:9] op_sel_hi:[1,0]
	v_pk_add_f32 v[6:7], v[6:7], v[10:11]
	v_pk_fma_f32 v[10:11], v[16:17], v[172:173], v[8:9] op_sel:[0,0,1] op_sel_hi:[1,1,0] neg_lo:[0,0,1] neg_hi:[0,0,1]
	v_pk_fma_f32 v[8:9], v[16:17], v[172:173], v[8:9] op_sel:[0,0,1] op_sel_hi:[1,0,0]
	v_mov_b32_e32 v8, v77
	v_mov_b32_e32 v11, v9
	s_waitcnt lgkmcnt(0)
	v_pk_mul_f32 v[8:9], v[18:19], v[8:9] op_sel_hi:[1,0]
	v_pk_add_f32 v[6:7], v[6:7], v[10:11]
	v_pk_fma_f32 v[10:11], v[18:19], v[76:77], v[8:9] op_sel:[0,0,1] op_sel_hi:[1,1,0] neg_lo:[0,0,1] neg_hi:[0,0,1]
	v_pk_fma_f32 v[8:9], v[18:19], v[76:77], v[8:9] op_sel:[0,0,1] op_sel_hi:[1,0,0]
	v_mov_b32_e32 v11, v9
	v_pk_add_f32 v[6:7], v[6:7], v[10:11]
	v_pk_add_f32 v[2:3], v[2:3], v[6:7] neg_lo:[0,1] neg_hi:[0,1]
	buffer_store_dword v3, off, s[0:3], 0 offset:92
	buffer_store_dword v2, off, s[0:3], 0 offset:88
	s_and_saveexec_b64 s[4:5], vcc
	s_cbranch_execz .LBB110_275
; %bb.274:
	buffer_load_dword v2, off, s[0:3], 0 offset:80
	buffer_load_dword v3, off, s[0:3], 0 offset:84
	s_waitcnt vmcnt(0)
	ds_write_b64 v89, v[2:3]
	buffer_store_dword v4, off, s[0:3], 0 offset:80
	buffer_store_dword v4, off, s[0:3], 0 offset:84
.LBB110_275:
	s_or_b64 exec, exec, s[4:5]
	s_waitcnt lgkmcnt(0)
	; wave barrier
	s_waitcnt lgkmcnt(0)
	buffer_load_dword v5, off, s[0:3], 0 offset:92
	buffer_load_dword v62, off, s[0:3], 0 offset:100
	;; [unrolled: 1-line block ×36, first 2 shown]
	ds_read2_b64 v[6:9], v4 offset0:59 offset1:60
	ds_read2_b64 v[10:13], v4 offset0:61 offset1:62
	buffer_load_dword v208, off, s[0:3], 0 offset:224
	buffer_load_dword v209, off, s[0:3], 0 offset:228
	;; [unrolled: 1-line block ×4, first 2 shown]
	ds_read2_b64 v[14:17], v4 offset0:63 offset1:64
	ds_read2_b64 v[18:21], v4 offset0:65 offset1:66
	buffer_load_dword v212, off, s[0:3], 0 offset:240
	buffer_load_dword v213, off, s[0:3], 0 offset:244
	ds_read2_b64 v[22:25], v4 offset0:67 offset1:68
	ds_read2_b64 v[26:29], v4 offset0:69 offset1:70
	buffer_load_dword v214, off, s[0:3], 0 offset:248
	buffer_load_dword v215, off, s[0:3], 0 offset:252
	;; [unrolled: 1-line block ×16, first 2 shown]
	v_cmp_lt_u32_e32 vcc, 9, v0
	s_waitcnt vmcnt(57) lgkmcnt(5)
	v_mul_f32_e32 v30, v6, v5
	s_waitcnt vmcnt(56)
	v_mul_f32_e32 v31, v8, v62
	s_waitcnt vmcnt(55) lgkmcnt(4)
	v_mul_f32_e32 v32, v10, v64
	s_waitcnt vmcnt(54)
	v_mul_f32_e32 v33, v12, v72
	s_waitcnt vmcnt(53) lgkmcnt(3)
	v_mul_f32_e32 v34, v14, v178
	s_waitcnt vmcnt(52)
	v_mul_f32_e32 v35, v16, v179
	s_waitcnt vmcnt(51) lgkmcnt(2)
	v_mul_f32_e32 v36, v18, v180
	s_waitcnt vmcnt(50)
	v_mul_f32_e32 v37, v20, v181
	s_waitcnt vmcnt(49)
	v_fmac_f32_e32 v30, v7, v182
	s_waitcnt vmcnt(48)
	v_fmac_f32_e32 v31, v9, v183
	v_add_f32_e32 v30, 0, v30
	s_waitcnt vmcnt(47)
	v_fmac_f32_e32 v32, v11, v184
	v_add_f32_e32 v30, v30, v31
	;; [unrolled: 3-line block ×7, first 2 shown]
	s_waitcnt vmcnt(41) lgkmcnt(1)
	v_mul_f32_e32 v31, v22, v190
	v_add_f32_e32 v30, v30, v37
	s_waitcnt vmcnt(40)
	v_fmac_f32_e32 v31, v23, v191
	v_add_f32_e32 v30, v30, v31
	s_waitcnt vmcnt(39)
	v_mul_f32_e32 v31, v24, v192
	s_waitcnt vmcnt(38)
	v_fmac_f32_e32 v31, v25, v193
	v_add_f32_e32 v30, v30, v31
	s_waitcnt vmcnt(37) lgkmcnt(0)
	v_mul_f32_e32 v31, v26, v194
	s_waitcnt vmcnt(36)
	v_fmac_f32_e32 v31, v27, v195
	v_add_f32_e32 v34, v30, v31
	ds_read2_b64 v[30:33], v4 offset0:71 offset1:72
	s_waitcnt vmcnt(35)
	v_mul_f32_e32 v35, v28, v196
	s_waitcnt vmcnt(34)
	v_fmac_f32_e32 v35, v29, v197
	v_add_f32_e32 v38, v34, v35
	ds_read2_b64 v[34:37], v4 offset0:73 offset1:74
	s_waitcnt vmcnt(33) lgkmcnt(1)
	v_mul_f32_e32 v39, v30, v198
	s_waitcnt vmcnt(32)
	v_fmac_f32_e32 v39, v31, v199
	v_add_f32_e32 v38, v38, v39
	s_waitcnt vmcnt(31)
	v_mul_f32_e32 v39, v32, v200
	s_waitcnt vmcnt(30)
	v_fmac_f32_e32 v39, v33, v201
	v_add_f32_e32 v38, v38, v39
	s_waitcnt vmcnt(29) lgkmcnt(0)
	v_mul_f32_e32 v39, v34, v202
	s_waitcnt vmcnt(28)
	v_fmac_f32_e32 v39, v35, v203
	v_add_f32_e32 v42, v38, v39
	ds_read2_b64 v[38:41], v4 offset0:75 offset1:76
	s_waitcnt vmcnt(25)
	v_mul_f32_e32 v43, v36, v204
	s_waitcnt vmcnt(24)
	v_fmac_f32_e32 v43, v37, v205
	v_add_f32_e32 v46, v42, v43
	ds_read2_b64 v[42:45], v4 offset0:77 offset1:78
	s_waitcnt vmcnt(22) lgkmcnt(1)
	v_mul_f32_e32 v47, v38, v207
	v_fmac_f32_e32 v47, v39, v206
	v_add_f32_e32 v46, v46, v47
	s_waitcnt vmcnt(20)
	v_mul_f32_e32 v47, v40, v209
	v_fmac_f32_e32 v47, v41, v208
	v_add_f32_e32 v46, v46, v47
	s_waitcnt vmcnt(18) lgkmcnt(0)
	v_mul_f32_e32 v47, v42, v211
	v_fmac_f32_e32 v47, v43, v210
	v_add_f32_e32 v50, v46, v47
	ds_read2_b64 v[46:49], v4 offset0:79 offset1:80
	s_waitcnt vmcnt(16)
	v_mul_f32_e32 v51, v44, v213
	v_fmac_f32_e32 v51, v45, v212
	v_add_f32_e32 v54, v50, v51
	ds_read2_b64 v[50:53], v4 offset0:81 offset1:82
	s_waitcnt vmcnt(14) lgkmcnt(1)
	v_mul_f32_e32 v55, v46, v215
	v_fmac_f32_e32 v55, v47, v214
	v_add_f32_e32 v54, v54, v55
	s_waitcnt vmcnt(12)
	v_mul_f32_e32 v55, v48, v217
	v_fmac_f32_e32 v55, v49, v216
	v_add_f32_e32 v54, v54, v55
	s_waitcnt vmcnt(10) lgkmcnt(0)
	v_mul_f32_e32 v55, v50, v219
	v_fmac_f32_e32 v55, v51, v218
	s_waitcnt vmcnt(8)
	v_mul_f32_e32 v59, v52, v221
	v_add_f32_e32 v58, v54, v55
	v_fmac_f32_e32 v59, v53, v220
	ds_read2_b64 v[54:57], v4 offset0:83 offset1:84
	v_add_f32_e32 v63, v58, v59
	ds_read2_b64 v[58:61], v4 offset0:85 offset1:86
	buffer_load_dword v67, off, s[0:3], 0 offset:332
	buffer_load_dword v66, off, s[0:3], 0 offset:328
	;; [unrolled: 1-line block ×16, first 2 shown]
	v_mul_f32_e32 v5, v7, v5
	v_fma_f32 v5, v6, v182, -v5
	v_mul_f32_e32 v6, v9, v62
	v_add_f32_e32 v5, 0, v5
	v_fma_f32 v6, v8, v183, -v6
	v_add_f32_e32 v5, v5, v6
	v_mul_f32_e32 v6, v11, v64
	v_fma_f32 v6, v10, v184, -v6
	v_add_f32_e32 v5, v5, v6
	v_mul_f32_e32 v6, v13, v72
	;; [unrolled: 3-line block ×22, first 2 shown]
	v_fma_f32 v6, v52, v220, -v6
	v_add_f32_e32 v5, v5, v6
	s_waitcnt vmcnt(22) lgkmcnt(1)
	v_mul_f32_e32 v6, v55, v223
	v_fma_f32 v6, v54, v222, -v6
	v_add_f32_e32 v5, v5, v6
	s_waitcnt vmcnt(20)
	v_mul_f32_e32 v6, v57, v225
	v_fma_f32 v6, v56, v224, -v6
	v_add_f32_e32 v62, v5, v6
	ds_read2_b64 v[6:9], v4 offset0:87 offset1:88
	ds_read2_b64 v[10:13], v4 offset0:89 offset1:90
	;; [unrolled: 1-line block ×4, first 2 shown]
	s_waitcnt vmcnt(11)
	v_mov_b32_e32 v22, v71
	v_mul_f32_e32 v65, v54, v223
	s_waitcnt lgkmcnt(3)
	v_pk_mul_f32 v[22:23], v[6:7], v[22:23] op_sel_hi:[1,0]
	v_fmac_f32_e32 v65, v55, v222
	s_waitcnt vmcnt(10)
	v_pk_fma_f32 v[24:25], v[6:7], v[70:71], v[22:23] op_sel:[0,0,1] op_sel_hi:[1,1,0] neg_lo:[0,0,1] neg_hi:[0,0,1]
	v_pk_fma_f32 v[6:7], v[6:7], v[70:71], v[22:23] op_sel:[0,0,1] op_sel_hi:[1,0,0]
	v_add_f32_e32 v63, v63, v65
	v_mul_f32_e32 v65, v56, v225
	v_mov_b32_e32 v6, v69
	v_fmac_f32_e32 v65, v57, v224
	v_mov_b32_e32 v25, v7
	v_pk_mul_f32 v[6:7], v[8:9], v[6:7] op_sel_hi:[1,0]
	v_add_f32_e32 v63, v63, v65
	v_mul_f32_e32 v65, v58, v227
	v_mul_f32_e32 v5, v59, v227
	v_pk_fma_f32 v[22:23], v[8:9], v[68:69], v[6:7] op_sel:[0,0,1] op_sel_hi:[1,1,0] neg_lo:[0,0,1] neg_hi:[0,0,1]
	v_pk_fma_f32 v[6:7], v[8:9], v[68:69], v[6:7] op_sel:[0,0,1] op_sel_hi:[1,0,0]
	v_fmac_f32_e32 v65, v59, v226
	v_mul_f32_e32 v73, v60, v229
	v_fma_f32 v64, v58, v226, -v5
	v_mul_f32_e32 v5, v61, v229
	v_mov_b32_e32 v6, v67
	v_fmac_f32_e32 v73, v61, v228
	v_fma_f32 v72, v60, v228, -v5
	v_pk_add_f32 v[4:5], v[62:63], v[64:65]
	v_mov_b32_e32 v23, v7
	s_waitcnt lgkmcnt(2)
	v_pk_mul_f32 v[6:7], v[10:11], v[6:7] op_sel_hi:[1,0]
	v_pk_add_f32 v[4:5], v[4:5], v[72:73]
	v_pk_fma_f32 v[8:9], v[10:11], v[66:67], v[6:7] op_sel:[0,0,1] op_sel_hi:[1,1,0] neg_lo:[0,0,1] neg_hi:[0,0,1]
	v_pk_fma_f32 v[6:7], v[10:11], v[66:67], v[6:7] op_sel:[0,0,1] op_sel_hi:[1,0,0]
	v_pk_add_f32 v[4:5], v[4:5], v[24:25]
	s_waitcnt vmcnt(3)
	v_mov_b32_e32 v6, v175
	v_pk_add_f32 v[4:5], v[4:5], v[22:23]
	v_mov_b32_e32 v9, v7
	v_pk_mul_f32 v[6:7], v[12:13], v[6:7] op_sel_hi:[1,0]
	v_pk_add_f32 v[4:5], v[4:5], v[8:9]
	s_waitcnt vmcnt(2)
	v_pk_fma_f32 v[8:9], v[12:13], v[174:175], v[6:7] op_sel:[0,0,1] op_sel_hi:[1,1,0] neg_lo:[0,0,1] neg_hi:[0,0,1]
	v_pk_fma_f32 v[6:7], v[12:13], v[174:175], v[6:7] op_sel:[0,0,1] op_sel_hi:[1,0,0]
	v_mov_b32_e32 v6, v173
	v_mov_b32_e32 v9, v7
	s_waitcnt lgkmcnt(1)
	v_pk_mul_f32 v[6:7], v[14:15], v[6:7] op_sel_hi:[1,0]
	v_pk_add_f32 v[4:5], v[4:5], v[8:9]
	v_pk_fma_f32 v[8:9], v[14:15], v[172:173], v[6:7] op_sel:[0,0,1] op_sel_hi:[1,1,0] neg_lo:[0,0,1] neg_hi:[0,0,1]
	v_pk_fma_f32 v[6:7], v[14:15], v[172:173], v[6:7] op_sel:[0,0,1] op_sel_hi:[1,0,0]
	v_mov_b32_e32 v6, v77
	v_mov_b32_e32 v9, v7
	v_pk_mul_f32 v[6:7], v[16:17], v[6:7] op_sel_hi:[1,0]
	v_pk_add_f32 v[4:5], v[4:5], v[8:9]
	v_pk_fma_f32 v[8:9], v[16:17], v[76:77], v[6:7] op_sel:[0,0,1] op_sel_hi:[1,1,0] neg_lo:[0,0,1] neg_hi:[0,0,1]
	v_pk_fma_f32 v[6:7], v[16:17], v[76:77], v[6:7] op_sel:[0,0,1] op_sel_hi:[1,0,0]
	v_mov_b32_e32 v6, v75
	v_mov_b32_e32 v9, v7
	s_waitcnt lgkmcnt(0)
	v_pk_mul_f32 v[6:7], v[18:19], v[6:7] op_sel_hi:[1,0]
	v_pk_add_f32 v[4:5], v[4:5], v[8:9]
	v_pk_fma_f32 v[8:9], v[18:19], v[74:75], v[6:7] op_sel:[0,0,1] op_sel_hi:[1,1,0] neg_lo:[0,0,1] neg_hi:[0,0,1]
	v_pk_fma_f32 v[6:7], v[18:19], v[74:75], v[6:7] op_sel:[0,0,1] op_sel_hi:[1,0,0]
	s_waitcnt vmcnt(1)
	v_mov_b32_e32 v6, v177
	v_mov_b32_e32 v9, v7
	v_pk_mul_f32 v[6:7], v[20:21], v[6:7] op_sel_hi:[1,0]
	v_pk_add_f32 v[4:5], v[4:5], v[8:9]
	s_waitcnt vmcnt(0)
	v_pk_fma_f32 v[8:9], v[20:21], v[176:177], v[6:7] op_sel:[0,0,1] op_sel_hi:[1,1,0] neg_lo:[0,0,1] neg_hi:[0,0,1]
	v_pk_fma_f32 v[6:7], v[20:21], v[176:177], v[6:7] op_sel:[0,0,1] op_sel_hi:[1,0,0]
	v_mov_b32_e32 v9, v7
	v_pk_add_f32 v[4:5], v[4:5], v[8:9]
	v_pk_add_f32 v[2:3], v[2:3], v[4:5] neg_lo:[0,1] neg_hi:[0,1]
	buffer_store_dword v3, off, s[0:3], 0 offset:84
	buffer_store_dword v2, off, s[0:3], 0 offset:80
	s_and_saveexec_b64 s[4:5], vcc
	s_cbranch_execz .LBB110_277
; %bb.276:
	buffer_load_dword v2, off, s[0:3], 0 offset:72
	buffer_load_dword v3, off, s[0:3], 0 offset:76
	v_mov_b32_e32 v4, 0
	buffer_store_dword v4, off, s[0:3], 0 offset:72
	buffer_store_dword v4, off, s[0:3], 0 offset:76
	s_waitcnt vmcnt(2)
	ds_write_b64 v89, v[2:3]
.LBB110_277:
	s_or_b64 exec, exec, s[4:5]
	s_waitcnt lgkmcnt(0)
	; wave barrier
	s_waitcnt lgkmcnt(0)
	buffer_load_dword v17, off, s[0:3], 0 offset:84
	buffer_load_dword v70, off, s[0:3], 0 offset:92
	;; [unrolled: 1-line block ×56, first 2 shown]
	v_mov_b32_e32 v16, 0
	ds_read_b128 v[2:5], v16 offset:464
	buffer_load_dword v236, off, s[0:3], 0 offset:296
	buffer_load_dword v237, off, s[0:3], 0 offset:300
	;; [unrolled: 1-line block ×4, first 2 shown]
	ds_read_b128 v[8:11], v16 offset:480
	ds_read_b128 v[12:15], v16 offset:496
	;; [unrolled: 1-line block ×3, first 2 shown]
	v_cmp_lt_u32_e32 vcc, 8, v0
	s_waitcnt vmcnt(59) lgkmcnt(3)
	v_mul_f32_e32 v22, v2, v17
	s_waitcnt vmcnt(58)
	v_mul_f32_e32 v23, v4, v70
	s_waitcnt vmcnt(57) lgkmcnt(2)
	v_mul_f32_e32 v24, v8, v76
	s_waitcnt vmcnt(56)
	v_mul_f32_e32 v25, v10, v172
	;; [unrolled: 4-line block ×3, first 2 shown]
	s_waitcnt vmcnt(53) lgkmcnt(0)
	v_mul_f32_e32 v28, v18, v188
	s_waitcnt vmcnt(52)
	v_fmac_f32_e32 v22, v3, v189
	s_waitcnt vmcnt(51)
	v_fmac_f32_e32 v23, v5, v190
	v_add_f32_e32 v22, 0, v22
	s_waitcnt vmcnt(50)
	v_fmac_f32_e32 v24, v9, v191
	v_add_f32_e32 v22, v22, v23
	;; [unrolled: 3-line block ×6, first 2 shown]
	v_add_f32_e32 v26, v22, v28
	ds_read_b128 v[22:25], v16 offset:528
	s_waitcnt vmcnt(45)
	v_mul_f32_e32 v27, v20, v196
	s_waitcnt vmcnt(44)
	v_fmac_f32_e32 v27, v21, v197
	v_add_f32_e32 v30, v26, v27
	ds_read_b128 v[26:29], v16 offset:544
	s_waitcnt vmcnt(43) lgkmcnt(1)
	v_mul_f32_e32 v31, v22, v198
	s_waitcnt vmcnt(42)
	v_fmac_f32_e32 v31, v23, v199
	v_add_f32_e32 v30, v30, v31
	s_waitcnt vmcnt(41)
	v_mul_f32_e32 v31, v24, v200
	s_waitcnt vmcnt(40)
	v_fmac_f32_e32 v31, v25, v201
	v_add_f32_e32 v30, v30, v31
	s_waitcnt vmcnt(39) lgkmcnt(0)
	v_mul_f32_e32 v31, v26, v202
	s_waitcnt vmcnt(38)
	v_fmac_f32_e32 v31, v27, v203
	v_add_f32_e32 v34, v30, v31
	ds_read_b128 v[30:33], v16 offset:560
	s_waitcnt vmcnt(37)
	v_mul_f32_e32 v35, v28, v204
	s_waitcnt vmcnt(36)
	v_fmac_f32_e32 v35, v29, v205
	v_add_f32_e32 v38, v34, v35
	ds_read_b128 v[34:37], v16 offset:576
	s_waitcnt vmcnt(34) lgkmcnt(1)
	v_mul_f32_e32 v39, v30, v207
	v_fmac_f32_e32 v39, v31, v206
	v_add_f32_e32 v38, v38, v39
	s_waitcnt vmcnt(31)
	v_mul_f32_e32 v39, v32, v208
	s_waitcnt vmcnt(30)
	v_fmac_f32_e32 v39, v33, v209
	v_add_f32_e32 v38, v38, v39
	s_waitcnt vmcnt(28) lgkmcnt(0)
	v_mul_f32_e32 v39, v34, v211
	v_fmac_f32_e32 v39, v35, v210
	v_add_f32_e32 v42, v38, v39
	ds_read_b128 v[38:41], v16 offset:592
	s_waitcnt vmcnt(26)
	v_mul_f32_e32 v43, v36, v213
	v_fmac_f32_e32 v43, v37, v212
	v_add_f32_e32 v46, v42, v43
	ds_read_b128 v[42:45], v16 offset:608
	s_waitcnt vmcnt(24) lgkmcnt(1)
	v_mul_f32_e32 v47, v38, v215
	v_fmac_f32_e32 v47, v39, v214
	v_add_f32_e32 v46, v46, v47
	s_waitcnt vmcnt(22)
	v_mul_f32_e32 v47, v40, v217
	v_fmac_f32_e32 v47, v41, v216
	v_add_f32_e32 v46, v46, v47
	s_waitcnt vmcnt(20) lgkmcnt(0)
	v_mul_f32_e32 v47, v42, v219
	v_fmac_f32_e32 v47, v43, v218
	v_add_f32_e32 v50, v46, v47
	ds_read_b128 v[46:49], v16 offset:624
	s_waitcnt vmcnt(18)
	v_mul_f32_e32 v51, v44, v221
	v_fmac_f32_e32 v51, v45, v220
	v_add_f32_e32 v54, v50, v51
	ds_read_b128 v[50:53], v16 offset:640
	s_waitcnt vmcnt(16) lgkmcnt(1)
	v_mul_f32_e32 v55, v46, v223
	v_fmac_f32_e32 v55, v47, v222
	v_add_f32_e32 v54, v54, v55
	s_waitcnt vmcnt(14)
	v_mul_f32_e32 v55, v48, v225
	;; [unrolled: 18-line block ×3, first 2 shown]
	v_fmac_f32_e32 v63, v57, v232
	v_add_f32_e32 v62, v62, v63
	s_waitcnt vmcnt(4) lgkmcnt(0)
	v_mul_f32_e32 v63, v58, v235
	v_fmac_f32_e32 v63, v59, v234
	v_add_f32_e32 v71, v62, v63
	ds_read_b128 v[62:65], v16 offset:688
	buffer_load_dword v73, off, s[0:3], 0 offset:324
	buffer_load_dword v72, off, s[0:3], 0 offset:320
	;; [unrolled: 1-line block ×4, first 2 shown]
	ds_read_b128 v[66:69], v16 offset:704
	buffer_load_dword v175, off, s[0:3], 0 offset:356
	buffer_load_dword v174, off, s[0:3], 0 offset:352
	;; [unrolled: 1-line block ×12, first 2 shown]
	v_mul_f32_e32 v3, v3, v17
	v_fma_f32 v2, v2, v189, -v3
	v_mul_f32_e32 v3, v5, v70
	v_add_f32_e32 v2, 0, v2
	v_fma_f32 v3, v4, v190, -v3
	v_add_f32_e32 v2, v2, v3
	v_mul_f32_e32 v3, v9, v76
	v_fma_f32 v3, v8, v191, -v3
	v_add_f32_e32 v2, v2, v3
	v_mul_f32_e32 v3, v11, v172
	;; [unrolled: 3-line block ×25, first 2 shown]
	v_fma_f32 v3, v58, v234, -v3
	s_waitcnt vmcnt(13)
	v_mov_b32_e32 v18, v75
	v_mul_f32_e32 v77, v60, v237
	v_add_f32_e32 v70, v2, v3
	v_mul_f32_e32 v2, v61, v237
	s_waitcnt lgkmcnt(1)
	v_pk_mul_f32 v[18:19], v[64:65], v[18:19] op_sel_hi:[1,0]
	v_fmac_f32_e32 v77, v61, v236
	v_mul_f32_e32 v173, v62, v239
	v_fma_f32 v76, v60, v236, -v2
	v_mul_f32_e32 v2, v63, v239
	s_waitcnt vmcnt(12)
	v_pk_fma_f32 v[20:21], v[64:65], v[74:75], v[18:19] op_sel:[0,0,1] op_sel_hi:[1,1,0] neg_lo:[0,0,1] neg_hi:[0,0,1]
	v_pk_fma_f32 v[18:19], v[64:65], v[74:75], v[18:19] op_sel:[0,0,1] op_sel_hi:[1,0,0]
	v_fmac_f32_e32 v173, v63, v238
	v_fma_f32 v172, v62, v238, -v2
	v_pk_add_f32 v[14:15], v[70:71], v[76:77]
	v_mov_b32_e32 v18, v73
	v_pk_add_f32 v[14:15], v[14:15], v[172:173]
	v_mov_b32_e32 v21, v19
	s_waitcnt lgkmcnt(0)
	v_pk_mul_f32 v[18:19], v[66:67], v[18:19] op_sel_hi:[1,0]
	v_pk_add_f32 v[14:15], v[14:15], v[20:21]
	v_pk_fma_f32 v[20:21], v[66:67], v[72:73], v[18:19] op_sel:[0,0,1] op_sel_hi:[1,1,0] neg_lo:[0,0,1] neg_hi:[0,0,1]
	v_pk_fma_f32 v[18:19], v[66:67], v[72:73], v[18:19] op_sel:[0,0,1] op_sel_hi:[1,0,0]
	s_waitcnt vmcnt(5)
	v_mov_b32_e32 v18, v181
	ds_read_b128 v[2:5], v16 offset:720
	ds_read_b128 v[8:11], v16 offset:736
	ds_read_b64 v[12:13], v16 offset:752
	v_mov_b32_e32 v21, v19
	v_pk_mul_f32 v[18:19], v[68:69], v[18:19] op_sel_hi:[1,0]
	v_pk_add_f32 v[14:15], v[14:15], v[20:21]
	s_waitcnt vmcnt(4)
	v_pk_fma_f32 v[20:21], v[68:69], v[180:181], v[18:19] op_sel:[0,0,1] op_sel_hi:[1,1,0] neg_lo:[0,0,1] neg_hi:[0,0,1]
	v_pk_fma_f32 v[18:19], v[68:69], v[180:181], v[18:19] op_sel:[0,0,1] op_sel_hi:[1,0,0]
	v_mov_b32_e32 v18, v179
	v_mov_b32_e32 v21, v19
	s_waitcnt lgkmcnt(2)
	v_pk_mul_f32 v[18:19], v[2:3], v[18:19] op_sel_hi:[1,0]
	v_pk_add_f32 v[14:15], v[14:15], v[20:21]
	v_pk_fma_f32 v[20:21], v[2:3], v[178:179], v[18:19] op_sel:[0,0,1] op_sel_hi:[1,1,0] neg_lo:[0,0,1] neg_hi:[0,0,1]
	v_pk_fma_f32 v[2:3], v[2:3], v[178:179], v[18:19] op_sel:[0,0,1] op_sel_hi:[1,0,0]
	v_mov_b32_e32 v21, v3
	v_pk_add_f32 v[2:3], v[14:15], v[20:21]
	v_mov_b32_e32 v14, v177
	v_pk_mul_f32 v[14:15], v[4:5], v[14:15] op_sel_hi:[1,0]
	v_pk_fma_f32 v[18:19], v[4:5], v[176:177], v[14:15] op_sel:[0,0,1] op_sel_hi:[1,1,0] neg_lo:[0,0,1] neg_hi:[0,0,1]
	v_pk_fma_f32 v[4:5], v[4:5], v[176:177], v[14:15] op_sel:[0,0,1] op_sel_hi:[1,0,0]
	v_mov_b32_e32 v4, v175
	v_mov_b32_e32 v19, v5
	s_waitcnt lgkmcnt(1)
	v_pk_mul_f32 v[4:5], v[8:9], v[4:5] op_sel_hi:[1,0]
	v_pk_fma_f32 v[14:15], v[8:9], v[174:175], v[4:5] op_sel:[0,0,1] op_sel_hi:[1,1,0] neg_lo:[0,0,1] neg_hi:[0,0,1]
	v_pk_fma_f32 v[4:5], v[8:9], v[174:175], v[4:5] op_sel:[0,0,1] op_sel_hi:[1,0,0]
	s_waitcnt vmcnt(1)
	v_mov_b32_e32 v4, v185
	v_mov_b32_e32 v15, v5
	v_pk_mul_f32 v[4:5], v[10:11], v[4:5] op_sel_hi:[1,0]
	s_waitcnt vmcnt(0)
	v_pk_fma_f32 v[8:9], v[10:11], v[184:185], v[4:5] op_sel:[0,0,1] op_sel_hi:[1,1,0] neg_lo:[0,0,1] neg_hi:[0,0,1]
	v_pk_fma_f32 v[4:5], v[10:11], v[184:185], v[4:5] op_sel:[0,0,1] op_sel_hi:[1,0,0]
	v_pk_add_f32 v[2:3], v[2:3], v[18:19]
	v_mov_b32_e32 v4, v183
	v_pk_add_f32 v[2:3], v[2:3], v[14:15]
	v_mov_b32_e32 v9, v5
	s_waitcnt lgkmcnt(0)
	v_pk_mul_f32 v[4:5], v[12:13], v[4:5] op_sel_hi:[1,0]
	v_pk_add_f32 v[2:3], v[2:3], v[8:9]
	v_pk_fma_f32 v[8:9], v[12:13], v[182:183], v[4:5] op_sel:[0,0,1] op_sel_hi:[1,1,0] neg_lo:[0,0,1] neg_hi:[0,0,1]
	v_pk_fma_f32 v[4:5], v[12:13], v[182:183], v[4:5] op_sel:[0,0,1] op_sel_hi:[1,0,0]
	v_mov_b32_e32 v9, v5
	v_pk_add_f32 v[2:3], v[2:3], v[8:9]
	v_pk_add_f32 v[2:3], v[6:7], v[2:3] neg_lo:[0,1] neg_hi:[0,1]
	buffer_store_dword v3, off, s[0:3], 0 offset:76
	buffer_store_dword v2, off, s[0:3], 0 offset:72
	s_and_saveexec_b64 s[4:5], vcc
	s_cbranch_execz .LBB110_279
; %bb.278:
	buffer_load_dword v2, off, s[0:3], 0 offset:64
	buffer_load_dword v3, off, s[0:3], 0 offset:68
	s_waitcnt vmcnt(0)
	ds_write_b64 v89, v[2:3]
	buffer_store_dword v16, off, s[0:3], 0 offset:64
	buffer_store_dword v16, off, s[0:3], 0 offset:68
.LBB110_279:
	s_or_b64 exec, exec, s[4:5]
	s_waitcnt lgkmcnt(0)
	; wave barrier
	s_waitcnt lgkmcnt(0)
	buffer_load_dword v17, off, s[0:3], 0 offset:76
	buffer_load_dword v72, off, s[0:3], 0 offset:84
	;; [unrolled: 1-line block ×32, first 2 shown]
	ds_read2_b64 v[18:21], v16 offset0:57 offset1:58
	ds_read2_b64 v[6:9], v16 offset0:59 offset1:60
	buffer_load_dword v212, off, s[0:3], 0 offset:192
	buffer_load_dword v213, off, s[0:3], 0 offset:196
	ds_read2_b64 v[10:13], v16 offset0:61 offset1:62
	ds_read2_b64 v[2:5], v16 offset0:63 offset1:64
	buffer_load_dword v214, off, s[0:3], 0 offset:200
	buffer_load_dword v215, off, s[0:3], 0 offset:204
	;; [unrolled: 1-line block ×28, first 2 shown]
	v_cmp_lt_u32_e32 vcc, 7, v0
	s_waitcnt vmcnt(61) lgkmcnt(3)
	v_mul_f32_e32 v22, v18, v17
	s_waitcnt vmcnt(60)
	v_mul_f32_e32 v23, v20, v72
	s_waitcnt vmcnt(59) lgkmcnt(2)
	v_mul_f32_e32 v24, v6, v74
	s_waitcnt vmcnt(58)
	v_mul_f32_e32 v25, v8, v76
	;; [unrolled: 4-line block ×3, first 2 shown]
	s_waitcnt vmcnt(55) lgkmcnt(0)
	v_mul_f32_e32 v28, v2, v188
	s_waitcnt vmcnt(54)
	v_fmac_f32_e32 v22, v19, v189
	s_waitcnt vmcnt(53)
	v_fmac_f32_e32 v23, v21, v190
	v_add_f32_e32 v22, 0, v22
	s_waitcnt vmcnt(52)
	v_fmac_f32_e32 v24, v7, v191
	v_add_f32_e32 v22, v22, v23
	s_waitcnt vmcnt(51)
	v_fmac_f32_e32 v25, v9, v192
	v_add_f32_e32 v22, v22, v24
	s_waitcnt vmcnt(50)
	v_fmac_f32_e32 v26, v11, v193
	v_add_f32_e32 v22, v22, v25
	s_waitcnt vmcnt(49)
	v_fmac_f32_e32 v27, v13, v194
	v_add_f32_e32 v22, v22, v26
	s_waitcnt vmcnt(48)
	v_fmac_f32_e32 v28, v3, v195
	v_add_f32_e32 v22, v22, v27
	v_add_f32_e32 v26, v22, v28
	ds_read2_b64 v[22:25], v16 offset0:65 offset1:66
	s_waitcnt vmcnt(47)
	v_mul_f32_e32 v27, v4, v196
	s_waitcnt vmcnt(46)
	v_fmac_f32_e32 v27, v5, v197
	v_add_f32_e32 v30, v26, v27
	ds_read2_b64 v[26:29], v16 offset0:67 offset1:68
	s_waitcnt vmcnt(45) lgkmcnt(1)
	v_mul_f32_e32 v31, v22, v198
	s_waitcnt vmcnt(44)
	v_fmac_f32_e32 v31, v23, v199
	v_add_f32_e32 v30, v30, v31
	s_waitcnt vmcnt(43)
	v_mul_f32_e32 v31, v24, v200
	s_waitcnt vmcnt(42)
	v_fmac_f32_e32 v31, v25, v201
	v_add_f32_e32 v30, v30, v31
	s_waitcnt vmcnt(41) lgkmcnt(0)
	v_mul_f32_e32 v31, v26, v202
	s_waitcnt vmcnt(40)
	v_fmac_f32_e32 v31, v27, v203
	v_add_f32_e32 v34, v30, v31
	ds_read2_b64 v[30:33], v16 offset0:69 offset1:70
	s_waitcnt vmcnt(39)
	v_mul_f32_e32 v35, v28, v204
	s_waitcnt vmcnt(38)
	v_fmac_f32_e32 v35, v29, v205
	v_add_f32_e32 v38, v34, v35
	ds_read2_b64 v[34:37], v16 offset0:71 offset1:72
	s_waitcnt vmcnt(35) lgkmcnt(1)
	v_mul_f32_e32 v39, v30, v206
	s_waitcnt vmcnt(34)
	v_fmac_f32_e32 v39, v31, v207
	v_add_f32_e32 v38, v38, v39
	s_waitcnt vmcnt(32)
	v_mul_f32_e32 v39, v32, v209
	v_fmac_f32_e32 v39, v33, v208
	v_add_f32_e32 v38, v38, v39
	s_waitcnt vmcnt(30) lgkmcnt(0)
	v_mul_f32_e32 v39, v34, v211
	v_fmac_f32_e32 v39, v35, v210
	v_add_f32_e32 v42, v38, v39
	ds_read2_b64 v[38:41], v16 offset0:73 offset1:74
	s_waitcnt vmcnt(28)
	v_mul_f32_e32 v43, v36, v213
	v_fmac_f32_e32 v43, v37, v212
	v_add_f32_e32 v46, v42, v43
	ds_read2_b64 v[42:45], v16 offset0:75 offset1:76
	s_waitcnt vmcnt(26) lgkmcnt(1)
	v_mul_f32_e32 v47, v38, v215
	v_fmac_f32_e32 v47, v39, v214
	v_add_f32_e32 v46, v46, v47
	s_waitcnt vmcnt(24)
	v_mul_f32_e32 v47, v40, v217
	v_fmac_f32_e32 v47, v41, v216
	v_add_f32_e32 v46, v46, v47
	s_waitcnt vmcnt(22) lgkmcnt(0)
	v_mul_f32_e32 v47, v42, v219
	v_fmac_f32_e32 v47, v43, v218
	v_add_f32_e32 v50, v46, v47
	ds_read2_b64 v[46:49], v16 offset0:77 offset1:78
	s_waitcnt vmcnt(20)
	v_mul_f32_e32 v51, v44, v221
	v_fmac_f32_e32 v51, v45, v220
	v_add_f32_e32 v54, v50, v51
	ds_read2_b64 v[50:53], v16 offset0:79 offset1:80
	s_waitcnt vmcnt(18) lgkmcnt(1)
	v_mul_f32_e32 v55, v46, v223
	v_fmac_f32_e32 v55, v47, v222
	v_add_f32_e32 v54, v54, v55
	s_waitcnt vmcnt(16)
	v_mul_f32_e32 v55, v48, v225
	v_fmac_f32_e32 v55, v49, v224
	v_add_f32_e32 v54, v54, v55
	s_waitcnt vmcnt(14) lgkmcnt(0)
	v_mul_f32_e32 v55, v50, v227
	v_fmac_f32_e32 v55, v51, v226
	v_add_f32_e32 v58, v54, v55
	ds_read2_b64 v[54:57], v16 offset0:81 offset1:82
	s_waitcnt vmcnt(12)
	v_mul_f32_e32 v59, v52, v229
	v_fmac_f32_e32 v59, v53, v228
	v_add_f32_e32 v62, v58, v59
	ds_read2_b64 v[58:61], v16 offset0:83 offset1:84
	buffer_load_dword v71, off, s[0:3], 0 offset:316
	buffer_load_dword v70, off, s[0:3], 0 offset:312
	s_waitcnt vmcnt(12) lgkmcnt(1)
	v_mul_f32_e32 v63, v54, v231
	v_fmac_f32_e32 v63, v55, v230
	v_add_f32_e32 v62, v62, v63
	s_waitcnt vmcnt(10)
	v_mul_f32_e32 v63, v56, v233
	v_fmac_f32_e32 v63, v57, v232
	v_add_f32_e32 v62, v62, v63
	s_waitcnt vmcnt(8) lgkmcnt(0)
	v_mul_f32_e32 v63, v58, v235
	v_fmac_f32_e32 v63, v59, v234
	s_waitcnt vmcnt(6)
	v_mul_f32_e32 v67, v60, v237
	v_add_f32_e32 v66, v62, v63
	v_fmac_f32_e32 v67, v61, v236
	ds_read2_b64 v[62:65], v16 offset0:85 offset1:86
	v_add_f32_e32 v73, v66, v67
	ds_read2_b64 v[66:69], v16 offset0:87 offset1:88
	buffer_load_dword v173, off, s[0:3], 0 offset:348
	buffer_load_dword v172, off, s[0:3], 0 offset:344
	;; [unrolled: 1-line block ×14, first 2 shown]
	v_mul_f32_e32 v17, v19, v17
	v_fma_f32 v17, v18, v189, -v17
	v_mul_f32_e32 v18, v21, v72
	v_add_f32_e32 v17, 0, v17
	v_fma_f32 v18, v20, v190, -v18
	v_mul_f32_e32 v7, v7, v74
	v_add_f32_e32 v17, v17, v18
	;; [unrolled: 3-line block ×3, first 2 shown]
	v_fma_f32 v7, v8, v192, -v7
	v_add_f32_e32 v6, v6, v7
	v_mul_f32_e32 v7, v11, v186
	v_fma_f32 v7, v10, v193, -v7
	v_add_f32_e32 v6, v6, v7
	v_mul_f32_e32 v7, v13, v187
	v_fma_f32 v7, v12, v194, -v7
	v_mul_f32_e32 v3, v3, v188
	v_add_f32_e32 v6, v6, v7
	v_fma_f32 v2, v2, v195, -v3
	v_mul_f32_e32 v3, v5, v196
	v_add_f32_e32 v2, v6, v2
	v_fma_f32 v3, v4, v197, -v3
	v_add_f32_e32 v2, v2, v3
	v_mul_f32_e32 v3, v23, v198
	v_fma_f32 v3, v22, v199, -v3
	v_add_f32_e32 v2, v2, v3
	v_mul_f32_e32 v3, v25, v200
	;; [unrolled: 3-line block ×20, first 2 shown]
	v_fma_f32 v3, v60, v236, -v3
	s_waitcnt vmcnt(15)
	v_mov_b32_e32 v18, v71
	s_waitcnt lgkmcnt(1)
	v_mul_f32_e32 v75, v62, v239
	v_add_f32_e32 v72, v2, v3
	v_mul_f32_e32 v2, v63, v239
	s_waitcnt lgkmcnt(0)
	v_pk_mul_f32 v[18:19], v[66:67], v[18:19] op_sel_hi:[1,0]
	v_fmac_f32_e32 v75, v63, v238
	v_mul_f32_e32 v77, v64, v241
	v_fma_f32 v74, v62, v238, -v2
	v_mul_f32_e32 v2, v65, v241
	s_waitcnt vmcnt(14)
	v_pk_fma_f32 v[20:21], v[66:67], v[70:71], v[18:19] op_sel:[0,0,1] op_sel_hi:[1,1,0] neg_lo:[0,0,1] neg_hi:[0,0,1]
	v_pk_fma_f32 v[18:19], v[66:67], v[70:71], v[18:19] op_sel:[0,0,1] op_sel_hi:[1,0,0]
	v_fmac_f32_e32 v77, v65, v240
	v_fma_f32 v76, v64, v240, -v2
	ds_read2_b64 v[2:5], v16 offset0:89 offset1:90
	ds_read2_b64 v[6:9], v16 offset0:91 offset1:92
	;; [unrolled: 1-line block ×3, first 2 shown]
	v_pk_add_f32 v[16:17], v[72:73], v[74:75]
	s_waitcnt vmcnt(7)
	v_mov_b32_e32 v18, v179
	v_pk_add_f32 v[16:17], v[16:17], v[76:77]
	v_mov_b32_e32 v21, v19
	v_pk_mul_f32 v[18:19], v[68:69], v[18:19] op_sel_hi:[1,0]
	v_pk_add_f32 v[16:17], v[16:17], v[20:21]
	s_waitcnt vmcnt(6)
	v_pk_fma_f32 v[20:21], v[68:69], v[178:179], v[18:19] op_sel:[0,0,1] op_sel_hi:[1,1,0] neg_lo:[0,0,1] neg_hi:[0,0,1]
	v_pk_fma_f32 v[18:19], v[68:69], v[178:179], v[18:19] op_sel:[0,0,1] op_sel_hi:[1,0,0]
	v_mov_b32_e32 v18, v177
	v_mov_b32_e32 v21, v19
	s_waitcnt lgkmcnt(2)
	v_pk_mul_f32 v[18:19], v[2:3], v[18:19] op_sel_hi:[1,0]
	v_pk_add_f32 v[16:17], v[16:17], v[20:21]
	v_pk_fma_f32 v[20:21], v[2:3], v[176:177], v[18:19] op_sel:[0,0,1] op_sel_hi:[1,1,0] neg_lo:[0,0,1] neg_hi:[0,0,1]
	v_pk_fma_f32 v[2:3], v[2:3], v[176:177], v[18:19] op_sel:[0,0,1] op_sel_hi:[1,0,0]
	v_mov_b32_e32 v21, v3
	v_pk_add_f32 v[2:3], v[16:17], v[20:21]
	v_mov_b32_e32 v16, v175
	v_pk_mul_f32 v[16:17], v[4:5], v[16:17] op_sel_hi:[1,0]
	v_pk_fma_f32 v[18:19], v[4:5], v[174:175], v[16:17] op_sel:[0,0,1] op_sel_hi:[1,1,0] neg_lo:[0,0,1] neg_hi:[0,0,1]
	v_pk_fma_f32 v[4:5], v[4:5], v[174:175], v[16:17] op_sel:[0,0,1] op_sel_hi:[1,0,0]
	v_mov_b32_e32 v4, v173
	v_mov_b32_e32 v19, v5
	s_waitcnt lgkmcnt(1)
	v_pk_mul_f32 v[4:5], v[6:7], v[4:5] op_sel_hi:[1,0]
	v_pk_fma_f32 v[16:17], v[6:7], v[172:173], v[4:5] op_sel:[0,0,1] op_sel_hi:[1,1,0] neg_lo:[0,0,1] neg_hi:[0,0,1]
	v_pk_fma_f32 v[4:5], v[6:7], v[172:173], v[4:5] op_sel:[0,0,1] op_sel_hi:[1,0,0]
	s_waitcnt vmcnt(1)
	v_mov_b32_e32 v4, v185
	v_mov_b32_e32 v17, v5
	v_pk_mul_f32 v[4:5], v[8:9], v[4:5] op_sel_hi:[1,0]
	s_waitcnt vmcnt(0)
	v_pk_fma_f32 v[6:7], v[8:9], v[184:185], v[4:5] op_sel:[0,0,1] op_sel_hi:[1,1,0] neg_lo:[0,0,1] neg_hi:[0,0,1]
	v_pk_fma_f32 v[4:5], v[8:9], v[184:185], v[4:5] op_sel:[0,0,1] op_sel_hi:[1,0,0]
	v_pk_add_f32 v[2:3], v[2:3], v[18:19]
	v_mov_b32_e32 v4, v183
	v_pk_add_f32 v[2:3], v[2:3], v[16:17]
	v_mov_b32_e32 v7, v5
	s_waitcnt lgkmcnt(0)
	v_pk_mul_f32 v[4:5], v[10:11], v[4:5] op_sel_hi:[1,0]
	v_pk_add_f32 v[2:3], v[2:3], v[6:7]
	v_pk_fma_f32 v[6:7], v[10:11], v[182:183], v[4:5] op_sel:[0,0,1] op_sel_hi:[1,1,0] neg_lo:[0,0,1] neg_hi:[0,0,1]
	v_pk_fma_f32 v[4:5], v[10:11], v[182:183], v[4:5] op_sel:[0,0,1] op_sel_hi:[1,0,0]
	v_mov_b32_e32 v4, v181
	v_mov_b32_e32 v7, v5
	v_pk_mul_f32 v[4:5], v[12:13], v[4:5] op_sel_hi:[1,0]
	v_pk_add_f32 v[2:3], v[2:3], v[6:7]
	v_pk_fma_f32 v[6:7], v[12:13], v[180:181], v[4:5] op_sel:[0,0,1] op_sel_hi:[1,1,0] neg_lo:[0,0,1] neg_hi:[0,0,1]
	v_pk_fma_f32 v[4:5], v[12:13], v[180:181], v[4:5] op_sel:[0,0,1] op_sel_hi:[1,0,0]
	v_mov_b32_e32 v7, v5
	v_pk_add_f32 v[2:3], v[2:3], v[6:7]
	v_pk_add_f32 v[2:3], v[14:15], v[2:3] neg_lo:[0,1] neg_hi:[0,1]
	buffer_store_dword v3, off, s[0:3], 0 offset:68
	buffer_store_dword v2, off, s[0:3], 0 offset:64
	s_and_saveexec_b64 s[4:5], vcc
	s_cbranch_execz .LBB110_281
; %bb.280:
	buffer_load_dword v2, off, s[0:3], 0 offset:56
	buffer_load_dword v3, off, s[0:3], 0 offset:60
	v_mov_b32_e32 v4, 0
	buffer_store_dword v4, off, s[0:3], 0 offset:56
	buffer_store_dword v4, off, s[0:3], 0 offset:60
	s_waitcnt vmcnt(2)
	ds_write_b64 v89, v[2:3]
.LBB110_281:
	s_or_b64 exec, exec, s[4:5]
	s_waitcnt lgkmcnt(0)
	; wave barrier
	s_waitcnt lgkmcnt(0)
	buffer_load_dword v21, off, s[0:3], 0 offset:68
	buffer_load_dword v70, off, s[0:3], 0 offset:76
	;; [unrolled: 1-line block ×48, first 2 shown]
	v_mov_b32_e32 v20, 0
	ds_read_b128 v[4:7], v20 offset:448
	buffer_load_dword v228, off, s[0:3], 0 offset:248
	buffer_load_dword v229, off, s[0:3], 0 offset:252
	;; [unrolled: 1-line block ×8, first 2 shown]
	ds_read_b128 v[8:11], v20 offset:464
	ds_read_b128 v[12:15], v20 offset:480
	ds_read_b128 v[16:19], v20 offset:496
	buffer_load_dword v236, off, s[0:3], 0 offset:280
	buffer_load_dword v237, off, s[0:3], 0 offset:284
	;; [unrolled: 1-line block ×8, first 2 shown]
	v_cmp_lt_u32_e32 vcc, 6, v0
	s_waitcnt vmcnt(62) lgkmcnt(3)
	v_mul_f32_e32 v22, v4, v21
	v_mul_f32_e32 v23, v6, v70
	s_waitcnt vmcnt(61) lgkmcnt(2)
	v_mul_f32_e32 v24, v8, v72
	s_waitcnt vmcnt(60)
	v_mul_f32_e32 v25, v10, v74
	s_waitcnt vmcnt(59) lgkmcnt(1)
	v_mul_f32_e32 v26, v12, v186
	s_waitcnt vmcnt(58)
	;; [unrolled: 4-line block ×3, first 2 shown]
	v_fmac_f32_e32 v22, v5, v189
	s_waitcnt vmcnt(55)
	v_fmac_f32_e32 v23, v7, v190
	v_add_f32_e32 v22, 0, v22
	s_waitcnt vmcnt(54)
	v_fmac_f32_e32 v24, v9, v191
	v_add_f32_e32 v22, v22, v23
	;; [unrolled: 3-line block ×6, first 2 shown]
	v_add_f32_e32 v26, v22, v28
	ds_read_b128 v[22:25], v20 offset:512
	s_waitcnt vmcnt(49)
	v_mul_f32_e32 v27, v18, v196
	s_waitcnt vmcnt(48)
	v_fmac_f32_e32 v27, v19, v197
	v_add_f32_e32 v30, v26, v27
	ds_read_b128 v[26:29], v20 offset:528
	s_waitcnt vmcnt(47) lgkmcnt(1)
	v_mul_f32_e32 v31, v22, v198
	s_waitcnt vmcnt(46)
	v_fmac_f32_e32 v31, v23, v199
	v_add_f32_e32 v30, v30, v31
	s_waitcnt vmcnt(45)
	v_mul_f32_e32 v31, v24, v200
	s_waitcnt vmcnt(44)
	v_fmac_f32_e32 v31, v25, v201
	v_add_f32_e32 v30, v30, v31
	s_waitcnt vmcnt(42) lgkmcnt(0)
	v_mul_f32_e32 v31, v26, v203
	v_fmac_f32_e32 v31, v27, v202
	v_add_f32_e32 v34, v30, v31
	ds_read_b128 v[30:33], v20 offset:544
	s_waitcnt vmcnt(38)
	v_mul_f32_e32 v35, v28, v205
	v_fmac_f32_e32 v35, v29, v204
	v_add_f32_e32 v38, v34, v35
	ds_read_b128 v[34:37], v20 offset:560
	s_waitcnt vmcnt(36) lgkmcnt(1)
	v_mul_f32_e32 v39, v30, v207
	v_fmac_f32_e32 v39, v31, v206
	v_add_f32_e32 v38, v38, v39
	s_waitcnt vmcnt(34)
	v_mul_f32_e32 v39, v32, v209
	v_fmac_f32_e32 v39, v33, v208
	v_add_f32_e32 v38, v38, v39
	s_waitcnt vmcnt(32) lgkmcnt(0)
	v_mul_f32_e32 v39, v34, v211
	v_fmac_f32_e32 v39, v35, v210
	v_add_f32_e32 v42, v38, v39
	ds_read_b128 v[38:41], v20 offset:576
	s_waitcnt vmcnt(30)
	v_mul_f32_e32 v43, v36, v213
	v_fmac_f32_e32 v43, v37, v212
	v_add_f32_e32 v46, v42, v43
	ds_read_b128 v[42:45], v20 offset:592
	s_waitcnt vmcnt(28) lgkmcnt(1)
	v_mul_f32_e32 v47, v38, v215
	v_fmac_f32_e32 v47, v39, v214
	v_add_f32_e32 v46, v46, v47
	s_waitcnt vmcnt(26)
	v_mul_f32_e32 v47, v40, v217
	;; [unrolled: 18-line block ×4, first 2 shown]
	v_fmac_f32_e32 v63, v57, v232
	v_add_f32_e32 v62, v62, v63
	s_waitcnt vmcnt(8) lgkmcnt(0)
	v_mul_f32_e32 v63, v58, v235
	v_fmac_f32_e32 v63, v59, v234
	s_waitcnt vmcnt(6)
	v_mul_f32_e32 v67, v60, v237
	v_add_f32_e32 v66, v62, v63
	v_fmac_f32_e32 v67, v61, v236
	ds_read_b128 v[62:65], v20 offset:672
	v_add_f32_e32 v71, v66, v67
	ds_read_b128 v[66:69], v20 offset:688
	buffer_load_dword v77, off, s[0:3], 0 offset:340
	buffer_load_dword v76, off, s[0:3], 0 offset:336
	;; [unrolled: 1-line block ×16, first 2 shown]
	v_mul_f32_e32 v5, v5, v21
	v_fma_f32 v4, v4, v189, -v5
	v_mul_f32_e32 v5, v7, v70
	v_add_f32_e32 v4, 0, v4
	v_fma_f32 v5, v6, v190, -v5
	v_add_f32_e32 v4, v4, v5
	v_mul_f32_e32 v5, v9, v72
	v_fma_f32 v5, v8, v191, -v5
	v_add_f32_e32 v4, v4, v5
	v_mul_f32_e32 v5, v11, v74
	;; [unrolled: 3-line block ×26, first 2 shown]
	v_fma_f32 v5, v60, v236, -v5
	v_add_f32_e32 v4, v4, v5
	s_waitcnt vmcnt(20) lgkmcnt(1)
	v_mul_f32_e32 v5, v63, v239
	v_mul_f32_e32 v73, v62, v239
	v_fma_f32 v5, v62, v238, -v5
	v_fmac_f32_e32 v73, v63, v238
	v_add_f32_e32 v70, v4, v5
	s_waitcnt vmcnt(18)
	v_mul_f32_e32 v4, v65, v241
	s_waitcnt vmcnt(9)
	v_mov_b32_e32 v22, v177
	v_add_f32_e32 v71, v71, v73
	v_mul_f32_e32 v73, v64, v241
	v_fma_f32 v72, v64, v240, -v4
	s_waitcnt lgkmcnt(0)
	v_mul_f32_e32 v4, v67, v243
	v_pk_mul_f32 v[22:23], v[68:69], v[22:23] op_sel_hi:[1,0]
	v_fmac_f32_e32 v73, v65, v240
	v_mul_f32_e32 v75, v66, v243
	v_fma_f32 v74, v66, v242, -v4
	ds_read_b128 v[4:7], v20 offset:704
	ds_read_b128 v[8:11], v20 offset:720
	;; [unrolled: 1-line block ×3, first 2 shown]
	ds_read_b64 v[16:17], v20 offset:752
	s_waitcnt vmcnt(8)
	v_pk_fma_f32 v[24:25], v[68:69], v[176:177], v[22:23] op_sel:[0,0,1] op_sel_hi:[1,1,0] neg_lo:[0,0,1] neg_hi:[0,0,1]
	v_pk_fma_f32 v[22:23], v[68:69], v[176:177], v[22:23] op_sel:[0,0,1] op_sel_hi:[1,0,0]
	v_fmac_f32_e32 v75, v67, v242
	v_pk_add_f32 v[18:19], v[70:71], v[72:73]
	v_mov_b32_e32 v22, v175
	v_pk_add_f32 v[18:19], v[18:19], v[74:75]
	v_mov_b32_e32 v25, v23
	s_waitcnt lgkmcnt(3)
	v_pk_mul_f32 v[22:23], v[4:5], v[22:23] op_sel_hi:[1,0]
	v_pk_add_f32 v[18:19], v[18:19], v[24:25]
	v_pk_fma_f32 v[24:25], v[4:5], v[174:175], v[22:23] op_sel:[0,0,1] op_sel_hi:[1,1,0] neg_lo:[0,0,1] neg_hi:[0,0,1]
	v_pk_fma_f32 v[4:5], v[4:5], v[174:175], v[22:23] op_sel:[0,0,1] op_sel_hi:[1,0,0]
	v_mov_b32_e32 v25, v5
	v_pk_add_f32 v[4:5], v[18:19], v[24:25]
	v_mov_b32_e32 v18, v173
	v_pk_mul_f32 v[18:19], v[6:7], v[18:19] op_sel_hi:[1,0]
	v_pk_fma_f32 v[22:23], v[6:7], v[172:173], v[18:19] op_sel:[0,0,1] op_sel_hi:[1,1,0] neg_lo:[0,0,1] neg_hi:[0,0,1]
	v_pk_fma_f32 v[6:7], v[6:7], v[172:173], v[18:19] op_sel:[0,0,1] op_sel_hi:[1,0,0]
	v_mov_b32_e32 v6, v77
	v_mov_b32_e32 v23, v7
	s_waitcnt lgkmcnt(2)
	v_pk_mul_f32 v[6:7], v[8:9], v[6:7] op_sel_hi:[1,0]
	v_pk_fma_f32 v[18:19], v[8:9], v[76:77], v[6:7] op_sel:[0,0,1] op_sel_hi:[1,1,0] neg_lo:[0,0,1] neg_hi:[0,0,1]
	v_pk_fma_f32 v[6:7], v[8:9], v[76:77], v[6:7] op_sel:[0,0,1] op_sel_hi:[1,0,0]
	s_waitcnt vmcnt(1)
	v_mov_b32_e32 v6, v185
	v_mov_b32_e32 v19, v7
	v_pk_mul_f32 v[6:7], v[10:11], v[6:7] op_sel_hi:[1,0]
	s_waitcnt vmcnt(0)
	v_pk_fma_f32 v[8:9], v[10:11], v[184:185], v[6:7] op_sel:[0,0,1] op_sel_hi:[1,1,0] neg_lo:[0,0,1] neg_hi:[0,0,1]
	v_pk_fma_f32 v[6:7], v[10:11], v[184:185], v[6:7] op_sel:[0,0,1] op_sel_hi:[1,0,0]
	v_pk_add_f32 v[4:5], v[4:5], v[22:23]
	v_mov_b32_e32 v6, v183
	v_pk_add_f32 v[4:5], v[4:5], v[18:19]
	v_mov_b32_e32 v9, v7
	s_waitcnt lgkmcnt(1)
	v_pk_mul_f32 v[6:7], v[12:13], v[6:7] op_sel_hi:[1,0]
	v_pk_add_f32 v[4:5], v[4:5], v[8:9]
	v_pk_fma_f32 v[8:9], v[12:13], v[182:183], v[6:7] op_sel:[0,0,1] op_sel_hi:[1,1,0] neg_lo:[0,0,1] neg_hi:[0,0,1]
	v_pk_fma_f32 v[6:7], v[12:13], v[182:183], v[6:7] op_sel:[0,0,1] op_sel_hi:[1,0,0]
	v_mov_b32_e32 v6, v181
	v_mov_b32_e32 v9, v7
	v_pk_mul_f32 v[6:7], v[14:15], v[6:7] op_sel_hi:[1,0]
	v_pk_add_f32 v[4:5], v[4:5], v[8:9]
	v_pk_fma_f32 v[8:9], v[14:15], v[180:181], v[6:7] op_sel:[0,0,1] op_sel_hi:[1,1,0] neg_lo:[0,0,1] neg_hi:[0,0,1]
	v_pk_fma_f32 v[6:7], v[14:15], v[180:181], v[6:7] op_sel:[0,0,1] op_sel_hi:[1,0,0]
	v_mov_b32_e32 v6, v179
	v_mov_b32_e32 v9, v7
	s_waitcnt lgkmcnt(0)
	v_pk_mul_f32 v[6:7], v[16:17], v[6:7] op_sel_hi:[1,0]
	v_pk_add_f32 v[4:5], v[4:5], v[8:9]
	v_pk_fma_f32 v[8:9], v[16:17], v[178:179], v[6:7] op_sel:[0,0,1] op_sel_hi:[1,1,0] neg_lo:[0,0,1] neg_hi:[0,0,1]
	v_pk_fma_f32 v[6:7], v[16:17], v[178:179], v[6:7] op_sel:[0,0,1] op_sel_hi:[1,0,0]
	v_mov_b32_e32 v9, v7
	v_pk_add_f32 v[4:5], v[4:5], v[8:9]
	v_pk_add_f32 v[2:3], v[2:3], v[4:5] neg_lo:[0,1] neg_hi:[0,1]
	buffer_store_dword v3, off, s[0:3], 0 offset:60
	buffer_store_dword v2, off, s[0:3], 0 offset:56
	s_and_saveexec_b64 s[4:5], vcc
	s_cbranch_execz .LBB110_283
; %bb.282:
	buffer_load_dword v2, off, s[0:3], 0 offset:48
	buffer_load_dword v3, off, s[0:3], 0 offset:52
	s_waitcnt vmcnt(0)
	ds_write_b64 v89, v[2:3]
	buffer_store_dword v20, off, s[0:3], 0 offset:48
	buffer_store_dword v20, off, s[0:3], 0 offset:52
.LBB110_283:
	s_or_b64 exec, exec, s[4:5]
	s_waitcnt lgkmcnt(0)
	; wave barrier
	s_waitcnt lgkmcnt(0)
	buffer_load_dword v21, off, s[0:3], 0 offset:60
	buffer_load_dword v70, off, s[0:3], 0 offset:68
	;; [unrolled: 1-line block ×26, first 2 shown]
	ds_read2_b64 v[14:17], v20 offset0:55 offset1:56
	ds_read2_b64 v[6:9], v20 offset0:57 offset1:58
	buffer_load_dword v206, off, s[0:3], 0 offset:152
	buffer_load_dword v207, off, s[0:3], 0 offset:156
	ds_read2_b64 v[10:13], v20 offset0:59 offset1:60
	ds_read2_b64 v[2:5], v20 offset0:61 offset1:62
	buffer_load_dword v208, off, s[0:3], 0 offset:160
	buffer_load_dword v209, off, s[0:3], 0 offset:164
	buffer_load_dword v210, off, s[0:3], 0 offset:168
	buffer_load_dword v211, off, s[0:3], 0 offset:172
	buffer_load_dword v212, off, s[0:3], 0 offset:176
	buffer_load_dword v213, off, s[0:3], 0 offset:180
	buffer_load_dword v214, off, s[0:3], 0 offset:184
	buffer_load_dword v215, off, s[0:3], 0 offset:188
	buffer_load_dword v216, off, s[0:3], 0 offset:192
	buffer_load_dword v217, off, s[0:3], 0 offset:196
	buffer_load_dword v218, off, s[0:3], 0 offset:200
	buffer_load_dword v219, off, s[0:3], 0 offset:204
	buffer_load_dword v220, off, s[0:3], 0 offset:208
	buffer_load_dword v221, off, s[0:3], 0 offset:212
	buffer_load_dword v222, off, s[0:3], 0 offset:216
	buffer_load_dword v223, off, s[0:3], 0 offset:220
	buffer_load_dword v224, off, s[0:3], 0 offset:224
	buffer_load_dword v225, off, s[0:3], 0 offset:228
	buffer_load_dword v226, off, s[0:3], 0 offset:232
	buffer_load_dword v227, off, s[0:3], 0 offset:236
	buffer_load_dword v228, off, s[0:3], 0 offset:240
	buffer_load_dword v229, off, s[0:3], 0 offset:244
	buffer_load_dword v230, off, s[0:3], 0 offset:248
	buffer_load_dword v231, off, s[0:3], 0 offset:252
	buffer_load_dword v232, off, s[0:3], 0 offset:256
	buffer_load_dword v233, off, s[0:3], 0 offset:260
	buffer_load_dword v234, off, s[0:3], 0 offset:264
	buffer_load_dword v235, off, s[0:3], 0 offset:268
	buffer_load_dword v236, off, s[0:3], 0 offset:272
	buffer_load_dword v237, off, s[0:3], 0 offset:276
	buffer_load_dword v238, off, s[0:3], 0 offset:280
	buffer_load_dword v239, off, s[0:3], 0 offset:284
	v_cmp_lt_u32_e32 vcc, 5, v0
	s_waitcnt vmcnt(59) lgkmcnt(3)
	v_mul_f32_e32 v22, v14, v21
	s_waitcnt vmcnt(58)
	v_mul_f32_e32 v23, v16, v70
	s_waitcnt vmcnt(57) lgkmcnt(2)
	v_mul_f32_e32 v24, v6, v72
	s_waitcnt vmcnt(56)
	v_mul_f32_e32 v25, v8, v174
	;; [unrolled: 4-line block ×4, first 2 shown]
	s_waitcnt vmcnt(51)
	v_fmac_f32_e32 v22, v15, v190
	s_waitcnt vmcnt(50)
	v_fmac_f32_e32 v23, v17, v191
	v_add_f32_e32 v22, 0, v22
	s_waitcnt vmcnt(49)
	v_fmac_f32_e32 v24, v7, v192
	v_add_f32_e32 v22, v22, v23
	;; [unrolled: 3-line block ×6, first 2 shown]
	v_add_f32_e32 v26, v22, v28
	ds_read2_b64 v[22:25], v20 offset0:63 offset1:64
	s_waitcnt vmcnt(44)
	v_fmac_f32_e32 v29, v5, v197
	buffer_load_dword v240, off, s[0:3], 0 offset:288
	buffer_load_dword v241, off, s[0:3], 0 offset:292
	v_add_f32_e32 v30, v26, v29
	buffer_load_dword v242, off, s[0:3], 0 offset:296
	buffer_load_dword v243, off, s[0:3], 0 offset:300
	ds_read2_b64 v[26:29], v20 offset0:65 offset1:66
	s_waitcnt vmcnt(47) lgkmcnt(1)
	v_mul_f32_e32 v31, v22, v198
	s_waitcnt vmcnt(46)
	v_fmac_f32_e32 v31, v23, v199
	v_add_f32_e32 v30, v30, v31
	s_waitcnt vmcnt(45)
	v_mul_f32_e32 v31, v24, v200
	s_waitcnt vmcnt(44)
	v_fmac_f32_e32 v31, v25, v201
	v_add_f32_e32 v30, v30, v31
	s_waitcnt vmcnt(41) lgkmcnt(0)
	v_mul_f32_e32 v31, v26, v202
	s_waitcnt vmcnt(40)
	v_fmac_f32_e32 v31, v27, v203
	buffer_load_dword v244, off, s[0:3], 0 offset:304
	buffer_load_dword v245, off, s[0:3], 0 offset:308
	v_add_f32_e32 v34, v30, v31
	ds_read2_b64 v[30:33], v20 offset0:67 offset1:68
	s_waitcnt vmcnt(40)
	v_mul_f32_e32 v35, v28, v205
	v_fmac_f32_e32 v35, v29, v204
	v_add_f32_e32 v38, v34, v35
	ds_read2_b64 v[34:37], v20 offset0:69 offset1:70
	s_waitcnt vmcnt(38) lgkmcnt(1)
	v_mul_f32_e32 v39, v30, v207
	v_fmac_f32_e32 v39, v31, v206
	v_add_f32_e32 v38, v38, v39
	s_waitcnt vmcnt(36)
	v_mul_f32_e32 v39, v32, v209
	v_fmac_f32_e32 v39, v33, v208
	v_add_f32_e32 v38, v38, v39
	s_waitcnt vmcnt(34) lgkmcnt(0)
	v_mul_f32_e32 v39, v34, v211
	v_fmac_f32_e32 v39, v35, v210
	v_add_f32_e32 v42, v38, v39
	ds_read2_b64 v[38:41], v20 offset0:71 offset1:72
	s_waitcnt vmcnt(32)
	v_mul_f32_e32 v43, v36, v213
	v_fmac_f32_e32 v43, v37, v212
	v_add_f32_e32 v46, v42, v43
	ds_read2_b64 v[42:45], v20 offset0:73 offset1:74
	s_waitcnt vmcnt(30) lgkmcnt(1)
	v_mul_f32_e32 v47, v38, v215
	v_fmac_f32_e32 v47, v39, v214
	v_add_f32_e32 v46, v46, v47
	s_waitcnt vmcnt(28)
	v_mul_f32_e32 v47, v40, v217
	v_fmac_f32_e32 v47, v41, v216
	v_add_f32_e32 v46, v46, v47
	s_waitcnt vmcnt(26) lgkmcnt(0)
	v_mul_f32_e32 v47, v42, v219
	v_fmac_f32_e32 v47, v43, v218
	;; [unrolled: 18-line block ×4, first 2 shown]
	s_waitcnt vmcnt(8)
	v_mul_f32_e32 v67, v60, v237
	v_add_f32_e32 v66, v62, v63
	v_fmac_f32_e32 v67, v61, v236
	ds_read2_b64 v[62:65], v20 offset0:83 offset1:84
	v_add_f32_e32 v71, v66, v67
	ds_read2_b64 v[66:69], v20 offset0:85 offset1:86
	buffer_load_dword v75, off, s[0:3], 0 offset:332
	buffer_load_dword v74, off, s[0:3], 0 offset:328
	buffer_load_dword v77, off, s[0:3], 0 offset:324
	buffer_load_dword v76, off, s[0:3], 0 offset:320
	buffer_load_dword v173, off, s[0:3], 0 offset:316
	buffer_load_dword v172, off, s[0:3], 0 offset:312
	buffer_load_dword v177, off, s[0:3], 0 offset:364
	buffer_load_dword v176, off, s[0:3], 0 offset:360
	buffer_load_dword v179, off, s[0:3], 0 offset:356
	buffer_load_dword v178, off, s[0:3], 0 offset:352
	buffer_load_dword v181, off, s[0:3], 0 offset:348
	buffer_load_dword v180, off, s[0:3], 0 offset:344
	buffer_load_dword v183, off, s[0:3], 0 offset:340
	buffer_load_dword v182, off, s[0:3], 0 offset:336
	buffer_load_dword v185, off, s[0:3], 0 offset:372
	buffer_load_dword v184, off, s[0:3], 0 offset:368
	v_mul_f32_e32 v15, v15, v21
	v_fma_f32 v14, v14, v190, -v15
	v_mul_f32_e32 v15, v17, v70
	v_add_f32_e32 v14, 0, v14
	v_fma_f32 v15, v16, v191, -v15
	v_mul_f32_e32 v7, v7, v72
	v_add_f32_e32 v14, v14, v15
	;; [unrolled: 3-line block ×3, first 2 shown]
	v_fma_f32 v7, v8, v193, -v7
	v_add_f32_e32 v6, v6, v7
	v_mul_f32_e32 v7, v11, v186
	v_fma_f32 v7, v10, v194, -v7
	v_add_f32_e32 v6, v6, v7
	v_mul_f32_e32 v7, v13, v187
	v_fma_f32 v7, v12, v195, -v7
	v_mul_f32_e32 v3, v3, v188
	v_add_f32_e32 v6, v6, v7
	v_fma_f32 v2, v2, v196, -v3
	v_mul_f32_e32 v3, v5, v189
	v_add_f32_e32 v2, v6, v2
	v_fma_f32 v3, v4, v197, -v3
	v_add_f32_e32 v2, v2, v3
	v_mul_f32_e32 v3, v23, v198
	v_fma_f32 v3, v22, v199, -v3
	v_add_f32_e32 v2, v2, v3
	v_mul_f32_e32 v3, v25, v200
	;; [unrolled: 3-line block ×20, first 2 shown]
	v_fma_f32 v3, v60, v236, -v3
	v_add_f32_e32 v2, v2, v3
	s_waitcnt vmcnt(22) lgkmcnt(1)
	v_mul_f32_e32 v3, v63, v239
	v_fma_f32 v3, v62, v238, -v3
	v_add_f32_e32 v2, v2, v3
	s_waitcnt vmcnt(20)
	v_mul_f32_e32 v3, v65, v241
	v_mul_f32_e32 v73, v62, v239
	v_fma_f32 v3, v64, v240, -v3
	v_fmac_f32_e32 v73, v63, v238
	v_add_f32_e32 v70, v2, v3
	s_waitcnt vmcnt(18) lgkmcnt(0)
	v_mul_f32_e32 v2, v67, v243
	v_add_f32_e32 v71, v71, v73
	v_mul_f32_e32 v73, v64, v241
	v_fma_f32 v72, v66, v242, -v2
	s_waitcnt vmcnt(16)
	v_mul_f32_e32 v2, v69, v245
	v_fmac_f32_e32 v73, v65, v240
	v_fma_f32 v174, v68, v244, -v2
	ds_read2_b64 v[2:5], v20 offset0:87 offset1:88
	ds_read2_b64 v[6:9], v20 offset0:89 offset1:90
	;; [unrolled: 1-line block ×4, first 2 shown]
	v_add_f32_e32 v71, v71, v73
	v_mul_f32_e32 v73, v66, v243
	s_waitcnt vmcnt(11)
	v_mov_b32_e32 v22, v173
	v_fmac_f32_e32 v73, v67, v242
	v_mul_f32_e32 v175, v68, v245
	s_waitcnt lgkmcnt(3)
	v_pk_mul_f32 v[22:23], v[2:3], v[22:23] op_sel_hi:[1,0]
	v_fmac_f32_e32 v175, v69, v244
	v_pk_add_f32 v[20:21], v[70:71], v[72:73]
	s_waitcnt vmcnt(10)
	v_pk_fma_f32 v[24:25], v[2:3], v[172:173], v[22:23] op_sel:[0,0,1] op_sel_hi:[1,1,0] neg_lo:[0,0,1] neg_hi:[0,0,1]
	v_pk_fma_f32 v[2:3], v[2:3], v[172:173], v[22:23] op_sel:[0,0,1] op_sel_hi:[1,0,0]
	v_pk_add_f32 v[20:21], v[20:21], v[174:175]
	v_mov_b32_e32 v25, v3
	v_pk_add_f32 v[2:3], v[20:21], v[24:25]
	v_mov_b32_e32 v20, v77
	v_pk_mul_f32 v[20:21], v[4:5], v[20:21] op_sel_hi:[1,0]
	v_pk_fma_f32 v[22:23], v[4:5], v[76:77], v[20:21] op_sel:[0,0,1] op_sel_hi:[1,1,0] neg_lo:[0,0,1] neg_hi:[0,0,1]
	v_pk_fma_f32 v[4:5], v[4:5], v[76:77], v[20:21] op_sel:[0,0,1] op_sel_hi:[1,0,0]
	v_mov_b32_e32 v4, v75
	v_mov_b32_e32 v23, v5
	s_waitcnt lgkmcnt(2)
	v_pk_mul_f32 v[4:5], v[6:7], v[4:5] op_sel_hi:[1,0]
	v_pk_fma_f32 v[20:21], v[6:7], v[74:75], v[4:5] op_sel:[0,0,1] op_sel_hi:[1,1,0] neg_lo:[0,0,1] neg_hi:[0,0,1]
	v_pk_fma_f32 v[4:5], v[6:7], v[74:75], v[4:5] op_sel:[0,0,1] op_sel_hi:[1,0,0]
	s_waitcnt vmcnt(3)
	v_mov_b32_e32 v4, v183
	v_mov_b32_e32 v21, v5
	v_pk_mul_f32 v[4:5], v[8:9], v[4:5] op_sel_hi:[1,0]
	s_waitcnt vmcnt(2)
	v_pk_fma_f32 v[6:7], v[8:9], v[182:183], v[4:5] op_sel:[0,0,1] op_sel_hi:[1,1,0] neg_lo:[0,0,1] neg_hi:[0,0,1]
	v_pk_fma_f32 v[4:5], v[8:9], v[182:183], v[4:5] op_sel:[0,0,1] op_sel_hi:[1,0,0]
	v_pk_add_f32 v[2:3], v[2:3], v[22:23]
	v_mov_b32_e32 v4, v181
	v_pk_add_f32 v[2:3], v[2:3], v[20:21]
	v_mov_b32_e32 v7, v5
	s_waitcnt lgkmcnt(1)
	v_pk_mul_f32 v[4:5], v[10:11], v[4:5] op_sel_hi:[1,0]
	v_pk_add_f32 v[2:3], v[2:3], v[6:7]
	v_pk_fma_f32 v[6:7], v[10:11], v[180:181], v[4:5] op_sel:[0,0,1] op_sel_hi:[1,1,0] neg_lo:[0,0,1] neg_hi:[0,0,1]
	v_pk_fma_f32 v[4:5], v[10:11], v[180:181], v[4:5] op_sel:[0,0,1] op_sel_hi:[1,0,0]
	v_mov_b32_e32 v4, v179
	v_mov_b32_e32 v7, v5
	v_pk_mul_f32 v[4:5], v[12:13], v[4:5] op_sel_hi:[1,0]
	v_pk_add_f32 v[2:3], v[2:3], v[6:7]
	v_pk_fma_f32 v[6:7], v[12:13], v[178:179], v[4:5] op_sel:[0,0,1] op_sel_hi:[1,1,0] neg_lo:[0,0,1] neg_hi:[0,0,1]
	v_pk_fma_f32 v[4:5], v[12:13], v[178:179], v[4:5] op_sel:[0,0,1] op_sel_hi:[1,0,0]
	v_mov_b32_e32 v4, v177
	v_mov_b32_e32 v7, v5
	s_waitcnt lgkmcnt(0)
	v_pk_mul_f32 v[4:5], v[14:15], v[4:5] op_sel_hi:[1,0]
	v_pk_add_f32 v[2:3], v[2:3], v[6:7]
	v_pk_fma_f32 v[6:7], v[14:15], v[176:177], v[4:5] op_sel:[0,0,1] op_sel_hi:[1,1,0] neg_lo:[0,0,1] neg_hi:[0,0,1]
	v_pk_fma_f32 v[4:5], v[14:15], v[176:177], v[4:5] op_sel:[0,0,1] op_sel_hi:[1,0,0]
	s_waitcnt vmcnt(1)
	v_mov_b32_e32 v4, v185
	v_mov_b32_e32 v7, v5
	v_pk_mul_f32 v[4:5], v[16:17], v[4:5] op_sel_hi:[1,0]
	v_pk_add_f32 v[2:3], v[2:3], v[6:7]
	s_waitcnt vmcnt(0)
	v_pk_fma_f32 v[6:7], v[16:17], v[184:185], v[4:5] op_sel:[0,0,1] op_sel_hi:[1,1,0] neg_lo:[0,0,1] neg_hi:[0,0,1]
	v_pk_fma_f32 v[4:5], v[16:17], v[184:185], v[4:5] op_sel:[0,0,1] op_sel_hi:[1,0,0]
	v_mov_b32_e32 v7, v5
	v_pk_add_f32 v[2:3], v[2:3], v[6:7]
	v_pk_add_f32 v[2:3], v[18:19], v[2:3] neg_lo:[0,1] neg_hi:[0,1]
	buffer_store_dword v3, off, s[0:3], 0 offset:52
	buffer_store_dword v2, off, s[0:3], 0 offset:48
	s_and_saveexec_b64 s[4:5], vcc
	s_cbranch_execz .LBB110_285
; %bb.284:
	buffer_load_dword v2, off, s[0:3], 0 offset:40
	buffer_load_dword v3, off, s[0:3], 0 offset:44
	v_mov_b32_e32 v4, 0
	buffer_store_dword v4, off, s[0:3], 0 offset:40
	buffer_store_dword v4, off, s[0:3], 0 offset:44
	s_waitcnt vmcnt(2)
	ds_write_b64 v89, v[2:3]
.LBB110_285:
	s_or_b64 exec, exec, s[4:5]
	s_waitcnt lgkmcnt(0)
	; wave barrier
	s_waitcnt lgkmcnt(0)
	buffer_load_dword v172, off, s[0:3], 0 offset:52
	buffer_load_dword v189, off, s[0:3], 0 offset:60
	;; [unrolled: 1-line block ×58, first 2 shown]
	v_mov_b32_e32 v188, 0
	ds_read_b128 v[22:25], v188 offset:432
	ds_read_b128 v[18:21], v188 offset:448
	;; [unrolled: 1-line block ×5, first 2 shown]
	buffer_load_dword v242, off, s[0:3], 0 offset:276
	buffer_load_dword v243, off, s[0:3], 0 offset:272
	;; [unrolled: 1-line block ×6, first 2 shown]
	v_cmp_lt_u32_e32 vcc, 4, v0
	s_waitcnt vmcnt(62) lgkmcnt(4)
	v_mul_f32_e32 v2, v22, v172
	v_mul_f32_e32 v3, v24, v189
	s_waitcnt vmcnt(61) lgkmcnt(3)
	v_mul_f32_e32 v4, v18, v74
	s_waitcnt vmcnt(60)
	v_mul_f32_e32 v5, v20, v190
	s_waitcnt vmcnt(59) lgkmcnt(2)
	v_mul_f32_e32 v26, v14, v191
	s_waitcnt vmcnt(58)
	;; [unrolled: 4-line block ×3, first 2 shown]
	v_mul_f32_e32 v29, v12, v193
	s_waitcnt vmcnt(55)
	v_fmac_f32_e32 v2, v23, v205
	s_waitcnt vmcnt(54)
	v_fmac_f32_e32 v3, v25, v203
	v_add_f32_e32 v2, 0, v2
	s_waitcnt vmcnt(53)
	v_fmac_f32_e32 v4, v19, v204
	v_add_f32_e32 v2, v2, v3
	;; [unrolled: 3-line block ×7, first 2 shown]
	v_add_f32_e32 v2, v2, v29
	ds_read_b128 v[26:29], v188 offset:512
	s_waitcnt vmcnt(47) lgkmcnt(1)
	v_mul_f32_e32 v3, v6, v197
	s_waitcnt vmcnt(46)
	v_fmac_f32_e32 v3, v7, v196
	v_add_f32_e32 v2, v2, v3
	s_waitcnt vmcnt(45)
	v_mul_f32_e32 v3, v8, v195
	buffer_load_dword v248, off, s[0:3], 0 offset:300
	buffer_load_dword v249, off, s[0:3], 0 offset:296
	;; [unrolled: 1-line block ×4, first 2 shown]
	s_waitcnt vmcnt(46)
	v_fmac_f32_e32 v3, v9, v200
	ds_read_b128 v[30:33], v188 offset:528
	ds_read_b128 v[34:37], v188 offset:544
	v_add_f32_e32 v2, v2, v3
	s_waitcnt vmcnt(44) lgkmcnt(2)
	v_mul_f32_e32 v3, v26, v207
	v_fmac_f32_e32 v3, v27, v206
	v_add_f32_e32 v2, v2, v3
	s_waitcnt vmcnt(42)
	v_mul_f32_e32 v3, v28, v209
	v_fmac_f32_e32 v3, v29, v208
	v_add_f32_e32 v2, v2, v3
	s_waitcnt vmcnt(40) lgkmcnt(1)
	v_mul_f32_e32 v3, v30, v211
	v_fmac_f32_e32 v3, v31, v210
	v_add_f32_e32 v2, v2, v3
	s_waitcnt vmcnt(38)
	v_mul_f32_e32 v3, v32, v213
	v_fmac_f32_e32 v3, v33, v212
	ds_read_b128 v[38:41], v188 offset:560
	ds_read_b128 v[42:45], v188 offset:576
	v_add_f32_e32 v2, v2, v3
	s_waitcnt vmcnt(36) lgkmcnt(2)
	v_mul_f32_e32 v3, v34, v215
	v_fmac_f32_e32 v3, v35, v214
	v_add_f32_e32 v2, v2, v3
	s_waitcnt vmcnt(34)
	v_mul_f32_e32 v3, v36, v217
	v_fmac_f32_e32 v3, v37, v216
	v_add_f32_e32 v2, v2, v3
	s_waitcnt vmcnt(32) lgkmcnt(1)
	v_mul_f32_e32 v3, v38, v219
	v_fmac_f32_e32 v3, v39, v218
	v_add_f32_e32 v2, v2, v3
	s_waitcnt vmcnt(30)
	v_mul_f32_e32 v3, v40, v221
	;; [unrolled: 18-line block ×4, first 2 shown]
	v_fmac_f32_e32 v3, v57, v236
	ds_read_b128 v[62:65], v188 offset:656
	ds_read_b128 v[66:69], v188 offset:672
	v_add_f32_e32 v2, v2, v3
	s_waitcnt vmcnt(12) lgkmcnt(2)
	v_mul_f32_e32 v3, v58, v239
	v_fmac_f32_e32 v3, v59, v238
	v_add_f32_e32 v2, v2, v3
	s_waitcnt vmcnt(10)
	v_mul_f32_e32 v3, v60, v241
	v_fmac_f32_e32 v3, v61, v240
	v_add_f32_e32 v2, v2, v3
	s_waitcnt vmcnt(9) lgkmcnt(1)
	v_mul_f32_e32 v3, v62, v242
	s_waitcnt vmcnt(8)
	v_fmac_f32_e32 v3, v63, v243
	v_add_f32_e32 v2, v2, v3
	s_waitcnt vmcnt(7)
	v_mul_f32_e32 v3, v64, v244
	s_waitcnt vmcnt(6)
	v_fmac_f32_e32 v3, v65, v245
	s_waitcnt vmcnt(5) lgkmcnt(0)
	v_mul_f32_e32 v73, v66, v246
	v_add_f32_e32 v72, v2, v3
	s_waitcnt vmcnt(4)
	v_fmac_f32_e32 v73, v67, v247
	ds_read_b128 v[2:5], v188 offset:688
	v_add_f32_e32 v77, v72, v73
	buffer_load_dword v73, off, s[0:3], 0 offset:316
	buffer_load_dword v72, off, s[0:3], 0 offset:312
	;; [unrolled: 1-line block ×16, first 2 shown]
	v_mul_f32_e32 v23, v23, v172
	v_fma_f32 v22, v22, v205, -v23
	v_mul_f32_e32 v23, v25, v189
	v_add_f32_e32 v22, 0, v22
	v_fma_f32 v23, v24, v203, -v23
	v_mul_f32_e32 v19, v19, v74
	v_add_f32_e32 v22, v22, v23
	;; [unrolled: 3-line block ×9, first 2 shown]
	v_fma_f32 v7, v8, v200, -v7
	v_add_f32_e32 v6, v6, v7
	v_mul_f32_e32 v7, v27, v207
	v_fma_f32 v7, v26, v206, -v7
	v_add_f32_e32 v6, v6, v7
	v_mul_f32_e32 v7, v29, v209
	;; [unrolled: 3-line block ×21, first 2 shown]
	v_fma_f32 v7, v66, v247, -v7
	s_waitcnt vmcnt(19)
	v_mul_f32_e32 v173, v68, v248
	s_waitcnt vmcnt(17) lgkmcnt(0)
	v_mul_f32_e32 v75, v2, v250
	v_add_f32_e32 v76, v6, v7
	v_mul_f32_e32 v6, v69, v248
	s_waitcnt vmcnt(15)
	v_mov_b32_e32 v20, v73
	v_fmac_f32_e32 v173, v69, v249
	v_fmac_f32_e32 v75, v3, v251
	v_fma_f32 v172, v68, v249, -v6
	v_mul_f32_e32 v3, v3, v250
	v_pk_mul_f32 v[20:21], v[4:5], v[20:21] op_sel_hi:[1,0]
	v_fma_f32 v74, v2, v251, -v3
	v_pk_add_f32 v[18:19], v[76:77], v[172:173]
	s_waitcnt vmcnt(14)
	v_pk_fma_f32 v[22:23], v[4:5], v[72:73], v[20:21] op_sel:[0,0,1] op_sel_hi:[1,1,0] neg_lo:[0,0,1] neg_hi:[0,0,1]
	v_pk_fma_f32 v[4:5], v[4:5], v[72:73], v[20:21] op_sel:[0,0,1] op_sel_hi:[1,0,0]
	ds_read_b128 v[6:9], v188 offset:704
	ds_read_b128 v[10:13], v188 offset:720
	;; [unrolled: 1-line block ×3, first 2 shown]
	ds_read_b64 v[2:3], v188 offset:752
	v_pk_add_f32 v[18:19], v[18:19], v[74:75]
	v_mov_b32_e32 v23, v5
	v_pk_add_f32 v[4:5], v[18:19], v[22:23]
	s_waitcnt vmcnt(13)
	v_mov_b32_e32 v18, v187
	s_waitcnt lgkmcnt(3)
	v_pk_mul_f32 v[18:19], v[6:7], v[18:19] op_sel_hi:[1,0]
	s_waitcnt vmcnt(12)
	v_pk_fma_f32 v[20:21], v[6:7], v[186:187], v[18:19] op_sel:[0,0,1] op_sel_hi:[1,1,0] neg_lo:[0,0,1] neg_hi:[0,0,1]
	v_pk_fma_f32 v[6:7], v[6:7], v[186:187], v[18:19] op_sel:[0,0,1] op_sel_hi:[1,0,0]
	s_waitcnt vmcnt(11)
	v_mov_b32_e32 v6, v185
	v_mov_b32_e32 v21, v7
	v_pk_mul_f32 v[6:7], v[8:9], v[6:7] op_sel_hi:[1,0]
	s_waitcnt vmcnt(10)
	v_pk_fma_f32 v[18:19], v[8:9], v[184:185], v[6:7] op_sel:[0,0,1] op_sel_hi:[1,1,0] neg_lo:[0,0,1] neg_hi:[0,0,1]
	v_pk_fma_f32 v[6:7], v[8:9], v[184:185], v[6:7] op_sel:[0,0,1] op_sel_hi:[1,0,0]
	s_waitcnt vmcnt(9)
	v_mov_b32_e32 v6, v183
	v_mov_b32_e32 v19, v7
	s_waitcnt lgkmcnt(2)
	v_pk_mul_f32 v[6:7], v[10:11], v[6:7] op_sel_hi:[1,0]
	s_waitcnt vmcnt(8)
	v_pk_fma_f32 v[8:9], v[10:11], v[182:183], v[6:7] op_sel:[0,0,1] op_sel_hi:[1,1,0] neg_lo:[0,0,1] neg_hi:[0,0,1]
	v_pk_fma_f32 v[6:7], v[10:11], v[182:183], v[6:7] op_sel:[0,0,1] op_sel_hi:[1,0,0]
	v_pk_add_f32 v[4:5], v[4:5], v[20:21]
	s_waitcnt vmcnt(7)
	v_mov_b32_e32 v6, v181
	v_pk_add_f32 v[4:5], v[4:5], v[18:19]
	v_mov_b32_e32 v9, v7
	v_pk_mul_f32 v[6:7], v[12:13], v[6:7] op_sel_hi:[1,0]
	v_pk_add_f32 v[4:5], v[4:5], v[8:9]
	s_waitcnt vmcnt(6)
	v_pk_fma_f32 v[8:9], v[12:13], v[180:181], v[6:7] op_sel:[0,0,1] op_sel_hi:[1,1,0] neg_lo:[0,0,1] neg_hi:[0,0,1]
	v_pk_fma_f32 v[6:7], v[12:13], v[180:181], v[6:7] op_sel:[0,0,1] op_sel_hi:[1,0,0]
	s_waitcnt vmcnt(5)
	v_mov_b32_e32 v6, v179
	v_mov_b32_e32 v9, v7
	s_waitcnt lgkmcnt(1)
	v_pk_mul_f32 v[6:7], v[14:15], v[6:7] op_sel_hi:[1,0]
	v_pk_add_f32 v[4:5], v[4:5], v[8:9]
	s_waitcnt vmcnt(4)
	v_pk_fma_f32 v[8:9], v[14:15], v[178:179], v[6:7] op_sel:[0,0,1] op_sel_hi:[1,1,0] neg_lo:[0,0,1] neg_hi:[0,0,1]
	v_pk_fma_f32 v[6:7], v[14:15], v[178:179], v[6:7] op_sel:[0,0,1] op_sel_hi:[1,0,0]
	s_waitcnt vmcnt(3)
	v_mov_b32_e32 v6, v177
	v_mov_b32_e32 v9, v7
	v_pk_mul_f32 v[6:7], v[16:17], v[6:7] op_sel_hi:[1,0]
	v_pk_add_f32 v[4:5], v[4:5], v[8:9]
	s_waitcnt vmcnt(2)
	v_pk_fma_f32 v[8:9], v[16:17], v[176:177], v[6:7] op_sel:[0,0,1] op_sel_hi:[1,1,0] neg_lo:[0,0,1] neg_hi:[0,0,1]
	v_pk_fma_f32 v[6:7], v[16:17], v[176:177], v[6:7] op_sel:[0,0,1] op_sel_hi:[1,0,0]
	s_waitcnt vmcnt(1)
	v_mov_b32_e32 v6, v175
	v_mov_b32_e32 v9, v7
	s_waitcnt lgkmcnt(0)
	v_pk_mul_f32 v[6:7], v[2:3], v[6:7] op_sel_hi:[1,0]
	v_pk_add_f32 v[4:5], v[4:5], v[8:9]
	s_waitcnt vmcnt(0)
	v_pk_fma_f32 v[8:9], v[2:3], v[174:175], v[6:7] op_sel:[0,0,1] op_sel_hi:[1,1,0] neg_lo:[0,0,1] neg_hi:[0,0,1]
	v_pk_fma_f32 v[2:3], v[2:3], v[174:175], v[6:7] op_sel:[0,0,1] op_sel_hi:[1,0,0]
	v_mov_b32_e32 v9, v3
	v_pk_add_f32 v[2:3], v[4:5], v[8:9]
	v_pk_add_f32 v[2:3], v[70:71], v[2:3] neg_lo:[0,1] neg_hi:[0,1]
	buffer_store_dword v3, off, s[0:3], 0 offset:44
	buffer_store_dword v2, off, s[0:3], 0 offset:40
	s_and_saveexec_b64 s[4:5], vcc
	s_cbranch_execz .LBB110_287
; %bb.286:
	buffer_load_dword v2, off, s[0:3], 0 offset:32
	buffer_load_dword v3, off, s[0:3], 0 offset:36
	s_waitcnt vmcnt(0)
	ds_write_b64 v89, v[2:3]
	buffer_store_dword v188, off, s[0:3], 0 offset:32
	buffer_store_dword v188, off, s[0:3], 0 offset:36
.LBB110_287:
	s_or_b64 exec, exec, s[4:5]
	s_waitcnt lgkmcnt(0)
	; wave barrier
	s_waitcnt lgkmcnt(0)
	buffer_load_dword v172, off, s[0:3], 0 offset:44
	buffer_load_dword v174, off, s[0:3], 0 offset:52
	;; [unrolled: 1-line block ×24, first 2 shown]
	ds_read2_b64 v[22:25], v188 offset0:53 offset1:54
	ds_read2_b64 v[18:21], v188 offset0:55 offset1:56
	;; [unrolled: 1-line block ×4, first 2 shown]
	buffer_load_dword v212, off, s[0:3], 0 offset:128
	buffer_load_dword v213, off, s[0:3], 0 offset:132
	ds_read2_b64 v[10:13], v188 offset0:61 offset1:62
	ds_read2_b64 v[2:5], v188 offset0:63 offset1:64
	buffer_load_dword v214, off, s[0:3], 0 offset:136
	buffer_load_dword v215, off, s[0:3], 0 offset:140
	;; [unrolled: 1-line block ×44, first 2 shown]
	v_cmp_lt_u32_e32 vcc, 3, v0
	s_waitcnt vmcnt(62) lgkmcnt(5)
	v_mul_f32_e32 v28, v22, v172
	v_mul_f32_e32 v29, v24, v174
	s_waitcnt lgkmcnt(4)
	v_mul_f32_e32 v31, v20, v176
	s_waitcnt lgkmcnt(3)
	v_mul_f32_e32 v32, v14, v189
	v_mul_f32_e32 v33, v16, v194
	;; [unrolled: 1-line block ×3, first 2 shown]
	s_waitcnt lgkmcnt(2)
	v_mul_f32_e32 v34, v6, v196
	v_mul_f32_e32 v35, v8, v197
	s_waitcnt vmcnt(61)
	v_fmac_f32_e32 v30, v19, v198
	s_waitcnt vmcnt(60)
	v_fmac_f32_e32 v29, v25, v199
	;; [unrolled: 2-line block ×3, first 2 shown]
	v_add_f32_e32 v28, 0, v28
	v_add_f32_e32 v28, v28, v29
	;; [unrolled: 1-line block ×3, first 2 shown]
	s_waitcnt vmcnt(55)
	v_fmac_f32_e32 v31, v21, v204
	v_fmac_f32_e32 v32, v15, v203
	v_add_f32_e32 v28, v28, v31
	v_fmac_f32_e32 v33, v17, v202
	v_add_f32_e32 v28, v28, v32
	;; [unrolled: 2-line block ×3, first 2 shown]
	s_waitcnt vmcnt(51)
	v_fmac_f32_e32 v35, v9, v208
	v_add_f32_e32 v28, v28, v34
	s_waitcnt vmcnt(50) lgkmcnt(1)
	v_mul_f32_e32 v29, v10, v209
	v_add_f32_e32 v28, v28, v35
	v_fmac_f32_e32 v29, v11, v207
	v_add_f32_e32 v28, v28, v29
	s_waitcnt vmcnt(49)
	v_mul_f32_e32 v29, v12, v210
	v_fmac_f32_e32 v29, v13, v206
	v_add_f32_e32 v28, v28, v29
	s_waitcnt vmcnt(48) lgkmcnt(0)
	v_mul_f32_e32 v29, v2, v211
	v_fmac_f32_e32 v29, v3, v205
	v_add_f32_e32 v32, v28, v29
	ds_read2_b64 v[28:31], v188 offset0:65 offset1:66
	s_waitcnt vmcnt(44)
	v_mul_f32_e32 v33, v4, v213
	v_fmac_f32_e32 v33, v5, v212
	v_add_f32_e32 v36, v32, v33
	ds_read2_b64 v[32:35], v188 offset0:67 offset1:68
	s_waitcnt vmcnt(42) lgkmcnt(1)
	v_mul_f32_e32 v37, v28, v215
	v_fmac_f32_e32 v37, v29, v214
	v_add_f32_e32 v36, v36, v37
	s_waitcnt vmcnt(40)
	v_mul_f32_e32 v37, v30, v217
	v_fmac_f32_e32 v37, v31, v216
	v_add_f32_e32 v36, v36, v37
	s_waitcnt vmcnt(38) lgkmcnt(0)
	v_mul_f32_e32 v37, v32, v219
	v_fmac_f32_e32 v37, v33, v218
	v_add_f32_e32 v40, v36, v37
	ds_read2_b64 v[36:39], v188 offset0:69 offset1:70
	s_waitcnt vmcnt(36)
	v_mul_f32_e32 v41, v34, v221
	v_fmac_f32_e32 v41, v35, v220
	v_add_f32_e32 v44, v40, v41
	ds_read2_b64 v[40:43], v188 offset0:71 offset1:72
	s_waitcnt vmcnt(34) lgkmcnt(1)
	v_mul_f32_e32 v45, v36, v223
	;; [unrolled: 18-line block ×4, first 2 shown]
	v_fmac_f32_e32 v61, v53, v238
	v_add_f32_e32 v60, v60, v61
	s_waitcnt vmcnt(16)
	v_mul_f32_e32 v61, v54, v241
	v_fmac_f32_e32 v61, v55, v240
	v_add_f32_e32 v60, v60, v61
	s_waitcnt vmcnt(14) lgkmcnt(0)
	v_mul_f32_e32 v61, v56, v243
	v_fmac_f32_e32 v61, v57, v242
	v_add_f32_e32 v64, v60, v61
	ds_read2_b64 v[60:63], v188 offset0:81 offset1:82
	s_waitcnt vmcnt(12)
	v_mul_f32_e32 v65, v58, v245
	v_fmac_f32_e32 v65, v59, v244
	v_add_f32_e32 v68, v64, v65
	ds_read2_b64 v[64:67], v188 offset0:83 offset1:84
	buffer_load_dword v77, off, s[0:3], 0 offset:316
	buffer_load_dword v76, off, s[0:3], 0 offset:312
	s_waitcnt vmcnt(12) lgkmcnt(1)
	v_mul_f32_e32 v69, v60, v247
	v_fmac_f32_e32 v69, v61, v246
	v_add_f32_e32 v68, v68, v69
	s_waitcnt vmcnt(10)
	v_mul_f32_e32 v69, v62, v249
	v_fmac_f32_e32 v69, v63, v248
	v_add_f32_e32 v68, v68, v69
	s_waitcnt vmcnt(8) lgkmcnt(0)
	v_mul_f32_e32 v69, v64, v251
	v_fmac_f32_e32 v69, v65, v250
	s_waitcnt vmcnt(6)
	v_mul_f32_e32 v73, v66, v253
	v_add_f32_e32 v72, v68, v69
	v_fmac_f32_e32 v73, v67, v252
	ds_read2_b64 v[68:71], v188 offset0:85 offset1:86
	v_add_f32_e32 v173, v72, v73
	ds_read2_b64 v[72:75], v188 offset0:87 offset1:88
	buffer_load_dword v179, off, s[0:3], 0 offset:348
	buffer_load_dword v178, off, s[0:3], 0 offset:344
	buffer_load_dword v181, off, s[0:3], 0 offset:340
	buffer_load_dword v180, off, s[0:3], 0 offset:336
	buffer_load_dword v183, off, s[0:3], 0 offset:332
	buffer_load_dword v182, off, s[0:3], 0 offset:328
	buffer_load_dword v185, off, s[0:3], 0 offset:324
	buffer_load_dword v184, off, s[0:3], 0 offset:320
	buffer_load_dword v187, off, s[0:3], 0 offset:372
	buffer_load_dword v186, off, s[0:3], 0 offset:368
	buffer_load_dword v191, off, s[0:3], 0 offset:364
	buffer_load_dword v190, off, s[0:3], 0 offset:360
	buffer_load_dword v193, off, s[0:3], 0 offset:356
	buffer_load_dword v192, off, s[0:3], 0 offset:352
	v_mul_f32_e32 v23, v23, v172
	v_fma_f32 v22, v22, v200, -v23
	v_mul_f32_e32 v23, v25, v174
	v_add_f32_e32 v22, 0, v22
	v_fma_f32 v23, v24, v199, -v23
	v_mul_f32_e32 v19, v19, v195
	v_add_f32_e32 v22, v22, v23
	;; [unrolled: 3-line block ×7, first 2 shown]
	v_fma_f32 v7, v8, v208, -v7
	v_add_f32_e32 v6, v6, v7
	v_mul_f32_e32 v7, v11, v209
	v_fma_f32 v7, v10, v207, -v7
	v_add_f32_e32 v6, v6, v7
	v_mul_f32_e32 v7, v13, v210
	v_fma_f32 v7, v12, v206, -v7
	v_mul_f32_e32 v3, v3, v211
	v_add_f32_e32 v6, v6, v7
	v_fma_f32 v2, v2, v205, -v3
	v_mul_f32_e32 v3, v5, v213
	v_add_f32_e32 v2, v6, v2
	v_fma_f32 v3, v4, v212, -v3
	v_add_f32_e32 v2, v2, v3
	v_mul_f32_e32 v3, v29, v215
	v_fma_f32 v3, v28, v214, -v3
	v_add_f32_e32 v2, v2, v3
	v_mul_f32_e32 v3, v31, v217
	;; [unrolled: 3-line block ×20, first 2 shown]
	v_fma_f32 v3, v66, v252, -v3
	s_waitcnt vmcnt(15)
	v_mov_b32_e32 v16, v77
	s_waitcnt lgkmcnt(1)
	v_mul_f32_e32 v175, v68, v255
	v_add_f32_e32 v172, v2, v3
	v_mul_f32_e32 v2, v69, v255
	s_waitcnt lgkmcnt(0)
	v_pk_mul_f32 v[16:17], v[72:73], v[16:17] op_sel_hi:[1,0]
	v_fmac_f32_e32 v175, v69, v254
	v_mul_f32_e32 v177, v70, v78
	v_fma_f32 v174, v68, v254, -v2
	v_mul_f32_e32 v2, v71, v78
	s_waitcnt vmcnt(14)
	v_pk_fma_f32 v[18:19], v[72:73], v[76:77], v[16:17] op_sel:[0,0,1] op_sel_hi:[1,1,0] neg_lo:[0,0,1] neg_hi:[0,0,1]
	v_pk_fma_f32 v[16:17], v[72:73], v[76:77], v[16:17] op_sel:[0,0,1] op_sel_hi:[1,0,0]
	v_fmac_f32_e32 v177, v71, v1
	v_fma_f32 v176, v70, v1, -v2
	v_pk_add_f32 v[14:15], v[172:173], v[174:175]
	s_waitcnt vmcnt(7)
	v_mov_b32_e32 v16, v185
	ds_read2_b64 v[2:5], v188 offset0:89 offset1:90
	ds_read2_b64 v[6:9], v188 offset0:91 offset1:92
	;; [unrolled: 1-line block ×3, first 2 shown]
	v_pk_add_f32 v[14:15], v[14:15], v[176:177]
	v_mov_b32_e32 v19, v17
	v_pk_mul_f32 v[16:17], v[74:75], v[16:17] op_sel_hi:[1,0]
	v_pk_add_f32 v[14:15], v[14:15], v[18:19]
	s_waitcnt vmcnt(6)
	v_pk_fma_f32 v[18:19], v[74:75], v[184:185], v[16:17] op_sel:[0,0,1] op_sel_hi:[1,1,0] neg_lo:[0,0,1] neg_hi:[0,0,1]
	v_pk_fma_f32 v[16:17], v[74:75], v[184:185], v[16:17] op_sel:[0,0,1] op_sel_hi:[1,0,0]
	v_mov_b32_e32 v16, v183
	v_mov_b32_e32 v19, v17
	s_waitcnt lgkmcnt(2)
	v_pk_mul_f32 v[16:17], v[2:3], v[16:17] op_sel_hi:[1,0]
	v_pk_add_f32 v[14:15], v[14:15], v[18:19]
	v_pk_fma_f32 v[18:19], v[2:3], v[182:183], v[16:17] op_sel:[0,0,1] op_sel_hi:[1,1,0] neg_lo:[0,0,1] neg_hi:[0,0,1]
	v_pk_fma_f32 v[2:3], v[2:3], v[182:183], v[16:17] op_sel:[0,0,1] op_sel_hi:[1,0,0]
	v_mov_b32_e32 v19, v3
	v_pk_add_f32 v[2:3], v[14:15], v[18:19]
	v_mov_b32_e32 v14, v181
	v_pk_mul_f32 v[14:15], v[4:5], v[14:15] op_sel_hi:[1,0]
	v_pk_fma_f32 v[16:17], v[4:5], v[180:181], v[14:15] op_sel:[0,0,1] op_sel_hi:[1,1,0] neg_lo:[0,0,1] neg_hi:[0,0,1]
	v_pk_fma_f32 v[4:5], v[4:5], v[180:181], v[14:15] op_sel:[0,0,1] op_sel_hi:[1,0,0]
	v_mov_b32_e32 v4, v179
	v_mov_b32_e32 v17, v5
	s_waitcnt lgkmcnt(1)
	v_pk_mul_f32 v[4:5], v[6:7], v[4:5] op_sel_hi:[1,0]
	v_pk_fma_f32 v[14:15], v[6:7], v[178:179], v[4:5] op_sel:[0,0,1] op_sel_hi:[1,1,0] neg_lo:[0,0,1] neg_hi:[0,0,1]
	v_pk_fma_f32 v[4:5], v[6:7], v[178:179], v[4:5] op_sel:[0,0,1] op_sel_hi:[1,0,0]
	s_waitcnt vmcnt(1)
	v_mov_b32_e32 v4, v193
	v_mov_b32_e32 v15, v5
	v_pk_mul_f32 v[4:5], v[8:9], v[4:5] op_sel_hi:[1,0]
	s_waitcnt vmcnt(0)
	v_pk_fma_f32 v[6:7], v[8:9], v[192:193], v[4:5] op_sel:[0,0,1] op_sel_hi:[1,1,0] neg_lo:[0,0,1] neg_hi:[0,0,1]
	v_pk_fma_f32 v[4:5], v[8:9], v[192:193], v[4:5] op_sel:[0,0,1] op_sel_hi:[1,0,0]
	v_pk_add_f32 v[2:3], v[2:3], v[16:17]
	v_mov_b32_e32 v4, v191
	v_pk_add_f32 v[2:3], v[2:3], v[14:15]
	v_mov_b32_e32 v7, v5
	s_waitcnt lgkmcnt(0)
	v_pk_mul_f32 v[4:5], v[10:11], v[4:5] op_sel_hi:[1,0]
	v_pk_add_f32 v[2:3], v[2:3], v[6:7]
	v_pk_fma_f32 v[6:7], v[10:11], v[190:191], v[4:5] op_sel:[0,0,1] op_sel_hi:[1,1,0] neg_lo:[0,0,1] neg_hi:[0,0,1]
	v_pk_fma_f32 v[4:5], v[10:11], v[190:191], v[4:5] op_sel:[0,0,1] op_sel_hi:[1,0,0]
	v_mov_b32_e32 v4, v187
	v_mov_b32_e32 v7, v5
	v_pk_mul_f32 v[4:5], v[12:13], v[4:5] op_sel_hi:[1,0]
	v_pk_add_f32 v[2:3], v[2:3], v[6:7]
	v_pk_fma_f32 v[6:7], v[12:13], v[186:187], v[4:5] op_sel:[0,0,1] op_sel_hi:[1,1,0] neg_lo:[0,0,1] neg_hi:[0,0,1]
	v_pk_fma_f32 v[4:5], v[12:13], v[186:187], v[4:5] op_sel:[0,0,1] op_sel_hi:[1,0,0]
	v_mov_b32_e32 v7, v5
	v_pk_add_f32 v[2:3], v[2:3], v[6:7]
	v_pk_add_f32 v[2:3], v[26:27], v[2:3] neg_lo:[0,1] neg_hi:[0,1]
	buffer_store_dword v3, off, s[0:3], 0 offset:36
	buffer_store_dword v2, off, s[0:3], 0 offset:32
	s_and_saveexec_b64 s[4:5], vcc
	s_cbranch_execz .LBB110_289
; %bb.288:
	buffer_load_dword v2, off, s[0:3], 0 offset:24
	buffer_load_dword v3, off, s[0:3], 0 offset:28
	v_mov_b32_e32 v1, 0
	buffer_store_dword v1, off, s[0:3], 0 offset:24
	buffer_store_dword v1, off, s[0:3], 0 offset:28
	s_waitcnt vmcnt(2)
	ds_write_b64 v89, v[2:3]
.LBB110_289:
	s_or_b64 exec, exec, s[4:5]
	s_waitcnt lgkmcnt(0)
	; wave barrier
	s_waitcnt lgkmcnt(0)
	buffer_load_dword v1, off, s[0:3], 0 offset:36
	buffer_load_dword v29, off, s[0:3], 0 offset:44
	;; [unrolled: 1-line block ×56, first 2 shown]
	v_mov_b32_e32 v28, 0
	ds_read_b128 v[4:7], v28 offset:416
	ds_read_b128 v[8:11], v28 offset:432
	ds_read_b128 v[12:15], v28 offset:448
	ds_read_b128 v[16:19], v28 offset:464
	ds_read_b128 v[20:23], v28 offset:480
	ds_read_b128 v[24:27], v28 offset:496
	buffer_load_dword v241, off, s[0:3], 0 offset:248
	buffer_load_dword v242, off, s[0:3], 0 offset:252
	;; [unrolled: 1-line block ×16, first 2 shown]
	v_cmp_lt_u32_e32 vcc, 2, v0
	s_waitcnt vmcnt(62) lgkmcnt(5)
	v_mul_f32_e32 v30, v4, v1
	v_mul_f32_e32 v31, v6, v29
	s_waitcnt lgkmcnt(4)
	v_mul_f32_e32 v33, v10, v78
	s_waitcnt lgkmcnt(3)
	v_mul_f32_e32 v34, v12, v79
	v_mul_f32_e32 v35, v14, v172
	;; [unrolled: 1-line block ×3, first 2 shown]
	s_waitcnt lgkmcnt(2)
	v_mul_f32_e32 v36, v16, v176
	v_mul_f32_e32 v37, v18, v194
	s_waitcnt lgkmcnt(1)
	v_mul_f32_e32 v38, v20, v195
	v_fmac_f32_e32 v32, v9, v196
	s_waitcnt vmcnt(61)
	v_fmac_f32_e32 v31, v7, v197
	s_waitcnt vmcnt(60)
	v_fmac_f32_e32 v30, v5, v198
	v_add_f32_e32 v30, 0, v30
	v_add_f32_e32 v30, v30, v31
	;; [unrolled: 1-line block ×3, first 2 shown]
	s_waitcnt vmcnt(56)
	v_fmac_f32_e32 v33, v11, v202
	v_fmac_f32_e32 v34, v13, v201
	v_add_f32_e32 v30, v30, v33
	v_fmac_f32_e32 v35, v15, v200
	v_add_f32_e32 v30, v30, v34
	;; [unrolled: 2-line block ×3, first 2 shown]
	s_waitcnt vmcnt(52)
	v_fmac_f32_e32 v37, v19, v206
	v_add_f32_e32 v30, v30, v36
	v_add_f32_e32 v30, v30, v37
	v_fmac_f32_e32 v38, v21, v205
	s_waitcnt vmcnt(51)
	v_mul_f32_e32 v31, v22, v207
	v_add_f32_e32 v30, v30, v38
	v_fmac_f32_e32 v31, v23, v204
	v_add_f32_e32 v30, v30, v31
	s_waitcnt vmcnt(50) lgkmcnt(0)
	v_mul_f32_e32 v31, v24, v208
	v_fmac_f32_e32 v31, v25, v203
	v_add_f32_e32 v34, v30, v31
	ds_read_b128 v[30:33], v28 offset:512
	s_waitcnt vmcnt(46)
	v_mul_f32_e32 v35, v26, v210
	v_fmac_f32_e32 v35, v27, v209
	v_add_f32_e32 v38, v34, v35
	ds_read_b128 v[34:37], v28 offset:528
	s_waitcnt vmcnt(44) lgkmcnt(1)
	v_mul_f32_e32 v39, v30, v212
	v_fmac_f32_e32 v39, v31, v211
	v_add_f32_e32 v38, v38, v39
	s_waitcnt vmcnt(42)
	v_mul_f32_e32 v39, v32, v214
	v_fmac_f32_e32 v39, v33, v213
	v_add_f32_e32 v38, v38, v39
	s_waitcnt vmcnt(40) lgkmcnt(0)
	v_mul_f32_e32 v39, v34, v216
	v_fmac_f32_e32 v39, v35, v215
	v_add_f32_e32 v42, v38, v39
	ds_read_b128 v[38:41], v28 offset:544
	s_waitcnt vmcnt(38)
	v_mul_f32_e32 v43, v36, v218
	v_fmac_f32_e32 v43, v37, v217
	v_add_f32_e32 v46, v42, v43
	ds_read_b128 v[42:45], v28 offset:560
	s_waitcnt vmcnt(36) lgkmcnt(1)
	v_mul_f32_e32 v47, v38, v220
	v_fmac_f32_e32 v47, v39, v219
	v_add_f32_e32 v46, v46, v47
	s_waitcnt vmcnt(34)
	v_mul_f32_e32 v47, v40, v222
	;; [unrolled: 18-line block ×5, first 2 shown]
	v_fmac_f32_e32 v71, v65, v245
	v_add_f32_e32 v70, v70, v71
	s_waitcnt vmcnt(8) lgkmcnt(0)
	v_mul_f32_e32 v71, v66, v248
	v_fmac_f32_e32 v71, v67, v247
	s_waitcnt vmcnt(6)
	v_mul_f32_e32 v75, v68, v250
	v_add_f32_e32 v74, v70, v71
	v_fmac_f32_e32 v75, v69, v249
	ds_read_b128 v[70:73], v28 offset:672
	v_add_f32_e32 v81, v74, v75
	ds_read_b128 v[74:77], v28 offset:688
	buffer_load_dword v179, off, s[0:3], 0 offset:340
	buffer_load_dword v178, off, s[0:3], 0 offset:336
	;; [unrolled: 1-line block ×16, first 2 shown]
	v_mul_f32_e32 v1, v5, v1
	v_fma_f32 v1, v4, v198, -v1
	v_mul_f32_e32 v4, v7, v29
	v_add_f32_e32 v1, 0, v1
	v_fma_f32 v4, v6, v197, -v4
	v_add_f32_e32 v1, v1, v4
	v_mul_f32_e32 v4, v9, v174
	v_fma_f32 v4, v8, v196, -v4
	v_add_f32_e32 v1, v1, v4
	v_mul_f32_e32 v4, v11, v78
	;; [unrolled: 3-line block ×30, first 2 shown]
	v_fma_f32 v4, v68, v249, -v4
	v_add_f32_e32 v1, v1, v4
	s_waitcnt vmcnt(20) lgkmcnt(1)
	v_mul_f32_e32 v4, v71, v252
	v_mul_f32_e32 v173, v70, v252
	v_fma_f32 v4, v70, v251, -v4
	s_waitcnt vmcnt(9)
	v_mov_b32_e32 v20, v185
	v_fmac_f32_e32 v173, v71, v251
	v_mul_f32_e32 v175, v72, v254
	v_add_f32_e32 v172, v1, v4
	v_mul_f32_e32 v1, v73, v254
	s_waitcnt lgkmcnt(0)
	v_pk_mul_f32 v[20:21], v[76:77], v[20:21] op_sel_hi:[1,0]
	v_add_f32_e32 v173, v81, v173
	v_fmac_f32_e32 v175, v73, v253
	v_mul_f32_e32 v177, v74, v80
	v_fma_f32 v174, v72, v253, -v1
	v_mul_f32_e32 v1, v75, v80
	ds_read_b128 v[4:7], v28 offset:704
	ds_read_b128 v[8:11], v28 offset:720
	;; [unrolled: 1-line block ×3, first 2 shown]
	ds_read_b64 v[16:17], v28 offset:752
	s_waitcnt vmcnt(8)
	v_pk_fma_f32 v[22:23], v[76:77], v[184:185], v[20:21] op_sel:[0,0,1] op_sel_hi:[1,1,0] neg_lo:[0,0,1] neg_hi:[0,0,1]
	v_pk_fma_f32 v[20:21], v[76:77], v[184:185], v[20:21] op_sel:[0,0,1] op_sel_hi:[1,0,0]
	v_fmac_f32_e32 v177, v75, v255
	v_fma_f32 v176, v74, v255, -v1
	v_pk_add_f32 v[18:19], v[172:173], v[174:175]
	v_mov_b32_e32 v20, v183
	v_pk_add_f32 v[18:19], v[18:19], v[176:177]
	v_mov_b32_e32 v23, v21
	s_waitcnt lgkmcnt(3)
	v_pk_mul_f32 v[20:21], v[4:5], v[20:21] op_sel_hi:[1,0]
	v_pk_add_f32 v[18:19], v[18:19], v[22:23]
	v_pk_fma_f32 v[22:23], v[4:5], v[182:183], v[20:21] op_sel:[0,0,1] op_sel_hi:[1,1,0] neg_lo:[0,0,1] neg_hi:[0,0,1]
	v_pk_fma_f32 v[4:5], v[4:5], v[182:183], v[20:21] op_sel:[0,0,1] op_sel_hi:[1,0,0]
	v_mov_b32_e32 v23, v5
	v_pk_add_f32 v[4:5], v[18:19], v[22:23]
	v_mov_b32_e32 v18, v181
	v_pk_mul_f32 v[18:19], v[6:7], v[18:19] op_sel_hi:[1,0]
	v_pk_fma_f32 v[20:21], v[6:7], v[180:181], v[18:19] op_sel:[0,0,1] op_sel_hi:[1,1,0] neg_lo:[0,0,1] neg_hi:[0,0,1]
	v_pk_fma_f32 v[6:7], v[6:7], v[180:181], v[18:19] op_sel:[0,0,1] op_sel_hi:[1,0,0]
	v_mov_b32_e32 v6, v179
	v_mov_b32_e32 v21, v7
	s_waitcnt lgkmcnt(2)
	v_pk_mul_f32 v[6:7], v[8:9], v[6:7] op_sel_hi:[1,0]
	v_pk_fma_f32 v[18:19], v[8:9], v[178:179], v[6:7] op_sel:[0,0,1] op_sel_hi:[1,1,0] neg_lo:[0,0,1] neg_hi:[0,0,1]
	v_pk_fma_f32 v[6:7], v[8:9], v[178:179], v[6:7] op_sel:[0,0,1] op_sel_hi:[1,0,0]
	s_waitcnt vmcnt(1)
	v_mov_b32_e32 v6, v193
	v_mov_b32_e32 v19, v7
	v_pk_mul_f32 v[6:7], v[10:11], v[6:7] op_sel_hi:[1,0]
	s_waitcnt vmcnt(0)
	v_pk_fma_f32 v[8:9], v[10:11], v[192:193], v[6:7] op_sel:[0,0,1] op_sel_hi:[1,1,0] neg_lo:[0,0,1] neg_hi:[0,0,1]
	v_pk_fma_f32 v[6:7], v[10:11], v[192:193], v[6:7] op_sel:[0,0,1] op_sel_hi:[1,0,0]
	v_pk_add_f32 v[4:5], v[4:5], v[20:21]
	v_mov_b32_e32 v6, v191
	v_pk_add_f32 v[4:5], v[4:5], v[18:19]
	v_mov_b32_e32 v9, v7
	s_waitcnt lgkmcnt(1)
	v_pk_mul_f32 v[6:7], v[12:13], v[6:7] op_sel_hi:[1,0]
	v_pk_add_f32 v[4:5], v[4:5], v[8:9]
	v_pk_fma_f32 v[8:9], v[12:13], v[190:191], v[6:7] op_sel:[0,0,1] op_sel_hi:[1,1,0] neg_lo:[0,0,1] neg_hi:[0,0,1]
	v_pk_fma_f32 v[6:7], v[12:13], v[190:191], v[6:7] op_sel:[0,0,1] op_sel_hi:[1,0,0]
	v_mov_b32_e32 v6, v189
	v_mov_b32_e32 v9, v7
	v_pk_mul_f32 v[6:7], v[14:15], v[6:7] op_sel_hi:[1,0]
	v_pk_add_f32 v[4:5], v[4:5], v[8:9]
	v_pk_fma_f32 v[8:9], v[14:15], v[188:189], v[6:7] op_sel:[0,0,1] op_sel_hi:[1,1,0] neg_lo:[0,0,1] neg_hi:[0,0,1]
	v_pk_fma_f32 v[6:7], v[14:15], v[188:189], v[6:7] op_sel:[0,0,1] op_sel_hi:[1,0,0]
	v_mov_b32_e32 v6, v187
	v_mov_b32_e32 v9, v7
	s_waitcnt lgkmcnt(0)
	v_pk_mul_f32 v[6:7], v[16:17], v[6:7] op_sel_hi:[1,0]
	v_pk_add_f32 v[4:5], v[4:5], v[8:9]
	v_pk_fma_f32 v[8:9], v[16:17], v[186:187], v[6:7] op_sel:[0,0,1] op_sel_hi:[1,1,0] neg_lo:[0,0,1] neg_hi:[0,0,1]
	v_pk_fma_f32 v[6:7], v[16:17], v[186:187], v[6:7] op_sel:[0,0,1] op_sel_hi:[1,0,0]
	v_mov_b32_e32 v9, v7
	v_pk_add_f32 v[4:5], v[4:5], v[8:9]
	v_pk_add_f32 v[2:3], v[2:3], v[4:5] neg_lo:[0,1] neg_hi:[0,1]
	buffer_store_dword v3, off, s[0:3], 0 offset:28
	buffer_store_dword v2, off, s[0:3], 0 offset:24
	s_and_saveexec_b64 s[4:5], vcc
	s_cbranch_execz .LBB110_291
; %bb.290:
	buffer_load_dword v2, off, s[0:3], 0 offset:16
	buffer_load_dword v3, off, s[0:3], 0 offset:20
	s_waitcnt vmcnt(0)
	ds_write_b64 v89, v[2:3]
	buffer_store_dword v28, off, s[0:3], 0 offset:16
	buffer_store_dword v28, off, s[0:3], 0 offset:20
.LBB110_291:
	s_or_b64 exec, exec, s[4:5]
	s_waitcnt lgkmcnt(0)
	; wave barrier
	s_waitcnt lgkmcnt(0)
	buffer_load_dword v1, off, s[0:3], 0 offset:28
	buffer_load_dword v29, off, s[0:3], 0 offset:36
	;; [unrolled: 1-line block ×26, first 2 shown]
	ds_read2_b64 v[22:25], v28 offset0:51 offset1:52
	ds_read2_b64 v[18:21], v28 offset0:53 offset1:54
	;; [unrolled: 1-line block ×6, first 2 shown]
	buffer_load_dword v209, off, s[0:3], 0 offset:120
	buffer_load_dword v210, off, s[0:3], 0 offset:124
	;; [unrolled: 1-line block ×42, first 2 shown]
	v_cmp_lt_u32_e32 vcc, 1, v0
	s_waitcnt vmcnt(62) lgkmcnt(5)
	v_mul_f32_e32 v30, v22, v1
	v_mul_f32_e32 v31, v24, v29
	s_waitcnt lgkmcnt(4)
	v_mul_f32_e32 v33, v20, v78
	s_waitcnt lgkmcnt(3)
	v_mul_f32_e32 v34, v14, v79
	v_mul_f32_e32 v35, v16, v80
	;; [unrolled: 1-line block ×3, first 2 shown]
	s_waitcnt vmcnt(61) lgkmcnt(2)
	v_mul_f32_e32 v36, v10, v172
	s_waitcnt vmcnt(60)
	v_mul_f32_e32 v37, v12, v174
	s_waitcnt vmcnt(59) lgkmcnt(1)
	v_mul_f32_e32 v38, v6, v182
	s_waitcnt vmcnt(58)
	v_fmac_f32_e32 v32, v19, v194
	s_waitcnt vmcnt(57)
	v_fmac_f32_e32 v31, v25, v195
	;; [unrolled: 2-line block ×3, first 2 shown]
	v_add_f32_e32 v30, 0, v30
	v_add_f32_e32 v30, v30, v31
	;; [unrolled: 1-line block ×3, first 2 shown]
	s_waitcnt vmcnt(52)
	v_fmac_f32_e32 v33, v21, v200
	v_fmac_f32_e32 v34, v15, v199
	v_add_f32_e32 v30, v30, v33
	v_fmac_f32_e32 v35, v17, v198
	v_add_f32_e32 v30, v30, v34
	;; [unrolled: 2-line block ×3, first 2 shown]
	s_waitcnt vmcnt(48)
	v_fmac_f32_e32 v37, v13, v204
	v_add_f32_e32 v30, v30, v36
	v_fmac_f32_e32 v38, v7, v203
	v_add_f32_e32 v30, v30, v37
	s_waitcnt vmcnt(47)
	v_mul_f32_e32 v31, v8, v205
	v_add_f32_e32 v30, v30, v38
	v_fmac_f32_e32 v31, v9, v202
	v_add_f32_e32 v30, v30, v31
	s_waitcnt vmcnt(46) lgkmcnt(0)
	v_mul_f32_e32 v31, v2, v206
	v_fmac_f32_e32 v31, v3, v201
	v_add_f32_e32 v34, v30, v31
	ds_read2_b64 v[30:33], v28 offset0:63 offset1:64
	s_waitcnt vmcnt(42)
	v_mul_f32_e32 v35, v4, v208
	v_fmac_f32_e32 v35, v5, v207
	buffer_load_dword v251, off, s[0:3], 0 offset:288
	buffer_load_dword v252, off, s[0:3], 0 offset:292
	v_add_f32_e32 v38, v34, v35
	buffer_load_dword v253, off, s[0:3], 0 offset:296
	buffer_load_dword v254, off, s[0:3], 0 offset:300
	ds_read2_b64 v[34:37], v28 offset0:65 offset1:66
	s_waitcnt vmcnt(44) lgkmcnt(1)
	v_mul_f32_e32 v39, v30, v210
	v_fmac_f32_e32 v39, v31, v209
	v_add_f32_e32 v38, v38, v39
	s_waitcnt vmcnt(42)
	v_mul_f32_e32 v39, v32, v212
	v_fmac_f32_e32 v39, v33, v211
	v_add_f32_e32 v38, v38, v39
	s_waitcnt vmcnt(40) lgkmcnt(0)
	v_mul_f32_e32 v39, v34, v214
	v_fmac_f32_e32 v39, v35, v213
	buffer_load_dword v255, off, s[0:3], 0 offset:304
	buffer_load_dword v82, off, s[0:3], 0 offset:308
	v_add_f32_e32 v42, v38, v39
	ds_read2_b64 v[38:41], v28 offset0:67 offset1:68
	s_waitcnt vmcnt(40)
	v_mul_f32_e32 v43, v36, v216
	v_fmac_f32_e32 v43, v37, v215
	v_add_f32_e32 v46, v42, v43
	ds_read2_b64 v[42:45], v28 offset0:69 offset1:70
	s_waitcnt vmcnt(38) lgkmcnt(1)
	v_mul_f32_e32 v47, v38, v218
	v_fmac_f32_e32 v47, v39, v217
	v_add_f32_e32 v46, v46, v47
	s_waitcnt vmcnt(36)
	v_mul_f32_e32 v47, v40, v220
	v_fmac_f32_e32 v47, v41, v219
	v_add_f32_e32 v46, v46, v47
	s_waitcnt vmcnt(34) lgkmcnt(0)
	v_mul_f32_e32 v47, v42, v222
	v_fmac_f32_e32 v47, v43, v221
	v_add_f32_e32 v50, v46, v47
	ds_read2_b64 v[46:49], v28 offset0:71 offset1:72
	s_waitcnt vmcnt(32)
	v_mul_f32_e32 v51, v44, v224
	v_fmac_f32_e32 v51, v45, v223
	v_add_f32_e32 v54, v50, v51
	ds_read2_b64 v[50:53], v28 offset0:73 offset1:74
	s_waitcnt vmcnt(30) lgkmcnt(1)
	v_mul_f32_e32 v55, v46, v226
	v_fmac_f32_e32 v55, v47, v225
	v_add_f32_e32 v54, v54, v55
	s_waitcnt vmcnt(28)
	v_mul_f32_e32 v55, v48, v228
	v_fmac_f32_e32 v55, v49, v227
	v_add_f32_e32 v54, v54, v55
	s_waitcnt vmcnt(26) lgkmcnt(0)
	v_mul_f32_e32 v55, v50, v230
	v_fmac_f32_e32 v55, v51, v229
	;; [unrolled: 18-line block ×4, first 2 shown]
	s_waitcnt vmcnt(8)
	v_mul_f32_e32 v75, v68, v248
	v_add_f32_e32 v74, v70, v71
	v_fmac_f32_e32 v75, v69, v247
	ds_read2_b64 v[70:73], v28 offset0:83 offset1:84
	v_add_f32_e32 v83, v74, v75
	ds_read2_b64 v[74:77], v28 offset0:85 offset1:86
	buffer_load_dword v177, off, s[0:3], 0 offset:332
	buffer_load_dword v176, off, s[0:3], 0 offset:328
	;; [unrolled: 1-line block ×16, first 2 shown]
	v_mul_f32_e32 v1, v23, v1
	v_fma_f32 v1, v22, v196, -v1
	v_mul_f32_e32 v22, v25, v29
	v_add_f32_e32 v1, 0, v1
	v_fma_f32 v22, v24, v195, -v22
	v_mul_f32_e32 v19, v19, v81
	v_add_f32_e32 v1, v1, v22
	v_fma_f32 v18, v18, v194, -v19
	v_add_f32_e32 v1, v1, v18
	v_mul_f32_e32 v18, v21, v78
	v_fma_f32 v18, v20, v200, -v18
	v_mul_f32_e32 v15, v15, v79
	v_add_f32_e32 v1, v1, v18
	v_fma_f32 v14, v14, v199, -v15
	v_add_f32_e32 v1, v1, v14
	v_mul_f32_e32 v14, v17, v80
	;; [unrolled: 6-line block ×5, first 2 shown]
	v_fma_f32 v2, v4, v207, -v2
	v_add_f32_e32 v1, v1, v2
	v_mul_f32_e32 v2, v31, v210
	v_fma_f32 v2, v30, v209, -v2
	v_add_f32_e32 v1, v1, v2
	v_mul_f32_e32 v2, v33, v212
	;; [unrolled: 3-line block ×20, first 2 shown]
	v_fma_f32 v2, v68, v247, -v2
	v_add_f32_e32 v1, v1, v2
	s_waitcnt vmcnt(22) lgkmcnt(1)
	v_mul_f32_e32 v2, v71, v250
	v_fma_f32 v2, v70, v249, -v2
	v_mul_f32_e32 v173, v70, v250
	v_add_f32_e32 v1, v1, v2
	s_waitcnt vmcnt(20)
	v_mul_f32_e32 v2, v73, v252
	v_fmac_f32_e32 v173, v71, v249
	v_fma_f32 v2, v72, v251, -v2
	v_add_f32_e32 v83, v83, v173
	v_mul_f32_e32 v173, v72, v252
	v_add_f32_e32 v172, v1, v2
	ds_read2_b64 v[2:5], v28 offset0:87 offset1:88
	ds_read2_b64 v[6:9], v28 offset0:89 offset1:90
	;; [unrolled: 1-line block ×4, first 2 shown]
	v_fmac_f32_e32 v173, v73, v251
	s_waitcnt vmcnt(18) lgkmcnt(4)
	v_mul_f32_e32 v175, v74, v254
	v_mul_f32_e32 v1, v75, v254
	s_waitcnt vmcnt(11)
	v_mov_b32_e32 v20, v181
	v_add_f32_e32 v173, v83, v173
	v_fmac_f32_e32 v175, v75, v253
	v_mul_f32_e32 v183, v76, v82
	v_fma_f32 v174, v74, v253, -v1
	v_mul_f32_e32 v1, v77, v82
	s_waitcnt lgkmcnt(3)
	v_pk_mul_f32 v[20:21], v[2:3], v[20:21] op_sel_hi:[1,0]
	v_fmac_f32_e32 v183, v77, v255
	v_fma_f32 v182, v76, v255, -v1
	v_pk_add_f32 v[18:19], v[172:173], v[174:175]
	s_waitcnt vmcnt(10)
	v_pk_fma_f32 v[22:23], v[2:3], v[180:181], v[20:21] op_sel:[0,0,1] op_sel_hi:[1,1,0] neg_lo:[0,0,1] neg_hi:[0,0,1]
	v_pk_fma_f32 v[2:3], v[2:3], v[180:181], v[20:21] op_sel:[0,0,1] op_sel_hi:[1,0,0]
	v_pk_add_f32 v[18:19], v[18:19], v[182:183]
	v_mov_b32_e32 v23, v3
	v_pk_add_f32 v[2:3], v[18:19], v[22:23]
	v_mov_b32_e32 v18, v179
	v_pk_mul_f32 v[18:19], v[4:5], v[18:19] op_sel_hi:[1,0]
	v_pk_fma_f32 v[20:21], v[4:5], v[178:179], v[18:19] op_sel:[0,0,1] op_sel_hi:[1,1,0] neg_lo:[0,0,1] neg_hi:[0,0,1]
	v_pk_fma_f32 v[4:5], v[4:5], v[178:179], v[18:19] op_sel:[0,0,1] op_sel_hi:[1,0,0]
	v_mov_b32_e32 v4, v177
	v_mov_b32_e32 v21, v5
	s_waitcnt lgkmcnt(2)
	v_pk_mul_f32 v[4:5], v[6:7], v[4:5] op_sel_hi:[1,0]
	v_pk_fma_f32 v[18:19], v[6:7], v[176:177], v[4:5] op_sel:[0,0,1] op_sel_hi:[1,1,0] neg_lo:[0,0,1] neg_hi:[0,0,1]
	v_pk_fma_f32 v[4:5], v[6:7], v[176:177], v[4:5] op_sel:[0,0,1] op_sel_hi:[1,0,0]
	s_waitcnt vmcnt(3)
	v_mov_b32_e32 v4, v191
	v_mov_b32_e32 v19, v5
	v_pk_mul_f32 v[4:5], v[8:9], v[4:5] op_sel_hi:[1,0]
	s_waitcnt vmcnt(2)
	v_pk_fma_f32 v[6:7], v[8:9], v[190:191], v[4:5] op_sel:[0,0,1] op_sel_hi:[1,1,0] neg_lo:[0,0,1] neg_hi:[0,0,1]
	v_pk_fma_f32 v[4:5], v[8:9], v[190:191], v[4:5] op_sel:[0,0,1] op_sel_hi:[1,0,0]
	v_pk_add_f32 v[2:3], v[2:3], v[20:21]
	v_mov_b32_e32 v4, v189
	v_pk_add_f32 v[2:3], v[2:3], v[18:19]
	v_mov_b32_e32 v7, v5
	s_waitcnt lgkmcnt(1)
	v_pk_mul_f32 v[4:5], v[10:11], v[4:5] op_sel_hi:[1,0]
	v_pk_add_f32 v[2:3], v[2:3], v[6:7]
	v_pk_fma_f32 v[6:7], v[10:11], v[188:189], v[4:5] op_sel:[0,0,1] op_sel_hi:[1,1,0] neg_lo:[0,0,1] neg_hi:[0,0,1]
	v_pk_fma_f32 v[4:5], v[10:11], v[188:189], v[4:5] op_sel:[0,0,1] op_sel_hi:[1,0,0]
	v_mov_b32_e32 v4, v187
	v_mov_b32_e32 v7, v5
	v_pk_mul_f32 v[4:5], v[12:13], v[4:5] op_sel_hi:[1,0]
	v_pk_add_f32 v[2:3], v[2:3], v[6:7]
	v_pk_fma_f32 v[6:7], v[12:13], v[186:187], v[4:5] op_sel:[0,0,1] op_sel_hi:[1,1,0] neg_lo:[0,0,1] neg_hi:[0,0,1]
	v_pk_fma_f32 v[4:5], v[12:13], v[186:187], v[4:5] op_sel:[0,0,1] op_sel_hi:[1,0,0]
	v_mov_b32_e32 v4, v185
	v_mov_b32_e32 v7, v5
	s_waitcnt lgkmcnt(0)
	v_pk_mul_f32 v[4:5], v[14:15], v[4:5] op_sel_hi:[1,0]
	v_pk_add_f32 v[2:3], v[2:3], v[6:7]
	v_pk_fma_f32 v[6:7], v[14:15], v[184:185], v[4:5] op_sel:[0,0,1] op_sel_hi:[1,1,0] neg_lo:[0,0,1] neg_hi:[0,0,1]
	v_pk_fma_f32 v[4:5], v[14:15], v[184:185], v[4:5] op_sel:[0,0,1] op_sel_hi:[1,0,0]
	s_waitcnt vmcnt(1)
	v_mov_b32_e32 v4, v193
	v_mov_b32_e32 v7, v5
	v_pk_mul_f32 v[4:5], v[16:17], v[4:5] op_sel_hi:[1,0]
	v_pk_add_f32 v[2:3], v[2:3], v[6:7]
	s_waitcnt vmcnt(0)
	v_pk_fma_f32 v[6:7], v[16:17], v[192:193], v[4:5] op_sel:[0,0,1] op_sel_hi:[1,1,0] neg_lo:[0,0,1] neg_hi:[0,0,1]
	v_pk_fma_f32 v[4:5], v[16:17], v[192:193], v[4:5] op_sel:[0,0,1] op_sel_hi:[1,0,0]
	v_mov_b32_e32 v7, v5
	v_pk_add_f32 v[2:3], v[2:3], v[6:7]
	v_pk_add_f32 v[2:3], v[26:27], v[2:3] neg_lo:[0,1] neg_hi:[0,1]
	buffer_store_dword v3, off, s[0:3], 0 offset:20
	buffer_store_dword v2, off, s[0:3], 0 offset:16
	s_and_saveexec_b64 s[4:5], vcc
	s_cbranch_execz .LBB110_293
; %bb.292:
	buffer_load_dword v2, off, s[0:3], 0 offset:8
	buffer_load_dword v3, off, s[0:3], 0 offset:12
	v_mov_b32_e32 v1, 0
	buffer_store_dword v1, off, s[0:3], 0 offset:8
	buffer_store_dword v1, off, s[0:3], 0 offset:12
	s_waitcnt vmcnt(2)
	ds_write_b64 v89, v[2:3]
.LBB110_293:
	s_or_b64 exec, exec, s[4:5]
	v_mov_b32_e32 v196, 0
	s_waitcnt lgkmcnt(0)
	; wave barrier
	s_waitcnt lgkmcnt(0)
	ds_read_b128 v[14:17], v196 offset:400
	ds_read_b128 v[10:13], v196 offset:416
	ds_read_b128 v[6:9], v196 offset:432
	ds_read_b128 v[2:5], v196 offset:448
	buffer_load_dword v172, off, s[0:3], 0 offset:8
	buffer_load_dword v173, off, s[0:3], 0 offset:12
	;; [unrolled: 1-line block ×18, first 2 shown]
	v_cmp_ne_u32_e32 vcc, 0, v0
	s_waitcnt vmcnt(14) lgkmcnt(3)
	v_mul_f32_e32 v1, v14, v197
	v_fmac_f32_e32 v1, v15, v174
	s_waitcnt vmcnt(12)
	v_mul_f32_e32 v18, v16, v199
	v_add_f32_e32 v1, 0, v1
	v_fmac_f32_e32 v18, v17, v176
	v_add_f32_e32 v1, v1, v18
	s_waitcnt vmcnt(10) lgkmcnt(2)
	v_mul_f32_e32 v18, v10, v201
	v_fmac_f32_e32 v18, v11, v180
	v_add_f32_e32 v1, v1, v18
	s_waitcnt vmcnt(8)
	v_mul_f32_e32 v18, v12, v203
	v_fmac_f32_e32 v18, v13, v198
	v_add_f32_e32 v1, v1, v18
	s_waitcnt vmcnt(6) lgkmcnt(1)
	v_mul_f32_e32 v18, v6, v205
	v_fmac_f32_e32 v18, v7, v200
	v_add_f32_e32 v1, v1, v18
	s_waitcnt vmcnt(4)
	v_mul_f32_e32 v18, v8, v206
	;; [unrolled: 8-line block ×3, first 2 shown]
	v_fmac_f32_e32 v18, v5, v208
	v_add_f32_e32 v1, v1, v18
	ds_read_b128 v[18:21], v196 offset:464
	buffer_load_dword v210, off, s[0:3], 0 offset:80
	buffer_load_dword v211, off, s[0:3], 0 offset:84
	;; [unrolled: 1-line block ×4, first 2 shown]
	v_mul_f32_e32 v15, v15, v197
	v_fma_f32 v14, v14, v174, -v15
	v_mul_f32_e32 v15, v17, v199
	v_add_f32_e32 v14, 0, v14
	v_fma_f32 v15, v16, v176, -v15
	v_mul_f32_e32 v11, v11, v201
	v_add_f32_e32 v14, v14, v15
	;; [unrolled: 3-line block ×7, first 2 shown]
	v_fma_f32 v3, v4, v208, -v3
	v_add_f32_e32 v2, v2, v3
	s_waitcnt vmcnt(2) lgkmcnt(0)
	v_mul_f32_e32 v22, v18, v211
	v_fmac_f32_e32 v22, v19, v210
	v_add_f32_e32 v1, v1, v22
	s_waitcnt vmcnt(0)
	v_mul_f32_e32 v22, v20, v213
	v_fmac_f32_e32 v22, v21, v212
	v_add_f32_e32 v1, v1, v22
	ds_read_b128 v[22:25], v196 offset:480
	buffer_load_dword v214, off, s[0:3], 0 offset:96
	buffer_load_dword v215, off, s[0:3], 0 offset:100
	buffer_load_dword v216, off, s[0:3], 0 offset:104
	buffer_load_dword v217, off, s[0:3], 0 offset:108
	ds_read_b128 v[30:33], v196 offset:496
	buffer_load_dword v218, off, s[0:3], 0 offset:112
	buffer_load_dword v219, off, s[0:3], 0 offset:116
	buffer_load_dword v220, off, s[0:3], 0 offset:120
	buffer_load_dword v221, off, s[0:3], 0 offset:124
	;; [unrolled: 5-line block ×12, first 2 shown]
	ds_read_b128 v[74:77], v196 offset:672
	buffer_load_dword v84, off, s[0:3], 0 offset:288
	buffer_load_dword v85, off, s[0:3], 0 offset:292
	v_mul_f32_e32 v3, v19, v211
	v_fma_f32 v3, v18, v210, -v3
	v_add_f32_e32 v2, v2, v3
	v_mul_f32_e32 v3, v21, v213
	v_fma_f32 v3, v20, v212, -v3
	v_add_f32_e32 v2, v2, v3
	s_waitcnt vmcnt(48) lgkmcnt(12)
	v_mul_f32_e32 v26, v22, v215
	v_fmac_f32_e32 v26, v23, v214
	v_add_f32_e32 v1, v1, v26
	s_waitcnt vmcnt(46)
	v_mul_f32_e32 v26, v24, v217
	v_fmac_f32_e32 v26, v25, v216
	v_add_f32_e32 v1, v1, v26
	s_waitcnt vmcnt(44) lgkmcnt(11)
	v_mul_f32_e32 v26, v30, v219
	v_fmac_f32_e32 v26, v31, v218
	v_add_f32_e32 v1, v1, v26
	s_waitcnt vmcnt(42)
	v_mul_f32_e32 v26, v32, v221
	v_fmac_f32_e32 v26, v33, v220
	;; [unrolled: 8-line block ×12, first 2 shown]
	v_add_f32_e32 v1, v1, v26
	s_waitcnt vmcnt(0) lgkmcnt(0)
	v_mul_f32_e32 v26, v74, v85
	v_fmac_f32_e32 v26, v75, v84
	v_add_f32_e32 v175, v1, v26
	buffer_load_dword v1, off, s[0:3], 0 offset:296
	buffer_load_dword v86, off, s[0:3], 0 offset:300
	ds_read_b128 v[26:29], v196 offset:688
	buffer_load_dword v87, off, s[0:3], 0 offset:304
	buffer_load_dword v88, off, s[0:3], 0 offset:308
	;; [unrolled: 1-line block ×18, first 2 shown]
	v_mul_f32_e32 v3, v23, v215
	v_fma_f32 v3, v22, v214, -v3
	v_add_f32_e32 v2, v2, v3
	v_mul_f32_e32 v3, v25, v217
	v_fma_f32 v3, v24, v216, -v3
	v_add_f32_e32 v2, v2, v3
	;; [unrolled: 3-line block ×24, first 2 shown]
	v_mul_f32_e32 v3, v75, v85
	v_fma_f32 v3, v74, v84, -v3
	s_waitcnt vmcnt(15)
	v_mov_b32_e32 v18, v179
	v_add_f32_e32 v174, v2, v3
	v_mul_f32_e32 v177, v76, v86
	v_mul_f32_e32 v2, v77, v86
	s_waitcnt lgkmcnt(0)
	v_pk_mul_f32 v[18:19], v[28:29], v[18:19] op_sel_hi:[1,0]
	v_fmac_f32_e32 v177, v77, v1
	v_mul_f32_e32 v181, v26, v88
	v_fma_f32 v176, v76, v1, -v2
	v_mul_f32_e32 v1, v27, v88
	ds_read_b128 v[2:5], v196 offset:704
	ds_read_b128 v[6:9], v196 offset:720
	ds_read_b128 v[10:13], v196 offset:736
	ds_read_b64 v[14:15], v196 offset:752
	s_waitcnt vmcnt(14)
	v_pk_fma_f32 v[20:21], v[28:29], v[178:179], v[18:19] op_sel:[0,0,1] op_sel_hi:[1,1,0] neg_lo:[0,0,1] neg_hi:[0,0,1]
	v_pk_fma_f32 v[18:19], v[28:29], v[178:179], v[18:19] op_sel:[0,0,1] op_sel_hi:[1,0,0]
	v_fmac_f32_e32 v181, v27, v87
	v_fma_f32 v180, v26, v87, -v1
	v_pk_add_f32 v[16:17], v[174:175], v[176:177]
	s_waitcnt vmcnt(13)
	v_mov_b32_e32 v18, v195
	v_pk_add_f32 v[16:17], v[16:17], v[180:181]
	v_mov_b32_e32 v21, v19
	s_waitcnt lgkmcnt(3)
	v_pk_mul_f32 v[18:19], v[2:3], v[18:19] op_sel_hi:[1,0]
	v_pk_add_f32 v[16:17], v[16:17], v[20:21]
	s_waitcnt vmcnt(12)
	v_pk_fma_f32 v[20:21], v[2:3], v[194:195], v[18:19] op_sel:[0,0,1] op_sel_hi:[1,1,0] neg_lo:[0,0,1] neg_hi:[0,0,1]
	v_pk_fma_f32 v[2:3], v[2:3], v[194:195], v[18:19] op_sel:[0,0,1] op_sel_hi:[1,0,0]
	v_mov_b32_e32 v21, v3
	v_pk_add_f32 v[2:3], v[16:17], v[20:21]
	s_waitcnt vmcnt(11)
	v_mov_b32_e32 v16, v193
	v_pk_mul_f32 v[16:17], v[4:5], v[16:17] op_sel_hi:[1,0]
	s_waitcnt vmcnt(10)
	v_pk_fma_f32 v[18:19], v[4:5], v[192:193], v[16:17] op_sel:[0,0,1] op_sel_hi:[1,1,0] neg_lo:[0,0,1] neg_hi:[0,0,1]
	v_pk_fma_f32 v[4:5], v[4:5], v[192:193], v[16:17] op_sel:[0,0,1] op_sel_hi:[1,0,0]
	s_waitcnt vmcnt(9)
	v_mov_b32_e32 v4, v191
	v_mov_b32_e32 v19, v5
	s_waitcnt lgkmcnt(2)
	v_pk_mul_f32 v[4:5], v[6:7], v[4:5] op_sel_hi:[1,0]
	s_waitcnt vmcnt(8)
	v_pk_fma_f32 v[16:17], v[6:7], v[190:191], v[4:5] op_sel:[0,0,1] op_sel_hi:[1,1,0] neg_lo:[0,0,1] neg_hi:[0,0,1]
	v_pk_fma_f32 v[4:5], v[6:7], v[190:191], v[4:5] op_sel:[0,0,1] op_sel_hi:[1,0,0]
	s_waitcnt vmcnt(7)
	v_mov_b32_e32 v4, v189
	v_mov_b32_e32 v17, v5
	v_pk_mul_f32 v[4:5], v[8:9], v[4:5] op_sel_hi:[1,0]
	s_waitcnt vmcnt(6)
	v_pk_fma_f32 v[6:7], v[8:9], v[188:189], v[4:5] op_sel:[0,0,1] op_sel_hi:[1,1,0] neg_lo:[0,0,1] neg_hi:[0,0,1]
	v_pk_fma_f32 v[4:5], v[8:9], v[188:189], v[4:5] op_sel:[0,0,1] op_sel_hi:[1,0,0]
	v_pk_add_f32 v[2:3], v[2:3], v[18:19]
	s_waitcnt vmcnt(5)
	v_mov_b32_e32 v4, v187
	v_pk_add_f32 v[2:3], v[2:3], v[16:17]
	v_mov_b32_e32 v7, v5
	s_waitcnt lgkmcnt(1)
	v_pk_mul_f32 v[4:5], v[10:11], v[4:5] op_sel_hi:[1,0]
	v_pk_add_f32 v[2:3], v[2:3], v[6:7]
	s_waitcnt vmcnt(4)
	v_pk_fma_f32 v[6:7], v[10:11], v[186:187], v[4:5] op_sel:[0,0,1] op_sel_hi:[1,1,0] neg_lo:[0,0,1] neg_hi:[0,0,1]
	v_pk_fma_f32 v[4:5], v[10:11], v[186:187], v[4:5] op_sel:[0,0,1] op_sel_hi:[1,0,0]
	s_waitcnt vmcnt(3)
	v_mov_b32_e32 v4, v185
	v_mov_b32_e32 v7, v5
	v_pk_mul_f32 v[4:5], v[12:13], v[4:5] op_sel_hi:[1,0]
	v_pk_add_f32 v[2:3], v[2:3], v[6:7]
	s_waitcnt vmcnt(2)
	v_pk_fma_f32 v[6:7], v[12:13], v[184:185], v[4:5] op_sel:[0,0,1] op_sel_hi:[1,1,0] neg_lo:[0,0,1] neg_hi:[0,0,1]
	v_pk_fma_f32 v[4:5], v[12:13], v[184:185], v[4:5] op_sel:[0,0,1] op_sel_hi:[1,0,0]
	s_waitcnt vmcnt(1)
	v_mov_b32_e32 v4, v183
	v_mov_b32_e32 v7, v5
	s_waitcnt lgkmcnt(0)
	v_pk_mul_f32 v[4:5], v[14:15], v[4:5] op_sel_hi:[1,0]
	v_pk_add_f32 v[2:3], v[2:3], v[6:7]
	s_waitcnt vmcnt(0)
	v_pk_fma_f32 v[6:7], v[14:15], v[182:183], v[4:5] op_sel:[0,0,1] op_sel_hi:[1,1,0] neg_lo:[0,0,1] neg_hi:[0,0,1]
	v_pk_fma_f32 v[4:5], v[14:15], v[182:183], v[4:5] op_sel:[0,0,1] op_sel_hi:[1,0,0]
	v_mov_b32_e32 v7, v5
	v_pk_add_f32 v[2:3], v[2:3], v[6:7]
	v_pk_add_f32 v[2:3], v[172:173], v[2:3] neg_lo:[0,1] neg_hi:[0,1]
	buffer_store_dword v3, off, s[0:3], 0 offset:12
	buffer_store_dword v2, off, s[0:3], 0 offset:8
	s_and_saveexec_b64 s[4:5], vcc
	s_cbranch_execz .LBB110_295
; %bb.294:
	buffer_load_dword v2, off, s[0:3], 0
	buffer_load_dword v3, off, s[0:3], 0 offset:4
	s_waitcnt vmcnt(0)
	ds_write_b64 v89, v[2:3]
	buffer_store_dword v196, off, s[0:3], 0
	buffer_store_dword v196, off, s[0:3], 0 offset:4
.LBB110_295:
	s_or_b64 exec, exec, s[4:5]
	s_waitcnt lgkmcnt(0)
	; wave barrier
	s_waitcnt lgkmcnt(0)
	buffer_load_dword v78, off, s[0:3], 0 offset:12
	buffer_load_dword v79, off, s[0:3], 0 offset:20
	;; [unrolled: 1-line block ×30, first 2 shown]
	buffer_load_dword v24, off, s[0:3], 0
	buffer_load_dword v25, off, s[0:3], 0 offset:4
	ds_read2_b64 v[20:23], v196 offset0:49 offset1:50
	ds_read2_b64 v[16:19], v196 offset0:51 offset1:52
	;; [unrolled: 1-line block ×6, first 2 shown]
	buffer_load_dword v214, off, s[0:3], 0 offset:128
	buffer_load_dword v215, off, s[0:3], 0 offset:132
	;; [unrolled: 1-line block ×32, first 2 shown]
	s_and_b64 vcc, exec, s[16:17]
	s_waitcnt vmcnt(62) lgkmcnt(5)
	v_mul_f32_e32 v30, v20, v78
	v_mul_f32_e32 v31, v22, v79
	s_waitcnt vmcnt(61) lgkmcnt(4)
	v_mul_f32_e32 v33, v18, v29
	s_waitcnt vmcnt(60) lgkmcnt(3)
	v_mul_f32_e32 v34, v12, v28
	s_waitcnt vmcnt(59)
	v_mul_f32_e32 v35, v14, v26
	s_waitcnt vmcnt(58)
	v_mul_f32_e32 v32, v16, v80
	s_waitcnt vmcnt(57) lgkmcnt(2)
	v_mul_f32_e32 v36, v8, v27
	s_waitcnt vmcnt(56)
	v_mul_f32_e32 v37, v10, v81
	s_waitcnt vmcnt(55) lgkmcnt(1)
	v_mul_f32_e32 v38, v4, v82
	s_waitcnt vmcnt(54)
	v_mul_f32_e32 v39, v6, v83
	s_waitcnt vmcnt(53)
	v_fmac_f32_e32 v32, v17, v84
	s_waitcnt vmcnt(52)
	v_fmac_f32_e32 v31, v23, v85
	;; [unrolled: 2-line block ×3, first 2 shown]
	v_add_f32_e32 v30, 0, v30
	v_add_f32_e32 v30, v30, v31
	;; [unrolled: 1-line block ×3, first 2 shown]
	s_waitcnt vmcnt(47)
	v_fmac_f32_e32 v33, v19, v182
	v_fmac_f32_e32 v34, v13, v89
	v_add_f32_e32 v30, v30, v33
	v_fmac_f32_e32 v35, v15, v88
	v_add_f32_e32 v30, v30, v34
	;; [unrolled: 2-line block ×3, first 2 shown]
	s_waitcnt vmcnt(43)
	v_fmac_f32_e32 v37, v11, v204
	v_add_f32_e32 v30, v30, v36
	v_fmac_f32_e32 v38, v5, v197
	v_add_f32_e32 v30, v30, v37
	;; [unrolled: 2-line block ×3, first 2 shown]
	s_waitcnt vmcnt(42) lgkmcnt(0)
	v_mul_f32_e32 v31, v0, v205
	v_add_f32_e32 v30, v30, v39
	v_fmac_f32_e32 v31, v1, v184
	v_add_f32_e32 v34, v30, v31
	ds_read2_b64 v[30:33], v196 offset0:61 offset1:62
	buffer_load_dword v246, off, s[0:3], 0 offset:256
	buffer_load_dword v247, off, s[0:3], 0 offset:260
	s_waitcnt vmcnt(43)
	v_mul_f32_e32 v35, v2, v206
	s_waitcnt vmcnt(36)
	v_fmac_f32_e32 v35, v3, v213
	v_add_f32_e32 v38, v34, v35
	ds_read2_b64 v[34:37], v196 offset0:63 offset1:64
	buffer_load_dword v248, off, s[0:3], 0 offset:264
	buffer_load_dword v249, off, s[0:3], 0 offset:268
	;; [unrolled: 1-line block ×8, first 2 shown]
	s_waitcnt lgkmcnt(1)
	v_mul_f32_e32 v39, v30, v208
	v_fmac_f32_e32 v39, v31, v207
	v_add_f32_e32 v38, v38, v39
	v_mul_f32_e32 v39, v32, v210
	v_fmac_f32_e32 v39, v33, v209
	v_add_f32_e32 v38, v38, v39
	s_waitcnt lgkmcnt(0)
	v_mul_f32_e32 v39, v34, v212
	v_fmac_f32_e32 v39, v35, v211
	v_add_f32_e32 v42, v38, v39
	buffer_load_dword v90, off, s[0:3], 0 offset:296
	buffer_load_dword v91, off, s[0:3], 0 offset:300
	;; [unrolled: 1-line block ×4, first 2 shown]
	ds_read2_b64 v[38:41], v196 offset0:65 offset1:66
	s_waitcnt vmcnt(44)
	v_mul_f32_e32 v43, v36, v215
	v_fmac_f32_e32 v43, v37, v214
	v_add_f32_e32 v46, v42, v43
	ds_read2_b64 v[42:45], v196 offset0:67 offset1:68
	s_waitcnt vmcnt(42) lgkmcnt(1)
	v_mul_f32_e32 v47, v38, v217
	v_fmac_f32_e32 v47, v39, v216
	v_add_f32_e32 v46, v46, v47
	s_waitcnt vmcnt(40)
	v_mul_f32_e32 v47, v40, v219
	v_fmac_f32_e32 v47, v41, v218
	v_add_f32_e32 v46, v46, v47
	s_waitcnt vmcnt(38) lgkmcnt(0)
	v_mul_f32_e32 v47, v42, v221
	v_fmac_f32_e32 v47, v43, v220
	v_add_f32_e32 v50, v46, v47
	ds_read2_b64 v[46:49], v196 offset0:69 offset1:70
	s_waitcnt vmcnt(36)
	v_mul_f32_e32 v51, v44, v223
	v_fmac_f32_e32 v51, v45, v222
	v_add_f32_e32 v54, v50, v51
	ds_read2_b64 v[50:53], v196 offset0:71 offset1:72
	s_waitcnt vmcnt(34) lgkmcnt(1)
	v_mul_f32_e32 v55, v46, v225
	v_fmac_f32_e32 v55, v47, v224
	v_add_f32_e32 v54, v54, v55
	s_waitcnt vmcnt(32)
	v_mul_f32_e32 v55, v48, v227
	v_fmac_f32_e32 v55, v49, v226
	v_add_f32_e32 v54, v54, v55
	s_waitcnt vmcnt(30) lgkmcnt(0)
	v_mul_f32_e32 v55, v50, v229
	v_fmac_f32_e32 v55, v51, v228
	v_add_f32_e32 v58, v54, v55
	;; [unrolled: 18-line block ×4, first 2 shown]
	ds_read2_b64 v[70:73], v196 offset0:81 offset1:82
	v_mul_f32_e32 v21, v21, v78
	v_fma_f32 v20, v20, v86, -v21
	v_mul_f32_e32 v21, v23, v79
	v_add_f32_e32 v20, 0, v20
	s_waitcnt vmcnt(12)
	v_mul_f32_e32 v75, v68, v247
	v_fmac_f32_e32 v75, v69, v246
	v_add_f32_e32 v172, v74, v75
	ds_read2_b64 v[74:77], v196 offset0:83 offset1:84
	buffer_load_dword v181, off, s[0:3], 0 offset:316
	buffer_load_dword v180, off, s[0:3], 0 offset:312
	s_waitcnt vmcnt(12) lgkmcnt(1)
	v_mul_f32_e32 v173, v70, v249
	v_fmac_f32_e32 v173, v71, v248
	v_add_f32_e32 v172, v172, v173
	s_waitcnt vmcnt(10)
	v_mul_f32_e32 v173, v72, v251
	v_fmac_f32_e32 v173, v73, v250
	v_add_f32_e32 v172, v172, v173
	s_waitcnt vmcnt(8) lgkmcnt(0)
	v_mul_f32_e32 v173, v74, v253
	v_fmac_f32_e32 v173, v75, v252
	s_waitcnt vmcnt(6)
	v_mul_f32_e32 v177, v76, v255
	v_add_f32_e32 v176, v172, v173
	v_fmac_f32_e32 v177, v77, v254
	ds_read2_b64 v[172:175], v196 offset0:85 offset1:86
	v_add_f32_e32 v183, v176, v177
	ds_read2_b64 v[176:179], v196 offset0:87 offset1:88
	buffer_load_dword v189, off, s[0:3], 0 offset:348
	buffer_load_dword v188, off, s[0:3], 0 offset:344
	;; [unrolled: 1-line block ×14, first 2 shown]
	v_fma_f32 v21, v22, v85, -v21
	v_mul_f32_e32 v17, v17, v80
	v_add_f32_e32 v20, v20, v21
	v_fma_f32 v16, v16, v84, -v17
	v_mul_f32_e32 v17, v19, v29
	v_add_f32_e32 v16, v20, v16
	;; [unrolled: 3-line block ×10, first 2 shown]
	v_fma_f32 v1, v2, v213, -v1
	v_add_f32_e32 v0, v0, v1
	v_mul_f32_e32 v1, v31, v208
	v_fma_f32 v1, v30, v207, -v1
	v_add_f32_e32 v0, v0, v1
	v_mul_f32_e32 v1, v33, v210
	;; [unrolled: 3-line block ×24, first 2 shown]
	v_fma_f32 v1, v76, v254, -v1
	s_waitcnt vmcnt(15)
	v_mov_b32_e32 v14, v181
	s_waitcnt lgkmcnt(1)
	v_mul_f32_e32 v185, v172, v91
	v_add_f32_e32 v182, v0, v1
	v_mul_f32_e32 v0, v173, v91
	s_waitcnt lgkmcnt(0)
	v_pk_mul_f32 v[14:15], v[176:177], v[14:15] op_sel_hi:[1,0]
	v_fmac_f32_e32 v185, v173, v90
	v_mul_f32_e32 v187, v174, v93
	v_fma_f32 v184, v172, v90, -v0
	v_mul_f32_e32 v0, v175, v93
	s_waitcnt vmcnt(14)
	v_pk_fma_f32 v[16:17], v[176:177], v[180:181], v[14:15] op_sel:[0,0,1] op_sel_hi:[1,1,0] neg_lo:[0,0,1] neg_hi:[0,0,1]
	v_pk_fma_f32 v[14:15], v[176:177], v[180:181], v[14:15] op_sel:[0,0,1] op_sel_hi:[1,0,0]
	v_fmac_f32_e32 v187, v175, v92
	v_fma_f32 v186, v174, v92, -v0
	v_pk_add_f32 v[12:13], v[182:183], v[184:185]
	s_waitcnt vmcnt(7)
	v_mov_b32_e32 v14, v195
	ds_read2_b64 v[0:3], v196 offset0:89 offset1:90
	ds_read2_b64 v[4:7], v196 offset0:91 offset1:92
	;; [unrolled: 1-line block ×3, first 2 shown]
	v_pk_add_f32 v[12:13], v[12:13], v[186:187]
	v_mov_b32_e32 v17, v15
	v_pk_mul_f32 v[14:15], v[178:179], v[14:15] op_sel_hi:[1,0]
	v_pk_add_f32 v[12:13], v[12:13], v[16:17]
	s_waitcnt vmcnt(6)
	v_pk_fma_f32 v[16:17], v[178:179], v[194:195], v[14:15] op_sel:[0,0,1] op_sel_hi:[1,1,0] neg_lo:[0,0,1] neg_hi:[0,0,1]
	v_pk_fma_f32 v[14:15], v[178:179], v[194:195], v[14:15] op_sel:[0,0,1] op_sel_hi:[1,0,0]
	v_mov_b32_e32 v14, v193
	v_mov_b32_e32 v17, v15
	s_waitcnt lgkmcnt(2)
	v_pk_mul_f32 v[14:15], v[0:1], v[14:15] op_sel_hi:[1,0]
	v_pk_add_f32 v[12:13], v[12:13], v[16:17]
	v_pk_fma_f32 v[16:17], v[0:1], v[192:193], v[14:15] op_sel:[0,0,1] op_sel_hi:[1,1,0] neg_lo:[0,0,1] neg_hi:[0,0,1]
	v_pk_fma_f32 v[0:1], v[0:1], v[192:193], v[14:15] op_sel:[0,0,1] op_sel_hi:[1,0,0]
	v_mov_b32_e32 v17, v1
	v_pk_add_f32 v[0:1], v[12:13], v[16:17]
	v_mov_b32_e32 v12, v191
	v_pk_mul_f32 v[12:13], v[2:3], v[12:13] op_sel_hi:[1,0]
	v_pk_fma_f32 v[14:15], v[2:3], v[190:191], v[12:13] op_sel:[0,0,1] op_sel_hi:[1,1,0] neg_lo:[0,0,1] neg_hi:[0,0,1]
	v_pk_fma_f32 v[2:3], v[2:3], v[190:191], v[12:13] op_sel:[0,0,1] op_sel_hi:[1,0,0]
	v_mov_b32_e32 v2, v189
	v_mov_b32_e32 v15, v3
	s_waitcnt lgkmcnt(1)
	v_pk_mul_f32 v[2:3], v[4:5], v[2:3] op_sel_hi:[1,0]
	v_pk_fma_f32 v[12:13], v[4:5], v[188:189], v[2:3] op_sel:[0,0,1] op_sel_hi:[1,1,0] neg_lo:[0,0,1] neg_hi:[0,0,1]
	v_pk_fma_f32 v[2:3], v[4:5], v[188:189], v[2:3] op_sel:[0,0,1] op_sel_hi:[1,0,0]
	s_waitcnt vmcnt(1)
	v_mov_b32_e32 v2, v203
	v_mov_b32_e32 v13, v3
	v_pk_mul_f32 v[2:3], v[6:7], v[2:3] op_sel_hi:[1,0]
	s_waitcnt vmcnt(0)
	v_pk_fma_f32 v[4:5], v[6:7], v[202:203], v[2:3] op_sel:[0,0,1] op_sel_hi:[1,1,0] neg_lo:[0,0,1] neg_hi:[0,0,1]
	v_pk_fma_f32 v[2:3], v[6:7], v[202:203], v[2:3] op_sel:[0,0,1] op_sel_hi:[1,0,0]
	v_pk_add_f32 v[0:1], v[0:1], v[14:15]
	v_mov_b32_e32 v2, v201
	v_pk_add_f32 v[0:1], v[0:1], v[12:13]
	v_mov_b32_e32 v5, v3
	s_waitcnt lgkmcnt(0)
	v_pk_mul_f32 v[2:3], v[8:9], v[2:3] op_sel_hi:[1,0]
	v_pk_add_f32 v[0:1], v[0:1], v[4:5]
	v_pk_fma_f32 v[4:5], v[8:9], v[200:201], v[2:3] op_sel:[0,0,1] op_sel_hi:[1,1,0] neg_lo:[0,0,1] neg_hi:[0,0,1]
	v_pk_fma_f32 v[2:3], v[8:9], v[200:201], v[2:3] op_sel:[0,0,1] op_sel_hi:[1,0,0]
	v_mov_b32_e32 v2, v199
	v_mov_b32_e32 v5, v3
	v_pk_mul_f32 v[2:3], v[10:11], v[2:3] op_sel_hi:[1,0]
	v_pk_add_f32 v[0:1], v[0:1], v[4:5]
	v_pk_fma_f32 v[4:5], v[10:11], v[198:199], v[2:3] op_sel:[0,0,1] op_sel_hi:[1,1,0] neg_lo:[0,0,1] neg_hi:[0,0,1]
	v_pk_fma_f32 v[2:3], v[10:11], v[198:199], v[2:3] op_sel:[0,0,1] op_sel_hi:[1,0,0]
	v_mov_b32_e32 v5, v3
	v_pk_add_f32 v[0:1], v[0:1], v[4:5]
	v_pk_add_f32 v[0:1], v[24:25], v[0:1] neg_lo:[0,1] neg_hi:[0,1]
	buffer_store_dword v1, off, s[0:3], 0 offset:4
	buffer_store_dword v0, off, s[0:3], 0
	s_cbranch_vccz .LBB110_389
; %bb.296:
	v_pk_mov_b32 v[0:1], s[10:11], s[10:11] op_sel:[0,1]
	flat_load_dword v0, v[0:1] offset:180
	s_waitcnt vmcnt(0) lgkmcnt(0)
	v_add_u32_e32 v0, -1, v0
	v_cmp_ne_u32_e32 vcc, 45, v0
	s_and_saveexec_b64 s[4:5], vcc
	s_cbranch_execz .LBB110_298
; %bb.297:
	v_mov_b32_e32 v1, 0
	v_lshl_add_u32 v0, v0, 3, v1
	buffer_load_dword v1, v0, s[0:3], 0 offen
	buffer_load_dword v2, v0, s[0:3], 0 offen offset:4
	buffer_load_dword v3, off, s[0:3], 0 offset:360
	buffer_load_dword v4, off, s[0:3], 0 offset:364
	s_waitcnt vmcnt(3)
	buffer_store_dword v1, off, s[0:3], 0 offset:360
	s_waitcnt vmcnt(3)
	buffer_store_dword v2, off, s[0:3], 0 offset:364
	s_waitcnt vmcnt(3)
	buffer_store_dword v3, v0, s[0:3], 0 offen
	s_waitcnt vmcnt(3)
	buffer_store_dword v4, v0, s[0:3], 0 offen offset:4
.LBB110_298:
	s_or_b64 exec, exec, s[4:5]
	v_pk_mov_b32 v[0:1], s[10:11], s[10:11] op_sel:[0,1]
	flat_load_dword v0, v[0:1] offset:176
	s_waitcnt vmcnt(0) lgkmcnt(0)
	v_add_u32_e32 v0, -1, v0
	v_cmp_ne_u32_e32 vcc, 44, v0
	s_and_saveexec_b64 s[4:5], vcc
	s_cbranch_execz .LBB110_300
; %bb.299:
	v_mov_b32_e32 v1, 0
	v_lshl_add_u32 v0, v0, 3, v1
	buffer_load_dword v1, v0, s[0:3], 0 offen
	buffer_load_dword v2, v0, s[0:3], 0 offen offset:4
	buffer_load_dword v3, off, s[0:3], 0 offset:356
	buffer_load_dword v4, off, s[0:3], 0 offset:352
	s_waitcnt vmcnt(3)
	buffer_store_dword v1, off, s[0:3], 0 offset:352
	s_waitcnt vmcnt(3)
	buffer_store_dword v2, off, s[0:3], 0 offset:356
	s_waitcnt vmcnt(3)
	buffer_store_dword v3, v0, s[0:3], 0 offen offset:4
	s_waitcnt vmcnt(3)
	buffer_store_dword v4, v0, s[0:3], 0 offen
.LBB110_300:
	s_or_b64 exec, exec, s[4:5]
	v_pk_mov_b32 v[0:1], s[10:11], s[10:11] op_sel:[0,1]
	flat_load_dword v0, v[0:1] offset:172
	s_waitcnt vmcnt(0) lgkmcnt(0)
	v_add_u32_e32 v0, -1, v0
	v_cmp_ne_u32_e32 vcc, 43, v0
	s_and_saveexec_b64 s[4:5], vcc
	s_cbranch_execz .LBB110_302
; %bb.301:
	v_mov_b32_e32 v1, 0
	v_lshl_add_u32 v0, v0, 3, v1
	buffer_load_dword v1, v0, s[0:3], 0 offen
	buffer_load_dword v2, v0, s[0:3], 0 offen offset:4
	buffer_load_dword v3, off, s[0:3], 0 offset:344
	buffer_load_dword v4, off, s[0:3], 0 offset:348
	s_waitcnt vmcnt(3)
	buffer_store_dword v1, off, s[0:3], 0 offset:344
	s_waitcnt vmcnt(3)
	buffer_store_dword v2, off, s[0:3], 0 offset:348
	s_waitcnt vmcnt(3)
	buffer_store_dword v3, v0, s[0:3], 0 offen
	s_waitcnt vmcnt(3)
	buffer_store_dword v4, v0, s[0:3], 0 offen offset:4
.LBB110_302:
	s_or_b64 exec, exec, s[4:5]
	v_pk_mov_b32 v[0:1], s[10:11], s[10:11] op_sel:[0,1]
	flat_load_dword v0, v[0:1] offset:168
	s_waitcnt vmcnt(0) lgkmcnt(0)
	v_add_u32_e32 v0, -1, v0
	v_cmp_ne_u32_e32 vcc, 42, v0
	s_and_saveexec_b64 s[4:5], vcc
	s_cbranch_execz .LBB110_304
; %bb.303:
	v_mov_b32_e32 v1, 0
	v_lshl_add_u32 v0, v0, 3, v1
	buffer_load_dword v1, v0, s[0:3], 0 offen
	buffer_load_dword v2, v0, s[0:3], 0 offen offset:4
	buffer_load_dword v3, off, s[0:3], 0 offset:340
	buffer_load_dword v4, off, s[0:3], 0 offset:336
	s_waitcnt vmcnt(3)
	buffer_store_dword v1, off, s[0:3], 0 offset:336
	s_waitcnt vmcnt(3)
	buffer_store_dword v2, off, s[0:3], 0 offset:340
	s_waitcnt vmcnt(3)
	buffer_store_dword v3, v0, s[0:3], 0 offen offset:4
	s_waitcnt vmcnt(3)
	buffer_store_dword v4, v0, s[0:3], 0 offen
.LBB110_304:
	s_or_b64 exec, exec, s[4:5]
	;; [unrolled: 48-line block ×22, first 2 shown]
	v_pk_mov_b32 v[0:1], s[10:11], s[10:11] op_sel:[0,1]
	flat_load_dword v0, v[0:1] offset:4
	s_waitcnt vmcnt(0) lgkmcnt(0)
	v_add_u32_e32 v0, -1, v0
	v_cmp_ne_u32_e32 vcc, 1, v0
	s_and_saveexec_b64 s[4:5], vcc
	s_cbranch_execz .LBB110_386
; %bb.385:
	v_mov_b32_e32 v1, 0
	v_lshl_add_u32 v0, v0, 3, v1
	buffer_load_dword v1, v0, s[0:3], 0 offen
	buffer_load_dword v2, v0, s[0:3], 0 offen offset:4
	buffer_load_dword v3, off, s[0:3], 0 offset:8
	buffer_load_dword v4, off, s[0:3], 0 offset:12
	s_waitcnt vmcnt(3)
	buffer_store_dword v1, off, s[0:3], 0 offset:8
	s_waitcnt vmcnt(3)
	buffer_store_dword v2, off, s[0:3], 0 offset:12
	s_waitcnt vmcnt(3)
	buffer_store_dword v3, v0, s[0:3], 0 offen
	s_waitcnt vmcnt(3)
	buffer_store_dword v4, v0, s[0:3], 0 offen offset:4
.LBB110_386:
	s_or_b64 exec, exec, s[4:5]
	v_pk_mov_b32 v[0:1], s[10:11], s[10:11] op_sel:[0,1]
	flat_load_dword v2, v[0:1]
	s_nop 0
	buffer_load_dword v0, off, s[0:3], 0
	buffer_load_dword v1, off, s[0:3], 0 offset:4
	s_waitcnt vmcnt(0) lgkmcnt(0)
	v_add_u32_e32 v2, -1, v2
	v_cmp_ne_u32_e32 vcc, 0, v2
	s_and_saveexec_b64 s[4:5], vcc
	s_cbranch_execz .LBB110_388
; %bb.387:
	v_mov_b32_e32 v3, 0
	v_lshl_add_u32 v2, v2, 3, v3
	buffer_load_dword v3, v2, s[0:3], 0 offen offset:4
	buffer_load_dword v4, v2, s[0:3], 0 offen
	s_waitcnt vmcnt(1)
	buffer_store_dword v3, off, s[0:3], 0 offset:4
	s_waitcnt vmcnt(1)
	buffer_store_dword v4, off, s[0:3], 0
	buffer_store_dword v1, v2, s[0:3], 0 offen offset:4
	buffer_store_dword v0, v2, s[0:3], 0 offen
	buffer_load_dword v0, off, s[0:3], 0
	s_nop 0
	buffer_load_dword v1, off, s[0:3], 0 offset:4
.LBB110_388:
	s_or_b64 exec, exec, s[4:5]
.LBB110_389:
	buffer_load_dword v2, off, s[0:3], 0 offset:8
	buffer_load_dword v3, off, s[0:3], 0 offset:12
	;; [unrolled: 1-line block ×92, first 2 shown]
	s_waitcnt vmcnt(62)
	global_store_dwordx2 v[162:163], v[0:1], off
	global_store_dwordx2 v[164:165], v[2:3], off
	v_accvgpr_read_b32 v0, a0
	v_accvgpr_read_b32 v1, a1
	global_store_dwordx2 v[0:1], v[4:5], off
	v_accvgpr_read_b32 v0, a2
	v_accvgpr_read_b32 v1, a3
	;; [unrolled: 3-line block ×8, first 2 shown]
	global_store_dwordx2 v[0:1], v[18:19], off
	global_store_dwordx2 v[94:95], v[20:21], off
	;; [unrolled: 1-line block ×7, first 2 shown]
	s_waitcnt vmcnt(62)
	global_store_dwordx2 v[106:107], v[32:33], off
	global_store_dwordx2 v[108:109], v[34:35], off
	;; [unrolled: 1-line block ×8, first 2 shown]
	s_waitcnt vmcnt(62)
	global_store_dwordx2 v[122:123], v[48:49], off
	global_store_dwordx2 v[124:125], v[50:51], off
	;; [unrolled: 1-line block ×4, first 2 shown]
	s_waitcnt vmcnt(62)
	global_store_dwordx2 v[130:131], v[56:57], off
	global_store_dwordx2 v[132:133], v[58:59], off
	s_waitcnt vmcnt(62)
	global_store_dwordx2 v[134:135], v[60:61], off
	s_waitcnt vmcnt(61)
	;; [unrolled: 2-line block ×17, first 2 shown]
	global_store_dwordx2 v[170:171], v[186:187], off
	s_endpgm
	.section	.rodata,"a",@progbits
	.p2align	6, 0x0
	.amdhsa_kernel _ZN9rocsolver6v33100L18getri_kernel_smallILi47E19rocblas_complex_numIfEPKPS3_EEvT1_iilPiilS8_bb
		.amdhsa_group_segment_fixed_size 760
		.amdhsa_private_segment_fixed_size 384
		.amdhsa_kernarg_size 60
		.amdhsa_user_sgpr_count 8
		.amdhsa_user_sgpr_private_segment_buffer 1
		.amdhsa_user_sgpr_dispatch_ptr 0
		.amdhsa_user_sgpr_queue_ptr 0
		.amdhsa_user_sgpr_kernarg_segment_ptr 1
		.amdhsa_user_sgpr_dispatch_id 0
		.amdhsa_user_sgpr_flat_scratch_init 1
		.amdhsa_user_sgpr_kernarg_preload_length 0
		.amdhsa_user_sgpr_kernarg_preload_offset 0
		.amdhsa_user_sgpr_private_segment_size 0
		.amdhsa_uses_dynamic_stack 0
		.amdhsa_system_sgpr_private_segment_wavefront_offset 1
		.amdhsa_system_sgpr_workgroup_id_x 1
		.amdhsa_system_sgpr_workgroup_id_y 0
		.amdhsa_system_sgpr_workgroup_id_z 0
		.amdhsa_system_sgpr_workgroup_info 0
		.amdhsa_system_vgpr_workitem_id 0
		.amdhsa_next_free_vgpr 272
		.amdhsa_next_free_sgpr 22
		.amdhsa_accum_offset 256
		.amdhsa_reserve_vcc 1
		.amdhsa_reserve_flat_scratch 1
		.amdhsa_float_round_mode_32 0
		.amdhsa_float_round_mode_16_64 0
		.amdhsa_float_denorm_mode_32 3
		.amdhsa_float_denorm_mode_16_64 3
		.amdhsa_dx10_clamp 1
		.amdhsa_ieee_mode 1
		.amdhsa_fp16_overflow 0
		.amdhsa_tg_split 0
		.amdhsa_exception_fp_ieee_invalid_op 0
		.amdhsa_exception_fp_denorm_src 0
		.amdhsa_exception_fp_ieee_div_zero 0
		.amdhsa_exception_fp_ieee_overflow 0
		.amdhsa_exception_fp_ieee_underflow 0
		.amdhsa_exception_fp_ieee_inexact 0
		.amdhsa_exception_int_div_zero 0
	.end_amdhsa_kernel
	.section	.text._ZN9rocsolver6v33100L18getri_kernel_smallILi47E19rocblas_complex_numIfEPKPS3_EEvT1_iilPiilS8_bb,"axG",@progbits,_ZN9rocsolver6v33100L18getri_kernel_smallILi47E19rocblas_complex_numIfEPKPS3_EEvT1_iilPiilS8_bb,comdat
.Lfunc_end110:
	.size	_ZN9rocsolver6v33100L18getri_kernel_smallILi47E19rocblas_complex_numIfEPKPS3_EEvT1_iilPiilS8_bb, .Lfunc_end110-_ZN9rocsolver6v33100L18getri_kernel_smallILi47E19rocblas_complex_numIfEPKPS3_EEvT1_iilPiilS8_bb
                                        ; -- End function
	.section	.AMDGPU.csdata,"",@progbits
; Kernel info:
; codeLenInByte = 89028
; NumSgprs: 28
; NumVgprs: 256
; NumAgprs: 16
; TotalNumVgprs: 272
; ScratchSize: 384
; MemoryBound: 0
; FloatMode: 240
; IeeeMode: 1
; LDSByteSize: 760 bytes/workgroup (compile time only)
; SGPRBlocks: 3
; VGPRBlocks: 33
; NumSGPRsForWavesPerEU: 28
; NumVGPRsForWavesPerEU: 272
; AccumOffset: 256
; Occupancy: 1
; WaveLimiterHint : 1
; COMPUTE_PGM_RSRC2:SCRATCH_EN: 1
; COMPUTE_PGM_RSRC2:USER_SGPR: 8
; COMPUTE_PGM_RSRC2:TRAP_HANDLER: 0
; COMPUTE_PGM_RSRC2:TGID_X_EN: 1
; COMPUTE_PGM_RSRC2:TGID_Y_EN: 0
; COMPUTE_PGM_RSRC2:TGID_Z_EN: 0
; COMPUTE_PGM_RSRC2:TIDIG_COMP_CNT: 0
; COMPUTE_PGM_RSRC3_GFX90A:ACCUM_OFFSET: 63
; COMPUTE_PGM_RSRC3_GFX90A:TG_SPLIT: 0
	.section	.text._ZN9rocsolver6v33100L18getri_kernel_smallILi48E19rocblas_complex_numIfEPKPS3_EEvT1_iilPiilS8_bb,"axG",@progbits,_ZN9rocsolver6v33100L18getri_kernel_smallILi48E19rocblas_complex_numIfEPKPS3_EEvT1_iilPiilS8_bb,comdat
	.globl	_ZN9rocsolver6v33100L18getri_kernel_smallILi48E19rocblas_complex_numIfEPKPS3_EEvT1_iilPiilS8_bb ; -- Begin function _ZN9rocsolver6v33100L18getri_kernel_smallILi48E19rocblas_complex_numIfEPKPS3_EEvT1_iilPiilS8_bb
	.p2align	8
	.type	_ZN9rocsolver6v33100L18getri_kernel_smallILi48E19rocblas_complex_numIfEPKPS3_EEvT1_iilPiilS8_bb,@function
_ZN9rocsolver6v33100L18getri_kernel_smallILi48E19rocblas_complex_numIfEPKPS3_EEvT1_iilPiilS8_bb: ; @_ZN9rocsolver6v33100L18getri_kernel_smallILi48E19rocblas_complex_numIfEPKPS3_EEvT1_iilPiilS8_bb
; %bb.0:
	s_add_u32 flat_scratch_lo, s6, s9
	s_addc_u32 flat_scratch_hi, s7, 0
	s_add_u32 s0, s0, s9
	s_addc_u32 s1, s1, 0
	v_cmp_gt_u32_e32 vcc, 48, v0
	s_and_saveexec_b64 s[6:7], vcc
	s_cbranch_execz .LBB111_206
; %bb.1:
	s_load_dword s20, s[4:5], 0x38
	s_load_dwordx2 s[6:7], s[4:5], 0x0
	s_load_dwordx4 s[12:15], s[4:5], 0x28
	s_waitcnt lgkmcnt(0)
	s_bitcmp1_b32 s20, 8
	s_cselect_b64 s[16:17], -1, 0
	s_ashr_i32 s9, s8, 31
	s_lshl_b64 s[10:11], s[8:9], 3
	s_add_u32 s6, s6, s10
	s_addc_u32 s7, s7, s11
	s_load_dwordx2 s[18:19], s[6:7], 0x0
	s_bfe_u32 s6, s20, 0x10008
	s_cmp_eq_u32 s6, 0
                                        ; implicit-def: $sgpr10_sgpr11
	s_cbranch_scc1 .LBB111_3
; %bb.2:
	s_load_dword s6, s[4:5], 0x20
	s_load_dwordx2 s[10:11], s[4:5], 0x18
	s_mul_i32 s7, s8, s13
	s_mul_hi_u32 s13, s8, s12
	s_add_i32 s13, s13, s7
	s_mul_i32 s21, s9, s12
	s_add_i32 s13, s13, s21
	s_mul_i32 s12, s8, s12
	s_waitcnt lgkmcnt(0)
	s_ashr_i32 s7, s6, 31
	s_lshl_b64 s[12:13], s[12:13], 2
	s_add_u32 s10, s10, s12
	s_addc_u32 s11, s11, s13
	s_lshl_b64 s[6:7], s[6:7], 2
	s_add_u32 s10, s10, s6
	s_addc_u32 s11, s11, s7
.LBB111_3:
	s_load_dwordx2 s[6:7], s[4:5], 0x8
	v_lshlrev_b32_e32 v6, 3, v0
	s_waitcnt lgkmcnt(0)
	s_ashr_i32 s5, s6, 31
	s_mov_b32 s4, s6
	s_lshl_b64 s[4:5], s[4:5], 3
	s_add_u32 s4, s18, s4
	s_addc_u32 s5, s19, s5
	s_add_i32 s6, s7, s7
	v_add_u32_e32 v2, s6, v0
	v_ashrrev_i32_e32 v3, 31, v2
	v_lshlrev_b64 v[4:5], 3, v[2:3]
	v_add_u32_e32 v2, s7, v2
	v_mov_b32_e32 v1, s5
	v_add_co_u32_e32 v12, vcc, s4, v4
	v_ashrrev_i32_e32 v3, 31, v2
	v_addc_co_u32_e32 v13, vcc, v1, v5, vcc
	v_lshlrev_b64 v[4:5], 3, v[2:3]
	v_add_u32_e32 v2, s7, v2
	v_add_co_u32_e32 v14, vcc, s4, v4
	v_ashrrev_i32_e32 v3, 31, v2
	v_addc_co_u32_e32 v15, vcc, v1, v5, vcc
	v_lshlrev_b64 v[4:5], 3, v[2:3]
	v_add_u32_e32 v2, s7, v2
	;; [unrolled: 5-line block ×38, first 2 shown]
	v_add_co_u32_e32 v154, vcc, s4, v4
	v_ashrrev_i32_e32 v3, 31, v2
	v_addc_co_u32_e32 v155, vcc, v1, v5, vcc
	v_lshlrev_b64 v[4:5], 3, v[2:3]
	v_add_co_u32_e32 v156, vcc, s4, v4
	v_add_u32_e32 v2, s7, v2
	v_addc_co_u32_e32 v157, vcc, v1, v5, vcc
	v_ashrrev_i32_e32 v3, 31, v2
	v_lshlrev_b64 v[4:5], 3, v[2:3]
	global_load_dwordx2 v[8:9], v6, s[4:5]
	v_mov_b32_e32 v3, s5
	v_add_co_u32_e32 v164, vcc, s4, v6
	s_ashr_i32 s13, s7, 31
	s_mov_b32 s12, s7
	v_addc_co_u32_e32 v165, vcc, 0, v3, vcc
	s_lshl_b64 s[12:13], s[12:13], 3
	v_mov_b32_e32 v3, s13
	v_add_co_u32_e32 v166, vcc, s12, v164
	v_addc_co_u32_e32 v167, vcc, v165, v3, vcc
	global_load_dwordx2 v[10:11], v[166:167], off
	v_add_co_u32_e32 v158, vcc, s4, v4
	v_addc_co_u32_e32 v159, vcc, v1, v5, vcc
	global_load_dwordx2 v[4:5], v[12:13], off
	v_add_u32_e32 v2, s7, v2
	v_accvgpr_write_b32 a2, v14
	v_accvgpr_write_b32 a0, v12
	v_ashrrev_i32_e32 v3, 31, v2
	v_accvgpr_write_b32 a3, v15
	global_load_dwordx2 v[14:15], v[14:15], off
	v_accvgpr_write_b32 a4, v16
	v_accvgpr_write_b32 a1, v13
	;; [unrolled: 1-line block ×3, first 2 shown]
	global_load_dwordx2 v[16:17], v[16:17], off
	v_lshlrev_b64 v[12:13], 3, v[2:3]
	v_add_u32_e32 v2, s7, v2
	v_add_co_u32_e32 v160, vcc, s4, v12
	v_ashrrev_i32_e32 v3, 31, v2
	v_accvgpr_write_b32 a6, v18
	v_accvgpr_write_b32 a8, v20
	;; [unrolled: 1-line block ×3, first 2 shown]
	v_addc_co_u32_e32 v161, vcc, v1, v13, vcc
	v_accvgpr_write_b32 a7, v19
	global_load_dwordx2 v[12:13], v[18:19], off
	v_accvgpr_write_b32 a9, v21
	global_load_dwordx2 v[20:21], v[20:21], off
	v_accvgpr_write_b32 a11, v23
	global_load_dwordx2 v[22:23], v[22:23], off
	v_lshlrev_b64 v[18:19], 3, v[2:3]
	v_add_u32_e32 v2, s7, v2
	v_add_co_u32_e32 v162, vcc, s4, v18
	v_accvgpr_write_b32 a12, v24
	v_accvgpr_write_b32 a14, v26
	v_ashrrev_i32_e32 v3, 31, v2
	v_accvgpr_write_b32 a16, v28
	v_accvgpr_write_b32 a18, v30
	v_addc_co_u32_e32 v163, vcc, v1, v19, vcc
	v_accvgpr_write_b32 a13, v25
	global_load_dwordx2 v[18:19], v[24:25], off
	v_accvgpr_write_b32 a15, v27
	global_load_dwordx2 v[24:25], v[26:27], off
	;; [unrolled: 2-line block ×4, first 2 shown]
	v_lshlrev_b64 v[30:31], 3, v[2:3]
	v_add_u32_e32 v2, s7, v2
	v_add_co_u32_e32 v168, vcc, s4, v30
	v_ashrrev_i32_e32 v3, 31, v2
	v_addc_co_u32_e32 v169, vcc, v1, v31, vcc
	v_lshlrev_b64 v[46:47], 3, v[2:3]
	v_add_u32_e32 v2, s7, v2
	v_add_co_u32_e32 v170, vcc, s4, v46
	v_ashrrev_i32_e32 v3, 31, v2
	v_addc_co_u32_e32 v171, vcc, v1, v47, vcc
	v_lshlrev_b64 v[2:3], 3, v[2:3]
	v_add_co_u32_e32 v172, vcc, s4, v2
	global_load_dwordx2 v[32:33], v[98:99], off
	global_load_dwordx2 v[34:35], v[100:101], off
	global_load_dwordx2 v[36:37], v[102:103], off
	global_load_dwordx2 v[38:39], v[104:105], off
	global_load_dwordx2 v[30:31], v[106:107], off
	global_load_dwordx2 v[40:41], v[108:109], off
	global_load_dwordx2 v[42:43], v[110:111], off
	global_load_dwordx2 v[44:45], v[112:113], off
	global_load_dwordx2 v[48:49], v[114:115], off
	global_load_dwordx2 v[50:51], v[116:117], off
	global_load_dwordx2 v[52:53], v[118:119], off
	global_load_dwordx2 v[54:55], v[120:121], off
	global_load_dwordx2 v[46:47], v[122:123], off
	global_load_dwordx2 v[56:57], v[124:125], off
	global_load_dwordx2 v[58:59], v[126:127], off
	global_load_dwordx2 v[60:61], v[128:129], off
	global_load_dwordx2 v[62:63], v[130:131], off
	global_load_dwordx2 v[64:65], v[132:133], off
	global_load_dwordx2 v[66:67], v[134:135], off
	global_load_dwordx2 v[68:69], v[136:137], off
	v_addc_co_u32_e32 v173, vcc, v1, v3, vcc
	global_load_dwordx2 v[2:3], v[138:139], off
	global_load_dwordx2 v[70:71], v[172:173], off
	;; [unrolled: 1-line block ×10, first 2 shown]
	s_bitcmp0_b32 s20, 0
	s_waitcnt vmcnt(41)
	buffer_store_dword v9, off, s[0:3], 0 offset:4
	buffer_store_dword v8, off, s[0:3], 0
	global_load_dwordx2 v[8:9], v[144:145], off
	s_mov_b64 s[6:7], -1
	s_waitcnt vmcnt(43)
	buffer_store_dword v11, off, s[0:3], 0 offset:12
	buffer_store_dword v10, off, s[0:3], 0 offset:8
	global_load_dwordx2 v[10:11], v[148:149], off
	s_waitcnt vmcnt(45)
	buffer_store_dword v5, off, s[0:3], 0 offset:20
	buffer_store_dword v4, off, s[0:3], 0 offset:16
	global_load_dwordx2 v[4:5], v[152:153], off
	;; [unrolled: 4-line block ×5, first 2 shown]
	s_waitcnt vmcnt(53)
	buffer_store_dword v21, off, s[0:3], 0 offset:52
	buffer_store_dword v20, off, s[0:3], 0 offset:48
	s_waitcnt vmcnt(54)
	buffer_store_dword v23, off, s[0:3], 0 offset:60
	buffer_store_dword v22, off, s[0:3], 0 offset:56
	;; [unrolled: 3-line block ×11, first 2 shown]
	buffer_store_dword v40, off, s[0:3], 0 offset:136
	buffer_store_dword v41, off, s[0:3], 0 offset:140
	s_waitcnt vmcnt(62)
	buffer_store_dword v42, off, s[0:3], 0 offset:144
	buffer_store_dword v43, off, s[0:3], 0 offset:148
	;; [unrolled: 1-line block ×8, first 2 shown]
	s_waitcnt vmcnt(62)
	buffer_store_dword v52, off, s[0:3], 0 offset:176
	buffer_store_dword v53, off, s[0:3], 0 offset:180
	;; [unrolled: 1-line block ×16, first 2 shown]
	s_waitcnt vmcnt(62)
	buffer_store_dword v66, off, s[0:3], 0 offset:240
	buffer_store_dword v67, off, s[0:3], 0 offset:244
	;; [unrolled: 1-line block ×14, first 2 shown]
	s_waitcnt vmcnt(62)
	buffer_store_dword v11, off, s[0:3], 0 offset:300
	buffer_store_dword v10, off, s[0:3], 0 offset:296
	buffer_store_dword v175, off, s[0:3], 0 offset:308
	buffer_store_dword v174, off, s[0:3], 0 offset:304
	buffer_store_dword v4, off, s[0:3], 0 offset:312
	buffer_store_dword v5, off, s[0:3], 0 offset:316
	buffer_store_dword v176, off, s[0:3], 0 offset:320
	buffer_store_dword v177, off, s[0:3], 0 offset:324
	buffer_store_dword v14, off, s[0:3], 0 offset:328
	buffer_store_dword v15, off, s[0:3], 0 offset:332
	buffer_store_dword v178, off, s[0:3], 0 offset:336
	buffer_store_dword v179, off, s[0:3], 0 offset:340
	buffer_store_dword v17, off, s[0:3], 0 offset:348
	buffer_store_dword v16, off, s[0:3], 0 offset:344
	buffer_store_dword v181, off, s[0:3], 0 offset:356
	buffer_store_dword v180, off, s[0:3], 0 offset:352
	buffer_store_dword v12, off, s[0:3], 0 offset:360
	buffer_store_dword v13, off, s[0:3], 0 offset:364
	buffer_store_dword v182, off, s[0:3], 0 offset:368
	buffer_store_dword v183, off, s[0:3], 0 offset:372
	buffer_store_dword v70, off, s[0:3], 0 offset:376
	buffer_store_dword v71, off, s[0:3], 0 offset:380
	s_cbranch_scc1 .LBB111_204
; %bb.4:
	v_cmp_eq_u32_e64 s[4:5], 0, v0
	s_and_saveexec_b64 s[6:7], s[4:5]
	s_cbranch_execz .LBB111_6
; %bb.5:
	v_mov_b32_e32 v1, 0
	ds_write_b32 v1, v1 offset:768
.LBB111_6:
	s_or_b64 exec, exec, s[6:7]
	v_mov_b32_e32 v1, 0
	v_lshl_add_u32 v7, v0, 3, v1
	s_waitcnt lgkmcnt(0)
	; wave barrier
	s_waitcnt lgkmcnt(0)
	buffer_load_dword v1, v7, s[0:3], 0 offen
	buffer_load_dword v2, v7, s[0:3], 0 offen offset:4
	s_waitcnt vmcnt(1)
	v_cmp_eq_f32_e32 vcc, 0, v1
	s_waitcnt vmcnt(0)
	v_cmp_eq_f32_e64 s[6:7], 0, v2
	s_and_b64 s[6:7], vcc, s[6:7]
	s_and_saveexec_b64 s[12:13], s[6:7]
	s_cbranch_execz .LBB111_10
; %bb.7:
	v_mov_b32_e32 v1, 0
	ds_read_b32 v3, v1 offset:768
	v_add_u32_e32 v2, 1, v0
	s_waitcnt lgkmcnt(0)
	v_readfirstlane_b32 s6, v3
	s_cmp_eq_u32 s6, 0
	s_cselect_b64 s[18:19], -1, 0
	v_cmp_gt_i32_e32 vcc, s6, v2
	s_or_b64 s[18:19], s[18:19], vcc
	s_and_b64 exec, exec, s[18:19]
	s_cbranch_execz .LBB111_10
; %bb.8:
	s_mov_b64 s[18:19], 0
	v_mov_b32_e32 v3, s6
.LBB111_9:                              ; =>This Inner Loop Header: Depth=1
	ds_cmpst_rtn_b32 v3, v1, v3, v2 offset:768
	s_waitcnt lgkmcnt(0)
	v_cmp_ne_u32_e32 vcc, 0, v3
	v_cmp_le_i32_e64 s[6:7], v3, v2
	s_and_b64 s[6:7], vcc, s[6:7]
	s_and_b64 s[6:7], exec, s[6:7]
	s_or_b64 s[18:19], s[6:7], s[18:19]
	s_andn2_b64 exec, exec, s[18:19]
	s_cbranch_execnz .LBB111_9
.LBB111_10:
	s_or_b64 exec, exec, s[12:13]
	v_mov_b32_e32 v2, 0
	s_waitcnt lgkmcnt(0)
	; wave barrier
	ds_read_b32 v1, v2 offset:768
	s_and_saveexec_b64 s[6:7], s[4:5]
	s_cbranch_execz .LBB111_12
; %bb.11:
	s_lshl_b64 s[12:13], s[8:9], 2
	s_add_u32 s12, s14, s12
	s_addc_u32 s13, s15, s13
	s_waitcnt lgkmcnt(0)
	global_store_dword v2, v1, s[12:13]
.LBB111_12:
	s_or_b64 exec, exec, s[6:7]
	s_waitcnt lgkmcnt(0)
	v_cmp_ne_u32_e32 vcc, 0, v1
	s_mov_b64 s[6:7], 0
	s_cbranch_vccnz .LBB111_204
; %bb.13:
	buffer_load_dword v8, v7, s[0:3], 0 offen offset:4
	buffer_load_dword v3, v7, s[0:3], 0 offen
	s_waitcnt vmcnt(1)
	v_cmp_gt_f32_e32 vcc, 0, v8
	v_cndmask_b32_e64 v1, v8, -v8, vcc
	s_waitcnt vmcnt(0)
	v_cmp_gt_f32_e32 vcc, 0, v3
	v_cndmask_b32_e64 v2, v3, -v3, vcc
	v_cmp_ngt_f32_e32 vcc, v2, v1
                                        ; implicit-def: $vgpr1
                                        ; implicit-def: $vgpr2
	s_and_saveexec_b64 s[6:7], vcc
	s_xor_b64 s[6:7], exec, s[6:7]
                                        ; implicit-def: $vgpr4_vgpr5
	s_cbranch_execz .LBB111_15
; %bb.14:
	v_div_scale_f32 v1, s[12:13], v8, v8, v3
	v_rcp_f32_e32 v2, v1
	v_div_scale_f32 v4, vcc, v3, v8, v3
	v_fma_f32 v5, -v1, v2, 1.0
	v_fmac_f32_e32 v2, v5, v2
	v_mul_f32_e32 v5, v4, v2
	v_fma_f32 v9, -v1, v5, v4
	v_fmac_f32_e32 v5, v9, v2
	v_fma_f32 v1, -v1, v5, v4
	v_div_fmas_f32 v1, v1, v2, v5
	v_div_fixup_f32 v2, v1, v8, v3
	v_fmac_f32_e32 v8, v3, v2
	v_div_scale_f32 v1, s[12:13], v8, v8, -1.0
	v_rcp_f32_e32 v3, v1
	v_fma_f32 v4, -v1, v3, 1.0
	v_fmac_f32_e32 v3, v4, v3
	v_div_scale_f32 v4, vcc, -1.0, v8, -1.0
	v_mul_f32_e32 v5, v4, v3
	v_fma_f32 v9, -v1, v5, v4
	v_fmac_f32_e32 v5, v9, v3
	v_fma_f32 v1, -v1, v5, v4
	v_div_fmas_f32 v1, v1, v3, v5
	v_div_fixup_f32 v1, v1, v8, -1.0
	v_mul_f32_e32 v2, v2, v1
	v_xor_b32_e32 v4, 0x80000000, v2
                                        ; implicit-def: $vgpr3
                                        ; implicit-def: $vgpr8
.LBB111_15:
	s_andn2_saveexec_b64 s[6:7], s[6:7]
	s_cbranch_execz .LBB111_17
; %bb.16:
	v_div_scale_f32 v1, s[12:13], v3, v3, v8
	v_rcp_f32_e32 v2, v1
	v_div_scale_f32 v4, vcc, v8, v3, v8
	v_fma_f32 v5, -v1, v2, 1.0
	v_fmac_f32_e32 v2, v5, v2
	v_mul_f32_e32 v5, v4, v2
	v_fma_f32 v9, -v1, v5, v4
	v_fmac_f32_e32 v5, v9, v2
	v_fma_f32 v1, -v1, v5, v4
	v_div_fmas_f32 v1, v1, v2, v5
	v_div_fixup_f32 v1, v1, v3, v8
	v_fmac_f32_e32 v3, v8, v1
	v_div_scale_f32 v2, s[12:13], v3, v3, 1.0
	v_rcp_f32_e32 v4, v2
	v_fma_f32 v5, -v2, v4, 1.0
	v_fmac_f32_e32 v4, v5, v4
	v_div_scale_f32 v5, vcc, 1.0, v3, 1.0
	v_mul_f32_e32 v8, v5, v4
	v_fma_f32 v9, -v2, v8, v5
	v_fmac_f32_e32 v8, v9, v4
	v_fma_f32 v2, -v2, v8, v5
	v_div_fmas_f32 v2, v2, v4, v8
	v_div_fixup_f32 v4, v2, v3, 1.0
	v_xor_b32_e32 v2, 0x80000000, v4
	v_mul_f32_e64 v1, v1, -v4
.LBB111_17:
	s_or_b64 exec, exec, s[6:7]
	buffer_store_dword v1, v7, s[0:3], 0 offen offset:4
	buffer_store_dword v4, v7, s[0:3], 0 offen
	buffer_load_dword v5, off, s[0:3], 0 offset:12
	s_nop 0
	buffer_load_dword v4, off, s[0:3], 0 offset:8
	v_xor_b32_e32 v3, 0x80000000, v1
	v_add_u32_e32 v1, 0x180, v6
	s_waitcnt vmcnt(0)
	ds_write2_b64 v6, v[2:3], v[4:5] offset1:48
	s_waitcnt lgkmcnt(0)
	; wave barrier
	s_waitcnt lgkmcnt(0)
	s_and_saveexec_b64 s[6:7], s[4:5]
	s_cbranch_execz .LBB111_19
; %bb.18:
	buffer_load_dword v8, v7, s[0:3], 0 offen offset:4
	buffer_load_dword v9, v7, s[0:3], 0 offen
	ds_read_b64 v[2:3], v1
	v_mov_b32_e32 v4, 0
	ds_read_b64 v[4:5], v4 offset:8
	s_waitcnt vmcnt(1) lgkmcnt(1)
	v_mul_f32_e32 v10, v3, v8
	v_mul_f32_e32 v8, v2, v8
	s_waitcnt vmcnt(0)
	v_fmac_f32_e32 v8, v3, v9
	v_fma_f32 v2, v2, v9, -v10
	v_add_f32_e32 v3, 0, v8
	v_add_f32_e32 v2, 0, v2
	s_waitcnt lgkmcnt(0)
	v_mul_f32_e32 v8, v3, v5
	v_mul_f32_e32 v5, v2, v5
	v_fma_f32 v2, v2, v4, -v8
	v_fmac_f32_e32 v5, v3, v4
	buffer_store_dword v2, off, s[0:3], 0 offset:8
	buffer_store_dword v5, off, s[0:3], 0 offset:12
.LBB111_19:
	s_or_b64 exec, exec, s[6:7]
	s_waitcnt lgkmcnt(0)
	; wave barrier
	buffer_load_dword v2, off, s[0:3], 0 offset:16
	buffer_load_dword v3, off, s[0:3], 0 offset:20
	v_cmp_gt_u32_e32 vcc, 2, v0
	s_waitcnt vmcnt(0)
	ds_write_b64 v1, v[2:3]
	s_waitcnt lgkmcnt(0)
	; wave barrier
	s_waitcnt lgkmcnt(0)
	s_and_saveexec_b64 s[6:7], vcc
	s_cbranch_execz .LBB111_23
; %bb.20:
	buffer_load_dword v4, v7, s[0:3], 0 offen offset:4
	buffer_load_dword v5, v7, s[0:3], 0 offen
	ds_read_b64 v[2:3], v1
	s_waitcnt vmcnt(1) lgkmcnt(0)
	v_mul_f32_e32 v7, v3, v4
	v_mul_f32_e32 v4, v2, v4
	s_waitcnt vmcnt(0)
	v_fma_f32 v2, v2, v5, -v7
	v_fmac_f32_e32 v4, v3, v5
	v_add_f32_e32 v3, 0, v2
	v_add_f32_e32 v2, 0, v4
	s_and_saveexec_b64 s[12:13], s[4:5]
	s_cbranch_execz .LBB111_22
; %bb.21:
	buffer_load_dword v7, off, s[0:3], 0 offset:12
	buffer_load_dword v8, off, s[0:3], 0 offset:8
	v_mov_b32_e32 v4, 0
	ds_read_b64 v[4:5], v4 offset:392
	s_waitcnt vmcnt(1) lgkmcnt(0)
	v_mul_f32_e32 v9, v4, v7
	v_mul_f32_e32 v7, v5, v7
	s_waitcnt vmcnt(0)
	v_fmac_f32_e32 v9, v5, v8
	v_fma_f32 v4, v4, v8, -v7
	v_add_f32_e32 v2, v2, v9
	v_add_f32_e32 v3, v3, v4
.LBB111_22:
	s_or_b64 exec, exec, s[12:13]
	v_mov_b32_e32 v4, 0
	ds_read_b64 v[4:5], v4 offset:16
	s_waitcnt lgkmcnt(0)
	v_mul_f32_e32 v7, v2, v5
	v_mul_f32_e32 v5, v3, v5
	v_fma_f32 v3, v3, v4, -v7
	v_fmac_f32_e32 v5, v2, v4
	buffer_store_dword v3, off, s[0:3], 0 offset:16
	buffer_store_dword v5, off, s[0:3], 0 offset:20
.LBB111_23:
	s_or_b64 exec, exec, s[6:7]
	s_waitcnt lgkmcnt(0)
	; wave barrier
	buffer_load_dword v2, off, s[0:3], 0 offset:24
	buffer_load_dword v3, off, s[0:3], 0 offset:28
	v_cmp_gt_u32_e32 vcc, 3, v0
	s_waitcnt vmcnt(0)
	ds_write_b64 v1, v[2:3]
	v_add_u32_e32 v2, -1, v0
	s_waitcnt lgkmcnt(0)
	; wave barrier
	s_waitcnt lgkmcnt(0)
	s_and_saveexec_b64 s[4:5], vcc
	s_cbranch_execz .LBB111_27
; %bb.24:
	v_add_u32_e32 v4, -1, v0
	v_add_u32_e32 v5, 0x180, v6
	v_add_u32_e32 v7, 0, v6
	s_mov_b64 s[6:7], 0
	v_mov_b32_e32 v3, 0
	v_mov_b32_e32 v8, 0
.LBB111_25:                             ; =>This Inner Loop Header: Depth=1
	buffer_load_dword v9, v7, s[0:3], 0 offen offset:4
	buffer_load_dword v12, v7, s[0:3], 0 offen
	ds_read_b64 v[10:11], v5
	v_add_u32_e32 v4, 1, v4
	v_cmp_lt_u32_e32 vcc, 1, v4
	v_add_u32_e32 v5, 8, v5
	v_add_u32_e32 v7, 8, v7
	s_or_b64 s[6:7], vcc, s[6:7]
	s_waitcnt vmcnt(1) lgkmcnt(0)
	v_mul_f32_e32 v13, v11, v9
	v_mul_f32_e32 v9, v10, v9
	s_waitcnt vmcnt(0)
	v_fma_f32 v10, v10, v12, -v13
	v_fmac_f32_e32 v9, v11, v12
	v_add_f32_e32 v8, v8, v10
	v_add_f32_e32 v3, v3, v9
	s_andn2_b64 exec, exec, s[6:7]
	s_cbranch_execnz .LBB111_25
; %bb.26:
	s_or_b64 exec, exec, s[6:7]
	v_mov_b32_e32 v4, 0
	ds_read_b64 v[4:5], v4 offset:24
	s_waitcnt lgkmcnt(0)
	v_mul_f32_e32 v7, v3, v5
	v_mul_f32_e32 v5, v8, v5
	v_fma_f32 v7, v8, v4, -v7
	v_fmac_f32_e32 v5, v3, v4
	buffer_store_dword v7, off, s[0:3], 0 offset:24
	buffer_store_dword v5, off, s[0:3], 0 offset:28
.LBB111_27:
	s_or_b64 exec, exec, s[4:5]
	s_waitcnt lgkmcnt(0)
	; wave barrier
	buffer_load_dword v4, off, s[0:3], 0 offset:32
	buffer_load_dword v5, off, s[0:3], 0 offset:36
	v_cmp_gt_u32_e32 vcc, 4, v0
	s_waitcnt vmcnt(0)
	ds_write_b64 v1, v[4:5]
	s_waitcnt lgkmcnt(0)
	; wave barrier
	s_waitcnt lgkmcnt(0)
	s_and_saveexec_b64 s[4:5], vcc
	s_cbranch_execz .LBB111_31
; %bb.28:
	v_add_u32_e32 v4, -1, v0
	v_add_u32_e32 v5, 0x180, v6
	v_add_u32_e32 v7, 0, v6
	s_mov_b64 s[6:7], 0
	v_mov_b32_e32 v3, 0
	v_mov_b32_e32 v8, 0
.LBB111_29:                             ; =>This Inner Loop Header: Depth=1
	buffer_load_dword v9, v7, s[0:3], 0 offen offset:4
	buffer_load_dword v12, v7, s[0:3], 0 offen
	ds_read_b64 v[10:11], v5
	v_add_u32_e32 v4, 1, v4
	v_cmp_lt_u32_e32 vcc, 2, v4
	v_add_u32_e32 v5, 8, v5
	v_add_u32_e32 v7, 8, v7
	s_or_b64 s[6:7], vcc, s[6:7]
	s_waitcnt vmcnt(1) lgkmcnt(0)
	v_mul_f32_e32 v13, v11, v9
	v_mul_f32_e32 v9, v10, v9
	s_waitcnt vmcnt(0)
	v_fma_f32 v10, v10, v12, -v13
	v_fmac_f32_e32 v9, v11, v12
	v_add_f32_e32 v8, v8, v10
	v_add_f32_e32 v3, v3, v9
	s_andn2_b64 exec, exec, s[6:7]
	s_cbranch_execnz .LBB111_29
; %bb.30:
	s_or_b64 exec, exec, s[6:7]
	v_mov_b32_e32 v4, 0
	ds_read_b64 v[4:5], v4 offset:32
	s_waitcnt lgkmcnt(0)
	v_mul_f32_e32 v7, v3, v5
	v_mul_f32_e32 v5, v8, v5
	v_fma_f32 v7, v8, v4, -v7
	v_fmac_f32_e32 v5, v3, v4
	buffer_store_dword v7, off, s[0:3], 0 offset:32
	buffer_store_dword v5, off, s[0:3], 0 offset:36
.LBB111_31:
	s_or_b64 exec, exec, s[4:5]
	s_waitcnt lgkmcnt(0)
	; wave barrier
	buffer_load_dword v4, off, s[0:3], 0 offset:40
	buffer_load_dword v5, off, s[0:3], 0 offset:44
	v_cmp_gt_u32_e32 vcc, 5, v0
	s_waitcnt vmcnt(0)
	ds_write_b64 v1, v[4:5]
	;; [unrolled: 51-line block ×19, first 2 shown]
	s_waitcnt lgkmcnt(0)
	; wave barrier
	s_waitcnt lgkmcnt(0)
	s_and_saveexec_b64 s[4:5], vcc
	s_cbranch_execz .LBB111_103
; %bb.100:
	v_add_u32_e32 v4, -1, v0
	v_add_u32_e32 v5, 0x180, v6
	v_add_u32_e32 v7, 0, v6
	s_mov_b64 s[6:7], 0
	v_mov_b32_e32 v3, 0
	v_mov_b32_e32 v8, 0
.LBB111_101:                            ; =>This Inner Loop Header: Depth=1
	buffer_load_dword v9, v7, s[0:3], 0 offen offset:4
	buffer_load_dword v12, v7, s[0:3], 0 offen
	ds_read_b64 v[10:11], v5
	v_add_u32_e32 v4, 1, v4
	v_cmp_lt_u32_e32 vcc, 20, v4
	v_add_u32_e32 v5, 8, v5
	v_add_u32_e32 v7, 8, v7
	s_or_b64 s[6:7], vcc, s[6:7]
	s_waitcnt vmcnt(1) lgkmcnt(0)
	v_mul_f32_e32 v13, v11, v9
	v_mul_f32_e32 v9, v10, v9
	s_waitcnt vmcnt(0)
	v_fma_f32 v10, v10, v12, -v13
	v_fmac_f32_e32 v9, v11, v12
	v_add_f32_e32 v8, v8, v10
	v_add_f32_e32 v3, v3, v9
	s_andn2_b64 exec, exec, s[6:7]
	s_cbranch_execnz .LBB111_101
; %bb.102:
	s_or_b64 exec, exec, s[6:7]
	v_mov_b32_e32 v4, 0
	ds_read_b64 v[4:5], v4 offset:176
	s_waitcnt lgkmcnt(0)
	v_mul_f32_e32 v7, v3, v5
	v_mul_f32_e32 v5, v8, v5
	v_fma_f32 v7, v8, v4, -v7
	v_fmac_f32_e32 v5, v3, v4
	buffer_store_dword v7, off, s[0:3], 0 offset:176
	buffer_store_dword v5, off, s[0:3], 0 offset:180
.LBB111_103:
	s_or_b64 exec, exec, s[4:5]
	s_waitcnt lgkmcnt(0)
	; wave barrier
	buffer_load_dword v4, off, s[0:3], 0 offset:184
	buffer_load_dword v5, off, s[0:3], 0 offset:188
	v_cmp_gt_u32_e32 vcc, 23, v0
	s_waitcnt vmcnt(0)
	ds_write_b64 v1, v[4:5]
	s_waitcnt lgkmcnt(0)
	; wave barrier
	s_waitcnt lgkmcnt(0)
	s_and_saveexec_b64 s[4:5], vcc
	s_cbranch_execz .LBB111_107
; %bb.104:
	v_add_u32_e32 v4, -1, v0
	v_add_u32_e32 v5, 0x180, v6
	v_add_u32_e32 v7, 0, v6
	s_mov_b64 s[6:7], 0
	v_mov_b32_e32 v3, 0
	v_mov_b32_e32 v8, 0
.LBB111_105:                            ; =>This Inner Loop Header: Depth=1
	buffer_load_dword v9, v7, s[0:3], 0 offen offset:4
	buffer_load_dword v12, v7, s[0:3], 0 offen
	ds_read_b64 v[10:11], v5
	v_add_u32_e32 v4, 1, v4
	v_cmp_lt_u32_e32 vcc, 21, v4
	v_add_u32_e32 v5, 8, v5
	v_add_u32_e32 v7, 8, v7
	s_or_b64 s[6:7], vcc, s[6:7]
	s_waitcnt vmcnt(1) lgkmcnt(0)
	v_mul_f32_e32 v13, v11, v9
	v_mul_f32_e32 v9, v10, v9
	s_waitcnt vmcnt(0)
	v_fma_f32 v10, v10, v12, -v13
	v_fmac_f32_e32 v9, v11, v12
	v_add_f32_e32 v8, v8, v10
	v_add_f32_e32 v3, v3, v9
	s_andn2_b64 exec, exec, s[6:7]
	s_cbranch_execnz .LBB111_105
; %bb.106:
	s_or_b64 exec, exec, s[6:7]
	v_mov_b32_e32 v4, 0
	ds_read_b64 v[4:5], v4 offset:184
	s_waitcnt lgkmcnt(0)
	v_mul_f32_e32 v7, v3, v5
	v_mul_f32_e32 v5, v8, v5
	v_fma_f32 v7, v8, v4, -v7
	v_fmac_f32_e32 v5, v3, v4
	buffer_store_dword v7, off, s[0:3], 0 offset:184
	buffer_store_dword v5, off, s[0:3], 0 offset:188
.LBB111_107:
	s_or_b64 exec, exec, s[4:5]
	s_waitcnt lgkmcnt(0)
	; wave barrier
	buffer_load_dword v4, off, s[0:3], 0 offset:192
	buffer_load_dword v5, off, s[0:3], 0 offset:196
	v_cmp_gt_u32_e32 vcc, 24, v0
	s_waitcnt vmcnt(0)
	ds_write_b64 v1, v[4:5]
	s_waitcnt lgkmcnt(0)
	; wave barrier
	s_waitcnt lgkmcnt(0)
	s_and_saveexec_b64 s[4:5], vcc
	s_cbranch_execz .LBB111_111
; %bb.108:
	v_add_u32_e32 v4, -1, v0
	v_add_u32_e32 v5, 0x180, v6
	v_add_u32_e32 v7, 0, v6
	s_mov_b64 s[6:7], 0
	v_mov_b32_e32 v3, 0
	v_mov_b32_e32 v8, 0
.LBB111_109:                            ; =>This Inner Loop Header: Depth=1
	buffer_load_dword v9, v7, s[0:3], 0 offen offset:4
	buffer_load_dword v12, v7, s[0:3], 0 offen
	ds_read_b64 v[10:11], v5
	v_add_u32_e32 v4, 1, v4
	v_cmp_lt_u32_e32 vcc, 22, v4
	v_add_u32_e32 v5, 8, v5
	v_add_u32_e32 v7, 8, v7
	s_or_b64 s[6:7], vcc, s[6:7]
	s_waitcnt vmcnt(1) lgkmcnt(0)
	v_mul_f32_e32 v13, v11, v9
	v_mul_f32_e32 v9, v10, v9
	s_waitcnt vmcnt(0)
	v_fma_f32 v10, v10, v12, -v13
	v_fmac_f32_e32 v9, v11, v12
	v_add_f32_e32 v8, v8, v10
	v_add_f32_e32 v3, v3, v9
	s_andn2_b64 exec, exec, s[6:7]
	s_cbranch_execnz .LBB111_109
; %bb.110:
	s_or_b64 exec, exec, s[6:7]
	v_mov_b32_e32 v4, 0
	ds_read_b64 v[4:5], v4 offset:192
	s_waitcnt lgkmcnt(0)
	v_mul_f32_e32 v7, v3, v5
	v_mul_f32_e32 v5, v8, v5
	v_fma_f32 v7, v8, v4, -v7
	v_fmac_f32_e32 v5, v3, v4
	buffer_store_dword v7, off, s[0:3], 0 offset:192
	buffer_store_dword v5, off, s[0:3], 0 offset:196
.LBB111_111:
	s_or_b64 exec, exec, s[4:5]
	s_waitcnt lgkmcnt(0)
	; wave barrier
	buffer_load_dword v4, off, s[0:3], 0 offset:200
	buffer_load_dword v5, off, s[0:3], 0 offset:204
	v_cmp_gt_u32_e32 vcc, 25, v0
	s_waitcnt vmcnt(0)
	ds_write_b64 v1, v[4:5]
	s_waitcnt lgkmcnt(0)
	; wave barrier
	s_waitcnt lgkmcnt(0)
	s_and_saveexec_b64 s[4:5], vcc
	s_cbranch_execz .LBB111_115
; %bb.112:
	v_add_u32_e32 v4, -1, v0
	v_add_u32_e32 v5, 0x180, v6
	v_add_u32_e32 v7, 0, v6
	s_mov_b64 s[6:7], 0
	v_mov_b32_e32 v3, 0
	v_mov_b32_e32 v8, 0
.LBB111_113:                            ; =>This Inner Loop Header: Depth=1
	buffer_load_dword v9, v7, s[0:3], 0 offen offset:4
	buffer_load_dword v12, v7, s[0:3], 0 offen
	ds_read_b64 v[10:11], v5
	v_add_u32_e32 v4, 1, v4
	v_cmp_lt_u32_e32 vcc, 23, v4
	v_add_u32_e32 v5, 8, v5
	v_add_u32_e32 v7, 8, v7
	s_or_b64 s[6:7], vcc, s[6:7]
	s_waitcnt vmcnt(1) lgkmcnt(0)
	v_mul_f32_e32 v13, v11, v9
	v_mul_f32_e32 v9, v10, v9
	s_waitcnt vmcnt(0)
	v_fma_f32 v10, v10, v12, -v13
	v_fmac_f32_e32 v9, v11, v12
	v_add_f32_e32 v8, v8, v10
	v_add_f32_e32 v3, v3, v9
	s_andn2_b64 exec, exec, s[6:7]
	s_cbranch_execnz .LBB111_113
; %bb.114:
	s_or_b64 exec, exec, s[6:7]
	v_mov_b32_e32 v4, 0
	ds_read_b64 v[4:5], v4 offset:200
	s_waitcnt lgkmcnt(0)
	v_mul_f32_e32 v7, v3, v5
	v_mul_f32_e32 v5, v8, v5
	v_fma_f32 v7, v8, v4, -v7
	v_fmac_f32_e32 v5, v3, v4
	buffer_store_dword v7, off, s[0:3], 0 offset:200
	buffer_store_dword v5, off, s[0:3], 0 offset:204
.LBB111_115:
	s_or_b64 exec, exec, s[4:5]
	s_waitcnt lgkmcnt(0)
	; wave barrier
	buffer_load_dword v4, off, s[0:3], 0 offset:208
	buffer_load_dword v5, off, s[0:3], 0 offset:212
	v_cmp_gt_u32_e32 vcc, 26, v0
	s_waitcnt vmcnt(0)
	ds_write_b64 v1, v[4:5]
	s_waitcnt lgkmcnt(0)
	; wave barrier
	s_waitcnt lgkmcnt(0)
	s_and_saveexec_b64 s[4:5], vcc
	s_cbranch_execz .LBB111_119
; %bb.116:
	v_add_u32_e32 v4, -1, v0
	v_add_u32_e32 v5, 0x180, v6
	v_add_u32_e32 v7, 0, v6
	s_mov_b64 s[6:7], 0
	v_mov_b32_e32 v3, 0
	v_mov_b32_e32 v8, 0
.LBB111_117:                            ; =>This Inner Loop Header: Depth=1
	buffer_load_dword v9, v7, s[0:3], 0 offen offset:4
	buffer_load_dword v12, v7, s[0:3], 0 offen
	ds_read_b64 v[10:11], v5
	v_add_u32_e32 v4, 1, v4
	v_cmp_lt_u32_e32 vcc, 24, v4
	v_add_u32_e32 v5, 8, v5
	v_add_u32_e32 v7, 8, v7
	s_or_b64 s[6:7], vcc, s[6:7]
	s_waitcnt vmcnt(1) lgkmcnt(0)
	v_mul_f32_e32 v13, v11, v9
	v_mul_f32_e32 v9, v10, v9
	s_waitcnt vmcnt(0)
	v_fma_f32 v10, v10, v12, -v13
	v_fmac_f32_e32 v9, v11, v12
	v_add_f32_e32 v8, v8, v10
	v_add_f32_e32 v3, v3, v9
	s_andn2_b64 exec, exec, s[6:7]
	s_cbranch_execnz .LBB111_117
; %bb.118:
	s_or_b64 exec, exec, s[6:7]
	v_mov_b32_e32 v4, 0
	ds_read_b64 v[4:5], v4 offset:208
	s_waitcnt lgkmcnt(0)
	v_mul_f32_e32 v7, v3, v5
	v_mul_f32_e32 v5, v8, v5
	v_fma_f32 v7, v8, v4, -v7
	v_fmac_f32_e32 v5, v3, v4
	buffer_store_dword v7, off, s[0:3], 0 offset:208
	buffer_store_dword v5, off, s[0:3], 0 offset:212
.LBB111_119:
	s_or_b64 exec, exec, s[4:5]
	s_waitcnt lgkmcnt(0)
	; wave barrier
	buffer_load_dword v4, off, s[0:3], 0 offset:216
	buffer_load_dword v5, off, s[0:3], 0 offset:220
	v_cmp_gt_u32_e32 vcc, 27, v0
	s_waitcnt vmcnt(0)
	ds_write_b64 v1, v[4:5]
	s_waitcnt lgkmcnt(0)
	; wave barrier
	s_waitcnt lgkmcnt(0)
	s_and_saveexec_b64 s[4:5], vcc
	s_cbranch_execz .LBB111_123
; %bb.120:
	v_add_u32_e32 v4, -1, v0
	v_add_u32_e32 v5, 0x180, v6
	v_add_u32_e32 v7, 0, v6
	s_mov_b64 s[6:7], 0
	v_mov_b32_e32 v3, 0
	v_mov_b32_e32 v8, 0
.LBB111_121:                            ; =>This Inner Loop Header: Depth=1
	buffer_load_dword v9, v7, s[0:3], 0 offen offset:4
	buffer_load_dword v12, v7, s[0:3], 0 offen
	ds_read_b64 v[10:11], v5
	v_add_u32_e32 v4, 1, v4
	v_cmp_lt_u32_e32 vcc, 25, v4
	v_add_u32_e32 v5, 8, v5
	v_add_u32_e32 v7, 8, v7
	s_or_b64 s[6:7], vcc, s[6:7]
	s_waitcnt vmcnt(1) lgkmcnt(0)
	v_mul_f32_e32 v13, v11, v9
	v_mul_f32_e32 v9, v10, v9
	s_waitcnt vmcnt(0)
	v_fma_f32 v10, v10, v12, -v13
	v_fmac_f32_e32 v9, v11, v12
	v_add_f32_e32 v8, v8, v10
	v_add_f32_e32 v3, v3, v9
	s_andn2_b64 exec, exec, s[6:7]
	s_cbranch_execnz .LBB111_121
; %bb.122:
	s_or_b64 exec, exec, s[6:7]
	v_mov_b32_e32 v4, 0
	ds_read_b64 v[4:5], v4 offset:216
	s_waitcnt lgkmcnt(0)
	v_mul_f32_e32 v7, v3, v5
	v_mul_f32_e32 v5, v8, v5
	v_fma_f32 v7, v8, v4, -v7
	v_fmac_f32_e32 v5, v3, v4
	buffer_store_dword v7, off, s[0:3], 0 offset:216
	buffer_store_dword v5, off, s[0:3], 0 offset:220
.LBB111_123:
	s_or_b64 exec, exec, s[4:5]
	s_waitcnt lgkmcnt(0)
	; wave barrier
	buffer_load_dword v4, off, s[0:3], 0 offset:224
	buffer_load_dword v5, off, s[0:3], 0 offset:228
	v_cmp_gt_u32_e32 vcc, 28, v0
	s_waitcnt vmcnt(0)
	ds_write_b64 v1, v[4:5]
	s_waitcnt lgkmcnt(0)
	; wave barrier
	s_waitcnt lgkmcnt(0)
	s_and_saveexec_b64 s[4:5], vcc
	s_cbranch_execz .LBB111_127
; %bb.124:
	v_add_u32_e32 v4, -1, v0
	v_add_u32_e32 v5, 0x180, v6
	v_add_u32_e32 v7, 0, v6
	s_mov_b64 s[6:7], 0
	v_mov_b32_e32 v3, 0
	v_mov_b32_e32 v8, 0
.LBB111_125:                            ; =>This Inner Loop Header: Depth=1
	buffer_load_dword v9, v7, s[0:3], 0 offen offset:4
	buffer_load_dword v12, v7, s[0:3], 0 offen
	ds_read_b64 v[10:11], v5
	v_add_u32_e32 v4, 1, v4
	v_cmp_lt_u32_e32 vcc, 26, v4
	v_add_u32_e32 v5, 8, v5
	v_add_u32_e32 v7, 8, v7
	s_or_b64 s[6:7], vcc, s[6:7]
	s_waitcnt vmcnt(1) lgkmcnt(0)
	v_mul_f32_e32 v13, v11, v9
	v_mul_f32_e32 v9, v10, v9
	s_waitcnt vmcnt(0)
	v_fma_f32 v10, v10, v12, -v13
	v_fmac_f32_e32 v9, v11, v12
	v_add_f32_e32 v8, v8, v10
	v_add_f32_e32 v3, v3, v9
	s_andn2_b64 exec, exec, s[6:7]
	s_cbranch_execnz .LBB111_125
; %bb.126:
	s_or_b64 exec, exec, s[6:7]
	v_mov_b32_e32 v4, 0
	ds_read_b64 v[4:5], v4 offset:224
	s_waitcnt lgkmcnt(0)
	v_mul_f32_e32 v7, v3, v5
	v_mul_f32_e32 v5, v8, v5
	v_fma_f32 v7, v8, v4, -v7
	v_fmac_f32_e32 v5, v3, v4
	buffer_store_dword v7, off, s[0:3], 0 offset:224
	buffer_store_dword v5, off, s[0:3], 0 offset:228
.LBB111_127:
	s_or_b64 exec, exec, s[4:5]
	s_waitcnt lgkmcnt(0)
	; wave barrier
	buffer_load_dword v4, off, s[0:3], 0 offset:232
	buffer_load_dword v5, off, s[0:3], 0 offset:236
	v_cmp_gt_u32_e32 vcc, 29, v0
	s_waitcnt vmcnt(0)
	ds_write_b64 v1, v[4:5]
	s_waitcnt lgkmcnt(0)
	; wave barrier
	s_waitcnt lgkmcnt(0)
	s_and_saveexec_b64 s[4:5], vcc
	s_cbranch_execz .LBB111_131
; %bb.128:
	v_add_u32_e32 v4, -1, v0
	v_add_u32_e32 v5, 0x180, v6
	v_add_u32_e32 v7, 0, v6
	s_mov_b64 s[6:7], 0
	v_mov_b32_e32 v3, 0
	v_mov_b32_e32 v8, 0
.LBB111_129:                            ; =>This Inner Loop Header: Depth=1
	buffer_load_dword v9, v7, s[0:3], 0 offen offset:4
	buffer_load_dword v12, v7, s[0:3], 0 offen
	ds_read_b64 v[10:11], v5
	v_add_u32_e32 v4, 1, v4
	v_cmp_lt_u32_e32 vcc, 27, v4
	v_add_u32_e32 v5, 8, v5
	v_add_u32_e32 v7, 8, v7
	s_or_b64 s[6:7], vcc, s[6:7]
	s_waitcnt vmcnt(1) lgkmcnt(0)
	v_mul_f32_e32 v13, v11, v9
	v_mul_f32_e32 v9, v10, v9
	s_waitcnt vmcnt(0)
	v_fma_f32 v10, v10, v12, -v13
	v_fmac_f32_e32 v9, v11, v12
	v_add_f32_e32 v8, v8, v10
	v_add_f32_e32 v3, v3, v9
	s_andn2_b64 exec, exec, s[6:7]
	s_cbranch_execnz .LBB111_129
; %bb.130:
	s_or_b64 exec, exec, s[6:7]
	v_mov_b32_e32 v4, 0
	ds_read_b64 v[4:5], v4 offset:232
	s_waitcnt lgkmcnt(0)
	v_mul_f32_e32 v7, v3, v5
	v_mul_f32_e32 v5, v8, v5
	v_fma_f32 v7, v8, v4, -v7
	v_fmac_f32_e32 v5, v3, v4
	buffer_store_dword v7, off, s[0:3], 0 offset:232
	buffer_store_dword v5, off, s[0:3], 0 offset:236
.LBB111_131:
	s_or_b64 exec, exec, s[4:5]
	s_waitcnt lgkmcnt(0)
	; wave barrier
	buffer_load_dword v4, off, s[0:3], 0 offset:240
	buffer_load_dword v5, off, s[0:3], 0 offset:244
	v_cmp_gt_u32_e32 vcc, 30, v0
	s_waitcnt vmcnt(0)
	ds_write_b64 v1, v[4:5]
	s_waitcnt lgkmcnt(0)
	; wave barrier
	s_waitcnt lgkmcnt(0)
	s_and_saveexec_b64 s[4:5], vcc
	s_cbranch_execz .LBB111_135
; %bb.132:
	v_add_u32_e32 v4, -1, v0
	v_add_u32_e32 v5, 0x180, v6
	v_add_u32_e32 v7, 0, v6
	s_mov_b64 s[6:7], 0
	v_mov_b32_e32 v3, 0
	v_mov_b32_e32 v8, 0
.LBB111_133:                            ; =>This Inner Loop Header: Depth=1
	buffer_load_dword v9, v7, s[0:3], 0 offen offset:4
	buffer_load_dword v12, v7, s[0:3], 0 offen
	ds_read_b64 v[10:11], v5
	v_add_u32_e32 v4, 1, v4
	v_cmp_lt_u32_e32 vcc, 28, v4
	v_add_u32_e32 v5, 8, v5
	v_add_u32_e32 v7, 8, v7
	s_or_b64 s[6:7], vcc, s[6:7]
	s_waitcnt vmcnt(1) lgkmcnt(0)
	v_mul_f32_e32 v13, v11, v9
	v_mul_f32_e32 v9, v10, v9
	s_waitcnt vmcnt(0)
	v_fma_f32 v10, v10, v12, -v13
	v_fmac_f32_e32 v9, v11, v12
	v_add_f32_e32 v8, v8, v10
	v_add_f32_e32 v3, v3, v9
	s_andn2_b64 exec, exec, s[6:7]
	s_cbranch_execnz .LBB111_133
; %bb.134:
	s_or_b64 exec, exec, s[6:7]
	v_mov_b32_e32 v4, 0
	ds_read_b64 v[4:5], v4 offset:240
	s_waitcnt lgkmcnt(0)
	v_mul_f32_e32 v7, v3, v5
	v_mul_f32_e32 v5, v8, v5
	v_fma_f32 v7, v8, v4, -v7
	v_fmac_f32_e32 v5, v3, v4
	buffer_store_dword v7, off, s[0:3], 0 offset:240
	buffer_store_dword v5, off, s[0:3], 0 offset:244
.LBB111_135:
	s_or_b64 exec, exec, s[4:5]
	s_waitcnt lgkmcnt(0)
	; wave barrier
	buffer_load_dword v4, off, s[0:3], 0 offset:248
	buffer_load_dword v5, off, s[0:3], 0 offset:252
	v_cmp_gt_u32_e32 vcc, 31, v0
	s_waitcnt vmcnt(0)
	ds_write_b64 v1, v[4:5]
	s_waitcnt lgkmcnt(0)
	; wave barrier
	s_waitcnt lgkmcnt(0)
	s_and_saveexec_b64 s[4:5], vcc
	s_cbranch_execz .LBB111_139
; %bb.136:
	v_add_u32_e32 v4, -1, v0
	v_add_u32_e32 v5, 0x180, v6
	v_add_u32_e32 v7, 0, v6
	s_mov_b64 s[6:7], 0
	v_mov_b32_e32 v3, 0
	v_mov_b32_e32 v8, 0
.LBB111_137:                            ; =>This Inner Loop Header: Depth=1
	buffer_load_dword v9, v7, s[0:3], 0 offen offset:4
	buffer_load_dword v12, v7, s[0:3], 0 offen
	ds_read_b64 v[10:11], v5
	v_add_u32_e32 v4, 1, v4
	v_cmp_lt_u32_e32 vcc, 29, v4
	v_add_u32_e32 v5, 8, v5
	v_add_u32_e32 v7, 8, v7
	s_or_b64 s[6:7], vcc, s[6:7]
	s_waitcnt vmcnt(1) lgkmcnt(0)
	v_mul_f32_e32 v13, v11, v9
	v_mul_f32_e32 v9, v10, v9
	s_waitcnt vmcnt(0)
	v_fma_f32 v10, v10, v12, -v13
	v_fmac_f32_e32 v9, v11, v12
	v_add_f32_e32 v8, v8, v10
	v_add_f32_e32 v3, v3, v9
	s_andn2_b64 exec, exec, s[6:7]
	s_cbranch_execnz .LBB111_137
; %bb.138:
	s_or_b64 exec, exec, s[6:7]
	v_mov_b32_e32 v4, 0
	ds_read_b64 v[4:5], v4 offset:248
	s_waitcnt lgkmcnt(0)
	v_mul_f32_e32 v7, v3, v5
	v_mul_f32_e32 v5, v8, v5
	v_fma_f32 v7, v8, v4, -v7
	v_fmac_f32_e32 v5, v3, v4
	buffer_store_dword v7, off, s[0:3], 0 offset:248
	buffer_store_dword v5, off, s[0:3], 0 offset:252
.LBB111_139:
	s_or_b64 exec, exec, s[4:5]
	s_waitcnt lgkmcnt(0)
	; wave barrier
	buffer_load_dword v4, off, s[0:3], 0 offset:256
	buffer_load_dword v5, off, s[0:3], 0 offset:260
	v_cmp_gt_u32_e32 vcc, 32, v0
	s_waitcnt vmcnt(0)
	ds_write_b64 v1, v[4:5]
	s_waitcnt lgkmcnt(0)
	; wave barrier
	s_waitcnt lgkmcnt(0)
	s_and_saveexec_b64 s[4:5], vcc
	s_cbranch_execz .LBB111_143
; %bb.140:
	v_add_u32_e32 v4, -1, v0
	v_add_u32_e32 v5, 0x180, v6
	v_add_u32_e32 v7, 0, v6
	s_mov_b64 s[6:7], 0
	v_mov_b32_e32 v3, 0
	v_mov_b32_e32 v8, 0
.LBB111_141:                            ; =>This Inner Loop Header: Depth=1
	buffer_load_dword v9, v7, s[0:3], 0 offen offset:4
	buffer_load_dword v12, v7, s[0:3], 0 offen
	ds_read_b64 v[10:11], v5
	v_add_u32_e32 v4, 1, v4
	v_cmp_lt_u32_e32 vcc, 30, v4
	v_add_u32_e32 v5, 8, v5
	v_add_u32_e32 v7, 8, v7
	s_or_b64 s[6:7], vcc, s[6:7]
	s_waitcnt vmcnt(1) lgkmcnt(0)
	v_mul_f32_e32 v13, v11, v9
	v_mul_f32_e32 v9, v10, v9
	s_waitcnt vmcnt(0)
	v_fma_f32 v10, v10, v12, -v13
	v_fmac_f32_e32 v9, v11, v12
	v_add_f32_e32 v8, v8, v10
	v_add_f32_e32 v3, v3, v9
	s_andn2_b64 exec, exec, s[6:7]
	s_cbranch_execnz .LBB111_141
; %bb.142:
	s_or_b64 exec, exec, s[6:7]
	v_mov_b32_e32 v4, 0
	ds_read_b64 v[4:5], v4 offset:256
	s_waitcnt lgkmcnt(0)
	v_mul_f32_e32 v7, v3, v5
	v_mul_f32_e32 v5, v8, v5
	v_fma_f32 v7, v8, v4, -v7
	v_fmac_f32_e32 v5, v3, v4
	buffer_store_dword v7, off, s[0:3], 0 offset:256
	buffer_store_dword v5, off, s[0:3], 0 offset:260
.LBB111_143:
	s_or_b64 exec, exec, s[4:5]
	s_waitcnt lgkmcnt(0)
	; wave barrier
	buffer_load_dword v4, off, s[0:3], 0 offset:264
	buffer_load_dword v5, off, s[0:3], 0 offset:268
	v_cmp_gt_u32_e32 vcc, 33, v0
	s_waitcnt vmcnt(0)
	ds_write_b64 v1, v[4:5]
	s_waitcnt lgkmcnt(0)
	; wave barrier
	s_waitcnt lgkmcnt(0)
	s_and_saveexec_b64 s[4:5], vcc
	s_cbranch_execz .LBB111_147
; %bb.144:
	v_add_u32_e32 v4, -1, v0
	v_add_u32_e32 v5, 0x180, v6
	v_add_u32_e32 v7, 0, v6
	s_mov_b64 s[6:7], 0
	v_mov_b32_e32 v3, 0
	v_mov_b32_e32 v8, 0
.LBB111_145:                            ; =>This Inner Loop Header: Depth=1
	buffer_load_dword v9, v7, s[0:3], 0 offen offset:4
	buffer_load_dword v12, v7, s[0:3], 0 offen
	ds_read_b64 v[10:11], v5
	v_add_u32_e32 v4, 1, v4
	v_cmp_lt_u32_e32 vcc, 31, v4
	v_add_u32_e32 v5, 8, v5
	v_add_u32_e32 v7, 8, v7
	s_or_b64 s[6:7], vcc, s[6:7]
	s_waitcnt vmcnt(1) lgkmcnt(0)
	v_mul_f32_e32 v13, v11, v9
	v_mul_f32_e32 v9, v10, v9
	s_waitcnt vmcnt(0)
	v_fma_f32 v10, v10, v12, -v13
	v_fmac_f32_e32 v9, v11, v12
	v_add_f32_e32 v8, v8, v10
	v_add_f32_e32 v3, v3, v9
	s_andn2_b64 exec, exec, s[6:7]
	s_cbranch_execnz .LBB111_145
; %bb.146:
	s_or_b64 exec, exec, s[6:7]
	v_mov_b32_e32 v4, 0
	ds_read_b64 v[4:5], v4 offset:264
	s_waitcnt lgkmcnt(0)
	v_mul_f32_e32 v7, v3, v5
	v_mul_f32_e32 v5, v8, v5
	v_fma_f32 v7, v8, v4, -v7
	v_fmac_f32_e32 v5, v3, v4
	buffer_store_dword v7, off, s[0:3], 0 offset:264
	buffer_store_dword v5, off, s[0:3], 0 offset:268
.LBB111_147:
	s_or_b64 exec, exec, s[4:5]
	s_waitcnt lgkmcnt(0)
	; wave barrier
	buffer_load_dword v4, off, s[0:3], 0 offset:272
	buffer_load_dword v5, off, s[0:3], 0 offset:276
	v_cmp_gt_u32_e32 vcc, 34, v0
	s_waitcnt vmcnt(0)
	ds_write_b64 v1, v[4:5]
	s_waitcnt lgkmcnt(0)
	; wave barrier
	s_waitcnt lgkmcnt(0)
	s_and_saveexec_b64 s[4:5], vcc
	s_cbranch_execz .LBB111_151
; %bb.148:
	v_add_u32_e32 v4, -1, v0
	v_add_u32_e32 v5, 0x180, v6
	v_add_u32_e32 v7, 0, v6
	s_mov_b64 s[6:7], 0
	v_mov_b32_e32 v3, 0
	v_mov_b32_e32 v8, 0
.LBB111_149:                            ; =>This Inner Loop Header: Depth=1
	buffer_load_dword v9, v7, s[0:3], 0 offen offset:4
	buffer_load_dword v12, v7, s[0:3], 0 offen
	ds_read_b64 v[10:11], v5
	v_add_u32_e32 v4, 1, v4
	v_cmp_lt_u32_e32 vcc, 32, v4
	v_add_u32_e32 v5, 8, v5
	v_add_u32_e32 v7, 8, v7
	s_or_b64 s[6:7], vcc, s[6:7]
	s_waitcnt vmcnt(1) lgkmcnt(0)
	v_mul_f32_e32 v13, v11, v9
	v_mul_f32_e32 v9, v10, v9
	s_waitcnt vmcnt(0)
	v_fma_f32 v10, v10, v12, -v13
	v_fmac_f32_e32 v9, v11, v12
	v_add_f32_e32 v8, v8, v10
	v_add_f32_e32 v3, v3, v9
	s_andn2_b64 exec, exec, s[6:7]
	s_cbranch_execnz .LBB111_149
; %bb.150:
	s_or_b64 exec, exec, s[6:7]
	v_mov_b32_e32 v4, 0
	ds_read_b64 v[4:5], v4 offset:272
	s_waitcnt lgkmcnt(0)
	v_mul_f32_e32 v7, v3, v5
	v_mul_f32_e32 v5, v8, v5
	v_fma_f32 v7, v8, v4, -v7
	v_fmac_f32_e32 v5, v3, v4
	buffer_store_dword v7, off, s[0:3], 0 offset:272
	buffer_store_dword v5, off, s[0:3], 0 offset:276
.LBB111_151:
	s_or_b64 exec, exec, s[4:5]
	s_waitcnt lgkmcnt(0)
	; wave barrier
	buffer_load_dword v4, off, s[0:3], 0 offset:280
	buffer_load_dword v5, off, s[0:3], 0 offset:284
	v_cmp_gt_u32_e32 vcc, 35, v0
	s_waitcnt vmcnt(0)
	ds_write_b64 v1, v[4:5]
	s_waitcnt lgkmcnt(0)
	; wave barrier
	s_waitcnt lgkmcnt(0)
	s_and_saveexec_b64 s[4:5], vcc
	s_cbranch_execz .LBB111_155
; %bb.152:
	v_add_u32_e32 v4, -1, v0
	v_add_u32_e32 v5, 0x180, v6
	v_add_u32_e32 v7, 0, v6
	s_mov_b64 s[6:7], 0
	v_mov_b32_e32 v3, 0
	v_mov_b32_e32 v8, 0
.LBB111_153:                            ; =>This Inner Loop Header: Depth=1
	buffer_load_dword v9, v7, s[0:3], 0 offen offset:4
	buffer_load_dword v12, v7, s[0:3], 0 offen
	ds_read_b64 v[10:11], v5
	v_add_u32_e32 v4, 1, v4
	v_cmp_lt_u32_e32 vcc, 33, v4
	v_add_u32_e32 v5, 8, v5
	v_add_u32_e32 v7, 8, v7
	s_or_b64 s[6:7], vcc, s[6:7]
	s_waitcnt vmcnt(1) lgkmcnt(0)
	v_mul_f32_e32 v13, v11, v9
	v_mul_f32_e32 v9, v10, v9
	s_waitcnt vmcnt(0)
	v_fma_f32 v10, v10, v12, -v13
	v_fmac_f32_e32 v9, v11, v12
	v_add_f32_e32 v8, v8, v10
	v_add_f32_e32 v3, v3, v9
	s_andn2_b64 exec, exec, s[6:7]
	s_cbranch_execnz .LBB111_153
; %bb.154:
	s_or_b64 exec, exec, s[6:7]
	v_mov_b32_e32 v4, 0
	ds_read_b64 v[4:5], v4 offset:280
	s_waitcnt lgkmcnt(0)
	v_mul_f32_e32 v7, v3, v5
	v_mul_f32_e32 v5, v8, v5
	v_fma_f32 v7, v8, v4, -v7
	v_fmac_f32_e32 v5, v3, v4
	buffer_store_dword v7, off, s[0:3], 0 offset:280
	buffer_store_dword v5, off, s[0:3], 0 offset:284
.LBB111_155:
	s_or_b64 exec, exec, s[4:5]
	s_waitcnt lgkmcnt(0)
	; wave barrier
	buffer_load_dword v4, off, s[0:3], 0 offset:288
	buffer_load_dword v5, off, s[0:3], 0 offset:292
	v_cmp_gt_u32_e32 vcc, 36, v0
	s_waitcnt vmcnt(0)
	ds_write_b64 v1, v[4:5]
	s_waitcnt lgkmcnt(0)
	; wave barrier
	s_waitcnt lgkmcnt(0)
	s_and_saveexec_b64 s[4:5], vcc
	s_cbranch_execz .LBB111_159
; %bb.156:
	v_add_u32_e32 v4, -1, v0
	v_add_u32_e32 v5, 0x180, v6
	v_add_u32_e32 v7, 0, v6
	s_mov_b64 s[6:7], 0
	v_mov_b32_e32 v3, 0
	v_mov_b32_e32 v8, 0
.LBB111_157:                            ; =>This Inner Loop Header: Depth=1
	buffer_load_dword v9, v7, s[0:3], 0 offen offset:4
	buffer_load_dword v12, v7, s[0:3], 0 offen
	ds_read_b64 v[10:11], v5
	v_add_u32_e32 v4, 1, v4
	v_cmp_lt_u32_e32 vcc, 34, v4
	v_add_u32_e32 v5, 8, v5
	v_add_u32_e32 v7, 8, v7
	s_or_b64 s[6:7], vcc, s[6:7]
	s_waitcnt vmcnt(1) lgkmcnt(0)
	v_mul_f32_e32 v13, v11, v9
	v_mul_f32_e32 v9, v10, v9
	s_waitcnt vmcnt(0)
	v_fma_f32 v10, v10, v12, -v13
	v_fmac_f32_e32 v9, v11, v12
	v_add_f32_e32 v8, v8, v10
	v_add_f32_e32 v3, v3, v9
	s_andn2_b64 exec, exec, s[6:7]
	s_cbranch_execnz .LBB111_157
; %bb.158:
	s_or_b64 exec, exec, s[6:7]
	v_mov_b32_e32 v4, 0
	ds_read_b64 v[4:5], v4 offset:288
	s_waitcnt lgkmcnt(0)
	v_mul_f32_e32 v7, v3, v5
	v_mul_f32_e32 v5, v8, v5
	v_fma_f32 v7, v8, v4, -v7
	v_fmac_f32_e32 v5, v3, v4
	buffer_store_dword v7, off, s[0:3], 0 offset:288
	buffer_store_dword v5, off, s[0:3], 0 offset:292
.LBB111_159:
	s_or_b64 exec, exec, s[4:5]
	s_waitcnt lgkmcnt(0)
	; wave barrier
	buffer_load_dword v4, off, s[0:3], 0 offset:296
	buffer_load_dword v5, off, s[0:3], 0 offset:300
	v_cmp_gt_u32_e32 vcc, 37, v0
	s_waitcnt vmcnt(0)
	ds_write_b64 v1, v[4:5]
	s_waitcnt lgkmcnt(0)
	; wave barrier
	s_waitcnt lgkmcnt(0)
	s_and_saveexec_b64 s[4:5], vcc
	s_cbranch_execz .LBB111_163
; %bb.160:
	v_add_u32_e32 v4, -1, v0
	v_add_u32_e32 v5, 0x180, v6
	v_add_u32_e32 v7, 0, v6
	s_mov_b64 s[6:7], 0
	v_mov_b32_e32 v3, 0
	v_mov_b32_e32 v8, 0
.LBB111_161:                            ; =>This Inner Loop Header: Depth=1
	buffer_load_dword v9, v7, s[0:3], 0 offen offset:4
	buffer_load_dword v12, v7, s[0:3], 0 offen
	ds_read_b64 v[10:11], v5
	v_add_u32_e32 v4, 1, v4
	v_cmp_lt_u32_e32 vcc, 35, v4
	v_add_u32_e32 v5, 8, v5
	v_add_u32_e32 v7, 8, v7
	s_or_b64 s[6:7], vcc, s[6:7]
	s_waitcnt vmcnt(1) lgkmcnt(0)
	v_mul_f32_e32 v13, v11, v9
	v_mul_f32_e32 v9, v10, v9
	s_waitcnt vmcnt(0)
	v_fma_f32 v10, v10, v12, -v13
	v_fmac_f32_e32 v9, v11, v12
	v_add_f32_e32 v8, v8, v10
	v_add_f32_e32 v3, v3, v9
	s_andn2_b64 exec, exec, s[6:7]
	s_cbranch_execnz .LBB111_161
; %bb.162:
	s_or_b64 exec, exec, s[6:7]
	v_mov_b32_e32 v4, 0
	ds_read_b64 v[4:5], v4 offset:296
	s_waitcnt lgkmcnt(0)
	v_mul_f32_e32 v7, v3, v5
	v_mul_f32_e32 v5, v8, v5
	v_fma_f32 v7, v8, v4, -v7
	v_fmac_f32_e32 v5, v3, v4
	buffer_store_dword v7, off, s[0:3], 0 offset:296
	buffer_store_dword v5, off, s[0:3], 0 offset:300
.LBB111_163:
	s_or_b64 exec, exec, s[4:5]
	s_waitcnt lgkmcnt(0)
	; wave barrier
	buffer_load_dword v4, off, s[0:3], 0 offset:304
	buffer_load_dword v5, off, s[0:3], 0 offset:308
	v_cmp_gt_u32_e32 vcc, 38, v0
	s_waitcnt vmcnt(0)
	ds_write_b64 v1, v[4:5]
	s_waitcnt lgkmcnt(0)
	; wave barrier
	s_waitcnt lgkmcnt(0)
	s_and_saveexec_b64 s[4:5], vcc
	s_cbranch_execz .LBB111_167
; %bb.164:
	v_add_u32_e32 v4, -1, v0
	v_add_u32_e32 v5, 0x180, v6
	v_add_u32_e32 v7, 0, v6
	s_mov_b64 s[6:7], 0
	v_mov_b32_e32 v3, 0
	v_mov_b32_e32 v8, 0
.LBB111_165:                            ; =>This Inner Loop Header: Depth=1
	buffer_load_dword v9, v7, s[0:3], 0 offen offset:4
	buffer_load_dword v12, v7, s[0:3], 0 offen
	ds_read_b64 v[10:11], v5
	v_add_u32_e32 v4, 1, v4
	v_cmp_lt_u32_e32 vcc, 36, v4
	v_add_u32_e32 v5, 8, v5
	v_add_u32_e32 v7, 8, v7
	s_or_b64 s[6:7], vcc, s[6:7]
	s_waitcnt vmcnt(1) lgkmcnt(0)
	v_mul_f32_e32 v13, v11, v9
	v_mul_f32_e32 v9, v10, v9
	s_waitcnt vmcnt(0)
	v_fma_f32 v10, v10, v12, -v13
	v_fmac_f32_e32 v9, v11, v12
	v_add_f32_e32 v8, v8, v10
	v_add_f32_e32 v3, v3, v9
	s_andn2_b64 exec, exec, s[6:7]
	s_cbranch_execnz .LBB111_165
; %bb.166:
	s_or_b64 exec, exec, s[6:7]
	v_mov_b32_e32 v4, 0
	ds_read_b64 v[4:5], v4 offset:304
	s_waitcnt lgkmcnt(0)
	v_mul_f32_e32 v7, v3, v5
	v_mul_f32_e32 v5, v8, v5
	v_fma_f32 v7, v8, v4, -v7
	v_fmac_f32_e32 v5, v3, v4
	buffer_store_dword v7, off, s[0:3], 0 offset:304
	buffer_store_dword v5, off, s[0:3], 0 offset:308
.LBB111_167:
	s_or_b64 exec, exec, s[4:5]
	s_waitcnt lgkmcnt(0)
	; wave barrier
	buffer_load_dword v4, off, s[0:3], 0 offset:312
	buffer_load_dword v5, off, s[0:3], 0 offset:316
	v_cmp_gt_u32_e32 vcc, 39, v0
	s_waitcnt vmcnt(0)
	ds_write_b64 v1, v[4:5]
	s_waitcnt lgkmcnt(0)
	; wave barrier
	s_waitcnt lgkmcnt(0)
	s_and_saveexec_b64 s[4:5], vcc
	s_cbranch_execz .LBB111_171
; %bb.168:
	v_add_u32_e32 v4, -1, v0
	v_add_u32_e32 v5, 0x180, v6
	v_add_u32_e32 v7, 0, v6
	s_mov_b64 s[6:7], 0
	v_mov_b32_e32 v3, 0
	v_mov_b32_e32 v8, 0
.LBB111_169:                            ; =>This Inner Loop Header: Depth=1
	buffer_load_dword v9, v7, s[0:3], 0 offen offset:4
	buffer_load_dword v12, v7, s[0:3], 0 offen
	ds_read_b64 v[10:11], v5
	v_add_u32_e32 v4, 1, v4
	v_cmp_lt_u32_e32 vcc, 37, v4
	v_add_u32_e32 v5, 8, v5
	v_add_u32_e32 v7, 8, v7
	s_or_b64 s[6:7], vcc, s[6:7]
	s_waitcnt vmcnt(1) lgkmcnt(0)
	v_mul_f32_e32 v13, v11, v9
	v_mul_f32_e32 v9, v10, v9
	s_waitcnt vmcnt(0)
	v_fma_f32 v10, v10, v12, -v13
	v_fmac_f32_e32 v9, v11, v12
	v_add_f32_e32 v8, v8, v10
	v_add_f32_e32 v3, v3, v9
	s_andn2_b64 exec, exec, s[6:7]
	s_cbranch_execnz .LBB111_169
; %bb.170:
	s_or_b64 exec, exec, s[6:7]
	v_mov_b32_e32 v4, 0
	ds_read_b64 v[4:5], v4 offset:312
	s_waitcnt lgkmcnt(0)
	v_mul_f32_e32 v7, v3, v5
	v_mul_f32_e32 v5, v8, v5
	v_fma_f32 v7, v8, v4, -v7
	v_fmac_f32_e32 v5, v3, v4
	buffer_store_dword v7, off, s[0:3], 0 offset:312
	buffer_store_dword v5, off, s[0:3], 0 offset:316
.LBB111_171:
	s_or_b64 exec, exec, s[4:5]
	s_waitcnt lgkmcnt(0)
	; wave barrier
	buffer_load_dword v4, off, s[0:3], 0 offset:320
	buffer_load_dword v5, off, s[0:3], 0 offset:324
	v_cmp_gt_u32_e32 vcc, 40, v0
	s_waitcnt vmcnt(0)
	ds_write_b64 v1, v[4:5]
	s_waitcnt lgkmcnt(0)
	; wave barrier
	s_waitcnt lgkmcnt(0)
	s_and_saveexec_b64 s[4:5], vcc
	s_cbranch_execz .LBB111_175
; %bb.172:
	v_add_u32_e32 v4, -1, v0
	v_add_u32_e32 v5, 0x180, v6
	v_add_u32_e32 v7, 0, v6
	s_mov_b64 s[6:7], 0
	v_mov_b32_e32 v3, 0
	v_mov_b32_e32 v8, 0
.LBB111_173:                            ; =>This Inner Loop Header: Depth=1
	buffer_load_dword v9, v7, s[0:3], 0 offen offset:4
	buffer_load_dword v12, v7, s[0:3], 0 offen
	ds_read_b64 v[10:11], v5
	v_add_u32_e32 v4, 1, v4
	v_cmp_lt_u32_e32 vcc, 38, v4
	v_add_u32_e32 v5, 8, v5
	v_add_u32_e32 v7, 8, v7
	s_or_b64 s[6:7], vcc, s[6:7]
	s_waitcnt vmcnt(1) lgkmcnt(0)
	v_mul_f32_e32 v13, v11, v9
	v_mul_f32_e32 v9, v10, v9
	s_waitcnt vmcnt(0)
	v_fma_f32 v10, v10, v12, -v13
	v_fmac_f32_e32 v9, v11, v12
	v_add_f32_e32 v8, v8, v10
	v_add_f32_e32 v3, v3, v9
	s_andn2_b64 exec, exec, s[6:7]
	s_cbranch_execnz .LBB111_173
; %bb.174:
	s_or_b64 exec, exec, s[6:7]
	v_mov_b32_e32 v4, 0
	ds_read_b64 v[4:5], v4 offset:320
	s_waitcnt lgkmcnt(0)
	v_mul_f32_e32 v7, v3, v5
	v_mul_f32_e32 v5, v8, v5
	v_fma_f32 v7, v8, v4, -v7
	v_fmac_f32_e32 v5, v3, v4
	buffer_store_dword v7, off, s[0:3], 0 offset:320
	buffer_store_dword v5, off, s[0:3], 0 offset:324
.LBB111_175:
	s_or_b64 exec, exec, s[4:5]
	s_waitcnt lgkmcnt(0)
	; wave barrier
	buffer_load_dword v4, off, s[0:3], 0 offset:328
	buffer_load_dword v5, off, s[0:3], 0 offset:332
	v_cmp_gt_u32_e32 vcc, 41, v0
	s_waitcnt vmcnt(0)
	ds_write_b64 v1, v[4:5]
	s_waitcnt lgkmcnt(0)
	; wave barrier
	s_waitcnt lgkmcnt(0)
	s_and_saveexec_b64 s[4:5], vcc
	s_cbranch_execz .LBB111_179
; %bb.176:
	v_add_u32_e32 v4, -1, v0
	v_add_u32_e32 v5, 0x180, v6
	v_add_u32_e32 v7, 0, v6
	s_mov_b64 s[6:7], 0
	v_mov_b32_e32 v3, 0
	v_mov_b32_e32 v8, 0
.LBB111_177:                            ; =>This Inner Loop Header: Depth=1
	buffer_load_dword v9, v7, s[0:3], 0 offen offset:4
	buffer_load_dword v12, v7, s[0:3], 0 offen
	ds_read_b64 v[10:11], v5
	v_add_u32_e32 v4, 1, v4
	v_cmp_lt_u32_e32 vcc, 39, v4
	v_add_u32_e32 v5, 8, v5
	v_add_u32_e32 v7, 8, v7
	s_or_b64 s[6:7], vcc, s[6:7]
	s_waitcnt vmcnt(1) lgkmcnt(0)
	v_mul_f32_e32 v13, v11, v9
	v_mul_f32_e32 v9, v10, v9
	s_waitcnt vmcnt(0)
	v_fma_f32 v10, v10, v12, -v13
	v_fmac_f32_e32 v9, v11, v12
	v_add_f32_e32 v8, v8, v10
	v_add_f32_e32 v3, v3, v9
	s_andn2_b64 exec, exec, s[6:7]
	s_cbranch_execnz .LBB111_177
; %bb.178:
	s_or_b64 exec, exec, s[6:7]
	v_mov_b32_e32 v4, 0
	ds_read_b64 v[4:5], v4 offset:328
	s_waitcnt lgkmcnt(0)
	v_mul_f32_e32 v7, v3, v5
	v_mul_f32_e32 v5, v8, v5
	v_fma_f32 v7, v8, v4, -v7
	v_fmac_f32_e32 v5, v3, v4
	buffer_store_dword v7, off, s[0:3], 0 offset:328
	buffer_store_dword v5, off, s[0:3], 0 offset:332
.LBB111_179:
	s_or_b64 exec, exec, s[4:5]
	s_waitcnt lgkmcnt(0)
	; wave barrier
	buffer_load_dword v4, off, s[0:3], 0 offset:336
	buffer_load_dword v5, off, s[0:3], 0 offset:340
	v_cmp_gt_u32_e32 vcc, 42, v0
	s_waitcnt vmcnt(0)
	ds_write_b64 v1, v[4:5]
	s_waitcnt lgkmcnt(0)
	; wave barrier
	s_waitcnt lgkmcnt(0)
	s_and_saveexec_b64 s[4:5], vcc
	s_cbranch_execz .LBB111_183
; %bb.180:
	v_add_u32_e32 v4, -1, v0
	v_add_u32_e32 v5, 0x180, v6
	v_add_u32_e32 v7, 0, v6
	s_mov_b64 s[6:7], 0
	v_mov_b32_e32 v3, 0
	v_mov_b32_e32 v8, 0
.LBB111_181:                            ; =>This Inner Loop Header: Depth=1
	buffer_load_dword v9, v7, s[0:3], 0 offen offset:4
	buffer_load_dword v12, v7, s[0:3], 0 offen
	ds_read_b64 v[10:11], v5
	v_add_u32_e32 v4, 1, v4
	v_cmp_lt_u32_e32 vcc, 40, v4
	v_add_u32_e32 v5, 8, v5
	v_add_u32_e32 v7, 8, v7
	s_or_b64 s[6:7], vcc, s[6:7]
	s_waitcnt vmcnt(1) lgkmcnt(0)
	v_mul_f32_e32 v13, v11, v9
	v_mul_f32_e32 v9, v10, v9
	s_waitcnt vmcnt(0)
	v_fma_f32 v10, v10, v12, -v13
	v_fmac_f32_e32 v9, v11, v12
	v_add_f32_e32 v8, v8, v10
	v_add_f32_e32 v3, v3, v9
	s_andn2_b64 exec, exec, s[6:7]
	s_cbranch_execnz .LBB111_181
; %bb.182:
	s_or_b64 exec, exec, s[6:7]
	v_mov_b32_e32 v4, 0
	ds_read_b64 v[4:5], v4 offset:336
	s_waitcnt lgkmcnt(0)
	v_mul_f32_e32 v7, v3, v5
	v_mul_f32_e32 v5, v8, v5
	v_fma_f32 v7, v8, v4, -v7
	v_fmac_f32_e32 v5, v3, v4
	buffer_store_dword v7, off, s[0:3], 0 offset:336
	buffer_store_dword v5, off, s[0:3], 0 offset:340
.LBB111_183:
	s_or_b64 exec, exec, s[4:5]
	s_waitcnt lgkmcnt(0)
	; wave barrier
	buffer_load_dword v4, off, s[0:3], 0 offset:344
	buffer_load_dword v5, off, s[0:3], 0 offset:348
	v_cmp_gt_u32_e32 vcc, 43, v0
	s_waitcnt vmcnt(0)
	ds_write_b64 v1, v[4:5]
	s_waitcnt lgkmcnt(0)
	; wave barrier
	s_waitcnt lgkmcnt(0)
	s_and_saveexec_b64 s[4:5], vcc
	s_cbranch_execz .LBB111_187
; %bb.184:
	v_add_u32_e32 v4, -1, v0
	v_add_u32_e32 v5, 0x180, v6
	v_add_u32_e32 v7, 0, v6
	s_mov_b64 s[6:7], 0
	v_mov_b32_e32 v3, 0
	v_mov_b32_e32 v8, 0
.LBB111_185:                            ; =>This Inner Loop Header: Depth=1
	buffer_load_dword v9, v7, s[0:3], 0 offen offset:4
	buffer_load_dword v12, v7, s[0:3], 0 offen
	ds_read_b64 v[10:11], v5
	v_add_u32_e32 v4, 1, v4
	v_cmp_lt_u32_e32 vcc, 41, v4
	v_add_u32_e32 v5, 8, v5
	v_add_u32_e32 v7, 8, v7
	s_or_b64 s[6:7], vcc, s[6:7]
	s_waitcnt vmcnt(1) lgkmcnt(0)
	v_mul_f32_e32 v13, v11, v9
	v_mul_f32_e32 v9, v10, v9
	s_waitcnt vmcnt(0)
	v_fma_f32 v10, v10, v12, -v13
	v_fmac_f32_e32 v9, v11, v12
	v_add_f32_e32 v8, v8, v10
	v_add_f32_e32 v3, v3, v9
	s_andn2_b64 exec, exec, s[6:7]
	s_cbranch_execnz .LBB111_185
; %bb.186:
	s_or_b64 exec, exec, s[6:7]
	v_mov_b32_e32 v4, 0
	ds_read_b64 v[4:5], v4 offset:344
	s_waitcnt lgkmcnt(0)
	v_mul_f32_e32 v7, v3, v5
	v_mul_f32_e32 v5, v8, v5
	v_fma_f32 v7, v8, v4, -v7
	v_fmac_f32_e32 v5, v3, v4
	buffer_store_dword v7, off, s[0:3], 0 offset:344
	buffer_store_dword v5, off, s[0:3], 0 offset:348
.LBB111_187:
	s_or_b64 exec, exec, s[4:5]
	s_waitcnt lgkmcnt(0)
	; wave barrier
	buffer_load_dword v4, off, s[0:3], 0 offset:352
	buffer_load_dword v5, off, s[0:3], 0 offset:356
	v_cmp_gt_u32_e32 vcc, 44, v0
	s_waitcnt vmcnt(0)
	ds_write_b64 v1, v[4:5]
	s_waitcnt lgkmcnt(0)
	; wave barrier
	s_waitcnt lgkmcnt(0)
	s_and_saveexec_b64 s[4:5], vcc
	s_cbranch_execz .LBB111_191
; %bb.188:
	v_add_u32_e32 v4, -1, v0
	v_add_u32_e32 v5, 0x180, v6
	v_add_u32_e32 v7, 0, v6
	s_mov_b64 s[6:7], 0
	v_mov_b32_e32 v3, 0
	v_mov_b32_e32 v8, 0
.LBB111_189:                            ; =>This Inner Loop Header: Depth=1
	buffer_load_dword v9, v7, s[0:3], 0 offen offset:4
	buffer_load_dword v12, v7, s[0:3], 0 offen
	ds_read_b64 v[10:11], v5
	v_add_u32_e32 v4, 1, v4
	v_cmp_lt_u32_e32 vcc, 42, v4
	v_add_u32_e32 v5, 8, v5
	v_add_u32_e32 v7, 8, v7
	s_or_b64 s[6:7], vcc, s[6:7]
	s_waitcnt vmcnt(1) lgkmcnt(0)
	v_mul_f32_e32 v13, v11, v9
	v_mul_f32_e32 v9, v10, v9
	s_waitcnt vmcnt(0)
	v_fma_f32 v10, v10, v12, -v13
	v_fmac_f32_e32 v9, v11, v12
	v_add_f32_e32 v8, v8, v10
	v_add_f32_e32 v3, v3, v9
	s_andn2_b64 exec, exec, s[6:7]
	s_cbranch_execnz .LBB111_189
; %bb.190:
	s_or_b64 exec, exec, s[6:7]
	v_mov_b32_e32 v4, 0
	ds_read_b64 v[4:5], v4 offset:352
	s_waitcnt lgkmcnt(0)
	v_mul_f32_e32 v7, v3, v5
	v_mul_f32_e32 v5, v8, v5
	v_fma_f32 v7, v8, v4, -v7
	v_fmac_f32_e32 v5, v3, v4
	buffer_store_dword v7, off, s[0:3], 0 offset:352
	buffer_store_dword v5, off, s[0:3], 0 offset:356
.LBB111_191:
	s_or_b64 exec, exec, s[4:5]
	s_waitcnt lgkmcnt(0)
	; wave barrier
	buffer_load_dword v4, off, s[0:3], 0 offset:360
	buffer_load_dword v5, off, s[0:3], 0 offset:364
	v_cmp_gt_u32_e32 vcc, 45, v0
	s_waitcnt vmcnt(0)
	ds_write_b64 v1, v[4:5]
	s_waitcnt lgkmcnt(0)
	; wave barrier
	s_waitcnt lgkmcnt(0)
	s_and_saveexec_b64 s[4:5], vcc
	s_cbranch_execz .LBB111_195
; %bb.192:
	v_add_u32_e32 v4, -1, v0
	v_add_u32_e32 v5, 0x180, v6
	v_add_u32_e32 v7, 0, v6
	s_mov_b64 s[6:7], 0
	v_mov_b32_e32 v3, 0
	v_mov_b32_e32 v8, 0
.LBB111_193:                            ; =>This Inner Loop Header: Depth=1
	buffer_load_dword v9, v7, s[0:3], 0 offen offset:4
	buffer_load_dword v12, v7, s[0:3], 0 offen
	ds_read_b64 v[10:11], v5
	v_add_u32_e32 v4, 1, v4
	v_cmp_lt_u32_e32 vcc, 43, v4
	v_add_u32_e32 v5, 8, v5
	v_add_u32_e32 v7, 8, v7
	s_or_b64 s[6:7], vcc, s[6:7]
	s_waitcnt vmcnt(1) lgkmcnt(0)
	v_mul_f32_e32 v13, v11, v9
	v_mul_f32_e32 v9, v10, v9
	s_waitcnt vmcnt(0)
	v_fma_f32 v10, v10, v12, -v13
	v_fmac_f32_e32 v9, v11, v12
	v_add_f32_e32 v8, v8, v10
	v_add_f32_e32 v3, v3, v9
	s_andn2_b64 exec, exec, s[6:7]
	s_cbranch_execnz .LBB111_193
; %bb.194:
	s_or_b64 exec, exec, s[6:7]
	v_mov_b32_e32 v4, 0
	ds_read_b64 v[4:5], v4 offset:360
	s_waitcnt lgkmcnt(0)
	v_mul_f32_e32 v7, v3, v5
	v_mul_f32_e32 v5, v8, v5
	v_fma_f32 v7, v8, v4, -v7
	v_fmac_f32_e32 v5, v3, v4
	buffer_store_dword v7, off, s[0:3], 0 offset:360
	buffer_store_dword v5, off, s[0:3], 0 offset:364
.LBB111_195:
	s_or_b64 exec, exec, s[4:5]
	s_waitcnt lgkmcnt(0)
	; wave barrier
	buffer_load_dword v4, off, s[0:3], 0 offset:368
	buffer_load_dword v5, off, s[0:3], 0 offset:372
	v_cmp_gt_u32_e32 vcc, 46, v0
	s_waitcnt vmcnt(0)
	ds_write_b64 v1, v[4:5]
	s_waitcnt lgkmcnt(0)
	; wave barrier
	s_waitcnt lgkmcnt(0)
	s_and_saveexec_b64 s[4:5], vcc
	s_cbranch_execz .LBB111_199
; %bb.196:
	v_add_u32_e32 v4, -1, v0
	v_add_u32_e32 v5, 0x180, v6
	v_add_u32_e32 v7, 0, v6
	s_mov_b64 s[6:7], 0
	v_mov_b32_e32 v3, 0
	v_mov_b32_e32 v8, 0
.LBB111_197:                            ; =>This Inner Loop Header: Depth=1
	buffer_load_dword v9, v7, s[0:3], 0 offen offset:4
	buffer_load_dword v12, v7, s[0:3], 0 offen
	ds_read_b64 v[10:11], v5
	v_add_u32_e32 v4, 1, v4
	v_cmp_lt_u32_e32 vcc, 44, v4
	v_add_u32_e32 v5, 8, v5
	v_add_u32_e32 v7, 8, v7
	s_or_b64 s[6:7], vcc, s[6:7]
	s_waitcnt vmcnt(1) lgkmcnt(0)
	v_mul_f32_e32 v13, v11, v9
	v_mul_f32_e32 v9, v10, v9
	s_waitcnt vmcnt(0)
	v_fma_f32 v10, v10, v12, -v13
	v_fmac_f32_e32 v9, v11, v12
	v_add_f32_e32 v8, v8, v10
	v_add_f32_e32 v3, v3, v9
	s_andn2_b64 exec, exec, s[6:7]
	s_cbranch_execnz .LBB111_197
; %bb.198:
	s_or_b64 exec, exec, s[6:7]
	v_mov_b32_e32 v4, 0
	ds_read_b64 v[4:5], v4 offset:368
	s_waitcnt lgkmcnt(0)
	v_mul_f32_e32 v7, v3, v5
	v_mul_f32_e32 v5, v8, v5
	v_fma_f32 v7, v8, v4, -v7
	v_fmac_f32_e32 v5, v3, v4
	buffer_store_dword v7, off, s[0:3], 0 offset:368
	buffer_store_dword v5, off, s[0:3], 0 offset:372
.LBB111_199:
	s_or_b64 exec, exec, s[4:5]
	s_waitcnt lgkmcnt(0)
	; wave barrier
	buffer_load_dword v4, off, s[0:3], 0 offset:376
	buffer_load_dword v5, off, s[0:3], 0 offset:380
	v_cmp_ne_u32_e32 vcc, 47, v0
	s_waitcnt vmcnt(0)
	ds_write_b64 v1, v[4:5]
	s_waitcnt lgkmcnt(0)
	; wave barrier
	s_waitcnt lgkmcnt(0)
	s_and_saveexec_b64 s[4:5], vcc
	s_cbranch_execz .LBB111_203
; %bb.200:
	v_add_u32_e32 v3, 0x180, v6
	v_add_u32_e32 v4, 0, v6
	s_mov_b64 s[6:7], 0
	v_mov_b32_e32 v1, 0
	v_mov_b32_e32 v5, 0
.LBB111_201:                            ; =>This Inner Loop Header: Depth=1
	buffer_load_dword v8, v4, s[0:3], 0 offen offset:4
	buffer_load_dword v9, v4, s[0:3], 0 offen
	ds_read_b64 v[6:7], v3
	v_add_u32_e32 v2, 1, v2
	v_cmp_lt_u32_e32 vcc, 45, v2
	v_add_u32_e32 v3, 8, v3
	v_add_u32_e32 v4, 8, v4
	s_or_b64 s[6:7], vcc, s[6:7]
	s_waitcnt vmcnt(1) lgkmcnt(0)
	v_mul_f32_e32 v10, v7, v8
	v_mul_f32_e32 v8, v6, v8
	s_waitcnt vmcnt(0)
	v_fma_f32 v6, v6, v9, -v10
	v_fmac_f32_e32 v8, v7, v9
	v_add_f32_e32 v5, v5, v6
	v_add_f32_e32 v1, v1, v8
	s_andn2_b64 exec, exec, s[6:7]
	s_cbranch_execnz .LBB111_201
; %bb.202:
	s_or_b64 exec, exec, s[6:7]
	v_mov_b32_e32 v2, 0
	ds_read_b64 v[2:3], v2 offset:376
	s_waitcnt lgkmcnt(0)
	v_mul_f32_e32 v4, v1, v3
	v_mul_f32_e32 v3, v5, v3
	v_fma_f32 v4, v5, v2, -v4
	v_fmac_f32_e32 v3, v1, v2
	buffer_store_dword v4, off, s[0:3], 0 offset:376
	buffer_store_dword v3, off, s[0:3], 0 offset:380
.LBB111_203:
	s_or_b64 exec, exec, s[4:5]
	s_mov_b64 s[6:7], -1
	s_waitcnt lgkmcnt(0)
	; wave barrier
.LBB111_204:
	s_and_b64 vcc, exec, s[6:7]
	s_cbranch_vccz .LBB111_206
; %bb.205:
	s_lshl_b64 s[4:5], s[8:9], 2
	s_add_u32 s4, s14, s4
	s_addc_u32 s5, s15, s5
	v_mov_b32_e32 v1, 0
	global_load_dword v1, v1, s[4:5]
	s_waitcnt vmcnt(0)
	v_cmp_ne_u32_e32 vcc, 0, v1
	s_cbranch_vccz .LBB111_207
.LBB111_206:
	s_endpgm
.LBB111_207:
	v_mov_b32_e32 v1, 0x180
	v_lshl_add_u32 v1, v0, 3, v1
	v_accvgpr_write_b32 a20, v1
	v_cmp_eq_u32_e32 vcc, 47, v0
	s_and_saveexec_b64 s[4:5], vcc
	s_cbranch_execz .LBB111_209
; %bb.208:
	buffer_load_dword v2, off, s[0:3], 0 offset:368
	buffer_load_dword v3, off, s[0:3], 0 offset:372
	v_mov_b32_e32 v4, 0
	v_accvgpr_read_b32 v1, a20
	buffer_store_dword v4, off, s[0:3], 0 offset:368
	buffer_store_dword v4, off, s[0:3], 0 offset:372
	s_waitcnt vmcnt(2)
	ds_write_b64 v1, v[2:3]
.LBB111_209:
	s_or_b64 exec, exec, s[4:5]
	s_waitcnt lgkmcnt(0)
	; wave barrier
	s_waitcnt lgkmcnt(0)
	buffer_load_dword v5, off, s[0:3], 0 offset:380
	buffer_load_dword v4, off, s[0:3], 0 offset:376
	;; [unrolled: 1-line block ×4, first 2 shown]
	v_mov_b32_e32 v2, 0
	ds_read_b64 v[8:9], v2 offset:760
	v_cmp_lt_u32_e32 vcc, 45, v0
	s_waitcnt vmcnt(3)
	v_mov_b32_e32 v10, v5
	s_waitcnt lgkmcnt(0)
	v_pk_mul_f32 v[10:11], v[8:9], v[10:11] op_sel_hi:[1,0]
	s_waitcnt vmcnt(2)
	v_pk_fma_f32 v[12:13], v[8:9], v[4:5], v[10:11] op_sel:[0,0,1] op_sel_hi:[1,1,0] neg_lo:[0,0,1] neg_hi:[0,0,1]
	v_pk_fma_f32 v[4:5], v[8:9], v[4:5], v[10:11] op_sel:[0,0,1] op_sel_hi:[1,0,0]
	v_mov_b32_e32 v13, v5
	v_pk_add_f32 v[4:5], v[12:13], 0 op_sel_hi:[1,0]
	s_waitcnt vmcnt(0)
	v_pk_add_f32 v[4:5], v[6:7], v[4:5] neg_lo:[0,1] neg_hi:[0,1]
	buffer_store_dword v4, off, s[0:3], 0 offset:368
	buffer_store_dword v5, off, s[0:3], 0 offset:372
	s_and_saveexec_b64 s[4:5], vcc
	s_cbranch_execz .LBB111_211
; %bb.210:
	buffer_load_dword v4, off, s[0:3], 0 offset:360
	buffer_load_dword v5, off, s[0:3], 0 offset:364
	v_accvgpr_read_b32 v1, a20
	buffer_store_dword v2, off, s[0:3], 0 offset:360
	buffer_store_dword v2, off, s[0:3], 0 offset:364
	s_waitcnt vmcnt(2)
	ds_write_b64 v1, v[4:5]
.LBB111_211:
	s_or_b64 exec, exec, s[4:5]
	s_waitcnt lgkmcnt(0)
	; wave barrier
	s_waitcnt lgkmcnt(0)
	buffer_load_dword v7, off, s[0:3], 0 offset:372
	buffer_load_dword v9, off, s[0:3], 0 offset:380
	;; [unrolled: 1-line block ×6, first 2 shown]
	ds_read_b128 v[2:5], v2 offset:752
	v_cmp_lt_u32_e32 vcc, 44, v0
	s_waitcnt vmcnt(5)
	v_mov_b32_e32 v12, v7
	s_waitcnt vmcnt(4)
	v_mov_b32_e32 v14, v9
	s_waitcnt lgkmcnt(0)
	v_pk_mul_f32 v[12:13], v[2:3], v[12:13] op_sel_hi:[1,0]
	v_pk_mul_f32 v[14:15], v[4:5], v[14:15] op_sel_hi:[1,0]
	s_waitcnt vmcnt(3)
	v_pk_fma_f32 v[16:17], v[2:3], v[6:7], v[12:13] op_sel:[0,0,1] op_sel_hi:[1,1,0] neg_lo:[0,0,1] neg_hi:[0,0,1]
	v_pk_fma_f32 v[2:3], v[2:3], v[6:7], v[12:13] op_sel:[0,0,1] op_sel_hi:[1,0,0]
	s_waitcnt vmcnt(2)
	v_pk_fma_f32 v[6:7], v[4:5], v[8:9], v[14:15] op_sel:[0,0,1] op_sel_hi:[1,1,0] neg_lo:[0,0,1] neg_hi:[0,0,1]
	v_pk_fma_f32 v[4:5], v[4:5], v[8:9], v[14:15] op_sel:[0,0,1] op_sel_hi:[1,0,0]
	v_mov_b32_e32 v17, v3
	v_mov_b32_e32 v7, v5
	v_pk_add_f32 v[2:3], v[16:17], 0 op_sel_hi:[1,0]
	v_pk_add_f32 v[2:3], v[2:3], v[6:7]
	s_waitcnt vmcnt(0)
	v_pk_add_f32 v[2:3], v[10:11], v[2:3] neg_lo:[0,1] neg_hi:[0,1]
	buffer_store_dword v2, off, s[0:3], 0 offset:360
	buffer_store_dword v3, off, s[0:3], 0 offset:364
	s_and_saveexec_b64 s[4:5], vcc
	s_cbranch_execz .LBB111_213
; %bb.212:
	buffer_load_dword v2, off, s[0:3], 0 offset:352
	buffer_load_dword v3, off, s[0:3], 0 offset:356
	v_mov_b32_e32 v4, 0
	v_accvgpr_read_b32 v1, a20
	buffer_store_dword v4, off, s[0:3], 0 offset:352
	buffer_store_dword v4, off, s[0:3], 0 offset:356
	s_waitcnt vmcnt(2)
	ds_write_b64 v1, v[2:3]
.LBB111_213:
	s_or_b64 exec, exec, s[4:5]
	s_waitcnt lgkmcnt(0)
	; wave barrier
	s_waitcnt lgkmcnt(0)
	buffer_load_dword v9, off, s[0:3], 0 offset:364
	buffer_load_dword v11, off, s[0:3], 0 offset:372
	;; [unrolled: 1-line block ×8, first 2 shown]
	v_mov_b32_e32 v2, 0
	ds_read2_b64 v[4:7], v2 offset0:93 offset1:94
	ds_read_b64 v[16:17], v2 offset:760
	v_cmp_lt_u32_e32 vcc, 43, v0
	s_waitcnt vmcnt(7)
	v_mov_b32_e32 v18, v9
	s_waitcnt vmcnt(6)
	v_mov_b32_e32 v20, v11
	s_waitcnt lgkmcnt(1)
	v_pk_mul_f32 v[18:19], v[4:5], v[18:19] op_sel_hi:[1,0]
	s_waitcnt vmcnt(5)
	v_mov_b32_e32 v22, v13
	v_pk_mul_f32 v[20:21], v[6:7], v[20:21] op_sel_hi:[1,0]
	s_waitcnt vmcnt(4)
	v_pk_fma_f32 v[24:25], v[4:5], v[8:9], v[18:19] op_sel:[0,0,1] op_sel_hi:[1,1,0] neg_lo:[0,0,1] neg_hi:[0,0,1]
	v_pk_fma_f32 v[4:5], v[4:5], v[8:9], v[18:19] op_sel:[0,0,1] op_sel_hi:[1,0,0]
	s_waitcnt lgkmcnt(0)
	v_pk_mul_f32 v[22:23], v[16:17], v[22:23] op_sel_hi:[1,0]
	s_waitcnt vmcnt(3)
	v_pk_fma_f32 v[8:9], v[6:7], v[10:11], v[20:21] op_sel:[0,0,1] op_sel_hi:[1,1,0] neg_lo:[0,0,1] neg_hi:[0,0,1]
	v_pk_fma_f32 v[6:7], v[6:7], v[10:11], v[20:21] op_sel:[0,0,1] op_sel_hi:[1,0,0]
	v_mov_b32_e32 v25, v5
	s_waitcnt vmcnt(2)
	v_pk_fma_f32 v[10:11], v[16:17], v[12:13], v[22:23] op_sel:[0,0,1] op_sel_hi:[1,1,0] neg_lo:[0,0,1] neg_hi:[0,0,1]
	v_pk_fma_f32 v[12:13], v[16:17], v[12:13], v[22:23] op_sel:[0,0,1] op_sel_hi:[1,0,0]
	v_mov_b32_e32 v9, v7
	v_pk_add_f32 v[4:5], v[24:25], 0 op_sel_hi:[1,0]
	v_mov_b32_e32 v11, v13
	v_pk_add_f32 v[4:5], v[4:5], v[8:9]
	v_pk_add_f32 v[4:5], v[4:5], v[10:11]
	s_waitcnt vmcnt(0)
	v_pk_add_f32 v[4:5], v[14:15], v[4:5] neg_lo:[0,1] neg_hi:[0,1]
	buffer_store_dword v4, off, s[0:3], 0 offset:352
	buffer_store_dword v5, off, s[0:3], 0 offset:356
	s_and_saveexec_b64 s[4:5], vcc
	s_cbranch_execz .LBB111_215
; %bb.214:
	buffer_load_dword v4, off, s[0:3], 0 offset:344
	buffer_load_dword v5, off, s[0:3], 0 offset:348
	v_accvgpr_read_b32 v1, a20
	buffer_store_dword v2, off, s[0:3], 0 offset:344
	buffer_store_dword v2, off, s[0:3], 0 offset:348
	s_waitcnt vmcnt(2)
	ds_write_b64 v1, v[4:5]
.LBB111_215:
	s_or_b64 exec, exec, s[4:5]
	s_waitcnt lgkmcnt(0)
	; wave barrier
	s_waitcnt lgkmcnt(0)
	buffer_load_dword v13, off, s[0:3], 0 offset:356
	buffer_load_dword v15, off, s[0:3], 0 offset:364
	;; [unrolled: 1-line block ×10, first 2 shown]
	ds_read_b128 v[4:7], v2 offset:736
	ds_read_b128 v[8:11], v2 offset:752
	v_cmp_lt_u32_e32 vcc, 42, v0
	s_waitcnt vmcnt(9)
	v_mov_b32_e32 v2, v13
	s_waitcnt vmcnt(8)
	v_mov_b32_e32 v22, v15
	s_waitcnt lgkmcnt(1)
	v_pk_mul_f32 v[2:3], v[4:5], v[2:3] op_sel_hi:[1,0]
	s_waitcnt vmcnt(7)
	v_mov_b32_e32 v24, v17
	v_pk_mul_f32 v[22:23], v[6:7], v[22:23] op_sel_hi:[1,0]
	s_waitcnt vmcnt(5)
	v_pk_fma_f32 v[28:29], v[4:5], v[12:13], v[2:3] op_sel:[0,0,1] op_sel_hi:[1,1,0] neg_lo:[0,0,1] neg_hi:[0,0,1]
	v_pk_fma_f32 v[2:3], v[4:5], v[12:13], v[2:3] op_sel:[0,0,1] op_sel_hi:[1,0,0]
	v_mov_b32_e32 v26, v19
	s_waitcnt lgkmcnt(0)
	v_pk_mul_f32 v[24:25], v[8:9], v[24:25] op_sel_hi:[1,0]
	s_waitcnt vmcnt(4)
	v_pk_fma_f32 v[4:5], v[6:7], v[14:15], v[22:23] op_sel:[0,0,1] op_sel_hi:[1,1,0] neg_lo:[0,0,1] neg_hi:[0,0,1]
	v_pk_fma_f32 v[6:7], v[6:7], v[14:15], v[22:23] op_sel:[0,0,1] op_sel_hi:[1,0,0]
	v_mov_b32_e32 v29, v3
	v_pk_mul_f32 v[26:27], v[10:11], v[26:27] op_sel_hi:[1,0]
	s_waitcnt vmcnt(3)
	v_pk_fma_f32 v[12:13], v[8:9], v[16:17], v[24:25] op_sel:[0,0,1] op_sel_hi:[1,1,0] neg_lo:[0,0,1] neg_hi:[0,0,1]
	v_pk_fma_f32 v[8:9], v[8:9], v[16:17], v[24:25] op_sel:[0,0,1] op_sel_hi:[1,0,0]
	v_mov_b32_e32 v5, v7
	v_pk_add_f32 v[2:3], v[28:29], 0 op_sel_hi:[1,0]
	s_waitcnt vmcnt(2)
	v_pk_fma_f32 v[14:15], v[10:11], v[18:19], v[26:27] op_sel:[0,0,1] op_sel_hi:[1,1,0] neg_lo:[0,0,1] neg_hi:[0,0,1]
	v_pk_fma_f32 v[10:11], v[10:11], v[18:19], v[26:27] op_sel:[0,0,1] op_sel_hi:[1,0,0]
	v_mov_b32_e32 v13, v9
	v_pk_add_f32 v[2:3], v[2:3], v[4:5]
	v_mov_b32_e32 v15, v11
	v_pk_add_f32 v[2:3], v[2:3], v[12:13]
	v_pk_add_f32 v[2:3], v[2:3], v[14:15]
	s_waitcnt vmcnt(0)
	v_pk_add_f32 v[2:3], v[20:21], v[2:3] neg_lo:[0,1] neg_hi:[0,1]
	buffer_store_dword v2, off, s[0:3], 0 offset:344
	buffer_store_dword v3, off, s[0:3], 0 offset:348
	s_and_saveexec_b64 s[4:5], vcc
	s_cbranch_execz .LBB111_217
; %bb.216:
	buffer_load_dword v2, off, s[0:3], 0 offset:336
	buffer_load_dword v3, off, s[0:3], 0 offset:340
	v_mov_b32_e32 v4, 0
	v_accvgpr_read_b32 v1, a20
	buffer_store_dword v4, off, s[0:3], 0 offset:336
	buffer_store_dword v4, off, s[0:3], 0 offset:340
	s_waitcnt vmcnt(2)
	ds_write_b64 v1, v[2:3]
.LBB111_217:
	s_or_b64 exec, exec, s[4:5]
	s_waitcnt lgkmcnt(0)
	; wave barrier
	s_waitcnt lgkmcnt(0)
	buffer_load_dword v12, off, s[0:3], 0 offset:336
	buffer_load_dword v13, off, s[0:3], 0 offset:340
	;; [unrolled: 1-line block ×12, first 2 shown]
	v_mov_b32_e32 v2, 0
	ds_read2_b64 v[4:7], v2 offset0:91 offset1:92
	ds_read2_b64 v[8:11], v2 offset0:93 offset1:94
	ds_read_b64 v[24:25], v2 offset:760
	v_cmp_lt_u32_e32 vcc, 41, v0
	s_waitcnt vmcnt(8)
	v_mov_b32_e32 v26, v15
	s_waitcnt lgkmcnt(2)
	v_pk_mul_f32 v[26:27], v[4:5], v[26:27] op_sel_hi:[1,0]
	v_pk_fma_f32 v[28:29], v[4:5], v[14:15], v[26:27] op_sel:[0,0,1] op_sel_hi:[1,1,0] neg_lo:[0,0,1] neg_hi:[0,0,1]
	v_pk_fma_f32 v[4:5], v[4:5], v[14:15], v[26:27] op_sel:[0,0,1] op_sel_hi:[1,0,0]
	s_waitcnt vmcnt(6)
	v_mov_b32_e32 v14, v17
	v_pk_mul_f32 v[14:15], v[6:7], v[14:15] op_sel_hi:[1,0]
	v_pk_fma_f32 v[26:27], v[6:7], v[16:17], v[14:15] op_sel:[0,0,1] op_sel_hi:[1,1,0] neg_lo:[0,0,1] neg_hi:[0,0,1]
	v_pk_fma_f32 v[6:7], v[6:7], v[16:17], v[14:15] op_sel:[0,0,1] op_sel_hi:[1,0,0]
	s_waitcnt vmcnt(4)
	v_mov_b32_e32 v6, v19
	v_mov_b32_e32 v27, v7
	s_waitcnt lgkmcnt(1)
	v_pk_mul_f32 v[6:7], v[8:9], v[6:7] op_sel_hi:[1,0]
	v_pk_fma_f32 v[14:15], v[8:9], v[18:19], v[6:7] op_sel:[0,0,1] op_sel_hi:[1,1,0] neg_lo:[0,0,1] neg_hi:[0,0,1]
	v_pk_fma_f32 v[6:7], v[8:9], v[18:19], v[6:7] op_sel:[0,0,1] op_sel_hi:[1,0,0]
	s_waitcnt vmcnt(2)
	v_mov_b32_e32 v6, v21
	v_mov_b32_e32 v29, v5
	;; [unrolled: 1-line block ×3, first 2 shown]
	v_pk_mul_f32 v[6:7], v[10:11], v[6:7] op_sel_hi:[1,0]
	v_pk_add_f32 v[4:5], v[28:29], 0 op_sel_hi:[1,0]
	v_pk_fma_f32 v[8:9], v[10:11], v[20:21], v[6:7] op_sel:[0,0,1] op_sel_hi:[1,1,0] neg_lo:[0,0,1] neg_hi:[0,0,1]
	v_pk_fma_f32 v[6:7], v[10:11], v[20:21], v[6:7] op_sel:[0,0,1] op_sel_hi:[1,0,0]
	v_pk_add_f32 v[4:5], v[4:5], v[26:27]
	s_waitcnt vmcnt(0)
	v_mov_b32_e32 v6, v23
	v_pk_add_f32 v[4:5], v[4:5], v[14:15]
	v_mov_b32_e32 v9, v7
	s_waitcnt lgkmcnt(0)
	v_pk_mul_f32 v[6:7], v[24:25], v[6:7] op_sel_hi:[1,0]
	v_pk_add_f32 v[4:5], v[4:5], v[8:9]
	v_pk_fma_f32 v[8:9], v[24:25], v[22:23], v[6:7] op_sel:[0,0,1] op_sel_hi:[1,1,0] neg_lo:[0,0,1] neg_hi:[0,0,1]
	v_pk_fma_f32 v[6:7], v[24:25], v[22:23], v[6:7] op_sel:[0,0,1] op_sel_hi:[1,0,0]
	v_mov_b32_e32 v9, v7
	v_pk_add_f32 v[4:5], v[4:5], v[8:9]
	v_pk_add_f32 v[4:5], v[12:13], v[4:5] neg_lo:[0,1] neg_hi:[0,1]
	buffer_store_dword v4, off, s[0:3], 0 offset:336
	buffer_store_dword v5, off, s[0:3], 0 offset:340
	s_and_saveexec_b64 s[4:5], vcc
	s_cbranch_execz .LBB111_219
; %bb.218:
	buffer_load_dword v4, off, s[0:3], 0 offset:328
	buffer_load_dword v5, off, s[0:3], 0 offset:332
	v_accvgpr_read_b32 v1, a20
	buffer_store_dword v2, off, s[0:3], 0 offset:328
	buffer_store_dword v2, off, s[0:3], 0 offset:332
	s_waitcnt vmcnt(2)
	ds_write_b64 v1, v[4:5]
.LBB111_219:
	s_or_b64 exec, exec, s[4:5]
	s_waitcnt lgkmcnt(0)
	; wave barrier
	s_waitcnt lgkmcnt(0)
	buffer_load_dword v16, off, s[0:3], 0 offset:328
	buffer_load_dword v17, off, s[0:3], 0 offset:332
	;; [unrolled: 1-line block ×14, first 2 shown]
	ds_read_b128 v[4:7], v2 offset:720
	ds_read_b128 v[8:11], v2 offset:736
	;; [unrolled: 1-line block ×3, first 2 shown]
	v_cmp_lt_u32_e32 vcc, 40, v0
	s_waitcnt vmcnt(10)
	v_mov_b32_e32 v2, v19
	s_waitcnt lgkmcnt(2)
	v_pk_mul_f32 v[2:3], v[4:5], v[2:3] op_sel_hi:[1,0]
	v_pk_fma_f32 v[30:31], v[4:5], v[18:19], v[2:3] op_sel:[0,0,1] op_sel_hi:[1,1,0] neg_lo:[0,0,1] neg_hi:[0,0,1]
	v_pk_fma_f32 v[2:3], v[4:5], v[18:19], v[2:3] op_sel:[0,0,1] op_sel_hi:[1,0,0]
	s_waitcnt vmcnt(8)
	v_mov_b32_e32 v4, v21
	v_pk_mul_f32 v[4:5], v[6:7], v[4:5] op_sel_hi:[1,0]
	v_pk_fma_f32 v[18:19], v[6:7], v[20:21], v[4:5] op_sel:[0,0,1] op_sel_hi:[1,1,0] neg_lo:[0,0,1] neg_hi:[0,0,1]
	v_pk_fma_f32 v[4:5], v[6:7], v[20:21], v[4:5] op_sel:[0,0,1] op_sel_hi:[1,0,0]
	s_waitcnt vmcnt(6)
	v_mov_b32_e32 v4, v23
	v_mov_b32_e32 v19, v5
	s_waitcnt lgkmcnt(1)
	v_pk_mul_f32 v[4:5], v[8:9], v[4:5] op_sel_hi:[1,0]
	v_mov_b32_e32 v31, v3
	v_pk_fma_f32 v[6:7], v[8:9], v[22:23], v[4:5] op_sel:[0,0,1] op_sel_hi:[1,1,0] neg_lo:[0,0,1] neg_hi:[0,0,1]
	v_pk_fma_f32 v[4:5], v[8:9], v[22:23], v[4:5] op_sel:[0,0,1] op_sel_hi:[1,0,0]
	v_pk_add_f32 v[2:3], v[30:31], 0 op_sel_hi:[1,0]
	s_waitcnt vmcnt(4)
	v_mov_b32_e32 v4, v25
	v_pk_add_f32 v[2:3], v[2:3], v[18:19]
	v_mov_b32_e32 v7, v5
	v_pk_mul_f32 v[4:5], v[10:11], v[4:5] op_sel_hi:[1,0]
	v_pk_add_f32 v[2:3], v[2:3], v[6:7]
	v_pk_fma_f32 v[6:7], v[10:11], v[24:25], v[4:5] op_sel:[0,0,1] op_sel_hi:[1,1,0] neg_lo:[0,0,1] neg_hi:[0,0,1]
	v_pk_fma_f32 v[4:5], v[10:11], v[24:25], v[4:5] op_sel:[0,0,1] op_sel_hi:[1,0,0]
	s_waitcnt vmcnt(2)
	v_mov_b32_e32 v4, v27
	v_mov_b32_e32 v7, v5
	s_waitcnt lgkmcnt(0)
	v_pk_mul_f32 v[4:5], v[12:13], v[4:5] op_sel_hi:[1,0]
	v_pk_add_f32 v[2:3], v[2:3], v[6:7]
	v_pk_fma_f32 v[6:7], v[12:13], v[26:27], v[4:5] op_sel:[0,0,1] op_sel_hi:[1,1,0] neg_lo:[0,0,1] neg_hi:[0,0,1]
	v_pk_fma_f32 v[4:5], v[12:13], v[26:27], v[4:5] op_sel:[0,0,1] op_sel_hi:[1,0,0]
	s_waitcnt vmcnt(0)
	v_mov_b32_e32 v4, v29
	v_mov_b32_e32 v7, v5
	v_pk_mul_f32 v[4:5], v[14:15], v[4:5] op_sel_hi:[1,0]
	v_pk_add_f32 v[2:3], v[2:3], v[6:7]
	v_pk_fma_f32 v[6:7], v[14:15], v[28:29], v[4:5] op_sel:[0,0,1] op_sel_hi:[1,1,0] neg_lo:[0,0,1] neg_hi:[0,0,1]
	v_pk_fma_f32 v[4:5], v[14:15], v[28:29], v[4:5] op_sel:[0,0,1] op_sel_hi:[1,0,0]
	v_mov_b32_e32 v7, v5
	v_pk_add_f32 v[2:3], v[2:3], v[6:7]
	v_pk_add_f32 v[2:3], v[16:17], v[2:3] neg_lo:[0,1] neg_hi:[0,1]
	buffer_store_dword v2, off, s[0:3], 0 offset:328
	buffer_store_dword v3, off, s[0:3], 0 offset:332
	s_and_saveexec_b64 s[4:5], vcc
	s_cbranch_execz .LBB111_221
; %bb.220:
	buffer_load_dword v2, off, s[0:3], 0 offset:320
	buffer_load_dword v3, off, s[0:3], 0 offset:324
	v_mov_b32_e32 v4, 0
	v_accvgpr_read_b32 v1, a20
	buffer_store_dword v4, off, s[0:3], 0 offset:320
	buffer_store_dword v4, off, s[0:3], 0 offset:324
	s_waitcnt vmcnt(2)
	ds_write_b64 v1, v[2:3]
.LBB111_221:
	s_or_b64 exec, exec, s[4:5]
	s_waitcnt lgkmcnt(0)
	; wave barrier
	s_waitcnt lgkmcnt(0)
	buffer_load_dword v17, off, s[0:3], 0 offset:332
	buffer_load_dword v19, off, s[0:3], 0 offset:340
	;; [unrolled: 1-line block ×16, first 2 shown]
	v_mov_b32_e32 v2, 0
	ds_read2_b64 v[4:7], v2 offset0:89 offset1:90
	ds_read2_b64 v[8:11], v2 offset0:91 offset1:92
	;; [unrolled: 1-line block ×3, first 2 shown]
	ds_read_b64 v[32:33], v2 offset:760
	v_cmp_lt_u32_e32 vcc, 39, v0
	s_waitcnt vmcnt(15)
	v_mov_b32_e32 v34, v17
	s_waitcnt vmcnt(14)
	v_mov_b32_e32 v36, v19
	s_waitcnt lgkmcnt(3)
	v_pk_mul_f32 v[34:35], v[4:5], v[34:35] op_sel_hi:[1,0]
	s_waitcnt vmcnt(13)
	v_mov_b32_e32 v38, v21
	v_pk_mul_f32 v[36:37], v[6:7], v[36:37] op_sel_hi:[1,0]
	s_waitcnt vmcnt(12)
	v_mov_b32_e32 v40, v23
	s_waitcnt lgkmcnt(2)
	v_pk_mul_f32 v[38:39], v[8:9], v[38:39] op_sel_hi:[1,0]
	s_waitcnt vmcnt(8)
	v_pk_fma_f32 v[48:49], v[4:5], v[16:17], v[34:35] op_sel:[0,0,1] op_sel_hi:[1,1,0] neg_lo:[0,0,1] neg_hi:[0,0,1]
	v_pk_fma_f32 v[4:5], v[4:5], v[16:17], v[34:35] op_sel:[0,0,1] op_sel_hi:[1,0,0]
	s_waitcnt vmcnt(7)
	v_pk_fma_f32 v[16:17], v[6:7], v[18:19], v[36:37] op_sel:[0,0,1] op_sel_hi:[1,1,0] neg_lo:[0,0,1] neg_hi:[0,0,1]
	v_pk_fma_f32 v[6:7], v[6:7], v[18:19], v[36:37] op_sel:[0,0,1] op_sel_hi:[1,0,0]
	v_mov_b32_e32 v49, v5
	v_mov_b32_e32 v42, v25
	v_pk_mul_f32 v[40:41], v[10:11], v[40:41] op_sel_hi:[1,0]
	s_waitcnt vmcnt(6)
	v_pk_fma_f32 v[18:19], v[8:9], v[20:21], v[38:39] op_sel:[0,0,1] op_sel_hi:[1,1,0] neg_lo:[0,0,1] neg_hi:[0,0,1]
	v_pk_fma_f32 v[8:9], v[8:9], v[20:21], v[38:39] op_sel:[0,0,1] op_sel_hi:[1,0,0]
	v_mov_b32_e32 v17, v7
	v_pk_add_f32 v[4:5], v[48:49], 0 op_sel_hi:[1,0]
	v_mov_b32_e32 v44, v27
	s_waitcnt lgkmcnt(1)
	v_pk_mul_f32 v[42:43], v[12:13], v[42:43] op_sel_hi:[1,0]
	s_waitcnt vmcnt(5)
	v_pk_fma_f32 v[20:21], v[10:11], v[22:23], v[40:41] op_sel:[0,0,1] op_sel_hi:[1,1,0] neg_lo:[0,0,1] neg_hi:[0,0,1]
	v_pk_fma_f32 v[10:11], v[10:11], v[22:23], v[40:41] op_sel:[0,0,1] op_sel_hi:[1,0,0]
	v_mov_b32_e32 v19, v9
	v_pk_add_f32 v[4:5], v[4:5], v[16:17]
	v_mov_b32_e32 v46, v29
	v_pk_mul_f32 v[44:45], v[14:15], v[44:45] op_sel_hi:[1,0]
	s_waitcnt vmcnt(4)
	v_pk_fma_f32 v[22:23], v[12:13], v[24:25], v[42:43] op_sel:[0,0,1] op_sel_hi:[1,1,0] neg_lo:[0,0,1] neg_hi:[0,0,1]
	v_pk_fma_f32 v[12:13], v[12:13], v[24:25], v[42:43] op_sel:[0,0,1] op_sel_hi:[1,0,0]
	v_mov_b32_e32 v21, v11
	v_pk_add_f32 v[4:5], v[4:5], v[18:19]
	s_waitcnt lgkmcnt(0)
	v_pk_mul_f32 v[46:47], v[32:33], v[46:47] op_sel_hi:[1,0]
	s_waitcnt vmcnt(3)
	v_pk_fma_f32 v[24:25], v[14:15], v[26:27], v[44:45] op_sel:[0,0,1] op_sel_hi:[1,1,0] neg_lo:[0,0,1] neg_hi:[0,0,1]
	v_pk_fma_f32 v[14:15], v[14:15], v[26:27], v[44:45] op_sel:[0,0,1] op_sel_hi:[1,0,0]
	v_mov_b32_e32 v23, v13
	v_pk_add_f32 v[4:5], v[4:5], v[20:21]
	s_waitcnt vmcnt(2)
	v_pk_fma_f32 v[26:27], v[32:33], v[28:29], v[46:47] op_sel:[0,0,1] op_sel_hi:[1,1,0] neg_lo:[0,0,1] neg_hi:[0,0,1]
	v_pk_fma_f32 v[28:29], v[32:33], v[28:29], v[46:47] op_sel:[0,0,1] op_sel_hi:[1,0,0]
	v_mov_b32_e32 v25, v15
	v_pk_add_f32 v[4:5], v[4:5], v[22:23]
	v_mov_b32_e32 v27, v29
	v_pk_add_f32 v[4:5], v[4:5], v[24:25]
	v_pk_add_f32 v[4:5], v[4:5], v[26:27]
	s_waitcnt vmcnt(0)
	v_pk_add_f32 v[4:5], v[30:31], v[4:5] neg_lo:[0,1] neg_hi:[0,1]
	buffer_store_dword v4, off, s[0:3], 0 offset:320
	buffer_store_dword v5, off, s[0:3], 0 offset:324
	s_and_saveexec_b64 s[4:5], vcc
	s_cbranch_execz .LBB111_223
; %bb.222:
	buffer_load_dword v4, off, s[0:3], 0 offset:312
	buffer_load_dword v5, off, s[0:3], 0 offset:316
	v_accvgpr_read_b32 v1, a20
	buffer_store_dword v2, off, s[0:3], 0 offset:312
	buffer_store_dword v2, off, s[0:3], 0 offset:316
	s_waitcnt vmcnt(2)
	ds_write_b64 v1, v[4:5]
.LBB111_223:
	s_or_b64 exec, exec, s[4:5]
	s_waitcnt lgkmcnt(0)
	; wave barrier
	s_waitcnt lgkmcnt(0)
	buffer_load_dword v21, off, s[0:3], 0 offset:324
	buffer_load_dword v23, off, s[0:3], 0 offset:332
	;; [unrolled: 1-line block ×18, first 2 shown]
	ds_read_b128 v[4:7], v2 offset:704
	ds_read_b128 v[8:11], v2 offset:720
	;; [unrolled: 1-line block ×4, first 2 shown]
	v_cmp_lt_u32_e32 vcc, 38, v0
	s_waitcnt vmcnt(17)
	v_mov_b32_e32 v2, v21
	s_waitcnt vmcnt(16)
	v_mov_b32_e32 v38, v23
	s_waitcnt lgkmcnt(3)
	v_pk_mul_f32 v[2:3], v[4:5], v[2:3] op_sel_hi:[1,0]
	s_waitcnt vmcnt(15)
	v_mov_b32_e32 v40, v25
	v_pk_mul_f32 v[38:39], v[6:7], v[38:39] op_sel_hi:[1,0]
	s_waitcnt vmcnt(14)
	v_mov_b32_e32 v42, v27
	s_waitcnt lgkmcnt(2)
	v_pk_mul_f32 v[40:41], v[8:9], v[40:41] op_sel_hi:[1,0]
	s_waitcnt vmcnt(13)
	v_mov_b32_e32 v44, v29
	s_waitcnt vmcnt(9)
	v_pk_fma_f32 v[52:53], v[4:5], v[20:21], v[2:3] op_sel:[0,0,1] op_sel_hi:[1,1,0] neg_lo:[0,0,1] neg_hi:[0,0,1]
	v_pk_fma_f32 v[2:3], v[4:5], v[20:21], v[2:3] op_sel:[0,0,1] op_sel_hi:[1,0,0]
	s_waitcnt vmcnt(8)
	v_pk_fma_f32 v[4:5], v[6:7], v[22:23], v[38:39] op_sel:[0,0,1] op_sel_hi:[1,1,0] neg_lo:[0,0,1] neg_hi:[0,0,1]
	v_pk_fma_f32 v[6:7], v[6:7], v[22:23], v[38:39] op_sel:[0,0,1] op_sel_hi:[1,0,0]
	v_mov_b32_e32 v53, v3
	v_pk_mul_f32 v[42:43], v[10:11], v[42:43] op_sel_hi:[1,0]
	s_waitcnt vmcnt(7)
	v_pk_fma_f32 v[20:21], v[8:9], v[24:25], v[40:41] op_sel:[0,0,1] op_sel_hi:[1,1,0] neg_lo:[0,0,1] neg_hi:[0,0,1]
	v_pk_fma_f32 v[8:9], v[8:9], v[24:25], v[40:41] op_sel:[0,0,1] op_sel_hi:[1,0,0]
	v_mov_b32_e32 v5, v7
	v_pk_add_f32 v[2:3], v[52:53], 0 op_sel_hi:[1,0]
	v_mov_b32_e32 v46, v31
	s_waitcnt lgkmcnt(1)
	v_pk_mul_f32 v[44:45], v[12:13], v[44:45] op_sel_hi:[1,0]
	s_waitcnt vmcnt(6)
	v_pk_fma_f32 v[22:23], v[10:11], v[26:27], v[42:43] op_sel:[0,0,1] op_sel_hi:[1,1,0] neg_lo:[0,0,1] neg_hi:[0,0,1]
	v_pk_fma_f32 v[10:11], v[10:11], v[26:27], v[42:43] op_sel:[0,0,1] op_sel_hi:[1,0,0]
	v_mov_b32_e32 v21, v9
	v_pk_add_f32 v[2:3], v[2:3], v[4:5]
	v_mov_b32_e32 v48, v33
	v_pk_mul_f32 v[46:47], v[14:15], v[46:47] op_sel_hi:[1,0]
	s_waitcnt vmcnt(5)
	v_pk_fma_f32 v[24:25], v[12:13], v[28:29], v[44:45] op_sel:[0,0,1] op_sel_hi:[1,1,0] neg_lo:[0,0,1] neg_hi:[0,0,1]
	v_pk_fma_f32 v[12:13], v[12:13], v[28:29], v[44:45] op_sel:[0,0,1] op_sel_hi:[1,0,0]
	v_mov_b32_e32 v23, v11
	v_pk_add_f32 v[2:3], v[2:3], v[20:21]
	v_mov_b32_e32 v50, v35
	s_waitcnt lgkmcnt(0)
	v_pk_mul_f32 v[48:49], v[16:17], v[48:49] op_sel_hi:[1,0]
	s_waitcnt vmcnt(4)
	v_pk_fma_f32 v[26:27], v[14:15], v[30:31], v[46:47] op_sel:[0,0,1] op_sel_hi:[1,1,0] neg_lo:[0,0,1] neg_hi:[0,0,1]
	v_pk_fma_f32 v[14:15], v[14:15], v[30:31], v[46:47] op_sel:[0,0,1] op_sel_hi:[1,0,0]
	v_mov_b32_e32 v25, v13
	v_pk_add_f32 v[2:3], v[2:3], v[22:23]
	v_pk_mul_f32 v[50:51], v[18:19], v[50:51] op_sel_hi:[1,0]
	s_waitcnt vmcnt(3)
	v_pk_fma_f32 v[28:29], v[16:17], v[32:33], v[48:49] op_sel:[0,0,1] op_sel_hi:[1,1,0] neg_lo:[0,0,1] neg_hi:[0,0,1]
	v_pk_fma_f32 v[16:17], v[16:17], v[32:33], v[48:49] op_sel:[0,0,1] op_sel_hi:[1,0,0]
	v_mov_b32_e32 v27, v15
	v_pk_add_f32 v[2:3], v[2:3], v[24:25]
	s_waitcnt vmcnt(2)
	v_pk_fma_f32 v[30:31], v[18:19], v[34:35], v[50:51] op_sel:[0,0,1] op_sel_hi:[1,1,0] neg_lo:[0,0,1] neg_hi:[0,0,1]
	v_pk_fma_f32 v[18:19], v[18:19], v[34:35], v[50:51] op_sel:[0,0,1] op_sel_hi:[1,0,0]
	v_mov_b32_e32 v29, v17
	v_pk_add_f32 v[2:3], v[2:3], v[26:27]
	v_mov_b32_e32 v31, v19
	v_pk_add_f32 v[2:3], v[2:3], v[28:29]
	v_pk_add_f32 v[2:3], v[2:3], v[30:31]
	s_waitcnt vmcnt(0)
	v_pk_add_f32 v[2:3], v[36:37], v[2:3] neg_lo:[0,1] neg_hi:[0,1]
	buffer_store_dword v2, off, s[0:3], 0 offset:312
	buffer_store_dword v3, off, s[0:3], 0 offset:316
	s_and_saveexec_b64 s[4:5], vcc
	s_cbranch_execz .LBB111_225
; %bb.224:
	buffer_load_dword v2, off, s[0:3], 0 offset:304
	buffer_load_dword v3, off, s[0:3], 0 offset:308
	v_mov_b32_e32 v4, 0
	v_accvgpr_read_b32 v1, a20
	buffer_store_dword v4, off, s[0:3], 0 offset:304
	buffer_store_dword v4, off, s[0:3], 0 offset:308
	s_waitcnt vmcnt(2)
	ds_write_b64 v1, v[2:3]
.LBB111_225:
	s_or_b64 exec, exec, s[4:5]
	s_waitcnt lgkmcnt(0)
	; wave barrier
	s_waitcnt lgkmcnt(0)
	buffer_load_dword v3, off, s[0:3], 0 offset:316
	buffer_load_dword v21, off, s[0:3], 0 offset:324
	;; [unrolled: 1-line block ×20, first 2 shown]
	v_mov_b32_e32 v2, 0
	ds_read2_b64 v[4:7], v2 offset0:87 offset1:88
	ds_read2_b64 v[8:11], v2 offset0:89 offset1:90
	;; [unrolled: 1-line block ×4, first 2 shown]
	ds_read_b64 v[38:39], v2 offset:760
	v_cmp_lt_u32_e32 vcc, 37, v0
	s_waitcnt vmcnt(19) lgkmcnt(4)
	v_mul_f32_e32 v41, v4, v3
	v_mul_f32_e32 v3, v5, v3
	s_waitcnt vmcnt(18)
	v_mov_b32_e32 v42, v21
	s_waitcnt vmcnt(17)
	v_mov_b32_e32 v44, v23
	;; [unrolled: 2-line block ×8, first 2 shown]
	s_waitcnt vmcnt(10)
	v_fmac_f32_e32 v41, v5, v40
	v_fma_f32 v40, v4, v40, -v3
	v_pk_mul_f32 v[4:5], v[6:7], v[42:43] op_sel_hi:[1,0]
	s_waitcnt lgkmcnt(3)
	v_pk_mul_f32 v[42:43], v[8:9], v[44:45] op_sel_hi:[1,0]
	v_pk_mul_f32 v[44:45], v[10:11], v[46:47] op_sel_hi:[1,0]
	s_waitcnt lgkmcnt(2)
	v_pk_mul_f32 v[46:47], v[12:13], v[48:49] op_sel_hi:[1,0]
	;; [unrolled: 3-line block ×4, first 2 shown]
	s_waitcnt vmcnt(9)
	v_pk_fma_f32 v[56:57], v[6:7], v[20:21], v[4:5] op_sel:[0,0,1] op_sel_hi:[1,1,0] neg_lo:[0,0,1] neg_hi:[0,0,1]
	v_pk_fma_f32 v[4:5], v[6:7], v[20:21], v[4:5] op_sel:[0,0,1] op_sel_hi:[1,0,0]
	v_pk_add_f32 v[40:41], v[40:41], 0 op_sel_hi:[1,0]
	s_waitcnt vmcnt(8)
	v_pk_fma_f32 v[6:7], v[8:9], v[22:23], v[42:43] op_sel:[0,0,1] op_sel_hi:[1,1,0] neg_lo:[0,0,1] neg_hi:[0,0,1]
	v_pk_fma_f32 v[8:9], v[8:9], v[22:23], v[42:43] op_sel:[0,0,1] op_sel_hi:[1,0,0]
	v_mov_b32_e32 v57, v5
	s_waitcnt vmcnt(7)
	v_pk_fma_f32 v[20:21], v[10:11], v[24:25], v[44:45] op_sel:[0,0,1] op_sel_hi:[1,1,0] neg_lo:[0,0,1] neg_hi:[0,0,1]
	v_pk_fma_f32 v[10:11], v[10:11], v[24:25], v[44:45] op_sel:[0,0,1] op_sel_hi:[1,0,0]
	v_mov_b32_e32 v7, v9
	v_pk_add_f32 v[4:5], v[40:41], v[56:57]
	s_waitcnt vmcnt(6)
	v_pk_fma_f32 v[22:23], v[12:13], v[26:27], v[46:47] op_sel:[0,0,1] op_sel_hi:[1,1,0] neg_lo:[0,0,1] neg_hi:[0,0,1]
	v_pk_fma_f32 v[12:13], v[12:13], v[26:27], v[46:47] op_sel:[0,0,1] op_sel_hi:[1,0,0]
	v_mov_b32_e32 v21, v11
	v_pk_add_f32 v[4:5], v[4:5], v[6:7]
	;; [unrolled: 5-line block ×5, first 2 shown]
	v_pk_fma_f32 v[30:31], v[38:39], v[34:35], v[54:55] op_sel:[0,0,1] op_sel_hi:[1,1,0] neg_lo:[0,0,1] neg_hi:[0,0,1]
	v_pk_fma_f32 v[32:33], v[38:39], v[34:35], v[54:55] op_sel:[0,0,1] op_sel_hi:[1,0,0]
	v_mov_b32_e32 v29, v19
	v_pk_add_f32 v[4:5], v[4:5], v[26:27]
	v_mov_b32_e32 v31, v33
	v_pk_add_f32 v[4:5], v[4:5], v[28:29]
	v_pk_add_f32 v[4:5], v[4:5], v[30:31]
	s_waitcnt vmcnt(0)
	v_pk_add_f32 v[4:5], v[36:37], v[4:5] neg_lo:[0,1] neg_hi:[0,1]
	buffer_store_dword v4, off, s[0:3], 0 offset:304
	buffer_store_dword v5, off, s[0:3], 0 offset:308
	s_and_saveexec_b64 s[4:5], vcc
	s_cbranch_execz .LBB111_227
; %bb.226:
	buffer_load_dword v4, off, s[0:3], 0 offset:296
	buffer_load_dword v5, off, s[0:3], 0 offset:300
	v_accvgpr_read_b32 v1, a20
	buffer_store_dword v2, off, s[0:3], 0 offset:296
	buffer_store_dword v2, off, s[0:3], 0 offset:300
	s_waitcnt vmcnt(2)
	ds_write_b64 v1, v[4:5]
.LBB111_227:
	s_or_b64 exec, exec, s[4:5]
	s_waitcnt lgkmcnt(0)
	; wave barrier
	s_waitcnt lgkmcnt(0)
	buffer_load_dword v42, off, s[0:3], 0 offset:308
	buffer_load_dword v44, off, s[0:3], 0 offset:316
	;; [unrolled: 1-line block ×22, first 2 shown]
	ds_read_b128 v[4:7], v2 offset:688
	ds_read_b128 v[8:11], v2 offset:704
	;; [unrolled: 1-line block ×5, first 2 shown]
	v_cmp_lt_u32_e32 vcc, 36, v0
	s_waitcnt vmcnt(21) lgkmcnt(4)
	v_mul_f32_e32 v3, v4, v42
	s_waitcnt vmcnt(20)
	v_mul_f32_e32 v43, v6, v44
	v_mul_f32_e32 v2, v5, v42
	;; [unrolled: 1-line block ×3, first 2 shown]
	s_waitcnt vmcnt(19)
	v_mov_b32_e32 v44, v25
	s_waitcnt vmcnt(18)
	v_mov_b32_e32 v46, v27
	;; [unrolled: 2-line block ×5, first 2 shown]
	v_mov_b32_e32 v50, v31
	s_waitcnt vmcnt(11)
	v_fmac_f32_e32 v3, v5, v45
	v_fma_f32 v2, v4, v45, -v2
	s_waitcnt lgkmcnt(3)
	v_pk_mul_f32 v[4:5], v[8:9], v[44:45] op_sel_hi:[1,0]
	s_waitcnt vmcnt(10)
	v_fmac_f32_e32 v43, v7, v47
	v_fma_f32 v42, v6, v47, -v42
	v_pk_mul_f32 v[6:7], v[10:11], v[46:47] op_sel_hi:[1,0]
	s_waitcnt lgkmcnt(2)
	v_pk_mul_f32 v[44:45], v[12:13], v[48:49] op_sel_hi:[1,0]
	s_waitcnt lgkmcnt(1)
	;; [unrolled: 2-line block ×3, first 2 shown]
	v_pk_mul_f32 v[52:53], v[20:21], v[56:57] op_sel_hi:[1,0]
	v_pk_add_f32 v[2:3], v[2:3], 0 op_sel_hi:[1,0]
	s_waitcnt vmcnt(9)
	v_pk_fma_f32 v[56:57], v[8:9], v[24:25], v[4:5] op_sel:[0,0,1] op_sel_hi:[1,1,0] neg_lo:[0,0,1] neg_hi:[0,0,1]
	v_pk_fma_f32 v[4:5], v[8:9], v[24:25], v[4:5] op_sel:[0,0,1] op_sel_hi:[1,0,0]
	s_waitcnt vmcnt(8)
	v_pk_fma_f32 v[8:9], v[10:11], v[26:27], v[6:7] op_sel:[0,0,1] op_sel_hi:[1,1,0] neg_lo:[0,0,1] neg_hi:[0,0,1]
	v_pk_fma_f32 v[6:7], v[10:11], v[26:27], v[6:7] op_sel:[0,0,1] op_sel_hi:[1,0,0]
	v_pk_add_f32 v[2:3], v[2:3], v[42:43]
	v_mov_b32_e32 v57, v5
	v_pk_mul_f32 v[46:47], v[14:15], v[50:51] op_sel_hi:[1,0]
	s_waitcnt vmcnt(7)
	v_pk_fma_f32 v[10:11], v[12:13], v[28:29], v[44:45] op_sel:[0,0,1] op_sel_hi:[1,1,0] neg_lo:[0,0,1] neg_hi:[0,0,1]
	v_pk_fma_f32 v[12:13], v[12:13], v[28:29], v[44:45] op_sel:[0,0,1] op_sel_hi:[1,0,0]
	v_mov_b32_e32 v9, v7
	v_pk_add_f32 v[2:3], v[2:3], v[56:57]
	v_mov_b32_e32 v54, v35
	s_waitcnt vmcnt(6)
	v_pk_fma_f32 v[24:25], v[14:15], v[30:31], v[46:47] op_sel:[0,0,1] op_sel_hi:[1,1,0] neg_lo:[0,0,1] neg_hi:[0,0,1]
	v_pk_fma_f32 v[14:15], v[14:15], v[30:31], v[46:47] op_sel:[0,0,1] op_sel_hi:[1,0,0]
	v_mov_b32_e32 v11, v13
	v_pk_add_f32 v[2:3], v[2:3], v[8:9]
	v_pk_mul_f32 v[50:51], v[18:19], v[54:55] op_sel_hi:[1,0]
	s_waitcnt vmcnt(5)
	v_pk_fma_f32 v[26:27], v[16:17], v[32:33], v[48:49] op_sel:[0,0,1] op_sel_hi:[1,1,0] neg_lo:[0,0,1] neg_hi:[0,0,1]
	v_pk_fma_f32 v[16:17], v[16:17], v[32:33], v[48:49] op_sel:[0,0,1] op_sel_hi:[1,0,0]
	v_mov_b32_e32 v25, v15
	v_pk_add_f32 v[2:3], v[2:3], v[10:11]
	v_mov_b32_e32 v58, v39
	s_waitcnt vmcnt(2)
	v_pk_fma_f32 v[28:29], v[18:19], v[34:35], v[50:51] op_sel:[0,0,1] op_sel_hi:[1,1,0] neg_lo:[0,0,1] neg_hi:[0,0,1]
	v_pk_fma_f32 v[18:19], v[18:19], v[34:35], v[50:51] op_sel:[0,0,1] op_sel_hi:[1,0,0]
	v_mov_b32_e32 v27, v17
	v_pk_add_f32 v[2:3], v[2:3], v[24:25]
	v_pk_mul_f32 v[54:55], v[22:23], v[58:59] op_sel_hi:[1,0]
	v_pk_fma_f32 v[30:31], v[20:21], v[36:37], v[52:53] op_sel:[0,0,1] op_sel_hi:[1,1,0] neg_lo:[0,0,1] neg_hi:[0,0,1]
	v_pk_fma_f32 v[20:21], v[20:21], v[36:37], v[52:53] op_sel:[0,0,1] op_sel_hi:[1,0,0]
	v_mov_b32_e32 v29, v19
	v_pk_add_f32 v[2:3], v[2:3], v[26:27]
	v_pk_fma_f32 v[32:33], v[22:23], v[38:39], v[54:55] op_sel:[0,0,1] op_sel_hi:[1,1,0] neg_lo:[0,0,1] neg_hi:[0,0,1]
	v_pk_fma_f32 v[22:23], v[22:23], v[38:39], v[54:55] op_sel:[0,0,1] op_sel_hi:[1,0,0]
	v_mov_b32_e32 v31, v21
	v_pk_add_f32 v[2:3], v[2:3], v[28:29]
	v_mov_b32_e32 v33, v23
	v_pk_add_f32 v[2:3], v[2:3], v[30:31]
	v_pk_add_f32 v[2:3], v[2:3], v[32:33]
	s_waitcnt vmcnt(0)
	v_pk_add_f32 v[2:3], v[40:41], v[2:3] neg_lo:[0,1] neg_hi:[0,1]
	buffer_store_dword v2, off, s[0:3], 0 offset:296
	buffer_store_dword v3, off, s[0:3], 0 offset:300
	s_and_saveexec_b64 s[4:5], vcc
	s_cbranch_execz .LBB111_229
; %bb.228:
	buffer_load_dword v2, off, s[0:3], 0 offset:288
	buffer_load_dword v3, off, s[0:3], 0 offset:292
	v_mov_b32_e32 v4, 0
	v_accvgpr_read_b32 v1, a20
	buffer_store_dword v4, off, s[0:3], 0 offset:288
	buffer_store_dword v4, off, s[0:3], 0 offset:292
	s_waitcnt vmcnt(2)
	ds_write_b64 v1, v[2:3]
.LBB111_229:
	s_or_b64 exec, exec, s[4:5]
	s_waitcnt lgkmcnt(0)
	; wave barrier
	s_waitcnt lgkmcnt(0)
	buffer_load_dword v3, off, s[0:3], 0 offset:300
	buffer_load_dword v44, off, s[0:3], 0 offset:308
	;; [unrolled: 1-line block ×24, first 2 shown]
	v_mov_b32_e32 v2, 0
	ds_read2_b64 v[4:7], v2 offset0:85 offset1:86
	ds_read2_b64 v[8:11], v2 offset0:87 offset1:88
	;; [unrolled: 1-line block ×5, first 2 shown]
	ds_read_b64 v[42:43], v2 offset:760
	v_cmp_lt_u32_e32 vcc, 35, v0
	s_waitcnt vmcnt(23) lgkmcnt(5)
	v_mul_f32_e32 v57, v4, v3
	v_mul_f32_e32 v3, v5, v3
	s_waitcnt vmcnt(22)
	v_mul_f32_e32 v45, v6, v44
	s_waitcnt vmcnt(21) lgkmcnt(4)
	v_mul_f32_e32 v47, v8, v46
	v_mul_f32_e32 v44, v7, v44
	;; [unrolled: 1-line block ×3, first 2 shown]
	s_waitcnt vmcnt(20)
	v_mov_b32_e32 v48, v25
	s_waitcnt vmcnt(19)
	v_mov_b32_e32 v50, v27
	;; [unrolled: 2-line block ×5, first 2 shown]
	s_waitcnt vmcnt(12)
	v_fmac_f32_e32 v57, v5, v49
	v_fma_f32 v3, v4, v49, -v3
	v_mov_b32_e32 v58, v35
	s_waitcnt vmcnt(11)
	v_fmac_f32_e32 v45, v7, v51
	s_waitcnt vmcnt(10)
	v_fmac_f32_e32 v47, v9, v53
	v_fma_f32 v44, v6, v51, -v44
	v_fma_f32 v46, v8, v53, -v46
	v_pk_mul_f32 v[4:5], v[10:11], v[48:49] op_sel_hi:[1,0]
	s_waitcnt lgkmcnt(3)
	v_pk_mul_f32 v[6:7], v[12:13], v[50:51] op_sel_hi:[1,0]
	v_pk_mul_f32 v[8:9], v[14:15], v[52:53] op_sel_hi:[1,0]
	s_waitcnt lgkmcnt(2)
	v_pk_mul_f32 v[48:49], v[16:17], v[54:55] op_sel_hi:[1,0]
	v_pk_mul_f32 v[50:51], v[18:19], v[56:57] op_sel_hi:[1,0]
	v_add_f32_e32 v57, 0, v57
	v_add_f32_e32 v56, 0, v3
	s_waitcnt lgkmcnt(1)
	v_pk_mul_f32 v[52:53], v[20:21], v[58:59] op_sel_hi:[1,0]
	s_waitcnt vmcnt(9)
	v_pk_fma_f32 v[58:59], v[10:11], v[24:25], v[4:5] op_sel:[0,0,1] op_sel_hi:[1,1,0] neg_lo:[0,0,1] neg_hi:[0,0,1]
	v_pk_fma_f32 v[4:5], v[10:11], v[24:25], v[4:5] op_sel:[0,0,1] op_sel_hi:[1,0,0]
	s_waitcnt vmcnt(8)
	v_pk_fma_f32 v[10:11], v[12:13], v[26:27], v[6:7] op_sel:[0,0,1] op_sel_hi:[1,1,0] neg_lo:[0,0,1] neg_hi:[0,0,1]
	v_pk_fma_f32 v[6:7], v[12:13], v[26:27], v[6:7] op_sel:[0,0,1] op_sel_hi:[1,0,0]
	;; [unrolled: 3-line block ×4, first 2 shown]
	v_pk_add_f32 v[30:31], v[56:57], v[44:45]
	v_mov_b32_e32 v59, v5
	v_pk_add_f32 v[4:5], v[30:31], v[46:47]
	v_mov_b32_e32 v11, v7
	;; [unrolled: 2-line block ×4, first 2 shown]
	s_waitcnt vmcnt(2)
	v_pk_fma_f32 v[24:25], v[18:19], v[32:33], v[50:51] op_sel:[0,0,1] op_sel_hi:[1,1,0] neg_lo:[0,0,1] neg_hi:[0,0,1]
	v_pk_fma_f32 v[18:19], v[18:19], v[32:33], v[50:51] op_sel:[0,0,1] op_sel_hi:[1,0,0]
	v_mov_b32_e32 v15, v17
	v_pk_add_f32 v[4:5], v[4:5], v[12:13]
	v_mov_b32_e32 v62, v39
	v_pk_mul_f32 v[54:55], v[22:23], v[60:61] op_sel_hi:[1,0]
	v_pk_fma_f32 v[26:27], v[20:21], v[34:35], v[52:53] op_sel:[0,0,1] op_sel_hi:[1,1,0] neg_lo:[0,0,1] neg_hi:[0,0,1]
	v_pk_fma_f32 v[20:21], v[20:21], v[34:35], v[52:53] op_sel:[0,0,1] op_sel_hi:[1,0,0]
	v_mov_b32_e32 v25, v19
	v_pk_add_f32 v[4:5], v[4:5], v[14:15]
	v_pk_fma_f32 v[28:29], v[22:23], v[36:37], v[54:55] op_sel:[0,0,1] op_sel_hi:[1,1,0] neg_lo:[0,0,1] neg_hi:[0,0,1]
	v_pk_fma_f32 v[22:23], v[22:23], v[36:37], v[54:55] op_sel:[0,0,1] op_sel_hi:[1,0,0]
	v_mov_b32_e32 v27, v21
	v_pk_add_f32 v[4:5], v[4:5], v[24:25]
	s_waitcnt lgkmcnt(0)
	v_pk_mul_f32 v[6:7], v[42:43], v[62:63] op_sel_hi:[1,0]
	v_mov_b32_e32 v29, v23
	v_pk_add_f32 v[4:5], v[4:5], v[26:27]
	v_pk_fma_f32 v[8:9], v[42:43], v[38:39], v[6:7] op_sel:[0,0,1] op_sel_hi:[1,1,0] neg_lo:[0,0,1] neg_hi:[0,0,1]
	v_pk_fma_f32 v[6:7], v[42:43], v[38:39], v[6:7] op_sel:[0,0,1] op_sel_hi:[1,0,0]
	v_pk_add_f32 v[4:5], v[4:5], v[28:29]
	v_mov_b32_e32 v9, v7
	v_pk_add_f32 v[4:5], v[4:5], v[8:9]
	s_waitcnt vmcnt(0)
	v_pk_add_f32 v[4:5], v[40:41], v[4:5] neg_lo:[0,1] neg_hi:[0,1]
	buffer_store_dword v5, off, s[0:3], 0 offset:292
	buffer_store_dword v4, off, s[0:3], 0 offset:288
	s_and_saveexec_b64 s[4:5], vcc
	s_cbranch_execz .LBB111_231
; %bb.230:
	buffer_load_dword v4, off, s[0:3], 0 offset:280
	buffer_load_dword v5, off, s[0:3], 0 offset:284
	v_accvgpr_read_b32 v1, a20
	buffer_store_dword v2, off, s[0:3], 0 offset:280
	buffer_store_dword v2, off, s[0:3], 0 offset:284
	s_waitcnt vmcnt(2)
	ds_write_b64 v1, v[4:5]
.LBB111_231:
	s_or_b64 exec, exec, s[4:5]
	s_waitcnt lgkmcnt(0)
	; wave barrier
	s_waitcnt lgkmcnt(0)
	buffer_load_dword v46, off, s[0:3], 0 offset:292
	buffer_load_dword v48, off, s[0:3], 0 offset:300
	;; [unrolled: 1-line block ×26, first 2 shown]
	ds_read_b128 v[4:7], v2 offset:672
	ds_read_b128 v[8:11], v2 offset:688
	;; [unrolled: 1-line block ×6, first 2 shown]
	v_cmp_lt_u32_e32 vcc, 34, v0
	s_waitcnt vmcnt(25) lgkmcnt(5)
	v_mul_f32_e32 v59, v4, v46
	v_mul_f32_e32 v2, v5, v46
	s_waitcnt vmcnt(24)
	v_mul_f32_e32 v60, v6, v48
	s_waitcnt vmcnt(23) lgkmcnt(4)
	v_mul_f32_e32 v3, v8, v49
	s_waitcnt vmcnt(22)
	v_mul_f32_e32 v47, v10, v50
	v_mul_f32_e32 v46, v7, v48
	;; [unrolled: 1-line block ×4, first 2 shown]
	s_waitcnt vmcnt(21)
	v_mov_b32_e32 v48, v29
	s_waitcnt vmcnt(20)
	v_mov_b32_e32 v50, v31
	;; [unrolled: 2-line block ×3, first 2 shown]
	s_waitcnt vmcnt(15)
	v_fmac_f32_e32 v59, v5, v51
	v_fma_f32 v62, v4, v51, -v2
	v_mov_b32_e32 v52, v33
	s_waitcnt vmcnt(14)
	v_fmac_f32_e32 v60, v7, v53
	s_waitcnt vmcnt(13)
	v_fmac_f32_e32 v3, v9, v55
	;; [unrolled: 2-line block ×3, first 2 shown]
	v_fma_f32 v63, v6, v53, -v46
	v_fma_f32 v2, v8, v55, -v49
	v_fma_f32 v46, v10, v57, -v61
	s_waitcnt lgkmcnt(3)
	v_pk_mul_f32 v[4:5], v[12:13], v[48:49] op_sel_hi:[1,0]
	v_pk_mul_f32 v[6:7], v[14:15], v[50:51] op_sel_hi:[1,0]
	s_waitcnt lgkmcnt(2)
	v_pk_mul_f32 v[10:11], v[18:19], v[54:55] op_sel_hi:[1,0]
	v_add_f32_e32 v54, 0, v59
	v_add_f32_e32 v55, 0, v62
	v_pk_mul_f32 v[8:9], v[16:17], v[52:53] op_sel_hi:[1,0]
	s_waitcnt vmcnt(11)
	v_pk_fma_f32 v[52:53], v[12:13], v[28:29], v[4:5] op_sel:[0,0,1] op_sel_hi:[1,1,0] neg_lo:[0,0,1] neg_hi:[0,0,1]
	v_pk_fma_f32 v[4:5], v[12:13], v[28:29], v[4:5] op_sel:[0,0,1] op_sel_hi:[1,0,0]
	s_waitcnt vmcnt(10)
	v_pk_fma_f32 v[12:13], v[14:15], v[30:31], v[6:7] op_sel:[0,0,1] op_sel_hi:[1,1,0] neg_lo:[0,0,1] neg_hi:[0,0,1]
	v_pk_fma_f32 v[6:7], v[14:15], v[30:31], v[6:7] op_sel:[0,0,1] op_sel_hi:[1,0,0]
	v_add_f32_e32 v31, v54, v60
	v_add_f32_e32 v30, v55, v63
	v_pk_add_f32 v[2:3], v[30:31], v[2:3]
	v_mov_b32_e32 v53, v5
	v_pk_add_f32 v[2:3], v[2:3], v[46:47]
	v_mov_b32_e32 v56, v37
	s_waitcnt vmcnt(9)
	v_pk_fma_f32 v[14:15], v[16:17], v[32:33], v[8:9] op_sel:[0,0,1] op_sel_hi:[1,1,0] neg_lo:[0,0,1] neg_hi:[0,0,1]
	v_pk_fma_f32 v[8:9], v[16:17], v[32:33], v[8:9] op_sel:[0,0,1] op_sel_hi:[1,0,0]
	v_mov_b32_e32 v13, v7
	v_pk_add_f32 v[2:3], v[2:3], v[52:53]
	v_mov_b32_e32 v58, v39
	s_waitcnt lgkmcnt(1)
	v_pk_mul_f32 v[48:49], v[20:21], v[56:57] op_sel_hi:[1,0]
	s_waitcnt vmcnt(5)
	v_pk_fma_f32 v[16:17], v[18:19], v[34:35], v[10:11] op_sel:[0,0,1] op_sel_hi:[1,1,0] neg_lo:[0,0,1] neg_hi:[0,0,1]
	v_pk_fma_f32 v[10:11], v[18:19], v[34:35], v[10:11] op_sel:[0,0,1] op_sel_hi:[1,0,0]
	v_mov_b32_e32 v15, v9
	v_pk_add_f32 v[2:3], v[2:3], v[12:13]
	s_waitcnt vmcnt(4)
	v_mov_b32_e32 v4, v41
	v_pk_mul_f32 v[50:51], v[22:23], v[58:59] op_sel_hi:[1,0]
	v_pk_fma_f32 v[18:19], v[20:21], v[36:37], v[48:49] op_sel:[0,0,1] op_sel_hi:[1,1,0] neg_lo:[0,0,1] neg_hi:[0,0,1]
	v_pk_fma_f32 v[20:21], v[20:21], v[36:37], v[48:49] op_sel:[0,0,1] op_sel_hi:[1,0,0]
	v_mov_b32_e32 v17, v11
	v_pk_add_f32 v[2:3], v[2:3], v[14:15]
	s_waitcnt lgkmcnt(0)
	v_pk_mul_f32 v[4:5], v[24:25], v[4:5] op_sel_hi:[1,0]
	v_pk_fma_f32 v[28:29], v[22:23], v[38:39], v[50:51] op_sel:[0,0,1] op_sel_hi:[1,1,0] neg_lo:[0,0,1] neg_hi:[0,0,1]
	v_pk_fma_f32 v[22:23], v[22:23], v[38:39], v[50:51] op_sel:[0,0,1] op_sel_hi:[1,0,0]
	v_mov_b32_e32 v19, v21
	v_pk_add_f32 v[2:3], v[2:3], v[16:17]
	v_pk_fma_f32 v[6:7], v[24:25], v[40:41], v[4:5] op_sel:[0,0,1] op_sel_hi:[1,1,0] neg_lo:[0,0,1] neg_hi:[0,0,1]
	v_pk_fma_f32 v[4:5], v[24:25], v[40:41], v[4:5] op_sel:[0,0,1] op_sel_hi:[1,0,0]
	v_mov_b32_e32 v29, v23
	v_pk_add_f32 v[2:3], v[2:3], v[18:19]
	s_waitcnt vmcnt(3)
	v_mov_b32_e32 v4, v43
	v_pk_add_f32 v[2:3], v[2:3], v[28:29]
	v_mov_b32_e32 v7, v5
	v_pk_mul_f32 v[4:5], v[26:27], v[4:5] op_sel_hi:[1,0]
	v_pk_add_f32 v[2:3], v[2:3], v[6:7]
	s_waitcnt vmcnt(2)
	v_pk_fma_f32 v[6:7], v[26:27], v[42:43], v[4:5] op_sel:[0,0,1] op_sel_hi:[1,1,0] neg_lo:[0,0,1] neg_hi:[0,0,1]
	v_pk_fma_f32 v[4:5], v[26:27], v[42:43], v[4:5] op_sel:[0,0,1] op_sel_hi:[1,0,0]
	v_mov_b32_e32 v7, v5
	v_pk_add_f32 v[2:3], v[2:3], v[6:7]
	s_waitcnt vmcnt(0)
	v_pk_add_f32 v[2:3], v[44:45], v[2:3] neg_lo:[0,1] neg_hi:[0,1]
	buffer_store_dword v3, off, s[0:3], 0 offset:284
	buffer_store_dword v2, off, s[0:3], 0 offset:280
	s_and_saveexec_b64 s[4:5], vcc
	s_cbranch_execz .LBB111_233
; %bb.232:
	buffer_load_dword v2, off, s[0:3], 0 offset:272
	buffer_load_dword v3, off, s[0:3], 0 offset:276
	v_mov_b32_e32 v4, 0
	v_accvgpr_read_b32 v1, a20
	buffer_store_dword v4, off, s[0:3], 0 offset:272
	buffer_store_dword v4, off, s[0:3], 0 offset:276
	s_waitcnt vmcnt(2)
	ds_write_b64 v1, v[2:3]
.LBB111_233:
	s_or_b64 exec, exec, s[4:5]
	s_waitcnt lgkmcnt(0)
	; wave barrier
	s_waitcnt lgkmcnt(0)
	buffer_load_dword v3, off, s[0:3], 0 offset:284
	buffer_load_dword v48, off, s[0:3], 0 offset:292
	;; [unrolled: 1-line block ×28, first 2 shown]
	v_mov_b32_e32 v2, 0
	ds_read2_b64 v[4:7], v2 offset0:83 offset1:84
	ds_read2_b64 v[8:11], v2 offset0:85 offset1:86
	;; [unrolled: 1-line block ×6, first 2 shown]
	ds_read_b64 v[46:47], v2 offset:760
	v_cmp_lt_u32_e32 vcc, 33, v0
	s_waitcnt vmcnt(27) lgkmcnt(6)
	v_mul_f32_e32 v63, v4, v3
	v_mul_f32_e32 v3, v5, v3
	s_waitcnt vmcnt(26)
	v_mul_f32_e32 v64, v6, v48
	s_waitcnt vmcnt(24) lgkmcnt(5)
	v_mul_f32_e32 v49, v10, v52
	s_waitcnt vmcnt(23) lgkmcnt(4)
	v_mul_f32_e32 v51, v12, v53
	v_mul_f32_e32 v66, v11, v52
	;; [unrolled: 1-line block ×3, first 2 shown]
	s_waitcnt vmcnt(22)
	v_mov_b32_e32 v52, v29
	v_mul_f32_e32 v65, v8, v50
	v_mul_f32_e32 v48, v7, v48
	;; [unrolled: 1-line block ×3, first 2 shown]
	s_waitcnt vmcnt(17)
	v_fmac_f32_e32 v63, v5, v55
	v_fma_f32 v3, v4, v55, -v3
	v_pk_mul_f32 v[4:5], v[14:15], v[52:53] op_sel_hi:[1,0]
	s_waitcnt vmcnt(16)
	v_fmac_f32_e32 v64, v7, v57
	s_waitcnt vmcnt(13)
	v_fmac_f32_e32 v51, v13, v62
	v_fma_f32 v55, v6, v57, -v48
	v_fma_f32 v57, v8, v59, -v50
	;; [unrolled: 1-line block ×3, first 2 shown]
	v_add_f32_e32 v52, 0, v63
	v_add_f32_e32 v3, 0, v3
	s_waitcnt vmcnt(12)
	v_pk_fma_f32 v[12:13], v[14:15], v[28:29], v[4:5] op_sel:[0,0,1] op_sel_hi:[1,1,0] neg_lo:[0,0,1] neg_hi:[0,0,1]
	v_pk_fma_f32 v[4:5], v[14:15], v[28:29], v[4:5] op_sel:[0,0,1] op_sel_hi:[1,0,0]
	v_fmac_f32_e32 v65, v9, v59
	v_add_f32_e32 v4, v52, v64
	v_add_f32_e32 v3, v3, v55
	v_mov_b32_e32 v54, v31
	v_fmac_f32_e32 v49, v11, v61
	v_fma_f32 v48, v10, v61, -v66
	v_mov_b32_e32 v13, v5
	v_add_f32_e32 v5, v4, v65
	v_add_f32_e32 v4, v3, v57
	v_mov_b32_e32 v56, v33
	s_waitcnt lgkmcnt(3)
	v_pk_mul_f32 v[6:7], v[16:17], v[54:55] op_sel_hi:[1,0]
	v_pk_add_f32 v[4:5], v[4:5], v[48:49]
	v_mov_b32_e32 v58, v35
	v_mov_b32_e32 v60, v37
	v_pk_mul_f32 v[8:9], v[18:19], v[56:57] op_sel_hi:[1,0]
	s_waitcnt vmcnt(11)
	v_pk_fma_f32 v[14:15], v[16:17], v[30:31], v[6:7] op_sel:[0,0,1] op_sel_hi:[1,1,0] neg_lo:[0,0,1] neg_hi:[0,0,1]
	v_pk_fma_f32 v[6:7], v[16:17], v[30:31], v[6:7] op_sel:[0,0,1] op_sel_hi:[1,0,0]
	v_pk_add_f32 v[4:5], v[4:5], v[50:51]
	s_waitcnt lgkmcnt(2)
	v_pk_mul_f32 v[10:11], v[20:21], v[58:59] op_sel_hi:[1,0]
	s_waitcnt vmcnt(7)
	v_pk_fma_f32 v[16:17], v[18:19], v[32:33], v[8:9] op_sel:[0,0,1] op_sel_hi:[1,1,0] neg_lo:[0,0,1] neg_hi:[0,0,1]
	v_pk_fma_f32 v[8:9], v[18:19], v[32:33], v[8:9] op_sel:[0,0,1] op_sel_hi:[1,0,0]
	v_mov_b32_e32 v15, v7
	v_pk_add_f32 v[4:5], v[4:5], v[12:13]
	v_pk_mul_f32 v[6:7], v[22:23], v[60:61] op_sel_hi:[1,0]
	v_pk_fma_f32 v[18:19], v[20:21], v[34:35], v[10:11] op_sel:[0,0,1] op_sel_hi:[1,1,0] neg_lo:[0,0,1] neg_hi:[0,0,1]
	v_pk_fma_f32 v[10:11], v[20:21], v[34:35], v[10:11] op_sel:[0,0,1] op_sel_hi:[1,0,0]
	v_mov_b32_e32 v17, v9
	v_pk_add_f32 v[4:5], v[4:5], v[14:15]
	v_pk_fma_f32 v[8:9], v[22:23], v[36:37], v[6:7] op_sel:[0,0,1] op_sel_hi:[1,1,0] neg_lo:[0,0,1] neg_hi:[0,0,1]
	v_pk_fma_f32 v[6:7], v[22:23], v[36:37], v[6:7] op_sel:[0,0,1] op_sel_hi:[1,0,0]
	v_mov_b32_e32 v19, v11
	v_pk_add_f32 v[4:5], v[4:5], v[16:17]
	s_waitcnt vmcnt(6)
	v_mov_b32_e32 v6, v39
	v_pk_add_f32 v[4:5], v[4:5], v[18:19]
	v_mov_b32_e32 v9, v7
	s_waitcnt lgkmcnt(1)
	v_pk_mul_f32 v[6:7], v[24:25], v[6:7] op_sel_hi:[1,0]
	v_pk_add_f32 v[4:5], v[4:5], v[8:9]
	v_pk_fma_f32 v[8:9], v[24:25], v[38:39], v[6:7] op_sel:[0,0,1] op_sel_hi:[1,1,0] neg_lo:[0,0,1] neg_hi:[0,0,1]
	v_pk_fma_f32 v[6:7], v[24:25], v[38:39], v[6:7] op_sel:[0,0,1] op_sel_hi:[1,0,0]
	s_waitcnt vmcnt(5)
	v_mov_b32_e32 v6, v41
	v_mov_b32_e32 v9, v7
	v_pk_mul_f32 v[6:7], v[26:27], v[6:7] op_sel_hi:[1,0]
	v_pk_add_f32 v[4:5], v[4:5], v[8:9]
	s_waitcnt vmcnt(3)
	v_pk_fma_f32 v[8:9], v[26:27], v[40:41], v[6:7] op_sel:[0,0,1] op_sel_hi:[1,1,0] neg_lo:[0,0,1] neg_hi:[0,0,1]
	v_pk_fma_f32 v[6:7], v[26:27], v[40:41], v[6:7] op_sel:[0,0,1] op_sel_hi:[1,0,0]
	s_waitcnt vmcnt(2)
	v_mov_b32_e32 v6, v43
	v_mov_b32_e32 v9, v7
	s_waitcnt lgkmcnt(0)
	v_pk_mul_f32 v[6:7], v[46:47], v[6:7] op_sel_hi:[1,0]
	v_pk_add_f32 v[4:5], v[4:5], v[8:9]
	v_pk_fma_f32 v[8:9], v[46:47], v[42:43], v[6:7] op_sel:[0,0,1] op_sel_hi:[1,1,0] neg_lo:[0,0,1] neg_hi:[0,0,1]
	v_pk_fma_f32 v[6:7], v[46:47], v[42:43], v[6:7] op_sel:[0,0,1] op_sel_hi:[1,0,0]
	v_mov_b32_e32 v9, v7
	v_pk_add_f32 v[4:5], v[4:5], v[8:9]
	s_waitcnt vmcnt(0)
	v_pk_add_f32 v[4:5], v[44:45], v[4:5] neg_lo:[0,1] neg_hi:[0,1]
	buffer_store_dword v5, off, s[0:3], 0 offset:276
	buffer_store_dword v4, off, s[0:3], 0 offset:272
	s_and_saveexec_b64 s[4:5], vcc
	s_cbranch_execz .LBB111_235
; %bb.234:
	buffer_load_dword v4, off, s[0:3], 0 offset:264
	buffer_load_dword v5, off, s[0:3], 0 offset:268
	v_accvgpr_read_b32 v1, a20
	buffer_store_dword v2, off, s[0:3], 0 offset:264
	buffer_store_dword v2, off, s[0:3], 0 offset:268
	s_waitcnt vmcnt(2)
	ds_write_b64 v1, v[4:5]
.LBB111_235:
	s_or_b64 exec, exec, s[4:5]
	s_waitcnt lgkmcnt(0)
	; wave barrier
	s_waitcnt lgkmcnt(0)
	buffer_load_dword v50, off, s[0:3], 0 offset:276
	buffer_load_dword v52, off, s[0:3], 0 offset:284
	buffer_load_dword v53, off, s[0:3], 0 offset:292
	buffer_load_dword v54, off, s[0:3], 0 offset:300
	buffer_load_dword v55, off, s[0:3], 0 offset:308
	buffer_load_dword v56, off, s[0:3], 0 offset:316
	buffer_load_dword v33, off, s[0:3], 0 offset:324
	buffer_load_dword v35, off, s[0:3], 0 offset:332
	buffer_load_dword v37, off, s[0:3], 0 offset:340
	buffer_load_dword v57, off, s[0:3], 0 offset:272
	buffer_load_dword v58, off, s[0:3], 0 offset:280
	buffer_load_dword v59, off, s[0:3], 0 offset:288
	buffer_load_dword v60, off, s[0:3], 0 offset:296
	buffer_load_dword v61, off, s[0:3], 0 offset:304
	buffer_load_dword v62, off, s[0:3], 0 offset:312
	buffer_load_dword v32, off, s[0:3], 0 offset:320
	buffer_load_dword v38, off, s[0:3], 0 offset:352
	buffer_load_dword v40, off, s[0:3], 0 offset:344
	buffer_load_dword v36, off, s[0:3], 0 offset:336
	buffer_load_dword v34, off, s[0:3], 0 offset:328
	buffer_load_dword v41, off, s[0:3], 0 offset:348
	buffer_load_dword v39, off, s[0:3], 0 offset:356
	buffer_load_dword v43, off, s[0:3], 0 offset:364
	buffer_load_dword v44, off, s[0:3], 0 offset:376
	buffer_load_dword v46, off, s[0:3], 0 offset:368
	buffer_load_dword v42, off, s[0:3], 0 offset:360
	buffer_load_dword v47, off, s[0:3], 0 offset:372
	buffer_load_dword v48, off, s[0:3], 0 offset:264
	buffer_load_dword v49, off, s[0:3], 0 offset:268
	buffer_load_dword v45, off, s[0:3], 0 offset:380
	ds_read_b128 v[4:7], v2 offset:656
	ds_read_b128 v[8:11], v2 offset:672
	;; [unrolled: 1-line block ×7, first 2 shown]
	v_cmp_lt_u32_e32 vcc, 32, v0
	s_waitcnt vmcnt(29) lgkmcnt(6)
	v_mul_f32_e32 v63, v4, v50
	s_waitcnt vmcnt(28)
	v_mul_f32_e32 v64, v6, v52
	s_waitcnt vmcnt(27) lgkmcnt(5)
	v_mul_f32_e32 v65, v8, v53
	v_mul_f32_e32 v53, v9, v53
	s_waitcnt vmcnt(26)
	v_mul_f32_e32 v66, v10, v54
	s_waitcnt vmcnt(25) lgkmcnt(4)
	v_mul_f32_e32 v3, v12, v55
	v_mul_f32_e32 v2, v5, v50
	;; [unrolled: 1-line block ×5, first 2 shown]
	s_waitcnt vmcnt(23)
	v_mov_b32_e32 v52, v33
	s_waitcnt vmcnt(22)
	v_mov_b32_e32 v54, v35
	s_waitcnt vmcnt(18)
	v_fma_f32 v53, v8, v59, -v53
	v_fmac_f32_e32 v63, v5, v57
	v_fmac_f32_e32 v64, v7, v58
	s_waitcnt vmcnt(17)
	v_fmac_f32_e32 v66, v11, v60
	v_fma_f32 v11, v4, v57, -v2
	v_fma_f32 v57, v6, v58, -v50
	s_waitcnt lgkmcnt(3)
	v_pk_mul_f32 v[4:5], v[16:17], v[52:53] op_sel_hi:[1,0]
	v_pk_mul_f32 v[6:7], v[18:19], v[54:55] op_sel_hi:[1,0]
	s_waitcnt vmcnt(16)
	v_fmac_f32_e32 v3, v13, v61
	v_fma_f32 v58, v10, v60, -v67
	v_fma_f32 v2, v12, v61, -v55
	v_add_f32_e32 v52, 0, v63
	v_add_f32_e32 v54, 0, v11
	s_waitcnt vmcnt(14)
	v_pk_fma_f32 v[10:11], v[16:17], v[32:33], v[4:5] op_sel:[0,0,1] op_sel_hi:[1,1,0] neg_lo:[0,0,1] neg_hi:[0,0,1]
	v_pk_fma_f32 v[4:5], v[16:17], v[32:33], v[4:5] op_sel:[0,0,1] op_sel_hi:[1,0,0]
	s_waitcnt vmcnt(10)
	v_pk_fma_f32 v[12:13], v[18:19], v[34:35], v[6:7] op_sel:[0,0,1] op_sel_hi:[1,1,0] neg_lo:[0,0,1] neg_hi:[0,0,1]
	v_pk_fma_f32 v[6:7], v[18:19], v[34:35], v[6:7] op_sel:[0,0,1] op_sel_hi:[1,0,0]
	v_fmac_f32_e32 v65, v9, v59
	v_add_f32_e32 v4, v52, v64
	v_add_f32_e32 v6, v54, v57
	;; [unrolled: 1-line block ×4, first 2 shown]
	v_mul_f32_e32 v51, v14, v56
	v_mul_f32_e32 v68, v15, v56
	v_mov_b32_e32 v11, v5
	v_add_f32_e32 v5, v4, v66
	v_add_f32_e32 v4, v6, v58
	v_mov_b32_e32 v56, v37
	v_fmac_f32_e32 v51, v15, v62
	v_fma_f32 v50, v14, v62, -v68
	v_pk_add_f32 v[2:3], v[4:5], v[2:3]
	s_waitcnt vmcnt(9)
	v_mov_b32_e32 v4, v41
	s_waitcnt lgkmcnt(2)
	v_pk_mul_f32 v[8:9], v[20:21], v[56:57] op_sel_hi:[1,0]
	v_pk_add_f32 v[2:3], v[2:3], v[50:51]
	v_pk_mul_f32 v[4:5], v[22:23], v[4:5] op_sel_hi:[1,0]
	v_pk_fma_f32 v[14:15], v[20:21], v[36:37], v[8:9] op_sel:[0,0,1] op_sel_hi:[1,1,0] neg_lo:[0,0,1] neg_hi:[0,0,1]
	v_pk_fma_f32 v[8:9], v[20:21], v[36:37], v[8:9] op_sel:[0,0,1] op_sel_hi:[1,0,0]
	v_mov_b32_e32 v13, v7
	v_pk_add_f32 v[2:3], v[2:3], v[10:11]
	v_pk_fma_f32 v[6:7], v[22:23], v[40:41], v[4:5] op_sel:[0,0,1] op_sel_hi:[1,1,0] neg_lo:[0,0,1] neg_hi:[0,0,1]
	v_pk_fma_f32 v[4:5], v[22:23], v[40:41], v[4:5] op_sel:[0,0,1] op_sel_hi:[1,0,0]
	v_mov_b32_e32 v15, v9
	v_pk_add_f32 v[2:3], v[2:3], v[12:13]
	s_waitcnt vmcnt(8)
	v_mov_b32_e32 v4, v39
	v_pk_add_f32 v[2:3], v[2:3], v[14:15]
	v_mov_b32_e32 v7, v5
	s_waitcnt lgkmcnt(1)
	v_pk_mul_f32 v[4:5], v[24:25], v[4:5] op_sel_hi:[1,0]
	v_pk_add_f32 v[2:3], v[2:3], v[6:7]
	v_pk_fma_f32 v[6:7], v[24:25], v[38:39], v[4:5] op_sel:[0,0,1] op_sel_hi:[1,1,0] neg_lo:[0,0,1] neg_hi:[0,0,1]
	v_pk_fma_f32 v[4:5], v[24:25], v[38:39], v[4:5] op_sel:[0,0,1] op_sel_hi:[1,0,0]
	s_waitcnt vmcnt(7)
	v_mov_b32_e32 v4, v43
	v_mov_b32_e32 v7, v5
	v_pk_mul_f32 v[4:5], v[26:27], v[4:5] op_sel_hi:[1,0]
	v_pk_add_f32 v[2:3], v[2:3], v[6:7]
	s_waitcnt vmcnt(4)
	v_pk_fma_f32 v[6:7], v[26:27], v[42:43], v[4:5] op_sel:[0,0,1] op_sel_hi:[1,1,0] neg_lo:[0,0,1] neg_hi:[0,0,1]
	v_pk_fma_f32 v[4:5], v[26:27], v[42:43], v[4:5] op_sel:[0,0,1] op_sel_hi:[1,0,0]
	s_waitcnt vmcnt(3)
	v_mov_b32_e32 v4, v47
	v_mov_b32_e32 v7, v5
	s_waitcnt lgkmcnt(0)
	v_pk_mul_f32 v[4:5], v[28:29], v[4:5] op_sel_hi:[1,0]
	v_pk_add_f32 v[2:3], v[2:3], v[6:7]
	v_pk_fma_f32 v[6:7], v[28:29], v[46:47], v[4:5] op_sel:[0,0,1] op_sel_hi:[1,1,0] neg_lo:[0,0,1] neg_hi:[0,0,1]
	v_pk_fma_f32 v[4:5], v[28:29], v[46:47], v[4:5] op_sel:[0,0,1] op_sel_hi:[1,0,0]
	s_waitcnt vmcnt(0)
	v_mov_b32_e32 v4, v45
	v_mov_b32_e32 v7, v5
	v_pk_mul_f32 v[4:5], v[30:31], v[4:5] op_sel_hi:[1,0]
	v_pk_add_f32 v[2:3], v[2:3], v[6:7]
	v_pk_fma_f32 v[6:7], v[30:31], v[44:45], v[4:5] op_sel:[0,0,1] op_sel_hi:[1,1,0] neg_lo:[0,0,1] neg_hi:[0,0,1]
	v_pk_fma_f32 v[4:5], v[30:31], v[44:45], v[4:5] op_sel:[0,0,1] op_sel_hi:[1,0,0]
	v_mov_b32_e32 v7, v5
	v_pk_add_f32 v[2:3], v[2:3], v[6:7]
	v_pk_add_f32 v[2:3], v[48:49], v[2:3] neg_lo:[0,1] neg_hi:[0,1]
	buffer_store_dword v3, off, s[0:3], 0 offset:268
	buffer_store_dword v2, off, s[0:3], 0 offset:264
	s_and_saveexec_b64 s[4:5], vcc
	s_cbranch_execz .LBB111_237
; %bb.236:
	buffer_load_dword v2, off, s[0:3], 0 offset:256
	buffer_load_dword v3, off, s[0:3], 0 offset:260
	v_mov_b32_e32 v4, 0
	v_accvgpr_read_b32 v1, a20
	buffer_store_dword v4, off, s[0:3], 0 offset:256
	buffer_store_dword v4, off, s[0:3], 0 offset:260
	s_waitcnt vmcnt(2)
	ds_write_b64 v1, v[2:3]
.LBB111_237:
	s_or_b64 exec, exec, s[4:5]
	v_mov_b32_e32 v4, 0
	s_waitcnt lgkmcnt(0)
	; wave barrier
	s_waitcnt lgkmcnt(0)
	ds_read2_b64 v[6:9], v4 offset0:81 offset1:82
	buffer_load_dword v2, off, s[0:3], 0 offset:256
	buffer_load_dword v3, off, s[0:3], 0 offset:260
	;; [unrolled: 1-line block ×16, first 2 shown]
	v_cmp_lt_u32_e32 vcc, 31, v0
	s_waitcnt vmcnt(12) lgkmcnt(0)
	v_mul_f32_e32 v10, v6, v22
	v_fmac_f32_e32 v10, v7, v5
	s_waitcnt vmcnt(10)
	v_mul_f32_e32 v11, v8, v26
	v_add_f32_e32 v10, 0, v10
	v_fmac_f32_e32 v11, v9, v24
	v_add_f32_e32 v14, v10, v11
	ds_read2_b64 v[10:13], v4 offset0:83 offset1:84
	v_mul_f32_e32 v7, v7, v22
	v_fma_f32 v5, v6, v5, -v7
	v_mul_f32_e32 v6, v9, v26
	v_add_f32_e32 v5, 0, v5
	s_waitcnt vmcnt(8) lgkmcnt(0)
	v_mul_f32_e32 v15, v10, v45
	v_fmac_f32_e32 v15, v11, v44
	v_add_f32_e32 v14, v14, v15
	s_waitcnt vmcnt(6)
	v_mul_f32_e32 v15, v12, v47
	v_fmac_f32_e32 v15, v13, v46
	v_add_f32_e32 v18, v14, v15
	ds_read2_b64 v[14:17], v4 offset0:85 offset1:86
	v_fma_f32 v6, v8, v24, -v6
	v_add_f32_e32 v5, v5, v6
	v_mul_f32_e32 v6, v11, v45
	v_fma_f32 v6, v10, v44, -v6
	s_waitcnt vmcnt(4) lgkmcnt(0)
	v_mul_f32_e32 v19, v14, v49
	v_fmac_f32_e32 v19, v15, v48
	v_add_f32_e32 v23, v18, v19
	ds_read2_b64 v[18:21], v4 offset0:87 offset1:88
	buffer_load_dword v29, off, s[0:3], 0 offset:324
	buffer_load_dword v28, off, s[0:3], 0 offset:320
	;; [unrolled: 1-line block ×16, first 2 shown]
	v_add_f32_e32 v5, v5, v6
	v_mul_f32_e32 v6, v13, v47
	v_fma_f32 v6, v12, v46, -v6
	v_add_f32_e32 v5, v5, v6
	v_mul_f32_e32 v6, v15, v49
	v_fma_f32 v6, v14, v48, -v6
	s_waitcnt vmcnt(18)
	v_mul_f32_e32 v25, v16, v51
	v_add_f32_e32 v22, v5, v6
	v_mul_f32_e32 v5, v17, v51
	v_fmac_f32_e32 v25, v17, v50
	v_fma_f32 v24, v16, v50, -v5
	s_waitcnt vmcnt(16) lgkmcnt(0)
	v_mul_f32_e32 v27, v18, v53
	v_mul_f32_e32 v5, v19, v53
	v_pk_add_f32 v[22:23], v[22:23], v[24:25]
	v_fmac_f32_e32 v27, v19, v52
	v_fma_f32 v26, v18, v52, -v5
	v_pk_add_f32 v[22:23], v[22:23], v[26:27]
	ds_read2_b64 v[6:9], v4 offset0:89 offset1:90
	ds_read2_b64 v[10:13], v4 offset0:91 offset1:92
	;; [unrolled: 1-line block ×3, first 2 shown]
	ds_read_b64 v[18:19], v4 offset:760
	s_waitcnt vmcnt(15)
	v_mov_b32_e32 v24, v29
	v_pk_mul_f32 v[24:25], v[20:21], v[24:25] op_sel_hi:[1,0]
	s_waitcnt vmcnt(14)
	v_pk_fma_f32 v[26:27], v[20:21], v[28:29], v[24:25] op_sel:[0,0,1] op_sel_hi:[1,1,0] neg_lo:[0,0,1] neg_hi:[0,0,1]
	v_pk_fma_f32 v[20:21], v[20:21], v[28:29], v[24:25] op_sel:[0,0,1] op_sel_hi:[1,0,0]
	v_mov_b32_e32 v27, v21
	v_pk_add_f32 v[20:21], v[22:23], v[26:27]
	s_waitcnt vmcnt(13)
	v_mov_b32_e32 v22, v31
	s_waitcnt lgkmcnt(3)
	v_pk_mul_f32 v[22:23], v[6:7], v[22:23] op_sel_hi:[1,0]
	s_waitcnt vmcnt(12)
	v_pk_fma_f32 v[24:25], v[6:7], v[30:31], v[22:23] op_sel:[0,0,1] op_sel_hi:[1,1,0] neg_lo:[0,0,1] neg_hi:[0,0,1]
	v_pk_fma_f32 v[6:7], v[6:7], v[30:31], v[22:23] op_sel:[0,0,1] op_sel_hi:[1,0,0]
	v_mov_b32_e32 v25, v7
	v_pk_add_f32 v[6:7], v[20:21], v[24:25]
	s_waitcnt vmcnt(11)
	v_mov_b32_e32 v20, v33
	v_pk_mul_f32 v[20:21], v[8:9], v[20:21] op_sel_hi:[1,0]
	s_waitcnt vmcnt(10)
	v_pk_fma_f32 v[22:23], v[8:9], v[32:33], v[20:21] op_sel:[0,0,1] op_sel_hi:[1,1,0] neg_lo:[0,0,1] neg_hi:[0,0,1]
	v_pk_fma_f32 v[8:9], v[8:9], v[32:33], v[20:21] op_sel:[0,0,1] op_sel_hi:[1,0,0]
	s_waitcnt vmcnt(9)
	v_mov_b32_e32 v8, v35
	v_mov_b32_e32 v23, v9
	s_waitcnt lgkmcnt(2)
	v_pk_mul_f32 v[8:9], v[10:11], v[8:9] op_sel_hi:[1,0]
	s_waitcnt vmcnt(8)
	v_pk_fma_f32 v[20:21], v[10:11], v[34:35], v[8:9] op_sel:[0,0,1] op_sel_hi:[1,1,0] neg_lo:[0,0,1] neg_hi:[0,0,1]
	v_pk_fma_f32 v[8:9], v[10:11], v[34:35], v[8:9] op_sel:[0,0,1] op_sel_hi:[1,0,0]
	s_waitcnt vmcnt(7)
	v_mov_b32_e32 v8, v37
	v_mov_b32_e32 v21, v9
	v_pk_mul_f32 v[8:9], v[12:13], v[8:9] op_sel_hi:[1,0]
	s_waitcnt vmcnt(6)
	v_pk_fma_f32 v[10:11], v[12:13], v[36:37], v[8:9] op_sel:[0,0,1] op_sel_hi:[1,1,0] neg_lo:[0,0,1] neg_hi:[0,0,1]
	v_pk_fma_f32 v[8:9], v[12:13], v[36:37], v[8:9] op_sel:[0,0,1] op_sel_hi:[1,0,0]
	v_pk_add_f32 v[6:7], v[6:7], v[22:23]
	s_waitcnt vmcnt(5)
	v_mov_b32_e32 v8, v39
	v_pk_add_f32 v[6:7], v[6:7], v[20:21]
	v_mov_b32_e32 v11, v9
	s_waitcnt lgkmcnt(1)
	v_pk_mul_f32 v[8:9], v[14:15], v[8:9] op_sel_hi:[1,0]
	v_pk_add_f32 v[6:7], v[6:7], v[10:11]
	s_waitcnt vmcnt(4)
	v_pk_fma_f32 v[10:11], v[14:15], v[38:39], v[8:9] op_sel:[0,0,1] op_sel_hi:[1,1,0] neg_lo:[0,0,1] neg_hi:[0,0,1]
	v_pk_fma_f32 v[8:9], v[14:15], v[38:39], v[8:9] op_sel:[0,0,1] op_sel_hi:[1,0,0]
	s_waitcnt vmcnt(3)
	v_mov_b32_e32 v8, v41
	v_mov_b32_e32 v11, v9
	v_pk_mul_f32 v[8:9], v[16:17], v[8:9] op_sel_hi:[1,0]
	v_pk_add_f32 v[6:7], v[6:7], v[10:11]
	s_waitcnt vmcnt(2)
	v_pk_fma_f32 v[10:11], v[16:17], v[40:41], v[8:9] op_sel:[0,0,1] op_sel_hi:[1,1,0] neg_lo:[0,0,1] neg_hi:[0,0,1]
	v_pk_fma_f32 v[8:9], v[16:17], v[40:41], v[8:9] op_sel:[0,0,1] op_sel_hi:[1,0,0]
	s_waitcnt vmcnt(1)
	v_mov_b32_e32 v8, v43
	v_mov_b32_e32 v11, v9
	s_waitcnt lgkmcnt(0)
	v_pk_mul_f32 v[8:9], v[18:19], v[8:9] op_sel_hi:[1,0]
	v_pk_add_f32 v[6:7], v[6:7], v[10:11]
	s_waitcnt vmcnt(0)
	v_pk_fma_f32 v[10:11], v[18:19], v[42:43], v[8:9] op_sel:[0,0,1] op_sel_hi:[1,1,0] neg_lo:[0,0,1] neg_hi:[0,0,1]
	v_pk_fma_f32 v[8:9], v[18:19], v[42:43], v[8:9] op_sel:[0,0,1] op_sel_hi:[1,0,0]
	v_mov_b32_e32 v11, v9
	v_pk_add_f32 v[6:7], v[6:7], v[10:11]
	v_pk_add_f32 v[2:3], v[2:3], v[6:7] neg_lo:[0,1] neg_hi:[0,1]
	buffer_store_dword v3, off, s[0:3], 0 offset:260
	buffer_store_dword v2, off, s[0:3], 0 offset:256
	s_and_saveexec_b64 s[4:5], vcc
	s_cbranch_execz .LBB111_239
; %bb.238:
	buffer_load_dword v2, off, s[0:3], 0 offset:248
	buffer_load_dword v3, off, s[0:3], 0 offset:252
	v_accvgpr_read_b32 v1, a20
	buffer_store_dword v4, off, s[0:3], 0 offset:248
	buffer_store_dword v4, off, s[0:3], 0 offset:252
	s_waitcnt vmcnt(2)
	ds_write_b64 v1, v[2:3]
.LBB111_239:
	s_or_b64 exec, exec, s[4:5]
	s_waitcnt lgkmcnt(0)
	; wave barrier
	s_waitcnt lgkmcnt(0)
	ds_read_b128 v[6:9], v4 offset:640
	ds_read_b128 v[10:13], v4 offset:656
	;; [unrolled: 1-line block ×4, first 2 shown]
	buffer_load_dword v2, off, s[0:3], 0 offset:248
	buffer_load_dword v3, off, s[0:3], 0 offset:252
	;; [unrolled: 1-line block ×20, first 2 shown]
	v_cmp_lt_u32_e32 vcc, 30, v0
	s_waitcnt vmcnt(16) lgkmcnt(3)
	v_mul_f32_e32 v22, v6, v26
	v_fmac_f32_e32 v22, v7, v5
	s_waitcnt vmcnt(14)
	v_mul_f32_e32 v23, v8, v30
	v_add_f32_e32 v22, 0, v22
	v_fmac_f32_e32 v23, v9, v28
	v_add_f32_e32 v22, v22, v23
	s_waitcnt vmcnt(12) lgkmcnt(2)
	v_mul_f32_e32 v23, v10, v49
	v_fmac_f32_e32 v23, v11, v48
	v_add_f32_e32 v22, v22, v23
	s_waitcnt vmcnt(10)
	v_mul_f32_e32 v23, v12, v51
	v_fmac_f32_e32 v23, v13, v50
	v_add_f32_e32 v22, v22, v23
	s_waitcnt vmcnt(8) lgkmcnt(1)
	v_mul_f32_e32 v23, v14, v53
	v_fmac_f32_e32 v23, v15, v52
	v_add_f32_e32 v22, v22, v23
	s_waitcnt vmcnt(6)
	v_mul_f32_e32 v23, v16, v55
	v_fmac_f32_e32 v23, v17, v54
	v_add_f32_e32 v27, v22, v23
	ds_read_b128 v[22:25], v4 offset:704
	buffer_load_dword v35, off, s[0:3], 0 offset:332
	buffer_load_dword v34, off, s[0:3], 0 offset:328
	;; [unrolled: 1-line block ×14, first 2 shown]
	v_mul_f32_e32 v7, v7, v26
	v_fma_f32 v5, v6, v5, -v7
	v_mul_f32_e32 v6, v9, v30
	v_add_f32_e32 v5, 0, v5
	v_fma_f32 v6, v8, v28, -v6
	v_add_f32_e32 v5, v5, v6
	v_mul_f32_e32 v6, v11, v49
	v_fma_f32 v6, v10, v48, -v6
	v_add_f32_e32 v5, v5, v6
	v_mul_f32_e32 v6, v13, v51
	;; [unrolled: 3-line block ×4, first 2 shown]
	v_fma_f32 v6, v16, v54, -v6
	v_add_f32_e32 v26, v5, v6
	s_waitcnt vmcnt(18) lgkmcnt(1)
	v_mul_f32_e32 v5, v19, v57
	v_mul_f32_e32 v29, v18, v57
	v_fma_f32 v28, v18, v56, -v5
	s_waitcnt vmcnt(15)
	v_mov_b32_e32 v18, v33
	v_fmac_f32_e32 v29, v19, v56
	v_mul_f32_e32 v31, v20, v59
	v_mul_f32_e32 v5, v21, v59
	s_waitcnt lgkmcnt(0)
	v_pk_mul_f32 v[18:19], v[22:23], v[18:19] op_sel_hi:[1,0]
	v_fmac_f32_e32 v31, v21, v58
	v_fma_f32 v30, v20, v58, -v5
	s_waitcnt vmcnt(14)
	v_pk_fma_f32 v[20:21], v[22:23], v[32:33], v[18:19] op_sel:[0,0,1] op_sel_hi:[1,1,0] neg_lo:[0,0,1] neg_hi:[0,0,1]
	v_pk_fma_f32 v[18:19], v[22:23], v[32:33], v[18:19] op_sel:[0,0,1] op_sel_hi:[1,0,0]
	ds_read_b128 v[6:9], v4 offset:720
	ds_read_b128 v[10:13], v4 offset:736
	;; [unrolled: 1-line block ×3, first 2 shown]
	v_pk_add_f32 v[4:5], v[26:27], v[28:29]
	v_pk_add_f32 v[4:5], v[4:5], v[30:31]
	v_mov_b32_e32 v21, v19
	v_pk_add_f32 v[4:5], v[4:5], v[20:21]
	s_waitcnt vmcnt(13)
	v_mov_b32_e32 v18, v35
	v_pk_mul_f32 v[18:19], v[24:25], v[18:19] op_sel_hi:[1,0]
	s_waitcnt vmcnt(12)
	v_pk_fma_f32 v[20:21], v[24:25], v[34:35], v[18:19] op_sel:[0,0,1] op_sel_hi:[1,1,0] neg_lo:[0,0,1] neg_hi:[0,0,1]
	v_pk_fma_f32 v[18:19], v[24:25], v[34:35], v[18:19] op_sel:[0,0,1] op_sel_hi:[1,0,0]
	s_waitcnt vmcnt(11)
	v_mov_b32_e32 v18, v37
	v_mov_b32_e32 v21, v19
	s_waitcnt lgkmcnt(2)
	v_pk_mul_f32 v[18:19], v[6:7], v[18:19] op_sel_hi:[1,0]
	v_pk_add_f32 v[4:5], v[4:5], v[20:21]
	s_waitcnt vmcnt(10)
	v_pk_fma_f32 v[20:21], v[6:7], v[36:37], v[18:19] op_sel:[0,0,1] op_sel_hi:[1,1,0] neg_lo:[0,0,1] neg_hi:[0,0,1]
	v_pk_fma_f32 v[6:7], v[6:7], v[36:37], v[18:19] op_sel:[0,0,1] op_sel_hi:[1,0,0]
	s_waitcnt vmcnt(9)
	v_mov_b32_e32 v6, v39
	v_mov_b32_e32 v21, v7
	v_pk_mul_f32 v[6:7], v[8:9], v[6:7] op_sel_hi:[1,0]
	s_waitcnt vmcnt(8)
	v_pk_fma_f32 v[18:19], v[8:9], v[38:39], v[6:7] op_sel:[0,0,1] op_sel_hi:[1,1,0] neg_lo:[0,0,1] neg_hi:[0,0,1]
	v_pk_fma_f32 v[6:7], v[8:9], v[38:39], v[6:7] op_sel:[0,0,1] op_sel_hi:[1,0,0]
	s_waitcnt vmcnt(7)
	v_mov_b32_e32 v6, v41
	v_mov_b32_e32 v19, v7
	s_waitcnt lgkmcnt(1)
	v_pk_mul_f32 v[6:7], v[10:11], v[6:7] op_sel_hi:[1,0]
	s_waitcnt vmcnt(6)
	v_pk_fma_f32 v[8:9], v[10:11], v[40:41], v[6:7] op_sel:[0,0,1] op_sel_hi:[1,1,0] neg_lo:[0,0,1] neg_hi:[0,0,1]
	v_pk_fma_f32 v[6:7], v[10:11], v[40:41], v[6:7] op_sel:[0,0,1] op_sel_hi:[1,0,0]
	v_pk_add_f32 v[4:5], v[4:5], v[20:21]
	s_waitcnt vmcnt(5)
	v_mov_b32_e32 v6, v43
	v_pk_add_f32 v[4:5], v[4:5], v[18:19]
	v_mov_b32_e32 v9, v7
	v_pk_mul_f32 v[6:7], v[12:13], v[6:7] op_sel_hi:[1,0]
	v_pk_add_f32 v[4:5], v[4:5], v[8:9]
	s_waitcnt vmcnt(4)
	v_pk_fma_f32 v[8:9], v[12:13], v[42:43], v[6:7] op_sel:[0,0,1] op_sel_hi:[1,1,0] neg_lo:[0,0,1] neg_hi:[0,0,1]
	v_pk_fma_f32 v[6:7], v[12:13], v[42:43], v[6:7] op_sel:[0,0,1] op_sel_hi:[1,0,0]
	s_waitcnt vmcnt(3)
	v_mov_b32_e32 v6, v45
	v_mov_b32_e32 v9, v7
	s_waitcnt lgkmcnt(0)
	v_pk_mul_f32 v[6:7], v[14:15], v[6:7] op_sel_hi:[1,0]
	v_pk_add_f32 v[4:5], v[4:5], v[8:9]
	s_waitcnt vmcnt(2)
	v_pk_fma_f32 v[8:9], v[14:15], v[44:45], v[6:7] op_sel:[0,0,1] op_sel_hi:[1,1,0] neg_lo:[0,0,1] neg_hi:[0,0,1]
	v_pk_fma_f32 v[6:7], v[14:15], v[44:45], v[6:7] op_sel:[0,0,1] op_sel_hi:[1,0,0]
	s_waitcnt vmcnt(1)
	v_mov_b32_e32 v6, v47
	v_mov_b32_e32 v9, v7
	v_pk_mul_f32 v[6:7], v[16:17], v[6:7] op_sel_hi:[1,0]
	v_pk_add_f32 v[4:5], v[4:5], v[8:9]
	s_waitcnt vmcnt(0)
	v_pk_fma_f32 v[8:9], v[16:17], v[46:47], v[6:7] op_sel:[0,0,1] op_sel_hi:[1,1,0] neg_lo:[0,0,1] neg_hi:[0,0,1]
	v_pk_fma_f32 v[6:7], v[16:17], v[46:47], v[6:7] op_sel:[0,0,1] op_sel_hi:[1,0,0]
	v_mov_b32_e32 v9, v7
	v_pk_add_f32 v[4:5], v[4:5], v[8:9]
	v_pk_add_f32 v[2:3], v[2:3], v[4:5] neg_lo:[0,1] neg_hi:[0,1]
	buffer_store_dword v3, off, s[0:3], 0 offset:252
	buffer_store_dword v2, off, s[0:3], 0 offset:248
	s_and_saveexec_b64 s[4:5], vcc
	s_cbranch_execz .LBB111_241
; %bb.240:
	buffer_load_dword v2, off, s[0:3], 0 offset:240
	buffer_load_dword v3, off, s[0:3], 0 offset:244
	v_mov_b32_e32 v4, 0
	v_accvgpr_read_b32 v1, a20
	buffer_store_dword v4, off, s[0:3], 0 offset:240
	buffer_store_dword v4, off, s[0:3], 0 offset:244
	s_waitcnt vmcnt(2)
	ds_write_b64 v1, v[2:3]
.LBB111_241:
	s_or_b64 exec, exec, s[4:5]
	v_mov_b32_e32 v4, 0
	s_waitcnt lgkmcnt(0)
	; wave barrier
	s_waitcnt lgkmcnt(0)
	ds_read2_b64 v[6:9], v4 offset0:79 offset1:80
	buffer_load_dword v2, off, s[0:3], 0 offset:240
	buffer_load_dword v3, off, s[0:3], 0 offset:244
	;; [unrolled: 1-line block ×16, first 2 shown]
	v_cmp_lt_u32_e32 vcc, 29, v0
	s_waitcnt vmcnt(12) lgkmcnt(0)
	v_mul_f32_e32 v10, v6, v26
	v_fmac_f32_e32 v10, v7, v5
	s_waitcnt vmcnt(10)
	v_mul_f32_e32 v11, v8, v30
	v_add_f32_e32 v10, 0, v10
	v_fmac_f32_e32 v11, v9, v28
	v_add_f32_e32 v14, v10, v11
	ds_read2_b64 v[10:13], v4 offset0:81 offset1:82
	v_mul_f32_e32 v7, v7, v26
	v_fma_f32 v5, v6, v5, -v7
	v_mul_f32_e32 v6, v9, v30
	v_add_f32_e32 v5, 0, v5
	s_waitcnt vmcnt(8) lgkmcnt(0)
	v_mul_f32_e32 v15, v10, v49
	v_fmac_f32_e32 v15, v11, v48
	v_add_f32_e32 v14, v14, v15
	s_waitcnt vmcnt(6)
	v_mul_f32_e32 v15, v12, v51
	v_fmac_f32_e32 v15, v13, v50
	v_add_f32_e32 v18, v14, v15
	ds_read2_b64 v[14:17], v4 offset0:83 offset1:84
	v_fma_f32 v6, v8, v28, -v6
	v_add_f32_e32 v5, v5, v6
	v_mul_f32_e32 v6, v11, v49
	v_fma_f32 v6, v10, v48, -v6
	s_waitcnt vmcnt(4) lgkmcnt(0)
	v_mul_f32_e32 v19, v14, v53
	v_fmac_f32_e32 v19, v15, v52
	v_add_f32_e32 v18, v18, v19
	s_waitcnt vmcnt(2)
	v_mul_f32_e32 v19, v16, v55
	v_fmac_f32_e32 v19, v17, v54
	v_add_f32_e32 v22, v18, v19
	ds_read2_b64 v[18:21], v4 offset0:85 offset1:86
	buffer_load_dword v58, off, s[0:3], 0 offset:304
	buffer_load_dword v59, off, s[0:3], 0 offset:308
	v_add_f32_e32 v5, v5, v6
	v_mul_f32_e32 v6, v13, v51
	v_fma_f32 v6, v12, v50, -v6
	s_waitcnt vmcnt(2) lgkmcnt(0)
	v_mul_f32_e32 v23, v18, v57
	v_fmac_f32_e32 v23, v19, v56
	v_add_f32_e32 v27, v22, v23
	ds_read2_b64 v[22:25], v4 offset0:87 offset1:88
	buffer_load_dword v60, off, s[0:3], 0 offset:312
	buffer_load_dword v61, off, s[0:3], 0 offset:316
	buffer_load_dword v33, off, s[0:3], 0 offset:324
	buffer_load_dword v32, off, s[0:3], 0 offset:320
	buffer_load_dword v35, off, s[0:3], 0 offset:332
	buffer_load_dword v34, off, s[0:3], 0 offset:328
	buffer_load_dword v37, off, s[0:3], 0 offset:340
	buffer_load_dword v36, off, s[0:3], 0 offset:336
	buffer_load_dword v39, off, s[0:3], 0 offset:348
	buffer_load_dword v38, off, s[0:3], 0 offset:344
	buffer_load_dword v41, off, s[0:3], 0 offset:356
	buffer_load_dword v40, off, s[0:3], 0 offset:352
	buffer_load_dword v43, off, s[0:3], 0 offset:364
	buffer_load_dword v42, off, s[0:3], 0 offset:360
	buffer_load_dword v45, off, s[0:3], 0 offset:372
	buffer_load_dword v44, off, s[0:3], 0 offset:368
	buffer_load_dword v47, off, s[0:3], 0 offset:380
	buffer_load_dword v46, off, s[0:3], 0 offset:376
	v_add_f32_e32 v5, v5, v6
	v_mul_f32_e32 v6, v15, v53
	v_fma_f32 v6, v14, v52, -v6
	v_add_f32_e32 v5, v5, v6
	v_mul_f32_e32 v6, v17, v55
	v_fma_f32 v6, v16, v54, -v6
	;; [unrolled: 3-line block ×3, first 2 shown]
	v_add_f32_e32 v26, v5, v6
	ds_read2_b64 v[6:9], v4 offset0:89 offset1:90
	ds_read2_b64 v[10:13], v4 offset0:91 offset1:92
	;; [unrolled: 1-line block ×3, first 2 shown]
	ds_read_b64 v[18:19], v4 offset:760
	s_waitcnt vmcnt(18)
	v_mul_f32_e32 v5, v21, v59
	v_fma_f32 v28, v20, v58, -v5
	v_mul_f32_e32 v29, v20, v59
	v_fmac_f32_e32 v29, v21, v58
	v_pk_add_f32 v[20:21], v[26:27], v[28:29]
	s_waitcnt vmcnt(16) lgkmcnt(4)
	v_mul_f32_e32 v5, v23, v61
	v_mul_f32_e32 v31, v22, v61
	v_fma_f32 v30, v22, v60, -v5
	s_waitcnt vmcnt(15)
	v_mov_b32_e32 v22, v33
	v_fmac_f32_e32 v31, v23, v60
	v_pk_mul_f32 v[22:23], v[24:25], v[22:23] op_sel_hi:[1,0]
	s_waitcnt vmcnt(14)
	v_pk_fma_f32 v[26:27], v[24:25], v[32:33], v[22:23] op_sel:[0,0,1] op_sel_hi:[1,1,0] neg_lo:[0,0,1] neg_hi:[0,0,1]
	v_pk_fma_f32 v[22:23], v[24:25], v[32:33], v[22:23] op_sel:[0,0,1] op_sel_hi:[1,0,0]
	s_waitcnt vmcnt(13)
	v_mov_b32_e32 v22, v35
	v_mov_b32_e32 v27, v23
	s_waitcnt lgkmcnt(3)
	v_pk_mul_f32 v[22:23], v[6:7], v[22:23] op_sel_hi:[1,0]
	v_pk_add_f32 v[20:21], v[20:21], v[30:31]
	s_waitcnt vmcnt(12)
	v_pk_fma_f32 v[24:25], v[6:7], v[34:35], v[22:23] op_sel:[0,0,1] op_sel_hi:[1,1,0] neg_lo:[0,0,1] neg_hi:[0,0,1]
	v_pk_fma_f32 v[6:7], v[6:7], v[34:35], v[22:23] op_sel:[0,0,1] op_sel_hi:[1,0,0]
	v_pk_add_f32 v[20:21], v[20:21], v[26:27]
	v_mov_b32_e32 v25, v7
	v_pk_add_f32 v[6:7], v[20:21], v[24:25]
	s_waitcnt vmcnt(11)
	v_mov_b32_e32 v20, v37
	v_pk_mul_f32 v[20:21], v[8:9], v[20:21] op_sel_hi:[1,0]
	s_waitcnt vmcnt(10)
	v_pk_fma_f32 v[22:23], v[8:9], v[36:37], v[20:21] op_sel:[0,0,1] op_sel_hi:[1,1,0] neg_lo:[0,0,1] neg_hi:[0,0,1]
	v_pk_fma_f32 v[8:9], v[8:9], v[36:37], v[20:21] op_sel:[0,0,1] op_sel_hi:[1,0,0]
	s_waitcnt vmcnt(9)
	v_mov_b32_e32 v8, v39
	v_mov_b32_e32 v23, v9
	s_waitcnt lgkmcnt(2)
	v_pk_mul_f32 v[8:9], v[10:11], v[8:9] op_sel_hi:[1,0]
	s_waitcnt vmcnt(8)
	v_pk_fma_f32 v[20:21], v[10:11], v[38:39], v[8:9] op_sel:[0,0,1] op_sel_hi:[1,1,0] neg_lo:[0,0,1] neg_hi:[0,0,1]
	v_pk_fma_f32 v[8:9], v[10:11], v[38:39], v[8:9] op_sel:[0,0,1] op_sel_hi:[1,0,0]
	s_waitcnt vmcnt(7)
	v_mov_b32_e32 v8, v41
	v_mov_b32_e32 v21, v9
	v_pk_mul_f32 v[8:9], v[12:13], v[8:9] op_sel_hi:[1,0]
	s_waitcnt vmcnt(6)
	v_pk_fma_f32 v[10:11], v[12:13], v[40:41], v[8:9] op_sel:[0,0,1] op_sel_hi:[1,1,0] neg_lo:[0,0,1] neg_hi:[0,0,1]
	v_pk_fma_f32 v[8:9], v[12:13], v[40:41], v[8:9] op_sel:[0,0,1] op_sel_hi:[1,0,0]
	v_pk_add_f32 v[6:7], v[6:7], v[22:23]
	s_waitcnt vmcnt(5)
	v_mov_b32_e32 v8, v43
	v_pk_add_f32 v[6:7], v[6:7], v[20:21]
	v_mov_b32_e32 v11, v9
	s_waitcnt lgkmcnt(1)
	v_pk_mul_f32 v[8:9], v[14:15], v[8:9] op_sel_hi:[1,0]
	v_pk_add_f32 v[6:7], v[6:7], v[10:11]
	s_waitcnt vmcnt(4)
	v_pk_fma_f32 v[10:11], v[14:15], v[42:43], v[8:9] op_sel:[0,0,1] op_sel_hi:[1,1,0] neg_lo:[0,0,1] neg_hi:[0,0,1]
	v_pk_fma_f32 v[8:9], v[14:15], v[42:43], v[8:9] op_sel:[0,0,1] op_sel_hi:[1,0,0]
	s_waitcnt vmcnt(3)
	v_mov_b32_e32 v8, v45
	v_mov_b32_e32 v11, v9
	v_pk_mul_f32 v[8:9], v[16:17], v[8:9] op_sel_hi:[1,0]
	v_pk_add_f32 v[6:7], v[6:7], v[10:11]
	s_waitcnt vmcnt(2)
	v_pk_fma_f32 v[10:11], v[16:17], v[44:45], v[8:9] op_sel:[0,0,1] op_sel_hi:[1,1,0] neg_lo:[0,0,1] neg_hi:[0,0,1]
	v_pk_fma_f32 v[8:9], v[16:17], v[44:45], v[8:9] op_sel:[0,0,1] op_sel_hi:[1,0,0]
	s_waitcnt vmcnt(1)
	v_mov_b32_e32 v8, v47
	v_mov_b32_e32 v11, v9
	s_waitcnt lgkmcnt(0)
	v_pk_mul_f32 v[8:9], v[18:19], v[8:9] op_sel_hi:[1,0]
	v_pk_add_f32 v[6:7], v[6:7], v[10:11]
	s_waitcnt vmcnt(0)
	v_pk_fma_f32 v[10:11], v[18:19], v[46:47], v[8:9] op_sel:[0,0,1] op_sel_hi:[1,1,0] neg_lo:[0,0,1] neg_hi:[0,0,1]
	v_pk_fma_f32 v[8:9], v[18:19], v[46:47], v[8:9] op_sel:[0,0,1] op_sel_hi:[1,0,0]
	v_mov_b32_e32 v11, v9
	v_pk_add_f32 v[6:7], v[6:7], v[10:11]
	v_pk_add_f32 v[2:3], v[2:3], v[6:7] neg_lo:[0,1] neg_hi:[0,1]
	buffer_store_dword v3, off, s[0:3], 0 offset:244
	buffer_store_dword v2, off, s[0:3], 0 offset:240
	s_and_saveexec_b64 s[4:5], vcc
	s_cbranch_execz .LBB111_243
; %bb.242:
	buffer_load_dword v2, off, s[0:3], 0 offset:232
	buffer_load_dword v3, off, s[0:3], 0 offset:236
	v_accvgpr_read_b32 v1, a20
	buffer_store_dword v4, off, s[0:3], 0 offset:232
	buffer_store_dword v4, off, s[0:3], 0 offset:236
	s_waitcnt vmcnt(2)
	ds_write_b64 v1, v[2:3]
.LBB111_243:
	s_or_b64 exec, exec, s[4:5]
	s_waitcnt lgkmcnt(0)
	; wave barrier
	s_waitcnt lgkmcnt(0)
	ds_read_b128 v[6:9], v4 offset:624
	ds_read_b128 v[10:13], v4 offset:640
	;; [unrolled: 1-line block ×4, first 2 shown]
	buffer_load_dword v2, off, s[0:3], 0 offset:232
	buffer_load_dword v3, off, s[0:3], 0 offset:236
	;; [unrolled: 1-line block ×18, first 2 shown]
	v_cmp_lt_u32_e32 vcc, 28, v0
	s_waitcnt vmcnt(14) lgkmcnt(3)
	v_mul_f32_e32 v22, v6, v30
	v_fmac_f32_e32 v22, v7, v5
	s_waitcnt vmcnt(12)
	v_mul_f32_e32 v23, v8, v34
	v_add_f32_e32 v22, 0, v22
	v_fmac_f32_e32 v23, v9, v32
	v_add_f32_e32 v22, v22, v23
	s_waitcnt vmcnt(10) lgkmcnt(2)
	v_mul_f32_e32 v23, v10, v53
	v_fmac_f32_e32 v23, v11, v52
	v_add_f32_e32 v22, v22, v23
	s_waitcnt vmcnt(8)
	v_mul_f32_e32 v23, v12, v55
	v_fmac_f32_e32 v23, v13, v54
	v_add_f32_e32 v22, v22, v23
	s_waitcnt vmcnt(6) lgkmcnt(1)
	v_mul_f32_e32 v23, v14, v57
	v_fmac_f32_e32 v23, v15, v56
	v_add_f32_e32 v22, v22, v23
	s_waitcnt vmcnt(4)
	v_mul_f32_e32 v23, v16, v59
	;; [unrolled: 8-line block ×3, first 2 shown]
	v_fmac_f32_e32 v23, v21, v62
	v_add_f32_e32 v31, v22, v23
	ds_read_b128 v[22:25], v4 offset:688
	buffer_load_dword v64, off, s[0:3], 0 offset:304
	buffer_load_dword v65, off, s[0:3], 0 offset:308
	;; [unrolled: 1-line block ×6, first 2 shown]
	ds_read_b128 v[26:29], v4 offset:704
	buffer_load_dword v39, off, s[0:3], 0 offset:332
	buffer_load_dword v38, off, s[0:3], 0 offset:328
	;; [unrolled: 1-line block ×14, first 2 shown]
	v_mul_f32_e32 v7, v7, v30
	v_fma_f32 v5, v6, v5, -v7
	v_mul_f32_e32 v6, v9, v34
	v_add_f32_e32 v5, 0, v5
	v_fma_f32 v6, v8, v32, -v6
	v_add_f32_e32 v5, v5, v6
	v_mul_f32_e32 v6, v11, v53
	v_fma_f32 v6, v10, v52, -v6
	v_add_f32_e32 v5, v5, v6
	v_mul_f32_e32 v6, v13, v55
	;; [unrolled: 3-line block ×6, first 2 shown]
	v_fma_f32 v6, v20, v62, -v6
	v_add_f32_e32 v30, v5, v6
	ds_read_b128 v[6:9], v4 offset:720
	ds_read_b128 v[10:13], v4 offset:736
	;; [unrolled: 1-line block ×3, first 2 shown]
	s_waitcnt vmcnt(18) lgkmcnt(4)
	v_mul_f32_e32 v33, v22, v65
	s_waitcnt vmcnt(15)
	v_mov_b32_e32 v18, v37
	v_mul_f32_e32 v5, v23, v65
	s_waitcnt lgkmcnt(3)
	v_pk_mul_f32 v[18:19], v[26:27], v[18:19] op_sel_hi:[1,0]
	v_fmac_f32_e32 v33, v23, v64
	v_mul_f32_e32 v35, v24, v67
	v_fma_f32 v32, v22, v64, -v5
	v_mul_f32_e32 v5, v25, v67
	s_waitcnt vmcnt(14)
	v_pk_fma_f32 v[20:21], v[26:27], v[36:37], v[18:19] op_sel:[0,0,1] op_sel_hi:[1,1,0] neg_lo:[0,0,1] neg_hi:[0,0,1]
	v_pk_fma_f32 v[18:19], v[26:27], v[36:37], v[18:19] op_sel:[0,0,1] op_sel_hi:[1,0,0]
	v_fmac_f32_e32 v35, v25, v66
	v_fma_f32 v34, v24, v66, -v5
	v_pk_add_f32 v[4:5], v[30:31], v[32:33]
	s_waitcnt vmcnt(13)
	v_mov_b32_e32 v18, v39
	v_pk_add_f32 v[4:5], v[4:5], v[34:35]
	v_mov_b32_e32 v21, v19
	v_pk_mul_f32 v[18:19], v[28:29], v[18:19] op_sel_hi:[1,0]
	v_pk_add_f32 v[4:5], v[4:5], v[20:21]
	s_waitcnt vmcnt(12)
	v_pk_fma_f32 v[20:21], v[28:29], v[38:39], v[18:19] op_sel:[0,0,1] op_sel_hi:[1,1,0] neg_lo:[0,0,1] neg_hi:[0,0,1]
	v_pk_fma_f32 v[18:19], v[28:29], v[38:39], v[18:19] op_sel:[0,0,1] op_sel_hi:[1,0,0]
	s_waitcnt vmcnt(11)
	v_mov_b32_e32 v18, v41
	v_mov_b32_e32 v21, v19
	s_waitcnt lgkmcnt(2)
	v_pk_mul_f32 v[18:19], v[6:7], v[18:19] op_sel_hi:[1,0]
	v_pk_add_f32 v[4:5], v[4:5], v[20:21]
	s_waitcnt vmcnt(10)
	v_pk_fma_f32 v[20:21], v[6:7], v[40:41], v[18:19] op_sel:[0,0,1] op_sel_hi:[1,1,0] neg_lo:[0,0,1] neg_hi:[0,0,1]
	v_pk_fma_f32 v[6:7], v[6:7], v[40:41], v[18:19] op_sel:[0,0,1] op_sel_hi:[1,0,0]
	s_waitcnt vmcnt(9)
	v_mov_b32_e32 v6, v43
	v_mov_b32_e32 v21, v7
	v_pk_mul_f32 v[6:7], v[8:9], v[6:7] op_sel_hi:[1,0]
	s_waitcnt vmcnt(8)
	v_pk_fma_f32 v[18:19], v[8:9], v[42:43], v[6:7] op_sel:[0,0,1] op_sel_hi:[1,1,0] neg_lo:[0,0,1] neg_hi:[0,0,1]
	v_pk_fma_f32 v[6:7], v[8:9], v[42:43], v[6:7] op_sel:[0,0,1] op_sel_hi:[1,0,0]
	s_waitcnt vmcnt(7)
	v_mov_b32_e32 v6, v45
	v_mov_b32_e32 v19, v7
	s_waitcnt lgkmcnt(1)
	v_pk_mul_f32 v[6:7], v[10:11], v[6:7] op_sel_hi:[1,0]
	s_waitcnt vmcnt(6)
	v_pk_fma_f32 v[8:9], v[10:11], v[44:45], v[6:7] op_sel:[0,0,1] op_sel_hi:[1,1,0] neg_lo:[0,0,1] neg_hi:[0,0,1]
	v_pk_fma_f32 v[6:7], v[10:11], v[44:45], v[6:7] op_sel:[0,0,1] op_sel_hi:[1,0,0]
	v_pk_add_f32 v[4:5], v[4:5], v[20:21]
	s_waitcnt vmcnt(5)
	v_mov_b32_e32 v6, v47
	v_pk_add_f32 v[4:5], v[4:5], v[18:19]
	v_mov_b32_e32 v9, v7
	v_pk_mul_f32 v[6:7], v[12:13], v[6:7] op_sel_hi:[1,0]
	v_pk_add_f32 v[4:5], v[4:5], v[8:9]
	s_waitcnt vmcnt(4)
	v_pk_fma_f32 v[8:9], v[12:13], v[46:47], v[6:7] op_sel:[0,0,1] op_sel_hi:[1,1,0] neg_lo:[0,0,1] neg_hi:[0,0,1]
	v_pk_fma_f32 v[6:7], v[12:13], v[46:47], v[6:7] op_sel:[0,0,1] op_sel_hi:[1,0,0]
	s_waitcnt vmcnt(3)
	v_mov_b32_e32 v6, v49
	v_mov_b32_e32 v9, v7
	s_waitcnt lgkmcnt(0)
	v_pk_mul_f32 v[6:7], v[14:15], v[6:7] op_sel_hi:[1,0]
	v_pk_add_f32 v[4:5], v[4:5], v[8:9]
	s_waitcnt vmcnt(2)
	v_pk_fma_f32 v[8:9], v[14:15], v[48:49], v[6:7] op_sel:[0,0,1] op_sel_hi:[1,1,0] neg_lo:[0,0,1] neg_hi:[0,0,1]
	v_pk_fma_f32 v[6:7], v[14:15], v[48:49], v[6:7] op_sel:[0,0,1] op_sel_hi:[1,0,0]
	s_waitcnt vmcnt(1)
	v_mov_b32_e32 v6, v51
	v_mov_b32_e32 v9, v7
	v_pk_mul_f32 v[6:7], v[16:17], v[6:7] op_sel_hi:[1,0]
	v_pk_add_f32 v[4:5], v[4:5], v[8:9]
	s_waitcnt vmcnt(0)
	v_pk_fma_f32 v[8:9], v[16:17], v[50:51], v[6:7] op_sel:[0,0,1] op_sel_hi:[1,1,0] neg_lo:[0,0,1] neg_hi:[0,0,1]
	v_pk_fma_f32 v[6:7], v[16:17], v[50:51], v[6:7] op_sel:[0,0,1] op_sel_hi:[1,0,0]
	v_mov_b32_e32 v9, v7
	v_pk_add_f32 v[4:5], v[4:5], v[8:9]
	v_pk_add_f32 v[2:3], v[2:3], v[4:5] neg_lo:[0,1] neg_hi:[0,1]
	buffer_store_dword v3, off, s[0:3], 0 offset:236
	buffer_store_dword v2, off, s[0:3], 0 offset:232
	s_and_saveexec_b64 s[4:5], vcc
	s_cbranch_execz .LBB111_245
; %bb.244:
	buffer_load_dword v2, off, s[0:3], 0 offset:224
	buffer_load_dword v3, off, s[0:3], 0 offset:228
	v_mov_b32_e32 v4, 0
	v_accvgpr_read_b32 v1, a20
	buffer_store_dword v4, off, s[0:3], 0 offset:224
	buffer_store_dword v4, off, s[0:3], 0 offset:228
	s_waitcnt vmcnt(2)
	ds_write_b64 v1, v[2:3]
.LBB111_245:
	s_or_b64 exec, exec, s[4:5]
	v_mov_b32_e32 v4, 0
	s_waitcnt lgkmcnt(0)
	; wave barrier
	s_waitcnt lgkmcnt(0)
	ds_read2_b64 v[6:9], v4 offset0:77 offset1:78
	buffer_load_dword v2, off, s[0:3], 0 offset:224
	buffer_load_dword v3, off, s[0:3], 0 offset:228
	;; [unrolled: 1-line block ×16, first 2 shown]
	v_cmp_lt_u32_e32 vcc, 27, v0
	s_waitcnt vmcnt(12) lgkmcnt(0)
	v_mul_f32_e32 v10, v6, v30
	v_fmac_f32_e32 v10, v7, v5
	s_waitcnt vmcnt(10)
	v_mul_f32_e32 v11, v8, v34
	v_add_f32_e32 v10, 0, v10
	v_fmac_f32_e32 v11, v9, v32
	v_add_f32_e32 v14, v10, v11
	ds_read2_b64 v[10:13], v4 offset0:79 offset1:80
	v_mul_f32_e32 v7, v7, v30
	v_fma_f32 v5, v6, v5, -v7
	v_mul_f32_e32 v6, v9, v34
	v_add_f32_e32 v5, 0, v5
	s_waitcnt vmcnt(8) lgkmcnt(0)
	v_mul_f32_e32 v15, v10, v53
	v_fmac_f32_e32 v15, v11, v52
	v_add_f32_e32 v14, v14, v15
	s_waitcnt vmcnt(6)
	v_mul_f32_e32 v15, v12, v55
	v_fmac_f32_e32 v15, v13, v54
	v_add_f32_e32 v18, v14, v15
	ds_read2_b64 v[14:17], v4 offset0:81 offset1:82
	v_fma_f32 v6, v8, v32, -v6
	v_add_f32_e32 v5, v5, v6
	v_mul_f32_e32 v6, v11, v53
	v_fma_f32 v6, v10, v52, -v6
	s_waitcnt vmcnt(4) lgkmcnt(0)
	v_mul_f32_e32 v19, v14, v57
	v_fmac_f32_e32 v19, v15, v56
	v_add_f32_e32 v18, v18, v19
	s_waitcnt vmcnt(2)
	v_mul_f32_e32 v19, v16, v59
	v_fmac_f32_e32 v19, v17, v58
	v_add_f32_e32 v22, v18, v19
	ds_read2_b64 v[18:21], v4 offset0:83 offset1:84
	buffer_load_dword v62, off, s[0:3], 0 offset:288
	buffer_load_dword v63, off, s[0:3], 0 offset:292
	v_add_f32_e32 v5, v5, v6
	v_mul_f32_e32 v6, v13, v55
	v_fma_f32 v6, v12, v54, -v6
	s_waitcnt vmcnt(2) lgkmcnt(0)
	v_mul_f32_e32 v23, v18, v61
	v_fmac_f32_e32 v23, v19, v60
	v_add_f32_e32 v22, v22, v23
	v_add_f32_e32 v5, v5, v6
	v_mul_f32_e32 v6, v15, v57
	v_fma_f32 v6, v14, v56, -v6
	v_add_f32_e32 v5, v5, v6
	v_mul_f32_e32 v6, v17, v59
	v_fma_f32 v6, v16, v58, -v6
	;; [unrolled: 3-line block ×3, first 2 shown]
	v_add_f32_e32 v5, v5, v6
	s_waitcnt vmcnt(0)
	v_mul_f32_e32 v23, v20, v63
	v_fmac_f32_e32 v23, v21, v62
	v_add_f32_e32 v26, v22, v23
	ds_read2_b64 v[22:25], v4 offset0:85 offset1:86
	buffer_load_dword v64, off, s[0:3], 0 offset:296
	buffer_load_dword v65, off, s[0:3], 0 offset:300
	;; [unrolled: 1-line block ×4, first 2 shown]
	v_mul_f32_e32 v6, v21, v63
	v_fma_f32 v6, v20, v62, -v6
	v_add_f32_e32 v5, v5, v6
	s_waitcnt vmcnt(2) lgkmcnt(0)
	v_mul_f32_e32 v27, v22, v65
	v_fmac_f32_e32 v27, v23, v64
	v_add_f32_e32 v31, v26, v27
	ds_read2_b64 v[26:29], v4 offset0:87 offset1:88
	buffer_load_dword v68, off, s[0:3], 0 offset:312
	buffer_load_dword v69, off, s[0:3], 0 offset:316
	;; [unrolled: 1-line block ×18, first 2 shown]
	v_mul_f32_e32 v6, v23, v65
	v_fma_f32 v6, v22, v64, -v6
	s_waitcnt vmcnt(18)
	v_mul_f32_e32 v33, v24, v67
	v_add_f32_e32 v30, v5, v6
	v_mul_f32_e32 v5, v25, v67
	v_fmac_f32_e32 v33, v25, v66
	v_fma_f32 v32, v24, v66, -v5
	ds_read2_b64 v[6:9], v4 offset0:89 offset1:90
	ds_read2_b64 v[10:13], v4 offset0:91 offset1:92
	;; [unrolled: 1-line block ×3, first 2 shown]
	ds_read_b64 v[18:19], v4 offset:760
	v_pk_add_f32 v[20:21], v[30:31], v[32:33]
	s_waitcnt vmcnt(15)
	v_mov_b32_e32 v22, v37
	s_waitcnt lgkmcnt(4)
	v_pk_mul_f32 v[22:23], v[28:29], v[22:23] op_sel_hi:[1,0]
	s_waitcnt vmcnt(14)
	v_pk_fma_f32 v[24:25], v[28:29], v[36:37], v[22:23] op_sel:[0,0,1] op_sel_hi:[1,1,0] neg_lo:[0,0,1] neg_hi:[0,0,1]
	v_pk_fma_f32 v[22:23], v[28:29], v[36:37], v[22:23] op_sel:[0,0,1] op_sel_hi:[1,0,0]
	s_waitcnt vmcnt(13)
	v_mov_b32_e32 v22, v39
	v_mov_b32_e32 v25, v23
	s_waitcnt lgkmcnt(3)
	v_pk_mul_f32 v[22:23], v[6:7], v[22:23] op_sel_hi:[1,0]
	v_mul_f32_e32 v35, v26, v69
	v_mul_f32_e32 v5, v27, v69
	v_fmac_f32_e32 v35, v27, v68
	v_fma_f32 v34, v26, v68, -v5
	v_pk_add_f32 v[20:21], v[20:21], v[34:35]
	v_pk_add_f32 v[20:21], v[20:21], v[24:25]
	s_waitcnt vmcnt(12)
	v_pk_fma_f32 v[24:25], v[6:7], v[38:39], v[22:23] op_sel:[0,0,1] op_sel_hi:[1,1,0] neg_lo:[0,0,1] neg_hi:[0,0,1]
	v_pk_fma_f32 v[6:7], v[6:7], v[38:39], v[22:23] op_sel:[0,0,1] op_sel_hi:[1,0,0]
	v_mov_b32_e32 v25, v7
	v_pk_add_f32 v[6:7], v[20:21], v[24:25]
	s_waitcnt vmcnt(11)
	v_mov_b32_e32 v20, v41
	v_pk_mul_f32 v[20:21], v[8:9], v[20:21] op_sel_hi:[1,0]
	s_waitcnt vmcnt(10)
	v_pk_fma_f32 v[22:23], v[8:9], v[40:41], v[20:21] op_sel:[0,0,1] op_sel_hi:[1,1,0] neg_lo:[0,0,1] neg_hi:[0,0,1]
	v_pk_fma_f32 v[8:9], v[8:9], v[40:41], v[20:21] op_sel:[0,0,1] op_sel_hi:[1,0,0]
	s_waitcnt vmcnt(9)
	v_mov_b32_e32 v8, v43
	v_mov_b32_e32 v23, v9
	s_waitcnt lgkmcnt(2)
	v_pk_mul_f32 v[8:9], v[10:11], v[8:9] op_sel_hi:[1,0]
	s_waitcnt vmcnt(8)
	v_pk_fma_f32 v[20:21], v[10:11], v[42:43], v[8:9] op_sel:[0,0,1] op_sel_hi:[1,1,0] neg_lo:[0,0,1] neg_hi:[0,0,1]
	v_pk_fma_f32 v[8:9], v[10:11], v[42:43], v[8:9] op_sel:[0,0,1] op_sel_hi:[1,0,0]
	s_waitcnt vmcnt(7)
	v_mov_b32_e32 v8, v45
	v_mov_b32_e32 v21, v9
	v_pk_mul_f32 v[8:9], v[12:13], v[8:9] op_sel_hi:[1,0]
	s_waitcnt vmcnt(6)
	v_pk_fma_f32 v[10:11], v[12:13], v[44:45], v[8:9] op_sel:[0,0,1] op_sel_hi:[1,1,0] neg_lo:[0,0,1] neg_hi:[0,0,1]
	v_pk_fma_f32 v[8:9], v[12:13], v[44:45], v[8:9] op_sel:[0,0,1] op_sel_hi:[1,0,0]
	v_pk_add_f32 v[6:7], v[6:7], v[22:23]
	s_waitcnt vmcnt(5)
	v_mov_b32_e32 v8, v47
	v_pk_add_f32 v[6:7], v[6:7], v[20:21]
	v_mov_b32_e32 v11, v9
	s_waitcnt lgkmcnt(1)
	v_pk_mul_f32 v[8:9], v[14:15], v[8:9] op_sel_hi:[1,0]
	v_pk_add_f32 v[6:7], v[6:7], v[10:11]
	s_waitcnt vmcnt(4)
	v_pk_fma_f32 v[10:11], v[14:15], v[46:47], v[8:9] op_sel:[0,0,1] op_sel_hi:[1,1,0] neg_lo:[0,0,1] neg_hi:[0,0,1]
	v_pk_fma_f32 v[8:9], v[14:15], v[46:47], v[8:9] op_sel:[0,0,1] op_sel_hi:[1,0,0]
	s_waitcnt vmcnt(3)
	v_mov_b32_e32 v8, v49
	v_mov_b32_e32 v11, v9
	v_pk_mul_f32 v[8:9], v[16:17], v[8:9] op_sel_hi:[1,0]
	v_pk_add_f32 v[6:7], v[6:7], v[10:11]
	s_waitcnt vmcnt(2)
	v_pk_fma_f32 v[10:11], v[16:17], v[48:49], v[8:9] op_sel:[0,0,1] op_sel_hi:[1,1,0] neg_lo:[0,0,1] neg_hi:[0,0,1]
	v_pk_fma_f32 v[8:9], v[16:17], v[48:49], v[8:9] op_sel:[0,0,1] op_sel_hi:[1,0,0]
	s_waitcnt vmcnt(1)
	v_mov_b32_e32 v8, v51
	v_mov_b32_e32 v11, v9
	s_waitcnt lgkmcnt(0)
	v_pk_mul_f32 v[8:9], v[18:19], v[8:9] op_sel_hi:[1,0]
	v_pk_add_f32 v[6:7], v[6:7], v[10:11]
	s_waitcnt vmcnt(0)
	v_pk_fma_f32 v[10:11], v[18:19], v[50:51], v[8:9] op_sel:[0,0,1] op_sel_hi:[1,1,0] neg_lo:[0,0,1] neg_hi:[0,0,1]
	v_pk_fma_f32 v[8:9], v[18:19], v[50:51], v[8:9] op_sel:[0,0,1] op_sel_hi:[1,0,0]
	v_mov_b32_e32 v11, v9
	v_pk_add_f32 v[6:7], v[6:7], v[10:11]
	v_pk_add_f32 v[2:3], v[2:3], v[6:7] neg_lo:[0,1] neg_hi:[0,1]
	buffer_store_dword v3, off, s[0:3], 0 offset:228
	buffer_store_dword v2, off, s[0:3], 0 offset:224
	s_and_saveexec_b64 s[4:5], vcc
	s_cbranch_execz .LBB111_247
; %bb.246:
	buffer_load_dword v2, off, s[0:3], 0 offset:216
	buffer_load_dword v3, off, s[0:3], 0 offset:220
	v_accvgpr_read_b32 v1, a20
	buffer_store_dword v4, off, s[0:3], 0 offset:216
	buffer_store_dword v4, off, s[0:3], 0 offset:220
	s_waitcnt vmcnt(2)
	ds_write_b64 v1, v[2:3]
.LBB111_247:
	s_or_b64 exec, exec, s[4:5]
	s_waitcnt lgkmcnt(0)
	; wave barrier
	s_waitcnt lgkmcnt(0)
	buffer_load_dword v2, off, s[0:3], 0 offset:228
	buffer_load_dword v3, off, s[0:3], 0 offset:236
	;; [unrolled: 1-line block ×26, first 2 shown]
	ds_read_b128 v[6:9], v4 offset:608
	ds_read_b128 v[10:13], v4 offset:624
	;; [unrolled: 1-line block ×6, first 2 shown]
	buffer_load_dword v33, off, s[0:3], 0 offset:340
	buffer_load_dword v32, off, s[0:3], 0 offset:336
	;; [unrolled: 1-line block ×16, first 2 shown]
	v_cmp_lt_u32_e32 vcc, 26, v0
	s_waitcnt vmcnt(41) lgkmcnt(5)
	v_mul_f32_e32 v71, v6, v2
	s_waitcnt vmcnt(40)
	v_mul_f32_e32 v72, v8, v3
	v_mul_f32_e32 v2, v7, v2
	s_waitcnt vmcnt(39) lgkmcnt(4)
	v_mul_f32_e32 v73, v10, v5
	v_mul_f32_e32 v3, v9, v3
	s_waitcnt vmcnt(38)
	v_mul_f32_e32 v74, v12, v48
	s_waitcnt vmcnt(37) lgkmcnt(3)
	v_mul_f32_e32 v75, v14, v50
	s_waitcnt vmcnt(36)
	v_mul_f32_e32 v76, v16, v52
	s_waitcnt vmcnt(35) lgkmcnt(2)
	;; [unrolled: 4-line block ×3, first 2 shown]
	v_mul_f32_e32 v175, v22, v56
	s_waitcnt vmcnt(32)
	v_mul_f32_e32 v176, v24, v57
	s_waitcnt vmcnt(29)
	v_fmac_f32_e32 v71, v7, v53
	s_waitcnt vmcnt(28)
	v_fmac_f32_e32 v72, v9, v60
	v_fma_f32 v2, v6, v53, -v2
	v_add_f32_e32 v6, 0, v71
	s_waitcnt vmcnt(27)
	v_fmac_f32_e32 v73, v11, v61
	v_fma_f32 v3, v8, v60, -v3
	v_add_f32_e32 v2, 0, v2
	v_add_f32_e32 v6, v6, v72
	s_waitcnt vmcnt(26)
	v_fmac_f32_e32 v74, v13, v62
	v_add_f32_e32 v2, v2, v3
	v_add_f32_e32 v3, v6, v73
	s_waitcnt vmcnt(25)
	v_fmac_f32_e32 v75, v15, v63
	v_add_f32_e32 v3, v3, v74
	s_waitcnt vmcnt(24)
	v_fmac_f32_e32 v76, v17, v64
	;; [unrolled: 3-line block ×5, first 2 shown]
	v_add_f32_e32 v3, v3, v174
	v_mul_f32_e32 v5, v11, v5
	s_waitcnt vmcnt(20)
	v_fmac_f32_e32 v176, v25, v68
	v_add_f32_e32 v3, v3, v175
	v_fma_f32 v5, v10, v61, -v5
	v_add_f32_e32 v53, v3, v176
	v_mul_f32_e32 v3, v13, v48
	v_add_f32_e32 v2, v2, v5
	v_fma_f32 v3, v12, v62, -v3
	v_add_f32_e32 v2, v2, v3
	v_mul_f32_e32 v3, v15, v50
	v_fma_f32 v3, v14, v63, -v3
	v_add_f32_e32 v2, v2, v3
	v_mul_f32_e32 v3, v17, v52
	;; [unrolled: 3-line block ×6, first 2 shown]
	v_fma_f32 v3, v24, v68, -v3
	v_add_f32_e32 v52, v2, v3
	s_waitcnt lgkmcnt(0)
	v_mul_f32_e32 v2, v27, v58
	s_waitcnt vmcnt(19)
	v_fma_f32 v48, v26, v69, -v2
	v_mul_f32_e32 v2, v29, v59
	s_waitcnt vmcnt(18)
	v_fma_f32 v50, v28, v70, -v2
	ds_read_b128 v[6:9], v4 offset:704
	ds_read_b128 v[10:13], v4 offset:720
	;; [unrolled: 1-line block ×4, first 2 shown]
	v_mul_f32_e32 v49, v26, v58
	s_waitcnt vmcnt(11)
	v_mov_b32_e32 v20, v37
	v_mul_f32_e32 v51, v28, v59
	v_fmac_f32_e32 v49, v27, v69
	s_waitcnt lgkmcnt(3)
	v_pk_mul_f32 v[20:21], v[6:7], v[20:21] op_sel_hi:[1,0]
	v_fmac_f32_e32 v51, v29, v70
	v_pk_add_f32 v[18:19], v[52:53], v[48:49]
	s_waitcnt vmcnt(10)
	v_pk_fma_f32 v[22:23], v[6:7], v[36:37], v[20:21] op_sel:[0,0,1] op_sel_hi:[1,1,0] neg_lo:[0,0,1] neg_hi:[0,0,1]
	v_pk_fma_f32 v[6:7], v[6:7], v[36:37], v[20:21] op_sel:[0,0,1] op_sel_hi:[1,0,0]
	v_pk_add_f32 v[18:19], v[18:19], v[50:51]
	v_mov_b32_e32 v23, v7
	v_pk_add_f32 v[6:7], v[18:19], v[22:23]
	v_mov_b32_e32 v18, v35
	v_pk_mul_f32 v[18:19], v[8:9], v[18:19] op_sel_hi:[1,0]
	v_pk_fma_f32 v[20:21], v[8:9], v[34:35], v[18:19] op_sel:[0,0,1] op_sel_hi:[1,1,0] neg_lo:[0,0,1] neg_hi:[0,0,1]
	v_pk_fma_f32 v[8:9], v[8:9], v[34:35], v[18:19] op_sel:[0,0,1] op_sel_hi:[1,0,0]
	v_mov_b32_e32 v8, v33
	v_mov_b32_e32 v21, v9
	s_waitcnt lgkmcnt(2)
	v_pk_mul_f32 v[8:9], v[10:11], v[8:9] op_sel_hi:[1,0]
	v_pk_fma_f32 v[18:19], v[10:11], v[32:33], v[8:9] op_sel:[0,0,1] op_sel_hi:[1,1,0] neg_lo:[0,0,1] neg_hi:[0,0,1]
	v_pk_fma_f32 v[8:9], v[10:11], v[32:33], v[8:9] op_sel:[0,0,1] op_sel_hi:[1,0,0]
	s_waitcnt vmcnt(3)
	v_mov_b32_e32 v8, v45
	v_mov_b32_e32 v19, v9
	v_pk_mul_f32 v[8:9], v[12:13], v[8:9] op_sel_hi:[1,0]
	s_waitcnt vmcnt(2)
	v_pk_fma_f32 v[10:11], v[12:13], v[44:45], v[8:9] op_sel:[0,0,1] op_sel_hi:[1,1,0] neg_lo:[0,0,1] neg_hi:[0,0,1]
	v_pk_fma_f32 v[8:9], v[12:13], v[44:45], v[8:9] op_sel:[0,0,1] op_sel_hi:[1,0,0]
	v_pk_add_f32 v[6:7], v[6:7], v[20:21]
	v_mov_b32_e32 v8, v43
	v_pk_add_f32 v[6:7], v[6:7], v[18:19]
	v_mov_b32_e32 v11, v9
	s_waitcnt lgkmcnt(1)
	v_pk_mul_f32 v[8:9], v[14:15], v[8:9] op_sel_hi:[1,0]
	v_pk_add_f32 v[6:7], v[6:7], v[10:11]
	v_pk_fma_f32 v[10:11], v[14:15], v[42:43], v[8:9] op_sel:[0,0,1] op_sel_hi:[1,1,0] neg_lo:[0,0,1] neg_hi:[0,0,1]
	v_pk_fma_f32 v[8:9], v[14:15], v[42:43], v[8:9] op_sel:[0,0,1] op_sel_hi:[1,0,0]
	v_mov_b32_e32 v8, v41
	v_mov_b32_e32 v11, v9
	v_pk_mul_f32 v[8:9], v[16:17], v[8:9] op_sel_hi:[1,0]
	v_pk_add_f32 v[6:7], v[6:7], v[10:11]
	v_pk_fma_f32 v[10:11], v[16:17], v[40:41], v[8:9] op_sel:[0,0,1] op_sel_hi:[1,1,0] neg_lo:[0,0,1] neg_hi:[0,0,1]
	v_pk_fma_f32 v[8:9], v[16:17], v[40:41], v[8:9] op_sel:[0,0,1] op_sel_hi:[1,0,0]
	v_mov_b32_e32 v8, v39
	v_mov_b32_e32 v11, v9
	s_waitcnt lgkmcnt(0)
	v_pk_mul_f32 v[8:9], v[2:3], v[8:9] op_sel_hi:[1,0]
	v_pk_add_f32 v[6:7], v[6:7], v[10:11]
	v_pk_fma_f32 v[10:11], v[2:3], v[38:39], v[8:9] op_sel:[0,0,1] op_sel_hi:[1,1,0] neg_lo:[0,0,1] neg_hi:[0,0,1]
	v_pk_fma_f32 v[2:3], v[2:3], v[38:39], v[8:9] op_sel:[0,0,1] op_sel_hi:[1,0,0]
	v_mov_b32_e32 v11, v3
	v_pk_add_f32 v[2:3], v[6:7], v[10:11]
	s_waitcnt vmcnt(1)
	v_mov_b32_e32 v6, v47
	v_pk_mul_f32 v[6:7], v[4:5], v[6:7] op_sel_hi:[1,0]
	s_waitcnt vmcnt(0)
	v_pk_fma_f32 v[8:9], v[4:5], v[46:47], v[6:7] op_sel:[0,0,1] op_sel_hi:[1,1,0] neg_lo:[0,0,1] neg_hi:[0,0,1]
	v_pk_fma_f32 v[4:5], v[4:5], v[46:47], v[6:7] op_sel:[0,0,1] op_sel_hi:[1,0,0]
	v_mov_b32_e32 v9, v5
	v_pk_add_f32 v[2:3], v[2:3], v[8:9]
	v_pk_add_f32 v[2:3], v[30:31], v[2:3] neg_lo:[0,1] neg_hi:[0,1]
	buffer_store_dword v3, off, s[0:3], 0 offset:220
	buffer_store_dword v2, off, s[0:3], 0 offset:216
	s_and_saveexec_b64 s[4:5], vcc
	s_cbranch_execz .LBB111_249
; %bb.248:
	buffer_load_dword v2, off, s[0:3], 0 offset:208
	buffer_load_dword v3, off, s[0:3], 0 offset:212
	v_mov_b32_e32 v4, 0
	v_accvgpr_read_b32 v1, a20
	buffer_store_dword v4, off, s[0:3], 0 offset:208
	buffer_store_dword v4, off, s[0:3], 0 offset:212
	s_waitcnt vmcnt(2)
	ds_write_b64 v1, v[2:3]
.LBB111_249:
	s_or_b64 exec, exec, s[4:5]
	s_waitcnt lgkmcnt(0)
	; wave barrier
	s_waitcnt lgkmcnt(0)
	buffer_load_dword v3, off, s[0:3], 0 offset:220
	buffer_load_dword v54, off, s[0:3], 0 offset:228
	;; [unrolled: 1-line block ×44, first 2 shown]
	v_mov_b32_e32 v2, 0
	ds_read2_b64 v[4:7], v2 offset0:75 offset1:76
	ds_read2_b64 v[8:11], v2 offset0:77 offset1:78
	;; [unrolled: 1-line block ×8, first 2 shown]
	v_cmp_lt_u32_e32 vcc, 25, v0
	s_waitcnt vmcnt(43) lgkmcnt(7)
	v_mul_f32_e32 v59, v4, v3
	v_mul_f32_e32 v3, v5, v3
	s_waitcnt vmcnt(42)
	v_mul_f32_e32 v178, v6, v54
	s_waitcnt vmcnt(41) lgkmcnt(6)
	v_mul_f32_e32 v179, v8, v56
	s_waitcnt vmcnt(40)
	v_mul_f32_e32 v180, v10, v58
	s_waitcnt vmcnt(39) lgkmcnt(5)
	;; [unrolled: 4-line block ×5, first 2 shown]
	v_mul_f32_e32 v187, v24, v66
	s_waitcnt vmcnt(32)
	v_mul_f32_e32 v55, v26, v67
	s_waitcnt vmcnt(30)
	v_fma_f32 v3, v4, v69, -v3
	v_mul_f32_e32 v4, v7, v54
	v_add_f32_e32 v3, 0, v3
	s_waitcnt vmcnt(29)
	v_fma_f32 v4, v6, v70, -v4
	v_add_f32_e32 v3, v3, v4
	v_mul_f32_e32 v4, v9, v56
	s_waitcnt vmcnt(28)
	v_fma_f32 v4, v8, v71, -v4
	v_add_f32_e32 v3, v3, v4
	v_mul_f32_e32 v4, v11, v58
	;; [unrolled: 4-line block ×4, first 2 shown]
	s_waitcnt vmcnt(25)
	v_fma_f32 v4, v14, v74, -v4
	v_fmac_f32_e32 v59, v5, v69
	v_add_f32_e32 v3, v3, v4
	v_mul_f32_e32 v4, v17, v62
	v_fmac_f32_e32 v178, v7, v70
	v_add_f32_e32 v5, 0, v59
	s_waitcnt vmcnt(24)
	v_fma_f32 v4, v16, v75, -v4
	v_fmac_f32_e32 v179, v9, v71
	v_add_f32_e32 v5, v5, v178
	v_add_f32_e32 v3, v3, v4
	v_mul_f32_e32 v4, v19, v63
	v_fmac_f32_e32 v180, v11, v72
	v_add_f32_e32 v5, v5, v179
	s_waitcnt vmcnt(23)
	v_fma_f32 v4, v18, v76, -v4
	v_fmac_f32_e32 v181, v13, v73
	v_add_f32_e32 v5, v5, v180
	;; [unrolled: 8-line block ×4, first 2 shown]
	v_add_f32_e32 v3, v3, v4
	v_mul_f32_e32 v4, v25, v66
	v_fmac_f32_e32 v186, v23, v174
	v_add_f32_e32 v5, v5, v185
	s_waitcnt vmcnt(20)
	v_fma_f32 v4, v24, v175, -v4
	s_waitcnt vmcnt(13)
	v_mov_b32_e32 v16, v41
	v_fmac_f32_e32 v187, v25, v175
	v_add_f32_e32 v5, v5, v186
	v_add_f32_e32 v58, v3, v4
	v_mul_f32_e32 v3, v27, v67
	s_waitcnt lgkmcnt(1)
	v_pk_mul_f32 v[16:17], v[30:31], v[16:17] op_sel_hi:[1,0]
	v_mul_f32_e32 v57, v28, v68
	v_fmac_f32_e32 v55, v27, v176
	v_add_f32_e32 v59, v5, v187
	v_fma_f32 v54, v26, v176, -v3
	v_mul_f32_e32 v3, v29, v68
	s_waitcnt vmcnt(12)
	v_pk_fma_f32 v[18:19], v[30:31], v[40:41], v[16:17] op_sel:[0,0,1] op_sel_hi:[1,1,0] neg_lo:[0,0,1] neg_hi:[0,0,1]
	v_pk_fma_f32 v[16:17], v[30:31], v[40:41], v[16:17] op_sel:[0,0,1] op_sel_hi:[1,0,0]
	v_fmac_f32_e32 v57, v29, v177
	v_fma_f32 v56, v28, v177, -v3
	v_pk_add_f32 v[14:15], v[58:59], v[54:55]
	v_mov_b32_e32 v16, v39
	v_pk_add_f32 v[14:15], v[14:15], v[56:57]
	v_mov_b32_e32 v19, v17
	s_waitcnt lgkmcnt(0)
	v_pk_mul_f32 v[16:17], v[32:33], v[16:17] op_sel_hi:[1,0]
	v_pk_add_f32 v[14:15], v[14:15], v[18:19]
	v_pk_fma_f32 v[18:19], v[32:33], v[38:39], v[16:17] op_sel:[0,0,1] op_sel_hi:[1,1,0] neg_lo:[0,0,1] neg_hi:[0,0,1]
	v_pk_fma_f32 v[16:17], v[32:33], v[38:39], v[16:17] op_sel:[0,0,1] op_sel_hi:[1,0,0]
	s_waitcnt vmcnt(5)
	v_mov_b32_e32 v16, v49
	ds_read2_b64 v[4:7], v2 offset0:91 offset1:92
	ds_read2_b64 v[8:11], v2 offset0:93 offset1:94
	ds_read_b64 v[12:13], v2 offset:760
	v_mov_b32_e32 v19, v17
	v_pk_mul_f32 v[16:17], v[34:35], v[16:17] op_sel_hi:[1,0]
	v_pk_add_f32 v[14:15], v[14:15], v[18:19]
	s_waitcnt vmcnt(4)
	v_pk_fma_f32 v[18:19], v[34:35], v[48:49], v[16:17] op_sel:[0,0,1] op_sel_hi:[1,1,0] neg_lo:[0,0,1] neg_hi:[0,0,1]
	v_pk_fma_f32 v[16:17], v[34:35], v[48:49], v[16:17] op_sel:[0,0,1] op_sel_hi:[1,0,0]
	v_mov_b32_e32 v16, v47
	v_mov_b32_e32 v19, v17
	s_waitcnt lgkmcnt(2)
	v_pk_mul_f32 v[16:17], v[4:5], v[16:17] op_sel_hi:[1,0]
	v_pk_add_f32 v[14:15], v[14:15], v[18:19]
	v_pk_fma_f32 v[18:19], v[4:5], v[46:47], v[16:17] op_sel:[0,0,1] op_sel_hi:[1,1,0] neg_lo:[0,0,1] neg_hi:[0,0,1]
	v_pk_fma_f32 v[4:5], v[4:5], v[46:47], v[16:17] op_sel:[0,0,1] op_sel_hi:[1,0,0]
	v_mov_b32_e32 v19, v5
	v_pk_add_f32 v[4:5], v[14:15], v[18:19]
	v_mov_b32_e32 v14, v45
	v_pk_mul_f32 v[14:15], v[6:7], v[14:15] op_sel_hi:[1,0]
	v_pk_fma_f32 v[16:17], v[6:7], v[44:45], v[14:15] op_sel:[0,0,1] op_sel_hi:[1,1,0] neg_lo:[0,0,1] neg_hi:[0,0,1]
	v_pk_fma_f32 v[6:7], v[6:7], v[44:45], v[14:15] op_sel:[0,0,1] op_sel_hi:[1,0,0]
	v_mov_b32_e32 v6, v43
	v_mov_b32_e32 v17, v7
	s_waitcnt lgkmcnt(1)
	v_pk_mul_f32 v[6:7], v[8:9], v[6:7] op_sel_hi:[1,0]
	v_pk_fma_f32 v[14:15], v[8:9], v[42:43], v[6:7] op_sel:[0,0,1] op_sel_hi:[1,1,0] neg_lo:[0,0,1] neg_hi:[0,0,1]
	v_pk_fma_f32 v[6:7], v[8:9], v[42:43], v[6:7] op_sel:[0,0,1] op_sel_hi:[1,0,0]
	s_waitcnt vmcnt(1)
	v_mov_b32_e32 v6, v53
	v_mov_b32_e32 v15, v7
	v_pk_mul_f32 v[6:7], v[10:11], v[6:7] op_sel_hi:[1,0]
	s_waitcnt vmcnt(0)
	v_pk_fma_f32 v[8:9], v[10:11], v[52:53], v[6:7] op_sel:[0,0,1] op_sel_hi:[1,1,0] neg_lo:[0,0,1] neg_hi:[0,0,1]
	v_pk_fma_f32 v[6:7], v[10:11], v[52:53], v[6:7] op_sel:[0,0,1] op_sel_hi:[1,0,0]
	v_pk_add_f32 v[4:5], v[4:5], v[16:17]
	v_mov_b32_e32 v6, v51
	v_pk_add_f32 v[4:5], v[4:5], v[14:15]
	v_mov_b32_e32 v9, v7
	s_waitcnt lgkmcnt(0)
	v_pk_mul_f32 v[6:7], v[12:13], v[6:7] op_sel_hi:[1,0]
	v_pk_add_f32 v[4:5], v[4:5], v[8:9]
	v_pk_fma_f32 v[8:9], v[12:13], v[50:51], v[6:7] op_sel:[0,0,1] op_sel_hi:[1,1,0] neg_lo:[0,0,1] neg_hi:[0,0,1]
	v_pk_fma_f32 v[6:7], v[12:13], v[50:51], v[6:7] op_sel:[0,0,1] op_sel_hi:[1,0,0]
	v_mov_b32_e32 v9, v7
	v_pk_add_f32 v[4:5], v[4:5], v[8:9]
	v_pk_add_f32 v[4:5], v[36:37], v[4:5] neg_lo:[0,1] neg_hi:[0,1]
	buffer_store_dword v5, off, s[0:3], 0 offset:212
	buffer_store_dword v4, off, s[0:3], 0 offset:208
	s_and_saveexec_b64 s[4:5], vcc
	s_cbranch_execz .LBB111_251
; %bb.250:
	buffer_load_dword v4, off, s[0:3], 0 offset:200
	buffer_load_dword v5, off, s[0:3], 0 offset:204
	v_accvgpr_read_b32 v1, a20
	buffer_store_dword v2, off, s[0:3], 0 offset:200
	buffer_store_dword v2, off, s[0:3], 0 offset:204
	s_waitcnt vmcnt(2)
	ds_write_b64 v1, v[4:5]
.LBB111_251:
	s_or_b64 exec, exec, s[4:5]
	s_waitcnt lgkmcnt(0)
	; wave barrier
	s_waitcnt lgkmcnt(0)
	buffer_load_dword v3, off, s[0:3], 0 offset:212
	buffer_load_dword v54, off, s[0:3], 0 offset:220
	;; [unrolled: 1-line block ×30, first 2 shown]
	ds_read_b128 v[4:7], v2 offset:592
	ds_read_b128 v[8:11], v2 offset:608
	;; [unrolled: 1-line block ×6, first 2 shown]
	buffer_load_dword v39, off, s[0:3], 0 offset:324
	buffer_load_dword v38, off, s[0:3], 0 offset:320
	ds_read_b128 v[28:31], v2 offset:688
	ds_read_b128 v[32:35], v2 offset:704
	buffer_load_dword v41, off, s[0:3], 0 offset:356
	buffer_load_dword v40, off, s[0:3], 0 offset:352
	buffer_load_dword v43, off, s[0:3], 0 offset:348
	buffer_load_dword v42, off, s[0:3], 0 offset:344
	buffer_load_dword v45, off, s[0:3], 0 offset:340
	buffer_load_dword v44, off, s[0:3], 0 offset:336
	buffer_load_dword v47, off, s[0:3], 0 offset:332
	buffer_load_dword v46, off, s[0:3], 0 offset:328
	buffer_load_dword v49, off, s[0:3], 0 offset:380
	buffer_load_dword v48, off, s[0:3], 0 offset:376
	buffer_load_dword v51, off, s[0:3], 0 offset:372
	buffer_load_dword v50, off, s[0:3], 0 offset:368
	buffer_load_dword v53, off, s[0:3], 0 offset:364
	buffer_load_dword v52, off, s[0:3], 0 offset:360
	v_cmp_lt_u32_e32 vcc, 24, v0
	s_waitcnt vmcnt(45) lgkmcnt(7)
	v_mul_f32_e32 v57, v4, v3
	v_mul_f32_e32 v3, v5, v3
	s_waitcnt vmcnt(44)
	v_mul_f32_e32 v59, v6, v54
	s_waitcnt vmcnt(43) lgkmcnt(6)
	v_mul_f32_e32 v180, v8, v56
	s_waitcnt vmcnt(42)
	v_mul_f32_e32 v181, v10, v58
	s_waitcnt vmcnt(41) lgkmcnt(5)
	v_mul_f32_e32 v182, v12, v60
	s_waitcnt vmcnt(40)
	v_mul_f32_e32 v183, v14, v61
	s_waitcnt vmcnt(39) lgkmcnt(4)
	v_mul_f32_e32 v184, v16, v62
	s_waitcnt vmcnt(38)
	v_mul_f32_e32 v185, v18, v63
	s_waitcnt vmcnt(37) lgkmcnt(3)
	v_mul_f32_e32 v186, v20, v64
	s_waitcnt vmcnt(36)
	v_mul_f32_e32 v187, v22, v65
	s_waitcnt vmcnt(35) lgkmcnt(2)
	v_mul_f32_e32 v188, v24, v66
	s_waitcnt vmcnt(34)
	v_mul_f32_e32 v189, v26, v67
	s_waitcnt vmcnt(32)
	v_fma_f32 v3, v4, v69, -v3
	v_mul_f32_e32 v4, v7, v54
	v_add_f32_e32 v3, 0, v3
	s_waitcnt vmcnt(31)
	v_fma_f32 v4, v6, v70, -v4
	v_add_f32_e32 v3, v3, v4
	v_mul_f32_e32 v4, v9, v56
	s_waitcnt vmcnt(30)
	v_fma_f32 v4, v8, v71, -v4
	v_add_f32_e32 v3, v3, v4
	v_mul_f32_e32 v4, v11, v58
	;; [unrolled: 4-line block ×5, first 2 shown]
	v_fmac_f32_e32 v57, v5, v69
	s_waitcnt vmcnt(26)
	v_fma_f32 v4, v16, v75, -v4
	v_fmac_f32_e32 v59, v7, v70
	v_add_f32_e32 v57, 0, v57
	v_add_f32_e32 v3, v3, v4
	v_mul_f32_e32 v4, v19, v63
	v_fmac_f32_e32 v180, v9, v71
	v_add_f32_e32 v57, v57, v59
	s_waitcnt vmcnt(25)
	v_fma_f32 v4, v18, v76, -v4
	v_fmac_f32_e32 v181, v11, v72
	v_add_f32_e32 v57, v57, v180
	v_add_f32_e32 v3, v3, v4
	v_mul_f32_e32 v4, v21, v64
	v_fmac_f32_e32 v182, v13, v73
	v_add_f32_e32 v57, v57, v181
	;; [unrolled: 8-line block ×5, first 2 shown]
	s_waitcnt vmcnt(21)
	v_fma_f32 v4, v26, v176, -v4
	s_waitcnt vmcnt(15)
	v_mov_b32_e32 v16, v39
	s_waitcnt lgkmcnt(1)
	v_mul_f32_e32 v55, v28, v68
	v_fmac_f32_e32 v189, v27, v176
	v_add_f32_e32 v57, v57, v188
	v_add_f32_e32 v56, v3, v4
	v_mul_f32_e32 v3, v29, v68
	s_waitcnt lgkmcnt(0)
	v_pk_mul_f32 v[16:17], v[32:33], v[16:17] op_sel_hi:[1,0]
	v_fmac_f32_e32 v55, v29, v177
	v_add_f32_e32 v57, v57, v189
	v_mul_f32_e32 v59, v30, v178
	v_fma_f32 v54, v28, v177, -v3
	v_mul_f32_e32 v3, v31, v178
	s_waitcnt vmcnt(14)
	v_pk_fma_f32 v[18:19], v[32:33], v[38:39], v[16:17] op_sel:[0,0,1] op_sel_hi:[1,1,0] neg_lo:[0,0,1] neg_hi:[0,0,1]
	v_pk_fma_f32 v[16:17], v[32:33], v[38:39], v[16:17] op_sel:[0,0,1] op_sel_hi:[1,0,0]
	v_fmac_f32_e32 v59, v31, v179
	v_fma_f32 v58, v30, v179, -v3
	ds_read_b128 v[4:7], v2 offset:720
	ds_read_b128 v[8:11], v2 offset:736
	;; [unrolled: 1-line block ×3, first 2 shown]
	v_pk_add_f32 v[2:3], v[56:57], v[54:55]
	s_waitcnt vmcnt(7)
	v_mov_b32_e32 v16, v47
	v_pk_add_f32 v[2:3], v[2:3], v[58:59]
	v_mov_b32_e32 v19, v17
	v_pk_mul_f32 v[16:17], v[34:35], v[16:17] op_sel_hi:[1,0]
	v_pk_add_f32 v[2:3], v[2:3], v[18:19]
	s_waitcnt vmcnt(6)
	v_pk_fma_f32 v[18:19], v[34:35], v[46:47], v[16:17] op_sel:[0,0,1] op_sel_hi:[1,1,0] neg_lo:[0,0,1] neg_hi:[0,0,1]
	v_pk_fma_f32 v[16:17], v[34:35], v[46:47], v[16:17] op_sel:[0,0,1] op_sel_hi:[1,0,0]
	v_mov_b32_e32 v16, v45
	v_mov_b32_e32 v19, v17
	s_waitcnt lgkmcnt(2)
	v_pk_mul_f32 v[16:17], v[4:5], v[16:17] op_sel_hi:[1,0]
	v_pk_add_f32 v[2:3], v[2:3], v[18:19]
	v_pk_fma_f32 v[18:19], v[4:5], v[44:45], v[16:17] op_sel:[0,0,1] op_sel_hi:[1,1,0] neg_lo:[0,0,1] neg_hi:[0,0,1]
	v_pk_fma_f32 v[4:5], v[4:5], v[44:45], v[16:17] op_sel:[0,0,1] op_sel_hi:[1,0,0]
	v_mov_b32_e32 v4, v43
	v_mov_b32_e32 v19, v5
	v_pk_mul_f32 v[4:5], v[6:7], v[4:5] op_sel_hi:[1,0]
	v_pk_fma_f32 v[16:17], v[6:7], v[42:43], v[4:5] op_sel:[0,0,1] op_sel_hi:[1,1,0] neg_lo:[0,0,1] neg_hi:[0,0,1]
	v_pk_fma_f32 v[4:5], v[6:7], v[42:43], v[4:5] op_sel:[0,0,1] op_sel_hi:[1,0,0]
	v_mov_b32_e32 v4, v41
	v_mov_b32_e32 v17, v5
	s_waitcnt lgkmcnt(1)
	v_pk_mul_f32 v[4:5], v[8:9], v[4:5] op_sel_hi:[1,0]
	v_pk_fma_f32 v[6:7], v[8:9], v[40:41], v[4:5] op_sel:[0,0,1] op_sel_hi:[1,1,0] neg_lo:[0,0,1] neg_hi:[0,0,1]
	v_pk_fma_f32 v[4:5], v[8:9], v[40:41], v[4:5] op_sel:[0,0,1] op_sel_hi:[1,0,0]
	v_pk_add_f32 v[2:3], v[2:3], v[18:19]
	s_waitcnt vmcnt(1)
	v_mov_b32_e32 v4, v53
	v_pk_add_f32 v[2:3], v[2:3], v[16:17]
	v_mov_b32_e32 v7, v5
	v_pk_mul_f32 v[4:5], v[10:11], v[4:5] op_sel_hi:[1,0]
	v_pk_add_f32 v[2:3], v[2:3], v[6:7]
	s_waitcnt vmcnt(0)
	v_pk_fma_f32 v[6:7], v[10:11], v[52:53], v[4:5] op_sel:[0,0,1] op_sel_hi:[1,1,0] neg_lo:[0,0,1] neg_hi:[0,0,1]
	v_pk_fma_f32 v[4:5], v[10:11], v[52:53], v[4:5] op_sel:[0,0,1] op_sel_hi:[1,0,0]
	v_mov_b32_e32 v4, v51
	v_mov_b32_e32 v7, v5
	s_waitcnt lgkmcnt(0)
	v_pk_mul_f32 v[4:5], v[12:13], v[4:5] op_sel_hi:[1,0]
	v_pk_add_f32 v[2:3], v[2:3], v[6:7]
	v_pk_fma_f32 v[6:7], v[12:13], v[50:51], v[4:5] op_sel:[0,0,1] op_sel_hi:[1,1,0] neg_lo:[0,0,1] neg_hi:[0,0,1]
	v_pk_fma_f32 v[4:5], v[12:13], v[50:51], v[4:5] op_sel:[0,0,1] op_sel_hi:[1,0,0]
	v_mov_b32_e32 v4, v49
	v_mov_b32_e32 v7, v5
	v_pk_mul_f32 v[4:5], v[14:15], v[4:5] op_sel_hi:[1,0]
	v_pk_add_f32 v[2:3], v[2:3], v[6:7]
	v_pk_fma_f32 v[6:7], v[14:15], v[48:49], v[4:5] op_sel:[0,0,1] op_sel_hi:[1,1,0] neg_lo:[0,0,1] neg_hi:[0,0,1]
	v_pk_fma_f32 v[4:5], v[14:15], v[48:49], v[4:5] op_sel:[0,0,1] op_sel_hi:[1,0,0]
	v_mov_b32_e32 v7, v5
	v_pk_add_f32 v[2:3], v[2:3], v[6:7]
	v_pk_add_f32 v[2:3], v[36:37], v[2:3] neg_lo:[0,1] neg_hi:[0,1]
	buffer_store_dword v3, off, s[0:3], 0 offset:204
	buffer_store_dword v2, off, s[0:3], 0 offset:200
	s_and_saveexec_b64 s[4:5], vcc
	s_cbranch_execz .LBB111_253
; %bb.252:
	buffer_load_dword v2, off, s[0:3], 0 offset:192
	buffer_load_dword v3, off, s[0:3], 0 offset:196
	v_mov_b32_e32 v4, 0
	v_accvgpr_read_b32 v1, a20
	buffer_store_dword v4, off, s[0:3], 0 offset:192
	buffer_store_dword v4, off, s[0:3], 0 offset:196
	s_waitcnt vmcnt(2)
	ds_write_b64 v1, v[2:3]
.LBB111_253:
	s_or_b64 exec, exec, s[4:5]
	s_waitcnt lgkmcnt(0)
	; wave barrier
	s_waitcnt lgkmcnt(0)
	buffer_load_dword v3, off, s[0:3], 0 offset:204
	buffer_load_dword v52, off, s[0:3], 0 offset:212
	;; [unrolled: 1-line block ×32, first 2 shown]
	v_mov_b32_e32 v2, 0
	buffer_load_dword v39, off, s[0:3], 0 offset:348
	buffer_load_dword v38, off, s[0:3], 0 offset:344
	;; [unrolled: 1-line block ×13, first 2 shown]
	ds_read2_b64 v[4:7], v2 offset0:73 offset1:74
	ds_read2_b64 v[8:11], v2 offset0:75 offset1:76
	;; [unrolled: 1-line block ×8, first 2 shown]
	v_cmp_lt_u32_e32 vcc, 23, v0
	s_waitcnt vmcnt(44) lgkmcnt(7)
	v_mul_f32_e32 v46, v4, v3
	s_waitcnt vmcnt(43)
	v_mul_f32_e32 v53, v6, v52
	s_waitcnt vmcnt(42) lgkmcnt(6)
	v_mul_f32_e32 v54, v8, v56
	s_waitcnt vmcnt(41)
	v_mul_f32_e32 v55, v10, v58
	;; [unrolled: 4-line block ×6, first 2 shown]
	s_waitcnt vmcnt(32) lgkmcnt(1)
	v_mul_f32_e32 v188, v28, v68
	s_waitcnt vmcnt(31)
	v_fmac_f32_e32 v46, v5, v69
	s_waitcnt vmcnt(30)
	v_fmac_f32_e32 v53, v7, v70
	v_add_f32_e32 v46, 0, v46
	s_waitcnt vmcnt(29)
	v_fmac_f32_e32 v54, v9, v71
	v_add_f32_e32 v46, v46, v53
	;; [unrolled: 3-line block ×12, first 2 shown]
	v_add_f32_e32 v53, v46, v188
	buffer_load_dword v55, off, s[0:3], 0 offset:364
	buffer_load_dword v54, off, s[0:3], 0 offset:360
	;; [unrolled: 1-line block ×3, first 2 shown]
	v_mul_f32_e32 v3, v5, v3
	v_fma_f32 v3, v4, v69, -v3
	v_mul_f32_e32 v4, v7, v52
	v_add_f32_e32 v3, 0, v3
	v_fma_f32 v4, v6, v70, -v4
	v_add_f32_e32 v3, v3, v4
	v_mul_f32_e32 v4, v9, v56
	v_fma_f32 v4, v8, v71, -v4
	v_add_f32_e32 v3, v3, v4
	v_mul_f32_e32 v4, v11, v58
	;; [unrolled: 3-line block ×11, first 2 shown]
	v_fma_f32 v4, v28, v177, -v4
	s_waitcnt vmcnt(9)
	v_mov_b32_e32 v20, v45
	v_mul_f32_e32 v57, v30, v178
	v_add_f32_e32 v52, v3, v4
	v_mul_f32_e32 v3, v31, v178
	s_waitcnt lgkmcnt(0)
	v_pk_mul_f32 v[20:21], v[34:35], v[20:21] op_sel_hi:[1,0]
	v_fmac_f32_e32 v57, v31, v179
	v_mul_f32_e32 v59, v32, v180
	v_fma_f32 v56, v30, v179, -v3
	v_mul_f32_e32 v3, v33, v180
	ds_read2_b64 v[4:7], v2 offset0:89 offset1:90
	ds_read2_b64 v[8:11], v2 offset0:91 offset1:92
	;; [unrolled: 1-line block ×3, first 2 shown]
	ds_read_b64 v[16:17], v2 offset:760
	s_waitcnt vmcnt(8)
	v_pk_fma_f32 v[22:23], v[34:35], v[44:45], v[20:21] op_sel:[0,0,1] op_sel_hi:[1,1,0] neg_lo:[0,0,1] neg_hi:[0,0,1]
	v_pk_fma_f32 v[20:21], v[34:35], v[44:45], v[20:21] op_sel:[0,0,1] op_sel_hi:[1,0,0]
	v_fmac_f32_e32 v59, v33, v181
	v_fma_f32 v58, v32, v181, -v3
	v_pk_add_f32 v[18:19], v[52:53], v[56:57]
	v_mov_b32_e32 v20, v43
	v_pk_add_f32 v[18:19], v[18:19], v[58:59]
	v_mov_b32_e32 v23, v21
	s_waitcnt lgkmcnt(3)
	v_pk_mul_f32 v[20:21], v[4:5], v[20:21] op_sel_hi:[1,0]
	v_pk_add_f32 v[18:19], v[18:19], v[22:23]
	v_pk_fma_f32 v[22:23], v[4:5], v[42:43], v[20:21] op_sel:[0,0,1] op_sel_hi:[1,1,0] neg_lo:[0,0,1] neg_hi:[0,0,1]
	v_pk_fma_f32 v[4:5], v[4:5], v[42:43], v[20:21] op_sel:[0,0,1] op_sel_hi:[1,0,0]
	v_mov_b32_e32 v23, v5
	v_pk_add_f32 v[4:5], v[18:19], v[22:23]
	v_mov_b32_e32 v18, v41
	v_pk_mul_f32 v[18:19], v[6:7], v[18:19] op_sel_hi:[1,0]
	v_pk_fma_f32 v[20:21], v[6:7], v[40:41], v[18:19] op_sel:[0,0,1] op_sel_hi:[1,1,0] neg_lo:[0,0,1] neg_hi:[0,0,1]
	v_pk_fma_f32 v[6:7], v[6:7], v[40:41], v[18:19] op_sel:[0,0,1] op_sel_hi:[1,0,0]
	v_mov_b32_e32 v6, v39
	v_mov_b32_e32 v21, v7
	s_waitcnt lgkmcnt(2)
	v_pk_mul_f32 v[6:7], v[8:9], v[6:7] op_sel_hi:[1,0]
	v_pk_fma_f32 v[18:19], v[8:9], v[38:39], v[6:7] op_sel:[0,0,1] op_sel_hi:[1,1,0] neg_lo:[0,0,1] neg_hi:[0,0,1]
	v_pk_fma_f32 v[6:7], v[8:9], v[38:39], v[6:7] op_sel:[0,0,1] op_sel_hi:[1,0,0]
	s_waitcnt vmcnt(7)
	v_mov_b32_e32 v6, v47
	v_mov_b32_e32 v19, v7
	v_pk_mul_f32 v[6:7], v[10:11], v[6:7] op_sel_hi:[1,0]
	v_pk_add_f32 v[4:5], v[4:5], v[20:21]
	v_pk_add_f32 v[4:5], v[4:5], v[18:19]
	s_waitcnt vmcnt(0)
	v_pk_fma_f32 v[8:9], v[10:11], v[46:47], v[6:7] op_sel:[0,0,1] op_sel_hi:[1,1,0] neg_lo:[0,0,1] neg_hi:[0,0,1]
	v_pk_fma_f32 v[6:7], v[10:11], v[46:47], v[6:7] op_sel:[0,0,1] op_sel_hi:[1,0,0]
	v_mov_b32_e32 v6, v55
	v_mov_b32_e32 v9, v7
	s_waitcnt lgkmcnt(1)
	v_pk_mul_f32 v[6:7], v[12:13], v[6:7] op_sel_hi:[1,0]
	v_pk_add_f32 v[4:5], v[4:5], v[8:9]
	v_pk_fma_f32 v[8:9], v[12:13], v[54:55], v[6:7] op_sel:[0,0,1] op_sel_hi:[1,1,0] neg_lo:[0,0,1] neg_hi:[0,0,1]
	v_pk_fma_f32 v[6:7], v[12:13], v[54:55], v[6:7] op_sel:[0,0,1] op_sel_hi:[1,0,0]
	v_mov_b32_e32 v6, v51
	v_mov_b32_e32 v9, v7
	v_pk_mul_f32 v[6:7], v[14:15], v[6:7] op_sel_hi:[1,0]
	v_pk_add_f32 v[4:5], v[4:5], v[8:9]
	v_pk_fma_f32 v[8:9], v[14:15], v[50:51], v[6:7] op_sel:[0,0,1] op_sel_hi:[1,1,0] neg_lo:[0,0,1] neg_hi:[0,0,1]
	v_pk_fma_f32 v[6:7], v[14:15], v[50:51], v[6:7] op_sel:[0,0,1] op_sel_hi:[1,0,0]
	v_mov_b32_e32 v6, v49
	v_mov_b32_e32 v9, v7
	s_waitcnt lgkmcnt(0)
	v_pk_mul_f32 v[6:7], v[16:17], v[6:7] op_sel_hi:[1,0]
	v_pk_add_f32 v[4:5], v[4:5], v[8:9]
	v_pk_fma_f32 v[8:9], v[16:17], v[48:49], v[6:7] op_sel:[0,0,1] op_sel_hi:[1,1,0] neg_lo:[0,0,1] neg_hi:[0,0,1]
	v_pk_fma_f32 v[6:7], v[16:17], v[48:49], v[6:7] op_sel:[0,0,1] op_sel_hi:[1,0,0]
	v_mov_b32_e32 v9, v7
	v_pk_add_f32 v[4:5], v[4:5], v[8:9]
	v_pk_add_f32 v[4:5], v[36:37], v[4:5] neg_lo:[0,1] neg_hi:[0,1]
	buffer_store_dword v5, off, s[0:3], 0 offset:196
	buffer_store_dword v4, off, s[0:3], 0 offset:192
	s_and_saveexec_b64 s[4:5], vcc
	s_cbranch_execz .LBB111_255
; %bb.254:
	buffer_load_dword v4, off, s[0:3], 0 offset:184
	buffer_load_dword v5, off, s[0:3], 0 offset:188
	v_accvgpr_read_b32 v1, a20
	buffer_store_dword v2, off, s[0:3], 0 offset:184
	buffer_store_dword v2, off, s[0:3], 0 offset:188
	s_waitcnt vmcnt(2)
	ds_write_b64 v1, v[4:5]
.LBB111_255:
	s_or_b64 exec, exec, s[4:5]
	s_waitcnt lgkmcnt(0)
	; wave barrier
	s_waitcnt lgkmcnt(0)
	buffer_load_dword v3, off, s[0:3], 0 offset:196
	buffer_load_dword v52, off, s[0:3], 0 offset:204
	;; [unrolled: 1-line block ×34, first 2 shown]
	ds_read_b128 v[4:7], v2 offset:576
	ds_read_b128 v[8:11], v2 offset:592
	;; [unrolled: 1-line block ×8, first 2 shown]
	buffer_load_dword v39, off, s[0:3], 0 offset:340
	buffer_load_dword v38, off, s[0:3], 0 offset:336
	buffer_load_dword v41, off, s[0:3], 0 offset:332
	buffer_load_dword v40, off, s[0:3], 0 offset:328
	buffer_load_dword v43, off, s[0:3], 0 offset:324
	buffer_load_dword v42, off, s[0:3], 0 offset:320
	buffer_load_dword v45, off, s[0:3], 0 offset:348
	buffer_load_dword v47, off, s[0:3], 0 offset:372
	buffer_load_dword v46, off, s[0:3], 0 offset:368
	v_cmp_lt_u32_e32 vcc, 22, v0
	s_waitcnt vmcnt(42) lgkmcnt(7)
	v_mul_f32_e32 v44, v4, v3
	s_waitcnt vmcnt(41)
	v_mul_f32_e32 v48, v6, v52
	s_waitcnt vmcnt(40) lgkmcnt(6)
	v_mul_f32_e32 v49, v8, v54
	s_waitcnt vmcnt(39)
	v_mul_f32_e32 v50, v10, v56
	;; [unrolled: 4-line block ×6, first 2 shown]
	s_waitcnt vmcnt(30) lgkmcnt(1)
	v_mul_f32_e32 v186, v28, v68
	v_mul_f32_e32 v3, v5, v3
	s_waitcnt vmcnt(28)
	v_fmac_f32_e32 v44, v5, v70
	s_waitcnt vmcnt(27)
	v_fmac_f32_e32 v48, v7, v71
	v_add_f32_e32 v44, 0, v44
	s_waitcnt vmcnt(26)
	v_fmac_f32_e32 v49, v9, v72
	v_add_f32_e32 v44, v44, v48
	;; [unrolled: 3-line block ×12, first 2 shown]
	v_add_f32_e32 v53, v44, v186
	buffer_load_dword v49, off, s[0:3], 0 offset:364
	buffer_load_dword v48, off, s[0:3], 0 offset:360
	;; [unrolled: 1-line block ×7, first 2 shown]
	v_fma_f32 v3, v4, v70, -v3
	v_mul_f32_e32 v4, v7, v52
	v_add_f32_e32 v3, 0, v3
	v_fma_f32 v4, v6, v71, -v4
	v_add_f32_e32 v3, v3, v4
	v_mul_f32_e32 v4, v9, v54
	v_fma_f32 v4, v8, v72, -v4
	v_add_f32_e32 v3, v3, v4
	v_mul_f32_e32 v4, v11, v56
	;; [unrolled: 3-line block ×12, first 2 shown]
	s_waitcnt vmcnt(22)
	v_fma_f32 v4, v30, v179, -v4
	v_add_f32_e32 v52, v3, v4
	ds_read_b128 v[4:7], v2 offset:704
	ds_read_b128 v[8:11], v2 offset:720
	;; [unrolled: 1-line block ×4, first 2 shown]
	s_waitcnt vmcnt(11)
	v_mov_b32_e32 v20, v43
	s_waitcnt lgkmcnt(3)
	v_pk_mul_f32 v[20:21], v[4:5], v[20:21] op_sel_hi:[1,0]
	s_waitcnt vmcnt(10)
	v_pk_fma_f32 v[22:23], v[4:5], v[42:43], v[20:21] op_sel:[0,0,1] op_sel_hi:[1,1,0] neg_lo:[0,0,1] neg_hi:[0,0,1]
	v_pk_fma_f32 v[4:5], v[4:5], v[42:43], v[20:21] op_sel:[0,0,1] op_sel_hi:[1,0,0]
	v_mov_b32_e32 v4, v41
	v_mul_f32_e32 v187, v30, v69
	v_mov_b32_e32 v23, v5
	v_pk_mul_f32 v[4:5], v[6:7], v[4:5] op_sel_hi:[1,0]
	v_fmac_f32_e32 v187, v31, v179
	v_mul_f32_e32 v55, v32, v180
	v_mul_f32_e32 v3, v33, v180
	v_pk_fma_f32 v[20:21], v[6:7], v[40:41], v[4:5] op_sel:[0,0,1] op_sel_hi:[1,1,0] neg_lo:[0,0,1] neg_hi:[0,0,1]
	v_pk_fma_f32 v[4:5], v[6:7], v[40:41], v[4:5] op_sel:[0,0,1] op_sel_hi:[1,0,0]
	v_add_f32_e32 v53, v53, v187
	v_fmac_f32_e32 v55, v33, v181
	v_mul_f32_e32 v57, v34, v182
	v_fma_f32 v54, v32, v181, -v3
	v_mul_f32_e32 v3, v35, v182
	v_mov_b32_e32 v4, v39
	v_fmac_f32_e32 v57, v35, v183
	v_fma_f32 v56, v34, v183, -v3
	v_pk_add_f32 v[2:3], v[52:53], v[54:55]
	v_mov_b32_e32 v21, v5
	s_waitcnt lgkmcnt(2)
	v_pk_mul_f32 v[4:5], v[8:9], v[4:5] op_sel_hi:[1,0]
	v_pk_add_f32 v[2:3], v[2:3], v[56:57]
	v_pk_fma_f32 v[6:7], v[8:9], v[38:39], v[4:5] op_sel:[0,0,1] op_sel_hi:[1,1,0] neg_lo:[0,0,1] neg_hi:[0,0,1]
	v_pk_fma_f32 v[4:5], v[8:9], v[38:39], v[4:5] op_sel:[0,0,1] op_sel_hi:[1,0,0]
	v_pk_add_f32 v[2:3], v[2:3], v[22:23]
	s_waitcnt vmcnt(9)
	v_mov_b32_e32 v4, v45
	v_pk_add_f32 v[2:3], v[2:3], v[20:21]
	v_mov_b32_e32 v7, v5
	v_pk_mul_f32 v[4:5], v[10:11], v[4:5] op_sel_hi:[1,0]
	v_pk_add_f32 v[2:3], v[2:3], v[6:7]
	s_waitcnt vmcnt(2)
	v_pk_fma_f32 v[6:7], v[10:11], v[44:45], v[4:5] op_sel:[0,0,1] op_sel_hi:[1,1,0] neg_lo:[0,0,1] neg_hi:[0,0,1]
	v_pk_fma_f32 v[4:5], v[10:11], v[44:45], v[4:5] op_sel:[0,0,1] op_sel_hi:[1,0,0]
	v_mov_b32_e32 v4, v51
	v_mov_b32_e32 v7, v5
	s_waitcnt lgkmcnt(1)
	v_pk_mul_f32 v[4:5], v[12:13], v[4:5] op_sel_hi:[1,0]
	v_pk_add_f32 v[2:3], v[2:3], v[6:7]
	v_pk_fma_f32 v[6:7], v[12:13], v[50:51], v[4:5] op_sel:[0,0,1] op_sel_hi:[1,1,0] neg_lo:[0,0,1] neg_hi:[0,0,1]
	v_pk_fma_f32 v[4:5], v[12:13], v[50:51], v[4:5] op_sel:[0,0,1] op_sel_hi:[1,0,0]
	v_mov_b32_e32 v4, v49
	v_mov_b32_e32 v7, v5
	v_pk_mul_f32 v[4:5], v[14:15], v[4:5] op_sel_hi:[1,0]
	v_pk_add_f32 v[2:3], v[2:3], v[6:7]
	v_pk_fma_f32 v[6:7], v[14:15], v[48:49], v[4:5] op_sel:[0,0,1] op_sel_hi:[1,1,0] neg_lo:[0,0,1] neg_hi:[0,0,1]
	v_pk_fma_f32 v[4:5], v[14:15], v[48:49], v[4:5] op_sel:[0,0,1] op_sel_hi:[1,0,0]
	v_mov_b32_e32 v4, v47
	v_mov_b32_e32 v7, v5
	s_waitcnt lgkmcnt(0)
	v_pk_mul_f32 v[4:5], v[16:17], v[4:5] op_sel_hi:[1,0]
	v_pk_add_f32 v[2:3], v[2:3], v[6:7]
	v_pk_fma_f32 v[6:7], v[16:17], v[46:47], v[4:5] op_sel:[0,0,1] op_sel_hi:[1,1,0] neg_lo:[0,0,1] neg_hi:[0,0,1]
	v_pk_fma_f32 v[4:5], v[16:17], v[46:47], v[4:5] op_sel:[0,0,1] op_sel_hi:[1,0,0]
	s_waitcnt vmcnt(1)
	v_mov_b32_e32 v4, v59
	v_mov_b32_e32 v7, v5
	v_pk_mul_f32 v[4:5], v[18:19], v[4:5] op_sel_hi:[1,0]
	v_pk_add_f32 v[2:3], v[2:3], v[6:7]
	s_waitcnt vmcnt(0)
	v_pk_fma_f32 v[6:7], v[18:19], v[58:59], v[4:5] op_sel:[0,0,1] op_sel_hi:[1,1,0] neg_lo:[0,0,1] neg_hi:[0,0,1]
	v_pk_fma_f32 v[4:5], v[18:19], v[58:59], v[4:5] op_sel:[0,0,1] op_sel_hi:[1,0,0]
	v_mov_b32_e32 v7, v5
	v_pk_add_f32 v[2:3], v[2:3], v[6:7]
	v_pk_add_f32 v[2:3], v[36:37], v[2:3] neg_lo:[0,1] neg_hi:[0,1]
	buffer_store_dword v3, off, s[0:3], 0 offset:188
	buffer_store_dword v2, off, s[0:3], 0 offset:184
	s_and_saveexec_b64 s[4:5], vcc
	s_cbranch_execz .LBB111_257
; %bb.256:
	buffer_load_dword v2, off, s[0:3], 0 offset:176
	buffer_load_dword v3, off, s[0:3], 0 offset:180
	v_mov_b32_e32 v4, 0
	v_accvgpr_read_b32 v1, a20
	buffer_store_dword v4, off, s[0:3], 0 offset:176
	buffer_store_dword v4, off, s[0:3], 0 offset:180
	s_waitcnt vmcnt(2)
	ds_write_b64 v1, v[2:3]
.LBB111_257:
	s_or_b64 exec, exec, s[4:5]
	s_waitcnt lgkmcnt(0)
	; wave barrier
	s_waitcnt lgkmcnt(0)
	buffer_load_dword v5, off, s[0:3], 0 offset:188
	buffer_load_dword v58, off, s[0:3], 0 offset:196
	;; [unrolled: 1-line block ×36, first 2 shown]
	v_mov_b32_e32 v4, 0
	buffer_load_dword v47, off, s[0:3], 0 offset:332
	buffer_load_dword v46, off, s[0:3], 0 offset:328
	;; [unrolled: 1-line block ×5, first 2 shown]
	ds_read2_b64 v[6:9], v4 offset0:71 offset1:72
	ds_read2_b64 v[10:13], v4 offset0:73 offset1:74
	;; [unrolled: 1-line block ×8, first 2 shown]
	v_cmp_lt_u32_e32 vcc, 21, v0
	s_waitcnt vmcnt(40) lgkmcnt(7)
	v_mul_f32_e32 v38, v6, v5
	s_waitcnt vmcnt(39)
	v_mul_f32_e32 v39, v8, v58
	s_waitcnt vmcnt(38) lgkmcnt(6)
	v_mul_f32_e32 v40, v10, v60
	s_waitcnt vmcnt(37)
	v_mul_f32_e32 v41, v12, v62
	;; [unrolled: 4-line block ×7, first 2 shown]
	s_waitcnt vmcnt(26) lgkmcnt(0)
	v_mul_f32_e32 v59, v34, v174
	s_waitcnt vmcnt(25)
	v_fmac_f32_e32 v38, v7, v175
	s_waitcnt vmcnt(24)
	v_fmac_f32_e32 v39, v9, v176
	v_add_f32_e32 v38, 0, v38
	s_waitcnt vmcnt(23)
	v_fmac_f32_e32 v40, v11, v177
	v_add_f32_e32 v38, v38, v39
	;; [unrolled: 3-line block ×13, first 2 shown]
	v_add_f32_e32 v42, v38, v56
	buffer_load_dword v53, off, s[0:3], 0 offset:364
	buffer_load_dword v52, off, s[0:3], 0 offset:360
	;; [unrolled: 1-line block ×7, first 2 shown]
	s_waitcnt vmcnt(18)
	v_fmac_f32_e32 v59, v35, v189
	ds_read2_b64 v[38:41], v4 offset0:87 offset1:88
	v_add_f32_e32 v59, v42, v59
	ds_read2_b64 v[42:45], v4 offset0:89 offset1:90
	buffer_load_dword v65, off, s[0:3], 0 offset:380
	buffer_load_dword v64, off, s[0:3], 0 offset:376
	;; [unrolled: 1-line block ×4, first 2 shown]
	v_mul_f32_e32 v5, v7, v5
	v_fma_f32 v5, v6, v175, -v5
	v_mul_f32_e32 v6, v9, v58
	v_add_f32_e32 v5, 0, v5
	v_fma_f32 v6, v8, v176, -v6
	v_add_f32_e32 v5, v5, v6
	v_mul_f32_e32 v6, v11, v60
	v_fma_f32 v6, v10, v177, -v6
	v_add_f32_e32 v5, v5, v6
	v_mul_f32_e32 v6, v13, v62
	;; [unrolled: 3-line block ×13, first 2 shown]
	v_fma_f32 v6, v34, v189, -v6
	s_waitcnt vmcnt(13)
	v_mov_b32_e32 v18, v49
	v_mul_f32_e32 v61, v36, v190
	v_add_f32_e32 v58, v5, v6
	v_mul_f32_e32 v5, v37, v190
	s_waitcnt lgkmcnt(1)
	v_pk_mul_f32 v[18:19], v[40:41], v[18:19] op_sel_hi:[1,0]
	v_fmac_f32_e32 v61, v37, v191
	v_mul_f32_e32 v63, v38, v192
	v_fma_f32 v60, v36, v191, -v5
	v_mul_f32_e32 v5, v39, v192
	s_waitcnt vmcnt(12)
	v_pk_fma_f32 v[20:21], v[40:41], v[48:49], v[18:19] op_sel:[0,0,1] op_sel_hi:[1,1,0] neg_lo:[0,0,1] neg_hi:[0,0,1]
	v_pk_fma_f32 v[18:19], v[40:41], v[48:49], v[18:19] op_sel:[0,0,1] op_sel_hi:[1,0,0]
	v_fmac_f32_e32 v63, v39, v193
	v_fma_f32 v62, v38, v193, -v5
	v_pk_add_f32 v[16:17], v[58:59], v[60:61]
	v_mov_b32_e32 v18, v47
	v_pk_add_f32 v[16:17], v[16:17], v[62:63]
	v_mov_b32_e32 v21, v19
	s_waitcnt lgkmcnt(0)
	v_pk_mul_f32 v[18:19], v[42:43], v[18:19] op_sel_hi:[1,0]
	v_pk_add_f32 v[16:17], v[16:17], v[20:21]
	v_pk_fma_f32 v[20:21], v[42:43], v[46:47], v[18:19] op_sel:[0,0,1] op_sel_hi:[1,1,0] neg_lo:[0,0,1] neg_hi:[0,0,1]
	v_pk_fma_f32 v[18:19], v[42:43], v[46:47], v[18:19] op_sel:[0,0,1] op_sel_hi:[1,0,0]
	s_waitcnt vmcnt(11)
	v_mov_b32_e32 v18, v51
	ds_read2_b64 v[6:9], v4 offset0:91 offset1:92
	ds_read2_b64 v[10:13], v4 offset0:93 offset1:94
	ds_read_b64 v[14:15], v4 offset:760
	v_mov_b32_e32 v21, v19
	v_pk_mul_f32 v[18:19], v[44:45], v[18:19] op_sel_hi:[1,0]
	v_pk_add_f32 v[16:17], v[16:17], v[20:21]
	s_waitcnt vmcnt(4)
	v_pk_fma_f32 v[20:21], v[44:45], v[50:51], v[18:19] op_sel:[0,0,1] op_sel_hi:[1,1,0] neg_lo:[0,0,1] neg_hi:[0,0,1]
	v_pk_fma_f32 v[18:19], v[44:45], v[50:51], v[18:19] op_sel:[0,0,1] op_sel_hi:[1,0,0]
	v_mov_b32_e32 v18, v57
	v_mov_b32_e32 v21, v19
	s_waitcnt lgkmcnt(2)
	v_pk_mul_f32 v[18:19], v[6:7], v[18:19] op_sel_hi:[1,0]
	v_pk_add_f32 v[16:17], v[16:17], v[20:21]
	v_pk_fma_f32 v[20:21], v[6:7], v[56:57], v[18:19] op_sel:[0,0,1] op_sel_hi:[1,1,0] neg_lo:[0,0,1] neg_hi:[0,0,1]
	v_pk_fma_f32 v[6:7], v[6:7], v[56:57], v[18:19] op_sel:[0,0,1] op_sel_hi:[1,0,0]
	v_mov_b32_e32 v21, v7
	v_pk_add_f32 v[6:7], v[16:17], v[20:21]
	v_mov_b32_e32 v16, v55
	v_pk_mul_f32 v[16:17], v[8:9], v[16:17] op_sel_hi:[1,0]
	v_pk_fma_f32 v[18:19], v[8:9], v[54:55], v[16:17] op_sel:[0,0,1] op_sel_hi:[1,1,0] neg_lo:[0,0,1] neg_hi:[0,0,1]
	v_pk_fma_f32 v[8:9], v[8:9], v[54:55], v[16:17] op_sel:[0,0,1] op_sel_hi:[1,0,0]
	v_mov_b32_e32 v8, v53
	v_mov_b32_e32 v19, v9
	s_waitcnt lgkmcnt(1)
	v_pk_mul_f32 v[8:9], v[10:11], v[8:9] op_sel_hi:[1,0]
	v_pk_fma_f32 v[16:17], v[10:11], v[52:53], v[8:9] op_sel:[0,0,1] op_sel_hi:[1,1,0] neg_lo:[0,0,1] neg_hi:[0,0,1]
	v_pk_fma_f32 v[8:9], v[10:11], v[52:53], v[8:9] op_sel:[0,0,1] op_sel_hi:[1,0,0]
	s_waitcnt vmcnt(1)
	v_mov_b32_e32 v8, v67
	v_mov_b32_e32 v17, v9
	v_pk_mul_f32 v[8:9], v[12:13], v[8:9] op_sel_hi:[1,0]
	s_waitcnt vmcnt(0)
	v_pk_fma_f32 v[10:11], v[12:13], v[66:67], v[8:9] op_sel:[0,0,1] op_sel_hi:[1,1,0] neg_lo:[0,0,1] neg_hi:[0,0,1]
	v_pk_fma_f32 v[8:9], v[12:13], v[66:67], v[8:9] op_sel:[0,0,1] op_sel_hi:[1,0,0]
	v_pk_add_f32 v[6:7], v[6:7], v[18:19]
	v_mov_b32_e32 v8, v65
	v_pk_add_f32 v[6:7], v[6:7], v[16:17]
	v_mov_b32_e32 v11, v9
	s_waitcnt lgkmcnt(0)
	v_pk_mul_f32 v[8:9], v[14:15], v[8:9] op_sel_hi:[1,0]
	v_pk_add_f32 v[6:7], v[6:7], v[10:11]
	v_pk_fma_f32 v[10:11], v[14:15], v[64:65], v[8:9] op_sel:[0,0,1] op_sel_hi:[1,1,0] neg_lo:[0,0,1] neg_hi:[0,0,1]
	v_pk_fma_f32 v[8:9], v[14:15], v[64:65], v[8:9] op_sel:[0,0,1] op_sel_hi:[1,0,0]
	v_mov_b32_e32 v11, v9
	v_pk_add_f32 v[6:7], v[6:7], v[10:11]
	v_pk_add_f32 v[2:3], v[2:3], v[6:7] neg_lo:[0,1] neg_hi:[0,1]
	buffer_store_dword v3, off, s[0:3], 0 offset:180
	buffer_store_dword v2, off, s[0:3], 0 offset:176
	s_and_saveexec_b64 s[4:5], vcc
	s_cbranch_execz .LBB111_259
; %bb.258:
	buffer_load_dword v2, off, s[0:3], 0 offset:168
	buffer_load_dword v3, off, s[0:3], 0 offset:172
	v_accvgpr_read_b32 v1, a20
	buffer_store_dword v4, off, s[0:3], 0 offset:168
	buffer_store_dword v4, off, s[0:3], 0 offset:172
	s_waitcnt vmcnt(2)
	ds_write_b64 v1, v[2:3]
.LBB111_259:
	s_or_b64 exec, exec, s[4:5]
	s_waitcnt lgkmcnt(0)
	; wave barrier
	s_waitcnt lgkmcnt(0)
	buffer_load_dword v2, off, s[0:3], 0 offset:180
	buffer_load_dword v3, off, s[0:3], 0 offset:188
	;; [unrolled: 1-line block ×38, first 2 shown]
	ds_read_b128 v[6:9], v4 offset:560
	ds_read_b128 v[10:13], v4 offset:576
	;; [unrolled: 1-line block ×8, first 2 shown]
	buffer_load_dword v49, off, s[0:3], 0 offset:324
	buffer_load_dword v48, off, s[0:3], 0 offset:320
	;; [unrolled: 1-line block ×4, first 2 shown]
	v_cmp_lt_u32_e32 vcc, 20, v0
	s_waitcnt vmcnt(41) lgkmcnt(7)
	v_mul_f32_e32 v38, v6, v2
	s_waitcnt vmcnt(40)
	v_mul_f32_e32 v39, v8, v3
	s_waitcnt vmcnt(39) lgkmcnt(6)
	v_mul_f32_e32 v40, v10, v5
	s_waitcnt vmcnt(38)
	v_mul_f32_e32 v41, v12, v58
	;; [unrolled: 4-line block ×7, first 2 shown]
	s_waitcnt vmcnt(27) lgkmcnt(0)
	v_mul_f32_e32 v59, v34, v174
	s_waitcnt vmcnt(26)
	v_fmac_f32_e32 v38, v7, v175
	s_waitcnt vmcnt(25)
	v_fmac_f32_e32 v39, v9, v176
	v_add_f32_e32 v38, 0, v38
	s_waitcnt vmcnt(24)
	v_fmac_f32_e32 v40, v11, v177
	v_add_f32_e32 v38, v38, v39
	;; [unrolled: 3-line block ×13, first 2 shown]
	v_add_f32_e32 v38, v38, v57
	buffer_load_dword v53, off, s[0:3], 0 offset:348
	buffer_load_dword v52, off, s[0:3], 0 offset:344
	;; [unrolled: 1-line block ×6, first 2 shown]
	s_waitcnt vmcnt(18)
	v_fmac_f32_e32 v59, v35, v189
	s_waitcnt vmcnt(17)
	v_mul_f32_e32 v43, v36, v190
	v_add_f32_e32 v42, v38, v59
	s_waitcnt vmcnt(16)
	v_fmac_f32_e32 v43, v37, v191
	ds_read_b128 v[38:41], v4 offset:688
	v_add_f32_e32 v59, v42, v43
	ds_read_b128 v[42:45], v4 offset:704
	buffer_load_dword v65, off, s[0:3], 0 offset:380
	buffer_load_dword v64, off, s[0:3], 0 offset:376
	;; [unrolled: 1-line block ×6, first 2 shown]
	v_mul_f32_e32 v2, v7, v2
	v_fma_f32 v2, v6, v175, -v2
	v_mul_f32_e32 v3, v9, v3
	v_add_f32_e32 v2, 0, v2
	v_fma_f32 v3, v8, v176, -v3
	v_add_f32_e32 v2, v2, v3
	v_mul_f32_e32 v3, v11, v5
	v_fma_f32 v3, v10, v177, -v3
	v_add_f32_e32 v2, v2, v3
	v_mul_f32_e32 v3, v13, v58
	;; [unrolled: 3-line block ×14, first 2 shown]
	v_fma_f32 v3, v36, v191, -v3
	s_waitcnt vmcnt(15)
	v_mov_b32_e32 v16, v49
	s_waitcnt lgkmcnt(1)
	v_mul_f32_e32 v61, v38, v192
	v_add_f32_e32 v58, v2, v3
	v_mul_f32_e32 v2, v39, v192
	s_waitcnt lgkmcnt(0)
	v_pk_mul_f32 v[16:17], v[42:43], v[16:17] op_sel_hi:[1,0]
	v_fmac_f32_e32 v61, v39, v193
	v_mul_f32_e32 v63, v40, v194
	v_fma_f32 v60, v38, v193, -v2
	v_mul_f32_e32 v2, v41, v194
	s_waitcnt vmcnt(14)
	v_pk_fma_f32 v[18:19], v[42:43], v[48:49], v[16:17] op_sel:[0,0,1] op_sel_hi:[1,1,0] neg_lo:[0,0,1] neg_hi:[0,0,1]
	v_pk_fma_f32 v[16:17], v[42:43], v[48:49], v[16:17] op_sel:[0,0,1] op_sel_hi:[1,0,0]
	v_fmac_f32_e32 v63, v41, v195
	v_fma_f32 v62, v40, v195, -v2
	v_pk_add_f32 v[14:15], v[58:59], v[60:61]
	ds_read_b128 v[6:9], v4 offset:720
	ds_read_b128 v[10:13], v4 offset:736
	ds_read_b128 v[2:5], v4 offset:752
	v_pk_add_f32 v[14:15], v[14:15], v[62:63]
	v_mov_b32_e32 v19, v17
	v_pk_add_f32 v[14:15], v[14:15], v[18:19]
	s_waitcnt vmcnt(7)
	v_mov_b32_e32 v16, v57
	v_pk_mul_f32 v[16:17], v[44:45], v[16:17] op_sel_hi:[1,0]
	s_waitcnt vmcnt(6)
	v_pk_fma_f32 v[18:19], v[44:45], v[56:57], v[16:17] op_sel:[0,0,1] op_sel_hi:[1,1,0] neg_lo:[0,0,1] neg_hi:[0,0,1]
	v_pk_fma_f32 v[16:17], v[44:45], v[56:57], v[16:17] op_sel:[0,0,1] op_sel_hi:[1,0,0]
	v_mov_b32_e32 v16, v55
	v_mov_b32_e32 v19, v17
	s_waitcnt lgkmcnt(2)
	v_pk_mul_f32 v[16:17], v[6:7], v[16:17] op_sel_hi:[1,0]
	v_pk_add_f32 v[14:15], v[14:15], v[18:19]
	v_pk_fma_f32 v[18:19], v[6:7], v[54:55], v[16:17] op_sel:[0,0,1] op_sel_hi:[1,1,0] neg_lo:[0,0,1] neg_hi:[0,0,1]
	v_pk_fma_f32 v[6:7], v[6:7], v[54:55], v[16:17] op_sel:[0,0,1] op_sel_hi:[1,0,0]
	v_mov_b32_e32 v19, v7
	v_pk_add_f32 v[6:7], v[14:15], v[18:19]
	v_mov_b32_e32 v14, v53
	v_pk_mul_f32 v[14:15], v[8:9], v[14:15] op_sel_hi:[1,0]
	v_pk_fma_f32 v[16:17], v[8:9], v[52:53], v[14:15] op_sel:[0,0,1] op_sel_hi:[1,1,0] neg_lo:[0,0,1] neg_hi:[0,0,1]
	v_pk_fma_f32 v[8:9], v[8:9], v[52:53], v[14:15] op_sel:[0,0,1] op_sel_hi:[1,0,0]
	v_mov_b32_e32 v8, v51
	v_mov_b32_e32 v17, v9
	s_waitcnt lgkmcnt(1)
	v_pk_mul_f32 v[8:9], v[10:11], v[8:9] op_sel_hi:[1,0]
	v_pk_fma_f32 v[14:15], v[10:11], v[50:51], v[8:9] op_sel:[0,0,1] op_sel_hi:[1,1,0] neg_lo:[0,0,1] neg_hi:[0,0,1]
	v_pk_fma_f32 v[8:9], v[10:11], v[50:51], v[8:9] op_sel:[0,0,1] op_sel_hi:[1,0,0]
	s_waitcnt vmcnt(1)
	v_mov_b32_e32 v8, v69
	v_mov_b32_e32 v15, v9
	v_pk_mul_f32 v[8:9], v[12:13], v[8:9] op_sel_hi:[1,0]
	s_waitcnt vmcnt(0)
	v_pk_fma_f32 v[10:11], v[12:13], v[68:69], v[8:9] op_sel:[0,0,1] op_sel_hi:[1,1,0] neg_lo:[0,0,1] neg_hi:[0,0,1]
	v_pk_fma_f32 v[8:9], v[12:13], v[68:69], v[8:9] op_sel:[0,0,1] op_sel_hi:[1,0,0]
	v_pk_add_f32 v[6:7], v[6:7], v[16:17]
	v_mov_b32_e32 v8, v67
	v_pk_add_f32 v[6:7], v[6:7], v[14:15]
	v_mov_b32_e32 v11, v9
	s_waitcnt lgkmcnt(0)
	v_pk_mul_f32 v[8:9], v[2:3], v[8:9] op_sel_hi:[1,0]
	v_pk_add_f32 v[6:7], v[6:7], v[10:11]
	v_pk_fma_f32 v[10:11], v[2:3], v[66:67], v[8:9] op_sel:[0,0,1] op_sel_hi:[1,1,0] neg_lo:[0,0,1] neg_hi:[0,0,1]
	v_pk_fma_f32 v[2:3], v[2:3], v[66:67], v[8:9] op_sel:[0,0,1] op_sel_hi:[1,0,0]
	v_mov_b32_e32 v11, v3
	v_pk_add_f32 v[2:3], v[6:7], v[10:11]
	v_mov_b32_e32 v6, v65
	v_pk_mul_f32 v[6:7], v[4:5], v[6:7] op_sel_hi:[1,0]
	v_pk_fma_f32 v[8:9], v[4:5], v[64:65], v[6:7] op_sel:[0,0,1] op_sel_hi:[1,1,0] neg_lo:[0,0,1] neg_hi:[0,0,1]
	v_pk_fma_f32 v[4:5], v[4:5], v[64:65], v[6:7] op_sel:[0,0,1] op_sel_hi:[1,0,0]
	v_mov_b32_e32 v9, v5
	v_pk_add_f32 v[2:3], v[2:3], v[8:9]
	v_pk_add_f32 v[2:3], v[46:47], v[2:3] neg_lo:[0,1] neg_hi:[0,1]
	buffer_store_dword v3, off, s[0:3], 0 offset:172
	buffer_store_dword v2, off, s[0:3], 0 offset:168
	s_and_saveexec_b64 s[4:5], vcc
	s_cbranch_execz .LBB111_261
; %bb.260:
	buffer_load_dword v2, off, s[0:3], 0 offset:160
	buffer_load_dword v3, off, s[0:3], 0 offset:164
	v_mov_b32_e32 v4, 0
	v_accvgpr_read_b32 v1, a20
	buffer_store_dword v4, off, s[0:3], 0 offset:160
	buffer_store_dword v4, off, s[0:3], 0 offset:164
	s_waitcnt vmcnt(2)
	ds_write_b64 v1, v[2:3]
.LBB111_261:
	s_or_b64 exec, exec, s[4:5]
	s_waitcnt lgkmcnt(0)
	; wave barrier
	s_waitcnt lgkmcnt(0)
	buffer_load_dword v5, off, s[0:3], 0 offset:172
	buffer_load_dword v54, off, s[0:3], 0 offset:180
	;; [unrolled: 1-line block ×40, first 2 shown]
	v_mov_b32_e32 v4, 0
	ds_read2_b64 v[6:9], v4 offset0:69 offset1:70
	ds_read2_b64 v[10:13], v4 offset0:71 offset1:72
	ds_read2_b64 v[14:17], v4 offset0:73 offset1:74
	ds_read2_b64 v[18:21], v4 offset0:75 offset1:76
	ds_read2_b64 v[22:25], v4 offset0:77 offset1:78
	ds_read2_b64 v[26:29], v4 offset0:79 offset1:80
	ds_read2_b64 v[30:33], v4 offset0:81 offset1:82
	ds_read2_b64 v[34:37], v4 offset0:83 offset1:84
	v_cmp_lt_u32_e32 vcc, 19, v0
	s_waitcnt vmcnt(39) lgkmcnt(7)
	v_mul_f32_e32 v38, v6, v5
	s_waitcnt vmcnt(38)
	v_mul_f32_e32 v39, v8, v54
	s_waitcnt vmcnt(37) lgkmcnt(6)
	v_mul_f32_e32 v40, v10, v56
	s_waitcnt vmcnt(36)
	v_mul_f32_e32 v41, v12, v58
	;; [unrolled: 4-line block ×8, first 2 shown]
	s_waitcnt vmcnt(23)
	v_fmac_f32_e32 v38, v7, v176
	s_waitcnt vmcnt(22)
	v_fmac_f32_e32 v39, v9, v177
	v_add_f32_e32 v38, 0, v38
	s_waitcnt vmcnt(21)
	v_fmac_f32_e32 v40, v11, v178
	v_add_f32_e32 v38, v38, v39
	;; [unrolled: 3-line block ×14, first 2 shown]
	v_add_f32_e32 v38, v38, v52
	s_waitcnt vmcnt(8)
	v_fmac_f32_e32 v53, v37, v191
	v_add_f32_e32 v55, v38, v53
	ds_read2_b64 v[38:41], v4 offset0:85 offset1:86
	buffer_load_dword v47, off, s[0:3], 0 offset:324
	buffer_load_dword v49, off, s[0:3], 0 offset:348
	;; [unrolled: 1-line block ×8, first 2 shown]
	ds_read2_b64 v[42:45], v4 offset0:87 offset1:88
	buffer_load_dword v61, off, s[0:3], 0 offset:380
	buffer_load_dword v60, off, s[0:3], 0 offset:376
	buffer_load_dword v63, off, s[0:3], 0 offset:372
	buffer_load_dword v62, off, s[0:3], 0 offset:368
	buffer_load_dword v65, off, s[0:3], 0 offset:364
	buffer_load_dword v64, off, s[0:3], 0 offset:360
	buffer_load_dword v67, off, s[0:3], 0 offset:356
	buffer_load_dword v66, off, s[0:3], 0 offset:352
	v_mul_f32_e32 v5, v7, v5
	v_fma_f32 v5, v6, v176, -v5
	v_mul_f32_e32 v6, v9, v54
	v_add_f32_e32 v5, 0, v5
	v_fma_f32 v6, v8, v177, -v6
	v_add_f32_e32 v5, v5, v6
	v_mul_f32_e32 v6, v11, v56
	v_fma_f32 v6, v10, v178, -v6
	v_add_f32_e32 v5, v5, v6
	v_mul_f32_e32 v6, v13, v58
	;; [unrolled: 3-line block ×14, first 2 shown]
	v_fma_f32 v6, v36, v191, -v6
	s_waitcnt vmcnt(23) lgkmcnt(1)
	v_mul_f32_e32 v57, v38, v192
	v_add_f32_e32 v5, v5, v6
	v_mul_f32_e32 v6, v39, v192
	s_waitcnt vmcnt(22)
	v_fmac_f32_e32 v57, v39, v193
	v_fma_f32 v6, v38, v193, -v6
	v_add_f32_e32 v55, v55, v57
	s_waitcnt vmcnt(21)
	v_mul_f32_e32 v57, v40, v194
	v_add_f32_e32 v54, v5, v6
	v_mul_f32_e32 v5, v41, v194
	s_waitcnt vmcnt(20)
	v_fmac_f32_e32 v57, v41, v195
	s_waitcnt vmcnt(19) lgkmcnt(0)
	v_mul_f32_e32 v59, v42, v196
	v_fma_f32 v56, v40, v195, -v5
	v_mul_f32_e32 v5, v43, v196
	ds_read2_b64 v[6:9], v4 offset0:89 offset1:90
	ds_read2_b64 v[10:13], v4 offset0:91 offset1:92
	;; [unrolled: 1-line block ×3, first 2 shown]
	ds_read_b64 v[18:19], v4 offset:760
	s_waitcnt vmcnt(18)
	v_fmac_f32_e32 v59, v43, v197
	v_fma_f32 v58, v42, v197, -v5
	v_pk_add_f32 v[20:21], v[54:55], v[56:57]
	v_pk_add_f32 v[20:21], v[20:21], v[58:59]
	s_waitcnt vmcnt(15)
	v_mov_b32_e32 v22, v47
	v_pk_mul_f32 v[22:23], v[44:45], v[22:23] op_sel_hi:[1,0]
	s_waitcnt vmcnt(8)
	v_pk_fma_f32 v[24:25], v[44:45], v[46:47], v[22:23] op_sel:[0,0,1] op_sel_hi:[1,1,0] neg_lo:[0,0,1] neg_hi:[0,0,1]
	v_pk_fma_f32 v[22:23], v[44:45], v[46:47], v[22:23] op_sel:[0,0,1] op_sel_hi:[1,0,0]
	v_mov_b32_e32 v22, v53
	v_mov_b32_e32 v25, v23
	s_waitcnt lgkmcnt(3)
	v_pk_mul_f32 v[22:23], v[6:7], v[22:23] op_sel_hi:[1,0]
	v_pk_add_f32 v[20:21], v[20:21], v[24:25]
	v_pk_fma_f32 v[24:25], v[6:7], v[52:53], v[22:23] op_sel:[0,0,1] op_sel_hi:[1,1,0] neg_lo:[0,0,1] neg_hi:[0,0,1]
	v_pk_fma_f32 v[6:7], v[6:7], v[52:53], v[22:23] op_sel:[0,0,1] op_sel_hi:[1,0,0]
	v_mov_b32_e32 v25, v7
	v_pk_add_f32 v[6:7], v[20:21], v[24:25]
	v_mov_b32_e32 v20, v51
	v_pk_mul_f32 v[20:21], v[8:9], v[20:21] op_sel_hi:[1,0]
	v_pk_fma_f32 v[22:23], v[8:9], v[50:51], v[20:21] op_sel:[0,0,1] op_sel_hi:[1,1,0] neg_lo:[0,0,1] neg_hi:[0,0,1]
	v_pk_fma_f32 v[8:9], v[8:9], v[50:51], v[20:21] op_sel:[0,0,1] op_sel_hi:[1,0,0]
	v_mov_b32_e32 v8, v49
	v_mov_b32_e32 v23, v9
	s_waitcnt lgkmcnt(2)
	v_pk_mul_f32 v[8:9], v[10:11], v[8:9] op_sel_hi:[1,0]
	v_pk_fma_f32 v[20:21], v[10:11], v[48:49], v[8:9] op_sel:[0,0,1] op_sel_hi:[1,1,0] neg_lo:[0,0,1] neg_hi:[0,0,1]
	v_pk_fma_f32 v[8:9], v[10:11], v[48:49], v[8:9] op_sel:[0,0,1] op_sel_hi:[1,0,0]
	s_waitcnt vmcnt(1)
	v_mov_b32_e32 v8, v67
	v_mov_b32_e32 v21, v9
	v_pk_mul_f32 v[8:9], v[12:13], v[8:9] op_sel_hi:[1,0]
	s_waitcnt vmcnt(0)
	v_pk_fma_f32 v[10:11], v[12:13], v[66:67], v[8:9] op_sel:[0,0,1] op_sel_hi:[1,1,0] neg_lo:[0,0,1] neg_hi:[0,0,1]
	v_pk_fma_f32 v[8:9], v[12:13], v[66:67], v[8:9] op_sel:[0,0,1] op_sel_hi:[1,0,0]
	v_pk_add_f32 v[6:7], v[6:7], v[22:23]
	v_mov_b32_e32 v8, v65
	v_pk_add_f32 v[6:7], v[6:7], v[20:21]
	v_mov_b32_e32 v11, v9
	s_waitcnt lgkmcnt(1)
	v_pk_mul_f32 v[8:9], v[14:15], v[8:9] op_sel_hi:[1,0]
	v_pk_add_f32 v[6:7], v[6:7], v[10:11]
	v_pk_fma_f32 v[10:11], v[14:15], v[64:65], v[8:9] op_sel:[0,0,1] op_sel_hi:[1,1,0] neg_lo:[0,0,1] neg_hi:[0,0,1]
	v_pk_fma_f32 v[8:9], v[14:15], v[64:65], v[8:9] op_sel:[0,0,1] op_sel_hi:[1,0,0]
	v_mov_b32_e32 v8, v63
	v_mov_b32_e32 v11, v9
	v_pk_mul_f32 v[8:9], v[16:17], v[8:9] op_sel_hi:[1,0]
	v_pk_add_f32 v[6:7], v[6:7], v[10:11]
	v_pk_fma_f32 v[10:11], v[16:17], v[62:63], v[8:9] op_sel:[0,0,1] op_sel_hi:[1,1,0] neg_lo:[0,0,1] neg_hi:[0,0,1]
	v_pk_fma_f32 v[8:9], v[16:17], v[62:63], v[8:9] op_sel:[0,0,1] op_sel_hi:[1,0,0]
	v_mov_b32_e32 v8, v61
	v_mov_b32_e32 v11, v9
	s_waitcnt lgkmcnt(0)
	v_pk_mul_f32 v[8:9], v[18:19], v[8:9] op_sel_hi:[1,0]
	v_pk_add_f32 v[6:7], v[6:7], v[10:11]
	v_pk_fma_f32 v[10:11], v[18:19], v[60:61], v[8:9] op_sel:[0,0,1] op_sel_hi:[1,1,0] neg_lo:[0,0,1] neg_hi:[0,0,1]
	v_pk_fma_f32 v[8:9], v[18:19], v[60:61], v[8:9] op_sel:[0,0,1] op_sel_hi:[1,0,0]
	v_mov_b32_e32 v11, v9
	v_pk_add_f32 v[6:7], v[6:7], v[10:11]
	v_pk_add_f32 v[2:3], v[2:3], v[6:7] neg_lo:[0,1] neg_hi:[0,1]
	buffer_store_dword v3, off, s[0:3], 0 offset:164
	buffer_store_dword v2, off, s[0:3], 0 offset:160
	s_and_saveexec_b64 s[4:5], vcc
	s_cbranch_execz .LBB111_263
; %bb.262:
	buffer_load_dword v2, off, s[0:3], 0 offset:152
	buffer_load_dword v3, off, s[0:3], 0 offset:156
	v_accvgpr_read_b32 v1, a20
	buffer_store_dword v4, off, s[0:3], 0 offset:152
	buffer_store_dword v4, off, s[0:3], 0 offset:156
	s_waitcnt vmcnt(2)
	ds_write_b64 v1, v[2:3]
.LBB111_263:
	s_or_b64 exec, exec, s[4:5]
	s_waitcnt lgkmcnt(0)
	; wave barrier
	s_waitcnt lgkmcnt(0)
	buffer_load_dword v5, off, s[0:3], 0 offset:164
	buffer_load_dword v46, off, s[0:3], 0 offset:172
	;; [unrolled: 1-line block ×42, first 2 shown]
	ds_read_b128 v[6:9], v4 offset:544
	ds_read_b128 v[10:13], v4 offset:560
	;; [unrolled: 1-line block ×8, first 2 shown]
	v_cmp_lt_u32_e32 vcc, 18, v0
	s_waitcnt vmcnt(41) lgkmcnt(7)
	v_mul_f32_e32 v38, v6, v5
	s_waitcnt vmcnt(40)
	v_mul_f32_e32 v39, v8, v46
	s_waitcnt vmcnt(39) lgkmcnt(6)
	v_mul_f32_e32 v40, v10, v48
	s_waitcnt vmcnt(38)
	v_mul_f32_e32 v41, v12, v56
	;; [unrolled: 4-line block ×7, first 2 shown]
	s_waitcnt vmcnt(27) lgkmcnt(0)
	v_mul_f32_e32 v54, v34, v174
	s_waitcnt vmcnt(26)
	v_fmac_f32_e32 v38, v7, v175
	s_waitcnt vmcnt(25)
	v_fmac_f32_e32 v39, v9, v176
	v_add_f32_e32 v38, 0, v38
	s_waitcnt vmcnt(24)
	v_fmac_f32_e32 v40, v11, v177
	v_add_f32_e32 v38, v38, v39
	;; [unrolled: 3-line block ×14, first 2 shown]
	s_waitcnt vmcnt(11)
	v_mul_f32_e32 v43, v36, v190
	v_add_f32_e32 v42, v38, v54
	s_waitcnt vmcnt(10)
	v_fmac_f32_e32 v43, v37, v191
	ds_read_b128 v[38:41], v4 offset:672
	v_add_f32_e32 v47, v42, v43
	ds_read_b128 v[42:45], v4 offset:688
	buffer_load_dword v51, off, s[0:3], 0 offset:324
	buffer_load_dword v53, off, s[0:3], 0 offset:340
	;; [unrolled: 1-line block ×16, first 2 shown]
	v_mul_f32_e32 v5, v7, v5
	v_fma_f32 v5, v6, v175, -v5
	v_mul_f32_e32 v6, v9, v46
	v_add_f32_e32 v5, 0, v5
	v_fma_f32 v6, v8, v176, -v6
	v_add_f32_e32 v5, v5, v6
	v_mul_f32_e32 v6, v11, v48
	v_fma_f32 v6, v10, v177, -v6
	v_add_f32_e32 v5, v5, v6
	v_mul_f32_e32 v6, v13, v56
	;; [unrolled: 3-line block ×14, first 2 shown]
	v_fma_f32 v6, v36, v191, -v6
	v_add_f32_e32 v5, v5, v6
	s_waitcnt vmcnt(25) lgkmcnt(1)
	v_mul_f32_e32 v6, v39, v192
	s_waitcnt vmcnt(24)
	v_fma_f32 v6, v38, v193, -v6
	v_add_f32_e32 v5, v5, v6
	s_waitcnt vmcnt(23)
	v_mul_f32_e32 v6, v41, v194
	s_waitcnt vmcnt(22)
	v_fma_f32 v6, v40, v195, -v6
	v_add_f32_e32 v46, v5, v6
	ds_read_b128 v[6:9], v4 offset:704
	ds_read_b128 v[10:13], v4 offset:720
	;; [unrolled: 1-line block ×4, first 2 shown]
	v_mul_f32_e32 v49, v38, v192
	v_fmac_f32_e32 v49, v39, v193
	v_add_f32_e32 v47, v47, v49
	v_mul_f32_e32 v49, v40, v194
	v_fmac_f32_e32 v49, v41, v195
	v_add_f32_e32 v47, v47, v49
	s_waitcnt vmcnt(21) lgkmcnt(4)
	v_mul_f32_e32 v49, v42, v196
	v_mul_f32_e32 v5, v43, v196
	s_waitcnt vmcnt(20)
	v_fmac_f32_e32 v49, v43, v197
	s_waitcnt vmcnt(19)
	v_mul_f32_e32 v57, v44, v198
	v_fma_f32 v48, v42, v197, -v5
	v_mul_f32_e32 v5, v45, v198
	s_waitcnt vmcnt(18)
	v_fmac_f32_e32 v57, v45, v199
	v_fma_f32 v56, v44, v199, -v5
	v_pk_add_f32 v[4:5], v[46:47], v[48:49]
	v_pk_add_f32 v[4:5], v[4:5], v[56:57]
	s_waitcnt vmcnt(15)
	v_mov_b32_e32 v22, v51
	s_waitcnt lgkmcnt(3)
	v_pk_mul_f32 v[22:23], v[6:7], v[22:23] op_sel_hi:[1,0]
	s_waitcnt vmcnt(10)
	v_pk_fma_f32 v[24:25], v[6:7], v[50:51], v[22:23] op_sel:[0,0,1] op_sel_hi:[1,1,0] neg_lo:[0,0,1] neg_hi:[0,0,1]
	v_pk_fma_f32 v[6:7], v[6:7], v[50:51], v[22:23] op_sel:[0,0,1] op_sel_hi:[1,0,0]
	v_mov_b32_e32 v6, v55
	v_mov_b32_e32 v25, v7
	v_pk_mul_f32 v[6:7], v[8:9], v[6:7] op_sel_hi:[1,0]
	v_pk_fma_f32 v[22:23], v[8:9], v[54:55], v[6:7] op_sel:[0,0,1] op_sel_hi:[1,1,0] neg_lo:[0,0,1] neg_hi:[0,0,1]
	v_pk_fma_f32 v[6:7], v[8:9], v[54:55], v[6:7] op_sel:[0,0,1] op_sel_hi:[1,0,0]
	v_mov_b32_e32 v6, v53
	v_mov_b32_e32 v23, v7
	s_waitcnt lgkmcnt(2)
	v_pk_mul_f32 v[6:7], v[10:11], v[6:7] op_sel_hi:[1,0]
	v_pk_fma_f32 v[8:9], v[10:11], v[52:53], v[6:7] op_sel:[0,0,1] op_sel_hi:[1,1,0] neg_lo:[0,0,1] neg_hi:[0,0,1]
	v_pk_fma_f32 v[6:7], v[10:11], v[52:53], v[6:7] op_sel:[0,0,1] op_sel_hi:[1,0,0]
	v_pk_add_f32 v[4:5], v[4:5], v[24:25]
	s_waitcnt vmcnt(3)
	v_mov_b32_e32 v6, v65
	v_pk_add_f32 v[4:5], v[4:5], v[22:23]
	v_mov_b32_e32 v9, v7
	v_pk_mul_f32 v[6:7], v[12:13], v[6:7] op_sel_hi:[1,0]
	v_pk_add_f32 v[4:5], v[4:5], v[8:9]
	s_waitcnt vmcnt(2)
	v_pk_fma_f32 v[8:9], v[12:13], v[64:65], v[6:7] op_sel:[0,0,1] op_sel_hi:[1,1,0] neg_lo:[0,0,1] neg_hi:[0,0,1]
	v_pk_fma_f32 v[6:7], v[12:13], v[64:65], v[6:7] op_sel:[0,0,1] op_sel_hi:[1,0,0]
	v_mov_b32_e32 v6, v63
	v_mov_b32_e32 v9, v7
	s_waitcnt lgkmcnt(1)
	v_pk_mul_f32 v[6:7], v[14:15], v[6:7] op_sel_hi:[1,0]
	v_pk_add_f32 v[4:5], v[4:5], v[8:9]
	v_pk_fma_f32 v[8:9], v[14:15], v[62:63], v[6:7] op_sel:[0,0,1] op_sel_hi:[1,1,0] neg_lo:[0,0,1] neg_hi:[0,0,1]
	v_pk_fma_f32 v[6:7], v[14:15], v[62:63], v[6:7] op_sel:[0,0,1] op_sel_hi:[1,0,0]
	v_mov_b32_e32 v6, v61
	v_mov_b32_e32 v9, v7
	v_pk_mul_f32 v[6:7], v[16:17], v[6:7] op_sel_hi:[1,0]
	v_pk_add_f32 v[4:5], v[4:5], v[8:9]
	v_pk_fma_f32 v[8:9], v[16:17], v[60:61], v[6:7] op_sel:[0,0,1] op_sel_hi:[1,1,0] neg_lo:[0,0,1] neg_hi:[0,0,1]
	v_pk_fma_f32 v[6:7], v[16:17], v[60:61], v[6:7] op_sel:[0,0,1] op_sel_hi:[1,0,0]
	v_mov_b32_e32 v6, v59
	v_mov_b32_e32 v9, v7
	s_waitcnt lgkmcnt(0)
	v_pk_mul_f32 v[6:7], v[18:19], v[6:7] op_sel_hi:[1,0]
	v_pk_add_f32 v[4:5], v[4:5], v[8:9]
	v_pk_fma_f32 v[8:9], v[18:19], v[58:59], v[6:7] op_sel:[0,0,1] op_sel_hi:[1,1,0] neg_lo:[0,0,1] neg_hi:[0,0,1]
	v_pk_fma_f32 v[6:7], v[18:19], v[58:59], v[6:7] op_sel:[0,0,1] op_sel_hi:[1,0,0]
	s_waitcnt vmcnt(1)
	v_mov_b32_e32 v6, v67
	v_mov_b32_e32 v9, v7
	v_pk_mul_f32 v[6:7], v[20:21], v[6:7] op_sel_hi:[1,0]
	v_pk_add_f32 v[4:5], v[4:5], v[8:9]
	s_waitcnt vmcnt(0)
	v_pk_fma_f32 v[8:9], v[20:21], v[66:67], v[6:7] op_sel:[0,0,1] op_sel_hi:[1,1,0] neg_lo:[0,0,1] neg_hi:[0,0,1]
	v_pk_fma_f32 v[6:7], v[20:21], v[66:67], v[6:7] op_sel:[0,0,1] op_sel_hi:[1,0,0]
	v_mov_b32_e32 v9, v7
	v_pk_add_f32 v[4:5], v[4:5], v[8:9]
	v_pk_add_f32 v[2:3], v[2:3], v[4:5] neg_lo:[0,1] neg_hi:[0,1]
	buffer_store_dword v3, off, s[0:3], 0 offset:156
	buffer_store_dword v2, off, s[0:3], 0 offset:152
	s_and_saveexec_b64 s[4:5], vcc
	s_cbranch_execz .LBB111_265
; %bb.264:
	buffer_load_dword v2, off, s[0:3], 0 offset:144
	buffer_load_dword v3, off, s[0:3], 0 offset:148
	v_mov_b32_e32 v4, 0
	v_accvgpr_read_b32 v1, a20
	buffer_store_dword v4, off, s[0:3], 0 offset:144
	buffer_store_dword v4, off, s[0:3], 0 offset:148
	s_waitcnt vmcnt(2)
	ds_write_b64 v1, v[2:3]
.LBB111_265:
	s_or_b64 exec, exec, s[4:5]
	s_waitcnt lgkmcnt(0)
	; wave barrier
	s_waitcnt lgkmcnt(0)
	buffer_load_dword v5, off, s[0:3], 0 offset:156
	buffer_load_dword v54, off, s[0:3], 0 offset:164
	;; [unrolled: 1-line block ×44, first 2 shown]
	v_mov_b32_e32 v4, 0
	ds_read2_b64 v[6:9], v4 offset0:67 offset1:68
	ds_read2_b64 v[10:13], v4 offset0:69 offset1:70
	;; [unrolled: 1-line block ×8, first 2 shown]
	v_cmp_lt_u32_e32 vcc, 17, v0
	s_waitcnt vmcnt(43) lgkmcnt(7)
	v_mul_f32_e32 v38, v6, v5
	s_waitcnt vmcnt(42)
	v_mul_f32_e32 v39, v8, v54
	s_waitcnt vmcnt(41) lgkmcnt(6)
	v_mul_f32_e32 v40, v10, v60
	s_waitcnt vmcnt(40)
	v_mul_f32_e32 v41, v12, v62
	;; [unrolled: 4-line block ×7, first 2 shown]
	s_waitcnt vmcnt(29)
	v_fmac_f32_e32 v38, v7, v182
	s_waitcnt vmcnt(28)
	v_fmac_f32_e32 v39, v9, v183
	v_add_f32_e32 v38, 0, v38
	s_waitcnt vmcnt(27)
	v_fmac_f32_e32 v40, v11, v184
	v_add_f32_e32 v38, v38, v39
	;; [unrolled: 3-line block ×12, first 2 shown]
	v_add_f32_e32 v38, v38, v50
	s_waitcnt vmcnt(16)
	v_fmac_f32_e32 v51, v33, v195
	s_waitcnt vmcnt(15) lgkmcnt(0)
	v_mul_f32_e32 v39, v34, v196
	v_add_f32_e32 v38, v38, v51
	s_waitcnt vmcnt(14)
	v_fmac_f32_e32 v39, v35, v197
	v_add_f32_e32 v42, v38, v39
	ds_read2_b64 v[38:41], v4 offset0:83 offset1:84
	s_waitcnt vmcnt(13)
	v_mul_f32_e32 v43, v36, v198
	s_waitcnt vmcnt(12)
	v_fmac_f32_e32 v43, v37, v199
	v_add_f32_e32 v46, v42, v43
	ds_read2_b64 v[42:45], v4 offset0:85 offset1:86
	s_waitcnt vmcnt(11) lgkmcnt(1)
	v_mul_f32_e32 v47, v38, v200
	s_waitcnt vmcnt(10)
	v_fmac_f32_e32 v47, v39, v201
	v_add_f32_e32 v46, v46, v47
	s_waitcnt vmcnt(9)
	v_mul_f32_e32 v47, v40, v202
	s_waitcnt vmcnt(8)
	v_fmac_f32_e32 v47, v41, v203
	v_add_f32_e32 v46, v46, v47
	s_waitcnt vmcnt(7) lgkmcnt(0)
	v_mul_f32_e32 v47, v42, v204
	s_waitcnt vmcnt(6)
	v_fmac_f32_e32 v47, v43, v205
	v_add_f32_e32 v55, v46, v47
	ds_read2_b64 v[46:49], v4 offset0:87 offset1:88
	buffer_load_dword v57, off, s[0:3], 0 offset:332
	buffer_load_dword v56, off, s[0:3], 0 offset:328
	;; [unrolled: 1-line block ×4, first 2 shown]
	ds_read2_b64 v[50:53], v4 offset0:89 offset1:90
	buffer_load_dword v65, off, s[0:3], 0 offset:364
	buffer_load_dword v64, off, s[0:3], 0 offset:360
	;; [unrolled: 1-line block ×12, first 2 shown]
	v_mul_f32_e32 v5, v7, v5
	v_fma_f32 v5, v6, v182, -v5
	v_mul_f32_e32 v6, v9, v54
	v_add_f32_e32 v5, 0, v5
	v_fma_f32 v6, v8, v183, -v6
	v_add_f32_e32 v5, v5, v6
	v_mul_f32_e32 v6, v11, v60
	v_fma_f32 v6, v10, v184, -v6
	v_add_f32_e32 v5, v5, v6
	v_mul_f32_e32 v6, v13, v62
	;; [unrolled: 3-line block ×17, first 2 shown]
	v_fma_f32 v6, v42, v205, -v6
	s_waitcnt vmcnt(21)
	v_mul_f32_e32 v61, v44, v206
	v_add_f32_e32 v54, v5, v6
	v_mul_f32_e32 v5, v45, v206
	s_waitcnt vmcnt(20)
	v_fmac_f32_e32 v61, v45, v207
	s_waitcnt vmcnt(19) lgkmcnt(1)
	v_mul_f32_e32 v63, v46, v208
	v_fma_f32 v60, v44, v207, -v5
	v_mul_f32_e32 v5, v47, v208
	s_waitcnt vmcnt(18)
	v_fmac_f32_e32 v63, v47, v209
	v_fma_f32 v62, v46, v209, -v5
	v_pk_add_f32 v[16:17], v[54:55], v[60:61]
	v_pk_add_f32 v[16:17], v[16:17], v[62:63]
	ds_read2_b64 v[6:9], v4 offset0:91 offset1:92
	ds_read2_b64 v[10:13], v4 offset0:93 offset1:94
	ds_read_b64 v[14:15], v4 offset:760
	s_waitcnt vmcnt(13)
	v_mov_b32_e32 v18, v59
	v_pk_mul_f32 v[18:19], v[48:49], v[18:19] op_sel_hi:[1,0]
	s_waitcnt vmcnt(12)
	v_pk_fma_f32 v[20:21], v[48:49], v[58:59], v[18:19] op_sel:[0,0,1] op_sel_hi:[1,1,0] neg_lo:[0,0,1] neg_hi:[0,0,1]
	v_pk_fma_f32 v[18:19], v[48:49], v[58:59], v[18:19] op_sel:[0,0,1] op_sel_hi:[1,0,0]
	v_mov_b32_e32 v18, v57
	v_mov_b32_e32 v21, v19
	s_waitcnt lgkmcnt(3)
	v_pk_mul_f32 v[18:19], v[50:51], v[18:19] op_sel_hi:[1,0]
	v_pk_add_f32 v[16:17], v[16:17], v[20:21]
	v_pk_fma_f32 v[20:21], v[50:51], v[56:57], v[18:19] op_sel:[0,0,1] op_sel_hi:[1,1,0] neg_lo:[0,0,1] neg_hi:[0,0,1]
	v_pk_fma_f32 v[18:19], v[50:51], v[56:57], v[18:19] op_sel:[0,0,1] op_sel_hi:[1,0,0]
	s_waitcnt vmcnt(5)
	v_mov_b32_e32 v18, v71
	v_mov_b32_e32 v21, v19
	v_pk_mul_f32 v[18:19], v[52:53], v[18:19] op_sel_hi:[1,0]
	v_pk_add_f32 v[16:17], v[16:17], v[20:21]
	s_waitcnt vmcnt(4)
	v_pk_fma_f32 v[20:21], v[52:53], v[70:71], v[18:19] op_sel:[0,0,1] op_sel_hi:[1,1,0] neg_lo:[0,0,1] neg_hi:[0,0,1]
	v_pk_fma_f32 v[18:19], v[52:53], v[70:71], v[18:19] op_sel:[0,0,1] op_sel_hi:[1,0,0]
	v_mov_b32_e32 v18, v69
	v_mov_b32_e32 v21, v19
	s_waitcnt lgkmcnt(2)
	v_pk_mul_f32 v[18:19], v[6:7], v[18:19] op_sel_hi:[1,0]
	v_pk_add_f32 v[16:17], v[16:17], v[20:21]
	v_pk_fma_f32 v[20:21], v[6:7], v[68:69], v[18:19] op_sel:[0,0,1] op_sel_hi:[1,1,0] neg_lo:[0,0,1] neg_hi:[0,0,1]
	v_pk_fma_f32 v[6:7], v[6:7], v[68:69], v[18:19] op_sel:[0,0,1] op_sel_hi:[1,0,0]
	v_mov_b32_e32 v21, v7
	v_pk_add_f32 v[6:7], v[16:17], v[20:21]
	v_mov_b32_e32 v16, v67
	v_pk_mul_f32 v[16:17], v[8:9], v[16:17] op_sel_hi:[1,0]
	v_pk_fma_f32 v[18:19], v[8:9], v[66:67], v[16:17] op_sel:[0,0,1] op_sel_hi:[1,1,0] neg_lo:[0,0,1] neg_hi:[0,0,1]
	v_pk_fma_f32 v[8:9], v[8:9], v[66:67], v[16:17] op_sel:[0,0,1] op_sel_hi:[1,0,0]
	v_mov_b32_e32 v8, v65
	v_mov_b32_e32 v19, v9
	s_waitcnt lgkmcnt(1)
	v_pk_mul_f32 v[8:9], v[10:11], v[8:9] op_sel_hi:[1,0]
	v_pk_fma_f32 v[16:17], v[10:11], v[64:65], v[8:9] op_sel:[0,0,1] op_sel_hi:[1,1,0] neg_lo:[0,0,1] neg_hi:[0,0,1]
	v_pk_fma_f32 v[8:9], v[10:11], v[64:65], v[8:9] op_sel:[0,0,1] op_sel_hi:[1,0,0]
	s_waitcnt vmcnt(1)
	v_mov_b32_e32 v8, v75
	v_mov_b32_e32 v17, v9
	v_pk_mul_f32 v[8:9], v[12:13], v[8:9] op_sel_hi:[1,0]
	s_waitcnt vmcnt(0)
	v_pk_fma_f32 v[10:11], v[12:13], v[74:75], v[8:9] op_sel:[0,0,1] op_sel_hi:[1,1,0] neg_lo:[0,0,1] neg_hi:[0,0,1]
	v_pk_fma_f32 v[8:9], v[12:13], v[74:75], v[8:9] op_sel:[0,0,1] op_sel_hi:[1,0,0]
	v_pk_add_f32 v[6:7], v[6:7], v[18:19]
	v_mov_b32_e32 v8, v73
	v_pk_add_f32 v[6:7], v[6:7], v[16:17]
	v_mov_b32_e32 v11, v9
	s_waitcnt lgkmcnt(0)
	v_pk_mul_f32 v[8:9], v[14:15], v[8:9] op_sel_hi:[1,0]
	v_pk_add_f32 v[6:7], v[6:7], v[10:11]
	v_pk_fma_f32 v[10:11], v[14:15], v[72:73], v[8:9] op_sel:[0,0,1] op_sel_hi:[1,1,0] neg_lo:[0,0,1] neg_hi:[0,0,1]
	v_pk_fma_f32 v[8:9], v[14:15], v[72:73], v[8:9] op_sel:[0,0,1] op_sel_hi:[1,0,0]
	v_mov_b32_e32 v11, v9
	v_pk_add_f32 v[6:7], v[6:7], v[10:11]
	v_pk_add_f32 v[2:3], v[2:3], v[6:7] neg_lo:[0,1] neg_hi:[0,1]
	buffer_store_dword v3, off, s[0:3], 0 offset:148
	buffer_store_dword v2, off, s[0:3], 0 offset:144
	s_and_saveexec_b64 s[4:5], vcc
	s_cbranch_execz .LBB111_267
; %bb.266:
	buffer_load_dword v2, off, s[0:3], 0 offset:136
	buffer_load_dword v3, off, s[0:3], 0 offset:140
	v_accvgpr_read_b32 v1, a20
	buffer_store_dword v4, off, s[0:3], 0 offset:136
	buffer_store_dword v4, off, s[0:3], 0 offset:140
	s_waitcnt vmcnt(2)
	ds_write_b64 v1, v[2:3]
.LBB111_267:
	s_or_b64 exec, exec, s[4:5]
	s_waitcnt lgkmcnt(0)
	; wave barrier
	s_waitcnt lgkmcnt(0)
	buffer_load_dword v5, off, s[0:3], 0 offset:148
	buffer_load_dword v56, off, s[0:3], 0 offset:156
	;; [unrolled: 1-line block ×46, first 2 shown]
	ds_read_b128 v[6:9], v4 offset:528
	ds_read_b128 v[10:13], v4 offset:544
	;; [unrolled: 1-line block ×8, first 2 shown]
	v_cmp_lt_u32_e32 vcc, 16, v0
	s_waitcnt vmcnt(45) lgkmcnt(7)
	v_mul_f32_e32 v38, v6, v5
	s_waitcnt vmcnt(44)
	v_mul_f32_e32 v39, v8, v56
	s_waitcnt vmcnt(43) lgkmcnt(6)
	v_mul_f32_e32 v40, v10, v58
	s_waitcnt vmcnt(42)
	v_mul_f32_e32 v41, v12, v60
	;; [unrolled: 4-line block ×6, first 2 shown]
	s_waitcnt vmcnt(33) lgkmcnt(1)
	v_mul_f32_e32 v50, v30, v180
	s_waitcnt vmcnt(32)
	v_fmac_f32_e32 v38, v7, v181
	s_waitcnt vmcnt(31)
	v_fmac_f32_e32 v39, v9, v182
	v_add_f32_e32 v38, 0, v38
	s_waitcnt vmcnt(30)
	v_fmac_f32_e32 v40, v11, v183
	v_add_f32_e32 v38, v38, v39
	;; [unrolled: 3-line block ×12, first 2 shown]
	s_waitcnt vmcnt(19)
	v_mul_f32_e32 v39, v32, v194
	v_add_f32_e32 v38, v38, v50
	s_waitcnt vmcnt(18)
	v_fmac_f32_e32 v39, v33, v195
	v_add_f32_e32 v38, v38, v39
	s_waitcnt vmcnt(17) lgkmcnt(0)
	v_mul_f32_e32 v39, v34, v196
	s_waitcnt vmcnt(16)
	v_fmac_f32_e32 v39, v35, v197
	v_add_f32_e32 v42, v38, v39
	ds_read_b128 v[38:41], v4 offset:656
	s_waitcnt vmcnt(15)
	v_mul_f32_e32 v43, v36, v198
	s_waitcnt vmcnt(14)
	v_fmac_f32_e32 v43, v37, v199
	v_add_f32_e32 v46, v42, v43
	ds_read_b128 v[42:45], v4 offset:672
	buffer_load_dword v55, off, s[0:3], 0 offset:324
	buffer_load_dword v54, off, s[0:3], 0 offset:320
	s_waitcnt vmcnt(15) lgkmcnt(1)
	v_mul_f32_e32 v47, v38, v200
	s_waitcnt vmcnt(14)
	v_fmac_f32_e32 v47, v39, v201
	v_add_f32_e32 v46, v46, v47
	s_waitcnt vmcnt(13)
	v_mul_f32_e32 v47, v40, v202
	s_waitcnt vmcnt(12)
	v_fmac_f32_e32 v47, v41, v203
	v_add_f32_e32 v46, v46, v47
	s_waitcnt vmcnt(11) lgkmcnt(0)
	v_mul_f32_e32 v47, v42, v204
	s_waitcnt vmcnt(10)
	v_fmac_f32_e32 v47, v43, v205
	s_waitcnt vmcnt(9)
	v_mul_f32_e32 v51, v44, v206
	v_add_f32_e32 v50, v46, v47
	s_waitcnt vmcnt(8)
	v_fmac_f32_e32 v51, v45, v207
	ds_read_b128 v[46:49], v4 offset:688
	v_add_f32_e32 v57, v50, v51
	ds_read_b128 v[50:53], v4 offset:704
	buffer_load_dword v63, off, s[0:3], 0 offset:356
	buffer_load_dword v62, off, s[0:3], 0 offset:352
	;; [unrolled: 1-line block ×14, first 2 shown]
	v_mul_f32_e32 v5, v7, v5
	v_fma_f32 v5, v6, v181, -v5
	v_mul_f32_e32 v6, v9, v56
	v_add_f32_e32 v5, 0, v5
	v_fma_f32 v6, v8, v182, -v6
	v_add_f32_e32 v5, v5, v6
	v_mul_f32_e32 v6, v11, v58
	v_fma_f32 v6, v10, v183, -v6
	v_add_f32_e32 v5, v5, v6
	v_mul_f32_e32 v6, v13, v60
	;; [unrolled: 3-line block ×18, first 2 shown]
	v_fma_f32 v6, v44, v207, -v6
	s_waitcnt vmcnt(21) lgkmcnt(1)
	v_mul_f32_e32 v59, v46, v208
	v_add_f32_e32 v56, v5, v6
	v_mul_f32_e32 v5, v47, v208
	s_waitcnt vmcnt(20)
	v_fmac_f32_e32 v59, v47, v209
	s_waitcnt vmcnt(15)
	v_mov_b32_e32 v18, v55
	s_waitcnt lgkmcnt(0)
	v_pk_mul_f32 v[18:19], v[50:51], v[18:19] op_sel_hi:[1,0]
	v_mul_f32_e32 v61, v48, v210
	v_fma_f32 v58, v46, v209, -v5
	v_mul_f32_e32 v5, v49, v210
	s_waitcnt vmcnt(14)
	v_pk_fma_f32 v[20:21], v[50:51], v[54:55], v[18:19] op_sel:[0,0,1] op_sel_hi:[1,1,0] neg_lo:[0,0,1] neg_hi:[0,0,1]
	v_pk_fma_f32 v[18:19], v[50:51], v[54:55], v[18:19] op_sel:[0,0,1] op_sel_hi:[1,0,0]
	v_fmac_f32_e32 v61, v49, v211
	v_fma_f32 v60, v48, v211, -v5
	ds_read_b128 v[6:9], v4 offset:720
	ds_read_b128 v[10:13], v4 offset:736
	;; [unrolled: 1-line block ×3, first 2 shown]
	v_pk_add_f32 v[4:5], v[56:57], v[58:59]
	s_waitcnt vmcnt(7)
	v_mov_b32_e32 v18, v69
	v_pk_add_f32 v[4:5], v[4:5], v[60:61]
	v_mov_b32_e32 v21, v19
	v_pk_mul_f32 v[18:19], v[52:53], v[18:19] op_sel_hi:[1,0]
	v_pk_add_f32 v[4:5], v[4:5], v[20:21]
	s_waitcnt vmcnt(6)
	v_pk_fma_f32 v[20:21], v[52:53], v[68:69], v[18:19] op_sel:[0,0,1] op_sel_hi:[1,1,0] neg_lo:[0,0,1] neg_hi:[0,0,1]
	v_pk_fma_f32 v[18:19], v[52:53], v[68:69], v[18:19] op_sel:[0,0,1] op_sel_hi:[1,0,0]
	v_mov_b32_e32 v18, v67
	v_mov_b32_e32 v21, v19
	s_waitcnt lgkmcnt(2)
	v_pk_mul_f32 v[18:19], v[6:7], v[18:19] op_sel_hi:[1,0]
	v_pk_add_f32 v[4:5], v[4:5], v[20:21]
	v_pk_fma_f32 v[20:21], v[6:7], v[66:67], v[18:19] op_sel:[0,0,1] op_sel_hi:[1,1,0] neg_lo:[0,0,1] neg_hi:[0,0,1]
	v_pk_fma_f32 v[6:7], v[6:7], v[66:67], v[18:19] op_sel:[0,0,1] op_sel_hi:[1,0,0]
	v_mov_b32_e32 v6, v65
	v_mov_b32_e32 v21, v7
	v_pk_mul_f32 v[6:7], v[8:9], v[6:7] op_sel_hi:[1,0]
	v_pk_fma_f32 v[18:19], v[8:9], v[64:65], v[6:7] op_sel:[0,0,1] op_sel_hi:[1,1,0] neg_lo:[0,0,1] neg_hi:[0,0,1]
	v_pk_fma_f32 v[6:7], v[8:9], v[64:65], v[6:7] op_sel:[0,0,1] op_sel_hi:[1,0,0]
	v_mov_b32_e32 v6, v63
	v_mov_b32_e32 v19, v7
	s_waitcnt lgkmcnt(1)
	v_pk_mul_f32 v[6:7], v[10:11], v[6:7] op_sel_hi:[1,0]
	v_pk_fma_f32 v[8:9], v[10:11], v[62:63], v[6:7] op_sel:[0,0,1] op_sel_hi:[1,1,0] neg_lo:[0,0,1] neg_hi:[0,0,1]
	v_pk_fma_f32 v[6:7], v[10:11], v[62:63], v[6:7] op_sel:[0,0,1] op_sel_hi:[1,0,0]
	v_pk_add_f32 v[4:5], v[4:5], v[20:21]
	s_waitcnt vmcnt(1)
	v_mov_b32_e32 v6, v75
	v_pk_add_f32 v[4:5], v[4:5], v[18:19]
	v_mov_b32_e32 v9, v7
	v_pk_mul_f32 v[6:7], v[12:13], v[6:7] op_sel_hi:[1,0]
	v_pk_add_f32 v[4:5], v[4:5], v[8:9]
	s_waitcnt vmcnt(0)
	v_pk_fma_f32 v[8:9], v[12:13], v[74:75], v[6:7] op_sel:[0,0,1] op_sel_hi:[1,1,0] neg_lo:[0,0,1] neg_hi:[0,0,1]
	v_pk_fma_f32 v[6:7], v[12:13], v[74:75], v[6:7] op_sel:[0,0,1] op_sel_hi:[1,0,0]
	v_mov_b32_e32 v6, v73
	v_mov_b32_e32 v9, v7
	s_waitcnt lgkmcnt(0)
	v_pk_mul_f32 v[6:7], v[14:15], v[6:7] op_sel_hi:[1,0]
	v_pk_add_f32 v[4:5], v[4:5], v[8:9]
	v_pk_fma_f32 v[8:9], v[14:15], v[72:73], v[6:7] op_sel:[0,0,1] op_sel_hi:[1,1,0] neg_lo:[0,0,1] neg_hi:[0,0,1]
	v_pk_fma_f32 v[6:7], v[14:15], v[72:73], v[6:7] op_sel:[0,0,1] op_sel_hi:[1,0,0]
	v_mov_b32_e32 v6, v71
	v_mov_b32_e32 v9, v7
	v_pk_mul_f32 v[6:7], v[16:17], v[6:7] op_sel_hi:[1,0]
	v_pk_add_f32 v[4:5], v[4:5], v[8:9]
	v_pk_fma_f32 v[8:9], v[16:17], v[70:71], v[6:7] op_sel:[0,0,1] op_sel_hi:[1,1,0] neg_lo:[0,0,1] neg_hi:[0,0,1]
	v_pk_fma_f32 v[6:7], v[16:17], v[70:71], v[6:7] op_sel:[0,0,1] op_sel_hi:[1,0,0]
	v_mov_b32_e32 v9, v7
	v_pk_add_f32 v[4:5], v[4:5], v[8:9]
	v_pk_add_f32 v[2:3], v[2:3], v[4:5] neg_lo:[0,1] neg_hi:[0,1]
	buffer_store_dword v3, off, s[0:3], 0 offset:140
	buffer_store_dword v2, off, s[0:3], 0 offset:136
	s_and_saveexec_b64 s[4:5], vcc
	s_cbranch_execz .LBB111_269
; %bb.268:
	buffer_load_dword v2, off, s[0:3], 0 offset:128
	buffer_load_dword v3, off, s[0:3], 0 offset:132
	v_mov_b32_e32 v4, 0
	v_accvgpr_read_b32 v1, a20
	buffer_store_dword v4, off, s[0:3], 0 offset:128
	buffer_store_dword v4, off, s[0:3], 0 offset:132
	s_waitcnt vmcnt(2)
	ds_write_b64 v1, v[2:3]
.LBB111_269:
	s_or_b64 exec, exec, s[4:5]
	s_waitcnt lgkmcnt(0)
	; wave barrier
	s_waitcnt lgkmcnt(0)
	buffer_load_dword v5, off, s[0:3], 0 offset:140
	buffer_load_dword v54, off, s[0:3], 0 offset:148
	;; [unrolled: 1-line block ×48, first 2 shown]
	v_mov_b32_e32 v4, 0
	ds_read2_b64 v[6:9], v4 offset0:65 offset1:66
	ds_read2_b64 v[10:13], v4 offset0:67 offset1:68
	;; [unrolled: 1-line block ×6, first 2 shown]
	v_cmp_lt_u32_e32 vcc, 15, v0
	s_waitcnt vmcnt(47) lgkmcnt(5)
	v_mul_f32_e32 v30, v6, v5
	s_waitcnt vmcnt(46)
	v_mul_f32_e32 v31, v8, v54
	s_waitcnt vmcnt(45) lgkmcnt(4)
	v_mul_f32_e32 v32, v10, v56
	s_waitcnt vmcnt(44)
	v_mul_f32_e32 v33, v12, v58
	;; [unrolled: 4-line block ×6, first 2 shown]
	s_waitcnt vmcnt(35)
	v_fmac_f32_e32 v30, v7, v180
	s_waitcnt vmcnt(34)
	v_fmac_f32_e32 v31, v9, v181
	v_add_f32_e32 v30, 0, v30
	s_waitcnt vmcnt(33)
	v_fmac_f32_e32 v32, v11, v182
	v_add_f32_e32 v30, v30, v31
	;; [unrolled: 3-line block ×8, first 2 shown]
	v_add_f32_e32 v34, v30, v38
	ds_read2_b64 v[30:33], v4 offset0:77 offset1:78
	s_waitcnt vmcnt(26)
	v_fmac_f32_e32 v39, v25, v189
	s_waitcnt vmcnt(25)
	v_fmac_f32_e32 v40, v27, v190
	v_add_f32_e32 v34, v34, v39
	s_waitcnt vmcnt(24)
	v_fmac_f32_e32 v41, v29, v191
	v_add_f32_e32 v34, v34, v40
	v_add_f32_e32 v38, v34, v41
	ds_read2_b64 v[34:37], v4 offset0:79 offset1:80
	s_waitcnt vmcnt(23) lgkmcnt(1)
	v_mul_f32_e32 v39, v30, v192
	s_waitcnt vmcnt(22)
	v_fmac_f32_e32 v39, v31, v193
	v_add_f32_e32 v38, v38, v39
	s_waitcnt vmcnt(21)
	v_mul_f32_e32 v39, v32, v194
	s_waitcnt vmcnt(20)
	v_fmac_f32_e32 v39, v33, v195
	v_add_f32_e32 v38, v38, v39
	s_waitcnt vmcnt(19) lgkmcnt(0)
	v_mul_f32_e32 v39, v34, v196
	s_waitcnt vmcnt(18)
	v_fmac_f32_e32 v39, v35, v197
	v_add_f32_e32 v42, v38, v39
	ds_read2_b64 v[38:41], v4 offset0:81 offset1:82
	s_waitcnt vmcnt(17)
	v_mul_f32_e32 v43, v36, v198
	s_waitcnt vmcnt(16)
	v_fmac_f32_e32 v43, v37, v199
	v_add_f32_e32 v46, v42, v43
	ds_read2_b64 v[42:45], v4 offset0:83 offset1:84
	s_waitcnt vmcnt(15) lgkmcnt(1)
	v_mul_f32_e32 v47, v38, v200
	s_waitcnt vmcnt(14)
	v_fmac_f32_e32 v47, v39, v201
	v_add_f32_e32 v46, v46, v47
	s_waitcnt vmcnt(13)
	v_mul_f32_e32 v47, v40, v202
	s_waitcnt vmcnt(12)
	v_fmac_f32_e32 v47, v41, v203
	v_add_f32_e32 v46, v46, v47
	s_waitcnt vmcnt(11) lgkmcnt(0)
	v_mul_f32_e32 v47, v42, v204
	s_waitcnt vmcnt(10)
	v_fmac_f32_e32 v47, v43, v205
	s_waitcnt vmcnt(9)
	v_mul_f32_e32 v51, v44, v206
	v_add_f32_e32 v50, v46, v47
	s_waitcnt vmcnt(8)
	v_fmac_f32_e32 v51, v45, v207
	ds_read2_b64 v[46:49], v4 offset0:85 offset1:86
	v_add_f32_e32 v55, v50, v51
	ds_read2_b64 v[50:53], v4 offset0:87 offset1:88
	buffer_load_dword v61, off, s[0:3], 0 offset:348
	buffer_load_dword v60, off, s[0:3], 0 offset:344
	;; [unrolled: 1-line block ×16, first 2 shown]
	v_mul_f32_e32 v5, v7, v5
	v_fma_f32 v5, v6, v180, -v5
	v_mul_f32_e32 v6, v9, v54
	v_add_f32_e32 v5, 0, v5
	v_fma_f32 v6, v8, v181, -v6
	v_add_f32_e32 v5, v5, v6
	v_mul_f32_e32 v6, v11, v56
	v_fma_f32 v6, v10, v182, -v6
	v_add_f32_e32 v5, v5, v6
	v_mul_f32_e32 v6, v13, v58
	v_fma_f32 v6, v12, v183, -v6
	v_add_f32_e32 v5, v5, v6
	v_mul_f32_e32 v6, v15, v76
	v_fma_f32 v6, v14, v184, -v6
	v_add_f32_e32 v5, v5, v6
	v_mul_f32_e32 v6, v17, v77
	v_fma_f32 v6, v16, v185, -v6
	v_add_f32_e32 v5, v5, v6
	v_mul_f32_e32 v6, v19, v174
	v_fma_f32 v6, v18, v186, -v6
	v_add_f32_e32 v5, v5, v6
	v_mul_f32_e32 v6, v21, v175
	v_fma_f32 v6, v20, v187, -v6
	v_add_f32_e32 v5, v5, v6
	v_mul_f32_e32 v6, v23, v176
	v_fma_f32 v6, v22, v188, -v6
	v_add_f32_e32 v5, v5, v6
	v_mul_f32_e32 v6, v25, v177
	v_fma_f32 v6, v24, v189, -v6
	v_add_f32_e32 v5, v5, v6
	v_mul_f32_e32 v6, v27, v178
	v_fma_f32 v6, v26, v190, -v6
	v_add_f32_e32 v5, v5, v6
	v_mul_f32_e32 v6, v29, v179
	v_fma_f32 v6, v28, v191, -v6
	v_add_f32_e32 v5, v5, v6
	v_mul_f32_e32 v6, v31, v192
	v_fma_f32 v6, v30, v193, -v6
	v_add_f32_e32 v5, v5, v6
	v_mul_f32_e32 v6, v33, v194
	v_fma_f32 v6, v32, v195, -v6
	v_add_f32_e32 v5, v5, v6
	v_mul_f32_e32 v6, v35, v196
	v_fma_f32 v6, v34, v197, -v6
	v_add_f32_e32 v5, v5, v6
	v_mul_f32_e32 v6, v37, v198
	v_fma_f32 v6, v36, v199, -v6
	v_add_f32_e32 v5, v5, v6
	v_mul_f32_e32 v6, v39, v200
	v_fma_f32 v6, v38, v201, -v6
	v_add_f32_e32 v5, v5, v6
	v_mul_f32_e32 v6, v41, v202
	v_fma_f32 v6, v40, v203, -v6
	v_add_f32_e32 v5, v5, v6
	v_mul_f32_e32 v6, v43, v204
	v_fma_f32 v6, v42, v205, -v6
	v_add_f32_e32 v5, v5, v6
	v_mul_f32_e32 v6, v45, v206
	v_fma_f32 v6, v44, v207, -v6
	s_waitcnt vmcnt(22) lgkmcnt(1)
	v_mul_f32_e32 v57, v46, v209
	v_add_f32_e32 v5, v5, v6
	v_mul_f32_e32 v6, v47, v209
	v_fmac_f32_e32 v57, v47, v208
	v_fma_f32 v6, v46, v208, -v6
	v_add_f32_e32 v55, v55, v57
	s_waitcnt vmcnt(19)
	v_mul_f32_e32 v57, v48, v210
	v_add_f32_e32 v54, v5, v6
	v_mul_f32_e32 v5, v49, v210
	s_waitcnt vmcnt(18)
	v_fmac_f32_e32 v57, v49, v211
	s_waitcnt vmcnt(17) lgkmcnt(0)
	v_mul_f32_e32 v59, v50, v212
	s_waitcnt vmcnt(9)
	v_mov_b32_e32 v22, v67
	v_pk_mul_f32 v[22:23], v[52:53], v[22:23] op_sel_hi:[1,0]
	v_fma_f32 v56, v48, v211, -v5
	v_mul_f32_e32 v5, v51, v212
	ds_read2_b64 v[6:9], v4 offset0:89 offset1:90
	ds_read2_b64 v[10:13], v4 offset0:91 offset1:92
	;; [unrolled: 1-line block ×3, first 2 shown]
	ds_read_b64 v[18:19], v4 offset:760
	s_waitcnt vmcnt(8)
	v_pk_fma_f32 v[24:25], v[52:53], v[66:67], v[22:23] op_sel:[0,0,1] op_sel_hi:[1,1,0] neg_lo:[0,0,1] neg_hi:[0,0,1]
	v_pk_fma_f32 v[22:23], v[52:53], v[66:67], v[22:23] op_sel:[0,0,1] op_sel_hi:[1,0,0]
	v_fmac_f32_e32 v59, v51, v213
	v_fma_f32 v58, v50, v213, -v5
	v_pk_add_f32 v[20:21], v[54:55], v[56:57]
	v_mov_b32_e32 v22, v65
	v_pk_add_f32 v[20:21], v[20:21], v[58:59]
	v_mov_b32_e32 v25, v23
	s_waitcnt lgkmcnt(3)
	v_pk_mul_f32 v[22:23], v[6:7], v[22:23] op_sel_hi:[1,0]
	v_pk_add_f32 v[20:21], v[20:21], v[24:25]
	v_pk_fma_f32 v[24:25], v[6:7], v[64:65], v[22:23] op_sel:[0,0,1] op_sel_hi:[1,1,0] neg_lo:[0,0,1] neg_hi:[0,0,1]
	v_pk_fma_f32 v[6:7], v[6:7], v[64:65], v[22:23] op_sel:[0,0,1] op_sel_hi:[1,0,0]
	v_mov_b32_e32 v25, v7
	v_pk_add_f32 v[6:7], v[20:21], v[24:25]
	v_mov_b32_e32 v20, v63
	v_pk_mul_f32 v[20:21], v[8:9], v[20:21] op_sel_hi:[1,0]
	v_pk_fma_f32 v[22:23], v[8:9], v[62:63], v[20:21] op_sel:[0,0,1] op_sel_hi:[1,1,0] neg_lo:[0,0,1] neg_hi:[0,0,1]
	v_pk_fma_f32 v[8:9], v[8:9], v[62:63], v[20:21] op_sel:[0,0,1] op_sel_hi:[1,0,0]
	v_mov_b32_e32 v8, v61
	v_mov_b32_e32 v23, v9
	s_waitcnt lgkmcnt(2)
	v_pk_mul_f32 v[8:9], v[10:11], v[8:9] op_sel_hi:[1,0]
	v_pk_fma_f32 v[20:21], v[10:11], v[60:61], v[8:9] op_sel:[0,0,1] op_sel_hi:[1,1,0] neg_lo:[0,0,1] neg_hi:[0,0,1]
	v_pk_fma_f32 v[8:9], v[10:11], v[60:61], v[8:9] op_sel:[0,0,1] op_sel_hi:[1,0,0]
	s_waitcnt vmcnt(1)
	v_mov_b32_e32 v8, v75
	v_mov_b32_e32 v21, v9
	v_pk_mul_f32 v[8:9], v[12:13], v[8:9] op_sel_hi:[1,0]
	s_waitcnt vmcnt(0)
	v_pk_fma_f32 v[10:11], v[12:13], v[74:75], v[8:9] op_sel:[0,0,1] op_sel_hi:[1,1,0] neg_lo:[0,0,1] neg_hi:[0,0,1]
	v_pk_fma_f32 v[8:9], v[12:13], v[74:75], v[8:9] op_sel:[0,0,1] op_sel_hi:[1,0,0]
	v_pk_add_f32 v[6:7], v[6:7], v[22:23]
	v_mov_b32_e32 v8, v73
	v_pk_add_f32 v[6:7], v[6:7], v[20:21]
	v_mov_b32_e32 v11, v9
	s_waitcnt lgkmcnt(1)
	v_pk_mul_f32 v[8:9], v[14:15], v[8:9] op_sel_hi:[1,0]
	v_pk_add_f32 v[6:7], v[6:7], v[10:11]
	v_pk_fma_f32 v[10:11], v[14:15], v[72:73], v[8:9] op_sel:[0,0,1] op_sel_hi:[1,1,0] neg_lo:[0,0,1] neg_hi:[0,0,1]
	v_pk_fma_f32 v[8:9], v[14:15], v[72:73], v[8:9] op_sel:[0,0,1] op_sel_hi:[1,0,0]
	v_mov_b32_e32 v8, v71
	v_mov_b32_e32 v11, v9
	v_pk_mul_f32 v[8:9], v[16:17], v[8:9] op_sel_hi:[1,0]
	v_pk_add_f32 v[6:7], v[6:7], v[10:11]
	v_pk_fma_f32 v[10:11], v[16:17], v[70:71], v[8:9] op_sel:[0,0,1] op_sel_hi:[1,1,0] neg_lo:[0,0,1] neg_hi:[0,0,1]
	v_pk_fma_f32 v[8:9], v[16:17], v[70:71], v[8:9] op_sel:[0,0,1] op_sel_hi:[1,0,0]
	v_mov_b32_e32 v8, v69
	v_mov_b32_e32 v11, v9
	s_waitcnt lgkmcnt(0)
	v_pk_mul_f32 v[8:9], v[18:19], v[8:9] op_sel_hi:[1,0]
	v_pk_add_f32 v[6:7], v[6:7], v[10:11]
	v_pk_fma_f32 v[10:11], v[18:19], v[68:69], v[8:9] op_sel:[0,0,1] op_sel_hi:[1,1,0] neg_lo:[0,0,1] neg_hi:[0,0,1]
	v_pk_fma_f32 v[8:9], v[18:19], v[68:69], v[8:9] op_sel:[0,0,1] op_sel_hi:[1,0,0]
	v_mov_b32_e32 v11, v9
	v_pk_add_f32 v[6:7], v[6:7], v[10:11]
	v_pk_add_f32 v[2:3], v[2:3], v[6:7] neg_lo:[0,1] neg_hi:[0,1]
	buffer_store_dword v3, off, s[0:3], 0 offset:132
	buffer_store_dword v2, off, s[0:3], 0 offset:128
	s_and_saveexec_b64 s[4:5], vcc
	s_cbranch_execz .LBB111_271
; %bb.270:
	buffer_load_dword v2, off, s[0:3], 0 offset:120
	buffer_load_dword v3, off, s[0:3], 0 offset:124
	v_accvgpr_read_b32 v1, a20
	buffer_store_dword v4, off, s[0:3], 0 offset:120
	buffer_store_dword v4, off, s[0:3], 0 offset:124
	s_waitcnt vmcnt(2)
	ds_write_b64 v1, v[2:3]
.LBB111_271:
	s_or_b64 exec, exec, s[4:5]
	s_waitcnt lgkmcnt(0)
	; wave barrier
	s_waitcnt lgkmcnt(0)
	buffer_load_dword v5, off, s[0:3], 0 offset:132
	buffer_load_dword v54, off, s[0:3], 0 offset:140
	;; [unrolled: 1-line block ×48, first 2 shown]
	ds_read_b128 v[6:9], v4 offset:512
	ds_read_b128 v[10:13], v4 offset:528
	;; [unrolled: 1-line block ×6, first 2 shown]
	buffer_load_dword v214, off, s[0:3], 0 offset:312
	buffer_load_dword v215, off, s[0:3], 0 offset:316
	v_cmp_lt_u32_e32 vcc, 14, v0
	s_waitcnt vmcnt(49) lgkmcnt(5)
	v_mul_f32_e32 v30, v6, v5
	s_waitcnt vmcnt(48)
	v_mul_f32_e32 v31, v8, v54
	s_waitcnt vmcnt(47) lgkmcnt(4)
	v_mul_f32_e32 v32, v10, v56
	s_waitcnt vmcnt(46)
	v_mul_f32_e32 v33, v12, v64
	;; [unrolled: 4-line block ×6, first 2 shown]
	s_waitcnt vmcnt(37)
	v_fmac_f32_e32 v30, v7, v180
	s_waitcnt vmcnt(36)
	v_fmac_f32_e32 v31, v9, v181
	v_add_f32_e32 v30, 0, v30
	s_waitcnt vmcnt(35)
	v_fmac_f32_e32 v32, v11, v182
	v_add_f32_e32 v30, v30, v31
	;; [unrolled: 3-line block ×9, first 2 shown]
	v_add_f32_e32 v34, v30, v39
	ds_read_b128 v[30:33], v4 offset:608
	s_waitcnt vmcnt(27)
	v_fmac_f32_e32 v40, v27, v190
	v_add_f32_e32 v34, v34, v40
	s_waitcnt vmcnt(26)
	v_fmac_f32_e32 v41, v29, v191
	v_add_f32_e32 v38, v34, v41
	ds_read_b128 v[34:37], v4 offset:624
	s_waitcnt vmcnt(25) lgkmcnt(1)
	v_mul_f32_e32 v39, v30, v192
	s_waitcnt vmcnt(24)
	v_fmac_f32_e32 v39, v31, v193
	v_add_f32_e32 v38, v38, v39
	s_waitcnt vmcnt(23)
	v_mul_f32_e32 v39, v32, v194
	s_waitcnt vmcnt(22)
	v_fmac_f32_e32 v39, v33, v195
	v_add_f32_e32 v38, v38, v39
	s_waitcnt vmcnt(21) lgkmcnt(0)
	v_mul_f32_e32 v39, v34, v196
	s_waitcnt vmcnt(20)
	v_fmac_f32_e32 v39, v35, v197
	v_add_f32_e32 v42, v38, v39
	ds_read_b128 v[38:41], v4 offset:640
	s_waitcnt vmcnt(19)
	v_mul_f32_e32 v43, v36, v198
	s_waitcnt vmcnt(18)
	v_fmac_f32_e32 v43, v37, v199
	v_add_f32_e32 v46, v42, v43
	ds_read_b128 v[42:45], v4 offset:656
	s_waitcnt vmcnt(17) lgkmcnt(1)
	v_mul_f32_e32 v47, v38, v200
	s_waitcnt vmcnt(16)
	v_fmac_f32_e32 v47, v39, v201
	v_add_f32_e32 v46, v46, v47
	s_waitcnt vmcnt(15)
	v_mul_f32_e32 v47, v40, v202
	s_waitcnt vmcnt(14)
	v_fmac_f32_e32 v47, v41, v203
	v_add_f32_e32 v46, v46, v47
	s_waitcnt vmcnt(13) lgkmcnt(0)
	v_mul_f32_e32 v47, v42, v204
	s_waitcnt vmcnt(12)
	v_fmac_f32_e32 v47, v43, v205
	s_waitcnt vmcnt(11)
	v_mul_f32_e32 v51, v44, v206
	v_add_f32_e32 v50, v46, v47
	s_waitcnt vmcnt(10)
	v_fmac_f32_e32 v51, v45, v207
	ds_read_b128 v[46:49], v4 offset:672
	v_add_f32_e32 v55, v50, v51
	ds_read_b128 v[50:53], v4 offset:688
	buffer_load_dword v59, off, s[0:3], 0 offset:340
	buffer_load_dword v58, off, s[0:3], 0 offset:336
	;; [unrolled: 1-line block ×16, first 2 shown]
	v_mul_f32_e32 v5, v7, v5
	v_fma_f32 v5, v6, v180, -v5
	v_mul_f32_e32 v6, v9, v54
	v_add_f32_e32 v5, 0, v5
	v_fma_f32 v6, v8, v181, -v6
	v_add_f32_e32 v5, v5, v6
	v_mul_f32_e32 v6, v11, v56
	v_fma_f32 v6, v10, v182, -v6
	v_add_f32_e32 v5, v5, v6
	v_mul_f32_e32 v6, v13, v64
	;; [unrolled: 3-line block ×18, first 2 shown]
	v_fma_f32 v6, v44, v207, -v6
	v_add_f32_e32 v5, v5, v6
	s_waitcnt vmcnt(23) lgkmcnt(1)
	v_mul_f32_e32 v6, v47, v208
	s_waitcnt vmcnt(22)
	v_fma_f32 v6, v46, v209, -v6
	v_add_f32_e32 v5, v5, v6
	s_waitcnt vmcnt(20)
	v_mul_f32_e32 v6, v49, v211
	v_fma_f32 v6, v48, v210, -v6
	v_add_f32_e32 v54, v5, v6
	ds_read_b128 v[6:9], v4 offset:704
	ds_read_b128 v[10:13], v4 offset:720
	;; [unrolled: 1-line block ×4, first 2 shown]
	v_mul_f32_e32 v57, v46, v208
	v_fmac_f32_e32 v57, v47, v209
	v_add_f32_e32 v55, v55, v57
	v_mul_f32_e32 v57, v48, v211
	v_fmac_f32_e32 v57, v49, v210
	v_add_f32_e32 v55, v55, v57
	s_waitcnt vmcnt(18) lgkmcnt(4)
	v_mul_f32_e32 v57, v50, v213
	v_mul_f32_e32 v5, v51, v213
	v_fmac_f32_e32 v57, v51, v212
	s_waitcnt vmcnt(16)
	v_mul_f32_e32 v65, v52, v215
	s_waitcnt vmcnt(11)
	v_mov_b32_e32 v22, v63
	s_waitcnt lgkmcnt(3)
	v_pk_mul_f32 v[22:23], v[6:7], v[22:23] op_sel_hi:[1,0]
	s_waitcnt vmcnt(10)
	v_pk_fma_f32 v[24:25], v[6:7], v[62:63], v[22:23] op_sel:[0,0,1] op_sel_hi:[1,1,0] neg_lo:[0,0,1] neg_hi:[0,0,1]
	v_pk_fma_f32 v[6:7], v[6:7], v[62:63], v[22:23] op_sel:[0,0,1] op_sel_hi:[1,0,0]
	v_mov_b32_e32 v6, v61
	v_mov_b32_e32 v25, v7
	v_pk_mul_f32 v[6:7], v[8:9], v[6:7] op_sel_hi:[1,0]
	v_pk_fma_f32 v[22:23], v[8:9], v[60:61], v[6:7] op_sel:[0,0,1] op_sel_hi:[1,1,0] neg_lo:[0,0,1] neg_hi:[0,0,1]
	v_pk_fma_f32 v[6:7], v[8:9], v[60:61], v[6:7] op_sel:[0,0,1] op_sel_hi:[1,0,0]
	v_fma_f32 v56, v50, v212, -v5
	v_mul_f32_e32 v5, v53, v215
	v_mov_b32_e32 v6, v59
	v_fmac_f32_e32 v65, v53, v214
	v_fma_f32 v64, v52, v214, -v5
	v_pk_add_f32 v[4:5], v[54:55], v[56:57]
	v_mov_b32_e32 v23, v7
	s_waitcnt lgkmcnt(2)
	v_pk_mul_f32 v[6:7], v[10:11], v[6:7] op_sel_hi:[1,0]
	v_pk_add_f32 v[4:5], v[4:5], v[64:65]
	v_pk_fma_f32 v[8:9], v[10:11], v[58:59], v[6:7] op_sel:[0,0,1] op_sel_hi:[1,1,0] neg_lo:[0,0,1] neg_hi:[0,0,1]
	v_pk_fma_f32 v[6:7], v[10:11], v[58:59], v[6:7] op_sel:[0,0,1] op_sel_hi:[1,0,0]
	v_pk_add_f32 v[4:5], v[4:5], v[24:25]
	s_waitcnt vmcnt(3)
	v_mov_b32_e32 v6, v73
	v_pk_add_f32 v[4:5], v[4:5], v[22:23]
	v_mov_b32_e32 v9, v7
	v_pk_mul_f32 v[6:7], v[12:13], v[6:7] op_sel_hi:[1,0]
	v_pk_add_f32 v[4:5], v[4:5], v[8:9]
	s_waitcnt vmcnt(2)
	v_pk_fma_f32 v[8:9], v[12:13], v[72:73], v[6:7] op_sel:[0,0,1] op_sel_hi:[1,1,0] neg_lo:[0,0,1] neg_hi:[0,0,1]
	v_pk_fma_f32 v[6:7], v[12:13], v[72:73], v[6:7] op_sel:[0,0,1] op_sel_hi:[1,0,0]
	v_mov_b32_e32 v6, v71
	v_mov_b32_e32 v9, v7
	s_waitcnt lgkmcnt(1)
	v_pk_mul_f32 v[6:7], v[14:15], v[6:7] op_sel_hi:[1,0]
	v_pk_add_f32 v[4:5], v[4:5], v[8:9]
	v_pk_fma_f32 v[8:9], v[14:15], v[70:71], v[6:7] op_sel:[0,0,1] op_sel_hi:[1,1,0] neg_lo:[0,0,1] neg_hi:[0,0,1]
	v_pk_fma_f32 v[6:7], v[14:15], v[70:71], v[6:7] op_sel:[0,0,1] op_sel_hi:[1,0,0]
	v_mov_b32_e32 v6, v69
	v_mov_b32_e32 v9, v7
	v_pk_mul_f32 v[6:7], v[16:17], v[6:7] op_sel_hi:[1,0]
	v_pk_add_f32 v[4:5], v[4:5], v[8:9]
	v_pk_fma_f32 v[8:9], v[16:17], v[68:69], v[6:7] op_sel:[0,0,1] op_sel_hi:[1,1,0] neg_lo:[0,0,1] neg_hi:[0,0,1]
	v_pk_fma_f32 v[6:7], v[16:17], v[68:69], v[6:7] op_sel:[0,0,1] op_sel_hi:[1,0,0]
	v_mov_b32_e32 v6, v67
	v_mov_b32_e32 v9, v7
	s_waitcnt lgkmcnt(0)
	v_pk_mul_f32 v[6:7], v[18:19], v[6:7] op_sel_hi:[1,0]
	v_pk_add_f32 v[4:5], v[4:5], v[8:9]
	v_pk_fma_f32 v[8:9], v[18:19], v[66:67], v[6:7] op_sel:[0,0,1] op_sel_hi:[1,1,0] neg_lo:[0,0,1] neg_hi:[0,0,1]
	v_pk_fma_f32 v[6:7], v[18:19], v[66:67], v[6:7] op_sel:[0,0,1] op_sel_hi:[1,0,0]
	s_waitcnt vmcnt(1)
	v_mov_b32_e32 v6, v75
	v_mov_b32_e32 v9, v7
	v_pk_mul_f32 v[6:7], v[20:21], v[6:7] op_sel_hi:[1,0]
	v_pk_add_f32 v[4:5], v[4:5], v[8:9]
	s_waitcnt vmcnt(0)
	v_pk_fma_f32 v[8:9], v[20:21], v[74:75], v[6:7] op_sel:[0,0,1] op_sel_hi:[1,1,0] neg_lo:[0,0,1] neg_hi:[0,0,1]
	v_pk_fma_f32 v[6:7], v[20:21], v[74:75], v[6:7] op_sel:[0,0,1] op_sel_hi:[1,0,0]
	v_mov_b32_e32 v9, v7
	v_pk_add_f32 v[4:5], v[4:5], v[8:9]
	v_pk_add_f32 v[2:3], v[2:3], v[4:5] neg_lo:[0,1] neg_hi:[0,1]
	buffer_store_dword v3, off, s[0:3], 0 offset:124
	buffer_store_dword v2, off, s[0:3], 0 offset:120
	s_and_saveexec_b64 s[4:5], vcc
	s_cbranch_execz .LBB111_273
; %bb.272:
	buffer_load_dword v2, off, s[0:3], 0 offset:112
	buffer_load_dword v3, off, s[0:3], 0 offset:116
	v_mov_b32_e32 v4, 0
	v_accvgpr_read_b32 v1, a20
	buffer_store_dword v4, off, s[0:3], 0 offset:112
	buffer_store_dword v4, off, s[0:3], 0 offset:116
	s_waitcnt vmcnt(2)
	ds_write_b64 v1, v[2:3]
.LBB111_273:
	s_or_b64 exec, exec, s[4:5]
	s_waitcnt lgkmcnt(0)
	; wave barrier
	s_waitcnt lgkmcnt(0)
	buffer_load_dword v5, off, s[0:3], 0 offset:124
	buffer_load_dword v62, off, s[0:3], 0 offset:132
	;; [unrolled: 1-line block ×52, first 2 shown]
	v_mov_b32_e32 v4, 0
	ds_read2_b64 v[6:9], v4 offset0:63 offset1:64
	ds_read2_b64 v[10:13], v4 offset0:65 offset1:66
	;; [unrolled: 1-line block ×6, first 2 shown]
	v_cmp_lt_u32_e32 vcc, 13, v0
	s_waitcnt vmcnt(51) lgkmcnt(5)
	v_mul_f32_e32 v30, v6, v5
	s_waitcnt vmcnt(50)
	v_mul_f32_e32 v31, v8, v62
	s_waitcnt vmcnt(49) lgkmcnt(4)
	v_mul_f32_e32 v32, v10, v68
	s_waitcnt vmcnt(48)
	v_mul_f32_e32 v33, v12, v70
	;; [unrolled: 4-line block ×5, first 2 shown]
	s_waitcnt vmcnt(41) lgkmcnt(0)
	v_mul_f32_e32 v40, v26, v186
	s_waitcnt vmcnt(40)
	v_fmac_f32_e32 v30, v7, v187
	s_waitcnt vmcnt(39)
	v_fmac_f32_e32 v31, v9, v188
	v_add_f32_e32 v30, 0, v30
	s_waitcnt vmcnt(38)
	v_fmac_f32_e32 v32, v11, v189
	v_add_f32_e32 v30, v30, v31
	;; [unrolled: 3-line block ×9, first 2 shown]
	v_add_f32_e32 v30, v30, v39
	s_waitcnt vmcnt(30)
	v_fmac_f32_e32 v40, v27, v197
	v_add_f32_e32 v34, v30, v40
	ds_read2_b64 v[30:33], v4 offset0:75 offset1:76
	s_waitcnt vmcnt(29)
	v_mul_f32_e32 v35, v28, v198
	s_waitcnt vmcnt(28)
	v_fmac_f32_e32 v35, v29, v199
	v_add_f32_e32 v38, v34, v35
	ds_read2_b64 v[34:37], v4 offset0:77 offset1:78
	s_waitcnt vmcnt(27) lgkmcnt(1)
	v_mul_f32_e32 v39, v30, v200
	s_waitcnt vmcnt(26)
	v_fmac_f32_e32 v39, v31, v201
	v_add_f32_e32 v38, v38, v39
	s_waitcnt vmcnt(25)
	v_mul_f32_e32 v39, v32, v202
	s_waitcnt vmcnt(24)
	v_fmac_f32_e32 v39, v33, v203
	v_add_f32_e32 v38, v38, v39
	s_waitcnt vmcnt(23) lgkmcnt(0)
	v_mul_f32_e32 v39, v34, v204
	s_waitcnt vmcnt(22)
	v_fmac_f32_e32 v39, v35, v205
	v_add_f32_e32 v42, v38, v39
	ds_read2_b64 v[38:41], v4 offset0:79 offset1:80
	s_waitcnt vmcnt(21)
	v_mul_f32_e32 v43, v36, v206
	s_waitcnt vmcnt(20)
	v_fmac_f32_e32 v43, v37, v207
	v_add_f32_e32 v46, v42, v43
	ds_read2_b64 v[42:45], v4 offset0:81 offset1:82
	s_waitcnt vmcnt(19) lgkmcnt(1)
	v_mul_f32_e32 v47, v38, v208
	s_waitcnt vmcnt(18)
	v_fmac_f32_e32 v47, v39, v209
	v_add_f32_e32 v46, v46, v47
	s_waitcnt vmcnt(17)
	v_mul_f32_e32 v47, v40, v210
	s_waitcnt vmcnt(16)
	v_fmac_f32_e32 v47, v41, v211
	v_add_f32_e32 v46, v46, v47
	s_waitcnt vmcnt(14) lgkmcnt(0)
	v_mul_f32_e32 v47, v42, v213
	v_fmac_f32_e32 v47, v43, v212
	v_add_f32_e32 v50, v46, v47
	ds_read2_b64 v[46:49], v4 offset0:83 offset1:84
	s_waitcnt vmcnt(10)
	v_mul_f32_e32 v51, v44, v215
	v_fmac_f32_e32 v51, v45, v214
	v_add_f32_e32 v54, v50, v51
	ds_read2_b64 v[50:53], v4 offset0:85 offset1:86
	s_waitcnt vmcnt(8) lgkmcnt(1)
	v_mul_f32_e32 v55, v46, v217
	v_fmac_f32_e32 v55, v47, v216
	v_add_f32_e32 v54, v54, v55
	s_waitcnt vmcnt(6)
	v_mul_f32_e32 v55, v48, v219
	v_fmac_f32_e32 v55, v49, v218
	v_add_f32_e32 v54, v54, v55
	s_waitcnt vmcnt(4) lgkmcnt(0)
	v_mul_f32_e32 v55, v50, v221
	v_fmac_f32_e32 v55, v51, v220
	v_add_f32_e32 v63, v54, v55
	ds_read2_b64 v[54:57], v4 offset0:87 offset1:88
	buffer_load_dword v65, off, s[0:3], 0 offset:332
	buffer_load_dword v64, off, s[0:3], 0 offset:328
	;; [unrolled: 1-line block ×4, first 2 shown]
	ds_read2_b64 v[58:61], v4 offset0:89 offset1:90
	buffer_load_dword v73, off, s[0:3], 0 offset:364
	buffer_load_dword v72, off, s[0:3], 0 offset:360
	;; [unrolled: 1-line block ×12, first 2 shown]
	v_mul_f32_e32 v5, v7, v5
	v_fma_f32 v5, v6, v187, -v5
	v_mul_f32_e32 v6, v9, v62
	v_add_f32_e32 v5, 0, v5
	v_fma_f32 v6, v8, v188, -v6
	v_add_f32_e32 v5, v5, v6
	v_mul_f32_e32 v6, v11, v68
	v_fma_f32 v6, v10, v189, -v6
	v_add_f32_e32 v5, v5, v6
	v_mul_f32_e32 v6, v13, v70
	;; [unrolled: 3-line block ×21, first 2 shown]
	v_fma_f32 v6, v50, v220, -v6
	s_waitcnt vmcnt(18)
	v_mul_f32_e32 v69, v52, v223
	v_add_f32_e32 v62, v5, v6
	v_mul_f32_e32 v5, v53, v223
	v_fmac_f32_e32 v69, v53, v222
	s_waitcnt vmcnt(16) lgkmcnt(1)
	v_mul_f32_e32 v71, v54, v225
	v_fma_f32 v68, v52, v222, -v5
	v_mul_f32_e32 v5, v55, v225
	v_fmac_f32_e32 v71, v55, v224
	s_waitcnt vmcnt(13)
	v_mov_b32_e32 v18, v67
	v_pk_mul_f32 v[18:19], v[56:57], v[18:19] op_sel_hi:[1,0]
	s_waitcnt vmcnt(12)
	v_pk_fma_f32 v[20:21], v[56:57], v[66:67], v[18:19] op_sel:[0,0,1] op_sel_hi:[1,1,0] neg_lo:[0,0,1] neg_hi:[0,0,1]
	v_pk_fma_f32 v[18:19], v[56:57], v[66:67], v[18:19] op_sel:[0,0,1] op_sel_hi:[1,0,0]
	v_fma_f32 v70, v54, v224, -v5
	v_pk_add_f32 v[16:17], v[62:63], v[68:69]
	v_mov_b32_e32 v18, v65
	v_pk_add_f32 v[16:17], v[16:17], v[70:71]
	v_mov_b32_e32 v21, v19
	s_waitcnt lgkmcnt(0)
	v_pk_mul_f32 v[18:19], v[58:59], v[18:19] op_sel_hi:[1,0]
	v_pk_add_f32 v[16:17], v[16:17], v[20:21]
	v_pk_fma_f32 v[20:21], v[58:59], v[64:65], v[18:19] op_sel:[0,0,1] op_sel_hi:[1,1,0] neg_lo:[0,0,1] neg_hi:[0,0,1]
	v_pk_fma_f32 v[18:19], v[58:59], v[64:65], v[18:19] op_sel:[0,0,1] op_sel_hi:[1,0,0]
	s_waitcnt vmcnt(5)
	v_mov_b32_e32 v18, v175
	ds_read2_b64 v[6:9], v4 offset0:91 offset1:92
	ds_read2_b64 v[10:13], v4 offset0:93 offset1:94
	ds_read_b64 v[14:15], v4 offset:760
	v_mov_b32_e32 v21, v19
	v_pk_mul_f32 v[18:19], v[60:61], v[18:19] op_sel_hi:[1,0]
	v_pk_add_f32 v[16:17], v[16:17], v[20:21]
	s_waitcnt vmcnt(4)
	v_pk_fma_f32 v[20:21], v[60:61], v[174:175], v[18:19] op_sel:[0,0,1] op_sel_hi:[1,1,0] neg_lo:[0,0,1] neg_hi:[0,0,1]
	v_pk_fma_f32 v[18:19], v[60:61], v[174:175], v[18:19] op_sel:[0,0,1] op_sel_hi:[1,0,0]
	v_mov_b32_e32 v18, v77
	v_mov_b32_e32 v21, v19
	s_waitcnt lgkmcnt(2)
	v_pk_mul_f32 v[18:19], v[6:7], v[18:19] op_sel_hi:[1,0]
	v_pk_add_f32 v[16:17], v[16:17], v[20:21]
	v_pk_fma_f32 v[20:21], v[6:7], v[76:77], v[18:19] op_sel:[0,0,1] op_sel_hi:[1,1,0] neg_lo:[0,0,1] neg_hi:[0,0,1]
	v_pk_fma_f32 v[6:7], v[6:7], v[76:77], v[18:19] op_sel:[0,0,1] op_sel_hi:[1,0,0]
	v_mov_b32_e32 v21, v7
	v_pk_add_f32 v[6:7], v[16:17], v[20:21]
	v_mov_b32_e32 v16, v75
	v_pk_mul_f32 v[16:17], v[8:9], v[16:17] op_sel_hi:[1,0]
	v_pk_fma_f32 v[18:19], v[8:9], v[74:75], v[16:17] op_sel:[0,0,1] op_sel_hi:[1,1,0] neg_lo:[0,0,1] neg_hi:[0,0,1]
	v_pk_fma_f32 v[8:9], v[8:9], v[74:75], v[16:17] op_sel:[0,0,1] op_sel_hi:[1,0,0]
	v_mov_b32_e32 v8, v73
	v_mov_b32_e32 v19, v9
	s_waitcnt lgkmcnt(1)
	v_pk_mul_f32 v[8:9], v[10:11], v[8:9] op_sel_hi:[1,0]
	v_pk_fma_f32 v[16:17], v[10:11], v[72:73], v[8:9] op_sel:[0,0,1] op_sel_hi:[1,1,0] neg_lo:[0,0,1] neg_hi:[0,0,1]
	v_pk_fma_f32 v[8:9], v[10:11], v[72:73], v[8:9] op_sel:[0,0,1] op_sel_hi:[1,0,0]
	s_waitcnt vmcnt(1)
	v_mov_b32_e32 v8, v179
	v_mov_b32_e32 v17, v9
	v_pk_mul_f32 v[8:9], v[12:13], v[8:9] op_sel_hi:[1,0]
	s_waitcnt vmcnt(0)
	v_pk_fma_f32 v[10:11], v[12:13], v[178:179], v[8:9] op_sel:[0,0,1] op_sel_hi:[1,1,0] neg_lo:[0,0,1] neg_hi:[0,0,1]
	v_pk_fma_f32 v[8:9], v[12:13], v[178:179], v[8:9] op_sel:[0,0,1] op_sel_hi:[1,0,0]
	v_pk_add_f32 v[6:7], v[6:7], v[18:19]
	v_mov_b32_e32 v8, v177
	v_pk_add_f32 v[6:7], v[6:7], v[16:17]
	v_mov_b32_e32 v11, v9
	s_waitcnt lgkmcnt(0)
	v_pk_mul_f32 v[8:9], v[14:15], v[8:9] op_sel_hi:[1,0]
	v_pk_add_f32 v[6:7], v[6:7], v[10:11]
	v_pk_fma_f32 v[10:11], v[14:15], v[176:177], v[8:9] op_sel:[0,0,1] op_sel_hi:[1,1,0] neg_lo:[0,0,1] neg_hi:[0,0,1]
	v_pk_fma_f32 v[8:9], v[14:15], v[176:177], v[8:9] op_sel:[0,0,1] op_sel_hi:[1,0,0]
	v_mov_b32_e32 v11, v9
	v_pk_add_f32 v[6:7], v[6:7], v[10:11]
	v_pk_add_f32 v[2:3], v[2:3], v[6:7] neg_lo:[0,1] neg_hi:[0,1]
	buffer_store_dword v3, off, s[0:3], 0 offset:116
	buffer_store_dword v2, off, s[0:3], 0 offset:112
	s_and_saveexec_b64 s[4:5], vcc
	s_cbranch_execz .LBB111_275
; %bb.274:
	buffer_load_dword v2, off, s[0:3], 0 offset:104
	buffer_load_dword v3, off, s[0:3], 0 offset:108
	v_accvgpr_read_b32 v1, a20
	buffer_store_dword v4, off, s[0:3], 0 offset:104
	buffer_store_dword v4, off, s[0:3], 0 offset:108
	s_waitcnt vmcnt(2)
	ds_write_b64 v1, v[2:3]
.LBB111_275:
	s_or_b64 exec, exec, s[4:5]
	s_waitcnt lgkmcnt(0)
	; wave barrier
	s_waitcnt lgkmcnt(0)
	buffer_load_dword v5, off, s[0:3], 0 offset:116
	buffer_load_dword v64, off, s[0:3], 0 offset:124
	;; [unrolled: 1-line block ×42, first 2 shown]
	ds_read_b128 v[6:9], v4 offset:496
	ds_read_b128 v[10:13], v4 offset:512
	buffer_load_dword v216, off, s[0:3], 0 offset:272
	buffer_load_dword v217, off, s[0:3], 0 offset:276
	ds_read_b128 v[14:17], v4 offset:528
	ds_read_b128 v[18:21], v4 offset:544
	buffer_load_dword v218, off, s[0:3], 0 offset:280
	buffer_load_dword v219, off, s[0:3], 0 offset:284
	;; [unrolled: 1-line block ×4, first 2 shown]
	ds_read_b128 v[22:25], v4 offset:560
	ds_read_b128 v[26:29], v4 offset:576
	buffer_load_dword v222, off, s[0:3], 0 offset:296
	buffer_load_dword v223, off, s[0:3], 0 offset:300
	;; [unrolled: 1-line block ×6, first 2 shown]
	v_cmp_lt_u32_e32 vcc, 12, v0
	s_waitcnt vmcnt(53) lgkmcnt(5)
	v_mul_f32_e32 v30, v6, v5
	s_waitcnt vmcnt(52)
	v_mul_f32_e32 v31, v8, v64
	s_waitcnt vmcnt(51) lgkmcnt(4)
	v_mul_f32_e32 v32, v10, v66
	s_waitcnt vmcnt(50)
	v_mul_f32_e32 v33, v12, v68
	;; [unrolled: 4-line block ×5, first 2 shown]
	s_waitcnt vmcnt(43)
	v_fmac_f32_e32 v30, v7, v186
	s_waitcnt vmcnt(42)
	v_fmac_f32_e32 v31, v9, v187
	v_add_f32_e32 v30, 0, v30
	s_waitcnt vmcnt(41)
	v_fmac_f32_e32 v32, v11, v188
	v_add_f32_e32 v30, v30, v31
	;; [unrolled: 3-line block ×9, first 2 shown]
	s_waitcnt vmcnt(33) lgkmcnt(0)
	v_mul_f32_e32 v31, v26, v196
	v_add_f32_e32 v30, v30, v39
	s_waitcnt vmcnt(32)
	v_fmac_f32_e32 v31, v27, v197
	v_add_f32_e32 v34, v30, v31
	ds_read_b128 v[30:33], v4 offset:592
	s_waitcnt vmcnt(31)
	v_mul_f32_e32 v35, v28, v198
	s_waitcnt vmcnt(30)
	v_fmac_f32_e32 v35, v29, v199
	v_add_f32_e32 v38, v34, v35
	ds_read_b128 v[34:37], v4 offset:608
	s_waitcnt vmcnt(29) lgkmcnt(1)
	v_mul_f32_e32 v39, v30, v200
	s_waitcnt vmcnt(28)
	v_fmac_f32_e32 v39, v31, v201
	v_add_f32_e32 v38, v38, v39
	s_waitcnt vmcnt(27)
	v_mul_f32_e32 v39, v32, v202
	s_waitcnt vmcnt(26)
	v_fmac_f32_e32 v39, v33, v203
	v_add_f32_e32 v38, v38, v39
	s_waitcnt vmcnt(25) lgkmcnt(0)
	v_mul_f32_e32 v39, v34, v204
	s_waitcnt vmcnt(24)
	v_fmac_f32_e32 v39, v35, v205
	v_add_f32_e32 v42, v38, v39
	ds_read_b128 v[38:41], v4 offset:624
	s_waitcnt vmcnt(23)
	v_mul_f32_e32 v43, v36, v206
	s_waitcnt vmcnt(22)
	v_fmac_f32_e32 v43, v37, v207
	v_add_f32_e32 v46, v42, v43
	ds_read_b128 v[42:45], v4 offset:640
	s_waitcnt vmcnt(21) lgkmcnt(1)
	v_mul_f32_e32 v47, v38, v208
	s_waitcnt vmcnt(20)
	v_fmac_f32_e32 v47, v39, v209
	v_add_f32_e32 v46, v46, v47
	s_waitcnt vmcnt(18)
	v_mul_f32_e32 v47, v40, v211
	v_fmac_f32_e32 v47, v41, v210
	v_add_f32_e32 v46, v46, v47
	s_waitcnt vmcnt(15) lgkmcnt(0)
	v_mul_f32_e32 v47, v42, v212
	s_waitcnt vmcnt(14)
	v_fmac_f32_e32 v47, v43, v213
	v_add_f32_e32 v50, v46, v47
	ds_read_b128 v[46:49], v4 offset:656
	s_waitcnt vmcnt(12)
	v_mul_f32_e32 v51, v44, v215
	v_fmac_f32_e32 v51, v45, v214
	v_add_f32_e32 v54, v50, v51
	ds_read_b128 v[50:53], v4 offset:672
	buffer_load_dword v63, off, s[0:3], 0 offset:324
	buffer_load_dword v62, off, s[0:3], 0 offset:320
	s_waitcnt vmcnt(12) lgkmcnt(1)
	v_mul_f32_e32 v55, v46, v217
	v_fmac_f32_e32 v55, v47, v216
	v_add_f32_e32 v54, v54, v55
	s_waitcnt vmcnt(10)
	v_mul_f32_e32 v55, v48, v219
	v_fmac_f32_e32 v55, v49, v218
	v_add_f32_e32 v54, v54, v55
	s_waitcnt vmcnt(8) lgkmcnt(0)
	v_mul_f32_e32 v55, v50, v221
	v_fmac_f32_e32 v55, v51, v220
	s_waitcnt vmcnt(6)
	v_mul_f32_e32 v59, v52, v223
	v_add_f32_e32 v58, v54, v55
	v_fmac_f32_e32 v59, v53, v222
	ds_read_b128 v[54:57], v4 offset:688
	v_add_f32_e32 v65, v58, v59
	ds_read_b128 v[58:61], v4 offset:704
	buffer_load_dword v71, off, s[0:3], 0 offset:356
	buffer_load_dword v70, off, s[0:3], 0 offset:352
	;; [unrolled: 1-line block ×14, first 2 shown]
	v_mul_f32_e32 v5, v7, v5
	v_fma_f32 v5, v6, v186, -v5
	v_mul_f32_e32 v6, v9, v64
	v_add_f32_e32 v5, 0, v5
	v_fma_f32 v6, v8, v187, -v6
	v_add_f32_e32 v5, v5, v6
	v_mul_f32_e32 v6, v11, v66
	v_fma_f32 v6, v10, v188, -v6
	v_add_f32_e32 v5, v5, v6
	v_mul_f32_e32 v6, v13, v68
	;; [unrolled: 3-line block ×22, first 2 shown]
	v_fma_f32 v6, v52, v222, -v6
	s_waitcnt vmcnt(15)
	v_mov_b32_e32 v18, v63
	s_waitcnt lgkmcnt(1)
	v_mul_f32_e32 v67, v54, v225
	v_add_f32_e32 v64, v5, v6
	v_mul_f32_e32 v5, v55, v225
	s_waitcnt lgkmcnt(0)
	v_pk_mul_f32 v[18:19], v[58:59], v[18:19] op_sel_hi:[1,0]
	v_fmac_f32_e32 v67, v55, v224
	v_mul_f32_e32 v69, v56, v227
	v_fma_f32 v66, v54, v224, -v5
	v_mul_f32_e32 v5, v57, v227
	s_waitcnt vmcnt(14)
	v_pk_fma_f32 v[20:21], v[58:59], v[62:63], v[18:19] op_sel:[0,0,1] op_sel_hi:[1,1,0] neg_lo:[0,0,1] neg_hi:[0,0,1]
	v_pk_fma_f32 v[18:19], v[58:59], v[62:63], v[18:19] op_sel:[0,0,1] op_sel_hi:[1,0,0]
	v_fmac_f32_e32 v69, v57, v226
	v_fma_f32 v68, v56, v226, -v5
	ds_read_b128 v[6:9], v4 offset:720
	ds_read_b128 v[10:13], v4 offset:736
	;; [unrolled: 1-line block ×3, first 2 shown]
	v_pk_add_f32 v[4:5], v[64:65], v[66:67]
	s_waitcnt vmcnt(7)
	v_mov_b32_e32 v18, v77
	v_pk_add_f32 v[4:5], v[4:5], v[68:69]
	v_mov_b32_e32 v21, v19
	v_pk_mul_f32 v[18:19], v[60:61], v[18:19] op_sel_hi:[1,0]
	v_pk_add_f32 v[4:5], v[4:5], v[20:21]
	s_waitcnt vmcnt(6)
	v_pk_fma_f32 v[20:21], v[60:61], v[76:77], v[18:19] op_sel:[0,0,1] op_sel_hi:[1,1,0] neg_lo:[0,0,1] neg_hi:[0,0,1]
	v_pk_fma_f32 v[18:19], v[60:61], v[76:77], v[18:19] op_sel:[0,0,1] op_sel_hi:[1,0,0]
	v_mov_b32_e32 v18, v75
	v_mov_b32_e32 v21, v19
	s_waitcnt lgkmcnt(2)
	v_pk_mul_f32 v[18:19], v[6:7], v[18:19] op_sel_hi:[1,0]
	v_pk_add_f32 v[4:5], v[4:5], v[20:21]
	v_pk_fma_f32 v[20:21], v[6:7], v[74:75], v[18:19] op_sel:[0,0,1] op_sel_hi:[1,1,0] neg_lo:[0,0,1] neg_hi:[0,0,1]
	v_pk_fma_f32 v[6:7], v[6:7], v[74:75], v[18:19] op_sel:[0,0,1] op_sel_hi:[1,0,0]
	v_mov_b32_e32 v6, v73
	v_mov_b32_e32 v21, v7
	v_pk_mul_f32 v[6:7], v[8:9], v[6:7] op_sel_hi:[1,0]
	v_pk_fma_f32 v[18:19], v[8:9], v[72:73], v[6:7] op_sel:[0,0,1] op_sel_hi:[1,1,0] neg_lo:[0,0,1] neg_hi:[0,0,1]
	v_pk_fma_f32 v[6:7], v[8:9], v[72:73], v[6:7] op_sel:[0,0,1] op_sel_hi:[1,0,0]
	v_mov_b32_e32 v6, v71
	v_mov_b32_e32 v19, v7
	s_waitcnt lgkmcnt(1)
	v_pk_mul_f32 v[6:7], v[10:11], v[6:7] op_sel_hi:[1,0]
	v_pk_fma_f32 v[8:9], v[10:11], v[70:71], v[6:7] op_sel:[0,0,1] op_sel_hi:[1,1,0] neg_lo:[0,0,1] neg_hi:[0,0,1]
	v_pk_fma_f32 v[6:7], v[10:11], v[70:71], v[6:7] op_sel:[0,0,1] op_sel_hi:[1,0,0]
	v_pk_add_f32 v[4:5], v[4:5], v[20:21]
	s_waitcnt vmcnt(1)
	v_mov_b32_e32 v6, v179
	v_pk_add_f32 v[4:5], v[4:5], v[18:19]
	v_mov_b32_e32 v9, v7
	v_pk_mul_f32 v[6:7], v[12:13], v[6:7] op_sel_hi:[1,0]
	v_pk_add_f32 v[4:5], v[4:5], v[8:9]
	s_waitcnt vmcnt(0)
	v_pk_fma_f32 v[8:9], v[12:13], v[178:179], v[6:7] op_sel:[0,0,1] op_sel_hi:[1,1,0] neg_lo:[0,0,1] neg_hi:[0,0,1]
	v_pk_fma_f32 v[6:7], v[12:13], v[178:179], v[6:7] op_sel:[0,0,1] op_sel_hi:[1,0,0]
	v_mov_b32_e32 v6, v177
	v_mov_b32_e32 v9, v7
	s_waitcnt lgkmcnt(0)
	v_pk_mul_f32 v[6:7], v[14:15], v[6:7] op_sel_hi:[1,0]
	v_pk_add_f32 v[4:5], v[4:5], v[8:9]
	v_pk_fma_f32 v[8:9], v[14:15], v[176:177], v[6:7] op_sel:[0,0,1] op_sel_hi:[1,1,0] neg_lo:[0,0,1] neg_hi:[0,0,1]
	v_pk_fma_f32 v[6:7], v[14:15], v[176:177], v[6:7] op_sel:[0,0,1] op_sel_hi:[1,0,0]
	v_mov_b32_e32 v6, v175
	v_mov_b32_e32 v9, v7
	v_pk_mul_f32 v[6:7], v[16:17], v[6:7] op_sel_hi:[1,0]
	v_pk_add_f32 v[4:5], v[4:5], v[8:9]
	v_pk_fma_f32 v[8:9], v[16:17], v[174:175], v[6:7] op_sel:[0,0,1] op_sel_hi:[1,1,0] neg_lo:[0,0,1] neg_hi:[0,0,1]
	v_pk_fma_f32 v[6:7], v[16:17], v[174:175], v[6:7] op_sel:[0,0,1] op_sel_hi:[1,0,0]
	v_mov_b32_e32 v9, v7
	v_pk_add_f32 v[4:5], v[4:5], v[8:9]
	v_pk_add_f32 v[2:3], v[2:3], v[4:5] neg_lo:[0,1] neg_hi:[0,1]
	buffer_store_dword v3, off, s[0:3], 0 offset:108
	buffer_store_dword v2, off, s[0:3], 0 offset:104
	s_and_saveexec_b64 s[4:5], vcc
	s_cbranch_execz .LBB111_277
; %bb.276:
	buffer_load_dword v2, off, s[0:3], 0 offset:96
	buffer_load_dword v3, off, s[0:3], 0 offset:100
	v_mov_b32_e32 v4, 0
	v_accvgpr_read_b32 v1, a20
	buffer_store_dword v4, off, s[0:3], 0 offset:96
	buffer_store_dword v4, off, s[0:3], 0 offset:100
	s_waitcnt vmcnt(2)
	ds_write_b64 v1, v[2:3]
.LBB111_277:
	s_or_b64 exec, exec, s[4:5]
	s_waitcnt lgkmcnt(0)
	; wave barrier
	s_waitcnt lgkmcnt(0)
	buffer_load_dword v5, off, s[0:3], 0 offset:108
	buffer_load_dword v62, off, s[0:3], 0 offset:116
	buffer_load_dword v64, off, s[0:3], 0 offset:124
	buffer_load_dword v66, off, s[0:3], 0 offset:132
	buffer_load_dword v180, off, s[0:3], 0 offset:140
	buffer_load_dword v181, off, s[0:3], 0 offset:148
	buffer_load_dword v182, off, s[0:3], 0 offset:156
	buffer_load_dword v183, off, s[0:3], 0 offset:164
	buffer_load_dword v184, off, s[0:3], 0 offset:172
	buffer_load_dword v185, off, s[0:3], 0 offset:104
	buffer_load_dword v186, off, s[0:3], 0 offset:112
	buffer_load_dword v187, off, s[0:3], 0 offset:120
	buffer_load_dword v188, off, s[0:3], 0 offset:128
	buffer_load_dword v189, off, s[0:3], 0 offset:136
	buffer_load_dword v190, off, s[0:3], 0 offset:144
	buffer_load_dword v191, off, s[0:3], 0 offset:152
	buffer_load_dword v192, off, s[0:3], 0 offset:160
	buffer_load_dword v193, off, s[0:3], 0 offset:168
	buffer_load_dword v194, off, s[0:3], 0 offset:180
	buffer_load_dword v195, off, s[0:3], 0 offset:176
	buffer_load_dword v196, off, s[0:3], 0 offset:188
	buffer_load_dword v197, off, s[0:3], 0 offset:184
	buffer_load_dword v198, off, s[0:3], 0 offset:196
	buffer_load_dword v199, off, s[0:3], 0 offset:192
	buffer_load_dword v200, off, s[0:3], 0 offset:204
	buffer_load_dword v201, off, s[0:3], 0 offset:200
	buffer_load_dword v202, off, s[0:3], 0 offset:212
	buffer_load_dword v203, off, s[0:3], 0 offset:208
	buffer_load_dword v204, off, s[0:3], 0 offset:220
	buffer_load_dword v205, off, s[0:3], 0 offset:216
	buffer_load_dword v206, off, s[0:3], 0 offset:224
	buffer_load_dword v207, off, s[0:3], 0 offset:228
	buffer_load_dword v2, off, s[0:3], 0 offset:96
	buffer_load_dword v3, off, s[0:3], 0 offset:100
	buffer_load_dword v208, off, s[0:3], 0 offset:232
	buffer_load_dword v209, off, s[0:3], 0 offset:236
	buffer_load_dword v210, off, s[0:3], 0 offset:240
	buffer_load_dword v211, off, s[0:3], 0 offset:244
	buffer_load_dword v212, off, s[0:3], 0 offset:248
	buffer_load_dword v213, off, s[0:3], 0 offset:252
	buffer_load_dword v214, off, s[0:3], 0 offset:256
	buffer_load_dword v215, off, s[0:3], 0 offset:260
	buffer_load_dword v216, off, s[0:3], 0 offset:264
	buffer_load_dword v217, off, s[0:3], 0 offset:268
	buffer_load_dword v218, off, s[0:3], 0 offset:272
	buffer_load_dword v219, off, s[0:3], 0 offset:276
	buffer_load_dword v220, off, s[0:3], 0 offset:280
	buffer_load_dword v221, off, s[0:3], 0 offset:284
	buffer_load_dword v222, off, s[0:3], 0 offset:288
	buffer_load_dword v223, off, s[0:3], 0 offset:292
	buffer_load_dword v224, off, s[0:3], 0 offset:296
	buffer_load_dword v225, off, s[0:3], 0 offset:300
	buffer_load_dword v226, off, s[0:3], 0 offset:304
	buffer_load_dword v227, off, s[0:3], 0 offset:308
	buffer_load_dword v228, off, s[0:3], 0 offset:312
	buffer_load_dword v229, off, s[0:3], 0 offset:316
	v_mov_b32_e32 v4, 0
	ds_read2_b64 v[6:9], v4 offset0:61 offset1:62
	ds_read2_b64 v[10:13], v4 offset0:63 offset1:64
	ds_read2_b64 v[14:17], v4 offset0:65 offset1:66
	ds_read2_b64 v[18:21], v4 offset0:67 offset1:68
	ds_read2_b64 v[22:25], v4 offset0:69 offset1:70
	ds_read2_b64 v[26:29], v4 offset0:71 offset1:72
	v_cmp_lt_u32_e32 vcc, 11, v0
	s_waitcnt vmcnt(55) lgkmcnt(5)
	v_mul_f32_e32 v30, v6, v5
	s_waitcnt vmcnt(54)
	v_mul_f32_e32 v31, v8, v62
	s_waitcnt vmcnt(53) lgkmcnt(4)
	v_mul_f32_e32 v32, v10, v64
	s_waitcnt vmcnt(52)
	v_mul_f32_e32 v33, v12, v66
	;; [unrolled: 4-line block ×4, first 2 shown]
	s_waitcnt vmcnt(47) lgkmcnt(1)
	v_mul_f32_e32 v38, v22, v184
	s_waitcnt vmcnt(46)
	v_fmac_f32_e32 v30, v7, v185
	s_waitcnt vmcnt(45)
	v_fmac_f32_e32 v31, v9, v186
	v_add_f32_e32 v30, 0, v30
	s_waitcnt vmcnt(44)
	v_fmac_f32_e32 v32, v11, v187
	v_add_f32_e32 v30, v30, v31
	;; [unrolled: 3-line block ×7, first 2 shown]
	v_add_f32_e32 v30, v30, v37
	s_waitcnt vmcnt(38)
	v_fmac_f32_e32 v38, v23, v193
	s_waitcnt vmcnt(37)
	v_mul_f32_e32 v31, v24, v194
	v_add_f32_e32 v30, v30, v38
	s_waitcnt vmcnt(36)
	v_fmac_f32_e32 v31, v25, v195
	v_add_f32_e32 v30, v30, v31
	s_waitcnt vmcnt(35) lgkmcnt(0)
	v_mul_f32_e32 v31, v26, v196
	s_waitcnt vmcnt(34)
	v_fmac_f32_e32 v31, v27, v197
	v_add_f32_e32 v34, v30, v31
	ds_read2_b64 v[30:33], v4 offset0:73 offset1:74
	s_waitcnt vmcnt(33)
	v_mul_f32_e32 v35, v28, v198
	s_waitcnt vmcnt(32)
	v_fmac_f32_e32 v35, v29, v199
	v_add_f32_e32 v38, v34, v35
	ds_read2_b64 v[34:37], v4 offset0:75 offset1:76
	s_waitcnt vmcnt(31) lgkmcnt(1)
	v_mul_f32_e32 v39, v30, v200
	s_waitcnt vmcnt(30)
	v_fmac_f32_e32 v39, v31, v201
	v_add_f32_e32 v38, v38, v39
	s_waitcnt vmcnt(29)
	v_mul_f32_e32 v39, v32, v202
	s_waitcnt vmcnt(28)
	v_fmac_f32_e32 v39, v33, v203
	v_add_f32_e32 v38, v38, v39
	s_waitcnt vmcnt(27) lgkmcnt(0)
	v_mul_f32_e32 v39, v34, v204
	s_waitcnt vmcnt(26)
	v_fmac_f32_e32 v39, v35, v205
	v_add_f32_e32 v42, v38, v39
	ds_read2_b64 v[38:41], v4 offset0:77 offset1:78
	s_waitcnt vmcnt(24)
	v_mul_f32_e32 v43, v36, v207
	v_fmac_f32_e32 v43, v37, v206
	v_add_f32_e32 v46, v42, v43
	ds_read2_b64 v[42:45], v4 offset0:79 offset1:80
	s_waitcnt vmcnt(20) lgkmcnt(1)
	v_mul_f32_e32 v47, v38, v209
	v_fmac_f32_e32 v47, v39, v208
	v_add_f32_e32 v46, v46, v47
	s_waitcnt vmcnt(18)
	v_mul_f32_e32 v47, v40, v211
	v_fmac_f32_e32 v47, v41, v210
	v_add_f32_e32 v46, v46, v47
	s_waitcnt vmcnt(16) lgkmcnt(0)
	v_mul_f32_e32 v47, v42, v213
	v_fmac_f32_e32 v47, v43, v212
	v_add_f32_e32 v50, v46, v47
	ds_read2_b64 v[46:49], v4 offset0:81 offset1:82
	s_waitcnt vmcnt(14)
	v_mul_f32_e32 v51, v44, v215
	v_fmac_f32_e32 v51, v45, v214
	v_add_f32_e32 v54, v50, v51
	ds_read2_b64 v[50:53], v4 offset0:83 offset1:84
	s_waitcnt vmcnt(12) lgkmcnt(1)
	v_mul_f32_e32 v55, v46, v217
	v_fmac_f32_e32 v55, v47, v216
	v_add_f32_e32 v54, v54, v55
	s_waitcnt vmcnt(10)
	v_mul_f32_e32 v55, v48, v219
	v_fmac_f32_e32 v55, v49, v218
	v_add_f32_e32 v54, v54, v55
	s_waitcnt vmcnt(8) lgkmcnt(0)
	v_mul_f32_e32 v55, v50, v221
	v_fmac_f32_e32 v55, v51, v220
	s_waitcnt vmcnt(6)
	v_mul_f32_e32 v59, v52, v223
	v_add_f32_e32 v58, v54, v55
	v_fmac_f32_e32 v59, v53, v222
	ds_read2_b64 v[54:57], v4 offset0:85 offset1:86
	v_add_f32_e32 v63, v58, v59
	ds_read2_b64 v[58:61], v4 offset0:87 offset1:88
	buffer_load_dword v69, off, s[0:3], 0 offset:348
	buffer_load_dword v68, off, s[0:3], 0 offset:344
	;; [unrolled: 1-line block ×16, first 2 shown]
	v_mul_f32_e32 v5, v7, v5
	v_fma_f32 v5, v6, v185, -v5
	v_mul_f32_e32 v6, v9, v62
	v_add_f32_e32 v5, 0, v5
	v_fma_f32 v6, v8, v186, -v6
	v_add_f32_e32 v5, v5, v6
	v_mul_f32_e32 v6, v11, v64
	v_fma_f32 v6, v10, v187, -v6
	v_add_f32_e32 v5, v5, v6
	v_mul_f32_e32 v6, v13, v66
	;; [unrolled: 3-line block ×22, first 2 shown]
	v_fma_f32 v6, v52, v222, -v6
	s_waitcnt vmcnt(20) lgkmcnt(1)
	v_mul_f32_e32 v65, v54, v225
	v_add_f32_e32 v5, v5, v6
	v_mul_f32_e32 v6, v55, v225
	v_fmac_f32_e32 v65, v55, v224
	v_fma_f32 v6, v54, v224, -v6
	s_waitcnt vmcnt(9)
	v_mov_b32_e32 v22, v75
	v_add_f32_e32 v63, v63, v65
	v_mul_f32_e32 v65, v56, v227
	v_add_f32_e32 v62, v5, v6
	v_mul_f32_e32 v5, v57, v227
	s_waitcnt lgkmcnt(0)
	v_pk_mul_f32 v[22:23], v[60:61], v[22:23] op_sel_hi:[1,0]
	v_fmac_f32_e32 v65, v57, v226
	v_mul_f32_e32 v67, v58, v229
	v_fma_f32 v64, v56, v226, -v5
	v_mul_f32_e32 v5, v59, v229
	ds_read2_b64 v[6:9], v4 offset0:89 offset1:90
	ds_read2_b64 v[10:13], v4 offset0:91 offset1:92
	;; [unrolled: 1-line block ×3, first 2 shown]
	ds_read_b64 v[18:19], v4 offset:760
	s_waitcnt vmcnt(8)
	v_pk_fma_f32 v[24:25], v[60:61], v[74:75], v[22:23] op_sel:[0,0,1] op_sel_hi:[1,1,0] neg_lo:[0,0,1] neg_hi:[0,0,1]
	v_pk_fma_f32 v[22:23], v[60:61], v[74:75], v[22:23] op_sel:[0,0,1] op_sel_hi:[1,0,0]
	v_fmac_f32_e32 v67, v59, v228
	v_fma_f32 v66, v58, v228, -v5
	v_pk_add_f32 v[20:21], v[62:63], v[64:65]
	v_mov_b32_e32 v22, v73
	v_pk_add_f32 v[20:21], v[20:21], v[66:67]
	v_mov_b32_e32 v25, v23
	s_waitcnt lgkmcnt(3)
	v_pk_mul_f32 v[22:23], v[6:7], v[22:23] op_sel_hi:[1,0]
	v_pk_add_f32 v[20:21], v[20:21], v[24:25]
	v_pk_fma_f32 v[24:25], v[6:7], v[72:73], v[22:23] op_sel:[0,0,1] op_sel_hi:[1,1,0] neg_lo:[0,0,1] neg_hi:[0,0,1]
	v_pk_fma_f32 v[6:7], v[6:7], v[72:73], v[22:23] op_sel:[0,0,1] op_sel_hi:[1,0,0]
	v_mov_b32_e32 v25, v7
	v_pk_add_f32 v[6:7], v[20:21], v[24:25]
	v_mov_b32_e32 v20, v71
	v_pk_mul_f32 v[20:21], v[8:9], v[20:21] op_sel_hi:[1,0]
	v_pk_fma_f32 v[22:23], v[8:9], v[70:71], v[20:21] op_sel:[0,0,1] op_sel_hi:[1,1,0] neg_lo:[0,0,1] neg_hi:[0,0,1]
	v_pk_fma_f32 v[8:9], v[8:9], v[70:71], v[20:21] op_sel:[0,0,1] op_sel_hi:[1,0,0]
	v_mov_b32_e32 v8, v69
	v_mov_b32_e32 v23, v9
	s_waitcnt lgkmcnt(2)
	v_pk_mul_f32 v[8:9], v[10:11], v[8:9] op_sel_hi:[1,0]
	v_pk_fma_f32 v[20:21], v[10:11], v[68:69], v[8:9] op_sel:[0,0,1] op_sel_hi:[1,1,0] neg_lo:[0,0,1] neg_hi:[0,0,1]
	v_pk_fma_f32 v[8:9], v[10:11], v[68:69], v[8:9] op_sel:[0,0,1] op_sel_hi:[1,0,0]
	s_waitcnt vmcnt(1)
	v_mov_b32_e32 v8, v179
	v_mov_b32_e32 v21, v9
	v_pk_mul_f32 v[8:9], v[12:13], v[8:9] op_sel_hi:[1,0]
	s_waitcnt vmcnt(0)
	v_pk_fma_f32 v[10:11], v[12:13], v[178:179], v[8:9] op_sel:[0,0,1] op_sel_hi:[1,1,0] neg_lo:[0,0,1] neg_hi:[0,0,1]
	v_pk_fma_f32 v[8:9], v[12:13], v[178:179], v[8:9] op_sel:[0,0,1] op_sel_hi:[1,0,0]
	v_pk_add_f32 v[6:7], v[6:7], v[22:23]
	v_mov_b32_e32 v8, v177
	v_pk_add_f32 v[6:7], v[6:7], v[20:21]
	v_mov_b32_e32 v11, v9
	s_waitcnt lgkmcnt(1)
	v_pk_mul_f32 v[8:9], v[14:15], v[8:9] op_sel_hi:[1,0]
	v_pk_add_f32 v[6:7], v[6:7], v[10:11]
	v_pk_fma_f32 v[10:11], v[14:15], v[176:177], v[8:9] op_sel:[0,0,1] op_sel_hi:[1,1,0] neg_lo:[0,0,1] neg_hi:[0,0,1]
	v_pk_fma_f32 v[8:9], v[14:15], v[176:177], v[8:9] op_sel:[0,0,1] op_sel_hi:[1,0,0]
	v_mov_b32_e32 v8, v175
	v_mov_b32_e32 v11, v9
	v_pk_mul_f32 v[8:9], v[16:17], v[8:9] op_sel_hi:[1,0]
	v_pk_add_f32 v[6:7], v[6:7], v[10:11]
	v_pk_fma_f32 v[10:11], v[16:17], v[174:175], v[8:9] op_sel:[0,0,1] op_sel_hi:[1,1,0] neg_lo:[0,0,1] neg_hi:[0,0,1]
	v_pk_fma_f32 v[8:9], v[16:17], v[174:175], v[8:9] op_sel:[0,0,1] op_sel_hi:[1,0,0]
	v_mov_b32_e32 v8, v77
	v_mov_b32_e32 v11, v9
	s_waitcnt lgkmcnt(0)
	v_pk_mul_f32 v[8:9], v[18:19], v[8:9] op_sel_hi:[1,0]
	v_pk_add_f32 v[6:7], v[6:7], v[10:11]
	v_pk_fma_f32 v[10:11], v[18:19], v[76:77], v[8:9] op_sel:[0,0,1] op_sel_hi:[1,1,0] neg_lo:[0,0,1] neg_hi:[0,0,1]
	v_pk_fma_f32 v[8:9], v[18:19], v[76:77], v[8:9] op_sel:[0,0,1] op_sel_hi:[1,0,0]
	v_mov_b32_e32 v11, v9
	v_pk_add_f32 v[6:7], v[6:7], v[10:11]
	v_pk_add_f32 v[2:3], v[2:3], v[6:7] neg_lo:[0,1] neg_hi:[0,1]
	buffer_store_dword v3, off, s[0:3], 0 offset:100
	buffer_store_dword v2, off, s[0:3], 0 offset:96
	s_and_saveexec_b64 s[4:5], vcc
	s_cbranch_execz .LBB111_279
; %bb.278:
	buffer_load_dword v2, off, s[0:3], 0 offset:88
	buffer_load_dword v3, off, s[0:3], 0 offset:92
	v_accvgpr_read_b32 v1, a20
	buffer_store_dword v4, off, s[0:3], 0 offset:88
	buffer_store_dword v4, off, s[0:3], 0 offset:92
	s_waitcnt vmcnt(2)
	ds_write_b64 v1, v[2:3]
.LBB111_279:
	s_or_b64 exec, exec, s[4:5]
	s_waitcnt lgkmcnt(0)
	; wave barrier
	s_waitcnt lgkmcnt(0)
	buffer_load_dword v5, off, s[0:3], 0 offset:100
	buffer_load_dword v62, off, s[0:3], 0 offset:108
	;; [unrolled: 1-line block ×36, first 2 shown]
	ds_read_b128 v[6:9], v4 offset:480
	ds_read_b128 v[10:13], v4 offset:496
	buffer_load_dword v210, off, s[0:3], 0 offset:232
	buffer_load_dword v211, off, s[0:3], 0 offset:236
	;; [unrolled: 1-line block ×4, first 2 shown]
	ds_read_b128 v[14:17], v4 offset:512
	ds_read_b128 v[18:21], v4 offset:528
	buffer_load_dword v214, off, s[0:3], 0 offset:248
	buffer_load_dword v215, off, s[0:3], 0 offset:252
	ds_read_b128 v[22:25], v4 offset:544
	ds_read_b128 v[26:29], v4 offset:560
	buffer_load_dword v216, off, s[0:3], 0 offset:256
	buffer_load_dword v217, off, s[0:3], 0 offset:260
	;; [unrolled: 1-line block ×16, first 2 shown]
	v_cmp_lt_u32_e32 vcc, 10, v0
	s_waitcnt vmcnt(57) lgkmcnt(5)
	v_mul_f32_e32 v30, v6, v5
	s_waitcnt vmcnt(56)
	v_mul_f32_e32 v31, v8, v62
	s_waitcnt vmcnt(55) lgkmcnt(4)
	v_mul_f32_e32 v32, v10, v64
	s_waitcnt vmcnt(54)
	v_mul_f32_e32 v33, v12, v72
	;; [unrolled: 4-line block ×4, first 2 shown]
	s_waitcnt vmcnt(49)
	v_fmac_f32_e32 v30, v7, v184
	s_waitcnt vmcnt(48)
	v_fmac_f32_e32 v31, v9, v185
	v_add_f32_e32 v30, 0, v30
	s_waitcnt vmcnt(47)
	v_fmac_f32_e32 v32, v11, v186
	v_add_f32_e32 v30, v30, v31
	;; [unrolled: 3-line block ×7, first 2 shown]
	s_waitcnt vmcnt(41) lgkmcnt(1)
	v_mul_f32_e32 v31, v22, v192
	v_add_f32_e32 v30, v30, v37
	s_waitcnt vmcnt(40)
	v_fmac_f32_e32 v31, v23, v193
	v_add_f32_e32 v30, v30, v31
	s_waitcnt vmcnt(39)
	v_mul_f32_e32 v31, v24, v194
	s_waitcnt vmcnt(38)
	v_fmac_f32_e32 v31, v25, v195
	v_add_f32_e32 v30, v30, v31
	s_waitcnt vmcnt(37) lgkmcnt(0)
	v_mul_f32_e32 v31, v26, v196
	s_waitcnt vmcnt(36)
	v_fmac_f32_e32 v31, v27, v197
	v_add_f32_e32 v34, v30, v31
	ds_read_b128 v[30:33], v4 offset:576
	s_waitcnt vmcnt(35)
	v_mul_f32_e32 v35, v28, v198
	s_waitcnt vmcnt(34)
	v_fmac_f32_e32 v35, v29, v199
	v_add_f32_e32 v38, v34, v35
	ds_read_b128 v[34:37], v4 offset:592
	s_waitcnt vmcnt(33) lgkmcnt(1)
	v_mul_f32_e32 v39, v30, v200
	s_waitcnt vmcnt(32)
	v_fmac_f32_e32 v39, v31, v201
	v_add_f32_e32 v38, v38, v39
	s_waitcnt vmcnt(31)
	v_mul_f32_e32 v39, v32, v202
	s_waitcnt vmcnt(30)
	v_fmac_f32_e32 v39, v33, v203
	v_add_f32_e32 v38, v38, v39
	s_waitcnt vmcnt(29) lgkmcnt(0)
	v_mul_f32_e32 v39, v34, v204
	s_waitcnt vmcnt(28)
	v_fmac_f32_e32 v39, v35, v205
	v_add_f32_e32 v42, v38, v39
	ds_read_b128 v[38:41], v4 offset:608
	s_waitcnt vmcnt(25)
	v_mul_f32_e32 v43, v36, v206
	s_waitcnt vmcnt(24)
	v_fmac_f32_e32 v43, v37, v207
	v_add_f32_e32 v46, v42, v43
	ds_read_b128 v[42:45], v4 offset:624
	s_waitcnt vmcnt(22) lgkmcnt(1)
	v_mul_f32_e32 v47, v38, v209
	v_fmac_f32_e32 v47, v39, v208
	v_add_f32_e32 v46, v46, v47
	s_waitcnt vmcnt(20)
	v_mul_f32_e32 v47, v40, v211
	v_fmac_f32_e32 v47, v41, v210
	v_add_f32_e32 v46, v46, v47
	s_waitcnt vmcnt(18) lgkmcnt(0)
	v_mul_f32_e32 v47, v42, v213
	v_fmac_f32_e32 v47, v43, v212
	v_add_f32_e32 v50, v46, v47
	ds_read_b128 v[46:49], v4 offset:640
	s_waitcnt vmcnt(16)
	v_mul_f32_e32 v51, v44, v215
	v_fmac_f32_e32 v51, v45, v214
	v_add_f32_e32 v54, v50, v51
	ds_read_b128 v[50:53], v4 offset:656
	s_waitcnt vmcnt(14) lgkmcnt(1)
	v_mul_f32_e32 v55, v46, v217
	v_fmac_f32_e32 v55, v47, v216
	v_add_f32_e32 v54, v54, v55
	s_waitcnt vmcnt(12)
	v_mul_f32_e32 v55, v48, v219
	v_fmac_f32_e32 v55, v49, v218
	v_add_f32_e32 v54, v54, v55
	s_waitcnt vmcnt(10) lgkmcnt(0)
	v_mul_f32_e32 v55, v50, v221
	v_fmac_f32_e32 v55, v51, v220
	s_waitcnt vmcnt(8)
	v_mul_f32_e32 v59, v52, v223
	v_add_f32_e32 v58, v54, v55
	v_fmac_f32_e32 v59, v53, v222
	ds_read_b128 v[54:57], v4 offset:672
	v_add_f32_e32 v63, v58, v59
	ds_read_b128 v[58:61], v4 offset:688
	buffer_load_dword v67, off, s[0:3], 0 offset:340
	buffer_load_dword v66, off, s[0:3], 0 offset:336
	;; [unrolled: 1-line block ×16, first 2 shown]
	v_mul_f32_e32 v5, v7, v5
	v_fma_f32 v5, v6, v184, -v5
	v_mul_f32_e32 v6, v9, v62
	v_add_f32_e32 v5, 0, v5
	v_fma_f32 v6, v8, v185, -v6
	v_add_f32_e32 v5, v5, v6
	v_mul_f32_e32 v6, v11, v64
	v_fma_f32 v6, v10, v186, -v6
	v_add_f32_e32 v5, v5, v6
	v_mul_f32_e32 v6, v13, v72
	;; [unrolled: 3-line block ×22, first 2 shown]
	v_fma_f32 v6, v52, v222, -v6
	v_add_f32_e32 v5, v5, v6
	s_waitcnt vmcnt(22) lgkmcnt(1)
	v_mul_f32_e32 v6, v55, v225
	v_fma_f32 v6, v54, v224, -v6
	v_add_f32_e32 v5, v5, v6
	s_waitcnt vmcnt(20)
	v_mul_f32_e32 v6, v57, v227
	v_fma_f32 v6, v56, v226, -v6
	v_add_f32_e32 v62, v5, v6
	ds_read_b128 v[6:9], v4 offset:704
	ds_read_b128 v[10:13], v4 offset:720
	;; [unrolled: 1-line block ×4, first 2 shown]
	s_waitcnt vmcnt(11)
	v_mov_b32_e32 v22, v71
	v_mul_f32_e32 v65, v54, v225
	s_waitcnt lgkmcnt(3)
	v_pk_mul_f32 v[22:23], v[6:7], v[22:23] op_sel_hi:[1,0]
	v_fmac_f32_e32 v65, v55, v224
	s_waitcnt vmcnt(10)
	v_pk_fma_f32 v[24:25], v[6:7], v[70:71], v[22:23] op_sel:[0,0,1] op_sel_hi:[1,1,0] neg_lo:[0,0,1] neg_hi:[0,0,1]
	v_pk_fma_f32 v[6:7], v[6:7], v[70:71], v[22:23] op_sel:[0,0,1] op_sel_hi:[1,0,0]
	v_add_f32_e32 v63, v63, v65
	v_mul_f32_e32 v65, v56, v227
	v_mov_b32_e32 v6, v69
	v_fmac_f32_e32 v65, v57, v226
	v_mov_b32_e32 v25, v7
	v_pk_mul_f32 v[6:7], v[8:9], v[6:7] op_sel_hi:[1,0]
	v_add_f32_e32 v63, v63, v65
	v_mul_f32_e32 v65, v58, v229
	v_mul_f32_e32 v5, v59, v229
	v_pk_fma_f32 v[22:23], v[8:9], v[68:69], v[6:7] op_sel:[0,0,1] op_sel_hi:[1,1,0] neg_lo:[0,0,1] neg_hi:[0,0,1]
	v_pk_fma_f32 v[6:7], v[8:9], v[68:69], v[6:7] op_sel:[0,0,1] op_sel_hi:[1,0,0]
	v_fmac_f32_e32 v65, v59, v228
	v_mul_f32_e32 v73, v60, v231
	v_fma_f32 v64, v58, v228, -v5
	v_mul_f32_e32 v5, v61, v231
	v_mov_b32_e32 v6, v67
	v_fmac_f32_e32 v73, v61, v230
	v_fma_f32 v72, v60, v230, -v5
	v_pk_add_f32 v[4:5], v[62:63], v[64:65]
	v_mov_b32_e32 v23, v7
	s_waitcnt lgkmcnt(2)
	v_pk_mul_f32 v[6:7], v[10:11], v[6:7] op_sel_hi:[1,0]
	v_pk_add_f32 v[4:5], v[4:5], v[72:73]
	v_pk_fma_f32 v[8:9], v[10:11], v[66:67], v[6:7] op_sel:[0,0,1] op_sel_hi:[1,1,0] neg_lo:[0,0,1] neg_hi:[0,0,1]
	v_pk_fma_f32 v[6:7], v[10:11], v[66:67], v[6:7] op_sel:[0,0,1] op_sel_hi:[1,0,0]
	v_pk_add_f32 v[4:5], v[4:5], v[24:25]
	s_waitcnt vmcnt(3)
	v_mov_b32_e32 v6, v177
	v_pk_add_f32 v[4:5], v[4:5], v[22:23]
	v_mov_b32_e32 v9, v7
	v_pk_mul_f32 v[6:7], v[12:13], v[6:7] op_sel_hi:[1,0]
	v_pk_add_f32 v[4:5], v[4:5], v[8:9]
	s_waitcnt vmcnt(2)
	v_pk_fma_f32 v[8:9], v[12:13], v[176:177], v[6:7] op_sel:[0,0,1] op_sel_hi:[1,1,0] neg_lo:[0,0,1] neg_hi:[0,0,1]
	v_pk_fma_f32 v[6:7], v[12:13], v[176:177], v[6:7] op_sel:[0,0,1] op_sel_hi:[1,0,0]
	v_mov_b32_e32 v6, v175
	v_mov_b32_e32 v9, v7
	s_waitcnt lgkmcnt(1)
	v_pk_mul_f32 v[6:7], v[14:15], v[6:7] op_sel_hi:[1,0]
	v_pk_add_f32 v[4:5], v[4:5], v[8:9]
	v_pk_fma_f32 v[8:9], v[14:15], v[174:175], v[6:7] op_sel:[0,0,1] op_sel_hi:[1,1,0] neg_lo:[0,0,1] neg_hi:[0,0,1]
	v_pk_fma_f32 v[6:7], v[14:15], v[174:175], v[6:7] op_sel:[0,0,1] op_sel_hi:[1,0,0]
	v_mov_b32_e32 v6, v77
	v_mov_b32_e32 v9, v7
	v_pk_mul_f32 v[6:7], v[16:17], v[6:7] op_sel_hi:[1,0]
	v_pk_add_f32 v[4:5], v[4:5], v[8:9]
	v_pk_fma_f32 v[8:9], v[16:17], v[76:77], v[6:7] op_sel:[0,0,1] op_sel_hi:[1,1,0] neg_lo:[0,0,1] neg_hi:[0,0,1]
	v_pk_fma_f32 v[6:7], v[16:17], v[76:77], v[6:7] op_sel:[0,0,1] op_sel_hi:[1,0,0]
	v_mov_b32_e32 v6, v75
	v_mov_b32_e32 v9, v7
	s_waitcnt lgkmcnt(0)
	v_pk_mul_f32 v[6:7], v[18:19], v[6:7] op_sel_hi:[1,0]
	v_pk_add_f32 v[4:5], v[4:5], v[8:9]
	v_pk_fma_f32 v[8:9], v[18:19], v[74:75], v[6:7] op_sel:[0,0,1] op_sel_hi:[1,1,0] neg_lo:[0,0,1] neg_hi:[0,0,1]
	v_pk_fma_f32 v[6:7], v[18:19], v[74:75], v[6:7] op_sel:[0,0,1] op_sel_hi:[1,0,0]
	s_waitcnt vmcnt(1)
	v_mov_b32_e32 v6, v179
	v_mov_b32_e32 v9, v7
	v_pk_mul_f32 v[6:7], v[20:21], v[6:7] op_sel_hi:[1,0]
	v_pk_add_f32 v[4:5], v[4:5], v[8:9]
	s_waitcnt vmcnt(0)
	v_pk_fma_f32 v[8:9], v[20:21], v[178:179], v[6:7] op_sel:[0,0,1] op_sel_hi:[1,1,0] neg_lo:[0,0,1] neg_hi:[0,0,1]
	v_pk_fma_f32 v[6:7], v[20:21], v[178:179], v[6:7] op_sel:[0,0,1] op_sel_hi:[1,0,0]
	v_mov_b32_e32 v9, v7
	v_pk_add_f32 v[4:5], v[4:5], v[8:9]
	v_pk_add_f32 v[2:3], v[2:3], v[4:5] neg_lo:[0,1] neg_hi:[0,1]
	buffer_store_dword v3, off, s[0:3], 0 offset:92
	buffer_store_dword v2, off, s[0:3], 0 offset:88
	s_and_saveexec_b64 s[4:5], vcc
	s_cbranch_execz .LBB111_281
; %bb.280:
	buffer_load_dword v2, off, s[0:3], 0 offset:80
	buffer_load_dword v3, off, s[0:3], 0 offset:84
	v_mov_b32_e32 v4, 0
	v_accvgpr_read_b32 v1, a20
	buffer_store_dword v4, off, s[0:3], 0 offset:80
	buffer_store_dword v4, off, s[0:3], 0 offset:84
	s_waitcnt vmcnt(2)
	ds_write_b64 v1, v[2:3]
.LBB111_281:
	s_or_b64 exec, exec, s[4:5]
	s_waitcnt lgkmcnt(0)
	; wave barrier
	s_waitcnt lgkmcnt(0)
	buffer_load_dword v17, off, s[0:3], 0 offset:92
	buffer_load_dword v70, off, s[0:3], 0 offset:100
	;; [unrolled: 1-line block ×56, first 2 shown]
	v_mov_b32_e32 v16, 0
	ds_read2_b64 v[2:5], v16 offset0:59 offset1:60
	buffer_load_dword v238, off, s[0:3], 0 offset:304
	buffer_load_dword v239, off, s[0:3], 0 offset:308
	;; [unrolled: 1-line block ×4, first 2 shown]
	ds_read2_b64 v[8:11], v16 offset0:61 offset1:62
	ds_read2_b64 v[12:15], v16 offset0:63 offset1:64
	;; [unrolled: 1-line block ×3, first 2 shown]
	v_cmp_lt_u32_e32 vcc, 9, v0
	s_waitcnt vmcnt(59) lgkmcnt(3)
	v_mul_f32_e32 v22, v2, v17
	s_waitcnt vmcnt(58)
	v_mul_f32_e32 v23, v4, v70
	s_waitcnt vmcnt(57) lgkmcnt(2)
	v_mul_f32_e32 v24, v8, v76
	s_waitcnt vmcnt(56)
	v_mul_f32_e32 v25, v10, v174
	;; [unrolled: 4-line block ×3, first 2 shown]
	s_waitcnt vmcnt(53) lgkmcnt(0)
	v_mul_f32_e32 v28, v18, v190
	s_waitcnt vmcnt(52)
	v_fmac_f32_e32 v22, v3, v191
	s_waitcnt vmcnt(51)
	v_fmac_f32_e32 v23, v5, v192
	v_add_f32_e32 v22, 0, v22
	s_waitcnt vmcnt(50)
	v_fmac_f32_e32 v24, v9, v193
	v_add_f32_e32 v22, v22, v23
	s_waitcnt vmcnt(49)
	v_fmac_f32_e32 v25, v11, v194
	v_add_f32_e32 v22, v22, v24
	s_waitcnt vmcnt(48)
	v_fmac_f32_e32 v26, v13, v195
	v_add_f32_e32 v22, v22, v25
	s_waitcnt vmcnt(47)
	v_fmac_f32_e32 v27, v15, v196
	v_add_f32_e32 v22, v22, v26
	s_waitcnt vmcnt(46)
	v_fmac_f32_e32 v28, v19, v197
	v_add_f32_e32 v22, v22, v27
	v_add_f32_e32 v26, v22, v28
	ds_read2_b64 v[22:25], v16 offset0:67 offset1:68
	s_waitcnt vmcnt(45)
	v_mul_f32_e32 v27, v20, v198
	s_waitcnt vmcnt(44)
	v_fmac_f32_e32 v27, v21, v199
	v_add_f32_e32 v30, v26, v27
	ds_read2_b64 v[26:29], v16 offset0:69 offset1:70
	s_waitcnt vmcnt(43) lgkmcnt(1)
	v_mul_f32_e32 v31, v22, v200
	s_waitcnt vmcnt(42)
	v_fmac_f32_e32 v31, v23, v201
	v_add_f32_e32 v30, v30, v31
	s_waitcnt vmcnt(41)
	v_mul_f32_e32 v31, v24, v202
	s_waitcnt vmcnt(40)
	v_fmac_f32_e32 v31, v25, v203
	v_add_f32_e32 v30, v30, v31
	s_waitcnt vmcnt(39) lgkmcnt(0)
	v_mul_f32_e32 v31, v26, v204
	s_waitcnt vmcnt(38)
	v_fmac_f32_e32 v31, v27, v205
	v_add_f32_e32 v34, v30, v31
	ds_read2_b64 v[30:33], v16 offset0:71 offset1:72
	s_waitcnt vmcnt(37)
	v_mul_f32_e32 v35, v28, v206
	s_waitcnt vmcnt(36)
	v_fmac_f32_e32 v35, v29, v207
	v_add_f32_e32 v38, v34, v35
	ds_read2_b64 v[34:37], v16 offset0:73 offset1:74
	s_waitcnt vmcnt(34) lgkmcnt(1)
	v_mul_f32_e32 v39, v30, v209
	v_fmac_f32_e32 v39, v31, v208
	v_add_f32_e32 v38, v38, v39
	s_waitcnt vmcnt(31)
	v_mul_f32_e32 v39, v32, v210
	s_waitcnt vmcnt(30)
	v_fmac_f32_e32 v39, v33, v211
	v_add_f32_e32 v38, v38, v39
	s_waitcnt vmcnt(28) lgkmcnt(0)
	v_mul_f32_e32 v39, v34, v213
	v_fmac_f32_e32 v39, v35, v212
	v_add_f32_e32 v42, v38, v39
	ds_read2_b64 v[38:41], v16 offset0:75 offset1:76
	s_waitcnt vmcnt(26)
	v_mul_f32_e32 v43, v36, v215
	v_fmac_f32_e32 v43, v37, v214
	v_add_f32_e32 v46, v42, v43
	ds_read2_b64 v[42:45], v16 offset0:77 offset1:78
	s_waitcnt vmcnt(24) lgkmcnt(1)
	v_mul_f32_e32 v47, v38, v217
	v_fmac_f32_e32 v47, v39, v216
	v_add_f32_e32 v46, v46, v47
	s_waitcnt vmcnt(22)
	v_mul_f32_e32 v47, v40, v219
	v_fmac_f32_e32 v47, v41, v218
	v_add_f32_e32 v46, v46, v47
	s_waitcnt vmcnt(20) lgkmcnt(0)
	v_mul_f32_e32 v47, v42, v221
	v_fmac_f32_e32 v47, v43, v220
	v_add_f32_e32 v50, v46, v47
	ds_read2_b64 v[46:49], v16 offset0:79 offset1:80
	s_waitcnt vmcnt(18)
	v_mul_f32_e32 v51, v44, v223
	v_fmac_f32_e32 v51, v45, v222
	v_add_f32_e32 v54, v50, v51
	ds_read2_b64 v[50:53], v16 offset0:81 offset1:82
	s_waitcnt vmcnt(16) lgkmcnt(1)
	v_mul_f32_e32 v55, v46, v225
	v_fmac_f32_e32 v55, v47, v224
	v_add_f32_e32 v54, v54, v55
	s_waitcnt vmcnt(14)
	v_mul_f32_e32 v55, v48, v227
	;; [unrolled: 18-line block ×3, first 2 shown]
	v_fmac_f32_e32 v63, v57, v234
	v_add_f32_e32 v62, v62, v63
	s_waitcnt vmcnt(4) lgkmcnt(0)
	v_mul_f32_e32 v63, v58, v237
	v_fmac_f32_e32 v63, v59, v236
	v_add_f32_e32 v71, v62, v63
	ds_read2_b64 v[62:65], v16 offset0:87 offset1:88
	buffer_load_dword v73, off, s[0:3], 0 offset:332
	buffer_load_dword v72, off, s[0:3], 0 offset:328
	;; [unrolled: 1-line block ×4, first 2 shown]
	ds_read2_b64 v[66:69], v16 offset0:89 offset1:90
	buffer_load_dword v177, off, s[0:3], 0 offset:364
	buffer_load_dword v176, off, s[0:3], 0 offset:360
	;; [unrolled: 1-line block ×12, first 2 shown]
	v_mul_f32_e32 v3, v3, v17
	v_fma_f32 v2, v2, v191, -v3
	v_mul_f32_e32 v3, v5, v70
	v_add_f32_e32 v2, 0, v2
	v_fma_f32 v3, v4, v192, -v3
	v_add_f32_e32 v2, v2, v3
	v_mul_f32_e32 v3, v9, v76
	v_fma_f32 v3, v8, v193, -v3
	v_add_f32_e32 v2, v2, v3
	v_mul_f32_e32 v3, v11, v174
	v_fma_f32 v3, v10, v194, -v3
	v_add_f32_e32 v2, v2, v3
	v_mul_f32_e32 v3, v13, v188
	v_fma_f32 v3, v12, v195, -v3
	v_add_f32_e32 v2, v2, v3
	v_mul_f32_e32 v3, v15, v189
	v_fma_f32 v3, v14, v196, -v3
	v_add_f32_e32 v2, v2, v3
	v_mul_f32_e32 v3, v19, v190
	v_fma_f32 v3, v18, v197, -v3
	v_add_f32_e32 v2, v2, v3
	v_mul_f32_e32 v3, v21, v198
	v_fma_f32 v3, v20, v199, -v3
	v_add_f32_e32 v2, v2, v3
	v_mul_f32_e32 v3, v23, v200
	v_fma_f32 v3, v22, v201, -v3
	v_add_f32_e32 v2, v2, v3
	v_mul_f32_e32 v3, v25, v202
	v_fma_f32 v3, v24, v203, -v3
	v_add_f32_e32 v2, v2, v3
	v_mul_f32_e32 v3, v27, v204
	v_fma_f32 v3, v26, v205, -v3
	v_add_f32_e32 v2, v2, v3
	v_mul_f32_e32 v3, v29, v206
	v_fma_f32 v3, v28, v207, -v3
	v_add_f32_e32 v2, v2, v3
	v_mul_f32_e32 v3, v31, v209
	v_fma_f32 v3, v30, v208, -v3
	v_add_f32_e32 v2, v2, v3
	v_mul_f32_e32 v3, v33, v210
	v_fma_f32 v3, v32, v211, -v3
	v_add_f32_e32 v2, v2, v3
	v_mul_f32_e32 v3, v35, v213
	v_fma_f32 v3, v34, v212, -v3
	v_add_f32_e32 v2, v2, v3
	v_mul_f32_e32 v3, v37, v215
	v_fma_f32 v3, v36, v214, -v3
	v_add_f32_e32 v2, v2, v3
	v_mul_f32_e32 v3, v39, v217
	v_fma_f32 v3, v38, v216, -v3
	v_add_f32_e32 v2, v2, v3
	v_mul_f32_e32 v3, v41, v219
	v_fma_f32 v3, v40, v218, -v3
	v_add_f32_e32 v2, v2, v3
	v_mul_f32_e32 v3, v43, v221
	v_fma_f32 v3, v42, v220, -v3
	v_add_f32_e32 v2, v2, v3
	v_mul_f32_e32 v3, v45, v223
	v_fma_f32 v3, v44, v222, -v3
	v_add_f32_e32 v2, v2, v3
	v_mul_f32_e32 v3, v47, v225
	v_fma_f32 v3, v46, v224, -v3
	v_add_f32_e32 v2, v2, v3
	v_mul_f32_e32 v3, v49, v227
	v_fma_f32 v3, v48, v226, -v3
	v_add_f32_e32 v2, v2, v3
	v_mul_f32_e32 v3, v51, v229
	v_fma_f32 v3, v50, v228, -v3
	v_add_f32_e32 v2, v2, v3
	v_mul_f32_e32 v3, v53, v231
	v_fma_f32 v3, v52, v230, -v3
	v_add_f32_e32 v2, v2, v3
	v_mul_f32_e32 v3, v55, v233
	v_fma_f32 v3, v54, v232, -v3
	v_add_f32_e32 v2, v2, v3
	v_mul_f32_e32 v3, v57, v235
	v_fma_f32 v3, v56, v234, -v3
	v_add_f32_e32 v2, v2, v3
	v_mul_f32_e32 v3, v59, v237
	v_fma_f32 v3, v58, v236, -v3
	s_waitcnt vmcnt(13)
	v_mov_b32_e32 v18, v75
	v_mul_f32_e32 v77, v60, v239
	v_add_f32_e32 v70, v2, v3
	v_mul_f32_e32 v2, v61, v239
	s_waitcnt lgkmcnt(1)
	v_pk_mul_f32 v[18:19], v[64:65], v[18:19] op_sel_hi:[1,0]
	v_fmac_f32_e32 v77, v61, v238
	v_mul_f32_e32 v175, v62, v241
	v_fma_f32 v76, v60, v238, -v2
	v_mul_f32_e32 v2, v63, v241
	s_waitcnt vmcnt(12)
	v_pk_fma_f32 v[20:21], v[64:65], v[74:75], v[18:19] op_sel:[0,0,1] op_sel_hi:[1,1,0] neg_lo:[0,0,1] neg_hi:[0,0,1]
	v_pk_fma_f32 v[18:19], v[64:65], v[74:75], v[18:19] op_sel:[0,0,1] op_sel_hi:[1,0,0]
	v_fmac_f32_e32 v175, v63, v240
	v_fma_f32 v174, v62, v240, -v2
	v_pk_add_f32 v[14:15], v[70:71], v[76:77]
	v_mov_b32_e32 v18, v73
	v_pk_add_f32 v[14:15], v[14:15], v[174:175]
	v_mov_b32_e32 v21, v19
	s_waitcnt lgkmcnt(0)
	v_pk_mul_f32 v[18:19], v[66:67], v[18:19] op_sel_hi:[1,0]
	v_pk_add_f32 v[14:15], v[14:15], v[20:21]
	v_pk_fma_f32 v[20:21], v[66:67], v[72:73], v[18:19] op_sel:[0,0,1] op_sel_hi:[1,1,0] neg_lo:[0,0,1] neg_hi:[0,0,1]
	v_pk_fma_f32 v[18:19], v[66:67], v[72:73], v[18:19] op_sel:[0,0,1] op_sel_hi:[1,0,0]
	s_waitcnt vmcnt(5)
	v_mov_b32_e32 v18, v183
	ds_read2_b64 v[2:5], v16 offset0:91 offset1:92
	ds_read2_b64 v[8:11], v16 offset0:93 offset1:94
	ds_read_b64 v[12:13], v16 offset:760
	v_mov_b32_e32 v21, v19
	v_pk_mul_f32 v[18:19], v[68:69], v[18:19] op_sel_hi:[1,0]
	v_pk_add_f32 v[14:15], v[14:15], v[20:21]
	s_waitcnt vmcnt(4)
	v_pk_fma_f32 v[20:21], v[68:69], v[182:183], v[18:19] op_sel:[0,0,1] op_sel_hi:[1,1,0] neg_lo:[0,0,1] neg_hi:[0,0,1]
	v_pk_fma_f32 v[18:19], v[68:69], v[182:183], v[18:19] op_sel:[0,0,1] op_sel_hi:[1,0,0]
	v_mov_b32_e32 v18, v181
	v_mov_b32_e32 v21, v19
	s_waitcnt lgkmcnt(2)
	v_pk_mul_f32 v[18:19], v[2:3], v[18:19] op_sel_hi:[1,0]
	v_pk_add_f32 v[14:15], v[14:15], v[20:21]
	v_pk_fma_f32 v[20:21], v[2:3], v[180:181], v[18:19] op_sel:[0,0,1] op_sel_hi:[1,1,0] neg_lo:[0,0,1] neg_hi:[0,0,1]
	v_pk_fma_f32 v[2:3], v[2:3], v[180:181], v[18:19] op_sel:[0,0,1] op_sel_hi:[1,0,0]
	v_mov_b32_e32 v21, v3
	v_pk_add_f32 v[2:3], v[14:15], v[20:21]
	v_mov_b32_e32 v14, v179
	v_pk_mul_f32 v[14:15], v[4:5], v[14:15] op_sel_hi:[1,0]
	v_pk_fma_f32 v[18:19], v[4:5], v[178:179], v[14:15] op_sel:[0,0,1] op_sel_hi:[1,1,0] neg_lo:[0,0,1] neg_hi:[0,0,1]
	v_pk_fma_f32 v[4:5], v[4:5], v[178:179], v[14:15] op_sel:[0,0,1] op_sel_hi:[1,0,0]
	v_mov_b32_e32 v4, v177
	v_mov_b32_e32 v19, v5
	s_waitcnt lgkmcnt(1)
	v_pk_mul_f32 v[4:5], v[8:9], v[4:5] op_sel_hi:[1,0]
	v_pk_fma_f32 v[14:15], v[8:9], v[176:177], v[4:5] op_sel:[0,0,1] op_sel_hi:[1,1,0] neg_lo:[0,0,1] neg_hi:[0,0,1]
	v_pk_fma_f32 v[4:5], v[8:9], v[176:177], v[4:5] op_sel:[0,0,1] op_sel_hi:[1,0,0]
	s_waitcnt vmcnt(1)
	v_mov_b32_e32 v4, v187
	v_mov_b32_e32 v15, v5
	v_pk_mul_f32 v[4:5], v[10:11], v[4:5] op_sel_hi:[1,0]
	s_waitcnt vmcnt(0)
	v_pk_fma_f32 v[8:9], v[10:11], v[186:187], v[4:5] op_sel:[0,0,1] op_sel_hi:[1,1,0] neg_lo:[0,0,1] neg_hi:[0,0,1]
	v_pk_fma_f32 v[4:5], v[10:11], v[186:187], v[4:5] op_sel:[0,0,1] op_sel_hi:[1,0,0]
	v_pk_add_f32 v[2:3], v[2:3], v[18:19]
	v_mov_b32_e32 v4, v185
	v_pk_add_f32 v[2:3], v[2:3], v[14:15]
	v_mov_b32_e32 v9, v5
	s_waitcnt lgkmcnt(0)
	v_pk_mul_f32 v[4:5], v[12:13], v[4:5] op_sel_hi:[1,0]
	v_pk_add_f32 v[2:3], v[2:3], v[8:9]
	v_pk_fma_f32 v[8:9], v[12:13], v[184:185], v[4:5] op_sel:[0,0,1] op_sel_hi:[1,1,0] neg_lo:[0,0,1] neg_hi:[0,0,1]
	v_pk_fma_f32 v[4:5], v[12:13], v[184:185], v[4:5] op_sel:[0,0,1] op_sel_hi:[1,0,0]
	v_mov_b32_e32 v9, v5
	v_pk_add_f32 v[2:3], v[2:3], v[8:9]
	v_pk_add_f32 v[2:3], v[6:7], v[2:3] neg_lo:[0,1] neg_hi:[0,1]
	buffer_store_dword v3, off, s[0:3], 0 offset:84
	buffer_store_dword v2, off, s[0:3], 0 offset:80
	s_and_saveexec_b64 s[4:5], vcc
	s_cbranch_execz .LBB111_283
; %bb.282:
	buffer_load_dword v2, off, s[0:3], 0 offset:72
	buffer_load_dword v3, off, s[0:3], 0 offset:76
	v_accvgpr_read_b32 v1, a20
	buffer_store_dword v16, off, s[0:3], 0 offset:72
	buffer_store_dword v16, off, s[0:3], 0 offset:76
	s_waitcnt vmcnt(2)
	ds_write_b64 v1, v[2:3]
.LBB111_283:
	s_or_b64 exec, exec, s[4:5]
	s_waitcnt lgkmcnt(0)
	; wave barrier
	s_waitcnt lgkmcnt(0)
	buffer_load_dword v17, off, s[0:3], 0 offset:84
	buffer_load_dword v72, off, s[0:3], 0 offset:92
	;; [unrolled: 1-line block ×32, first 2 shown]
	ds_read_b128 v[18:21], v16 offset:464
	ds_read_b128 v[6:9], v16 offset:480
	buffer_load_dword v214, off, s[0:3], 0 offset:200
	buffer_load_dword v215, off, s[0:3], 0 offset:204
	ds_read_b128 v[10:13], v16 offset:496
	ds_read_b128 v[2:5], v16 offset:512
	buffer_load_dword v216, off, s[0:3], 0 offset:208
	buffer_load_dword v217, off, s[0:3], 0 offset:212
	;; [unrolled: 1-line block ×28, first 2 shown]
	v_cmp_lt_u32_e32 vcc, 8, v0
	s_waitcnt vmcnt(61) lgkmcnt(3)
	v_mul_f32_e32 v22, v18, v17
	s_waitcnt vmcnt(60)
	v_mul_f32_e32 v23, v20, v72
	s_waitcnt vmcnt(59) lgkmcnt(2)
	v_mul_f32_e32 v24, v6, v74
	s_waitcnt vmcnt(58)
	v_mul_f32_e32 v25, v8, v76
	;; [unrolled: 4-line block ×3, first 2 shown]
	s_waitcnt vmcnt(55) lgkmcnt(0)
	v_mul_f32_e32 v28, v2, v190
	s_waitcnt vmcnt(54)
	v_fmac_f32_e32 v22, v19, v191
	s_waitcnt vmcnt(53)
	v_fmac_f32_e32 v23, v21, v192
	v_add_f32_e32 v22, 0, v22
	s_waitcnt vmcnt(52)
	v_fmac_f32_e32 v24, v7, v193
	v_add_f32_e32 v22, v22, v23
	;; [unrolled: 3-line block ×6, first 2 shown]
	v_add_f32_e32 v26, v22, v28
	ds_read_b128 v[22:25], v16 offset:528
	s_waitcnt vmcnt(47)
	v_mul_f32_e32 v27, v4, v198
	s_waitcnt vmcnt(46)
	v_fmac_f32_e32 v27, v5, v199
	v_add_f32_e32 v30, v26, v27
	ds_read_b128 v[26:29], v16 offset:544
	s_waitcnt vmcnt(45) lgkmcnt(1)
	v_mul_f32_e32 v31, v22, v200
	s_waitcnt vmcnt(44)
	v_fmac_f32_e32 v31, v23, v201
	v_add_f32_e32 v30, v30, v31
	s_waitcnt vmcnt(43)
	v_mul_f32_e32 v31, v24, v202
	s_waitcnt vmcnt(42)
	v_fmac_f32_e32 v31, v25, v203
	v_add_f32_e32 v30, v30, v31
	s_waitcnt vmcnt(41) lgkmcnt(0)
	v_mul_f32_e32 v31, v26, v204
	s_waitcnt vmcnt(40)
	v_fmac_f32_e32 v31, v27, v205
	v_add_f32_e32 v34, v30, v31
	ds_read_b128 v[30:33], v16 offset:560
	s_waitcnt vmcnt(39)
	v_mul_f32_e32 v35, v28, v206
	s_waitcnt vmcnt(38)
	v_fmac_f32_e32 v35, v29, v207
	v_add_f32_e32 v38, v34, v35
	ds_read_b128 v[34:37], v16 offset:576
	s_waitcnt vmcnt(35) lgkmcnt(1)
	v_mul_f32_e32 v39, v30, v208
	s_waitcnt vmcnt(34)
	v_fmac_f32_e32 v39, v31, v209
	v_add_f32_e32 v38, v38, v39
	s_waitcnt vmcnt(32)
	v_mul_f32_e32 v39, v32, v211
	v_fmac_f32_e32 v39, v33, v210
	v_add_f32_e32 v38, v38, v39
	s_waitcnt vmcnt(30) lgkmcnt(0)
	v_mul_f32_e32 v39, v34, v213
	v_fmac_f32_e32 v39, v35, v212
	v_add_f32_e32 v42, v38, v39
	ds_read_b128 v[38:41], v16 offset:592
	s_waitcnt vmcnt(28)
	v_mul_f32_e32 v43, v36, v215
	v_fmac_f32_e32 v43, v37, v214
	v_add_f32_e32 v46, v42, v43
	ds_read_b128 v[42:45], v16 offset:608
	s_waitcnt vmcnt(26) lgkmcnt(1)
	v_mul_f32_e32 v47, v38, v217
	v_fmac_f32_e32 v47, v39, v216
	v_add_f32_e32 v46, v46, v47
	s_waitcnt vmcnt(24)
	v_mul_f32_e32 v47, v40, v219
	v_fmac_f32_e32 v47, v41, v218
	v_add_f32_e32 v46, v46, v47
	s_waitcnt vmcnt(22) lgkmcnt(0)
	v_mul_f32_e32 v47, v42, v221
	v_fmac_f32_e32 v47, v43, v220
	v_add_f32_e32 v50, v46, v47
	ds_read_b128 v[46:49], v16 offset:624
	s_waitcnt vmcnt(20)
	v_mul_f32_e32 v51, v44, v223
	v_fmac_f32_e32 v51, v45, v222
	v_add_f32_e32 v54, v50, v51
	ds_read_b128 v[50:53], v16 offset:640
	s_waitcnt vmcnt(18) lgkmcnt(1)
	v_mul_f32_e32 v55, v46, v225
	v_fmac_f32_e32 v55, v47, v224
	v_add_f32_e32 v54, v54, v55
	s_waitcnt vmcnt(16)
	v_mul_f32_e32 v55, v48, v227
	v_fmac_f32_e32 v55, v49, v226
	v_add_f32_e32 v54, v54, v55
	s_waitcnt vmcnt(14) lgkmcnt(0)
	v_mul_f32_e32 v55, v50, v229
	v_fmac_f32_e32 v55, v51, v228
	v_add_f32_e32 v58, v54, v55
	ds_read_b128 v[54:57], v16 offset:656
	s_waitcnt vmcnt(12)
	v_mul_f32_e32 v59, v52, v231
	v_fmac_f32_e32 v59, v53, v230
	v_add_f32_e32 v62, v58, v59
	ds_read_b128 v[58:61], v16 offset:672
	buffer_load_dword v71, off, s[0:3], 0 offset:324
	buffer_load_dword v70, off, s[0:3], 0 offset:320
	s_waitcnt vmcnt(12) lgkmcnt(1)
	v_mul_f32_e32 v63, v54, v233
	v_fmac_f32_e32 v63, v55, v232
	v_add_f32_e32 v62, v62, v63
	s_waitcnt vmcnt(10)
	v_mul_f32_e32 v63, v56, v235
	v_fmac_f32_e32 v63, v57, v234
	v_add_f32_e32 v62, v62, v63
	s_waitcnt vmcnt(8) lgkmcnt(0)
	v_mul_f32_e32 v63, v58, v237
	v_fmac_f32_e32 v63, v59, v236
	s_waitcnt vmcnt(6)
	v_mul_f32_e32 v67, v60, v239
	v_add_f32_e32 v66, v62, v63
	v_fmac_f32_e32 v67, v61, v238
	ds_read_b128 v[62:65], v16 offset:688
	v_add_f32_e32 v73, v66, v67
	ds_read_b128 v[66:69], v16 offset:704
	buffer_load_dword v175, off, s[0:3], 0 offset:356
	buffer_load_dword v174, off, s[0:3], 0 offset:352
	;; [unrolled: 1-line block ×14, first 2 shown]
	v_mul_f32_e32 v17, v19, v17
	v_fma_f32 v17, v18, v191, -v17
	v_mul_f32_e32 v18, v21, v72
	v_add_f32_e32 v17, 0, v17
	v_fma_f32 v18, v20, v192, -v18
	v_mul_f32_e32 v7, v7, v74
	v_add_f32_e32 v17, v17, v18
	;; [unrolled: 3-line block ×3, first 2 shown]
	v_fma_f32 v7, v8, v194, -v7
	v_add_f32_e32 v6, v6, v7
	v_mul_f32_e32 v7, v11, v188
	v_fma_f32 v7, v10, v195, -v7
	v_add_f32_e32 v6, v6, v7
	v_mul_f32_e32 v7, v13, v189
	v_fma_f32 v7, v12, v196, -v7
	v_mul_f32_e32 v3, v3, v190
	v_add_f32_e32 v6, v6, v7
	v_fma_f32 v2, v2, v197, -v3
	v_mul_f32_e32 v3, v5, v198
	v_add_f32_e32 v2, v6, v2
	v_fma_f32 v3, v4, v199, -v3
	v_add_f32_e32 v2, v2, v3
	v_mul_f32_e32 v3, v23, v200
	v_fma_f32 v3, v22, v201, -v3
	v_add_f32_e32 v2, v2, v3
	v_mul_f32_e32 v3, v25, v202
	v_fma_f32 v3, v24, v203, -v3
	v_add_f32_e32 v2, v2, v3
	v_mul_f32_e32 v3, v27, v204
	v_fma_f32 v3, v26, v205, -v3
	v_add_f32_e32 v2, v2, v3
	v_mul_f32_e32 v3, v29, v206
	v_fma_f32 v3, v28, v207, -v3
	v_add_f32_e32 v2, v2, v3
	v_mul_f32_e32 v3, v31, v208
	v_fma_f32 v3, v30, v209, -v3
	v_add_f32_e32 v2, v2, v3
	v_mul_f32_e32 v3, v33, v211
	v_fma_f32 v3, v32, v210, -v3
	v_add_f32_e32 v2, v2, v3
	v_mul_f32_e32 v3, v35, v213
	v_fma_f32 v3, v34, v212, -v3
	v_add_f32_e32 v2, v2, v3
	v_mul_f32_e32 v3, v37, v215
	v_fma_f32 v3, v36, v214, -v3
	v_add_f32_e32 v2, v2, v3
	v_mul_f32_e32 v3, v39, v217
	v_fma_f32 v3, v38, v216, -v3
	v_add_f32_e32 v2, v2, v3
	v_mul_f32_e32 v3, v41, v219
	v_fma_f32 v3, v40, v218, -v3
	v_add_f32_e32 v2, v2, v3
	v_mul_f32_e32 v3, v43, v221
	v_fma_f32 v3, v42, v220, -v3
	v_add_f32_e32 v2, v2, v3
	v_mul_f32_e32 v3, v45, v223
	v_fma_f32 v3, v44, v222, -v3
	v_add_f32_e32 v2, v2, v3
	v_mul_f32_e32 v3, v47, v225
	v_fma_f32 v3, v46, v224, -v3
	v_add_f32_e32 v2, v2, v3
	v_mul_f32_e32 v3, v49, v227
	v_fma_f32 v3, v48, v226, -v3
	v_add_f32_e32 v2, v2, v3
	v_mul_f32_e32 v3, v51, v229
	v_fma_f32 v3, v50, v228, -v3
	v_add_f32_e32 v2, v2, v3
	v_mul_f32_e32 v3, v53, v231
	v_fma_f32 v3, v52, v230, -v3
	v_add_f32_e32 v2, v2, v3
	v_mul_f32_e32 v3, v55, v233
	v_fma_f32 v3, v54, v232, -v3
	v_add_f32_e32 v2, v2, v3
	v_mul_f32_e32 v3, v57, v235
	v_fma_f32 v3, v56, v234, -v3
	v_add_f32_e32 v2, v2, v3
	v_mul_f32_e32 v3, v59, v237
	v_fma_f32 v3, v58, v236, -v3
	v_add_f32_e32 v2, v2, v3
	v_mul_f32_e32 v3, v61, v239
	v_fma_f32 v3, v60, v238, -v3
	s_waitcnt vmcnt(15)
	v_mov_b32_e32 v18, v71
	s_waitcnt lgkmcnt(1)
	v_mul_f32_e32 v75, v62, v241
	v_add_f32_e32 v72, v2, v3
	v_mul_f32_e32 v2, v63, v241
	s_waitcnt lgkmcnt(0)
	v_pk_mul_f32 v[18:19], v[66:67], v[18:19] op_sel_hi:[1,0]
	v_fmac_f32_e32 v75, v63, v240
	v_mul_f32_e32 v77, v64, v243
	v_fma_f32 v74, v62, v240, -v2
	v_mul_f32_e32 v2, v65, v243
	s_waitcnt vmcnt(14)
	v_pk_fma_f32 v[20:21], v[66:67], v[70:71], v[18:19] op_sel:[0,0,1] op_sel_hi:[1,1,0] neg_lo:[0,0,1] neg_hi:[0,0,1]
	v_pk_fma_f32 v[18:19], v[66:67], v[70:71], v[18:19] op_sel:[0,0,1] op_sel_hi:[1,0,0]
	v_fmac_f32_e32 v77, v65, v242
	v_fma_f32 v76, v64, v242, -v2
	ds_read_b128 v[2:5], v16 offset:720
	ds_read_b128 v[6:9], v16 offset:736
	;; [unrolled: 1-line block ×3, first 2 shown]
	v_pk_add_f32 v[16:17], v[72:73], v[74:75]
	s_waitcnt vmcnt(7)
	v_mov_b32_e32 v18, v181
	v_pk_add_f32 v[16:17], v[16:17], v[76:77]
	v_mov_b32_e32 v21, v19
	v_pk_mul_f32 v[18:19], v[68:69], v[18:19] op_sel_hi:[1,0]
	v_pk_add_f32 v[16:17], v[16:17], v[20:21]
	s_waitcnt vmcnt(6)
	v_pk_fma_f32 v[20:21], v[68:69], v[180:181], v[18:19] op_sel:[0,0,1] op_sel_hi:[1,1,0] neg_lo:[0,0,1] neg_hi:[0,0,1]
	v_pk_fma_f32 v[18:19], v[68:69], v[180:181], v[18:19] op_sel:[0,0,1] op_sel_hi:[1,0,0]
	v_mov_b32_e32 v18, v179
	v_mov_b32_e32 v21, v19
	s_waitcnt lgkmcnt(2)
	v_pk_mul_f32 v[18:19], v[2:3], v[18:19] op_sel_hi:[1,0]
	v_pk_add_f32 v[16:17], v[16:17], v[20:21]
	v_pk_fma_f32 v[20:21], v[2:3], v[178:179], v[18:19] op_sel:[0,0,1] op_sel_hi:[1,1,0] neg_lo:[0,0,1] neg_hi:[0,0,1]
	v_pk_fma_f32 v[2:3], v[2:3], v[178:179], v[18:19] op_sel:[0,0,1] op_sel_hi:[1,0,0]
	v_mov_b32_e32 v21, v3
	v_pk_add_f32 v[2:3], v[16:17], v[20:21]
	v_mov_b32_e32 v16, v177
	v_pk_mul_f32 v[16:17], v[4:5], v[16:17] op_sel_hi:[1,0]
	v_pk_fma_f32 v[18:19], v[4:5], v[176:177], v[16:17] op_sel:[0,0,1] op_sel_hi:[1,1,0] neg_lo:[0,0,1] neg_hi:[0,0,1]
	v_pk_fma_f32 v[4:5], v[4:5], v[176:177], v[16:17] op_sel:[0,0,1] op_sel_hi:[1,0,0]
	v_mov_b32_e32 v4, v175
	v_mov_b32_e32 v19, v5
	s_waitcnt lgkmcnt(1)
	v_pk_mul_f32 v[4:5], v[6:7], v[4:5] op_sel_hi:[1,0]
	v_pk_fma_f32 v[16:17], v[6:7], v[174:175], v[4:5] op_sel:[0,0,1] op_sel_hi:[1,1,0] neg_lo:[0,0,1] neg_hi:[0,0,1]
	v_pk_fma_f32 v[4:5], v[6:7], v[174:175], v[4:5] op_sel:[0,0,1] op_sel_hi:[1,0,0]
	s_waitcnt vmcnt(1)
	v_mov_b32_e32 v4, v187
	v_mov_b32_e32 v17, v5
	v_pk_mul_f32 v[4:5], v[8:9], v[4:5] op_sel_hi:[1,0]
	s_waitcnt vmcnt(0)
	v_pk_fma_f32 v[6:7], v[8:9], v[186:187], v[4:5] op_sel:[0,0,1] op_sel_hi:[1,1,0] neg_lo:[0,0,1] neg_hi:[0,0,1]
	v_pk_fma_f32 v[4:5], v[8:9], v[186:187], v[4:5] op_sel:[0,0,1] op_sel_hi:[1,0,0]
	v_pk_add_f32 v[2:3], v[2:3], v[18:19]
	v_mov_b32_e32 v4, v185
	v_pk_add_f32 v[2:3], v[2:3], v[16:17]
	v_mov_b32_e32 v7, v5
	s_waitcnt lgkmcnt(0)
	v_pk_mul_f32 v[4:5], v[10:11], v[4:5] op_sel_hi:[1,0]
	v_pk_add_f32 v[2:3], v[2:3], v[6:7]
	v_pk_fma_f32 v[6:7], v[10:11], v[184:185], v[4:5] op_sel:[0,0,1] op_sel_hi:[1,1,0] neg_lo:[0,0,1] neg_hi:[0,0,1]
	v_pk_fma_f32 v[4:5], v[10:11], v[184:185], v[4:5] op_sel:[0,0,1] op_sel_hi:[1,0,0]
	v_mov_b32_e32 v4, v183
	v_mov_b32_e32 v7, v5
	v_pk_mul_f32 v[4:5], v[12:13], v[4:5] op_sel_hi:[1,0]
	v_pk_add_f32 v[2:3], v[2:3], v[6:7]
	v_pk_fma_f32 v[6:7], v[12:13], v[182:183], v[4:5] op_sel:[0,0,1] op_sel_hi:[1,1,0] neg_lo:[0,0,1] neg_hi:[0,0,1]
	v_pk_fma_f32 v[4:5], v[12:13], v[182:183], v[4:5] op_sel:[0,0,1] op_sel_hi:[1,0,0]
	v_mov_b32_e32 v7, v5
	v_pk_add_f32 v[2:3], v[2:3], v[6:7]
	v_pk_add_f32 v[2:3], v[14:15], v[2:3] neg_lo:[0,1] neg_hi:[0,1]
	buffer_store_dword v3, off, s[0:3], 0 offset:76
	buffer_store_dword v2, off, s[0:3], 0 offset:72
	s_and_saveexec_b64 s[4:5], vcc
	s_cbranch_execz .LBB111_285
; %bb.284:
	buffer_load_dword v2, off, s[0:3], 0 offset:64
	buffer_load_dword v3, off, s[0:3], 0 offset:68
	v_mov_b32_e32 v4, 0
	v_accvgpr_read_b32 v1, a20
	buffer_store_dword v4, off, s[0:3], 0 offset:64
	buffer_store_dword v4, off, s[0:3], 0 offset:68
	s_waitcnt vmcnt(2)
	ds_write_b64 v1, v[2:3]
.LBB111_285:
	s_or_b64 exec, exec, s[4:5]
	s_waitcnt lgkmcnt(0)
	; wave barrier
	s_waitcnt lgkmcnt(0)
	buffer_load_dword v21, off, s[0:3], 0 offset:76
	buffer_load_dword v70, off, s[0:3], 0 offset:84
	;; [unrolled: 1-line block ×48, first 2 shown]
	v_mov_b32_e32 v20, 0
	ds_read2_b64 v[4:7], v20 offset0:57 offset1:58
	buffer_load_dword v230, off, s[0:3], 0 offset:256
	buffer_load_dword v231, off, s[0:3], 0 offset:260
	;; [unrolled: 1-line block ×8, first 2 shown]
	ds_read2_b64 v[8:11], v20 offset0:59 offset1:60
	ds_read2_b64 v[12:15], v20 offset0:61 offset1:62
	;; [unrolled: 1-line block ×3, first 2 shown]
	buffer_load_dword v238, off, s[0:3], 0 offset:288
	buffer_load_dword v239, off, s[0:3], 0 offset:292
	buffer_load_dword v240, off, s[0:3], 0 offset:296
	buffer_load_dword v241, off, s[0:3], 0 offset:300
	buffer_load_dword v242, off, s[0:3], 0 offset:304
	buffer_load_dword v243, off, s[0:3], 0 offset:308
	buffer_load_dword v244, off, s[0:3], 0 offset:312
	buffer_load_dword v245, off, s[0:3], 0 offset:316
	v_cmp_lt_u32_e32 vcc, 7, v0
	s_waitcnt vmcnt(62) lgkmcnt(3)
	v_mul_f32_e32 v22, v4, v21
	v_mul_f32_e32 v23, v6, v70
	s_waitcnt vmcnt(61) lgkmcnt(2)
	v_mul_f32_e32 v24, v8, v72
	s_waitcnt vmcnt(60)
	v_mul_f32_e32 v25, v10, v74
	s_waitcnt vmcnt(59) lgkmcnt(1)
	v_mul_f32_e32 v26, v12, v188
	s_waitcnt vmcnt(58)
	;; [unrolled: 4-line block ×3, first 2 shown]
	v_fmac_f32_e32 v22, v5, v191
	s_waitcnt vmcnt(55)
	v_fmac_f32_e32 v23, v7, v192
	v_add_f32_e32 v22, 0, v22
	s_waitcnt vmcnt(54)
	v_fmac_f32_e32 v24, v9, v193
	v_add_f32_e32 v22, v22, v23
	;; [unrolled: 3-line block ×6, first 2 shown]
	v_add_f32_e32 v26, v22, v28
	ds_read2_b64 v[22:25], v20 offset0:65 offset1:66
	s_waitcnt vmcnt(49)
	v_mul_f32_e32 v27, v18, v198
	s_waitcnt vmcnt(48)
	v_fmac_f32_e32 v27, v19, v199
	v_add_f32_e32 v30, v26, v27
	ds_read2_b64 v[26:29], v20 offset0:67 offset1:68
	s_waitcnt vmcnt(47) lgkmcnt(1)
	v_mul_f32_e32 v31, v22, v200
	s_waitcnt vmcnt(46)
	v_fmac_f32_e32 v31, v23, v201
	v_add_f32_e32 v30, v30, v31
	s_waitcnt vmcnt(45)
	v_mul_f32_e32 v31, v24, v202
	s_waitcnt vmcnt(44)
	v_fmac_f32_e32 v31, v25, v203
	v_add_f32_e32 v30, v30, v31
	s_waitcnt vmcnt(42) lgkmcnt(0)
	v_mul_f32_e32 v31, v26, v205
	v_fmac_f32_e32 v31, v27, v204
	v_add_f32_e32 v34, v30, v31
	ds_read2_b64 v[30:33], v20 offset0:69 offset1:70
	s_waitcnt vmcnt(38)
	v_mul_f32_e32 v35, v28, v207
	v_fmac_f32_e32 v35, v29, v206
	v_add_f32_e32 v38, v34, v35
	ds_read2_b64 v[34:37], v20 offset0:71 offset1:72
	s_waitcnt vmcnt(36) lgkmcnt(1)
	v_mul_f32_e32 v39, v30, v209
	v_fmac_f32_e32 v39, v31, v208
	v_add_f32_e32 v38, v38, v39
	s_waitcnt vmcnt(34)
	v_mul_f32_e32 v39, v32, v211
	v_fmac_f32_e32 v39, v33, v210
	v_add_f32_e32 v38, v38, v39
	s_waitcnt vmcnt(32) lgkmcnt(0)
	v_mul_f32_e32 v39, v34, v213
	v_fmac_f32_e32 v39, v35, v212
	v_add_f32_e32 v42, v38, v39
	ds_read2_b64 v[38:41], v20 offset0:73 offset1:74
	s_waitcnt vmcnt(30)
	v_mul_f32_e32 v43, v36, v215
	v_fmac_f32_e32 v43, v37, v214
	v_add_f32_e32 v46, v42, v43
	ds_read2_b64 v[42:45], v20 offset0:75 offset1:76
	s_waitcnt vmcnt(28) lgkmcnt(1)
	v_mul_f32_e32 v47, v38, v217
	v_fmac_f32_e32 v47, v39, v216
	v_add_f32_e32 v46, v46, v47
	s_waitcnt vmcnt(26)
	v_mul_f32_e32 v47, v40, v219
	;; [unrolled: 18-line block ×4, first 2 shown]
	v_fmac_f32_e32 v63, v57, v234
	v_add_f32_e32 v62, v62, v63
	s_waitcnt vmcnt(8) lgkmcnt(0)
	v_mul_f32_e32 v63, v58, v237
	v_fmac_f32_e32 v63, v59, v236
	s_waitcnt vmcnt(6)
	v_mul_f32_e32 v67, v60, v239
	v_add_f32_e32 v66, v62, v63
	v_fmac_f32_e32 v67, v61, v238
	ds_read2_b64 v[62:65], v20 offset0:85 offset1:86
	v_add_f32_e32 v71, v66, v67
	ds_read2_b64 v[66:69], v20 offset0:87 offset1:88
	buffer_load_dword v77, off, s[0:3], 0 offset:348
	buffer_load_dword v76, off, s[0:3], 0 offset:344
	;; [unrolled: 1-line block ×16, first 2 shown]
	v_mul_f32_e32 v5, v5, v21
	v_fma_f32 v4, v4, v191, -v5
	v_mul_f32_e32 v5, v7, v70
	v_add_f32_e32 v4, 0, v4
	v_fma_f32 v5, v6, v192, -v5
	v_add_f32_e32 v4, v4, v5
	v_mul_f32_e32 v5, v9, v72
	v_fma_f32 v5, v8, v193, -v5
	v_add_f32_e32 v4, v4, v5
	v_mul_f32_e32 v5, v11, v74
	;; [unrolled: 3-line block ×26, first 2 shown]
	v_fma_f32 v5, v60, v238, -v5
	v_add_f32_e32 v4, v4, v5
	s_waitcnt vmcnt(20) lgkmcnt(1)
	v_mul_f32_e32 v5, v63, v241
	v_mul_f32_e32 v73, v62, v241
	v_fma_f32 v5, v62, v240, -v5
	v_fmac_f32_e32 v73, v63, v240
	v_add_f32_e32 v70, v4, v5
	s_waitcnt vmcnt(18)
	v_mul_f32_e32 v4, v65, v243
	s_waitcnt vmcnt(9)
	v_mov_b32_e32 v22, v179
	v_add_f32_e32 v71, v71, v73
	v_mul_f32_e32 v73, v64, v243
	v_fma_f32 v72, v64, v242, -v4
	s_waitcnt lgkmcnt(0)
	v_mul_f32_e32 v4, v67, v245
	v_pk_mul_f32 v[22:23], v[68:69], v[22:23] op_sel_hi:[1,0]
	v_fmac_f32_e32 v73, v65, v242
	v_mul_f32_e32 v75, v66, v245
	v_fma_f32 v74, v66, v244, -v4
	ds_read2_b64 v[4:7], v20 offset0:89 offset1:90
	ds_read2_b64 v[8:11], v20 offset0:91 offset1:92
	;; [unrolled: 1-line block ×3, first 2 shown]
	ds_read_b64 v[16:17], v20 offset:760
	s_waitcnt vmcnt(8)
	v_pk_fma_f32 v[24:25], v[68:69], v[178:179], v[22:23] op_sel:[0,0,1] op_sel_hi:[1,1,0] neg_lo:[0,0,1] neg_hi:[0,0,1]
	v_pk_fma_f32 v[22:23], v[68:69], v[178:179], v[22:23] op_sel:[0,0,1] op_sel_hi:[1,0,0]
	v_fmac_f32_e32 v75, v67, v244
	v_pk_add_f32 v[18:19], v[70:71], v[72:73]
	v_mov_b32_e32 v22, v177
	v_pk_add_f32 v[18:19], v[18:19], v[74:75]
	v_mov_b32_e32 v25, v23
	s_waitcnt lgkmcnt(3)
	v_pk_mul_f32 v[22:23], v[4:5], v[22:23] op_sel_hi:[1,0]
	v_pk_add_f32 v[18:19], v[18:19], v[24:25]
	v_pk_fma_f32 v[24:25], v[4:5], v[176:177], v[22:23] op_sel:[0,0,1] op_sel_hi:[1,1,0] neg_lo:[0,0,1] neg_hi:[0,0,1]
	v_pk_fma_f32 v[4:5], v[4:5], v[176:177], v[22:23] op_sel:[0,0,1] op_sel_hi:[1,0,0]
	v_mov_b32_e32 v25, v5
	v_pk_add_f32 v[4:5], v[18:19], v[24:25]
	v_mov_b32_e32 v18, v175
	v_pk_mul_f32 v[18:19], v[6:7], v[18:19] op_sel_hi:[1,0]
	v_pk_fma_f32 v[22:23], v[6:7], v[174:175], v[18:19] op_sel:[0,0,1] op_sel_hi:[1,1,0] neg_lo:[0,0,1] neg_hi:[0,0,1]
	v_pk_fma_f32 v[6:7], v[6:7], v[174:175], v[18:19] op_sel:[0,0,1] op_sel_hi:[1,0,0]
	v_mov_b32_e32 v6, v77
	v_mov_b32_e32 v23, v7
	s_waitcnt lgkmcnt(2)
	v_pk_mul_f32 v[6:7], v[8:9], v[6:7] op_sel_hi:[1,0]
	v_pk_fma_f32 v[18:19], v[8:9], v[76:77], v[6:7] op_sel:[0,0,1] op_sel_hi:[1,1,0] neg_lo:[0,0,1] neg_hi:[0,0,1]
	v_pk_fma_f32 v[6:7], v[8:9], v[76:77], v[6:7] op_sel:[0,0,1] op_sel_hi:[1,0,0]
	s_waitcnt vmcnt(1)
	v_mov_b32_e32 v6, v187
	v_mov_b32_e32 v19, v7
	v_pk_mul_f32 v[6:7], v[10:11], v[6:7] op_sel_hi:[1,0]
	s_waitcnt vmcnt(0)
	v_pk_fma_f32 v[8:9], v[10:11], v[186:187], v[6:7] op_sel:[0,0,1] op_sel_hi:[1,1,0] neg_lo:[0,0,1] neg_hi:[0,0,1]
	v_pk_fma_f32 v[6:7], v[10:11], v[186:187], v[6:7] op_sel:[0,0,1] op_sel_hi:[1,0,0]
	v_pk_add_f32 v[4:5], v[4:5], v[22:23]
	v_mov_b32_e32 v6, v185
	v_pk_add_f32 v[4:5], v[4:5], v[18:19]
	v_mov_b32_e32 v9, v7
	s_waitcnt lgkmcnt(1)
	v_pk_mul_f32 v[6:7], v[12:13], v[6:7] op_sel_hi:[1,0]
	v_pk_add_f32 v[4:5], v[4:5], v[8:9]
	v_pk_fma_f32 v[8:9], v[12:13], v[184:185], v[6:7] op_sel:[0,0,1] op_sel_hi:[1,1,0] neg_lo:[0,0,1] neg_hi:[0,0,1]
	v_pk_fma_f32 v[6:7], v[12:13], v[184:185], v[6:7] op_sel:[0,0,1] op_sel_hi:[1,0,0]
	v_mov_b32_e32 v6, v183
	v_mov_b32_e32 v9, v7
	v_pk_mul_f32 v[6:7], v[14:15], v[6:7] op_sel_hi:[1,0]
	v_pk_add_f32 v[4:5], v[4:5], v[8:9]
	v_pk_fma_f32 v[8:9], v[14:15], v[182:183], v[6:7] op_sel:[0,0,1] op_sel_hi:[1,1,0] neg_lo:[0,0,1] neg_hi:[0,0,1]
	v_pk_fma_f32 v[6:7], v[14:15], v[182:183], v[6:7] op_sel:[0,0,1] op_sel_hi:[1,0,0]
	v_mov_b32_e32 v6, v181
	v_mov_b32_e32 v9, v7
	s_waitcnt lgkmcnt(0)
	v_pk_mul_f32 v[6:7], v[16:17], v[6:7] op_sel_hi:[1,0]
	v_pk_add_f32 v[4:5], v[4:5], v[8:9]
	v_pk_fma_f32 v[8:9], v[16:17], v[180:181], v[6:7] op_sel:[0,0,1] op_sel_hi:[1,1,0] neg_lo:[0,0,1] neg_hi:[0,0,1]
	v_pk_fma_f32 v[6:7], v[16:17], v[180:181], v[6:7] op_sel:[0,0,1] op_sel_hi:[1,0,0]
	v_mov_b32_e32 v9, v7
	v_pk_add_f32 v[4:5], v[4:5], v[8:9]
	v_pk_add_f32 v[2:3], v[2:3], v[4:5] neg_lo:[0,1] neg_hi:[0,1]
	buffer_store_dword v3, off, s[0:3], 0 offset:68
	buffer_store_dword v2, off, s[0:3], 0 offset:64
	s_and_saveexec_b64 s[4:5], vcc
	s_cbranch_execz .LBB111_287
; %bb.286:
	buffer_load_dword v2, off, s[0:3], 0 offset:56
	buffer_load_dword v3, off, s[0:3], 0 offset:60
	v_accvgpr_read_b32 v1, a20
	buffer_store_dword v20, off, s[0:3], 0 offset:56
	buffer_store_dword v20, off, s[0:3], 0 offset:60
	s_waitcnt vmcnt(2)
	ds_write_b64 v1, v[2:3]
.LBB111_287:
	s_or_b64 exec, exec, s[4:5]
	s_waitcnt lgkmcnt(0)
	; wave barrier
	s_waitcnt lgkmcnt(0)
	buffer_load_dword v21, off, s[0:3], 0 offset:68
	buffer_load_dword v70, off, s[0:3], 0 offset:76
	;; [unrolled: 1-line block ×26, first 2 shown]
	ds_read_b128 v[14:17], v20 offset:448
	ds_read_b128 v[6:9], v20 offset:464
	buffer_load_dword v208, off, s[0:3], 0 offset:160
	buffer_load_dword v209, off, s[0:3], 0 offset:164
	ds_read_b128 v[10:13], v20 offset:480
	ds_read_b128 v[2:5], v20 offset:496
	buffer_load_dword v210, off, s[0:3], 0 offset:168
	buffer_load_dword v211, off, s[0:3], 0 offset:172
	;; [unrolled: 1-line block ×32, first 2 shown]
	v_cmp_lt_u32_e32 vcc, 6, v0
	s_waitcnt vmcnt(59) lgkmcnt(3)
	v_mul_f32_e32 v22, v14, v21
	s_waitcnt vmcnt(58)
	v_mul_f32_e32 v23, v16, v70
	s_waitcnt vmcnt(57) lgkmcnt(2)
	v_mul_f32_e32 v24, v6, v72
	s_waitcnt vmcnt(56)
	v_mul_f32_e32 v25, v8, v176
	;; [unrolled: 4-line block ×4, first 2 shown]
	s_waitcnt vmcnt(51)
	v_fmac_f32_e32 v22, v15, v192
	s_waitcnt vmcnt(50)
	v_fmac_f32_e32 v23, v17, v193
	v_add_f32_e32 v22, 0, v22
	s_waitcnt vmcnt(49)
	v_fmac_f32_e32 v24, v7, v194
	v_add_f32_e32 v22, v22, v23
	;; [unrolled: 3-line block ×6, first 2 shown]
	v_add_f32_e32 v26, v22, v28
	ds_read_b128 v[22:25], v20 offset:512
	s_waitcnt vmcnt(44)
	v_fmac_f32_e32 v29, v5, v199
	buffer_load_dword v242, off, s[0:3], 0 offset:296
	buffer_load_dword v243, off, s[0:3], 0 offset:300
	v_add_f32_e32 v30, v26, v29
	buffer_load_dword v244, off, s[0:3], 0 offset:304
	buffer_load_dword v245, off, s[0:3], 0 offset:308
	ds_read_b128 v[26:29], v20 offset:528
	s_waitcnt vmcnt(47) lgkmcnt(1)
	v_mul_f32_e32 v31, v22, v200
	s_waitcnt vmcnt(46)
	v_fmac_f32_e32 v31, v23, v201
	v_add_f32_e32 v30, v30, v31
	s_waitcnt vmcnt(45)
	v_mul_f32_e32 v31, v24, v202
	s_waitcnt vmcnt(44)
	v_fmac_f32_e32 v31, v25, v203
	v_add_f32_e32 v30, v30, v31
	s_waitcnt vmcnt(41) lgkmcnt(0)
	v_mul_f32_e32 v31, v26, v204
	s_waitcnt vmcnt(40)
	v_fmac_f32_e32 v31, v27, v205
	buffer_load_dword v246, off, s[0:3], 0 offset:312
	buffer_load_dword v247, off, s[0:3], 0 offset:316
	v_add_f32_e32 v34, v30, v31
	ds_read_b128 v[30:33], v20 offset:544
	s_waitcnt vmcnt(40)
	v_mul_f32_e32 v35, v28, v207
	v_fmac_f32_e32 v35, v29, v206
	v_add_f32_e32 v38, v34, v35
	ds_read_b128 v[34:37], v20 offset:560
	s_waitcnt vmcnt(38) lgkmcnt(1)
	v_mul_f32_e32 v39, v30, v209
	v_fmac_f32_e32 v39, v31, v208
	v_add_f32_e32 v38, v38, v39
	s_waitcnt vmcnt(36)
	v_mul_f32_e32 v39, v32, v211
	v_fmac_f32_e32 v39, v33, v210
	v_add_f32_e32 v38, v38, v39
	s_waitcnt vmcnt(34) lgkmcnt(0)
	v_mul_f32_e32 v39, v34, v213
	v_fmac_f32_e32 v39, v35, v212
	v_add_f32_e32 v42, v38, v39
	ds_read_b128 v[38:41], v20 offset:576
	s_waitcnt vmcnt(32)
	v_mul_f32_e32 v43, v36, v215
	v_fmac_f32_e32 v43, v37, v214
	v_add_f32_e32 v46, v42, v43
	ds_read_b128 v[42:45], v20 offset:592
	s_waitcnt vmcnt(30) lgkmcnt(1)
	v_mul_f32_e32 v47, v38, v217
	v_fmac_f32_e32 v47, v39, v216
	v_add_f32_e32 v46, v46, v47
	s_waitcnt vmcnt(28)
	v_mul_f32_e32 v47, v40, v219
	v_fmac_f32_e32 v47, v41, v218
	v_add_f32_e32 v46, v46, v47
	s_waitcnt vmcnt(26) lgkmcnt(0)
	v_mul_f32_e32 v47, v42, v221
	v_fmac_f32_e32 v47, v43, v220
	;; [unrolled: 18-line block ×4, first 2 shown]
	s_waitcnt vmcnt(8)
	v_mul_f32_e32 v67, v60, v239
	v_add_f32_e32 v66, v62, v63
	v_fmac_f32_e32 v67, v61, v238
	ds_read_b128 v[62:65], v20 offset:672
	v_add_f32_e32 v71, v66, v67
	ds_read_b128 v[66:69], v20 offset:688
	buffer_load_dword v75, off, s[0:3], 0 offset:340
	buffer_load_dword v74, off, s[0:3], 0 offset:336
	;; [unrolled: 1-line block ×16, first 2 shown]
	v_mul_f32_e32 v15, v15, v21
	v_fma_f32 v14, v14, v192, -v15
	v_mul_f32_e32 v15, v17, v70
	v_add_f32_e32 v14, 0, v14
	v_fma_f32 v15, v16, v193, -v15
	v_mul_f32_e32 v7, v7, v72
	v_add_f32_e32 v14, v14, v15
	;; [unrolled: 3-line block ×3, first 2 shown]
	v_fma_f32 v7, v8, v195, -v7
	v_add_f32_e32 v6, v6, v7
	v_mul_f32_e32 v7, v11, v188
	v_fma_f32 v7, v10, v196, -v7
	v_add_f32_e32 v6, v6, v7
	v_mul_f32_e32 v7, v13, v189
	v_fma_f32 v7, v12, v197, -v7
	v_mul_f32_e32 v3, v3, v190
	v_add_f32_e32 v6, v6, v7
	v_fma_f32 v2, v2, v198, -v3
	v_mul_f32_e32 v3, v5, v191
	v_add_f32_e32 v2, v6, v2
	v_fma_f32 v3, v4, v199, -v3
	v_add_f32_e32 v2, v2, v3
	v_mul_f32_e32 v3, v23, v200
	v_fma_f32 v3, v22, v201, -v3
	v_add_f32_e32 v2, v2, v3
	v_mul_f32_e32 v3, v25, v202
	;; [unrolled: 3-line block ×20, first 2 shown]
	v_fma_f32 v3, v60, v238, -v3
	v_add_f32_e32 v2, v2, v3
	s_waitcnt vmcnt(22) lgkmcnt(1)
	v_mul_f32_e32 v3, v63, v241
	v_fma_f32 v3, v62, v240, -v3
	v_add_f32_e32 v2, v2, v3
	s_waitcnt vmcnt(20)
	v_mul_f32_e32 v3, v65, v243
	v_mul_f32_e32 v73, v62, v241
	v_fma_f32 v3, v64, v242, -v3
	v_fmac_f32_e32 v73, v63, v240
	v_add_f32_e32 v70, v2, v3
	s_waitcnt vmcnt(18) lgkmcnt(0)
	v_mul_f32_e32 v2, v67, v245
	v_add_f32_e32 v71, v71, v73
	v_mul_f32_e32 v73, v64, v243
	v_fma_f32 v72, v66, v244, -v2
	s_waitcnt vmcnt(16)
	v_mul_f32_e32 v2, v69, v247
	v_fmac_f32_e32 v73, v65, v242
	v_fma_f32 v176, v68, v246, -v2
	ds_read_b128 v[2:5], v20 offset:704
	ds_read_b128 v[6:9], v20 offset:720
	;; [unrolled: 1-line block ×4, first 2 shown]
	v_add_f32_e32 v71, v71, v73
	v_mul_f32_e32 v73, v66, v245
	s_waitcnt vmcnt(11)
	v_mov_b32_e32 v22, v175
	v_fmac_f32_e32 v73, v67, v244
	v_mul_f32_e32 v177, v68, v247
	s_waitcnt lgkmcnt(3)
	v_pk_mul_f32 v[22:23], v[2:3], v[22:23] op_sel_hi:[1,0]
	v_fmac_f32_e32 v177, v69, v246
	v_pk_add_f32 v[20:21], v[70:71], v[72:73]
	s_waitcnt vmcnt(10)
	v_pk_fma_f32 v[24:25], v[2:3], v[174:175], v[22:23] op_sel:[0,0,1] op_sel_hi:[1,1,0] neg_lo:[0,0,1] neg_hi:[0,0,1]
	v_pk_fma_f32 v[2:3], v[2:3], v[174:175], v[22:23] op_sel:[0,0,1] op_sel_hi:[1,0,0]
	v_pk_add_f32 v[20:21], v[20:21], v[176:177]
	v_mov_b32_e32 v25, v3
	v_pk_add_f32 v[2:3], v[20:21], v[24:25]
	v_mov_b32_e32 v20, v77
	v_pk_mul_f32 v[20:21], v[4:5], v[20:21] op_sel_hi:[1,0]
	v_pk_fma_f32 v[22:23], v[4:5], v[76:77], v[20:21] op_sel:[0,0,1] op_sel_hi:[1,1,0] neg_lo:[0,0,1] neg_hi:[0,0,1]
	v_pk_fma_f32 v[4:5], v[4:5], v[76:77], v[20:21] op_sel:[0,0,1] op_sel_hi:[1,0,0]
	v_mov_b32_e32 v4, v75
	v_mov_b32_e32 v23, v5
	s_waitcnt lgkmcnt(2)
	v_pk_mul_f32 v[4:5], v[6:7], v[4:5] op_sel_hi:[1,0]
	v_pk_fma_f32 v[20:21], v[6:7], v[74:75], v[4:5] op_sel:[0,0,1] op_sel_hi:[1,1,0] neg_lo:[0,0,1] neg_hi:[0,0,1]
	v_pk_fma_f32 v[4:5], v[6:7], v[74:75], v[4:5] op_sel:[0,0,1] op_sel_hi:[1,0,0]
	s_waitcnt vmcnt(3)
	v_mov_b32_e32 v4, v185
	v_mov_b32_e32 v21, v5
	v_pk_mul_f32 v[4:5], v[8:9], v[4:5] op_sel_hi:[1,0]
	s_waitcnt vmcnt(2)
	v_pk_fma_f32 v[6:7], v[8:9], v[184:185], v[4:5] op_sel:[0,0,1] op_sel_hi:[1,1,0] neg_lo:[0,0,1] neg_hi:[0,0,1]
	v_pk_fma_f32 v[4:5], v[8:9], v[184:185], v[4:5] op_sel:[0,0,1] op_sel_hi:[1,0,0]
	v_pk_add_f32 v[2:3], v[2:3], v[22:23]
	v_mov_b32_e32 v4, v183
	v_pk_add_f32 v[2:3], v[2:3], v[20:21]
	v_mov_b32_e32 v7, v5
	s_waitcnt lgkmcnt(1)
	v_pk_mul_f32 v[4:5], v[10:11], v[4:5] op_sel_hi:[1,0]
	v_pk_add_f32 v[2:3], v[2:3], v[6:7]
	v_pk_fma_f32 v[6:7], v[10:11], v[182:183], v[4:5] op_sel:[0,0,1] op_sel_hi:[1,1,0] neg_lo:[0,0,1] neg_hi:[0,0,1]
	v_pk_fma_f32 v[4:5], v[10:11], v[182:183], v[4:5] op_sel:[0,0,1] op_sel_hi:[1,0,0]
	v_mov_b32_e32 v4, v181
	v_mov_b32_e32 v7, v5
	v_pk_mul_f32 v[4:5], v[12:13], v[4:5] op_sel_hi:[1,0]
	v_pk_add_f32 v[2:3], v[2:3], v[6:7]
	v_pk_fma_f32 v[6:7], v[12:13], v[180:181], v[4:5] op_sel:[0,0,1] op_sel_hi:[1,1,0] neg_lo:[0,0,1] neg_hi:[0,0,1]
	v_pk_fma_f32 v[4:5], v[12:13], v[180:181], v[4:5] op_sel:[0,0,1] op_sel_hi:[1,0,0]
	v_mov_b32_e32 v4, v179
	v_mov_b32_e32 v7, v5
	s_waitcnt lgkmcnt(0)
	v_pk_mul_f32 v[4:5], v[14:15], v[4:5] op_sel_hi:[1,0]
	v_pk_add_f32 v[2:3], v[2:3], v[6:7]
	v_pk_fma_f32 v[6:7], v[14:15], v[178:179], v[4:5] op_sel:[0,0,1] op_sel_hi:[1,1,0] neg_lo:[0,0,1] neg_hi:[0,0,1]
	v_pk_fma_f32 v[4:5], v[14:15], v[178:179], v[4:5] op_sel:[0,0,1] op_sel_hi:[1,0,0]
	s_waitcnt vmcnt(1)
	v_mov_b32_e32 v4, v187
	v_mov_b32_e32 v7, v5
	v_pk_mul_f32 v[4:5], v[16:17], v[4:5] op_sel_hi:[1,0]
	v_pk_add_f32 v[2:3], v[2:3], v[6:7]
	s_waitcnt vmcnt(0)
	v_pk_fma_f32 v[6:7], v[16:17], v[186:187], v[4:5] op_sel:[0,0,1] op_sel_hi:[1,1,0] neg_lo:[0,0,1] neg_hi:[0,0,1]
	v_pk_fma_f32 v[4:5], v[16:17], v[186:187], v[4:5] op_sel:[0,0,1] op_sel_hi:[1,0,0]
	v_mov_b32_e32 v7, v5
	v_pk_add_f32 v[2:3], v[2:3], v[6:7]
	v_pk_add_f32 v[2:3], v[18:19], v[2:3] neg_lo:[0,1] neg_hi:[0,1]
	buffer_store_dword v3, off, s[0:3], 0 offset:60
	buffer_store_dword v2, off, s[0:3], 0 offset:56
	s_and_saveexec_b64 s[4:5], vcc
	s_cbranch_execz .LBB111_289
; %bb.288:
	buffer_load_dword v2, off, s[0:3], 0 offset:48
	buffer_load_dword v3, off, s[0:3], 0 offset:52
	v_mov_b32_e32 v4, 0
	v_accvgpr_read_b32 v1, a20
	buffer_store_dword v4, off, s[0:3], 0 offset:48
	buffer_store_dword v4, off, s[0:3], 0 offset:52
	s_waitcnt vmcnt(2)
	ds_write_b64 v1, v[2:3]
.LBB111_289:
	s_or_b64 exec, exec, s[4:5]
	s_waitcnt lgkmcnt(0)
	; wave barrier
	s_waitcnt lgkmcnt(0)
	buffer_load_dword v174, off, s[0:3], 0 offset:60
	buffer_load_dword v191, off, s[0:3], 0 offset:68
	;; [unrolled: 1-line block ×58, first 2 shown]
	v_mov_b32_e32 v190, 0
	ds_read2_b64 v[22:25], v190 offset0:55 offset1:56
	ds_read2_b64 v[18:21], v190 offset0:57 offset1:58
	;; [unrolled: 1-line block ×5, first 2 shown]
	buffer_load_dword v244, off, s[0:3], 0 offset:284
	buffer_load_dword v245, off, s[0:3], 0 offset:280
	;; [unrolled: 1-line block ×6, first 2 shown]
	v_cmp_lt_u32_e32 vcc, 5, v0
	s_waitcnt vmcnt(62) lgkmcnt(4)
	v_mul_f32_e32 v2, v22, v174
	v_mul_f32_e32 v3, v24, v191
	s_waitcnt vmcnt(61) lgkmcnt(3)
	v_mul_f32_e32 v4, v18, v74
	s_waitcnt vmcnt(60)
	v_mul_f32_e32 v5, v20, v192
	s_waitcnt vmcnt(59) lgkmcnt(2)
	v_mul_f32_e32 v26, v14, v193
	s_waitcnt vmcnt(58)
	v_mul_f32_e32 v27, v16, v194
	s_waitcnt vmcnt(57) lgkmcnt(1)
	v_mul_f32_e32 v28, v10, v76
	s_waitcnt vmcnt(56)
	v_mul_f32_e32 v29, v12, v195
	s_waitcnt vmcnt(55)
	v_fmac_f32_e32 v2, v23, v207
	s_waitcnt vmcnt(54)
	v_fmac_f32_e32 v3, v25, v205
	v_add_f32_e32 v2, 0, v2
	s_waitcnt vmcnt(53)
	v_fmac_f32_e32 v4, v19, v206
	v_add_f32_e32 v2, v2, v3
	;; [unrolled: 3-line block ×7, first 2 shown]
	v_add_f32_e32 v2, v2, v29
	ds_read2_b64 v[26:29], v190 offset0:65 offset1:66
	s_waitcnt vmcnt(47) lgkmcnt(1)
	v_mul_f32_e32 v3, v6, v199
	s_waitcnt vmcnt(46)
	v_fmac_f32_e32 v3, v7, v198
	v_add_f32_e32 v2, v2, v3
	s_waitcnt vmcnt(45)
	v_mul_f32_e32 v3, v8, v197
	buffer_load_dword v250, off, s[0:3], 0 offset:308
	buffer_load_dword v251, off, s[0:3], 0 offset:304
	;; [unrolled: 1-line block ×4, first 2 shown]
	s_waitcnt vmcnt(46)
	v_fmac_f32_e32 v3, v9, v202
	ds_read2_b64 v[30:33], v190 offset0:67 offset1:68
	ds_read2_b64 v[34:37], v190 offset0:69 offset1:70
	v_add_f32_e32 v2, v2, v3
	s_waitcnt vmcnt(44) lgkmcnt(2)
	v_mul_f32_e32 v3, v26, v209
	v_fmac_f32_e32 v3, v27, v208
	v_add_f32_e32 v2, v2, v3
	s_waitcnt vmcnt(42)
	v_mul_f32_e32 v3, v28, v211
	v_fmac_f32_e32 v3, v29, v210
	v_add_f32_e32 v2, v2, v3
	s_waitcnt vmcnt(40) lgkmcnt(1)
	v_mul_f32_e32 v3, v30, v213
	v_fmac_f32_e32 v3, v31, v212
	v_add_f32_e32 v2, v2, v3
	s_waitcnt vmcnt(38)
	v_mul_f32_e32 v3, v32, v215
	v_fmac_f32_e32 v3, v33, v214
	ds_read2_b64 v[38:41], v190 offset0:71 offset1:72
	ds_read2_b64 v[42:45], v190 offset0:73 offset1:74
	v_add_f32_e32 v2, v2, v3
	s_waitcnt vmcnt(36) lgkmcnt(2)
	v_mul_f32_e32 v3, v34, v217
	v_fmac_f32_e32 v3, v35, v216
	v_add_f32_e32 v2, v2, v3
	s_waitcnt vmcnt(34)
	v_mul_f32_e32 v3, v36, v219
	v_fmac_f32_e32 v3, v37, v218
	v_add_f32_e32 v2, v2, v3
	s_waitcnt vmcnt(32) lgkmcnt(1)
	v_mul_f32_e32 v3, v38, v221
	v_fmac_f32_e32 v3, v39, v220
	v_add_f32_e32 v2, v2, v3
	s_waitcnt vmcnt(30)
	v_mul_f32_e32 v3, v40, v223
	;; [unrolled: 18-line block ×4, first 2 shown]
	v_fmac_f32_e32 v3, v57, v238
	ds_read2_b64 v[62:65], v190 offset0:83 offset1:84
	ds_read2_b64 v[66:69], v190 offset0:85 offset1:86
	v_add_f32_e32 v2, v2, v3
	s_waitcnt vmcnt(12) lgkmcnt(2)
	v_mul_f32_e32 v3, v58, v241
	v_fmac_f32_e32 v3, v59, v240
	v_add_f32_e32 v2, v2, v3
	s_waitcnt vmcnt(10)
	v_mul_f32_e32 v3, v60, v243
	v_fmac_f32_e32 v3, v61, v242
	v_add_f32_e32 v2, v2, v3
	s_waitcnt vmcnt(9) lgkmcnt(1)
	v_mul_f32_e32 v3, v62, v244
	s_waitcnt vmcnt(8)
	v_fmac_f32_e32 v3, v63, v245
	v_add_f32_e32 v2, v2, v3
	s_waitcnt vmcnt(7)
	v_mul_f32_e32 v3, v64, v246
	s_waitcnt vmcnt(6)
	v_fmac_f32_e32 v3, v65, v247
	s_waitcnt vmcnt(5) lgkmcnt(0)
	v_mul_f32_e32 v73, v66, v248
	v_add_f32_e32 v72, v2, v3
	s_waitcnt vmcnt(4)
	v_fmac_f32_e32 v73, v67, v249
	ds_read2_b64 v[2:5], v190 offset0:87 offset1:88
	v_add_f32_e32 v77, v72, v73
	buffer_load_dword v73, off, s[0:3], 0 offset:324
	buffer_load_dword v72, off, s[0:3], 0 offset:320
	;; [unrolled: 1-line block ×16, first 2 shown]
	v_mul_f32_e32 v23, v23, v174
	v_fma_f32 v22, v22, v207, -v23
	v_mul_f32_e32 v23, v25, v191
	v_add_f32_e32 v22, 0, v22
	v_fma_f32 v23, v24, v205, -v23
	v_mul_f32_e32 v19, v19, v74
	v_add_f32_e32 v22, v22, v23
	;; [unrolled: 3-line block ×9, first 2 shown]
	v_fma_f32 v7, v8, v202, -v7
	v_add_f32_e32 v6, v6, v7
	v_mul_f32_e32 v7, v27, v209
	v_fma_f32 v7, v26, v208, -v7
	v_add_f32_e32 v6, v6, v7
	v_mul_f32_e32 v7, v29, v211
	;; [unrolled: 3-line block ×21, first 2 shown]
	v_fma_f32 v7, v66, v249, -v7
	s_waitcnt vmcnt(19)
	v_mul_f32_e32 v175, v68, v250
	s_waitcnt vmcnt(17) lgkmcnt(0)
	v_mul_f32_e32 v75, v2, v252
	v_add_f32_e32 v76, v6, v7
	v_mul_f32_e32 v6, v69, v250
	s_waitcnt vmcnt(15)
	v_mov_b32_e32 v20, v73
	v_fmac_f32_e32 v175, v69, v251
	v_fmac_f32_e32 v75, v3, v253
	v_fma_f32 v174, v68, v251, -v6
	v_mul_f32_e32 v3, v3, v252
	v_pk_mul_f32 v[20:21], v[4:5], v[20:21] op_sel_hi:[1,0]
	v_fma_f32 v74, v2, v253, -v3
	v_pk_add_f32 v[18:19], v[76:77], v[174:175]
	s_waitcnt vmcnt(14)
	v_pk_fma_f32 v[22:23], v[4:5], v[72:73], v[20:21] op_sel:[0,0,1] op_sel_hi:[1,1,0] neg_lo:[0,0,1] neg_hi:[0,0,1]
	v_pk_fma_f32 v[4:5], v[4:5], v[72:73], v[20:21] op_sel:[0,0,1] op_sel_hi:[1,0,0]
	ds_read2_b64 v[6:9], v190 offset0:89 offset1:90
	ds_read2_b64 v[10:13], v190 offset0:91 offset1:92
	ds_read2_b64 v[14:17], v190 offset0:93 offset1:94
	ds_read_b64 v[2:3], v190 offset:760
	v_pk_add_f32 v[18:19], v[18:19], v[74:75]
	v_mov_b32_e32 v23, v5
	v_pk_add_f32 v[4:5], v[18:19], v[22:23]
	s_waitcnt vmcnt(13)
	v_mov_b32_e32 v18, v189
	s_waitcnt lgkmcnt(3)
	v_pk_mul_f32 v[18:19], v[6:7], v[18:19] op_sel_hi:[1,0]
	s_waitcnt vmcnt(12)
	v_pk_fma_f32 v[20:21], v[6:7], v[188:189], v[18:19] op_sel:[0,0,1] op_sel_hi:[1,1,0] neg_lo:[0,0,1] neg_hi:[0,0,1]
	v_pk_fma_f32 v[6:7], v[6:7], v[188:189], v[18:19] op_sel:[0,0,1] op_sel_hi:[1,0,0]
	s_waitcnt vmcnt(11)
	v_mov_b32_e32 v6, v187
	v_mov_b32_e32 v21, v7
	v_pk_mul_f32 v[6:7], v[8:9], v[6:7] op_sel_hi:[1,0]
	s_waitcnt vmcnt(10)
	v_pk_fma_f32 v[18:19], v[8:9], v[186:187], v[6:7] op_sel:[0,0,1] op_sel_hi:[1,1,0] neg_lo:[0,0,1] neg_hi:[0,0,1]
	v_pk_fma_f32 v[6:7], v[8:9], v[186:187], v[6:7] op_sel:[0,0,1] op_sel_hi:[1,0,0]
	s_waitcnt vmcnt(9)
	v_mov_b32_e32 v6, v185
	v_mov_b32_e32 v19, v7
	s_waitcnt lgkmcnt(2)
	v_pk_mul_f32 v[6:7], v[10:11], v[6:7] op_sel_hi:[1,0]
	s_waitcnt vmcnt(8)
	v_pk_fma_f32 v[8:9], v[10:11], v[184:185], v[6:7] op_sel:[0,0,1] op_sel_hi:[1,1,0] neg_lo:[0,0,1] neg_hi:[0,0,1]
	v_pk_fma_f32 v[6:7], v[10:11], v[184:185], v[6:7] op_sel:[0,0,1] op_sel_hi:[1,0,0]
	v_pk_add_f32 v[4:5], v[4:5], v[20:21]
	s_waitcnt vmcnt(7)
	v_mov_b32_e32 v6, v183
	v_pk_add_f32 v[4:5], v[4:5], v[18:19]
	v_mov_b32_e32 v9, v7
	v_pk_mul_f32 v[6:7], v[12:13], v[6:7] op_sel_hi:[1,0]
	v_pk_add_f32 v[4:5], v[4:5], v[8:9]
	s_waitcnt vmcnt(6)
	v_pk_fma_f32 v[8:9], v[12:13], v[182:183], v[6:7] op_sel:[0,0,1] op_sel_hi:[1,1,0] neg_lo:[0,0,1] neg_hi:[0,0,1]
	v_pk_fma_f32 v[6:7], v[12:13], v[182:183], v[6:7] op_sel:[0,0,1] op_sel_hi:[1,0,0]
	s_waitcnt vmcnt(5)
	v_mov_b32_e32 v6, v181
	v_mov_b32_e32 v9, v7
	s_waitcnt lgkmcnt(1)
	v_pk_mul_f32 v[6:7], v[14:15], v[6:7] op_sel_hi:[1,0]
	v_pk_add_f32 v[4:5], v[4:5], v[8:9]
	s_waitcnt vmcnt(4)
	v_pk_fma_f32 v[8:9], v[14:15], v[180:181], v[6:7] op_sel:[0,0,1] op_sel_hi:[1,1,0] neg_lo:[0,0,1] neg_hi:[0,0,1]
	v_pk_fma_f32 v[6:7], v[14:15], v[180:181], v[6:7] op_sel:[0,0,1] op_sel_hi:[1,0,0]
	s_waitcnt vmcnt(3)
	v_mov_b32_e32 v6, v179
	v_mov_b32_e32 v9, v7
	v_pk_mul_f32 v[6:7], v[16:17], v[6:7] op_sel_hi:[1,0]
	v_pk_add_f32 v[4:5], v[4:5], v[8:9]
	s_waitcnt vmcnt(2)
	v_pk_fma_f32 v[8:9], v[16:17], v[178:179], v[6:7] op_sel:[0,0,1] op_sel_hi:[1,1,0] neg_lo:[0,0,1] neg_hi:[0,0,1]
	v_pk_fma_f32 v[6:7], v[16:17], v[178:179], v[6:7] op_sel:[0,0,1] op_sel_hi:[1,0,0]
	s_waitcnt vmcnt(1)
	v_mov_b32_e32 v6, v177
	v_mov_b32_e32 v9, v7
	s_waitcnt lgkmcnt(0)
	v_pk_mul_f32 v[6:7], v[2:3], v[6:7] op_sel_hi:[1,0]
	v_pk_add_f32 v[4:5], v[4:5], v[8:9]
	s_waitcnt vmcnt(0)
	v_pk_fma_f32 v[8:9], v[2:3], v[176:177], v[6:7] op_sel:[0,0,1] op_sel_hi:[1,1,0] neg_lo:[0,0,1] neg_hi:[0,0,1]
	v_pk_fma_f32 v[2:3], v[2:3], v[176:177], v[6:7] op_sel:[0,0,1] op_sel_hi:[1,0,0]
	v_mov_b32_e32 v9, v3
	v_pk_add_f32 v[2:3], v[4:5], v[8:9]
	v_pk_add_f32 v[2:3], v[70:71], v[2:3] neg_lo:[0,1] neg_hi:[0,1]
	buffer_store_dword v3, off, s[0:3], 0 offset:52
	buffer_store_dword v2, off, s[0:3], 0 offset:48
	s_and_saveexec_b64 s[4:5], vcc
	s_cbranch_execz .LBB111_291
; %bb.290:
	buffer_load_dword v2, off, s[0:3], 0 offset:40
	buffer_load_dword v3, off, s[0:3], 0 offset:44
	v_accvgpr_read_b32 v1, a20
	buffer_store_dword v190, off, s[0:3], 0 offset:40
	buffer_store_dword v190, off, s[0:3], 0 offset:44
	s_waitcnt vmcnt(2)
	ds_write_b64 v1, v[2:3]
.LBB111_291:
	s_or_b64 exec, exec, s[4:5]
	s_waitcnt lgkmcnt(0)
	; wave barrier
	s_waitcnt lgkmcnt(0)
	buffer_load_dword v174, off, s[0:3], 0 offset:52
	buffer_load_dword v176, off, s[0:3], 0 offset:60
	;; [unrolled: 1-line block ×24, first 2 shown]
	ds_read_b128 v[22:25], v190 offset:432
	ds_read_b128 v[18:21], v190 offset:448
	;; [unrolled: 1-line block ×4, first 2 shown]
	buffer_load_dword v214, off, s[0:3], 0 offset:136
	buffer_load_dword v215, off, s[0:3], 0 offset:140
	ds_read_b128 v[10:13], v190 offset:496
	ds_read_b128 v[2:5], v190 offset:512
	buffer_load_dword v216, off, s[0:3], 0 offset:144
	buffer_load_dword v217, off, s[0:3], 0 offset:148
	;; [unrolled: 1-line block ×44, first 2 shown]
	v_cmp_lt_u32_e32 vcc, 4, v0
	s_waitcnt vmcnt(62) lgkmcnt(5)
	v_mul_f32_e32 v28, v22, v174
	v_mul_f32_e32 v29, v24, v176
	s_waitcnt lgkmcnt(4)
	v_mul_f32_e32 v31, v20, v178
	s_waitcnt lgkmcnt(3)
	v_mul_f32_e32 v32, v14, v191
	v_mul_f32_e32 v33, v16, v196
	;; [unrolled: 1-line block ×3, first 2 shown]
	s_waitcnt lgkmcnt(2)
	v_mul_f32_e32 v34, v6, v198
	v_mul_f32_e32 v35, v8, v199
	s_waitcnt vmcnt(61)
	v_fmac_f32_e32 v30, v19, v200
	s_waitcnt vmcnt(60)
	v_fmac_f32_e32 v29, v25, v201
	;; [unrolled: 2-line block ×3, first 2 shown]
	v_add_f32_e32 v28, 0, v28
	v_add_f32_e32 v28, v28, v29
	v_add_f32_e32 v28, v28, v30
	s_waitcnt vmcnt(55)
	v_fmac_f32_e32 v31, v21, v206
	v_fmac_f32_e32 v32, v15, v205
	v_add_f32_e32 v28, v28, v31
	v_fmac_f32_e32 v33, v17, v204
	v_add_f32_e32 v28, v28, v32
	;; [unrolled: 2-line block ×3, first 2 shown]
	s_waitcnt vmcnt(51)
	v_fmac_f32_e32 v35, v9, v210
	v_add_f32_e32 v28, v28, v34
	s_waitcnt vmcnt(50) lgkmcnt(1)
	v_mul_f32_e32 v29, v10, v211
	v_add_f32_e32 v28, v28, v35
	v_fmac_f32_e32 v29, v11, v209
	v_add_f32_e32 v28, v28, v29
	s_waitcnt vmcnt(49)
	v_mul_f32_e32 v29, v12, v212
	v_fmac_f32_e32 v29, v13, v208
	v_add_f32_e32 v28, v28, v29
	s_waitcnt vmcnt(48) lgkmcnt(0)
	v_mul_f32_e32 v29, v2, v213
	v_fmac_f32_e32 v29, v3, v207
	v_add_f32_e32 v32, v28, v29
	ds_read_b128 v[28:31], v190 offset:528
	s_waitcnt vmcnt(44)
	v_mul_f32_e32 v33, v4, v215
	v_fmac_f32_e32 v33, v5, v214
	v_add_f32_e32 v36, v32, v33
	ds_read_b128 v[32:35], v190 offset:544
	s_waitcnt vmcnt(42) lgkmcnt(1)
	v_mul_f32_e32 v37, v28, v217
	v_fmac_f32_e32 v37, v29, v216
	v_add_f32_e32 v36, v36, v37
	s_waitcnt vmcnt(40)
	v_mul_f32_e32 v37, v30, v219
	v_fmac_f32_e32 v37, v31, v218
	v_add_f32_e32 v36, v36, v37
	s_waitcnt vmcnt(38) lgkmcnt(0)
	v_mul_f32_e32 v37, v32, v221
	v_fmac_f32_e32 v37, v33, v220
	v_add_f32_e32 v40, v36, v37
	ds_read_b128 v[36:39], v190 offset:560
	s_waitcnt vmcnt(36)
	v_mul_f32_e32 v41, v34, v223
	v_fmac_f32_e32 v41, v35, v222
	v_add_f32_e32 v44, v40, v41
	ds_read_b128 v[40:43], v190 offset:576
	s_waitcnt vmcnt(34) lgkmcnt(1)
	v_mul_f32_e32 v45, v36, v225
	;; [unrolled: 18-line block ×4, first 2 shown]
	v_fmac_f32_e32 v61, v53, v240
	v_add_f32_e32 v60, v60, v61
	s_waitcnt vmcnt(16)
	v_mul_f32_e32 v61, v54, v243
	v_fmac_f32_e32 v61, v55, v242
	v_add_f32_e32 v60, v60, v61
	s_waitcnt vmcnt(14) lgkmcnt(0)
	v_mul_f32_e32 v61, v56, v245
	v_fmac_f32_e32 v61, v57, v244
	v_add_f32_e32 v64, v60, v61
	ds_read_b128 v[60:63], v190 offset:656
	s_waitcnt vmcnt(12)
	v_mul_f32_e32 v65, v58, v247
	v_fmac_f32_e32 v65, v59, v246
	v_add_f32_e32 v68, v64, v65
	ds_read_b128 v[64:67], v190 offset:672
	buffer_load_dword v77, off, s[0:3], 0 offset:324
	buffer_load_dword v76, off, s[0:3], 0 offset:320
	s_waitcnt vmcnt(12) lgkmcnt(1)
	v_mul_f32_e32 v69, v60, v249
	v_fmac_f32_e32 v69, v61, v248
	v_add_f32_e32 v68, v68, v69
	s_waitcnt vmcnt(10)
	v_mul_f32_e32 v69, v62, v251
	v_fmac_f32_e32 v69, v63, v250
	v_add_f32_e32 v68, v68, v69
	s_waitcnt vmcnt(8) lgkmcnt(0)
	v_mul_f32_e32 v69, v64, v253
	v_fmac_f32_e32 v69, v65, v252
	s_waitcnt vmcnt(6)
	v_mul_f32_e32 v73, v66, v255
	v_add_f32_e32 v72, v68, v69
	v_fmac_f32_e32 v73, v67, v254
	ds_read_b128 v[68:71], v190 offset:688
	v_add_f32_e32 v175, v72, v73
	ds_read_b128 v[72:75], v190 offset:704
	buffer_load_dword v181, off, s[0:3], 0 offset:356
	buffer_load_dword v180, off, s[0:3], 0 offset:352
	buffer_load_dword v183, off, s[0:3], 0 offset:348
	buffer_load_dword v182, off, s[0:3], 0 offset:344
	buffer_load_dword v185, off, s[0:3], 0 offset:340
	buffer_load_dword v184, off, s[0:3], 0 offset:336
	buffer_load_dword v187, off, s[0:3], 0 offset:332
	buffer_load_dword v186, off, s[0:3], 0 offset:328
	buffer_load_dword v189, off, s[0:3], 0 offset:380
	buffer_load_dword v188, off, s[0:3], 0 offset:376
	buffer_load_dword v193, off, s[0:3], 0 offset:372
	buffer_load_dword v192, off, s[0:3], 0 offset:368
	buffer_load_dword v195, off, s[0:3], 0 offset:364
	buffer_load_dword v194, off, s[0:3], 0 offset:360
	v_mul_f32_e32 v23, v23, v174
	v_fma_f32 v22, v22, v202, -v23
	v_mul_f32_e32 v23, v25, v176
	v_add_f32_e32 v22, 0, v22
	v_fma_f32 v23, v24, v201, -v23
	v_mul_f32_e32 v19, v19, v197
	v_add_f32_e32 v22, v22, v23
	v_fma_f32 v18, v18, v200, -v19
	v_mul_f32_e32 v19, v21, v178
	v_add_f32_e32 v18, v22, v18
	v_fma_f32 v19, v20, v206, -v19
	v_mul_f32_e32 v15, v15, v191
	v_add_f32_e32 v18, v18, v19
	v_fma_f32 v14, v14, v205, -v15
	v_mul_f32_e32 v15, v17, v196
	v_add_f32_e32 v14, v18, v14
	v_fma_f32 v15, v16, v204, -v15
	v_mul_f32_e32 v7, v7, v198
	v_add_f32_e32 v14, v14, v15
	v_fma_f32 v6, v6, v203, -v7
	v_mul_f32_e32 v7, v9, v199
	v_add_f32_e32 v6, v14, v6
	v_fma_f32 v7, v8, v210, -v7
	v_add_f32_e32 v6, v6, v7
	v_mul_f32_e32 v7, v11, v211
	v_fma_f32 v7, v10, v209, -v7
	v_add_f32_e32 v6, v6, v7
	v_mul_f32_e32 v7, v13, v212
	v_fma_f32 v7, v12, v208, -v7
	v_mul_f32_e32 v3, v3, v213
	v_add_f32_e32 v6, v6, v7
	v_fma_f32 v2, v2, v207, -v3
	v_mul_f32_e32 v3, v5, v215
	v_add_f32_e32 v2, v6, v2
	v_fma_f32 v3, v4, v214, -v3
	v_add_f32_e32 v2, v2, v3
	v_mul_f32_e32 v3, v29, v217
	v_fma_f32 v3, v28, v216, -v3
	v_add_f32_e32 v2, v2, v3
	v_mul_f32_e32 v3, v31, v219
	;; [unrolled: 3-line block ×20, first 2 shown]
	v_fma_f32 v3, v66, v254, -v3
	s_waitcnt vmcnt(15)
	v_mov_b32_e32 v16, v77
	s_waitcnt lgkmcnt(1)
	v_mul_f32_e32 v177, v68, v78
	v_add_f32_e32 v174, v2, v3
	v_mul_f32_e32 v2, v69, v78
	s_waitcnt lgkmcnt(0)
	v_pk_mul_f32 v[16:17], v[72:73], v[16:17] op_sel_hi:[1,0]
	v_fmac_f32_e32 v177, v69, v1
	v_mul_f32_e32 v179, v70, v80
	v_fma_f32 v176, v68, v1, -v2
	v_mul_f32_e32 v1, v71, v80
	s_waitcnt vmcnt(14)
	v_pk_fma_f32 v[18:19], v[72:73], v[76:77], v[16:17] op_sel:[0,0,1] op_sel_hi:[1,1,0] neg_lo:[0,0,1] neg_hi:[0,0,1]
	v_pk_fma_f32 v[16:17], v[72:73], v[76:77], v[16:17] op_sel:[0,0,1] op_sel_hi:[1,0,0]
	v_fmac_f32_e32 v179, v71, v79
	v_fma_f32 v178, v70, v79, -v1
	v_pk_add_f32 v[14:15], v[174:175], v[176:177]
	s_waitcnt vmcnt(7)
	v_mov_b32_e32 v16, v187
	ds_read_b128 v[2:5], v190 offset:720
	ds_read_b128 v[6:9], v190 offset:736
	;; [unrolled: 1-line block ×3, first 2 shown]
	v_pk_add_f32 v[14:15], v[14:15], v[178:179]
	v_mov_b32_e32 v19, v17
	v_pk_mul_f32 v[16:17], v[74:75], v[16:17] op_sel_hi:[1,0]
	v_pk_add_f32 v[14:15], v[14:15], v[18:19]
	s_waitcnt vmcnt(6)
	v_pk_fma_f32 v[18:19], v[74:75], v[186:187], v[16:17] op_sel:[0,0,1] op_sel_hi:[1,1,0] neg_lo:[0,0,1] neg_hi:[0,0,1]
	v_pk_fma_f32 v[16:17], v[74:75], v[186:187], v[16:17] op_sel:[0,0,1] op_sel_hi:[1,0,0]
	v_mov_b32_e32 v16, v185
	v_mov_b32_e32 v19, v17
	s_waitcnt lgkmcnt(2)
	v_pk_mul_f32 v[16:17], v[2:3], v[16:17] op_sel_hi:[1,0]
	v_pk_add_f32 v[14:15], v[14:15], v[18:19]
	v_pk_fma_f32 v[18:19], v[2:3], v[184:185], v[16:17] op_sel:[0,0,1] op_sel_hi:[1,1,0] neg_lo:[0,0,1] neg_hi:[0,0,1]
	v_pk_fma_f32 v[2:3], v[2:3], v[184:185], v[16:17] op_sel:[0,0,1] op_sel_hi:[1,0,0]
	v_mov_b32_e32 v19, v3
	v_pk_add_f32 v[2:3], v[14:15], v[18:19]
	v_mov_b32_e32 v14, v183
	v_pk_mul_f32 v[14:15], v[4:5], v[14:15] op_sel_hi:[1,0]
	v_pk_fma_f32 v[16:17], v[4:5], v[182:183], v[14:15] op_sel:[0,0,1] op_sel_hi:[1,1,0] neg_lo:[0,0,1] neg_hi:[0,0,1]
	v_pk_fma_f32 v[4:5], v[4:5], v[182:183], v[14:15] op_sel:[0,0,1] op_sel_hi:[1,0,0]
	v_mov_b32_e32 v4, v181
	v_mov_b32_e32 v17, v5
	s_waitcnt lgkmcnt(1)
	v_pk_mul_f32 v[4:5], v[6:7], v[4:5] op_sel_hi:[1,0]
	v_pk_fma_f32 v[14:15], v[6:7], v[180:181], v[4:5] op_sel:[0,0,1] op_sel_hi:[1,1,0] neg_lo:[0,0,1] neg_hi:[0,0,1]
	v_pk_fma_f32 v[4:5], v[6:7], v[180:181], v[4:5] op_sel:[0,0,1] op_sel_hi:[1,0,0]
	s_waitcnt vmcnt(1)
	v_mov_b32_e32 v4, v195
	v_mov_b32_e32 v15, v5
	v_pk_mul_f32 v[4:5], v[8:9], v[4:5] op_sel_hi:[1,0]
	s_waitcnt vmcnt(0)
	v_pk_fma_f32 v[6:7], v[8:9], v[194:195], v[4:5] op_sel:[0,0,1] op_sel_hi:[1,1,0] neg_lo:[0,0,1] neg_hi:[0,0,1]
	v_pk_fma_f32 v[4:5], v[8:9], v[194:195], v[4:5] op_sel:[0,0,1] op_sel_hi:[1,0,0]
	v_pk_add_f32 v[2:3], v[2:3], v[16:17]
	v_mov_b32_e32 v4, v193
	v_pk_add_f32 v[2:3], v[2:3], v[14:15]
	v_mov_b32_e32 v7, v5
	s_waitcnt lgkmcnt(0)
	v_pk_mul_f32 v[4:5], v[10:11], v[4:5] op_sel_hi:[1,0]
	v_pk_add_f32 v[2:3], v[2:3], v[6:7]
	v_pk_fma_f32 v[6:7], v[10:11], v[192:193], v[4:5] op_sel:[0,0,1] op_sel_hi:[1,1,0] neg_lo:[0,0,1] neg_hi:[0,0,1]
	v_pk_fma_f32 v[4:5], v[10:11], v[192:193], v[4:5] op_sel:[0,0,1] op_sel_hi:[1,0,0]
	v_mov_b32_e32 v4, v189
	v_mov_b32_e32 v7, v5
	v_pk_mul_f32 v[4:5], v[12:13], v[4:5] op_sel_hi:[1,0]
	v_pk_add_f32 v[2:3], v[2:3], v[6:7]
	v_pk_fma_f32 v[6:7], v[12:13], v[188:189], v[4:5] op_sel:[0,0,1] op_sel_hi:[1,1,0] neg_lo:[0,0,1] neg_hi:[0,0,1]
	v_pk_fma_f32 v[4:5], v[12:13], v[188:189], v[4:5] op_sel:[0,0,1] op_sel_hi:[1,0,0]
	v_mov_b32_e32 v7, v5
	v_pk_add_f32 v[2:3], v[2:3], v[6:7]
	v_pk_add_f32 v[2:3], v[26:27], v[2:3] neg_lo:[0,1] neg_hi:[0,1]
	buffer_store_dword v3, off, s[0:3], 0 offset:44
	buffer_store_dword v2, off, s[0:3], 0 offset:40
	s_and_saveexec_b64 s[4:5], vcc
	s_cbranch_execz .LBB111_293
; %bb.292:
	buffer_load_dword v2, off, s[0:3], 0 offset:32
	buffer_load_dword v3, off, s[0:3], 0 offset:36
	v_mov_b32_e32 v1, 0
	v_accvgpr_read_b32 v4, a20
	buffer_store_dword v1, off, s[0:3], 0 offset:32
	buffer_store_dword v1, off, s[0:3], 0 offset:36
	s_waitcnt vmcnt(2)
	ds_write_b64 v4, v[2:3]
.LBB111_293:
	s_or_b64 exec, exec, s[4:5]
	s_waitcnt lgkmcnt(0)
	; wave barrier
	s_waitcnt lgkmcnt(0)
	buffer_load_dword v1, off, s[0:3], 0 offset:44
	buffer_load_dword v29, off, s[0:3], 0 offset:52
	;; [unrolled: 1-line block ×56, first 2 shown]
	v_mov_b32_e32 v28, 0
	ds_read2_b64 v[4:7], v28 offset0:53 offset1:54
	ds_read2_b64 v[8:11], v28 offset0:55 offset1:56
	;; [unrolled: 1-line block ×6, first 2 shown]
	buffer_load_dword v241, off, s[0:3], 0 offset:256
	buffer_load_dword v242, off, s[0:3], 0 offset:260
	;; [unrolled: 1-line block ×16, first 2 shown]
	v_cmp_lt_u32_e32 vcc, 3, v0
	s_waitcnt vmcnt(62) lgkmcnt(5)
	v_mul_f32_e32 v30, v4, v1
	v_mul_f32_e32 v31, v6, v29
	s_waitcnt lgkmcnt(4)
	v_mul_f32_e32 v33, v10, v78
	s_waitcnt lgkmcnt(3)
	v_mul_f32_e32 v34, v12, v79
	v_mul_f32_e32 v35, v14, v80
	;; [unrolled: 1-line block ×3, first 2 shown]
	s_waitcnt lgkmcnt(2)
	v_mul_f32_e32 v36, v16, v174
	v_mul_f32_e32 v37, v18, v176
	s_waitcnt lgkmcnt(1)
	v_mul_f32_e32 v38, v20, v178
	v_fmac_f32_e32 v32, v9, v196
	s_waitcnt vmcnt(61)
	v_fmac_f32_e32 v31, v7, v197
	s_waitcnt vmcnt(60)
	v_fmac_f32_e32 v30, v5, v198
	v_add_f32_e32 v30, 0, v30
	v_add_f32_e32 v30, v30, v31
	;; [unrolled: 1-line block ×3, first 2 shown]
	s_waitcnt vmcnt(56)
	v_fmac_f32_e32 v33, v11, v202
	v_fmac_f32_e32 v34, v13, v201
	v_add_f32_e32 v30, v30, v33
	v_fmac_f32_e32 v35, v15, v200
	v_add_f32_e32 v30, v30, v34
	;; [unrolled: 2-line block ×3, first 2 shown]
	s_waitcnt vmcnt(52)
	v_fmac_f32_e32 v37, v19, v206
	v_add_f32_e32 v30, v30, v36
	v_add_f32_e32 v30, v30, v37
	v_fmac_f32_e32 v38, v21, v205
	s_waitcnt vmcnt(51)
	v_mul_f32_e32 v31, v22, v207
	v_add_f32_e32 v30, v30, v38
	v_fmac_f32_e32 v31, v23, v204
	v_add_f32_e32 v30, v30, v31
	s_waitcnt vmcnt(50) lgkmcnt(0)
	v_mul_f32_e32 v31, v24, v208
	v_fmac_f32_e32 v31, v25, v203
	v_add_f32_e32 v34, v30, v31
	ds_read2_b64 v[30:33], v28 offset0:65 offset1:66
	s_waitcnt vmcnt(46)
	v_mul_f32_e32 v35, v26, v210
	v_fmac_f32_e32 v35, v27, v209
	v_add_f32_e32 v38, v34, v35
	ds_read2_b64 v[34:37], v28 offset0:67 offset1:68
	s_waitcnt vmcnt(44) lgkmcnt(1)
	v_mul_f32_e32 v39, v30, v212
	v_fmac_f32_e32 v39, v31, v211
	v_add_f32_e32 v38, v38, v39
	s_waitcnt vmcnt(42)
	v_mul_f32_e32 v39, v32, v214
	v_fmac_f32_e32 v39, v33, v213
	v_add_f32_e32 v38, v38, v39
	s_waitcnt vmcnt(40) lgkmcnt(0)
	v_mul_f32_e32 v39, v34, v216
	v_fmac_f32_e32 v39, v35, v215
	v_add_f32_e32 v42, v38, v39
	ds_read2_b64 v[38:41], v28 offset0:69 offset1:70
	s_waitcnt vmcnt(38)
	v_mul_f32_e32 v43, v36, v218
	v_fmac_f32_e32 v43, v37, v217
	v_add_f32_e32 v46, v42, v43
	ds_read2_b64 v[42:45], v28 offset0:71 offset1:72
	s_waitcnt vmcnt(36) lgkmcnt(1)
	v_mul_f32_e32 v47, v38, v220
	v_fmac_f32_e32 v47, v39, v219
	v_add_f32_e32 v46, v46, v47
	s_waitcnt vmcnt(34)
	v_mul_f32_e32 v47, v40, v222
	;; [unrolled: 18-line block ×5, first 2 shown]
	v_fmac_f32_e32 v71, v65, v245
	v_add_f32_e32 v70, v70, v71
	s_waitcnt vmcnt(8) lgkmcnt(0)
	v_mul_f32_e32 v71, v66, v248
	v_fmac_f32_e32 v71, v67, v247
	s_waitcnt vmcnt(6)
	v_mul_f32_e32 v75, v68, v250
	v_add_f32_e32 v74, v70, v71
	v_fmac_f32_e32 v75, v69, v249
	ds_read2_b64 v[70:73], v28 offset0:85 offset1:86
	v_add_f32_e32 v83, v74, v75
	ds_read2_b64 v[74:77], v28 offset0:87 offset1:88
	buffer_load_dword v181, off, s[0:3], 0 offset:348
	buffer_load_dword v180, off, s[0:3], 0 offset:344
	;; [unrolled: 1-line block ×16, first 2 shown]
	v_mul_f32_e32 v1, v5, v1
	v_fma_f32 v1, v4, v198, -v1
	v_mul_f32_e32 v4, v7, v29
	v_add_f32_e32 v1, 0, v1
	v_fma_f32 v4, v6, v197, -v4
	v_add_f32_e32 v1, v1, v4
	v_mul_f32_e32 v4, v9, v81
	v_fma_f32 v4, v8, v196, -v4
	v_add_f32_e32 v1, v1, v4
	v_mul_f32_e32 v4, v11, v78
	;; [unrolled: 3-line block ×30, first 2 shown]
	v_fma_f32 v4, v68, v249, -v4
	v_add_f32_e32 v1, v1, v4
	s_waitcnt vmcnt(20) lgkmcnt(1)
	v_mul_f32_e32 v4, v71, v252
	v_mul_f32_e32 v175, v70, v252
	v_fma_f32 v4, v70, v251, -v4
	s_waitcnt vmcnt(9)
	v_mov_b32_e32 v20, v187
	v_fmac_f32_e32 v175, v71, v251
	v_mul_f32_e32 v177, v72, v254
	v_add_f32_e32 v174, v1, v4
	v_mul_f32_e32 v1, v73, v254
	s_waitcnt lgkmcnt(0)
	v_pk_mul_f32 v[20:21], v[76:77], v[20:21] op_sel_hi:[1,0]
	v_add_f32_e32 v175, v83, v175
	v_fmac_f32_e32 v177, v73, v253
	v_mul_f32_e32 v179, v74, v82
	v_fma_f32 v176, v72, v253, -v1
	v_mul_f32_e32 v1, v75, v82
	ds_read2_b64 v[4:7], v28 offset0:89 offset1:90
	ds_read2_b64 v[8:11], v28 offset0:91 offset1:92
	;; [unrolled: 1-line block ×3, first 2 shown]
	ds_read_b64 v[16:17], v28 offset:760
	s_waitcnt vmcnt(8)
	v_pk_fma_f32 v[22:23], v[76:77], v[186:187], v[20:21] op_sel:[0,0,1] op_sel_hi:[1,1,0] neg_lo:[0,0,1] neg_hi:[0,0,1]
	v_pk_fma_f32 v[20:21], v[76:77], v[186:187], v[20:21] op_sel:[0,0,1] op_sel_hi:[1,0,0]
	v_fmac_f32_e32 v179, v75, v255
	v_fma_f32 v178, v74, v255, -v1
	v_pk_add_f32 v[18:19], v[174:175], v[176:177]
	v_mov_b32_e32 v20, v185
	v_pk_add_f32 v[18:19], v[18:19], v[178:179]
	v_mov_b32_e32 v23, v21
	s_waitcnt lgkmcnt(3)
	v_pk_mul_f32 v[20:21], v[4:5], v[20:21] op_sel_hi:[1,0]
	v_pk_add_f32 v[18:19], v[18:19], v[22:23]
	v_pk_fma_f32 v[22:23], v[4:5], v[184:185], v[20:21] op_sel:[0,0,1] op_sel_hi:[1,1,0] neg_lo:[0,0,1] neg_hi:[0,0,1]
	v_pk_fma_f32 v[4:5], v[4:5], v[184:185], v[20:21] op_sel:[0,0,1] op_sel_hi:[1,0,0]
	v_mov_b32_e32 v23, v5
	v_pk_add_f32 v[4:5], v[18:19], v[22:23]
	v_mov_b32_e32 v18, v183
	v_pk_mul_f32 v[18:19], v[6:7], v[18:19] op_sel_hi:[1,0]
	v_pk_fma_f32 v[20:21], v[6:7], v[182:183], v[18:19] op_sel:[0,0,1] op_sel_hi:[1,1,0] neg_lo:[0,0,1] neg_hi:[0,0,1]
	v_pk_fma_f32 v[6:7], v[6:7], v[182:183], v[18:19] op_sel:[0,0,1] op_sel_hi:[1,0,0]
	v_mov_b32_e32 v6, v181
	v_mov_b32_e32 v21, v7
	s_waitcnt lgkmcnt(2)
	v_pk_mul_f32 v[6:7], v[8:9], v[6:7] op_sel_hi:[1,0]
	v_pk_fma_f32 v[18:19], v[8:9], v[180:181], v[6:7] op_sel:[0,0,1] op_sel_hi:[1,1,0] neg_lo:[0,0,1] neg_hi:[0,0,1]
	v_pk_fma_f32 v[6:7], v[8:9], v[180:181], v[6:7] op_sel:[0,0,1] op_sel_hi:[1,0,0]
	s_waitcnt vmcnt(1)
	v_mov_b32_e32 v6, v195
	v_mov_b32_e32 v19, v7
	v_pk_mul_f32 v[6:7], v[10:11], v[6:7] op_sel_hi:[1,0]
	s_waitcnt vmcnt(0)
	v_pk_fma_f32 v[8:9], v[10:11], v[194:195], v[6:7] op_sel:[0,0,1] op_sel_hi:[1,1,0] neg_lo:[0,0,1] neg_hi:[0,0,1]
	v_pk_fma_f32 v[6:7], v[10:11], v[194:195], v[6:7] op_sel:[0,0,1] op_sel_hi:[1,0,0]
	v_pk_add_f32 v[4:5], v[4:5], v[20:21]
	v_mov_b32_e32 v6, v193
	v_pk_add_f32 v[4:5], v[4:5], v[18:19]
	v_mov_b32_e32 v9, v7
	s_waitcnt lgkmcnt(1)
	v_pk_mul_f32 v[6:7], v[12:13], v[6:7] op_sel_hi:[1,0]
	v_pk_add_f32 v[4:5], v[4:5], v[8:9]
	v_pk_fma_f32 v[8:9], v[12:13], v[192:193], v[6:7] op_sel:[0,0,1] op_sel_hi:[1,1,0] neg_lo:[0,0,1] neg_hi:[0,0,1]
	v_pk_fma_f32 v[6:7], v[12:13], v[192:193], v[6:7] op_sel:[0,0,1] op_sel_hi:[1,0,0]
	v_mov_b32_e32 v6, v191
	v_mov_b32_e32 v9, v7
	v_pk_mul_f32 v[6:7], v[14:15], v[6:7] op_sel_hi:[1,0]
	v_pk_add_f32 v[4:5], v[4:5], v[8:9]
	v_pk_fma_f32 v[8:9], v[14:15], v[190:191], v[6:7] op_sel:[0,0,1] op_sel_hi:[1,1,0] neg_lo:[0,0,1] neg_hi:[0,0,1]
	v_pk_fma_f32 v[6:7], v[14:15], v[190:191], v[6:7] op_sel:[0,0,1] op_sel_hi:[1,0,0]
	v_mov_b32_e32 v6, v189
	v_mov_b32_e32 v9, v7
	s_waitcnt lgkmcnt(0)
	v_pk_mul_f32 v[6:7], v[16:17], v[6:7] op_sel_hi:[1,0]
	v_pk_add_f32 v[4:5], v[4:5], v[8:9]
	v_pk_fma_f32 v[8:9], v[16:17], v[188:189], v[6:7] op_sel:[0,0,1] op_sel_hi:[1,1,0] neg_lo:[0,0,1] neg_hi:[0,0,1]
	v_pk_fma_f32 v[6:7], v[16:17], v[188:189], v[6:7] op_sel:[0,0,1] op_sel_hi:[1,0,0]
	v_mov_b32_e32 v9, v7
	v_pk_add_f32 v[4:5], v[4:5], v[8:9]
	v_pk_add_f32 v[2:3], v[2:3], v[4:5] neg_lo:[0,1] neg_hi:[0,1]
	buffer_store_dword v3, off, s[0:3], 0 offset:36
	buffer_store_dword v2, off, s[0:3], 0 offset:32
	s_and_saveexec_b64 s[4:5], vcc
	s_cbranch_execz .LBB111_295
; %bb.294:
	buffer_load_dword v2, off, s[0:3], 0 offset:24
	buffer_load_dword v3, off, s[0:3], 0 offset:28
	v_accvgpr_read_b32 v1, a20
	buffer_store_dword v28, off, s[0:3], 0 offset:24
	buffer_store_dword v28, off, s[0:3], 0 offset:28
	s_waitcnt vmcnt(2)
	ds_write_b64 v1, v[2:3]
.LBB111_295:
	s_or_b64 exec, exec, s[4:5]
	s_waitcnt lgkmcnt(0)
	; wave barrier
	s_waitcnt lgkmcnt(0)
	buffer_load_dword v1, off, s[0:3], 0 offset:36
	buffer_load_dword v29, off, s[0:3], 0 offset:44
	;; [unrolled: 1-line block ×26, first 2 shown]
	ds_read_b128 v[22:25], v28 offset:416
	ds_read_b128 v[18:21], v28 offset:432
	;; [unrolled: 1-line block ×6, first 2 shown]
	buffer_load_dword v209, off, s[0:3], 0 offset:128
	buffer_load_dword v210, off, s[0:3], 0 offset:132
	;; [unrolled: 1-line block ×42, first 2 shown]
	v_cmp_lt_u32_e32 vcc, 2, v0
	s_waitcnt vmcnt(62) lgkmcnt(5)
	v_mul_f32_e32 v30, v22, v1
	v_mul_f32_e32 v31, v24, v29
	s_waitcnt lgkmcnt(4)
	v_mul_f32_e32 v33, v20, v78
	s_waitcnt lgkmcnt(3)
	v_mul_f32_e32 v34, v14, v79
	v_mul_f32_e32 v35, v16, v80
	;; [unrolled: 1-line block ×3, first 2 shown]
	s_waitcnt vmcnt(61) lgkmcnt(2)
	v_mul_f32_e32 v36, v10, v82
	s_waitcnt vmcnt(60)
	v_mul_f32_e32 v37, v12, v83
	s_waitcnt vmcnt(59) lgkmcnt(1)
	v_mul_f32_e32 v38, v6, v174
	s_waitcnt vmcnt(58)
	v_fmac_f32_e32 v32, v19, v176
	s_waitcnt vmcnt(57)
	v_fmac_f32_e32 v31, v25, v184
	s_waitcnt vmcnt(56)
	v_fmac_f32_e32 v30, v23, v196
	v_add_f32_e32 v30, 0, v30
	v_add_f32_e32 v30, v30, v31
	;; [unrolled: 1-line block ×3, first 2 shown]
	s_waitcnt vmcnt(52)
	v_fmac_f32_e32 v33, v21, v200
	v_fmac_f32_e32 v34, v15, v199
	v_add_f32_e32 v30, v30, v33
	v_fmac_f32_e32 v35, v17, v198
	v_add_f32_e32 v30, v30, v34
	;; [unrolled: 2-line block ×3, first 2 shown]
	s_waitcnt vmcnt(48)
	v_fmac_f32_e32 v37, v13, v204
	v_add_f32_e32 v30, v30, v36
	v_fmac_f32_e32 v38, v7, v203
	v_add_f32_e32 v30, v30, v37
	s_waitcnt vmcnt(47)
	v_mul_f32_e32 v31, v8, v205
	v_add_f32_e32 v30, v30, v38
	v_fmac_f32_e32 v31, v9, v202
	v_add_f32_e32 v30, v30, v31
	s_waitcnt vmcnt(46) lgkmcnt(0)
	v_mul_f32_e32 v31, v2, v206
	v_fmac_f32_e32 v31, v3, v201
	v_add_f32_e32 v34, v30, v31
	ds_read_b128 v[30:33], v28 offset:512
	s_waitcnt vmcnt(42)
	v_mul_f32_e32 v35, v4, v208
	v_fmac_f32_e32 v35, v5, v207
	buffer_load_dword v251, off, s[0:3], 0 offset:296
	buffer_load_dword v252, off, s[0:3], 0 offset:300
	v_add_f32_e32 v38, v34, v35
	buffer_load_dword v253, off, s[0:3], 0 offset:304
	buffer_load_dword v254, off, s[0:3], 0 offset:308
	ds_read_b128 v[34:37], v28 offset:528
	s_waitcnt vmcnt(44) lgkmcnt(1)
	v_mul_f32_e32 v39, v30, v210
	v_fmac_f32_e32 v39, v31, v209
	v_add_f32_e32 v38, v38, v39
	s_waitcnt vmcnt(42)
	v_mul_f32_e32 v39, v32, v212
	v_fmac_f32_e32 v39, v33, v211
	v_add_f32_e32 v38, v38, v39
	s_waitcnt vmcnt(40) lgkmcnt(0)
	v_mul_f32_e32 v39, v34, v214
	v_fmac_f32_e32 v39, v35, v213
	buffer_load_dword v255, off, s[0:3], 0 offset:312
	buffer_load_dword v84, off, s[0:3], 0 offset:316
	v_add_f32_e32 v42, v38, v39
	ds_read_b128 v[38:41], v28 offset:544
	s_waitcnt vmcnt(40)
	v_mul_f32_e32 v43, v36, v216
	v_fmac_f32_e32 v43, v37, v215
	v_add_f32_e32 v46, v42, v43
	ds_read_b128 v[42:45], v28 offset:560
	s_waitcnt vmcnt(38) lgkmcnt(1)
	v_mul_f32_e32 v47, v38, v218
	v_fmac_f32_e32 v47, v39, v217
	v_add_f32_e32 v46, v46, v47
	s_waitcnt vmcnt(36)
	v_mul_f32_e32 v47, v40, v220
	v_fmac_f32_e32 v47, v41, v219
	v_add_f32_e32 v46, v46, v47
	s_waitcnt vmcnt(34) lgkmcnt(0)
	v_mul_f32_e32 v47, v42, v222
	v_fmac_f32_e32 v47, v43, v221
	v_add_f32_e32 v50, v46, v47
	ds_read_b128 v[46:49], v28 offset:576
	s_waitcnt vmcnt(32)
	v_mul_f32_e32 v51, v44, v224
	v_fmac_f32_e32 v51, v45, v223
	v_add_f32_e32 v54, v50, v51
	ds_read_b128 v[50:53], v28 offset:592
	s_waitcnt vmcnt(30) lgkmcnt(1)
	v_mul_f32_e32 v55, v46, v226
	v_fmac_f32_e32 v55, v47, v225
	v_add_f32_e32 v54, v54, v55
	s_waitcnt vmcnt(28)
	v_mul_f32_e32 v55, v48, v228
	v_fmac_f32_e32 v55, v49, v227
	v_add_f32_e32 v54, v54, v55
	s_waitcnt vmcnt(26) lgkmcnt(0)
	v_mul_f32_e32 v55, v50, v230
	v_fmac_f32_e32 v55, v51, v229
	;; [unrolled: 18-line block ×4, first 2 shown]
	s_waitcnt vmcnt(8)
	v_mul_f32_e32 v75, v68, v248
	v_add_f32_e32 v74, v70, v71
	v_fmac_f32_e32 v75, v69, v247
	ds_read_b128 v[70:73], v28 offset:672
	v_add_f32_e32 v85, v74, v75
	ds_read_b128 v[74:77], v28 offset:688
	buffer_load_dword v179, off, s[0:3], 0 offset:340
	buffer_load_dword v178, off, s[0:3], 0 offset:336
	;; [unrolled: 1-line block ×16, first 2 shown]
	v_mul_f32_e32 v1, v23, v1
	v_fma_f32 v1, v22, v196, -v1
	v_mul_f32_e32 v22, v25, v29
	v_add_f32_e32 v1, 0, v1
	v_fma_f32 v22, v24, v184, -v22
	v_mul_f32_e32 v19, v19, v81
	v_add_f32_e32 v1, v1, v22
	v_fma_f32 v18, v18, v176, -v19
	v_add_f32_e32 v1, v1, v18
	v_mul_f32_e32 v18, v21, v78
	v_fma_f32 v18, v20, v200, -v18
	v_mul_f32_e32 v15, v15, v79
	v_add_f32_e32 v1, v1, v18
	v_fma_f32 v14, v14, v199, -v15
	v_add_f32_e32 v1, v1, v14
	v_mul_f32_e32 v14, v17, v80
	;; [unrolled: 6-line block ×5, first 2 shown]
	v_fma_f32 v2, v4, v207, -v2
	v_add_f32_e32 v1, v1, v2
	v_mul_f32_e32 v2, v31, v210
	v_fma_f32 v2, v30, v209, -v2
	v_add_f32_e32 v1, v1, v2
	v_mul_f32_e32 v2, v33, v212
	;; [unrolled: 3-line block ×20, first 2 shown]
	v_fma_f32 v2, v68, v247, -v2
	v_add_f32_e32 v1, v1, v2
	s_waitcnt vmcnt(22) lgkmcnt(1)
	v_mul_f32_e32 v2, v71, v250
	v_fma_f32 v2, v70, v249, -v2
	v_mul_f32_e32 v175, v70, v250
	v_add_f32_e32 v1, v1, v2
	s_waitcnt vmcnt(20)
	v_mul_f32_e32 v2, v73, v252
	v_fmac_f32_e32 v175, v71, v249
	v_fma_f32 v2, v72, v251, -v2
	v_add_f32_e32 v85, v85, v175
	v_mul_f32_e32 v175, v72, v252
	v_add_f32_e32 v174, v1, v2
	ds_read_b128 v[2:5], v28 offset:704
	ds_read_b128 v[6:9], v28 offset:720
	;; [unrolled: 1-line block ×4, first 2 shown]
	v_fmac_f32_e32 v175, v73, v251
	s_waitcnt vmcnt(18) lgkmcnt(4)
	v_mul_f32_e32 v177, v74, v254
	v_mul_f32_e32 v1, v75, v254
	s_waitcnt vmcnt(11)
	v_mov_b32_e32 v20, v183
	v_add_f32_e32 v175, v85, v175
	v_fmac_f32_e32 v177, v75, v253
	v_mul_f32_e32 v185, v76, v84
	v_fma_f32 v176, v74, v253, -v1
	v_mul_f32_e32 v1, v77, v84
	s_waitcnt lgkmcnt(3)
	v_pk_mul_f32 v[20:21], v[2:3], v[20:21] op_sel_hi:[1,0]
	v_fmac_f32_e32 v185, v77, v255
	v_fma_f32 v184, v76, v255, -v1
	v_pk_add_f32 v[18:19], v[174:175], v[176:177]
	s_waitcnt vmcnt(10)
	v_pk_fma_f32 v[22:23], v[2:3], v[182:183], v[20:21] op_sel:[0,0,1] op_sel_hi:[1,1,0] neg_lo:[0,0,1] neg_hi:[0,0,1]
	v_pk_fma_f32 v[2:3], v[2:3], v[182:183], v[20:21] op_sel:[0,0,1] op_sel_hi:[1,0,0]
	v_pk_add_f32 v[18:19], v[18:19], v[184:185]
	v_mov_b32_e32 v23, v3
	v_pk_add_f32 v[2:3], v[18:19], v[22:23]
	v_mov_b32_e32 v18, v181
	v_pk_mul_f32 v[18:19], v[4:5], v[18:19] op_sel_hi:[1,0]
	v_pk_fma_f32 v[20:21], v[4:5], v[180:181], v[18:19] op_sel:[0,0,1] op_sel_hi:[1,1,0] neg_lo:[0,0,1] neg_hi:[0,0,1]
	v_pk_fma_f32 v[4:5], v[4:5], v[180:181], v[18:19] op_sel:[0,0,1] op_sel_hi:[1,0,0]
	v_mov_b32_e32 v4, v179
	v_mov_b32_e32 v21, v5
	s_waitcnt lgkmcnt(2)
	v_pk_mul_f32 v[4:5], v[6:7], v[4:5] op_sel_hi:[1,0]
	v_pk_fma_f32 v[18:19], v[6:7], v[178:179], v[4:5] op_sel:[0,0,1] op_sel_hi:[1,1,0] neg_lo:[0,0,1] neg_hi:[0,0,1]
	v_pk_fma_f32 v[4:5], v[6:7], v[178:179], v[4:5] op_sel:[0,0,1] op_sel_hi:[1,0,0]
	s_waitcnt vmcnt(3)
	v_mov_b32_e32 v4, v193
	v_mov_b32_e32 v19, v5
	v_pk_mul_f32 v[4:5], v[8:9], v[4:5] op_sel_hi:[1,0]
	s_waitcnt vmcnt(2)
	v_pk_fma_f32 v[6:7], v[8:9], v[192:193], v[4:5] op_sel:[0,0,1] op_sel_hi:[1,1,0] neg_lo:[0,0,1] neg_hi:[0,0,1]
	v_pk_fma_f32 v[4:5], v[8:9], v[192:193], v[4:5] op_sel:[0,0,1] op_sel_hi:[1,0,0]
	v_pk_add_f32 v[2:3], v[2:3], v[20:21]
	v_mov_b32_e32 v4, v191
	v_pk_add_f32 v[2:3], v[2:3], v[18:19]
	v_mov_b32_e32 v7, v5
	s_waitcnt lgkmcnt(1)
	v_pk_mul_f32 v[4:5], v[10:11], v[4:5] op_sel_hi:[1,0]
	v_pk_add_f32 v[2:3], v[2:3], v[6:7]
	v_pk_fma_f32 v[6:7], v[10:11], v[190:191], v[4:5] op_sel:[0,0,1] op_sel_hi:[1,1,0] neg_lo:[0,0,1] neg_hi:[0,0,1]
	v_pk_fma_f32 v[4:5], v[10:11], v[190:191], v[4:5] op_sel:[0,0,1] op_sel_hi:[1,0,0]
	v_mov_b32_e32 v4, v189
	v_mov_b32_e32 v7, v5
	v_pk_mul_f32 v[4:5], v[12:13], v[4:5] op_sel_hi:[1,0]
	v_pk_add_f32 v[2:3], v[2:3], v[6:7]
	v_pk_fma_f32 v[6:7], v[12:13], v[188:189], v[4:5] op_sel:[0,0,1] op_sel_hi:[1,1,0] neg_lo:[0,0,1] neg_hi:[0,0,1]
	v_pk_fma_f32 v[4:5], v[12:13], v[188:189], v[4:5] op_sel:[0,0,1] op_sel_hi:[1,0,0]
	v_mov_b32_e32 v4, v187
	v_mov_b32_e32 v7, v5
	s_waitcnt lgkmcnt(0)
	v_pk_mul_f32 v[4:5], v[14:15], v[4:5] op_sel_hi:[1,0]
	v_pk_add_f32 v[2:3], v[2:3], v[6:7]
	v_pk_fma_f32 v[6:7], v[14:15], v[186:187], v[4:5] op_sel:[0,0,1] op_sel_hi:[1,1,0] neg_lo:[0,0,1] neg_hi:[0,0,1]
	v_pk_fma_f32 v[4:5], v[14:15], v[186:187], v[4:5] op_sel:[0,0,1] op_sel_hi:[1,0,0]
	s_waitcnt vmcnt(1)
	v_mov_b32_e32 v4, v195
	v_mov_b32_e32 v7, v5
	v_pk_mul_f32 v[4:5], v[16:17], v[4:5] op_sel_hi:[1,0]
	v_pk_add_f32 v[2:3], v[2:3], v[6:7]
	s_waitcnt vmcnt(0)
	v_pk_fma_f32 v[6:7], v[16:17], v[194:195], v[4:5] op_sel:[0,0,1] op_sel_hi:[1,1,0] neg_lo:[0,0,1] neg_hi:[0,0,1]
	v_pk_fma_f32 v[4:5], v[16:17], v[194:195], v[4:5] op_sel:[0,0,1] op_sel_hi:[1,0,0]
	v_mov_b32_e32 v7, v5
	v_pk_add_f32 v[2:3], v[2:3], v[6:7]
	v_pk_add_f32 v[2:3], v[26:27], v[2:3] neg_lo:[0,1] neg_hi:[0,1]
	buffer_store_dword v3, off, s[0:3], 0 offset:28
	buffer_store_dword v2, off, s[0:3], 0 offset:24
	s_and_saveexec_b64 s[4:5], vcc
	s_cbranch_execz .LBB111_297
; %bb.296:
	buffer_load_dword v2, off, s[0:3], 0 offset:16
	buffer_load_dword v3, off, s[0:3], 0 offset:20
	v_mov_b32_e32 v1, 0
	v_accvgpr_read_b32 v4, a20
	buffer_store_dword v1, off, s[0:3], 0 offset:16
	buffer_store_dword v1, off, s[0:3], 0 offset:20
	s_waitcnt vmcnt(2)
	ds_write_b64 v4, v[2:3]
.LBB111_297:
	s_or_b64 exec, exec, s[4:5]
	v_mov_b32_e32 v198, 0
	s_waitcnt lgkmcnt(0)
	; wave barrier
	s_waitcnt lgkmcnt(0)
	ds_read2_b64 v[2:5], v198 offset0:51 offset1:52
	buffer_load_dword v174, off, s[0:3], 0 offset:16
	buffer_load_dword v175, off, s[0:3], 0 offset:20
	;; [unrolled: 1-line block ×16, first 2 shown]
	v_cmp_lt_u32_e32 vcc, 1, v0
	s_waitcnt vmcnt(12) lgkmcnt(0)
	v_mul_f32_e32 v1, v2, v199
	v_fmac_f32_e32 v1, v3, v176
	s_waitcnt vmcnt(10)
	v_mul_f32_e32 v6, v4, v201
	v_add_f32_e32 v1, 0, v1
	v_fmac_f32_e32 v6, v5, v178
	v_add_f32_e32 v1, v1, v6
	ds_read2_b64 v[6:9], v198 offset0:53 offset1:54
	v_mul_f32_e32 v3, v3, v199
	v_fma_f32 v2, v2, v176, -v3
	v_mul_f32_e32 v3, v5, v201
	v_add_f32_e32 v2, 0, v2
	s_waitcnt vmcnt(8) lgkmcnt(0)
	v_mul_f32_e32 v10, v6, v203
	v_fmac_f32_e32 v10, v7, v182
	v_add_f32_e32 v1, v1, v10
	s_waitcnt vmcnt(6)
	v_mul_f32_e32 v10, v8, v205
	v_fmac_f32_e32 v10, v9, v200
	v_add_f32_e32 v1, v1, v10
	ds_read2_b64 v[10:13], v198 offset0:55 offset1:56
	v_fma_f32 v3, v4, v178, -v3
	v_add_f32_e32 v2, v2, v3
	v_mul_f32_e32 v3, v7, v203
	v_fma_f32 v3, v6, v182, -v3
	s_waitcnt vmcnt(4) lgkmcnt(0)
	v_mul_f32_e32 v14, v10, v207
	v_fmac_f32_e32 v14, v11, v202
	v_add_f32_e32 v1, v1, v14
	s_waitcnt vmcnt(2)
	v_mul_f32_e32 v14, v12, v208
	v_fmac_f32_e32 v14, v13, v204
	v_add_f32_e32 v1, v1, v14
	ds_read2_b64 v[14:17], v198 offset0:57 offset1:58
	buffer_load_dword v210, off, s[0:3], 0 offset:80
	buffer_load_dword v211, off, s[0:3], 0 offset:84
	v_add_f32_e32 v2, v2, v3
	v_mul_f32_e32 v3, v9, v205
	v_fma_f32 v3, v8, v200, -v3
	s_waitcnt vmcnt(2) lgkmcnt(0)
	v_mul_f32_e32 v18, v14, v209
	v_fmac_f32_e32 v18, v15, v206
	v_add_f32_e32 v1, v1, v18
	v_add_f32_e32 v2, v2, v3
	v_mul_f32_e32 v3, v11, v207
	v_fma_f32 v3, v10, v202, -v3
	v_add_f32_e32 v2, v2, v3
	v_mul_f32_e32 v3, v13, v208
	v_fma_f32 v3, v12, v204, -v3
	;; [unrolled: 3-line block ×3, first 2 shown]
	v_add_f32_e32 v2, v2, v3
	s_waitcnt vmcnt(0)
	v_mul_f32_e32 v18, v16, v211
	v_fmac_f32_e32 v18, v17, v210
	v_add_f32_e32 v1, v1, v18
	ds_read2_b64 v[18:21], v198 offset0:59 offset1:60
	buffer_load_dword v212, off, s[0:3], 0 offset:88
	buffer_load_dword v213, off, s[0:3], 0 offset:92
	;; [unrolled: 1-line block ×4, first 2 shown]
	v_mul_f32_e32 v3, v17, v211
	v_fma_f32 v3, v16, v210, -v3
	v_add_f32_e32 v2, v2, v3
	s_waitcnt vmcnt(2) lgkmcnt(0)
	v_mul_f32_e32 v22, v18, v213
	v_fmac_f32_e32 v22, v19, v212
	v_add_f32_e32 v1, v1, v22
	s_waitcnt vmcnt(0)
	v_mul_f32_e32 v22, v20, v215
	v_fmac_f32_e32 v22, v21, v214
	v_add_f32_e32 v1, v1, v22
	ds_read2_b64 v[22:25], v198 offset0:61 offset1:62
	buffer_load_dword v216, off, s[0:3], 0 offset:104
	buffer_load_dword v217, off, s[0:3], 0 offset:108
	buffer_load_dword v218, off, s[0:3], 0 offset:112
	buffer_load_dword v219, off, s[0:3], 0 offset:116
	ds_read2_b64 v[30:33], v198 offset0:63 offset1:64
	buffer_load_dword v220, off, s[0:3], 0 offset:120
	buffer_load_dword v221, off, s[0:3], 0 offset:124
	buffer_load_dword v222, off, s[0:3], 0 offset:128
	buffer_load_dword v223, off, s[0:3], 0 offset:132
	;; [unrolled: 5-line block ×12, first 2 shown]
	ds_read2_b64 v[74:77], v198 offset0:85 offset1:86
	buffer_load_dword v86, off, s[0:3], 0 offset:296
	buffer_load_dword v87, off, s[0:3], 0 offset:300
	v_mul_f32_e32 v3, v19, v213
	v_fma_f32 v3, v18, v212, -v3
	v_add_f32_e32 v2, v2, v3
	v_mul_f32_e32 v3, v21, v215
	v_fma_f32 v3, v20, v214, -v3
	v_add_f32_e32 v2, v2, v3
	s_waitcnt vmcnt(48) lgkmcnt(12)
	v_mul_f32_e32 v26, v22, v217
	v_fmac_f32_e32 v26, v23, v216
	v_add_f32_e32 v1, v1, v26
	s_waitcnt vmcnt(46)
	v_mul_f32_e32 v26, v24, v219
	v_fmac_f32_e32 v26, v25, v218
	v_add_f32_e32 v1, v1, v26
	s_waitcnt vmcnt(44) lgkmcnt(11)
	v_mul_f32_e32 v26, v30, v221
	v_fmac_f32_e32 v26, v31, v220
	v_add_f32_e32 v1, v1, v26
	s_waitcnt vmcnt(42)
	v_mul_f32_e32 v26, v32, v223
	v_fmac_f32_e32 v26, v33, v222
	;; [unrolled: 8-line block ×12, first 2 shown]
	v_add_f32_e32 v1, v1, v26
	s_waitcnt vmcnt(0) lgkmcnt(0)
	v_mul_f32_e32 v26, v74, v87
	v_fmac_f32_e32 v26, v75, v86
	v_add_f32_e32 v177, v1, v26
	buffer_load_dword v1, off, s[0:3], 0 offset:304
	buffer_load_dword v88, off, s[0:3], 0 offset:308
	ds_read2_b64 v[26:29], v198 offset0:87 offset1:88
	buffer_load_dword v89, off, s[0:3], 0 offset:312
	buffer_load_dword v90, off, s[0:3], 0 offset:316
	;; [unrolled: 1-line block ×18, first 2 shown]
	v_mul_f32_e32 v3, v23, v217
	v_fma_f32 v3, v22, v216, -v3
	v_add_f32_e32 v2, v2, v3
	v_mul_f32_e32 v3, v25, v219
	v_fma_f32 v3, v24, v218, -v3
	v_add_f32_e32 v2, v2, v3
	;; [unrolled: 3-line block ×24, first 2 shown]
	v_mul_f32_e32 v3, v75, v87
	v_fma_f32 v3, v74, v86, -v3
	s_waitcnt vmcnt(15)
	v_mov_b32_e32 v18, v181
	v_add_f32_e32 v176, v2, v3
	v_mul_f32_e32 v179, v76, v88
	v_mul_f32_e32 v2, v77, v88
	s_waitcnt lgkmcnt(0)
	v_pk_mul_f32 v[18:19], v[28:29], v[18:19] op_sel_hi:[1,0]
	v_fmac_f32_e32 v179, v77, v1
	v_mul_f32_e32 v183, v26, v90
	v_fma_f32 v178, v76, v1, -v2
	v_mul_f32_e32 v1, v27, v90
	ds_read2_b64 v[2:5], v198 offset0:89 offset1:90
	ds_read2_b64 v[6:9], v198 offset0:91 offset1:92
	;; [unrolled: 1-line block ×3, first 2 shown]
	ds_read_b64 v[14:15], v198 offset:760
	s_waitcnt vmcnt(14)
	v_pk_fma_f32 v[20:21], v[28:29], v[180:181], v[18:19] op_sel:[0,0,1] op_sel_hi:[1,1,0] neg_lo:[0,0,1] neg_hi:[0,0,1]
	v_pk_fma_f32 v[18:19], v[28:29], v[180:181], v[18:19] op_sel:[0,0,1] op_sel_hi:[1,0,0]
	v_fmac_f32_e32 v183, v27, v89
	v_fma_f32 v182, v26, v89, -v1
	v_pk_add_f32 v[16:17], v[176:177], v[178:179]
	s_waitcnt vmcnt(13)
	v_mov_b32_e32 v18, v197
	v_pk_add_f32 v[16:17], v[16:17], v[182:183]
	v_mov_b32_e32 v21, v19
	s_waitcnt lgkmcnt(3)
	v_pk_mul_f32 v[18:19], v[2:3], v[18:19] op_sel_hi:[1,0]
	v_pk_add_f32 v[16:17], v[16:17], v[20:21]
	s_waitcnt vmcnt(12)
	v_pk_fma_f32 v[20:21], v[2:3], v[196:197], v[18:19] op_sel:[0,0,1] op_sel_hi:[1,1,0] neg_lo:[0,0,1] neg_hi:[0,0,1]
	v_pk_fma_f32 v[2:3], v[2:3], v[196:197], v[18:19] op_sel:[0,0,1] op_sel_hi:[1,0,0]
	v_mov_b32_e32 v21, v3
	v_pk_add_f32 v[2:3], v[16:17], v[20:21]
	s_waitcnt vmcnt(11)
	v_mov_b32_e32 v16, v195
	v_pk_mul_f32 v[16:17], v[4:5], v[16:17] op_sel_hi:[1,0]
	s_waitcnt vmcnt(10)
	v_pk_fma_f32 v[18:19], v[4:5], v[194:195], v[16:17] op_sel:[0,0,1] op_sel_hi:[1,1,0] neg_lo:[0,0,1] neg_hi:[0,0,1]
	v_pk_fma_f32 v[4:5], v[4:5], v[194:195], v[16:17] op_sel:[0,0,1] op_sel_hi:[1,0,0]
	s_waitcnt vmcnt(9)
	v_mov_b32_e32 v4, v193
	v_mov_b32_e32 v19, v5
	s_waitcnt lgkmcnt(2)
	v_pk_mul_f32 v[4:5], v[6:7], v[4:5] op_sel_hi:[1,0]
	s_waitcnt vmcnt(8)
	v_pk_fma_f32 v[16:17], v[6:7], v[192:193], v[4:5] op_sel:[0,0,1] op_sel_hi:[1,1,0] neg_lo:[0,0,1] neg_hi:[0,0,1]
	v_pk_fma_f32 v[4:5], v[6:7], v[192:193], v[4:5] op_sel:[0,0,1] op_sel_hi:[1,0,0]
	s_waitcnt vmcnt(7)
	v_mov_b32_e32 v4, v191
	v_mov_b32_e32 v17, v5
	v_pk_mul_f32 v[4:5], v[8:9], v[4:5] op_sel_hi:[1,0]
	s_waitcnt vmcnt(6)
	v_pk_fma_f32 v[6:7], v[8:9], v[190:191], v[4:5] op_sel:[0,0,1] op_sel_hi:[1,1,0] neg_lo:[0,0,1] neg_hi:[0,0,1]
	v_pk_fma_f32 v[4:5], v[8:9], v[190:191], v[4:5] op_sel:[0,0,1] op_sel_hi:[1,0,0]
	v_pk_add_f32 v[2:3], v[2:3], v[18:19]
	s_waitcnt vmcnt(5)
	v_mov_b32_e32 v4, v189
	v_pk_add_f32 v[2:3], v[2:3], v[16:17]
	v_mov_b32_e32 v7, v5
	s_waitcnt lgkmcnt(1)
	v_pk_mul_f32 v[4:5], v[10:11], v[4:5] op_sel_hi:[1,0]
	v_pk_add_f32 v[2:3], v[2:3], v[6:7]
	s_waitcnt vmcnt(4)
	v_pk_fma_f32 v[6:7], v[10:11], v[188:189], v[4:5] op_sel:[0,0,1] op_sel_hi:[1,1,0] neg_lo:[0,0,1] neg_hi:[0,0,1]
	v_pk_fma_f32 v[4:5], v[10:11], v[188:189], v[4:5] op_sel:[0,0,1] op_sel_hi:[1,0,0]
	s_waitcnt vmcnt(3)
	v_mov_b32_e32 v4, v187
	v_mov_b32_e32 v7, v5
	v_pk_mul_f32 v[4:5], v[12:13], v[4:5] op_sel_hi:[1,0]
	v_pk_add_f32 v[2:3], v[2:3], v[6:7]
	s_waitcnt vmcnt(2)
	v_pk_fma_f32 v[6:7], v[12:13], v[186:187], v[4:5] op_sel:[0,0,1] op_sel_hi:[1,1,0] neg_lo:[0,0,1] neg_hi:[0,0,1]
	v_pk_fma_f32 v[4:5], v[12:13], v[186:187], v[4:5] op_sel:[0,0,1] op_sel_hi:[1,0,0]
	s_waitcnt vmcnt(1)
	v_mov_b32_e32 v4, v185
	v_mov_b32_e32 v7, v5
	s_waitcnt lgkmcnt(0)
	v_pk_mul_f32 v[4:5], v[14:15], v[4:5] op_sel_hi:[1,0]
	v_pk_add_f32 v[2:3], v[2:3], v[6:7]
	s_waitcnt vmcnt(0)
	v_pk_fma_f32 v[6:7], v[14:15], v[184:185], v[4:5] op_sel:[0,0,1] op_sel_hi:[1,1,0] neg_lo:[0,0,1] neg_hi:[0,0,1]
	v_pk_fma_f32 v[4:5], v[14:15], v[184:185], v[4:5] op_sel:[0,0,1] op_sel_hi:[1,0,0]
	v_mov_b32_e32 v7, v5
	v_pk_add_f32 v[2:3], v[2:3], v[6:7]
	v_pk_add_f32 v[2:3], v[174:175], v[2:3] neg_lo:[0,1] neg_hi:[0,1]
	buffer_store_dword v3, off, s[0:3], 0 offset:20
	buffer_store_dword v2, off, s[0:3], 0 offset:16
	s_and_saveexec_b64 s[4:5], vcc
	s_cbranch_execz .LBB111_299
; %bb.298:
	buffer_load_dword v2, off, s[0:3], 0 offset:8
	buffer_load_dword v3, off, s[0:3], 0 offset:12
	v_accvgpr_read_b32 v1, a20
	buffer_store_dword v198, off, s[0:3], 0 offset:8
	buffer_store_dword v198, off, s[0:3], 0 offset:12
	s_waitcnt vmcnt(2)
	ds_write_b64 v1, v[2:3]
.LBB111_299:
	s_or_b64 exec, exec, s[4:5]
	s_waitcnt lgkmcnt(0)
	; wave barrier
	s_waitcnt lgkmcnt(0)
	buffer_load_dword v1, off, s[0:3], 0 offset:20
	buffer_load_dword v78, off, s[0:3], 0 offset:28
	;; [unrolled: 1-line block ×32, first 2 shown]
	ds_read_b128 v[22:25], v198 offset:400
	ds_read_b128 v[18:21], v198 offset:416
	;; [unrolled: 1-line block ×6, first 2 shown]
	buffer_load_dword v215, off, s[0:3], 0 offset:136
	buffer_load_dword v216, off, s[0:3], 0 offset:140
	;; [unrolled: 1-line block ×32, first 2 shown]
	v_cmp_ne_u32_e32 vcc, 0, v0
	s_waitcnt vmcnt(62) lgkmcnt(5)
	v_mul_f32_e32 v28, v22, v1
	v_mul_f32_e32 v29, v24, v78
	s_waitcnt vmcnt(61) lgkmcnt(4)
	v_mul_f32_e32 v31, v20, v79
	s_waitcnt vmcnt(60) lgkmcnt(3)
	v_mul_f32_e32 v32, v14, v80
	s_waitcnt vmcnt(59)
	v_mul_f32_e32 v33, v16, v81
	s_waitcnt vmcnt(58)
	v_mul_f32_e32 v30, v18, v82
	s_waitcnt vmcnt(57) lgkmcnt(2)
	v_mul_f32_e32 v34, v10, v83
	s_waitcnt vmcnt(56)
	v_mul_f32_e32 v35, v12, v84
	s_waitcnt vmcnt(55) lgkmcnt(1)
	v_mul_f32_e32 v36, v6, v85
	s_waitcnt vmcnt(54)
	v_mul_f32_e32 v37, v8, v86
	s_waitcnt vmcnt(53)
	v_fmac_f32_e32 v30, v19, v87
	s_waitcnt vmcnt(52)
	v_fmac_f32_e32 v29, v25, v88
	;; [unrolled: 2-line block ×3, first 2 shown]
	v_add_f32_e32 v28, 0, v28
	v_add_f32_e32 v28, v28, v29
	;; [unrolled: 1-line block ×3, first 2 shown]
	s_waitcnt vmcnt(47)
	v_fmac_f32_e32 v31, v21, v184
	v_fmac_f32_e32 v32, v15, v182
	v_add_f32_e32 v28, v28, v31
	v_fmac_f32_e32 v33, v17, v91
	v_add_f32_e32 v28, v28, v32
	;; [unrolled: 2-line block ×3, first 2 shown]
	s_waitcnt vmcnt(43)
	v_fmac_f32_e32 v35, v13, v205
	v_add_f32_e32 v28, v28, v34
	v_fmac_f32_e32 v36, v7, v204
	v_add_f32_e32 v28, v28, v35
	;; [unrolled: 2-line block ×3, first 2 shown]
	s_waitcnt vmcnt(42) lgkmcnt(0)
	v_mul_f32_e32 v29, v2, v206
	v_add_f32_e32 v28, v28, v37
	v_fmac_f32_e32 v29, v3, v186
	v_add_f32_e32 v32, v28, v29
	ds_read_b128 v[28:31], v198 offset:496
	buffer_load_dword v247, off, s[0:3], 0 offset:264
	buffer_load_dword v248, off, s[0:3], 0 offset:268
	s_waitcnt vmcnt(43)
	v_mul_f32_e32 v33, v4, v207
	s_waitcnt vmcnt(36)
	v_fmac_f32_e32 v33, v5, v214
	v_add_f32_e32 v36, v32, v33
	ds_read_b128 v[32:35], v198 offset:512
	buffer_load_dword v249, off, s[0:3], 0 offset:272
	buffer_load_dword v250, off, s[0:3], 0 offset:276
	buffer_load_dword v251, off, s[0:3], 0 offset:280
	buffer_load_dword v252, off, s[0:3], 0 offset:284
	buffer_load_dword v253, off, s[0:3], 0 offset:288
	buffer_load_dword v254, off, s[0:3], 0 offset:292
	buffer_load_dword v255, off, s[0:3], 0 offset:296
	buffer_load_dword v92, off, s[0:3], 0 offset:300
	s_waitcnt lgkmcnt(1)
	v_mul_f32_e32 v37, v28, v209
	v_fmac_f32_e32 v37, v29, v208
	v_add_f32_e32 v36, v36, v37
	v_mul_f32_e32 v37, v30, v211
	v_fmac_f32_e32 v37, v31, v210
	v_add_f32_e32 v36, v36, v37
	s_waitcnt lgkmcnt(0)
	v_mul_f32_e32 v37, v32, v213
	v_fmac_f32_e32 v37, v33, v212
	v_add_f32_e32 v40, v36, v37
	buffer_load_dword v93, off, s[0:3], 0 offset:304
	buffer_load_dword v94, off, s[0:3], 0 offset:308
	;; [unrolled: 1-line block ×4, first 2 shown]
	ds_read_b128 v[36:39], v198 offset:528
	s_waitcnt vmcnt(44)
	v_mul_f32_e32 v41, v34, v216
	v_fmac_f32_e32 v41, v35, v215
	v_add_f32_e32 v44, v40, v41
	ds_read_b128 v[40:43], v198 offset:544
	s_waitcnt vmcnt(42) lgkmcnt(1)
	v_mul_f32_e32 v45, v36, v218
	v_fmac_f32_e32 v45, v37, v217
	v_add_f32_e32 v44, v44, v45
	s_waitcnt vmcnt(40)
	v_mul_f32_e32 v45, v38, v220
	v_fmac_f32_e32 v45, v39, v219
	v_add_f32_e32 v44, v44, v45
	s_waitcnt vmcnt(38) lgkmcnt(0)
	v_mul_f32_e32 v45, v40, v222
	v_fmac_f32_e32 v45, v41, v221
	v_add_f32_e32 v48, v44, v45
	ds_read_b128 v[44:47], v198 offset:560
	s_waitcnt vmcnt(36)
	v_mul_f32_e32 v49, v42, v224
	v_fmac_f32_e32 v49, v43, v223
	v_add_f32_e32 v52, v48, v49
	ds_read_b128 v[48:51], v198 offset:576
	s_waitcnt vmcnt(34) lgkmcnt(1)
	v_mul_f32_e32 v53, v44, v226
	v_fmac_f32_e32 v53, v45, v225
	v_add_f32_e32 v52, v52, v53
	s_waitcnt vmcnt(32)
	v_mul_f32_e32 v53, v46, v228
	v_fmac_f32_e32 v53, v47, v227
	v_add_f32_e32 v52, v52, v53
	s_waitcnt vmcnt(30) lgkmcnt(0)
	v_mul_f32_e32 v53, v48, v230
	v_fmac_f32_e32 v53, v49, v229
	v_add_f32_e32 v56, v52, v53
	;; [unrolled: 18-line block ×4, first 2 shown]
	ds_read_b128 v[68:71], v198 offset:656
	v_mul_f32_e32 v1, v23, v1
	v_fma_f32 v1, v22, v89, -v1
	v_mul_f32_e32 v22, v25, v78
	v_add_f32_e32 v1, 0, v1
	s_waitcnt vmcnt(12)
	v_mul_f32_e32 v73, v66, v248
	v_fmac_f32_e32 v73, v67, v247
	v_add_f32_e32 v76, v72, v73
	ds_read_b128 v[72:75], v198 offset:672
	v_fma_f32 v22, v24, v88, -v22
	s_waitcnt vmcnt(10) lgkmcnt(1)
	v_mul_f32_e32 v77, v68, v250
	v_fmac_f32_e32 v77, v69, v249
	v_add_f32_e32 v76, v76, v77
	s_waitcnt vmcnt(8)
	v_mul_f32_e32 v77, v70, v252
	v_fmac_f32_e32 v77, v71, v251
	v_add_f32_e32 v76, v76, v77
	s_waitcnt vmcnt(6) lgkmcnt(0)
	v_mul_f32_e32 v77, v72, v254
	v_fmac_f32_e32 v77, v73, v253
	v_add_f32_e32 v97, v76, v77
	buffer_load_dword v77, off, s[0:3], 0 offset:324
	buffer_load_dword v76, off, s[0:3], 0 offset:320
	s_waitcnt vmcnt(6)
	v_mul_f32_e32 v178, v74, v92
	v_fmac_f32_e32 v178, v75, v255
	ds_read_b128 v[174:177], v198 offset:688
	v_add_f32_e32 v183, v97, v178
	ds_read_b128 v[178:181], v198 offset:704
	buffer_load_dword v189, off, s[0:3], 0 offset:356
	buffer_load_dword v188, off, s[0:3], 0 offset:352
	;; [unrolled: 1-line block ×14, first 2 shown]
	v_mul_f32_e32 v19, v19, v82
	v_add_f32_e32 v1, v1, v22
	v_fma_f32 v18, v18, v87, -v19
	v_add_f32_e32 v1, v1, v18
	v_mul_f32_e32 v18, v21, v79
	v_fma_f32 v18, v20, v184, -v18
	v_mul_f32_e32 v15, v15, v80
	v_add_f32_e32 v1, v1, v18
	v_fma_f32 v14, v14, v182, -v15
	v_add_f32_e32 v1, v1, v14
	v_mul_f32_e32 v14, v17, v81
	v_fma_f32 v14, v16, v91, -v14
	;; [unrolled: 6-line block ×5, first 2 shown]
	v_add_f32_e32 v1, v1, v2
	v_mul_f32_e32 v2, v29, v209
	v_fma_f32 v2, v28, v208, -v2
	v_add_f32_e32 v1, v1, v2
	v_mul_f32_e32 v2, v31, v211
	v_fma_f32 v2, v30, v210, -v2
	;; [unrolled: 3-line block ×24, first 2 shown]
	s_waitcnt vmcnt(15)
	v_mov_b32_e32 v16, v77
	s_waitcnt lgkmcnt(1)
	v_mul_f32_e32 v185, v174, v94
	v_add_f32_e32 v182, v1, v2
	v_mul_f32_e32 v1, v175, v94
	s_waitcnt lgkmcnt(0)
	v_pk_mul_f32 v[16:17], v[178:179], v[16:17] op_sel_hi:[1,0]
	v_fmac_f32_e32 v185, v175, v93
	v_mul_f32_e32 v187, v176, v96
	v_fma_f32 v184, v174, v93, -v1
	v_mul_f32_e32 v1, v177, v96
	s_waitcnt vmcnt(14)
	v_pk_fma_f32 v[18:19], v[178:179], v[76:77], v[16:17] op_sel:[0,0,1] op_sel_hi:[1,1,0] neg_lo:[0,0,1] neg_hi:[0,0,1]
	v_pk_fma_f32 v[16:17], v[178:179], v[76:77], v[16:17] op_sel:[0,0,1] op_sel_hi:[1,0,0]
	v_fmac_f32_e32 v187, v177, v95
	v_fma_f32 v186, v176, v95, -v1
	v_pk_add_f32 v[14:15], v[182:183], v[184:185]
	s_waitcnt vmcnt(7)
	v_mov_b32_e32 v16, v195
	ds_read_b128 v[2:5], v198 offset:720
	ds_read_b128 v[6:9], v198 offset:736
	;; [unrolled: 1-line block ×3, first 2 shown]
	v_pk_add_f32 v[14:15], v[14:15], v[186:187]
	v_mov_b32_e32 v19, v17
	v_pk_mul_f32 v[16:17], v[180:181], v[16:17] op_sel_hi:[1,0]
	v_pk_add_f32 v[14:15], v[14:15], v[18:19]
	s_waitcnt vmcnt(6)
	v_pk_fma_f32 v[18:19], v[180:181], v[194:195], v[16:17] op_sel:[0,0,1] op_sel_hi:[1,1,0] neg_lo:[0,0,1] neg_hi:[0,0,1]
	v_pk_fma_f32 v[16:17], v[180:181], v[194:195], v[16:17] op_sel:[0,0,1] op_sel_hi:[1,0,0]
	v_mov_b32_e32 v16, v193
	v_mov_b32_e32 v19, v17
	s_waitcnt lgkmcnt(2)
	v_pk_mul_f32 v[16:17], v[2:3], v[16:17] op_sel_hi:[1,0]
	v_pk_add_f32 v[14:15], v[14:15], v[18:19]
	v_pk_fma_f32 v[18:19], v[2:3], v[192:193], v[16:17] op_sel:[0,0,1] op_sel_hi:[1,1,0] neg_lo:[0,0,1] neg_hi:[0,0,1]
	v_pk_fma_f32 v[2:3], v[2:3], v[192:193], v[16:17] op_sel:[0,0,1] op_sel_hi:[1,0,0]
	v_mov_b32_e32 v19, v3
	v_pk_add_f32 v[2:3], v[14:15], v[18:19]
	v_mov_b32_e32 v14, v191
	v_pk_mul_f32 v[14:15], v[4:5], v[14:15] op_sel_hi:[1,0]
	v_pk_fma_f32 v[16:17], v[4:5], v[190:191], v[14:15] op_sel:[0,0,1] op_sel_hi:[1,1,0] neg_lo:[0,0,1] neg_hi:[0,0,1]
	v_pk_fma_f32 v[4:5], v[4:5], v[190:191], v[14:15] op_sel:[0,0,1] op_sel_hi:[1,0,0]
	v_mov_b32_e32 v4, v189
	v_mov_b32_e32 v17, v5
	s_waitcnt lgkmcnt(1)
	v_pk_mul_f32 v[4:5], v[6:7], v[4:5] op_sel_hi:[1,0]
	v_pk_fma_f32 v[14:15], v[6:7], v[188:189], v[4:5] op_sel:[0,0,1] op_sel_hi:[1,1,0] neg_lo:[0,0,1] neg_hi:[0,0,1]
	v_pk_fma_f32 v[4:5], v[6:7], v[188:189], v[4:5] op_sel:[0,0,1] op_sel_hi:[1,0,0]
	s_waitcnt vmcnt(1)
	v_mov_b32_e32 v4, v203
	v_mov_b32_e32 v15, v5
	v_pk_mul_f32 v[4:5], v[8:9], v[4:5] op_sel_hi:[1,0]
	s_waitcnt vmcnt(0)
	v_pk_fma_f32 v[6:7], v[8:9], v[202:203], v[4:5] op_sel:[0,0,1] op_sel_hi:[1,1,0] neg_lo:[0,0,1] neg_hi:[0,0,1]
	v_pk_fma_f32 v[4:5], v[8:9], v[202:203], v[4:5] op_sel:[0,0,1] op_sel_hi:[1,0,0]
	v_pk_add_f32 v[2:3], v[2:3], v[16:17]
	v_mov_b32_e32 v4, v201
	v_pk_add_f32 v[2:3], v[2:3], v[14:15]
	v_mov_b32_e32 v7, v5
	s_waitcnt lgkmcnt(0)
	v_pk_mul_f32 v[4:5], v[10:11], v[4:5] op_sel_hi:[1,0]
	v_pk_add_f32 v[2:3], v[2:3], v[6:7]
	v_pk_fma_f32 v[6:7], v[10:11], v[200:201], v[4:5] op_sel:[0,0,1] op_sel_hi:[1,1,0] neg_lo:[0,0,1] neg_hi:[0,0,1]
	v_pk_fma_f32 v[4:5], v[10:11], v[200:201], v[4:5] op_sel:[0,0,1] op_sel_hi:[1,0,0]
	v_mov_b32_e32 v4, v197
	v_mov_b32_e32 v7, v5
	v_pk_mul_f32 v[4:5], v[12:13], v[4:5] op_sel_hi:[1,0]
	v_pk_add_f32 v[2:3], v[2:3], v[6:7]
	v_pk_fma_f32 v[6:7], v[12:13], v[196:197], v[4:5] op_sel:[0,0,1] op_sel_hi:[1,1,0] neg_lo:[0,0,1] neg_hi:[0,0,1]
	v_pk_fma_f32 v[4:5], v[12:13], v[196:197], v[4:5] op_sel:[0,0,1] op_sel_hi:[1,0,0]
	v_mov_b32_e32 v7, v5
	v_pk_add_f32 v[2:3], v[2:3], v[6:7]
	v_pk_add_f32 v[2:3], v[26:27], v[2:3] neg_lo:[0,1] neg_hi:[0,1]
	buffer_store_dword v3, off, s[0:3], 0 offset:12
	buffer_store_dword v2, off, s[0:3], 0 offset:8
	s_and_saveexec_b64 s[4:5], vcc
	s_cbranch_execz .LBB111_301
; %bb.300:
	buffer_load_dword v2, off, s[0:3], 0
	buffer_load_dword v3, off, s[0:3], 0 offset:4
	v_mov_b32_e32 v0, 0
	v_accvgpr_read_b32 v1, a20
	buffer_store_dword v0, off, s[0:3], 0
	buffer_store_dword v0, off, s[0:3], 0 offset:4
	s_waitcnt vmcnt(2)
	ds_write_b64 v1, v[2:3]
.LBB111_301:
	s_or_b64 exec, exec, s[4:5]
	s_waitcnt lgkmcnt(0)
	; wave barrier
	s_waitcnt lgkmcnt(0)
	buffer_load_dword v32, off, s[0:3], 0 offset:12
	buffer_load_dword v31, off, s[0:3], 0 offset:20
	;; [unrolled: 1-line block ×30, first 2 shown]
	buffer_load_dword v24, off, s[0:3], 0
	buffer_load_dword v25, off, s[0:3], 0 offset:4
	buffer_load_dword v208, off, s[0:3], 0 offset:128
	;; [unrolled: 1-line block ×17, first 2 shown]
	v_mov_b32_e32 v26, 0
	ds_read2_b64 v[20:23], v26 offset0:49 offset1:50
	ds_read2_b64 v[16:19], v26 offset0:51 offset1:52
	;; [unrolled: 1-line block ×6, first 2 shown]
	buffer_load_dword v224, off, s[0:3], 0 offset:192
	buffer_load_dword v225, off, s[0:3], 0 offset:196
	;; [unrolled: 1-line block ×12, first 2 shown]
	s_and_b64 vcc, exec, s[16:17]
	s_waitcnt vmcnt(59) lgkmcnt(5)
	v_mul_f32_e32 v34, v20, v32
	s_waitcnt vmcnt(58)
	v_mul_f32_e32 v35, v22, v31
	s_waitcnt vmcnt(57) lgkmcnt(4)
	v_mul_f32_e32 v37, v18, v30
	s_waitcnt vmcnt(56) lgkmcnt(3)
	v_mul_f32_e32 v38, v12, v29
	s_waitcnt vmcnt(55)
	v_mul_f32_e32 v39, v14, v27
	s_waitcnt vmcnt(54)
	v_mul_f32_e32 v36, v16, v33
	s_waitcnt vmcnt(53) lgkmcnt(2)
	v_mul_f32_e32 v40, v8, v28
	s_waitcnt vmcnt(52)
	v_mul_f32_e32 v41, v10, v78
	s_waitcnt vmcnt(51) lgkmcnt(1)
	v_mul_f32_e32 v42, v4, v79
	s_waitcnt vmcnt(50)
	v_mul_f32_e32 v43, v6, v80
	s_waitcnt vmcnt(49)
	v_fmac_f32_e32 v36, v17, v81
	s_waitcnt vmcnt(48)
	v_fmac_f32_e32 v35, v23, v82
	;; [unrolled: 2-line block ×3, first 2 shown]
	v_add_f32_e32 v34, 0, v34
	v_add_f32_e32 v34, v34, v35
	v_add_f32_e32 v34, v34, v36
	s_waitcnt vmcnt(43)
	v_fmac_f32_e32 v37, v19, v87
	v_fmac_f32_e32 v38, v13, v86
	v_add_f32_e32 v34, v34, v37
	v_fmac_f32_e32 v39, v15, v85
	v_add_f32_e32 v34, v34, v38
	;; [unrolled: 2-line block ×3, first 2 shown]
	s_waitcnt vmcnt(39)
	v_fmac_f32_e32 v41, v11, v91
	v_add_f32_e32 v34, v34, v40
	v_fmac_f32_e32 v42, v5, v90
	v_add_f32_e32 v34, v34, v41
	;; [unrolled: 2-line block ×3, first 2 shown]
	s_waitcnt vmcnt(38) lgkmcnt(0)
	v_mul_f32_e32 v35, v0, v92
	v_add_f32_e32 v34, v34, v43
	v_fmac_f32_e32 v35, v1, v88
	v_add_f32_e32 v38, v34, v35
	ds_read2_b64 v[34:37], v26 offset0:61 offset1:62
	buffer_load_dword v236, off, s[0:3], 0 offset:240
	buffer_load_dword v237, off, s[0:3], 0 offset:244
	;; [unrolled: 1-line block ×4, first 2 shown]
	s_waitcnt vmcnt(35)
	v_mul_f32_e32 v39, v2, v188
	s_waitcnt vmcnt(34)
	v_fmac_f32_e32 v39, v3, v190
	v_add_f32_e32 v42, v38, v39
	ds_read2_b64 v[38:41], v26 offset0:63 offset1:64
	buffer_load_dword v240, off, s[0:3], 0 offset:256
	buffer_load_dword v241, off, s[0:3], 0 offset:260
	buffer_load_dword v242, off, s[0:3], 0 offset:264
	buffer_load_dword v243, off, s[0:3], 0 offset:268
	buffer_load_dword v244, off, s[0:3], 0 offset:272
	buffer_load_dword v245, off, s[0:3], 0 offset:276
	buffer_load_dword v246, off, s[0:3], 0 offset:280
	buffer_load_dword v247, off, s[0:3], 0 offset:284
	buffer_load_dword v248, off, s[0:3], 0 offset:288
	buffer_load_dword v249, off, s[0:3], 0 offset:292
	s_waitcnt lgkmcnt(1)
	v_mul_f32_e32 v43, v34, v94
	v_fmac_f32_e32 v43, v35, v93
	v_add_f32_e32 v42, v42, v43
	v_mul_f32_e32 v43, v36, v96
	v_fmac_f32_e32 v43, v37, v95
	v_add_f32_e32 v42, v42, v43
	s_waitcnt lgkmcnt(0)
	v_mul_f32_e32 v43, v38, v186
	v_fmac_f32_e32 v43, v39, v97
	v_add_f32_e32 v46, v42, v43
	buffer_load_dword v250, off, s[0:3], 0 offset:296
	buffer_load_dword v251, off, s[0:3], 0 offset:300
	;; [unrolled: 1-line block ×6, first 2 shown]
	ds_read2_b64 v[42:45], v26 offset0:65 offset1:66
	s_waitcnt vmcnt(46)
	v_mul_f32_e32 v47, v40, v209
	v_fmac_f32_e32 v47, v41, v208
	v_add_f32_e32 v50, v46, v47
	ds_read2_b64 v[46:49], v26 offset0:67 offset1:68
	s_waitcnt vmcnt(44) lgkmcnt(1)
	v_mul_f32_e32 v51, v42, v211
	v_fmac_f32_e32 v51, v43, v210
	v_add_f32_e32 v50, v50, v51
	s_waitcnt vmcnt(42)
	v_mul_f32_e32 v51, v44, v213
	v_fmac_f32_e32 v51, v45, v212
	v_add_f32_e32 v50, v50, v51
	s_waitcnt vmcnt(40) lgkmcnt(0)
	v_mul_f32_e32 v51, v46, v215
	v_fmac_f32_e32 v51, v47, v214
	v_add_f32_e32 v54, v50, v51
	ds_read2_b64 v[50:53], v26 offset0:69 offset1:70
	s_waitcnt vmcnt(38)
	v_mul_f32_e32 v55, v48, v217
	v_fmac_f32_e32 v55, v49, v216
	v_add_f32_e32 v58, v54, v55
	ds_read2_b64 v[54:57], v26 offset0:71 offset1:72
	s_waitcnt vmcnt(36) lgkmcnt(1)
	v_mul_f32_e32 v59, v50, v219
	v_fmac_f32_e32 v59, v51, v218
	v_add_f32_e32 v58, v58, v59
	s_waitcnt vmcnt(34)
	v_mul_f32_e32 v59, v52, v221
	v_fmac_f32_e32 v59, v53, v220
	v_add_f32_e32 v58, v58, v59
	s_waitcnt vmcnt(32) lgkmcnt(0)
	v_mul_f32_e32 v59, v54, v223
	v_fmac_f32_e32 v59, v55, v222
	v_add_f32_e32 v62, v58, v59
	ds_read2_b64 v[58:61], v26 offset0:73 offset1:74
	s_waitcnt vmcnt(30)
	v_mul_f32_e32 v63, v56, v225
	v_fmac_f32_e32 v63, v57, v224
	v_add_f32_e32 v66, v62, v63
	ds_read2_b64 v[62:65], v26 offset0:75 offset1:76
	s_waitcnt vmcnt(28) lgkmcnt(1)
	v_mul_f32_e32 v67, v58, v227
	v_fmac_f32_e32 v67, v59, v226
	v_add_f32_e32 v66, v66, v67
	s_waitcnt vmcnt(26)
	v_mul_f32_e32 v67, v60, v229
	v_fmac_f32_e32 v67, v61, v228
	v_add_f32_e32 v66, v66, v67
	s_waitcnt vmcnt(24) lgkmcnt(0)
	v_mul_f32_e32 v67, v62, v231
	v_fmac_f32_e32 v67, v63, v230
	v_add_f32_e32 v70, v66, v67
	ds_read2_b64 v[66:69], v26 offset0:77 offset1:78
	s_waitcnt vmcnt(22)
	v_mul_f32_e32 v71, v64, v233
	v_fmac_f32_e32 v71, v65, v232
	v_add_f32_e32 v74, v70, v71
	ds_read2_b64 v[70:73], v26 offset0:79 offset1:80
	s_waitcnt vmcnt(20) lgkmcnt(1)
	v_mul_f32_e32 v75, v66, v235
	v_fmac_f32_e32 v75, v67, v234
	v_add_f32_e32 v74, v74, v75
	v_mul_f32_e32 v21, v21, v32
	v_fma_f32 v20, v20, v83, -v21
	v_mul_f32_e32 v21, v23, v31
	v_add_f32_e32 v20, 0, v20
	v_fma_f32 v21, v22, v82, -v21
	v_mul_f32_e32 v17, v17, v33
	v_add_f32_e32 v20, v20, v21
	v_fma_f32 v16, v16, v81, -v17
	v_mul_f32_e32 v17, v19, v30
	s_waitcnt vmcnt(18)
	v_mul_f32_e32 v75, v68, v237
	v_fmac_f32_e32 v75, v69, v236
	v_add_f32_e32 v74, v74, v75
	s_waitcnt vmcnt(16) lgkmcnt(0)
	v_mul_f32_e32 v75, v70, v239
	v_fmac_f32_e32 v75, v71, v238
	v_add_f32_e32 v174, v74, v75
	ds_read2_b64 v[74:77], v26 offset0:81 offset1:82
	s_waitcnt vmcnt(14)
	v_mul_f32_e32 v175, v72, v241
	v_fmac_f32_e32 v175, v73, v240
	v_add_f32_e32 v178, v174, v175
	ds_read2_b64 v[174:177], v26 offset0:83 offset1:84
	s_waitcnt vmcnt(12) lgkmcnt(1)
	v_mul_f32_e32 v179, v74, v243
	v_fmac_f32_e32 v179, v75, v242
	v_add_f32_e32 v178, v178, v179
	s_waitcnt vmcnt(10)
	v_mul_f32_e32 v179, v76, v245
	v_fmac_f32_e32 v179, v77, v244
	v_add_f32_e32 v178, v178, v179
	s_waitcnt vmcnt(8) lgkmcnt(0)
	v_mul_f32_e32 v179, v174, v247
	v_fmac_f32_e32 v179, v175, v246
	s_waitcnt vmcnt(6)
	v_mul_f32_e32 v183, v176, v249
	v_add_f32_e32 v182, v178, v179
	v_fmac_f32_e32 v183, v177, v248
	ds_read2_b64 v[178:181], v26 offset0:85 offset1:86
	v_add_f32_e32 v187, v182, v183
	ds_read2_b64 v[182:185], v26 offset0:87 offset1:88
	buffer_load_dword v193, off, s[0:3], 0 offset:348
	buffer_load_dword v192, off, s[0:3], 0 offset:344
	;; [unrolled: 1-line block ×16, first 2 shown]
	v_add_f32_e32 v16, v20, v16
	v_fma_f32 v17, v18, v87, -v17
	v_mul_f32_e32 v13, v13, v29
	v_add_f32_e32 v16, v16, v17
	v_fma_f32 v12, v12, v86, -v13
	v_mul_f32_e32 v13, v15, v27
	;; [unrolled: 3-line block ×8, first 2 shown]
	v_add_f32_e32 v0, v4, v0
	v_fma_f32 v1, v2, v190, -v1
	v_add_f32_e32 v0, v0, v1
	v_mul_f32_e32 v1, v35, v94
	v_fma_f32 v1, v34, v93, -v1
	v_add_f32_e32 v0, v0, v1
	v_mul_f32_e32 v1, v37, v96
	;; [unrolled: 3-line block ×24, first 2 shown]
	v_fma_f32 v1, v176, v248, -v1
	v_add_f32_e32 v0, v0, v1
	s_waitcnt vmcnt(20) lgkmcnt(1)
	v_mul_f32_e32 v1, v179, v251
	v_mul_f32_e32 v189, v178, v251
	v_fma_f32 v1, v178, v250, -v1
	v_fmac_f32_e32 v189, v179, v250
	v_add_f32_e32 v186, v0, v1
	s_waitcnt vmcnt(18)
	v_mul_f32_e32 v0, v181, v253
	s_waitcnt vmcnt(9)
	v_mov_b32_e32 v16, v199
	v_add_f32_e32 v187, v187, v189
	v_mul_f32_e32 v189, v180, v253
	v_fma_f32 v188, v180, v252, -v0
	s_waitcnt lgkmcnt(0)
	v_mul_f32_e32 v0, v183, v255
	v_pk_mul_f32 v[16:17], v[184:185], v[16:17] op_sel_hi:[1,0]
	v_fmac_f32_e32 v189, v181, v252
	v_mul_f32_e32 v191, v182, v255
	v_fma_f32 v190, v182, v254, -v0
	ds_read2_b64 v[0:3], v26 offset0:89 offset1:90
	ds_read2_b64 v[4:7], v26 offset0:91 offset1:92
	ds_read2_b64 v[8:11], v26 offset0:93 offset1:94
	ds_read_b64 v[12:13], v26 offset:760
	s_waitcnt vmcnt(8)
	v_pk_fma_f32 v[18:19], v[184:185], v[198:199], v[16:17] op_sel:[0,0,1] op_sel_hi:[1,1,0] neg_lo:[0,0,1] neg_hi:[0,0,1]
	v_pk_fma_f32 v[16:17], v[184:185], v[198:199], v[16:17] op_sel:[0,0,1] op_sel_hi:[1,0,0]
	v_fmac_f32_e32 v191, v183, v254
	v_pk_add_f32 v[14:15], v[186:187], v[188:189]
	v_mov_b32_e32 v16, v197
	v_pk_add_f32 v[14:15], v[14:15], v[190:191]
	v_mov_b32_e32 v19, v17
	s_waitcnt lgkmcnt(3)
	v_pk_mul_f32 v[16:17], v[0:1], v[16:17] op_sel_hi:[1,0]
	v_pk_add_f32 v[14:15], v[14:15], v[18:19]
	v_pk_fma_f32 v[18:19], v[0:1], v[196:197], v[16:17] op_sel:[0,0,1] op_sel_hi:[1,1,0] neg_lo:[0,0,1] neg_hi:[0,0,1]
	v_pk_fma_f32 v[0:1], v[0:1], v[196:197], v[16:17] op_sel:[0,0,1] op_sel_hi:[1,0,0]
	v_mov_b32_e32 v19, v1
	v_pk_add_f32 v[0:1], v[14:15], v[18:19]
	v_mov_b32_e32 v14, v195
	v_pk_mul_f32 v[14:15], v[2:3], v[14:15] op_sel_hi:[1,0]
	v_pk_fma_f32 v[16:17], v[2:3], v[194:195], v[14:15] op_sel:[0,0,1] op_sel_hi:[1,1,0] neg_lo:[0,0,1] neg_hi:[0,0,1]
	v_pk_fma_f32 v[2:3], v[2:3], v[194:195], v[14:15] op_sel:[0,0,1] op_sel_hi:[1,0,0]
	v_mov_b32_e32 v2, v193
	v_mov_b32_e32 v17, v3
	s_waitcnt lgkmcnt(2)
	v_pk_mul_f32 v[2:3], v[4:5], v[2:3] op_sel_hi:[1,0]
	v_pk_fma_f32 v[14:15], v[4:5], v[192:193], v[2:3] op_sel:[0,0,1] op_sel_hi:[1,1,0] neg_lo:[0,0,1] neg_hi:[0,0,1]
	v_pk_fma_f32 v[2:3], v[4:5], v[192:193], v[2:3] op_sel:[0,0,1] op_sel_hi:[1,0,0]
	s_waitcnt vmcnt(1)
	v_mov_b32_e32 v2, v207
	v_mov_b32_e32 v15, v3
	v_pk_mul_f32 v[2:3], v[6:7], v[2:3] op_sel_hi:[1,0]
	s_waitcnt vmcnt(0)
	v_pk_fma_f32 v[4:5], v[6:7], v[206:207], v[2:3] op_sel:[0,0,1] op_sel_hi:[1,1,0] neg_lo:[0,0,1] neg_hi:[0,0,1]
	v_pk_fma_f32 v[2:3], v[6:7], v[206:207], v[2:3] op_sel:[0,0,1] op_sel_hi:[1,0,0]
	v_pk_add_f32 v[0:1], v[0:1], v[16:17]
	v_mov_b32_e32 v2, v205
	v_pk_add_f32 v[0:1], v[0:1], v[14:15]
	v_mov_b32_e32 v5, v3
	s_waitcnt lgkmcnt(1)
	v_pk_mul_f32 v[2:3], v[8:9], v[2:3] op_sel_hi:[1,0]
	v_pk_add_f32 v[0:1], v[0:1], v[4:5]
	v_pk_fma_f32 v[4:5], v[8:9], v[204:205], v[2:3] op_sel:[0,0,1] op_sel_hi:[1,1,0] neg_lo:[0,0,1] neg_hi:[0,0,1]
	v_pk_fma_f32 v[2:3], v[8:9], v[204:205], v[2:3] op_sel:[0,0,1] op_sel_hi:[1,0,0]
	v_mov_b32_e32 v2, v203
	v_mov_b32_e32 v5, v3
	v_pk_mul_f32 v[2:3], v[10:11], v[2:3] op_sel_hi:[1,0]
	v_pk_add_f32 v[0:1], v[0:1], v[4:5]
	v_pk_fma_f32 v[4:5], v[10:11], v[202:203], v[2:3] op_sel:[0,0,1] op_sel_hi:[1,1,0] neg_lo:[0,0,1] neg_hi:[0,0,1]
	v_pk_fma_f32 v[2:3], v[10:11], v[202:203], v[2:3] op_sel:[0,0,1] op_sel_hi:[1,0,0]
	v_mov_b32_e32 v2, v201
	v_mov_b32_e32 v5, v3
	s_waitcnt lgkmcnt(0)
	v_pk_mul_f32 v[2:3], v[12:13], v[2:3] op_sel_hi:[1,0]
	v_pk_add_f32 v[0:1], v[0:1], v[4:5]
	v_pk_fma_f32 v[4:5], v[12:13], v[200:201], v[2:3] op_sel:[0,0,1] op_sel_hi:[1,1,0] neg_lo:[0,0,1] neg_hi:[0,0,1]
	v_pk_fma_f32 v[2:3], v[12:13], v[200:201], v[2:3] op_sel:[0,0,1] op_sel_hi:[1,0,0]
	v_mov_b32_e32 v5, v3
	v_pk_add_f32 v[0:1], v[0:1], v[4:5]
	v_pk_add_f32 v[0:1], v[24:25], v[0:1] neg_lo:[0,1] neg_hi:[0,1]
	buffer_store_dword v1, off, s[0:3], 0 offset:4
	buffer_store_dword v0, off, s[0:3], 0
	s_cbranch_vccz .LBB111_397
; %bb.302:
	v_pk_mov_b32 v[0:1], s[10:11], s[10:11] op_sel:[0,1]
	flat_load_dword v0, v[0:1] offset:184
	s_waitcnt vmcnt(0) lgkmcnt(0)
	v_add_u32_e32 v0, -1, v0
	v_cmp_ne_u32_e32 vcc, 46, v0
	s_and_saveexec_b64 s[4:5], vcc
	s_cbranch_execz .LBB111_304
; %bb.303:
	v_mov_b32_e32 v1, 0
	v_lshl_add_u32 v0, v0, 3, v1
	buffer_load_dword v1, v0, s[0:3], 0 offen
	buffer_load_dword v2, v0, s[0:3], 0 offen offset:4
	buffer_load_dword v3, off, s[0:3], 0 offset:372
	buffer_load_dword v4, off, s[0:3], 0 offset:368
	s_waitcnt vmcnt(3)
	buffer_store_dword v1, off, s[0:3], 0 offset:368
	s_waitcnt vmcnt(3)
	buffer_store_dword v2, off, s[0:3], 0 offset:372
	s_waitcnt vmcnt(3)
	buffer_store_dword v3, v0, s[0:3], 0 offen offset:4
	s_waitcnt vmcnt(3)
	buffer_store_dword v4, v0, s[0:3], 0 offen
.LBB111_304:
	s_or_b64 exec, exec, s[4:5]
	v_pk_mov_b32 v[0:1], s[10:11], s[10:11] op_sel:[0,1]
	flat_load_dword v0, v[0:1] offset:180
	s_waitcnt vmcnt(0) lgkmcnt(0)
	v_add_u32_e32 v0, -1, v0
	v_cmp_ne_u32_e32 vcc, 45, v0
	s_and_saveexec_b64 s[4:5], vcc
	s_cbranch_execz .LBB111_306
; %bb.305:
	v_mov_b32_e32 v1, 0
	v_lshl_add_u32 v0, v0, 3, v1
	buffer_load_dword v1, v0, s[0:3], 0 offen
	buffer_load_dword v2, v0, s[0:3], 0 offen offset:4
	buffer_load_dword v3, off, s[0:3], 0 offset:360
	buffer_load_dword v4, off, s[0:3], 0 offset:364
	s_waitcnt vmcnt(3)
	buffer_store_dword v1, off, s[0:3], 0 offset:360
	s_waitcnt vmcnt(3)
	buffer_store_dword v2, off, s[0:3], 0 offset:364
	s_waitcnt vmcnt(3)
	buffer_store_dword v3, v0, s[0:3], 0 offen
	s_waitcnt vmcnt(3)
	buffer_store_dword v4, v0, s[0:3], 0 offen offset:4
.LBB111_306:
	s_or_b64 exec, exec, s[4:5]
	v_pk_mov_b32 v[0:1], s[10:11], s[10:11] op_sel:[0,1]
	flat_load_dword v0, v[0:1] offset:176
	s_waitcnt vmcnt(0) lgkmcnt(0)
	v_add_u32_e32 v0, -1, v0
	v_cmp_ne_u32_e32 vcc, 44, v0
	s_and_saveexec_b64 s[4:5], vcc
	s_cbranch_execz .LBB111_308
; %bb.307:
	v_mov_b32_e32 v1, 0
	v_lshl_add_u32 v0, v0, 3, v1
	buffer_load_dword v1, v0, s[0:3], 0 offen
	buffer_load_dword v2, v0, s[0:3], 0 offen offset:4
	buffer_load_dword v3, off, s[0:3], 0 offset:356
	buffer_load_dword v4, off, s[0:3], 0 offset:352
	s_waitcnt vmcnt(3)
	buffer_store_dword v1, off, s[0:3], 0 offset:352
	s_waitcnt vmcnt(3)
	buffer_store_dword v2, off, s[0:3], 0 offset:356
	s_waitcnt vmcnt(3)
	buffer_store_dword v3, v0, s[0:3], 0 offen offset:4
	s_waitcnt vmcnt(3)
	buffer_store_dword v4, v0, s[0:3], 0 offen
.LBB111_308:
	s_or_b64 exec, exec, s[4:5]
	v_pk_mov_b32 v[0:1], s[10:11], s[10:11] op_sel:[0,1]
	flat_load_dword v0, v[0:1] offset:172
	s_waitcnt vmcnt(0) lgkmcnt(0)
	v_add_u32_e32 v0, -1, v0
	v_cmp_ne_u32_e32 vcc, 43, v0
	s_and_saveexec_b64 s[4:5], vcc
	s_cbranch_execz .LBB111_310
; %bb.309:
	v_mov_b32_e32 v1, 0
	v_lshl_add_u32 v0, v0, 3, v1
	buffer_load_dword v1, v0, s[0:3], 0 offen
	buffer_load_dword v2, v0, s[0:3], 0 offen offset:4
	buffer_load_dword v3, off, s[0:3], 0 offset:344
	buffer_load_dword v4, off, s[0:3], 0 offset:348
	s_waitcnt vmcnt(3)
	buffer_store_dword v1, off, s[0:3], 0 offset:344
	s_waitcnt vmcnt(3)
	buffer_store_dword v2, off, s[0:3], 0 offset:348
	s_waitcnt vmcnt(3)
	buffer_store_dword v3, v0, s[0:3], 0 offen
	s_waitcnt vmcnt(3)
	buffer_store_dword v4, v0, s[0:3], 0 offen offset:4
.LBB111_310:
	s_or_b64 exec, exec, s[4:5]
	;; [unrolled: 48-line block ×23, first 2 shown]
	v_pk_mov_b32 v[0:1], s[10:11], s[10:11] op_sel:[0,1]
	flat_load_dword v2, v[0:1]
	s_nop 0
	buffer_load_dword v0, off, s[0:3], 0
	buffer_load_dword v1, off, s[0:3], 0 offset:4
	s_waitcnt vmcnt(0) lgkmcnt(0)
	v_add_u32_e32 v2, -1, v2
	v_cmp_ne_u32_e32 vcc, 0, v2
	s_and_saveexec_b64 s[4:5], vcc
	s_cbranch_execz .LBB111_396
; %bb.395:
	v_mov_b32_e32 v3, 0
	v_lshl_add_u32 v2, v2, 3, v3
	buffer_load_dword v3, v2, s[0:3], 0 offen offset:4
	buffer_load_dword v4, v2, s[0:3], 0 offen
	s_waitcnt vmcnt(1)
	buffer_store_dword v3, off, s[0:3], 0 offset:4
	s_waitcnt vmcnt(1)
	buffer_store_dword v4, off, s[0:3], 0
	buffer_store_dword v1, v2, s[0:3], 0 offen offset:4
	buffer_store_dword v0, v2, s[0:3], 0 offen
	buffer_load_dword v0, off, s[0:3], 0
	s_nop 0
	buffer_load_dword v1, off, s[0:3], 0 offset:4
.LBB111_396:
	s_or_b64 exec, exec, s[4:5]
.LBB111_397:
	buffer_load_dword v2, off, s[0:3], 0 offset:8
	buffer_load_dword v3, off, s[0:3], 0 offset:12
	;; [unrolled: 1-line block ×94, first 2 shown]
	s_waitcnt vmcnt(62)
	global_store_dwordx2 v[164:165], v[0:1], off
	global_store_dwordx2 v[166:167], v[2:3], off
	v_accvgpr_read_b32 v0, a0
	v_accvgpr_read_b32 v1, a1
	global_store_dwordx2 v[0:1], v[4:5], off
	v_accvgpr_read_b32 v0, a2
	v_accvgpr_read_b32 v1, a3
	;; [unrolled: 3-line block ×10, first 2 shown]
	global_store_dwordx2 v[0:1], v[22:23], off
	global_store_dwordx2 v[98:99], v[24:25], off
	;; [unrolled: 1-line block ×6, first 2 shown]
	s_waitcnt vmcnt(62)
	global_store_dwordx2 v[108:109], v[34:35], off
	global_store_dwordx2 v[110:111], v[36:37], off
	global_store_dwordx2 v[112:113], v[38:39], off
	global_store_dwordx2 v[114:115], v[40:41], off
	global_store_dwordx2 v[116:117], v[42:43], off
	global_store_dwordx2 v[118:119], v[44:45], off
	global_store_dwordx2 v[120:121], v[46:47], off
	global_store_dwordx2 v[122:123], v[48:49], off
	s_waitcnt vmcnt(62)
	global_store_dwordx2 v[124:125], v[50:51], off
	global_store_dwordx2 v[126:127], v[52:53], off
	;; [unrolled: 1-line block ×4, first 2 shown]
	s_waitcnt vmcnt(62)
	global_store_dwordx2 v[132:133], v[58:59], off
	global_store_dwordx2 v[134:135], v[60:61], off
	s_waitcnt vmcnt(62)
	global_store_dwordx2 v[136:137], v[62:63], off
	s_waitcnt vmcnt(62)
	;; [unrolled: 2-line block ×17, first 2 shown]
	global_store_dwordx2 v[172:173], v[190:191], off
	s_endpgm
	.section	.rodata,"a",@progbits
	.p2align	6, 0x0
	.amdhsa_kernel _ZN9rocsolver6v33100L18getri_kernel_smallILi48E19rocblas_complex_numIfEPKPS3_EEvT1_iilPiilS8_bb
		.amdhsa_group_segment_fixed_size 772
		.amdhsa_private_segment_fixed_size 400
		.amdhsa_kernarg_size 60
		.amdhsa_user_sgpr_count 8
		.amdhsa_user_sgpr_private_segment_buffer 1
		.amdhsa_user_sgpr_dispatch_ptr 0
		.amdhsa_user_sgpr_queue_ptr 0
		.amdhsa_user_sgpr_kernarg_segment_ptr 1
		.amdhsa_user_sgpr_dispatch_id 0
		.amdhsa_user_sgpr_flat_scratch_init 1
		.amdhsa_user_sgpr_kernarg_preload_length 0
		.amdhsa_user_sgpr_kernarg_preload_offset 0
		.amdhsa_user_sgpr_private_segment_size 0
		.amdhsa_uses_dynamic_stack 0
		.amdhsa_system_sgpr_private_segment_wavefront_offset 1
		.amdhsa_system_sgpr_workgroup_id_x 1
		.amdhsa_system_sgpr_workgroup_id_y 0
		.amdhsa_system_sgpr_workgroup_id_z 0
		.amdhsa_system_sgpr_workgroup_info 0
		.amdhsa_system_vgpr_workitem_id 0
		.amdhsa_next_free_vgpr 277
		.amdhsa_next_free_sgpr 22
		.amdhsa_accum_offset 256
		.amdhsa_reserve_vcc 1
		.amdhsa_reserve_flat_scratch 1
		.amdhsa_float_round_mode_32 0
		.amdhsa_float_round_mode_16_64 0
		.amdhsa_float_denorm_mode_32 3
		.amdhsa_float_denorm_mode_16_64 3
		.amdhsa_dx10_clamp 1
		.amdhsa_ieee_mode 1
		.amdhsa_fp16_overflow 0
		.amdhsa_tg_split 0
		.amdhsa_exception_fp_ieee_invalid_op 0
		.amdhsa_exception_fp_denorm_src 0
		.amdhsa_exception_fp_ieee_div_zero 0
		.amdhsa_exception_fp_ieee_overflow 0
		.amdhsa_exception_fp_ieee_underflow 0
		.amdhsa_exception_fp_ieee_inexact 0
		.amdhsa_exception_int_div_zero 0
	.end_amdhsa_kernel
	.section	.text._ZN9rocsolver6v33100L18getri_kernel_smallILi48E19rocblas_complex_numIfEPKPS3_EEvT1_iilPiilS8_bb,"axG",@progbits,_ZN9rocsolver6v33100L18getri_kernel_smallILi48E19rocblas_complex_numIfEPKPS3_EEvT1_iilPiilS8_bb,comdat
.Lfunc_end111:
	.size	_ZN9rocsolver6v33100L18getri_kernel_smallILi48E19rocblas_complex_numIfEPKPS3_EEvT1_iilPiilS8_bb, .Lfunc_end111-_ZN9rocsolver6v33100L18getri_kernel_smallILi48E19rocblas_complex_numIfEPKPS3_EEvT1_iilPiilS8_bb
                                        ; -- End function
	.section	.AMDGPU.csdata,"",@progbits
; Kernel info:
; codeLenInByte = 92628
; NumSgprs: 28
; NumVgprs: 256
; NumAgprs: 21
; TotalNumVgprs: 277
; ScratchSize: 400
; MemoryBound: 0
; FloatMode: 240
; IeeeMode: 1
; LDSByteSize: 772 bytes/workgroup (compile time only)
; SGPRBlocks: 3
; VGPRBlocks: 34
; NumSGPRsForWavesPerEU: 28
; NumVGPRsForWavesPerEU: 277
; AccumOffset: 256
; Occupancy: 1
; WaveLimiterHint : 1
; COMPUTE_PGM_RSRC2:SCRATCH_EN: 1
; COMPUTE_PGM_RSRC2:USER_SGPR: 8
; COMPUTE_PGM_RSRC2:TRAP_HANDLER: 0
; COMPUTE_PGM_RSRC2:TGID_X_EN: 1
; COMPUTE_PGM_RSRC2:TGID_Y_EN: 0
; COMPUTE_PGM_RSRC2:TGID_Z_EN: 0
; COMPUTE_PGM_RSRC2:TIDIG_COMP_CNT: 0
; COMPUTE_PGM_RSRC3_GFX90A:ACCUM_OFFSET: 63
; COMPUTE_PGM_RSRC3_GFX90A:TG_SPLIT: 0
	.section	.text._ZN9rocsolver6v33100L18getri_kernel_smallILi49E19rocblas_complex_numIfEPKPS3_EEvT1_iilPiilS8_bb,"axG",@progbits,_ZN9rocsolver6v33100L18getri_kernel_smallILi49E19rocblas_complex_numIfEPKPS3_EEvT1_iilPiilS8_bb,comdat
	.globl	_ZN9rocsolver6v33100L18getri_kernel_smallILi49E19rocblas_complex_numIfEPKPS3_EEvT1_iilPiilS8_bb ; -- Begin function _ZN9rocsolver6v33100L18getri_kernel_smallILi49E19rocblas_complex_numIfEPKPS3_EEvT1_iilPiilS8_bb
	.p2align	8
	.type	_ZN9rocsolver6v33100L18getri_kernel_smallILi49E19rocblas_complex_numIfEPKPS3_EEvT1_iilPiilS8_bb,@function
_ZN9rocsolver6v33100L18getri_kernel_smallILi49E19rocblas_complex_numIfEPKPS3_EEvT1_iilPiilS8_bb: ; @_ZN9rocsolver6v33100L18getri_kernel_smallILi49E19rocblas_complex_numIfEPKPS3_EEvT1_iilPiilS8_bb
; %bb.0:
	s_add_u32 flat_scratch_lo, s6, s9
	s_addc_u32 flat_scratch_hi, s7, 0
	s_add_u32 s0, s0, s9
	s_addc_u32 s1, s1, 0
	v_cmp_gt_u32_e32 vcc, 49, v0
	s_and_saveexec_b64 s[6:7], vcc
	s_cbranch_execz .LBB112_210
; %bb.1:
	s_load_dword s20, s[4:5], 0x38
	s_load_dwordx2 s[6:7], s[4:5], 0x0
	s_load_dwordx4 s[12:15], s[4:5], 0x28
	s_waitcnt lgkmcnt(0)
	s_bitcmp1_b32 s20, 8
	s_cselect_b64 s[16:17], -1, 0
	s_ashr_i32 s9, s8, 31
	s_lshl_b64 s[10:11], s[8:9], 3
	s_add_u32 s6, s6, s10
	s_addc_u32 s7, s7, s11
	s_load_dwordx2 s[18:19], s[6:7], 0x0
	s_bfe_u32 s6, s20, 0x10008
	s_cmp_eq_u32 s6, 0
                                        ; implicit-def: $sgpr10_sgpr11
	s_cbranch_scc1 .LBB112_3
; %bb.2:
	s_load_dword s6, s[4:5], 0x20
	s_load_dwordx2 s[10:11], s[4:5], 0x18
	s_mul_i32 s7, s8, s13
	s_mul_hi_u32 s13, s8, s12
	s_add_i32 s13, s13, s7
	s_mul_i32 s21, s9, s12
	s_add_i32 s13, s13, s21
	s_mul_i32 s12, s8, s12
	s_waitcnt lgkmcnt(0)
	s_ashr_i32 s7, s6, 31
	s_lshl_b64 s[12:13], s[12:13], 2
	s_add_u32 s10, s10, s12
	s_addc_u32 s11, s11, s13
	s_lshl_b64 s[6:7], s[6:7], 2
	s_add_u32 s10, s10, s6
	s_addc_u32 s11, s11, s7
.LBB112_3:
	s_load_dwordx2 s[6:7], s[4:5], 0x8
	v_lshlrev_b32_e32 v6, 3, v0
	s_waitcnt lgkmcnt(0)
	s_ashr_i32 s5, s6, 31
	s_mov_b32 s4, s6
	s_lshl_b64 s[4:5], s[4:5], 3
	s_add_u32 s4, s18, s4
	s_addc_u32 s5, s19, s5
	s_add_i32 s6, s7, s7
	v_add_u32_e32 v2, s6, v0
	v_ashrrev_i32_e32 v3, 31, v2
	v_lshlrev_b64 v[4:5], 3, v[2:3]
	v_add_u32_e32 v2, s7, v2
	v_mov_b32_e32 v1, s5
	v_add_co_u32_e32 v12, vcc, s4, v4
	v_ashrrev_i32_e32 v3, 31, v2
	v_addc_co_u32_e32 v13, vcc, v1, v5, vcc
	v_lshlrev_b64 v[4:5], 3, v[2:3]
	v_add_u32_e32 v2, s7, v2
	v_add_co_u32_e32 v14, vcc, s4, v4
	v_ashrrev_i32_e32 v3, 31, v2
	v_addc_co_u32_e32 v15, vcc, v1, v5, vcc
	v_lshlrev_b64 v[4:5], 3, v[2:3]
	v_add_u32_e32 v2, s7, v2
	;; [unrolled: 5-line block ×39, first 2 shown]
	v_add_co_u32_e32 v156, vcc, s4, v4
	v_ashrrev_i32_e32 v3, 31, v2
	v_addc_co_u32_e32 v157, vcc, v1, v5, vcc
	v_lshlrev_b64 v[4:5], 3, v[2:3]
	v_add_co_u32_e32 v158, vcc, s4, v4
	v_addc_co_u32_e32 v159, vcc, v1, v5, vcc
	global_load_dwordx2 v[4:5], v6, s[4:5]
	v_mov_b32_e32 v7, s5
	v_add_co_u32_e32 v166, vcc, s4, v6
	s_ashr_i32 s13, s7, 31
	s_mov_b32 s12, s7
	v_addc_co_u32_e32 v167, vcc, 0, v7, vcc
	s_lshl_b64 s[12:13], s[12:13], 3
	v_mov_b32_e32 v7, s13
	v_add_co_u32_e32 v168, vcc, s12, v166
	v_addc_co_u32_e32 v169, vcc, v167, v7, vcc
	global_load_dwordx2 v[8:9], v[168:169], off
	v_accvgpr_write_b32 a0, v12
	v_add_u32_e32 v2, s7, v2
	v_accvgpr_write_b32 a1, v13
	global_load_dwordx2 v[12:13], v[12:13], off
	v_ashrrev_i32_e32 v3, 31, v2
	v_lshlrev_b64 v[10:11], 3, v[2:3]
	v_add_co_u32_e32 v160, vcc, s4, v10
	v_addc_co_u32_e32 v161, vcc, v1, v11, vcc
	global_load_dwordx2 v[10:11], v[14:15], off
	v_accvgpr_write_b32 a4, v16
	v_accvgpr_write_b32 a5, v17
	global_load_dwordx2 v[16:17], v[16:17], off
	v_accvgpr_write_b32 a6, v18
	v_add_u32_e32 v2, s7, v2
	v_accvgpr_write_b32 a7, v19
	global_load_dwordx2 v[18:19], v[18:19], off
	v_accvgpr_write_b32 a2, v14
	v_ashrrev_i32_e32 v3, 31, v2
	v_accvgpr_write_b32 a3, v15
	v_lshlrev_b64 v[14:15], 3, v[2:3]
	v_add_co_u32_e32 v162, vcc, s4, v14
	v_add_u32_e32 v2, s7, v2
	v_addc_co_u32_e32 v163, vcc, v1, v15, vcc
	global_load_dwordx2 v[14:15], v[20:21], off
	v_ashrrev_i32_e32 v3, 31, v2
	v_accvgpr_write_b32 a8, v20
	v_accvgpr_write_b32 a10, v22
	;; [unrolled: 1-line block ×5, first 2 shown]
	global_load_dwordx2 v[22:23], v[22:23], off
	v_accvgpr_write_b32 a19, v31
	global_load_dwordx2 v[30:31], v[30:31], off
	v_lshlrev_b64 v[20:21], 3, v[2:3]
	v_add_u32_e32 v2, s7, v2
	v_add_co_u32_e32 v164, vcc, s4, v20
	v_accvgpr_write_b32 a12, v24
	v_ashrrev_i32_e32 v3, 31, v2
	v_accvgpr_write_b32 a14, v26
	v_accvgpr_write_b32 a16, v28
	v_accvgpr_write_b32 a20, v32
	v_addc_co_u32_e32 v165, vcc, v1, v21, vcc
	v_accvgpr_write_b32 a13, v25
	global_load_dwordx2 v[20:21], v[24:25], off
	v_accvgpr_write_b32 a15, v27
	v_accvgpr_write_b32 a17, v29
	;; [unrolled: 1-line block ×3, first 2 shown]
	global_load_dwordx2 v[32:33], v[32:33], off
	v_accvgpr_write_b32 a22, v34
	global_load_dwordx2 v[24:25], v[26:27], off
	v_accvgpr_write_b32 a23, v35
	global_load_dwordx2 v[26:27], v[28:29], off
	v_lshlrev_b64 v[28:29], 3, v[2:3]
	v_add_u32_e32 v2, s7, v2
	v_add_co_u32_e32 v170, vcc, s4, v28
	v_ashrrev_i32_e32 v3, 31, v2
	v_addc_co_u32_e32 v171, vcc, v1, v29, vcc
	v_lshlrev_b64 v[44:45], 3, v[2:3]
	v_add_co_u32_e32 v172, vcc, s4, v44
	global_load_dwordx2 v[34:35], v[34:35], off
	s_nop 0
	global_load_dwordx2 v[36:37], v[102:103], off
	global_load_dwordx2 v[28:29], v[104:105], off
	global_load_dwordx2 v[38:39], v[106:107], off
	global_load_dwordx2 v[40:41], v[108:109], off
	global_load_dwordx2 v[42:43], v[110:111], off
	global_load_dwordx2 v[46:47], v[112:113], off
	global_load_dwordx2 v[48:49], v[114:115], off
	global_load_dwordx2 v[50:51], v[116:117], off
	global_load_dwordx2 v[52:53], v[118:119], off
	v_addc_co_u32_e32 v173, vcc, v1, v45, vcc
	global_load_dwordx2 v[44:45], v[120:121], off
	global_load_dwordx2 v[54:55], v[122:123], off
	;; [unrolled: 1-line block ×8, first 2 shown]
	v_add_u32_e32 v2, s7, v2
	v_ashrrev_i32_e32 v3, 31, v2
	v_lshlrev_b64 v[2:3], 3, v[2:3]
	v_add_co_u32_e32 v174, vcc, s4, v2
	v_addc_co_u32_e32 v175, vcc, v1, v3, vcc
	global_load_dwordx2 v[2:3], v[136:137], off
	global_load_dwordx2 v[68:69], v[138:139], off
	;; [unrolled: 1-line block ×10, first 2 shown]
	s_bitcmp0_b32 s20, 0
	s_waitcnt vmcnt(40)
	buffer_store_dword v5, off, s[0:3], 0 offset:4
	buffer_store_dword v4, off, s[0:3], 0
	global_load_dwordx2 v[4:5], v[140:141], off
	s_mov_b64 s[6:7], -1
	s_waitcnt vmcnt(42)
	buffer_store_dword v9, off, s[0:3], 0 offset:12
	buffer_store_dword v8, off, s[0:3], 0 offset:8
	global_load_dwordx2 v[8:9], v[144:145], off
	s_waitcnt vmcnt(44)
	buffer_store_dword v13, off, s[0:3], 0 offset:20
	buffer_store_dword v12, off, s[0:3], 0 offset:16
	global_load_dwordx2 v[12:13], v[148:149], off
	;; [unrolled: 4-line block ×7, first 2 shown]
	s_waitcnt vmcnt(55)
	buffer_store_dword v21, off, s[0:3], 0 offset:68
	buffer_store_dword v20, off, s[0:3], 0 offset:64
	s_waitcnt vmcnt(55)
	buffer_store_dword v24, off, s[0:3], 0 offset:72
	buffer_store_dword v25, off, s[0:3], 0 offset:76
	s_waitcnt vmcnt(56)
	buffer_store_dword v26, off, s[0:3], 0 offset:80
	buffer_store_dword v27, off, s[0:3], 0 offset:84
	buffer_store_dword v30, off, s[0:3], 0 offset:88
	buffer_store_dword v31, off, s[0:3], 0 offset:92
	;; [unrolled: 1-line block ×4, first 2 shown]
	s_waitcnt vmcnt(61)
	buffer_store_dword v34, off, s[0:3], 0 offset:104
	buffer_store_dword v35, off, s[0:3], 0 offset:108
	s_waitcnt vmcnt(62)
	buffer_store_dword v37, off, s[0:3], 0 offset:116
	buffer_store_dword v36, off, s[0:3], 0 offset:112
	;; [unrolled: 3-line block ×3, first 2 shown]
	buffer_store_dword v38, off, s[0:3], 0 offset:128
	buffer_store_dword v39, off, s[0:3], 0 offset:132
	s_waitcnt vmcnt(62)
	buffer_store_dword v40, off, s[0:3], 0 offset:136
	buffer_store_dword v41, off, s[0:3], 0 offset:140
	;; [unrolled: 1-line block ×8, first 2 shown]
	s_waitcnt vmcnt(62)
	buffer_store_dword v50, off, s[0:3], 0 offset:168
	buffer_store_dword v51, off, s[0:3], 0 offset:172
	;; [unrolled: 1-line block ×16, first 2 shown]
	s_waitcnt vmcnt(62)
	buffer_store_dword v64, off, s[0:3], 0 offset:232
	buffer_store_dword v65, off, s[0:3], 0 offset:236
	;; [unrolled: 1-line block ×12, first 2 shown]
	s_waitcnt vmcnt(62)
	buffer_store_dword v8, off, s[0:3], 0 offset:280
	buffer_store_dword v9, off, s[0:3], 0 offset:284
	;; [unrolled: 1-line block ×16, first 2 shown]
	s_waitcnt vmcnt(62)
	buffer_store_dword v19, off, s[0:3], 0 offset:348
	buffer_store_dword v18, off, s[0:3], 0 offset:344
	buffer_store_dword v179, off, s[0:3], 0 offset:356
	buffer_store_dword v178, off, s[0:3], 0 offset:352
	buffer_store_dword v14, off, s[0:3], 0 offset:360
	buffer_store_dword v15, off, s[0:3], 0 offset:364
	buffer_store_dword v180, off, s[0:3], 0 offset:368
	buffer_store_dword v181, off, s[0:3], 0 offset:372
	buffer_store_dword v22, off, s[0:3], 0 offset:376
	buffer_store_dword v23, off, s[0:3], 0 offset:380
	buffer_store_dword v182, off, s[0:3], 0 offset:384
	buffer_store_dword v183, off, s[0:3], 0 offset:388
	s_cbranch_scc1 .LBB112_208
; %bb.4:
	v_cmp_eq_u32_e64 s[4:5], 0, v0
	s_and_saveexec_b64 s[6:7], s[4:5]
	s_cbranch_execz .LBB112_6
; %bb.5:
	v_mov_b32_e32 v1, 0
	ds_write_b32 v1, v1 offset:392
.LBB112_6:
	s_or_b64 exec, exec, s[6:7]
	v_mov_b32_e32 v1, 0
	v_lshl_add_u32 v7, v0, 3, v1
	s_waitcnt lgkmcnt(0)
	; wave barrier
	s_waitcnt lgkmcnt(0)
	buffer_load_dword v1, v7, s[0:3], 0 offen
	buffer_load_dword v2, v7, s[0:3], 0 offen offset:4
	s_waitcnt vmcnt(1)
	v_cmp_eq_f32_e32 vcc, 0, v1
	s_waitcnt vmcnt(0)
	v_cmp_eq_f32_e64 s[6:7], 0, v2
	s_and_b64 s[6:7], vcc, s[6:7]
	s_and_saveexec_b64 s[12:13], s[6:7]
	s_cbranch_execz .LBB112_10
; %bb.7:
	v_mov_b32_e32 v1, 0
	ds_read_b32 v3, v1 offset:392
	v_add_u32_e32 v2, 1, v0
	s_waitcnt lgkmcnt(0)
	v_readfirstlane_b32 s6, v3
	s_cmp_eq_u32 s6, 0
	s_cselect_b64 s[18:19], -1, 0
	v_cmp_gt_i32_e32 vcc, s6, v2
	s_or_b64 s[18:19], s[18:19], vcc
	s_and_b64 exec, exec, s[18:19]
	s_cbranch_execz .LBB112_10
; %bb.8:
	s_mov_b64 s[18:19], 0
	v_mov_b32_e32 v3, s6
.LBB112_9:                              ; =>This Inner Loop Header: Depth=1
	ds_cmpst_rtn_b32 v3, v1, v3, v2 offset:392
	s_waitcnt lgkmcnt(0)
	v_cmp_ne_u32_e32 vcc, 0, v3
	v_cmp_le_i32_e64 s[6:7], v3, v2
	s_and_b64 s[6:7], vcc, s[6:7]
	s_and_b64 s[6:7], exec, s[6:7]
	s_or_b64 s[18:19], s[6:7], s[18:19]
	s_andn2_b64 exec, exec, s[18:19]
	s_cbranch_execnz .LBB112_9
.LBB112_10:
	s_or_b64 exec, exec, s[12:13]
	v_mov_b32_e32 v2, 0
	s_waitcnt lgkmcnt(0)
	; wave barrier
	ds_read_b32 v1, v2 offset:392
	s_and_saveexec_b64 s[6:7], s[4:5]
	s_cbranch_execz .LBB112_12
; %bb.11:
	s_lshl_b64 s[12:13], s[8:9], 2
	s_add_u32 s12, s14, s12
	s_addc_u32 s13, s15, s13
	s_waitcnt lgkmcnt(0)
	global_store_dword v2, v1, s[12:13]
.LBB112_12:
	s_or_b64 exec, exec, s[6:7]
	s_waitcnt lgkmcnt(0)
	v_cmp_ne_u32_e32 vcc, 0, v1
	s_mov_b64 s[6:7], 0
	s_cbranch_vccnz .LBB112_208
; %bb.13:
	buffer_load_dword v8, v7, s[0:3], 0 offen offset:4
	buffer_load_dword v3, v7, s[0:3], 0 offen
	s_waitcnt vmcnt(1)
	v_cmp_gt_f32_e32 vcc, 0, v8
	v_cndmask_b32_e64 v1, v8, -v8, vcc
	s_waitcnt vmcnt(0)
	v_cmp_gt_f32_e32 vcc, 0, v3
	v_cndmask_b32_e64 v2, v3, -v3, vcc
	v_cmp_ngt_f32_e32 vcc, v2, v1
                                        ; implicit-def: $vgpr1
                                        ; implicit-def: $vgpr2
	s_and_saveexec_b64 s[6:7], vcc
	s_xor_b64 s[6:7], exec, s[6:7]
                                        ; implicit-def: $vgpr4_vgpr5
	s_cbranch_execz .LBB112_15
; %bb.14:
	v_div_scale_f32 v1, s[12:13], v8, v8, v3
	v_rcp_f32_e32 v2, v1
	v_div_scale_f32 v4, vcc, v3, v8, v3
	v_fma_f32 v5, -v1, v2, 1.0
	v_fmac_f32_e32 v2, v5, v2
	v_mul_f32_e32 v5, v4, v2
	v_fma_f32 v9, -v1, v5, v4
	v_fmac_f32_e32 v5, v9, v2
	v_fma_f32 v1, -v1, v5, v4
	v_div_fmas_f32 v1, v1, v2, v5
	v_div_fixup_f32 v2, v1, v8, v3
	v_fmac_f32_e32 v8, v3, v2
	v_div_scale_f32 v1, s[12:13], v8, v8, -1.0
	v_rcp_f32_e32 v3, v1
	v_fma_f32 v4, -v1, v3, 1.0
	v_fmac_f32_e32 v3, v4, v3
	v_div_scale_f32 v4, vcc, -1.0, v8, -1.0
	v_mul_f32_e32 v5, v4, v3
	v_fma_f32 v9, -v1, v5, v4
	v_fmac_f32_e32 v5, v9, v3
	v_fma_f32 v1, -v1, v5, v4
	v_div_fmas_f32 v1, v1, v3, v5
	v_div_fixup_f32 v1, v1, v8, -1.0
	v_mul_f32_e32 v2, v2, v1
	v_xor_b32_e32 v4, 0x80000000, v2
                                        ; implicit-def: $vgpr3
                                        ; implicit-def: $vgpr8
.LBB112_15:
	s_andn2_saveexec_b64 s[6:7], s[6:7]
	s_cbranch_execz .LBB112_17
; %bb.16:
	v_div_scale_f32 v1, s[12:13], v3, v3, v8
	v_rcp_f32_e32 v2, v1
	v_div_scale_f32 v4, vcc, v8, v3, v8
	v_fma_f32 v5, -v1, v2, 1.0
	v_fmac_f32_e32 v2, v5, v2
	v_mul_f32_e32 v5, v4, v2
	v_fma_f32 v9, -v1, v5, v4
	v_fmac_f32_e32 v5, v9, v2
	v_fma_f32 v1, -v1, v5, v4
	v_div_fmas_f32 v1, v1, v2, v5
	v_div_fixup_f32 v1, v1, v3, v8
	v_fmac_f32_e32 v3, v8, v1
	v_div_scale_f32 v2, s[12:13], v3, v3, 1.0
	v_rcp_f32_e32 v4, v2
	v_fma_f32 v5, -v2, v4, 1.0
	v_fmac_f32_e32 v4, v5, v4
	v_div_scale_f32 v5, vcc, 1.0, v3, 1.0
	v_mul_f32_e32 v8, v5, v4
	v_fma_f32 v9, -v2, v8, v5
	v_fmac_f32_e32 v8, v9, v4
	v_fma_f32 v2, -v2, v8, v5
	v_div_fmas_f32 v2, v2, v4, v8
	v_div_fixup_f32 v4, v2, v3, 1.0
	v_xor_b32_e32 v2, 0x80000000, v4
	v_mul_f32_e64 v1, v1, -v4
.LBB112_17:
	s_or_b64 exec, exec, s[6:7]
	buffer_store_dword v1, v7, s[0:3], 0 offen offset:4
	buffer_store_dword v4, v7, s[0:3], 0 offen
	buffer_load_dword v5, off, s[0:3], 0 offset:12
	s_nop 0
	buffer_load_dword v4, off, s[0:3], 0 offset:8
	v_xor_b32_e32 v3, 0x80000000, v1
	v_add_u32_e32 v1, 0x190, v6
	s_waitcnt vmcnt(0)
	ds_write2_b64 v6, v[2:3], v[4:5] offset1:50
	s_waitcnt lgkmcnt(0)
	; wave barrier
	s_waitcnt lgkmcnt(0)
	s_and_saveexec_b64 s[6:7], s[4:5]
	s_cbranch_execz .LBB112_19
; %bb.18:
	buffer_load_dword v8, v7, s[0:3], 0 offen offset:4
	buffer_load_dword v9, v7, s[0:3], 0 offen
	ds_read_b64 v[2:3], v1
	v_mov_b32_e32 v4, 0
	ds_read_b64 v[4:5], v4 offset:8
	s_waitcnt vmcnt(1) lgkmcnt(1)
	v_mul_f32_e32 v10, v3, v8
	v_mul_f32_e32 v8, v2, v8
	s_waitcnt vmcnt(0)
	v_fmac_f32_e32 v8, v3, v9
	v_fma_f32 v2, v2, v9, -v10
	v_add_f32_e32 v3, 0, v8
	v_add_f32_e32 v2, 0, v2
	s_waitcnt lgkmcnt(0)
	v_mul_f32_e32 v8, v3, v5
	v_mul_f32_e32 v5, v2, v5
	v_fma_f32 v2, v2, v4, -v8
	v_fmac_f32_e32 v5, v3, v4
	buffer_store_dword v2, off, s[0:3], 0 offset:8
	buffer_store_dword v5, off, s[0:3], 0 offset:12
.LBB112_19:
	s_or_b64 exec, exec, s[6:7]
	s_waitcnt lgkmcnt(0)
	; wave barrier
	buffer_load_dword v2, off, s[0:3], 0 offset:16
	buffer_load_dword v3, off, s[0:3], 0 offset:20
	v_cmp_gt_u32_e32 vcc, 2, v0
	s_waitcnt vmcnt(0)
	ds_write_b64 v1, v[2:3]
	s_waitcnt lgkmcnt(0)
	; wave barrier
	s_waitcnt lgkmcnt(0)
	s_and_saveexec_b64 s[6:7], vcc
	s_cbranch_execz .LBB112_23
; %bb.20:
	buffer_load_dword v4, v7, s[0:3], 0 offen offset:4
	buffer_load_dword v5, v7, s[0:3], 0 offen
	ds_read_b64 v[2:3], v1
	s_waitcnt vmcnt(1) lgkmcnt(0)
	v_mul_f32_e32 v7, v3, v4
	v_mul_f32_e32 v4, v2, v4
	s_waitcnt vmcnt(0)
	v_fma_f32 v2, v2, v5, -v7
	v_fmac_f32_e32 v4, v3, v5
	v_add_f32_e32 v3, 0, v2
	v_add_f32_e32 v2, 0, v4
	s_and_saveexec_b64 s[12:13], s[4:5]
	s_cbranch_execz .LBB112_22
; %bb.21:
	buffer_load_dword v7, off, s[0:3], 0 offset:12
	buffer_load_dword v8, off, s[0:3], 0 offset:8
	v_mov_b32_e32 v4, 0
	ds_read_b64 v[4:5], v4 offset:408
	s_waitcnt vmcnt(1) lgkmcnt(0)
	v_mul_f32_e32 v9, v4, v7
	v_mul_f32_e32 v7, v5, v7
	s_waitcnt vmcnt(0)
	v_fmac_f32_e32 v9, v5, v8
	v_fma_f32 v4, v4, v8, -v7
	v_add_f32_e32 v2, v2, v9
	v_add_f32_e32 v3, v3, v4
.LBB112_22:
	s_or_b64 exec, exec, s[12:13]
	v_mov_b32_e32 v4, 0
	ds_read_b64 v[4:5], v4 offset:16
	s_waitcnt lgkmcnt(0)
	v_mul_f32_e32 v7, v2, v5
	v_mul_f32_e32 v5, v3, v5
	v_fma_f32 v3, v3, v4, -v7
	v_fmac_f32_e32 v5, v2, v4
	buffer_store_dword v3, off, s[0:3], 0 offset:16
	buffer_store_dword v5, off, s[0:3], 0 offset:20
.LBB112_23:
	s_or_b64 exec, exec, s[6:7]
	s_waitcnt lgkmcnt(0)
	; wave barrier
	buffer_load_dword v2, off, s[0:3], 0 offset:24
	buffer_load_dword v3, off, s[0:3], 0 offset:28
	v_cmp_gt_u32_e32 vcc, 3, v0
	s_waitcnt vmcnt(0)
	ds_write_b64 v1, v[2:3]
	v_add_u32_e32 v2, -1, v0
	s_waitcnt lgkmcnt(0)
	; wave barrier
	s_waitcnt lgkmcnt(0)
	s_and_saveexec_b64 s[4:5], vcc
	s_cbranch_execz .LBB112_27
; %bb.24:
	v_add_u32_e32 v4, -1, v0
	v_add_u32_e32 v5, 0x190, v6
	v_add_u32_e32 v7, 0, v6
	s_mov_b64 s[6:7], 0
	v_mov_b32_e32 v3, 0
	v_mov_b32_e32 v8, 0
.LBB112_25:                             ; =>This Inner Loop Header: Depth=1
	buffer_load_dword v9, v7, s[0:3], 0 offen offset:4
	buffer_load_dword v12, v7, s[0:3], 0 offen
	ds_read_b64 v[10:11], v5
	v_add_u32_e32 v4, 1, v4
	v_cmp_lt_u32_e32 vcc, 1, v4
	v_add_u32_e32 v5, 8, v5
	v_add_u32_e32 v7, 8, v7
	s_or_b64 s[6:7], vcc, s[6:7]
	s_waitcnt vmcnt(1) lgkmcnt(0)
	v_mul_f32_e32 v13, v11, v9
	v_mul_f32_e32 v9, v10, v9
	s_waitcnt vmcnt(0)
	v_fma_f32 v10, v10, v12, -v13
	v_fmac_f32_e32 v9, v11, v12
	v_add_f32_e32 v8, v8, v10
	v_add_f32_e32 v3, v3, v9
	s_andn2_b64 exec, exec, s[6:7]
	s_cbranch_execnz .LBB112_25
; %bb.26:
	s_or_b64 exec, exec, s[6:7]
	v_mov_b32_e32 v4, 0
	ds_read_b64 v[4:5], v4 offset:24
	s_waitcnt lgkmcnt(0)
	v_mul_f32_e32 v7, v3, v5
	v_mul_f32_e32 v5, v8, v5
	v_fma_f32 v7, v8, v4, -v7
	v_fmac_f32_e32 v5, v3, v4
	buffer_store_dword v7, off, s[0:3], 0 offset:24
	buffer_store_dword v5, off, s[0:3], 0 offset:28
.LBB112_27:
	s_or_b64 exec, exec, s[4:5]
	s_waitcnt lgkmcnt(0)
	; wave barrier
	buffer_load_dword v4, off, s[0:3], 0 offset:32
	buffer_load_dword v5, off, s[0:3], 0 offset:36
	v_cmp_gt_u32_e32 vcc, 4, v0
	s_waitcnt vmcnt(0)
	ds_write_b64 v1, v[4:5]
	s_waitcnt lgkmcnt(0)
	; wave barrier
	s_waitcnt lgkmcnt(0)
	s_and_saveexec_b64 s[4:5], vcc
	s_cbranch_execz .LBB112_31
; %bb.28:
	v_add_u32_e32 v4, -1, v0
	v_add_u32_e32 v5, 0x190, v6
	v_add_u32_e32 v7, 0, v6
	s_mov_b64 s[6:7], 0
	v_mov_b32_e32 v3, 0
	v_mov_b32_e32 v8, 0
.LBB112_29:                             ; =>This Inner Loop Header: Depth=1
	buffer_load_dword v9, v7, s[0:3], 0 offen offset:4
	buffer_load_dword v12, v7, s[0:3], 0 offen
	ds_read_b64 v[10:11], v5
	v_add_u32_e32 v4, 1, v4
	v_cmp_lt_u32_e32 vcc, 2, v4
	v_add_u32_e32 v5, 8, v5
	v_add_u32_e32 v7, 8, v7
	s_or_b64 s[6:7], vcc, s[6:7]
	s_waitcnt vmcnt(1) lgkmcnt(0)
	v_mul_f32_e32 v13, v11, v9
	v_mul_f32_e32 v9, v10, v9
	s_waitcnt vmcnt(0)
	v_fma_f32 v10, v10, v12, -v13
	v_fmac_f32_e32 v9, v11, v12
	v_add_f32_e32 v8, v8, v10
	v_add_f32_e32 v3, v3, v9
	s_andn2_b64 exec, exec, s[6:7]
	s_cbranch_execnz .LBB112_29
; %bb.30:
	s_or_b64 exec, exec, s[6:7]
	v_mov_b32_e32 v4, 0
	ds_read_b64 v[4:5], v4 offset:32
	s_waitcnt lgkmcnt(0)
	v_mul_f32_e32 v7, v3, v5
	v_mul_f32_e32 v5, v8, v5
	v_fma_f32 v7, v8, v4, -v7
	v_fmac_f32_e32 v5, v3, v4
	buffer_store_dword v7, off, s[0:3], 0 offset:32
	buffer_store_dword v5, off, s[0:3], 0 offset:36
.LBB112_31:
	s_or_b64 exec, exec, s[4:5]
	s_waitcnt lgkmcnt(0)
	; wave barrier
	buffer_load_dword v4, off, s[0:3], 0 offset:40
	buffer_load_dword v5, off, s[0:3], 0 offset:44
	v_cmp_gt_u32_e32 vcc, 5, v0
	s_waitcnt vmcnt(0)
	ds_write_b64 v1, v[4:5]
	;; [unrolled: 51-line block ×19, first 2 shown]
	s_waitcnt lgkmcnt(0)
	; wave barrier
	s_waitcnt lgkmcnt(0)
	s_and_saveexec_b64 s[4:5], vcc
	s_cbranch_execz .LBB112_103
; %bb.100:
	v_add_u32_e32 v4, -1, v0
	v_add_u32_e32 v5, 0x190, v6
	v_add_u32_e32 v7, 0, v6
	s_mov_b64 s[6:7], 0
	v_mov_b32_e32 v3, 0
	v_mov_b32_e32 v8, 0
.LBB112_101:                            ; =>This Inner Loop Header: Depth=1
	buffer_load_dword v9, v7, s[0:3], 0 offen offset:4
	buffer_load_dword v12, v7, s[0:3], 0 offen
	ds_read_b64 v[10:11], v5
	v_add_u32_e32 v4, 1, v4
	v_cmp_lt_u32_e32 vcc, 20, v4
	v_add_u32_e32 v5, 8, v5
	v_add_u32_e32 v7, 8, v7
	s_or_b64 s[6:7], vcc, s[6:7]
	s_waitcnt vmcnt(1) lgkmcnt(0)
	v_mul_f32_e32 v13, v11, v9
	v_mul_f32_e32 v9, v10, v9
	s_waitcnt vmcnt(0)
	v_fma_f32 v10, v10, v12, -v13
	v_fmac_f32_e32 v9, v11, v12
	v_add_f32_e32 v8, v8, v10
	v_add_f32_e32 v3, v3, v9
	s_andn2_b64 exec, exec, s[6:7]
	s_cbranch_execnz .LBB112_101
; %bb.102:
	s_or_b64 exec, exec, s[6:7]
	v_mov_b32_e32 v4, 0
	ds_read_b64 v[4:5], v4 offset:176
	s_waitcnt lgkmcnt(0)
	v_mul_f32_e32 v7, v3, v5
	v_mul_f32_e32 v5, v8, v5
	v_fma_f32 v7, v8, v4, -v7
	v_fmac_f32_e32 v5, v3, v4
	buffer_store_dword v7, off, s[0:3], 0 offset:176
	buffer_store_dword v5, off, s[0:3], 0 offset:180
.LBB112_103:
	s_or_b64 exec, exec, s[4:5]
	s_waitcnt lgkmcnt(0)
	; wave barrier
	buffer_load_dword v4, off, s[0:3], 0 offset:184
	buffer_load_dword v5, off, s[0:3], 0 offset:188
	v_cmp_gt_u32_e32 vcc, 23, v0
	s_waitcnt vmcnt(0)
	ds_write_b64 v1, v[4:5]
	s_waitcnt lgkmcnt(0)
	; wave barrier
	s_waitcnt lgkmcnt(0)
	s_and_saveexec_b64 s[4:5], vcc
	s_cbranch_execz .LBB112_107
; %bb.104:
	v_add_u32_e32 v4, -1, v0
	v_add_u32_e32 v5, 0x190, v6
	v_add_u32_e32 v7, 0, v6
	s_mov_b64 s[6:7], 0
	v_mov_b32_e32 v3, 0
	v_mov_b32_e32 v8, 0
.LBB112_105:                            ; =>This Inner Loop Header: Depth=1
	buffer_load_dword v9, v7, s[0:3], 0 offen offset:4
	buffer_load_dword v12, v7, s[0:3], 0 offen
	ds_read_b64 v[10:11], v5
	v_add_u32_e32 v4, 1, v4
	v_cmp_lt_u32_e32 vcc, 21, v4
	v_add_u32_e32 v5, 8, v5
	v_add_u32_e32 v7, 8, v7
	s_or_b64 s[6:7], vcc, s[6:7]
	s_waitcnt vmcnt(1) lgkmcnt(0)
	v_mul_f32_e32 v13, v11, v9
	v_mul_f32_e32 v9, v10, v9
	s_waitcnt vmcnt(0)
	v_fma_f32 v10, v10, v12, -v13
	v_fmac_f32_e32 v9, v11, v12
	v_add_f32_e32 v8, v8, v10
	v_add_f32_e32 v3, v3, v9
	s_andn2_b64 exec, exec, s[6:7]
	s_cbranch_execnz .LBB112_105
; %bb.106:
	s_or_b64 exec, exec, s[6:7]
	v_mov_b32_e32 v4, 0
	ds_read_b64 v[4:5], v4 offset:184
	s_waitcnt lgkmcnt(0)
	v_mul_f32_e32 v7, v3, v5
	v_mul_f32_e32 v5, v8, v5
	v_fma_f32 v7, v8, v4, -v7
	v_fmac_f32_e32 v5, v3, v4
	buffer_store_dword v7, off, s[0:3], 0 offset:184
	buffer_store_dword v5, off, s[0:3], 0 offset:188
.LBB112_107:
	s_or_b64 exec, exec, s[4:5]
	s_waitcnt lgkmcnt(0)
	; wave barrier
	buffer_load_dword v4, off, s[0:3], 0 offset:192
	buffer_load_dword v5, off, s[0:3], 0 offset:196
	v_cmp_gt_u32_e32 vcc, 24, v0
	s_waitcnt vmcnt(0)
	ds_write_b64 v1, v[4:5]
	;; [unrolled: 51-line block ×25, first 2 shown]
	s_waitcnt lgkmcnt(0)
	; wave barrier
	s_waitcnt lgkmcnt(0)
	s_and_saveexec_b64 s[4:5], vcc
	s_cbranch_execz .LBB112_203
; %bb.200:
	v_add_u32_e32 v4, -1, v0
	v_add_u32_e32 v5, 0x190, v6
	v_add_u32_e32 v7, 0, v6
	s_mov_b64 s[6:7], 0
	v_mov_b32_e32 v3, 0
	v_mov_b32_e32 v8, 0
.LBB112_201:                            ; =>This Inner Loop Header: Depth=1
	buffer_load_dword v9, v7, s[0:3], 0 offen offset:4
	buffer_load_dword v12, v7, s[0:3], 0 offen
	ds_read_b64 v[10:11], v5
	v_add_u32_e32 v4, 1, v4
	v_cmp_lt_u32_e32 vcc, 45, v4
	v_add_u32_e32 v5, 8, v5
	v_add_u32_e32 v7, 8, v7
	s_or_b64 s[6:7], vcc, s[6:7]
	s_waitcnt vmcnt(1) lgkmcnt(0)
	v_mul_f32_e32 v13, v11, v9
	v_mul_f32_e32 v9, v10, v9
	s_waitcnt vmcnt(0)
	v_fma_f32 v10, v10, v12, -v13
	v_fmac_f32_e32 v9, v11, v12
	v_add_f32_e32 v8, v8, v10
	v_add_f32_e32 v3, v3, v9
	s_andn2_b64 exec, exec, s[6:7]
	s_cbranch_execnz .LBB112_201
; %bb.202:
	s_or_b64 exec, exec, s[6:7]
	v_mov_b32_e32 v4, 0
	ds_read_b64 v[4:5], v4 offset:376
	s_waitcnt lgkmcnt(0)
	v_mul_f32_e32 v7, v3, v5
	v_mul_f32_e32 v5, v8, v5
	v_fma_f32 v7, v8, v4, -v7
	v_fmac_f32_e32 v5, v3, v4
	buffer_store_dword v7, off, s[0:3], 0 offset:376
	buffer_store_dword v5, off, s[0:3], 0 offset:380
.LBB112_203:
	s_or_b64 exec, exec, s[4:5]
	s_waitcnt lgkmcnt(0)
	; wave barrier
	buffer_load_dword v4, off, s[0:3], 0 offset:384
	buffer_load_dword v5, off, s[0:3], 0 offset:388
	v_cmp_ne_u32_e32 vcc, 48, v0
	s_waitcnt vmcnt(0)
	ds_write_b64 v1, v[4:5]
	s_waitcnt lgkmcnt(0)
	; wave barrier
	s_waitcnt lgkmcnt(0)
	s_and_saveexec_b64 s[4:5], vcc
	s_cbranch_execz .LBB112_207
; %bb.204:
	v_add_u32_e32 v3, 0x190, v6
	v_add_u32_e32 v4, 0, v6
	s_mov_b64 s[6:7], 0
	v_mov_b32_e32 v1, 0
	v_mov_b32_e32 v5, 0
.LBB112_205:                            ; =>This Inner Loop Header: Depth=1
	buffer_load_dword v8, v4, s[0:3], 0 offen offset:4
	buffer_load_dword v9, v4, s[0:3], 0 offen
	ds_read_b64 v[6:7], v3
	v_add_u32_e32 v2, 1, v2
	v_cmp_lt_u32_e32 vcc, 46, v2
	v_add_u32_e32 v3, 8, v3
	v_add_u32_e32 v4, 8, v4
	s_or_b64 s[6:7], vcc, s[6:7]
	s_waitcnt vmcnt(1) lgkmcnt(0)
	v_mul_f32_e32 v10, v7, v8
	v_mul_f32_e32 v8, v6, v8
	s_waitcnt vmcnt(0)
	v_fma_f32 v6, v6, v9, -v10
	v_fmac_f32_e32 v8, v7, v9
	v_add_f32_e32 v5, v5, v6
	v_add_f32_e32 v1, v1, v8
	s_andn2_b64 exec, exec, s[6:7]
	s_cbranch_execnz .LBB112_205
; %bb.206:
	s_or_b64 exec, exec, s[6:7]
	v_mov_b32_e32 v2, 0
	ds_read_b64 v[2:3], v2 offset:384
	s_waitcnt lgkmcnt(0)
	v_mul_f32_e32 v4, v1, v3
	v_mul_f32_e32 v3, v5, v3
	v_fma_f32 v4, v5, v2, -v4
	v_fmac_f32_e32 v3, v1, v2
	buffer_store_dword v4, off, s[0:3], 0 offset:384
	buffer_store_dword v3, off, s[0:3], 0 offset:388
.LBB112_207:
	s_or_b64 exec, exec, s[4:5]
	s_mov_b64 s[6:7], -1
	s_waitcnt lgkmcnt(0)
	; wave barrier
.LBB112_208:
	s_and_b64 vcc, exec, s[6:7]
	s_cbranch_vccz .LBB112_210
; %bb.209:
	s_lshl_b64 s[4:5], s[8:9], 2
	s_add_u32 s4, s14, s4
	s_addc_u32 s5, s15, s5
	v_mov_b32_e32 v1, 0
	global_load_dword v1, v1, s[4:5]
	s_waitcnt vmcnt(0)
	v_cmp_ne_u32_e32 vcc, 0, v1
	s_cbranch_vccz .LBB112_211
.LBB112_210:
	s_endpgm
.LBB112_211:
	v_mov_b32_e32 v1, 0x190
	v_lshl_add_u32 v1, v0, 3, v1
	v_accvgpr_write_b32 a24, v1
	v_cmp_eq_u32_e32 vcc, 48, v0
	s_and_saveexec_b64 s[4:5], vcc
	s_cbranch_execz .LBB112_213
; %bb.212:
	buffer_load_dword v2, off, s[0:3], 0 offset:376
	buffer_load_dword v3, off, s[0:3], 0 offset:380
	v_mov_b32_e32 v1, 0
	v_accvgpr_read_b32 v4, a24
	buffer_store_dword v1, off, s[0:3], 0 offset:376
	buffer_store_dword v1, off, s[0:3], 0 offset:380
	s_waitcnt vmcnt(2)
	ds_write_b64 v4, v[2:3]
.LBB112_213:
	s_or_b64 exec, exec, s[4:5]
	s_waitcnt lgkmcnt(0)
	; wave barrier
	s_waitcnt lgkmcnt(0)
	buffer_load_dword v3, off, s[0:3], 0 offset:388
	buffer_load_dword v2, off, s[0:3], 0 offset:384
	;; [unrolled: 1-line block ×4, first 2 shown]
	v_mov_b32_e32 v1, 0
	ds_read_b64 v[6:7], v1 offset:784
	v_cmp_lt_u32_e32 vcc, 46, v0
	s_waitcnt vmcnt(3)
	v_mov_b32_e32 v8, v3
	s_waitcnt lgkmcnt(0)
	v_pk_mul_f32 v[8:9], v[6:7], v[8:9] op_sel_hi:[1,0]
	s_waitcnt vmcnt(2)
	v_pk_fma_f32 v[10:11], v[6:7], v[2:3], v[8:9] op_sel:[0,0,1] op_sel_hi:[1,1,0] neg_lo:[0,0,1] neg_hi:[0,0,1]
	v_pk_fma_f32 v[2:3], v[6:7], v[2:3], v[8:9] op_sel:[0,0,1] op_sel_hi:[1,0,0]
	v_mov_b32_e32 v11, v3
	v_pk_add_f32 v[2:3], v[10:11], 0 op_sel_hi:[1,0]
	s_waitcnt vmcnt(0)
	v_pk_add_f32 v[2:3], v[4:5], v[2:3] neg_lo:[0,1] neg_hi:[0,1]
	buffer_store_dword v2, off, s[0:3], 0 offset:376
	buffer_store_dword v3, off, s[0:3], 0 offset:380
	s_and_saveexec_b64 s[4:5], vcc
	s_cbranch_execz .LBB112_215
; %bb.214:
	buffer_load_dword v2, off, s[0:3], 0 offset:368
	buffer_load_dword v3, off, s[0:3], 0 offset:372
	v_accvgpr_read_b32 v4, a24
	buffer_store_dword v1, off, s[0:3], 0 offset:368
	buffer_store_dword v1, off, s[0:3], 0 offset:372
	s_waitcnt vmcnt(2)
	ds_write_b64 v4, v[2:3]
.LBB112_215:
	s_or_b64 exec, exec, s[4:5]
	s_waitcnt lgkmcnt(0)
	; wave barrier
	s_waitcnt lgkmcnt(0)
	buffer_load_dword v7, off, s[0:3], 0 offset:380
	buffer_load_dword v9, off, s[0:3], 0 offset:388
	;; [unrolled: 1-line block ×6, first 2 shown]
	ds_read2_b64 v[2:5], v1 offset0:97 offset1:98
	v_cmp_lt_u32_e32 vcc, 45, v0
	s_waitcnt vmcnt(5)
	v_mov_b32_e32 v12, v7
	s_waitcnt vmcnt(4)
	v_mov_b32_e32 v14, v9
	s_waitcnt lgkmcnt(0)
	v_pk_mul_f32 v[12:13], v[2:3], v[12:13] op_sel_hi:[1,0]
	v_pk_mul_f32 v[14:15], v[4:5], v[14:15] op_sel_hi:[1,0]
	s_waitcnt vmcnt(3)
	v_pk_fma_f32 v[16:17], v[2:3], v[6:7], v[12:13] op_sel:[0,0,1] op_sel_hi:[1,1,0] neg_lo:[0,0,1] neg_hi:[0,0,1]
	v_pk_fma_f32 v[2:3], v[2:3], v[6:7], v[12:13] op_sel:[0,0,1] op_sel_hi:[1,0,0]
	s_waitcnt vmcnt(2)
	v_pk_fma_f32 v[6:7], v[4:5], v[8:9], v[14:15] op_sel:[0,0,1] op_sel_hi:[1,1,0] neg_lo:[0,0,1] neg_hi:[0,0,1]
	v_pk_fma_f32 v[4:5], v[4:5], v[8:9], v[14:15] op_sel:[0,0,1] op_sel_hi:[1,0,0]
	v_mov_b32_e32 v17, v3
	v_mov_b32_e32 v7, v5
	v_pk_add_f32 v[2:3], v[16:17], 0 op_sel_hi:[1,0]
	v_pk_add_f32 v[2:3], v[2:3], v[6:7]
	s_waitcnt vmcnt(0)
	v_pk_add_f32 v[2:3], v[10:11], v[2:3] neg_lo:[0,1] neg_hi:[0,1]
	buffer_store_dword v2, off, s[0:3], 0 offset:368
	buffer_store_dword v3, off, s[0:3], 0 offset:372
	s_and_saveexec_b64 s[4:5], vcc
	s_cbranch_execz .LBB112_217
; %bb.216:
	buffer_load_dword v2, off, s[0:3], 0 offset:360
	buffer_load_dword v3, off, s[0:3], 0 offset:364
	v_mov_b32_e32 v1, 0
	v_accvgpr_read_b32 v4, a24
	buffer_store_dword v1, off, s[0:3], 0 offset:360
	buffer_store_dword v1, off, s[0:3], 0 offset:364
	s_waitcnt vmcnt(2)
	ds_write_b64 v4, v[2:3]
.LBB112_217:
	s_or_b64 exec, exec, s[4:5]
	s_waitcnt lgkmcnt(0)
	; wave barrier
	s_waitcnt lgkmcnt(0)
	buffer_load_dword v7, off, s[0:3], 0 offset:372
	buffer_load_dword v9, off, s[0:3], 0 offset:380
	;; [unrolled: 1-line block ×8, first 2 shown]
	v_mov_b32_e32 v1, 0
	ds_read_b128 v[2:5], v1 offset:768
	ds_read_b64 v[14:15], v1 offset:784
	v_cmp_lt_u32_e32 vcc, 44, v0
	s_waitcnt vmcnt(7)
	v_mov_b32_e32 v16, v7
	s_waitcnt vmcnt(6)
	v_mov_b32_e32 v18, v9
	s_waitcnt lgkmcnt(1)
	v_pk_mul_f32 v[16:17], v[2:3], v[16:17] op_sel_hi:[1,0]
	s_waitcnt vmcnt(5)
	v_mov_b32_e32 v20, v11
	v_pk_mul_f32 v[18:19], v[4:5], v[18:19] op_sel_hi:[1,0]
	s_waitcnt vmcnt(4)
	v_pk_fma_f32 v[22:23], v[2:3], v[6:7], v[16:17] op_sel:[0,0,1] op_sel_hi:[1,1,0] neg_lo:[0,0,1] neg_hi:[0,0,1]
	v_pk_fma_f32 v[2:3], v[2:3], v[6:7], v[16:17] op_sel:[0,0,1] op_sel_hi:[1,0,0]
	s_waitcnt lgkmcnt(0)
	v_pk_mul_f32 v[20:21], v[14:15], v[20:21] op_sel_hi:[1,0]
	s_waitcnt vmcnt(3)
	v_pk_fma_f32 v[6:7], v[4:5], v[8:9], v[18:19] op_sel:[0,0,1] op_sel_hi:[1,1,0] neg_lo:[0,0,1] neg_hi:[0,0,1]
	v_pk_fma_f32 v[4:5], v[4:5], v[8:9], v[18:19] op_sel:[0,0,1] op_sel_hi:[1,0,0]
	v_mov_b32_e32 v23, v3
	s_waitcnt vmcnt(2)
	v_pk_fma_f32 v[8:9], v[14:15], v[10:11], v[20:21] op_sel:[0,0,1] op_sel_hi:[1,1,0] neg_lo:[0,0,1] neg_hi:[0,0,1]
	v_pk_fma_f32 v[10:11], v[14:15], v[10:11], v[20:21] op_sel:[0,0,1] op_sel_hi:[1,0,0]
	v_mov_b32_e32 v7, v5
	v_pk_add_f32 v[2:3], v[22:23], 0 op_sel_hi:[1,0]
	v_mov_b32_e32 v9, v11
	v_pk_add_f32 v[2:3], v[2:3], v[6:7]
	v_pk_add_f32 v[2:3], v[2:3], v[8:9]
	s_waitcnt vmcnt(0)
	v_pk_add_f32 v[2:3], v[12:13], v[2:3] neg_lo:[0,1] neg_hi:[0,1]
	buffer_store_dword v2, off, s[0:3], 0 offset:360
	buffer_store_dword v3, off, s[0:3], 0 offset:364
	s_and_saveexec_b64 s[4:5], vcc
	s_cbranch_execz .LBB112_219
; %bb.218:
	buffer_load_dword v2, off, s[0:3], 0 offset:352
	buffer_load_dword v3, off, s[0:3], 0 offset:356
	v_accvgpr_read_b32 v4, a24
	buffer_store_dword v1, off, s[0:3], 0 offset:352
	buffer_store_dword v1, off, s[0:3], 0 offset:356
	s_waitcnt vmcnt(2)
	ds_write_b64 v4, v[2:3]
.LBB112_219:
	s_or_b64 exec, exec, s[4:5]
	s_waitcnt lgkmcnt(0)
	; wave barrier
	s_waitcnt lgkmcnt(0)
	buffer_load_dword v11, off, s[0:3], 0 offset:364
	buffer_load_dword v13, off, s[0:3], 0 offset:372
	;; [unrolled: 1-line block ×10, first 2 shown]
	ds_read2_b64 v[2:5], v1 offset0:95 offset1:96
	ds_read2_b64 v[6:9], v1 offset0:97 offset1:98
	v_cmp_lt_u32_e32 vcc, 43, v0
	s_waitcnt vmcnt(9)
	v_mov_b32_e32 v20, v11
	s_waitcnt vmcnt(8)
	v_mov_b32_e32 v22, v13
	s_waitcnt lgkmcnt(1)
	v_pk_mul_f32 v[20:21], v[2:3], v[20:21] op_sel_hi:[1,0]
	s_waitcnt vmcnt(7)
	v_mov_b32_e32 v24, v15
	v_pk_mul_f32 v[22:23], v[4:5], v[22:23] op_sel_hi:[1,0]
	s_waitcnt vmcnt(5)
	v_pk_fma_f32 v[28:29], v[2:3], v[10:11], v[20:21] op_sel:[0,0,1] op_sel_hi:[1,1,0] neg_lo:[0,0,1] neg_hi:[0,0,1]
	v_pk_fma_f32 v[2:3], v[2:3], v[10:11], v[20:21] op_sel:[0,0,1] op_sel_hi:[1,0,0]
	v_mov_b32_e32 v26, v17
	s_waitcnt lgkmcnt(0)
	v_pk_mul_f32 v[24:25], v[6:7], v[24:25] op_sel_hi:[1,0]
	s_waitcnt vmcnt(4)
	v_pk_fma_f32 v[10:11], v[4:5], v[12:13], v[22:23] op_sel:[0,0,1] op_sel_hi:[1,1,0] neg_lo:[0,0,1] neg_hi:[0,0,1]
	v_pk_fma_f32 v[4:5], v[4:5], v[12:13], v[22:23] op_sel:[0,0,1] op_sel_hi:[1,0,0]
	v_mov_b32_e32 v29, v3
	v_pk_mul_f32 v[26:27], v[8:9], v[26:27] op_sel_hi:[1,0]
	s_waitcnt vmcnt(3)
	v_pk_fma_f32 v[12:13], v[6:7], v[14:15], v[24:25] op_sel:[0,0,1] op_sel_hi:[1,1,0] neg_lo:[0,0,1] neg_hi:[0,0,1]
	v_pk_fma_f32 v[6:7], v[6:7], v[14:15], v[24:25] op_sel:[0,0,1] op_sel_hi:[1,0,0]
	v_mov_b32_e32 v11, v5
	v_pk_add_f32 v[2:3], v[28:29], 0 op_sel_hi:[1,0]
	s_waitcnt vmcnt(2)
	v_pk_fma_f32 v[14:15], v[8:9], v[16:17], v[26:27] op_sel:[0,0,1] op_sel_hi:[1,1,0] neg_lo:[0,0,1] neg_hi:[0,0,1]
	v_pk_fma_f32 v[8:9], v[8:9], v[16:17], v[26:27] op_sel:[0,0,1] op_sel_hi:[1,0,0]
	v_mov_b32_e32 v13, v7
	v_pk_add_f32 v[2:3], v[2:3], v[10:11]
	v_mov_b32_e32 v15, v9
	v_pk_add_f32 v[2:3], v[2:3], v[12:13]
	v_pk_add_f32 v[2:3], v[2:3], v[14:15]
	s_waitcnt vmcnt(0)
	v_pk_add_f32 v[2:3], v[18:19], v[2:3] neg_lo:[0,1] neg_hi:[0,1]
	buffer_store_dword v2, off, s[0:3], 0 offset:352
	buffer_store_dword v3, off, s[0:3], 0 offset:356
	s_and_saveexec_b64 s[4:5], vcc
	s_cbranch_execz .LBB112_221
; %bb.220:
	buffer_load_dword v2, off, s[0:3], 0 offset:344
	buffer_load_dword v3, off, s[0:3], 0 offset:348
	v_mov_b32_e32 v1, 0
	v_accvgpr_read_b32 v4, a24
	buffer_store_dword v1, off, s[0:3], 0 offset:344
	buffer_store_dword v1, off, s[0:3], 0 offset:348
	s_waitcnt vmcnt(2)
	ds_write_b64 v4, v[2:3]
.LBB112_221:
	s_or_b64 exec, exec, s[4:5]
	s_waitcnt lgkmcnt(0)
	; wave barrier
	s_waitcnt lgkmcnt(0)
	buffer_load_dword v10, off, s[0:3], 0 offset:344
	buffer_load_dword v11, off, s[0:3], 0 offset:348
	;; [unrolled: 1-line block ×12, first 2 shown]
	v_mov_b32_e32 v1, 0
	ds_read_b128 v[2:5], v1 offset:752
	ds_read_b128 v[6:9], v1 offset:768
	ds_read_b64 v[22:23], v1 offset:784
	v_cmp_lt_u32_e32 vcc, 42, v0
	s_waitcnt vmcnt(8)
	v_mov_b32_e32 v24, v13
	s_waitcnt lgkmcnt(2)
	v_pk_mul_f32 v[24:25], v[2:3], v[24:25] op_sel_hi:[1,0]
	v_pk_fma_f32 v[26:27], v[2:3], v[12:13], v[24:25] op_sel:[0,0,1] op_sel_hi:[1,1,0] neg_lo:[0,0,1] neg_hi:[0,0,1]
	v_pk_fma_f32 v[2:3], v[2:3], v[12:13], v[24:25] op_sel:[0,0,1] op_sel_hi:[1,0,0]
	s_waitcnt vmcnt(6)
	v_mov_b32_e32 v12, v15
	v_pk_mul_f32 v[12:13], v[4:5], v[12:13] op_sel_hi:[1,0]
	v_pk_fma_f32 v[24:25], v[4:5], v[14:15], v[12:13] op_sel:[0,0,1] op_sel_hi:[1,1,0] neg_lo:[0,0,1] neg_hi:[0,0,1]
	v_pk_fma_f32 v[4:5], v[4:5], v[14:15], v[12:13] op_sel:[0,0,1] op_sel_hi:[1,0,0]
	s_waitcnt vmcnt(4)
	v_mov_b32_e32 v4, v17
	v_mov_b32_e32 v25, v5
	s_waitcnt lgkmcnt(1)
	v_pk_mul_f32 v[4:5], v[6:7], v[4:5] op_sel_hi:[1,0]
	v_pk_fma_f32 v[12:13], v[6:7], v[16:17], v[4:5] op_sel:[0,0,1] op_sel_hi:[1,1,0] neg_lo:[0,0,1] neg_hi:[0,0,1]
	v_pk_fma_f32 v[4:5], v[6:7], v[16:17], v[4:5] op_sel:[0,0,1] op_sel_hi:[1,0,0]
	s_waitcnt vmcnt(2)
	v_mov_b32_e32 v4, v19
	v_mov_b32_e32 v27, v3
	;; [unrolled: 1-line block ×3, first 2 shown]
	v_pk_mul_f32 v[4:5], v[8:9], v[4:5] op_sel_hi:[1,0]
	v_pk_add_f32 v[2:3], v[26:27], 0 op_sel_hi:[1,0]
	v_pk_fma_f32 v[6:7], v[8:9], v[18:19], v[4:5] op_sel:[0,0,1] op_sel_hi:[1,1,0] neg_lo:[0,0,1] neg_hi:[0,0,1]
	v_pk_fma_f32 v[4:5], v[8:9], v[18:19], v[4:5] op_sel:[0,0,1] op_sel_hi:[1,0,0]
	v_pk_add_f32 v[2:3], v[2:3], v[24:25]
	s_waitcnt vmcnt(0)
	v_mov_b32_e32 v4, v21
	v_pk_add_f32 v[2:3], v[2:3], v[12:13]
	v_mov_b32_e32 v7, v5
	s_waitcnt lgkmcnt(0)
	v_pk_mul_f32 v[4:5], v[22:23], v[4:5] op_sel_hi:[1,0]
	v_pk_add_f32 v[2:3], v[2:3], v[6:7]
	v_pk_fma_f32 v[6:7], v[22:23], v[20:21], v[4:5] op_sel:[0,0,1] op_sel_hi:[1,1,0] neg_lo:[0,0,1] neg_hi:[0,0,1]
	v_pk_fma_f32 v[4:5], v[22:23], v[20:21], v[4:5] op_sel:[0,0,1] op_sel_hi:[1,0,0]
	v_mov_b32_e32 v7, v5
	v_pk_add_f32 v[2:3], v[2:3], v[6:7]
	v_pk_add_f32 v[2:3], v[10:11], v[2:3] neg_lo:[0,1] neg_hi:[0,1]
	buffer_store_dword v2, off, s[0:3], 0 offset:344
	buffer_store_dword v3, off, s[0:3], 0 offset:348
	s_and_saveexec_b64 s[4:5], vcc
	s_cbranch_execz .LBB112_223
; %bb.222:
	buffer_load_dword v2, off, s[0:3], 0 offset:336
	buffer_load_dword v3, off, s[0:3], 0 offset:340
	v_accvgpr_read_b32 v4, a24
	buffer_store_dword v1, off, s[0:3], 0 offset:336
	buffer_store_dword v1, off, s[0:3], 0 offset:340
	s_waitcnt vmcnt(2)
	ds_write_b64 v4, v[2:3]
.LBB112_223:
	s_or_b64 exec, exec, s[4:5]
	s_waitcnt lgkmcnt(0)
	; wave barrier
	s_waitcnt lgkmcnt(0)
	buffer_load_dword v15, off, s[0:3], 0 offset:348
	buffer_load_dword v17, off, s[0:3], 0 offset:356
	;; [unrolled: 1-line block ×14, first 2 shown]
	ds_read2_b64 v[2:5], v1 offset0:93 offset1:94
	ds_read2_b64 v[6:9], v1 offset0:95 offset1:96
	;; [unrolled: 1-line block ×3, first 2 shown]
	v_cmp_lt_u32_e32 vcc, 41, v0
	s_waitcnt vmcnt(13)
	v_mov_b32_e32 v28, v15
	s_waitcnt vmcnt(12)
	v_mov_b32_e32 v30, v17
	s_waitcnt lgkmcnt(2)
	v_pk_mul_f32 v[28:29], v[2:3], v[28:29] op_sel_hi:[1,0]
	s_waitcnt vmcnt(11)
	v_mov_b32_e32 v32, v19
	v_pk_mul_f32 v[30:31], v[4:5], v[30:31] op_sel_hi:[1,0]
	s_waitcnt vmcnt(10)
	v_mov_b32_e32 v34, v21
	s_waitcnt vmcnt(7)
	v_pk_fma_f32 v[40:41], v[2:3], v[14:15], v[28:29] op_sel:[0,0,1] op_sel_hi:[1,1,0] neg_lo:[0,0,1] neg_hi:[0,0,1]
	v_pk_fma_f32 v[2:3], v[2:3], v[14:15], v[28:29] op_sel:[0,0,1] op_sel_hi:[1,0,0]
	s_waitcnt lgkmcnt(1)
	v_pk_mul_f32 v[32:33], v[6:7], v[32:33] op_sel_hi:[1,0]
	s_waitcnt vmcnt(6)
	v_pk_fma_f32 v[14:15], v[4:5], v[16:17], v[30:31] op_sel:[0,0,1] op_sel_hi:[1,1,0] neg_lo:[0,0,1] neg_hi:[0,0,1]
	v_pk_fma_f32 v[4:5], v[4:5], v[16:17], v[30:31] op_sel:[0,0,1] op_sel_hi:[1,0,0]
	v_mov_b32_e32 v41, v3
	v_mov_b32_e32 v36, v23
	v_pk_mul_f32 v[34:35], v[8:9], v[34:35] op_sel_hi:[1,0]
	s_waitcnt vmcnt(5)
	v_pk_fma_f32 v[16:17], v[6:7], v[18:19], v[32:33] op_sel:[0,0,1] op_sel_hi:[1,1,0] neg_lo:[0,0,1] neg_hi:[0,0,1]
	v_pk_fma_f32 v[6:7], v[6:7], v[18:19], v[32:33] op_sel:[0,0,1] op_sel_hi:[1,0,0]
	v_mov_b32_e32 v15, v5
	v_pk_add_f32 v[2:3], v[40:41], 0 op_sel_hi:[1,0]
	v_mov_b32_e32 v38, v25
	s_waitcnt lgkmcnt(0)
	v_pk_mul_f32 v[36:37], v[10:11], v[36:37] op_sel_hi:[1,0]
	s_waitcnt vmcnt(4)
	v_pk_fma_f32 v[18:19], v[8:9], v[20:21], v[34:35] op_sel:[0,0,1] op_sel_hi:[1,1,0] neg_lo:[0,0,1] neg_hi:[0,0,1]
	v_pk_fma_f32 v[8:9], v[8:9], v[20:21], v[34:35] op_sel:[0,0,1] op_sel_hi:[1,0,0]
	v_mov_b32_e32 v17, v7
	v_pk_add_f32 v[2:3], v[2:3], v[14:15]
	v_pk_mul_f32 v[38:39], v[12:13], v[38:39] op_sel_hi:[1,0]
	s_waitcnt vmcnt(3)
	v_pk_fma_f32 v[20:21], v[10:11], v[22:23], v[36:37] op_sel:[0,0,1] op_sel_hi:[1,1,0] neg_lo:[0,0,1] neg_hi:[0,0,1]
	v_pk_fma_f32 v[10:11], v[10:11], v[22:23], v[36:37] op_sel:[0,0,1] op_sel_hi:[1,0,0]
	v_mov_b32_e32 v19, v9
	v_pk_add_f32 v[2:3], v[2:3], v[16:17]
	s_waitcnt vmcnt(2)
	v_pk_fma_f32 v[22:23], v[12:13], v[24:25], v[38:39] op_sel:[0,0,1] op_sel_hi:[1,1,0] neg_lo:[0,0,1] neg_hi:[0,0,1]
	v_pk_fma_f32 v[12:13], v[12:13], v[24:25], v[38:39] op_sel:[0,0,1] op_sel_hi:[1,0,0]
	v_mov_b32_e32 v21, v11
	v_pk_add_f32 v[2:3], v[2:3], v[18:19]
	v_mov_b32_e32 v23, v13
	v_pk_add_f32 v[2:3], v[2:3], v[20:21]
	v_pk_add_f32 v[2:3], v[2:3], v[22:23]
	s_waitcnt vmcnt(0)
	v_pk_add_f32 v[2:3], v[26:27], v[2:3] neg_lo:[0,1] neg_hi:[0,1]
	buffer_store_dword v2, off, s[0:3], 0 offset:336
	buffer_store_dword v3, off, s[0:3], 0 offset:340
	s_and_saveexec_b64 s[4:5], vcc
	s_cbranch_execz .LBB112_225
; %bb.224:
	buffer_load_dword v2, off, s[0:3], 0 offset:328
	buffer_load_dword v3, off, s[0:3], 0 offset:332
	v_mov_b32_e32 v1, 0
	v_accvgpr_read_b32 v4, a24
	buffer_store_dword v1, off, s[0:3], 0 offset:328
	buffer_store_dword v1, off, s[0:3], 0 offset:332
	s_waitcnt vmcnt(2)
	ds_write_b64 v4, v[2:3]
.LBB112_225:
	s_or_b64 exec, exec, s[4:5]
	s_waitcnt lgkmcnt(0)
	; wave barrier
	s_waitcnt lgkmcnt(0)
	buffer_load_dword v15, off, s[0:3], 0 offset:340
	buffer_load_dword v17, off, s[0:3], 0 offset:348
	;; [unrolled: 1-line block ×16, first 2 shown]
	v_mov_b32_e32 v1, 0
	ds_read_b128 v[2:5], v1 offset:736
	ds_read_b128 v[6:9], v1 offset:752
	ds_read_b128 v[10:13], v1 offset:768
	ds_read_b64 v[30:31], v1 offset:784
	v_cmp_lt_u32_e32 vcc, 40, v0
	s_waitcnt vmcnt(15)
	v_mov_b32_e32 v32, v15
	s_waitcnt vmcnt(14)
	v_mov_b32_e32 v34, v17
	s_waitcnt lgkmcnt(3)
	v_pk_mul_f32 v[32:33], v[2:3], v[32:33] op_sel_hi:[1,0]
	s_waitcnt vmcnt(13)
	v_mov_b32_e32 v36, v19
	v_pk_mul_f32 v[34:35], v[4:5], v[34:35] op_sel_hi:[1,0]
	s_waitcnt vmcnt(12)
	v_mov_b32_e32 v38, v21
	s_waitcnt lgkmcnt(2)
	v_pk_mul_f32 v[36:37], v[6:7], v[36:37] op_sel_hi:[1,0]
	s_waitcnt vmcnt(8)
	v_pk_fma_f32 v[46:47], v[2:3], v[14:15], v[32:33] op_sel:[0,0,1] op_sel_hi:[1,1,0] neg_lo:[0,0,1] neg_hi:[0,0,1]
	v_pk_fma_f32 v[2:3], v[2:3], v[14:15], v[32:33] op_sel:[0,0,1] op_sel_hi:[1,0,0]
	s_waitcnt vmcnt(7)
	v_pk_fma_f32 v[14:15], v[4:5], v[16:17], v[34:35] op_sel:[0,0,1] op_sel_hi:[1,1,0] neg_lo:[0,0,1] neg_hi:[0,0,1]
	v_pk_fma_f32 v[4:5], v[4:5], v[16:17], v[34:35] op_sel:[0,0,1] op_sel_hi:[1,0,0]
	v_mov_b32_e32 v47, v3
	v_mov_b32_e32 v40, v23
	v_pk_mul_f32 v[38:39], v[8:9], v[38:39] op_sel_hi:[1,0]
	s_waitcnt vmcnt(6)
	v_pk_fma_f32 v[16:17], v[6:7], v[18:19], v[36:37] op_sel:[0,0,1] op_sel_hi:[1,1,0] neg_lo:[0,0,1] neg_hi:[0,0,1]
	v_pk_fma_f32 v[6:7], v[6:7], v[18:19], v[36:37] op_sel:[0,0,1] op_sel_hi:[1,0,0]
	v_mov_b32_e32 v15, v5
	v_pk_add_f32 v[2:3], v[46:47], 0 op_sel_hi:[1,0]
	v_mov_b32_e32 v42, v25
	s_waitcnt lgkmcnt(1)
	v_pk_mul_f32 v[40:41], v[10:11], v[40:41] op_sel_hi:[1,0]
	s_waitcnt vmcnt(5)
	v_pk_fma_f32 v[18:19], v[8:9], v[20:21], v[38:39] op_sel:[0,0,1] op_sel_hi:[1,1,0] neg_lo:[0,0,1] neg_hi:[0,0,1]
	v_pk_fma_f32 v[8:9], v[8:9], v[20:21], v[38:39] op_sel:[0,0,1] op_sel_hi:[1,0,0]
	v_mov_b32_e32 v17, v7
	v_pk_add_f32 v[2:3], v[2:3], v[14:15]
	v_mov_b32_e32 v44, v27
	v_pk_mul_f32 v[42:43], v[12:13], v[42:43] op_sel_hi:[1,0]
	s_waitcnt vmcnt(4)
	v_pk_fma_f32 v[20:21], v[10:11], v[22:23], v[40:41] op_sel:[0,0,1] op_sel_hi:[1,1,0] neg_lo:[0,0,1] neg_hi:[0,0,1]
	v_pk_fma_f32 v[10:11], v[10:11], v[22:23], v[40:41] op_sel:[0,0,1] op_sel_hi:[1,0,0]
	v_mov_b32_e32 v19, v9
	v_pk_add_f32 v[2:3], v[2:3], v[16:17]
	s_waitcnt lgkmcnt(0)
	v_pk_mul_f32 v[44:45], v[30:31], v[44:45] op_sel_hi:[1,0]
	s_waitcnt vmcnt(3)
	v_pk_fma_f32 v[22:23], v[12:13], v[24:25], v[42:43] op_sel:[0,0,1] op_sel_hi:[1,1,0] neg_lo:[0,0,1] neg_hi:[0,0,1]
	v_pk_fma_f32 v[12:13], v[12:13], v[24:25], v[42:43] op_sel:[0,0,1] op_sel_hi:[1,0,0]
	v_mov_b32_e32 v21, v11
	v_pk_add_f32 v[2:3], v[2:3], v[18:19]
	s_waitcnt vmcnt(2)
	v_pk_fma_f32 v[24:25], v[30:31], v[26:27], v[44:45] op_sel:[0,0,1] op_sel_hi:[1,1,0] neg_lo:[0,0,1] neg_hi:[0,0,1]
	v_pk_fma_f32 v[26:27], v[30:31], v[26:27], v[44:45] op_sel:[0,0,1] op_sel_hi:[1,0,0]
	v_mov_b32_e32 v23, v13
	v_pk_add_f32 v[2:3], v[2:3], v[20:21]
	v_mov_b32_e32 v25, v27
	v_pk_add_f32 v[2:3], v[2:3], v[22:23]
	v_pk_add_f32 v[2:3], v[2:3], v[24:25]
	s_waitcnt vmcnt(0)
	v_pk_add_f32 v[2:3], v[28:29], v[2:3] neg_lo:[0,1] neg_hi:[0,1]
	buffer_store_dword v2, off, s[0:3], 0 offset:328
	buffer_store_dword v3, off, s[0:3], 0 offset:332
	s_and_saveexec_b64 s[4:5], vcc
	s_cbranch_execz .LBB112_227
; %bb.226:
	buffer_load_dword v2, off, s[0:3], 0 offset:320
	buffer_load_dword v3, off, s[0:3], 0 offset:324
	v_accvgpr_read_b32 v4, a24
	buffer_store_dword v1, off, s[0:3], 0 offset:320
	buffer_store_dword v1, off, s[0:3], 0 offset:324
	s_waitcnt vmcnt(2)
	ds_write_b64 v4, v[2:3]
.LBB112_227:
	s_or_b64 exec, exec, s[4:5]
	s_waitcnt lgkmcnt(0)
	; wave barrier
	s_waitcnt lgkmcnt(0)
	buffer_load_dword v19, off, s[0:3], 0 offset:332
	buffer_load_dword v21, off, s[0:3], 0 offset:340
	;; [unrolled: 1-line block ×18, first 2 shown]
	ds_read2_b64 v[2:5], v1 offset0:91 offset1:92
	ds_read2_b64 v[6:9], v1 offset0:93 offset1:94
	;; [unrolled: 1-line block ×4, first 2 shown]
	v_cmp_lt_u32_e32 vcc, 39, v0
	s_waitcnt vmcnt(17)
	v_mov_b32_e32 v36, v19
	s_waitcnt vmcnt(16)
	v_mov_b32_e32 v38, v21
	s_waitcnt lgkmcnt(3)
	v_pk_mul_f32 v[36:37], v[2:3], v[36:37] op_sel_hi:[1,0]
	s_waitcnt vmcnt(15)
	v_mov_b32_e32 v40, v23
	v_pk_mul_f32 v[38:39], v[4:5], v[38:39] op_sel_hi:[1,0]
	s_waitcnt vmcnt(14)
	v_mov_b32_e32 v42, v25
	s_waitcnt lgkmcnt(2)
	v_pk_mul_f32 v[40:41], v[6:7], v[40:41] op_sel_hi:[1,0]
	s_waitcnt vmcnt(13)
	v_mov_b32_e32 v44, v27
	s_waitcnt vmcnt(9)
	v_pk_fma_f32 v[52:53], v[2:3], v[18:19], v[36:37] op_sel:[0,0,1] op_sel_hi:[1,1,0] neg_lo:[0,0,1] neg_hi:[0,0,1]
	v_pk_fma_f32 v[2:3], v[2:3], v[18:19], v[36:37] op_sel:[0,0,1] op_sel_hi:[1,0,0]
	s_waitcnt vmcnt(8)
	v_pk_fma_f32 v[18:19], v[4:5], v[20:21], v[38:39] op_sel:[0,0,1] op_sel_hi:[1,1,0] neg_lo:[0,0,1] neg_hi:[0,0,1]
	v_pk_fma_f32 v[4:5], v[4:5], v[20:21], v[38:39] op_sel:[0,0,1] op_sel_hi:[1,0,0]
	v_mov_b32_e32 v53, v3
	v_pk_mul_f32 v[42:43], v[8:9], v[42:43] op_sel_hi:[1,0]
	s_waitcnt vmcnt(7)
	v_pk_fma_f32 v[20:21], v[6:7], v[22:23], v[40:41] op_sel:[0,0,1] op_sel_hi:[1,1,0] neg_lo:[0,0,1] neg_hi:[0,0,1]
	v_pk_fma_f32 v[6:7], v[6:7], v[22:23], v[40:41] op_sel:[0,0,1] op_sel_hi:[1,0,0]
	v_mov_b32_e32 v19, v5
	v_pk_add_f32 v[2:3], v[52:53], 0 op_sel_hi:[1,0]
	v_mov_b32_e32 v46, v29
	s_waitcnt lgkmcnt(1)
	v_pk_mul_f32 v[44:45], v[10:11], v[44:45] op_sel_hi:[1,0]
	s_waitcnt vmcnt(6)
	v_pk_fma_f32 v[22:23], v[8:9], v[24:25], v[42:43] op_sel:[0,0,1] op_sel_hi:[1,1,0] neg_lo:[0,0,1] neg_hi:[0,0,1]
	v_pk_fma_f32 v[8:9], v[8:9], v[24:25], v[42:43] op_sel:[0,0,1] op_sel_hi:[1,0,0]
	v_mov_b32_e32 v21, v7
	v_pk_add_f32 v[2:3], v[2:3], v[18:19]
	v_mov_b32_e32 v48, v31
	v_pk_mul_f32 v[46:47], v[12:13], v[46:47] op_sel_hi:[1,0]
	s_waitcnt vmcnt(5)
	v_pk_fma_f32 v[24:25], v[10:11], v[26:27], v[44:45] op_sel:[0,0,1] op_sel_hi:[1,1,0] neg_lo:[0,0,1] neg_hi:[0,0,1]
	v_pk_fma_f32 v[10:11], v[10:11], v[26:27], v[44:45] op_sel:[0,0,1] op_sel_hi:[1,0,0]
	v_mov_b32_e32 v23, v9
	v_pk_add_f32 v[2:3], v[2:3], v[20:21]
	v_mov_b32_e32 v50, v33
	s_waitcnt lgkmcnt(0)
	v_pk_mul_f32 v[48:49], v[14:15], v[48:49] op_sel_hi:[1,0]
	s_waitcnt vmcnt(4)
	v_pk_fma_f32 v[26:27], v[12:13], v[28:29], v[46:47] op_sel:[0,0,1] op_sel_hi:[1,1,0] neg_lo:[0,0,1] neg_hi:[0,0,1]
	v_pk_fma_f32 v[12:13], v[12:13], v[28:29], v[46:47] op_sel:[0,0,1] op_sel_hi:[1,0,0]
	v_mov_b32_e32 v25, v11
	v_pk_add_f32 v[2:3], v[2:3], v[22:23]
	v_pk_mul_f32 v[50:51], v[16:17], v[50:51] op_sel_hi:[1,0]
	s_waitcnt vmcnt(3)
	v_pk_fma_f32 v[28:29], v[14:15], v[30:31], v[48:49] op_sel:[0,0,1] op_sel_hi:[1,1,0] neg_lo:[0,0,1] neg_hi:[0,0,1]
	v_pk_fma_f32 v[14:15], v[14:15], v[30:31], v[48:49] op_sel:[0,0,1] op_sel_hi:[1,0,0]
	v_mov_b32_e32 v27, v13
	v_pk_add_f32 v[2:3], v[2:3], v[24:25]
	s_waitcnt vmcnt(2)
	v_pk_fma_f32 v[30:31], v[16:17], v[32:33], v[50:51] op_sel:[0,0,1] op_sel_hi:[1,1,0] neg_lo:[0,0,1] neg_hi:[0,0,1]
	v_pk_fma_f32 v[16:17], v[16:17], v[32:33], v[50:51] op_sel:[0,0,1] op_sel_hi:[1,0,0]
	v_mov_b32_e32 v29, v15
	v_pk_add_f32 v[2:3], v[2:3], v[26:27]
	v_mov_b32_e32 v31, v17
	v_pk_add_f32 v[2:3], v[2:3], v[28:29]
	v_pk_add_f32 v[2:3], v[2:3], v[30:31]
	s_waitcnt vmcnt(0)
	v_pk_add_f32 v[2:3], v[34:35], v[2:3] neg_lo:[0,1] neg_hi:[0,1]
	buffer_store_dword v2, off, s[0:3], 0 offset:320
	buffer_store_dword v3, off, s[0:3], 0 offset:324
	s_and_saveexec_b64 s[4:5], vcc
	s_cbranch_execz .LBB112_229
; %bb.228:
	buffer_load_dword v2, off, s[0:3], 0 offset:312
	buffer_load_dword v3, off, s[0:3], 0 offset:316
	v_mov_b32_e32 v1, 0
	v_accvgpr_read_b32 v4, a24
	buffer_store_dword v1, off, s[0:3], 0 offset:312
	buffer_store_dword v1, off, s[0:3], 0 offset:316
	s_waitcnt vmcnt(2)
	ds_write_b64 v4, v[2:3]
.LBB112_229:
	s_or_b64 exec, exec, s[4:5]
	s_waitcnt lgkmcnt(0)
	; wave barrier
	s_waitcnt lgkmcnt(0)
	buffer_load_dword v38, off, s[0:3], 0 offset:324
	buffer_load_dword v19, off, s[0:3], 0 offset:332
	;; [unrolled: 1-line block ×20, first 2 shown]
	v_mov_b32_e32 v1, 0
	ds_read_b128 v[2:5], v1 offset:720
	ds_read_b128 v[6:9], v1 offset:736
	;; [unrolled: 1-line block ×4, first 2 shown]
	ds_read_b64 v[36:37], v1 offset:784
	v_cmp_lt_u32_e32 vcc, 38, v0
	s_waitcnt vmcnt(19) lgkmcnt(4)
	v_mul_f32_e32 v39, v2, v38
	v_mul_f32_e32 v38, v3, v38
	s_waitcnt vmcnt(18)
	v_mov_b32_e32 v40, v19
	s_waitcnt vmcnt(17)
	v_mov_b32_e32 v42, v21
	;; [unrolled: 2-line block ×8, first 2 shown]
	s_waitcnt vmcnt(10)
	v_fmac_f32_e32 v39, v3, v41
	v_fma_f32 v38, v2, v41, -v38
	v_pk_mul_f32 v[2:3], v[4:5], v[40:41] op_sel_hi:[1,0]
	s_waitcnt lgkmcnt(3)
	v_pk_mul_f32 v[40:41], v[6:7], v[42:43] op_sel_hi:[1,0]
	v_pk_mul_f32 v[42:43], v[8:9], v[44:45] op_sel_hi:[1,0]
	s_waitcnt lgkmcnt(2)
	v_pk_mul_f32 v[44:45], v[10:11], v[46:47] op_sel_hi:[1,0]
	;; [unrolled: 3-line block ×4, first 2 shown]
	s_waitcnt vmcnt(9)
	v_pk_fma_f32 v[54:55], v[4:5], v[18:19], v[2:3] op_sel:[0,0,1] op_sel_hi:[1,1,0] neg_lo:[0,0,1] neg_hi:[0,0,1]
	v_pk_fma_f32 v[2:3], v[4:5], v[18:19], v[2:3] op_sel:[0,0,1] op_sel_hi:[1,0,0]
	v_pk_add_f32 v[38:39], v[38:39], 0 op_sel_hi:[1,0]
	s_waitcnt vmcnt(8)
	v_pk_fma_f32 v[4:5], v[6:7], v[20:21], v[40:41] op_sel:[0,0,1] op_sel_hi:[1,1,0] neg_lo:[0,0,1] neg_hi:[0,0,1]
	v_pk_fma_f32 v[6:7], v[6:7], v[20:21], v[40:41] op_sel:[0,0,1] op_sel_hi:[1,0,0]
	v_mov_b32_e32 v55, v3
	s_waitcnt vmcnt(7)
	v_pk_fma_f32 v[18:19], v[8:9], v[22:23], v[42:43] op_sel:[0,0,1] op_sel_hi:[1,1,0] neg_lo:[0,0,1] neg_hi:[0,0,1]
	v_pk_fma_f32 v[8:9], v[8:9], v[22:23], v[42:43] op_sel:[0,0,1] op_sel_hi:[1,0,0]
	v_mov_b32_e32 v5, v7
	v_pk_add_f32 v[2:3], v[38:39], v[54:55]
	s_waitcnt vmcnt(6)
	v_pk_fma_f32 v[20:21], v[10:11], v[24:25], v[44:45] op_sel:[0,0,1] op_sel_hi:[1,1,0] neg_lo:[0,0,1] neg_hi:[0,0,1]
	v_pk_fma_f32 v[10:11], v[10:11], v[24:25], v[44:45] op_sel:[0,0,1] op_sel_hi:[1,0,0]
	v_mov_b32_e32 v19, v9
	v_pk_add_f32 v[2:3], v[2:3], v[4:5]
	;; [unrolled: 5-line block ×5, first 2 shown]
	v_pk_fma_f32 v[28:29], v[36:37], v[32:33], v[52:53] op_sel:[0,0,1] op_sel_hi:[1,1,0] neg_lo:[0,0,1] neg_hi:[0,0,1]
	v_pk_fma_f32 v[30:31], v[36:37], v[32:33], v[52:53] op_sel:[0,0,1] op_sel_hi:[1,0,0]
	v_mov_b32_e32 v27, v17
	v_pk_add_f32 v[2:3], v[2:3], v[24:25]
	v_mov_b32_e32 v29, v31
	v_pk_add_f32 v[2:3], v[2:3], v[26:27]
	v_pk_add_f32 v[2:3], v[2:3], v[28:29]
	s_waitcnt vmcnt(0)
	v_pk_add_f32 v[2:3], v[34:35], v[2:3] neg_lo:[0,1] neg_hi:[0,1]
	buffer_store_dword v2, off, s[0:3], 0 offset:312
	buffer_store_dword v3, off, s[0:3], 0 offset:316
	s_and_saveexec_b64 s[4:5], vcc
	s_cbranch_execz .LBB112_231
; %bb.230:
	buffer_load_dword v2, off, s[0:3], 0 offset:304
	buffer_load_dword v3, off, s[0:3], 0 offset:308
	v_accvgpr_read_b32 v4, a24
	buffer_store_dword v1, off, s[0:3], 0 offset:304
	buffer_store_dword v1, off, s[0:3], 0 offset:308
	s_waitcnt vmcnt(2)
	ds_write_b64 v4, v[2:3]
.LBB112_231:
	s_or_b64 exec, exec, s[4:5]
	s_waitcnt lgkmcnt(0)
	; wave barrier
	s_waitcnt lgkmcnt(0)
	buffer_load_dword v40, off, s[0:3], 0 offset:316
	buffer_load_dword v42, off, s[0:3], 0 offset:324
	;; [unrolled: 1-line block ×22, first 2 shown]
	ds_read2_b64 v[2:5], v1 offset0:89 offset1:90
	ds_read2_b64 v[6:9], v1 offset0:91 offset1:92
	;; [unrolled: 1-line block ×5, first 2 shown]
	v_cmp_lt_u32_e32 vcc, 37, v0
	s_waitcnt vmcnt(21) lgkmcnt(4)
	v_mul_f32_e32 v41, v2, v40
	v_mul_f32_e32 v1, v3, v40
	s_waitcnt vmcnt(19)
	v_mov_b32_e32 v44, v23
	v_mul_f32_e32 v43, v4, v42
	v_mul_f32_e32 v42, v5, v42
	s_waitcnt vmcnt(18)
	v_mov_b32_e32 v46, v25
	s_waitcnt vmcnt(17)
	v_mov_b32_e32 v48, v27
	;; [unrolled: 2-line block ×6, first 2 shown]
	s_waitcnt vmcnt(11)
	v_fmac_f32_e32 v41, v3, v45
	v_fma_f32 v40, v2, v45, -v1
	s_waitcnt lgkmcnt(3)
	v_pk_mul_f32 v[2:3], v[6:7], v[44:45] op_sel_hi:[1,0]
	s_waitcnt vmcnt(10)
	v_fmac_f32_e32 v43, v5, v47
	v_fma_f32 v42, v4, v47, -v42
	v_pk_mul_f32 v[4:5], v[8:9], v[46:47] op_sel_hi:[1,0]
	s_waitcnt lgkmcnt(2)
	v_pk_mul_f32 v[44:45], v[10:11], v[48:49] op_sel_hi:[1,0]
	v_pk_mul_f32 v[46:47], v[12:13], v[50:51] op_sel_hi:[1,0]
	s_waitcnt lgkmcnt(1)
	v_pk_mul_f32 v[48:49], v[14:15], v[52:53] op_sel_hi:[1,0]
	;; [unrolled: 3-line block ×3, first 2 shown]
	v_pk_add_f32 v[40:41], v[40:41], 0 op_sel_hi:[1,0]
	s_waitcnt vmcnt(9)
	v_pk_fma_f32 v[56:57], v[6:7], v[22:23], v[2:3] op_sel:[0,0,1] op_sel_hi:[1,1,0] neg_lo:[0,0,1] neg_hi:[0,0,1]
	v_pk_fma_f32 v[2:3], v[6:7], v[22:23], v[2:3] op_sel:[0,0,1] op_sel_hi:[1,0,0]
	s_waitcnt vmcnt(8)
	v_pk_fma_f32 v[6:7], v[8:9], v[24:25], v[4:5] op_sel:[0,0,1] op_sel_hi:[1,1,0] neg_lo:[0,0,1] neg_hi:[0,0,1]
	v_pk_fma_f32 v[4:5], v[8:9], v[24:25], v[4:5] op_sel:[0,0,1] op_sel_hi:[1,0,0]
	;; [unrolled: 3-line block ×4, first 2 shown]
	v_pk_add_f32 v[32:33], v[40:41], v[42:43]
	v_mov_b32_e32 v57, v3
	v_mov_b32_e32 v7, v5
	v_pk_add_f32 v[2:3], v[32:33], v[56:57]
	v_pk_fma_f32 v[22:23], v[12:13], v[28:29], v[46:47] op_sel:[0,0,1] op_sel_hi:[1,1,0] neg_lo:[0,0,1] neg_hi:[0,0,1]
	v_pk_fma_f32 v[12:13], v[12:13], v[28:29], v[46:47] op_sel:[0,0,1] op_sel_hi:[1,0,0]
	v_mov_b32_e32 v9, v11
	v_pk_add_f32 v[2:3], v[2:3], v[6:7]
	v_pk_fma_f32 v[24:25], v[14:15], v[30:31], v[48:49] op_sel:[0,0,1] op_sel_hi:[1,1,0] neg_lo:[0,0,1] neg_hi:[0,0,1]
	v_pk_fma_f32 v[14:15], v[14:15], v[30:31], v[48:49] op_sel:[0,0,1] op_sel_hi:[1,0,0]
	v_mov_b32_e32 v23, v13
	v_pk_add_f32 v[2:3], v[2:3], v[8:9]
	v_mov_b32_e32 v58, v37
	v_mov_b32_e32 v25, v15
	v_pk_add_f32 v[2:3], v[2:3], v[22:23]
	v_pk_mul_f32 v[54:55], v[20:21], v[58:59] op_sel_hi:[1,0]
	v_pk_fma_f32 v[28:29], v[18:19], v[34:35], v[52:53] op_sel:[0,0,1] op_sel_hi:[1,1,0] neg_lo:[0,0,1] neg_hi:[0,0,1]
	v_pk_fma_f32 v[18:19], v[18:19], v[34:35], v[52:53] op_sel:[0,0,1] op_sel_hi:[1,0,0]
	v_mov_b32_e32 v27, v17
	v_pk_add_f32 v[2:3], v[2:3], v[24:25]
	v_pk_fma_f32 v[30:31], v[20:21], v[36:37], v[54:55] op_sel:[0,0,1] op_sel_hi:[1,1,0] neg_lo:[0,0,1] neg_hi:[0,0,1]
	v_pk_fma_f32 v[20:21], v[20:21], v[36:37], v[54:55] op_sel:[0,0,1] op_sel_hi:[1,0,0]
	v_mov_b32_e32 v29, v19
	v_pk_add_f32 v[2:3], v[2:3], v[26:27]
	v_mov_b32_e32 v31, v21
	v_pk_add_f32 v[2:3], v[2:3], v[28:29]
	v_pk_add_f32 v[2:3], v[2:3], v[30:31]
	s_waitcnt vmcnt(0)
	v_pk_add_f32 v[2:3], v[38:39], v[2:3] neg_lo:[0,1] neg_hi:[0,1]
	buffer_store_dword v2, off, s[0:3], 0 offset:304
	buffer_store_dword v3, off, s[0:3], 0 offset:308
	s_and_saveexec_b64 s[4:5], vcc
	s_cbranch_execz .LBB112_233
; %bb.232:
	buffer_load_dword v2, off, s[0:3], 0 offset:296
	buffer_load_dword v3, off, s[0:3], 0 offset:300
	v_mov_b32_e32 v1, 0
	v_accvgpr_read_b32 v4, a24
	buffer_store_dword v1, off, s[0:3], 0 offset:296
	buffer_store_dword v1, off, s[0:3], 0 offset:300
	s_waitcnt vmcnt(2)
	ds_write_b64 v4, v[2:3]
.LBB112_233:
	s_or_b64 exec, exec, s[4:5]
	s_waitcnt lgkmcnt(0)
	; wave barrier
	s_waitcnt lgkmcnt(0)
	buffer_load_dword v42, off, s[0:3], 0 offset:308
	buffer_load_dword v44, off, s[0:3], 0 offset:316
	;; [unrolled: 1-line block ×24, first 2 shown]
	v_mov_b32_e32 v1, 0
	ds_read_b128 v[2:5], v1 offset:704
	ds_read_b128 v[6:9], v1 offset:720
	;; [unrolled: 1-line block ×5, first 2 shown]
	ds_read_b64 v[40:41], v1 offset:784
	v_cmp_lt_u32_e32 vcc, 36, v0
	s_waitcnt vmcnt(23) lgkmcnt(5)
	v_mul_f32_e32 v55, v2, v42
	v_mul_f32_e32 v42, v3, v42
	s_waitcnt vmcnt(22)
	v_mul_f32_e32 v43, v4, v44
	s_waitcnt vmcnt(21) lgkmcnt(4)
	v_mul_f32_e32 v45, v6, v46
	v_mul_f32_e32 v44, v5, v44
	v_mul_f32_e32 v53, v7, v46
	s_waitcnt vmcnt(20)
	v_mov_b32_e32 v46, v23
	s_waitcnt vmcnt(19)
	v_mov_b32_e32 v48, v25
	;; [unrolled: 2-line block ×5, first 2 shown]
	s_waitcnt vmcnt(12)
	v_fmac_f32_e32 v55, v3, v47
	v_fma_f32 v57, v2, v47, -v42
	v_mov_b32_e32 v56, v33
	s_waitcnt vmcnt(11)
	v_fmac_f32_e32 v43, v5, v49
	s_waitcnt vmcnt(10)
	v_fmac_f32_e32 v45, v7, v51
	v_fma_f32 v42, v4, v49, -v44
	v_fma_f32 v44, v6, v51, -v53
	v_pk_mul_f32 v[2:3], v[8:9], v[46:47] op_sel_hi:[1,0]
	s_waitcnt lgkmcnt(3)
	v_pk_mul_f32 v[4:5], v[10:11], v[48:49] op_sel_hi:[1,0]
	v_pk_mul_f32 v[6:7], v[12:13], v[50:51] op_sel_hi:[1,0]
	s_waitcnt lgkmcnt(2)
	v_pk_mul_f32 v[46:47], v[14:15], v[52:53] op_sel_hi:[1,0]
	v_pk_mul_f32 v[48:49], v[16:17], v[54:55] op_sel_hi:[1,0]
	v_add_f32_e32 v55, 0, v55
	v_add_f32_e32 v54, 0, v57
	s_waitcnt lgkmcnt(1)
	v_pk_mul_f32 v[50:51], v[18:19], v[56:57] op_sel_hi:[1,0]
	s_waitcnt vmcnt(9)
	v_pk_fma_f32 v[56:57], v[8:9], v[22:23], v[2:3] op_sel:[0,0,1] op_sel_hi:[1,1,0] neg_lo:[0,0,1] neg_hi:[0,0,1]
	v_pk_fma_f32 v[2:3], v[8:9], v[22:23], v[2:3] op_sel:[0,0,1] op_sel_hi:[1,0,0]
	s_waitcnt vmcnt(8)
	v_pk_fma_f32 v[8:9], v[10:11], v[24:25], v[4:5] op_sel:[0,0,1] op_sel_hi:[1,1,0] neg_lo:[0,0,1] neg_hi:[0,0,1]
	v_pk_fma_f32 v[4:5], v[10:11], v[24:25], v[4:5] op_sel:[0,0,1] op_sel_hi:[1,0,0]
	;; [unrolled: 3-line block ×4, first 2 shown]
	v_pk_add_f32 v[28:29], v[54:55], v[42:43]
	v_mov_b32_e32 v57, v3
	v_pk_add_f32 v[2:3], v[28:29], v[44:45]
	v_mov_b32_e32 v9, v5
	;; [unrolled: 2-line block ×4, first 2 shown]
	s_waitcnt vmcnt(2)
	v_pk_fma_f32 v[22:23], v[16:17], v[30:31], v[48:49] op_sel:[0,0,1] op_sel_hi:[1,1,0] neg_lo:[0,0,1] neg_hi:[0,0,1]
	v_pk_fma_f32 v[16:17], v[16:17], v[30:31], v[48:49] op_sel:[0,0,1] op_sel_hi:[1,0,0]
	v_mov_b32_e32 v13, v15
	v_pk_add_f32 v[2:3], v[2:3], v[10:11]
	v_mov_b32_e32 v60, v37
	v_pk_mul_f32 v[52:53], v[20:21], v[58:59] op_sel_hi:[1,0]
	v_pk_fma_f32 v[24:25], v[18:19], v[32:33], v[50:51] op_sel:[0,0,1] op_sel_hi:[1,1,0] neg_lo:[0,0,1] neg_hi:[0,0,1]
	v_pk_fma_f32 v[18:19], v[18:19], v[32:33], v[50:51] op_sel:[0,0,1] op_sel_hi:[1,0,0]
	v_mov_b32_e32 v23, v17
	v_pk_add_f32 v[2:3], v[2:3], v[12:13]
	v_pk_fma_f32 v[26:27], v[20:21], v[34:35], v[52:53] op_sel:[0,0,1] op_sel_hi:[1,1,0] neg_lo:[0,0,1] neg_hi:[0,0,1]
	v_pk_fma_f32 v[20:21], v[20:21], v[34:35], v[52:53] op_sel:[0,0,1] op_sel_hi:[1,0,0]
	v_mov_b32_e32 v25, v19
	v_pk_add_f32 v[2:3], v[2:3], v[22:23]
	s_waitcnt lgkmcnt(0)
	v_pk_mul_f32 v[4:5], v[40:41], v[60:61] op_sel_hi:[1,0]
	v_mov_b32_e32 v27, v21
	v_pk_add_f32 v[2:3], v[2:3], v[24:25]
	v_pk_fma_f32 v[6:7], v[40:41], v[36:37], v[4:5] op_sel:[0,0,1] op_sel_hi:[1,1,0] neg_lo:[0,0,1] neg_hi:[0,0,1]
	v_pk_fma_f32 v[4:5], v[40:41], v[36:37], v[4:5] op_sel:[0,0,1] op_sel_hi:[1,0,0]
	v_pk_add_f32 v[2:3], v[2:3], v[26:27]
	v_mov_b32_e32 v7, v5
	v_pk_add_f32 v[2:3], v[2:3], v[6:7]
	s_waitcnt vmcnt(0)
	v_pk_add_f32 v[2:3], v[38:39], v[2:3] neg_lo:[0,1] neg_hi:[0,1]
	buffer_store_dword v3, off, s[0:3], 0 offset:300
	buffer_store_dword v2, off, s[0:3], 0 offset:296
	s_and_saveexec_b64 s[4:5], vcc
	s_cbranch_execz .LBB112_235
; %bb.234:
	buffer_load_dword v2, off, s[0:3], 0 offset:288
	buffer_load_dword v3, off, s[0:3], 0 offset:292
	v_accvgpr_read_b32 v4, a24
	buffer_store_dword v1, off, s[0:3], 0 offset:288
	buffer_store_dword v1, off, s[0:3], 0 offset:292
	s_waitcnt vmcnt(2)
	ds_write_b64 v4, v[2:3]
.LBB112_235:
	s_or_b64 exec, exec, s[4:5]
	s_waitcnt lgkmcnt(0)
	; wave barrier
	s_waitcnt lgkmcnt(0)
	buffer_load_dword v44, off, s[0:3], 0 offset:300
	buffer_load_dword v46, off, s[0:3], 0 offset:308
	;; [unrolled: 1-line block ×26, first 2 shown]
	ds_read2_b64 v[2:5], v1 offset0:87 offset1:88
	ds_read2_b64 v[6:9], v1 offset0:89 offset1:90
	;; [unrolled: 1-line block ×6, first 2 shown]
	v_cmp_lt_u32_e32 vcc, 35, v0
	s_waitcnt vmcnt(25) lgkmcnt(5)
	v_mul_f32_e32 v1, v2, v44
	v_mul_f32_e32 v44, v3, v44
	s_waitcnt vmcnt(24)
	v_mul_f32_e32 v59, v4, v46
	s_waitcnt vmcnt(23) lgkmcnt(4)
	v_mul_f32_e32 v45, v6, v48
	s_waitcnt vmcnt(22)
	v_mul_f32_e32 v47, v8, v49
	v_mul_f32_e32 v46, v5, v46
	;; [unrolled: 1-line block ×4, first 2 shown]
	s_waitcnt vmcnt(21)
	v_mov_b32_e32 v48, v27
	s_waitcnt vmcnt(20)
	v_mov_b32_e32 v50, v29
	;; [unrolled: 2-line block ×3, first 2 shown]
	s_waitcnt vmcnt(15)
	v_fmac_f32_e32 v1, v3, v51
	v_fma_f32 v61, v2, v51, -v44
	v_mov_b32_e32 v52, v31
	s_waitcnt vmcnt(14)
	v_fmac_f32_e32 v59, v5, v53
	s_waitcnt vmcnt(12)
	v_fmac_f32_e32 v47, v9, v57
	v_fma_f32 v62, v4, v53, -v46
	v_fma_f32 v46, v8, v57, -v49
	s_waitcnt lgkmcnt(3)
	v_pk_mul_f32 v[2:3], v[10:11], v[48:49] op_sel_hi:[1,0]
	v_pk_mul_f32 v[4:5], v[12:13], v[50:51] op_sel_hi:[1,0]
	s_waitcnt lgkmcnt(2)
	v_pk_mul_f32 v[8:9], v[16:17], v[54:55] op_sel_hi:[1,0]
	v_add_f32_e32 v1, 0, v1
	v_add_f32_e32 v54, 0, v61
	v_fmac_f32_e32 v45, v7, v55
	v_fma_f32 v44, v6, v55, -v60
	v_pk_mul_f32 v[6:7], v[14:15], v[52:53] op_sel_hi:[1,0]
	s_waitcnt vmcnt(11)
	v_pk_fma_f32 v[52:53], v[10:11], v[26:27], v[2:3] op_sel:[0,0,1] op_sel_hi:[1,1,0] neg_lo:[0,0,1] neg_hi:[0,0,1]
	v_pk_fma_f32 v[2:3], v[10:11], v[26:27], v[2:3] op_sel:[0,0,1] op_sel_hi:[1,0,0]
	s_waitcnt vmcnt(10)
	v_pk_fma_f32 v[10:11], v[12:13], v[28:29], v[4:5] op_sel:[0,0,1] op_sel_hi:[1,1,0] neg_lo:[0,0,1] neg_hi:[0,0,1]
	v_pk_fma_f32 v[4:5], v[12:13], v[28:29], v[4:5] op_sel:[0,0,1] op_sel_hi:[1,0,0]
	v_add_f32_e32 v29, v1, v59
	v_add_f32_e32 v28, v54, v62
	v_mov_b32_e32 v53, v3
	v_pk_add_f32 v[2:3], v[28:29], v[44:45]
	v_pk_add_f32 v[2:3], v[2:3], v[46:47]
	v_mov_b32_e32 v56, v35
	s_waitcnt vmcnt(9)
	v_pk_fma_f32 v[12:13], v[14:15], v[30:31], v[6:7] op_sel:[0,0,1] op_sel_hi:[1,1,0] neg_lo:[0,0,1] neg_hi:[0,0,1]
	v_pk_fma_f32 v[6:7], v[14:15], v[30:31], v[6:7] op_sel:[0,0,1] op_sel_hi:[1,0,0]
	v_mov_b32_e32 v11, v5
	v_pk_add_f32 v[2:3], v[2:3], v[52:53]
	v_mov_b32_e32 v58, v37
	s_waitcnt lgkmcnt(1)
	v_pk_mul_f32 v[48:49], v[18:19], v[56:57] op_sel_hi:[1,0]
	s_waitcnt vmcnt(5)
	v_pk_fma_f32 v[14:15], v[16:17], v[32:33], v[8:9] op_sel:[0,0,1] op_sel_hi:[1,1,0] neg_lo:[0,0,1] neg_hi:[0,0,1]
	v_pk_fma_f32 v[8:9], v[16:17], v[32:33], v[8:9] op_sel:[0,0,1] op_sel_hi:[1,0,0]
	v_mov_b32_e32 v13, v7
	v_pk_add_f32 v[2:3], v[2:3], v[10:11]
	s_waitcnt vmcnt(4)
	v_mov_b32_e32 v4, v39
	v_pk_mul_f32 v[50:51], v[20:21], v[58:59] op_sel_hi:[1,0]
	v_pk_fma_f32 v[16:17], v[18:19], v[34:35], v[48:49] op_sel:[0,0,1] op_sel_hi:[1,1,0] neg_lo:[0,0,1] neg_hi:[0,0,1]
	v_pk_fma_f32 v[18:19], v[18:19], v[34:35], v[48:49] op_sel:[0,0,1] op_sel_hi:[1,0,0]
	v_mov_b32_e32 v15, v9
	v_pk_add_f32 v[2:3], v[2:3], v[12:13]
	s_waitcnt lgkmcnt(0)
	v_pk_mul_f32 v[4:5], v[22:23], v[4:5] op_sel_hi:[1,0]
	v_pk_fma_f32 v[26:27], v[20:21], v[36:37], v[50:51] op_sel:[0,0,1] op_sel_hi:[1,1,0] neg_lo:[0,0,1] neg_hi:[0,0,1]
	v_pk_fma_f32 v[20:21], v[20:21], v[36:37], v[50:51] op_sel:[0,0,1] op_sel_hi:[1,0,0]
	v_mov_b32_e32 v17, v19
	v_pk_add_f32 v[2:3], v[2:3], v[14:15]
	v_pk_fma_f32 v[6:7], v[22:23], v[38:39], v[4:5] op_sel:[0,0,1] op_sel_hi:[1,1,0] neg_lo:[0,0,1] neg_hi:[0,0,1]
	v_pk_fma_f32 v[4:5], v[22:23], v[38:39], v[4:5] op_sel:[0,0,1] op_sel_hi:[1,0,0]
	v_mov_b32_e32 v27, v21
	v_pk_add_f32 v[2:3], v[2:3], v[16:17]
	s_waitcnt vmcnt(3)
	v_mov_b32_e32 v4, v41
	v_pk_add_f32 v[2:3], v[2:3], v[26:27]
	v_mov_b32_e32 v7, v5
	v_pk_mul_f32 v[4:5], v[24:25], v[4:5] op_sel_hi:[1,0]
	v_pk_add_f32 v[2:3], v[2:3], v[6:7]
	s_waitcnt vmcnt(2)
	v_pk_fma_f32 v[6:7], v[24:25], v[40:41], v[4:5] op_sel:[0,0,1] op_sel_hi:[1,1,0] neg_lo:[0,0,1] neg_hi:[0,0,1]
	v_pk_fma_f32 v[4:5], v[24:25], v[40:41], v[4:5] op_sel:[0,0,1] op_sel_hi:[1,0,0]
	v_mov_b32_e32 v7, v5
	v_pk_add_f32 v[2:3], v[2:3], v[6:7]
	s_waitcnt vmcnt(0)
	v_pk_add_f32 v[2:3], v[42:43], v[2:3] neg_lo:[0,1] neg_hi:[0,1]
	buffer_store_dword v3, off, s[0:3], 0 offset:292
	buffer_store_dword v2, off, s[0:3], 0 offset:288
	s_and_saveexec_b64 s[4:5], vcc
	s_cbranch_execz .LBB112_237
; %bb.236:
	buffer_load_dword v2, off, s[0:3], 0 offset:280
	buffer_load_dword v3, off, s[0:3], 0 offset:284
	v_mov_b32_e32 v1, 0
	v_accvgpr_read_b32 v4, a24
	buffer_store_dword v1, off, s[0:3], 0 offset:280
	buffer_store_dword v1, off, s[0:3], 0 offset:284
	s_waitcnt vmcnt(2)
	ds_write_b64 v4, v[2:3]
.LBB112_237:
	s_or_b64 exec, exec, s[4:5]
	s_waitcnt lgkmcnt(0)
	; wave barrier
	s_waitcnt lgkmcnt(0)
	buffer_load_dword v46, off, s[0:3], 0 offset:292
	buffer_load_dword v48, off, s[0:3], 0 offset:300
	;; [unrolled: 1-line block ×28, first 2 shown]
	v_mov_b32_e32 v1, 0
	ds_read_b128 v[2:5], v1 offset:688
	ds_read_b128 v[6:9], v1 offset:704
	;; [unrolled: 1-line block ×6, first 2 shown]
	ds_read_b64 v[44:45], v1 offset:784
	v_cmp_lt_u32_e32 vcc, 34, v0
	s_waitcnt vmcnt(27) lgkmcnt(6)
	v_mul_f32_e32 v61, v2, v46
	s_waitcnt vmcnt(26)
	v_mul_f32_e32 v62, v4, v48
	v_mul_f32_e32 v46, v3, v46
	v_mul_f32_e32 v48, v5, v48
	s_waitcnt vmcnt(23) lgkmcnt(4)
	v_mul_f32_e32 v49, v10, v52
	v_mul_f32_e32 v63, v6, v50
	;; [unrolled: 1-line block ×6, first 2 shown]
	s_waitcnt vmcnt(22)
	v_mov_b32_e32 v50, v27
	s_waitcnt vmcnt(21)
	v_mov_b32_e32 v52, v29
	s_waitcnt vmcnt(17)
	v_fmac_f32_e32 v61, v3, v53
	s_waitcnt vmcnt(16)
	v_fmac_f32_e32 v62, v5, v55
	;; [unrolled: 2-line block ×3, first 2 shown]
	v_fma_f32 v11, v2, v53, -v46
	v_fma_f32 v53, v4, v55, -v48
	v_pk_mul_f32 v[2:3], v[12:13], v[50:51] op_sel_hi:[1,0]
	s_waitcnt lgkmcnt(3)
	v_pk_mul_f32 v[4:5], v[14:15], v[52:53] op_sel_hi:[1,0]
	v_fma_f32 v46, v8, v59, -v51
	v_fma_f32 v48, v10, v60, -v65
	v_add_f32_e32 v50, 0, v61
	v_add_f32_e32 v51, 0, v11
	s_waitcnt vmcnt(12)
	v_pk_fma_f32 v[10:11], v[12:13], v[26:27], v[2:3] op_sel:[0,0,1] op_sel_hi:[1,1,0] neg_lo:[0,0,1] neg_hi:[0,0,1]
	v_pk_fma_f32 v[2:3], v[12:13], v[26:27], v[2:3] op_sel:[0,0,1] op_sel_hi:[1,0,0]
	s_waitcnt vmcnt(11)
	v_pk_fma_f32 v[12:13], v[14:15], v[28:29], v[4:5] op_sel:[0,0,1] op_sel_hi:[1,1,0] neg_lo:[0,0,1] neg_hi:[0,0,1]
	v_pk_fma_f32 v[4:5], v[14:15], v[28:29], v[4:5] op_sel:[0,0,1] op_sel_hi:[1,0,0]
	v_fmac_f32_e32 v63, v7, v57
	v_fma_f32 v55, v6, v57, -v64
	v_add_f32_e32 v2, v50, v62
	v_add_f32_e32 v4, v51, v53
	v_fmac_f32_e32 v47, v9, v59
	v_mov_b32_e32 v11, v3
	v_add_f32_e32 v3, v2, v63
	v_add_f32_e32 v2, v4, v55
	v_mov_b32_e32 v54, v31
	v_pk_add_f32 v[2:3], v[2:3], v[46:47]
	v_mov_b32_e32 v56, v33
	v_mov_b32_e32 v58, v35
	v_pk_mul_f32 v[6:7], v[16:17], v[54:55] op_sel_hi:[1,0]
	v_pk_add_f32 v[2:3], v[2:3], v[48:49]
	s_waitcnt lgkmcnt(2)
	v_pk_mul_f32 v[8:9], v[18:19], v[56:57] op_sel_hi:[1,0]
	s_waitcnt vmcnt(7)
	v_pk_fma_f32 v[14:15], v[16:17], v[30:31], v[6:7] op_sel:[0,0,1] op_sel_hi:[1,1,0] neg_lo:[0,0,1] neg_hi:[0,0,1]
	v_pk_fma_f32 v[6:7], v[16:17], v[30:31], v[6:7] op_sel:[0,0,1] op_sel_hi:[1,0,0]
	v_mov_b32_e32 v13, v5
	v_pk_add_f32 v[2:3], v[2:3], v[10:11]
	v_pk_mul_f32 v[4:5], v[20:21], v[58:59] op_sel_hi:[1,0]
	v_pk_fma_f32 v[16:17], v[18:19], v[32:33], v[8:9] op_sel:[0,0,1] op_sel_hi:[1,1,0] neg_lo:[0,0,1] neg_hi:[0,0,1]
	v_pk_fma_f32 v[8:9], v[18:19], v[32:33], v[8:9] op_sel:[0,0,1] op_sel_hi:[1,0,0]
	v_mov_b32_e32 v15, v7
	v_pk_add_f32 v[2:3], v[2:3], v[12:13]
	v_pk_fma_f32 v[6:7], v[20:21], v[34:35], v[4:5] op_sel:[0,0,1] op_sel_hi:[1,1,0] neg_lo:[0,0,1] neg_hi:[0,0,1]
	v_pk_fma_f32 v[4:5], v[20:21], v[34:35], v[4:5] op_sel:[0,0,1] op_sel_hi:[1,0,0]
	v_mov_b32_e32 v17, v9
	v_pk_add_f32 v[2:3], v[2:3], v[14:15]
	s_waitcnt vmcnt(6)
	v_mov_b32_e32 v4, v37
	v_pk_add_f32 v[2:3], v[2:3], v[16:17]
	v_mov_b32_e32 v7, v5
	s_waitcnt lgkmcnt(1)
	v_pk_mul_f32 v[4:5], v[22:23], v[4:5] op_sel_hi:[1,0]
	v_pk_add_f32 v[2:3], v[2:3], v[6:7]
	v_pk_fma_f32 v[6:7], v[22:23], v[36:37], v[4:5] op_sel:[0,0,1] op_sel_hi:[1,1,0] neg_lo:[0,0,1] neg_hi:[0,0,1]
	v_pk_fma_f32 v[4:5], v[22:23], v[36:37], v[4:5] op_sel:[0,0,1] op_sel_hi:[1,0,0]
	s_waitcnt vmcnt(5)
	v_mov_b32_e32 v4, v39
	v_mov_b32_e32 v7, v5
	v_pk_mul_f32 v[4:5], v[24:25], v[4:5] op_sel_hi:[1,0]
	v_pk_add_f32 v[2:3], v[2:3], v[6:7]
	s_waitcnt vmcnt(3)
	v_pk_fma_f32 v[6:7], v[24:25], v[38:39], v[4:5] op_sel:[0,0,1] op_sel_hi:[1,1,0] neg_lo:[0,0,1] neg_hi:[0,0,1]
	v_pk_fma_f32 v[4:5], v[24:25], v[38:39], v[4:5] op_sel:[0,0,1] op_sel_hi:[1,0,0]
	s_waitcnt vmcnt(2)
	v_mov_b32_e32 v4, v41
	v_mov_b32_e32 v7, v5
	s_waitcnt lgkmcnt(0)
	v_pk_mul_f32 v[4:5], v[44:45], v[4:5] op_sel_hi:[1,0]
	v_pk_add_f32 v[2:3], v[2:3], v[6:7]
	v_pk_fma_f32 v[6:7], v[44:45], v[40:41], v[4:5] op_sel:[0,0,1] op_sel_hi:[1,1,0] neg_lo:[0,0,1] neg_hi:[0,0,1]
	v_pk_fma_f32 v[4:5], v[44:45], v[40:41], v[4:5] op_sel:[0,0,1] op_sel_hi:[1,0,0]
	v_mov_b32_e32 v7, v5
	v_pk_add_f32 v[2:3], v[2:3], v[6:7]
	s_waitcnt vmcnt(0)
	v_pk_add_f32 v[2:3], v[42:43], v[2:3] neg_lo:[0,1] neg_hi:[0,1]
	buffer_store_dword v3, off, s[0:3], 0 offset:284
	buffer_store_dword v2, off, s[0:3], 0 offset:280
	s_and_saveexec_b64 s[4:5], vcc
	s_cbranch_execz .LBB112_239
; %bb.238:
	buffer_load_dword v2, off, s[0:3], 0 offset:272
	buffer_load_dword v3, off, s[0:3], 0 offset:276
	v_accvgpr_read_b32 v4, a24
	buffer_store_dword v1, off, s[0:3], 0 offset:272
	buffer_store_dword v1, off, s[0:3], 0 offset:276
	s_waitcnt vmcnt(2)
	ds_write_b64 v4, v[2:3]
.LBB112_239:
	s_or_b64 exec, exec, s[4:5]
	s_waitcnt lgkmcnt(0)
	; wave barrier
	s_waitcnt lgkmcnt(0)
	buffer_load_dword v48, off, s[0:3], 0 offset:284
	buffer_load_dword v50, off, s[0:3], 0 offset:292
	;; [unrolled: 1-line block ×30, first 2 shown]
	ds_read2_b64 v[2:5], v1 offset0:85 offset1:86
	ds_read2_b64 v[6:9], v1 offset0:87 offset1:88
	;; [unrolled: 1-line block ×7, first 2 shown]
	v_cmp_lt_u32_e32 vcc, 33, v0
	s_waitcnt vmcnt(29) lgkmcnt(6)
	v_mul_f32_e32 v1, v2, v48
	v_mul_f32_e32 v48, v3, v48
	s_waitcnt vmcnt(27) lgkmcnt(5)
	v_mul_f32_e32 v64, v6, v52
	s_waitcnt vmcnt(26)
	v_mul_f32_e32 v65, v8, v53
	v_mul_f32_e32 v53, v9, v53
	;; [unrolled: 1-line block ×3, first 2 shown]
	s_waitcnt vmcnt(23)
	v_mov_b32_e32 v52, v31
	v_mul_f32_e32 v63, v4, v50
	v_mul_f32_e32 v50, v5, v50
	s_waitcnt vmcnt(20)
	v_fmac_f32_e32 v1, v3, v57
	s_waitcnt vmcnt(19)
	v_fmac_f32_e32 v63, v5, v58
	v_add_f32_e32 v1, 0, v1
	s_waitcnt vmcnt(17)
	v_fma_f32 v53, v8, v60, -v53
	v_fmac_f32_e32 v65, v9, v60
	v_fma_f32 v9, v2, v57, -v48
	s_waitcnt lgkmcnt(3)
	v_pk_mul_f32 v[2:3], v[14:15], v[52:53] op_sel_hi:[1,0]
	v_fma_f32 v57, v4, v58, -v50
	v_add_f32_e32 v52, 0, v9
	s_waitcnt vmcnt(14)
	v_pk_fma_f32 v[8:9], v[14:15], v[30:31], v[2:3] op_sel:[0,0,1] op_sel_hi:[1,1,0] neg_lo:[0,0,1] neg_hi:[0,0,1]
	v_pk_fma_f32 v[2:3], v[14:15], v[30:31], v[2:3] op_sel:[0,0,1] op_sel_hi:[1,0,0]
	v_mul_f32_e32 v49, v10, v54
	v_mul_f32_e32 v51, v12, v55
	;; [unrolled: 1-line block ×4, first 2 shown]
	v_mov_b32_e32 v54, v33
	v_fmac_f32_e32 v64, v7, v59
	v_fma_f32 v58, v6, v59, -v66
	v_add_f32_e32 v1, v1, v63
	v_add_f32_e32 v2, v52, v57
	v_pk_mul_f32 v[4:5], v[16:17], v[54:55] op_sel_hi:[1,0]
	v_add_f32_e32 v1, v1, v64
	v_add_f32_e32 v2, v2, v58
	v_mov_b32_e32 v56, v35
	v_fmac_f32_e32 v49, v11, v61
	v_fma_f32 v48, v10, v61, -v67
	s_waitcnt vmcnt(10)
	v_pk_fma_f32 v[10:11], v[16:17], v[32:33], v[4:5] op_sel:[0,0,1] op_sel_hi:[1,1,0] neg_lo:[0,0,1] neg_hi:[0,0,1]
	v_pk_fma_f32 v[4:5], v[16:17], v[32:33], v[4:5] op_sel:[0,0,1] op_sel_hi:[1,0,0]
	v_mov_b32_e32 v9, v3
	v_add_f32_e32 v3, v1, v65
	v_add_f32_e32 v2, v2, v53
	v_fmac_f32_e32 v51, v13, v62
	v_fma_f32 v50, v12, v62, -v55
	s_waitcnt lgkmcnt(2)
	v_pk_mul_f32 v[6:7], v[18:19], v[56:57] op_sel_hi:[1,0]
	v_pk_add_f32 v[2:3], v[2:3], v[48:49]
	s_waitcnt vmcnt(9)
	v_mov_b32_e32 v4, v39
	v_pk_fma_f32 v[12:13], v[18:19], v[34:35], v[6:7] op_sel:[0,0,1] op_sel_hi:[1,1,0] neg_lo:[0,0,1] neg_hi:[0,0,1]
	v_pk_fma_f32 v[6:7], v[18:19], v[34:35], v[6:7] op_sel:[0,0,1] op_sel_hi:[1,0,0]
	v_mov_b32_e32 v11, v5
	v_pk_add_f32 v[2:3], v[2:3], v[50:51]
	v_pk_mul_f32 v[4:5], v[20:21], v[4:5] op_sel_hi:[1,0]
	v_mov_b32_e32 v13, v7
	v_pk_add_f32 v[2:3], v[2:3], v[8:9]
	v_pk_fma_f32 v[6:7], v[20:21], v[38:39], v[4:5] op_sel:[0,0,1] op_sel_hi:[1,1,0] neg_lo:[0,0,1] neg_hi:[0,0,1]
	v_pk_fma_f32 v[4:5], v[20:21], v[38:39], v[4:5] op_sel:[0,0,1] op_sel_hi:[1,0,0]
	v_pk_add_f32 v[2:3], v[2:3], v[10:11]
	s_waitcnt vmcnt(8)
	v_mov_b32_e32 v4, v37
	v_pk_add_f32 v[2:3], v[2:3], v[12:13]
	v_mov_b32_e32 v7, v5
	s_waitcnt lgkmcnt(1)
	v_pk_mul_f32 v[4:5], v[22:23], v[4:5] op_sel_hi:[1,0]
	v_pk_add_f32 v[2:3], v[2:3], v[6:7]
	v_pk_fma_f32 v[6:7], v[22:23], v[36:37], v[4:5] op_sel:[0,0,1] op_sel_hi:[1,1,0] neg_lo:[0,0,1] neg_hi:[0,0,1]
	v_pk_fma_f32 v[4:5], v[22:23], v[36:37], v[4:5] op_sel:[0,0,1] op_sel_hi:[1,0,0]
	s_waitcnt vmcnt(7)
	v_mov_b32_e32 v4, v41
	v_mov_b32_e32 v7, v5
	v_pk_mul_f32 v[4:5], v[24:25], v[4:5] op_sel_hi:[1,0]
	v_pk_add_f32 v[2:3], v[2:3], v[6:7]
	s_waitcnt vmcnt(4)
	v_pk_fma_f32 v[6:7], v[24:25], v[40:41], v[4:5] op_sel:[0,0,1] op_sel_hi:[1,1,0] neg_lo:[0,0,1] neg_hi:[0,0,1]
	v_pk_fma_f32 v[4:5], v[24:25], v[40:41], v[4:5] op_sel:[0,0,1] op_sel_hi:[1,0,0]
	s_waitcnt vmcnt(3)
	v_mov_b32_e32 v4, v45
	v_mov_b32_e32 v7, v5
	s_waitcnt lgkmcnt(0)
	v_pk_mul_f32 v[4:5], v[26:27], v[4:5] op_sel_hi:[1,0]
	v_pk_add_f32 v[2:3], v[2:3], v[6:7]
	v_pk_fma_f32 v[6:7], v[26:27], v[44:45], v[4:5] op_sel:[0,0,1] op_sel_hi:[1,1,0] neg_lo:[0,0,1] neg_hi:[0,0,1]
	v_pk_fma_f32 v[4:5], v[26:27], v[44:45], v[4:5] op_sel:[0,0,1] op_sel_hi:[1,0,0]
	s_waitcnt vmcnt(0)
	v_mov_b32_e32 v4, v43
	v_mov_b32_e32 v7, v5
	v_pk_mul_f32 v[4:5], v[28:29], v[4:5] op_sel_hi:[1,0]
	v_pk_add_f32 v[2:3], v[2:3], v[6:7]
	v_pk_fma_f32 v[6:7], v[28:29], v[42:43], v[4:5] op_sel:[0,0,1] op_sel_hi:[1,1,0] neg_lo:[0,0,1] neg_hi:[0,0,1]
	v_pk_fma_f32 v[4:5], v[28:29], v[42:43], v[4:5] op_sel:[0,0,1] op_sel_hi:[1,0,0]
	v_mov_b32_e32 v7, v5
	v_pk_add_f32 v[2:3], v[2:3], v[6:7]
	v_pk_add_f32 v[2:3], v[46:47], v[2:3] neg_lo:[0,1] neg_hi:[0,1]
	buffer_store_dword v3, off, s[0:3], 0 offset:276
	buffer_store_dword v2, off, s[0:3], 0 offset:272
	s_and_saveexec_b64 s[4:5], vcc
	s_cbranch_execz .LBB112_241
; %bb.240:
	buffer_load_dword v2, off, s[0:3], 0 offset:264
	buffer_load_dword v3, off, s[0:3], 0 offset:268
	v_mov_b32_e32 v1, 0
	v_accvgpr_read_b32 v4, a24
	buffer_store_dword v1, off, s[0:3], 0 offset:264
	buffer_store_dword v1, off, s[0:3], 0 offset:268
	s_waitcnt vmcnt(2)
	ds_write_b64 v4, v[2:3]
.LBB112_241:
	s_or_b64 exec, exec, s[4:5]
	v_mov_b32_e32 v4, 0
	s_waitcnt lgkmcnt(0)
	; wave barrier
	s_waitcnt lgkmcnt(0)
	ds_read_b128 v[6:9], v4 offset:672
	ds_read_b128 v[10:13], v4 offset:688
	;; [unrolled: 1-line block ×4, first 2 shown]
	buffer_load_dword v2, off, s[0:3], 0 offset:264
	buffer_load_dword v3, off, s[0:3], 0 offset:268
	;; [unrolled: 1-line block ×32, first 2 shown]
	v_cmp_lt_u32_e32 vcc, 32, v0
	s_waitcnt vmcnt(28) lgkmcnt(3)
	v_mul_f32_e32 v23, v6, v5
	v_mul_f32_e32 v5, v7, v5
	v_fmac_f32_e32 v23, v7, v1
	s_waitcnt vmcnt(26)
	v_mul_f32_e32 v25, v8, v24
	v_fma_f32 v1, v6, v1, -v5
	v_mul_f32_e32 v5, v9, v24
	v_add_f32_e32 v23, 0, v23
	v_fmac_f32_e32 v25, v9, v22
	v_add_f32_e32 v1, 0, v1
	v_fma_f32 v5, v8, v22, -v5
	v_add_f32_e32 v23, v23, v25
	s_waitcnt vmcnt(24) lgkmcnt(2)
	v_mul_f32_e32 v25, v10, v44
	v_add_f32_e32 v1, v1, v5
	v_mul_f32_e32 v5, v11, v44
	v_fmac_f32_e32 v25, v11, v26
	v_fma_f32 v5, v10, v26, -v5
	v_add_f32_e32 v23, v23, v25
	s_waitcnt vmcnt(22)
	v_mul_f32_e32 v25, v12, v46
	v_add_f32_e32 v1, v1, v5
	v_mul_f32_e32 v5, v13, v46
	v_fmac_f32_e32 v25, v13, v45
	v_fma_f32 v5, v12, v45, -v5
	v_add_f32_e32 v23, v23, v25
	s_waitcnt vmcnt(20) lgkmcnt(1)
	v_mul_f32_e32 v25, v14, v48
	v_add_f32_e32 v1, v1, v5
	v_mul_f32_e32 v5, v15, v48
	v_fmac_f32_e32 v25, v15, v47
	v_fma_f32 v5, v14, v47, -v5
	v_add_f32_e32 v23, v23, v25
	s_waitcnt vmcnt(18)
	v_mul_f32_e32 v25, v16, v50
	v_add_f32_e32 v22, v1, v5
	v_mul_f32_e32 v1, v17, v50
	v_fmac_f32_e32 v25, v17, v49
	v_fma_f32 v24, v16, v49, -v1
	s_waitcnt vmcnt(16) lgkmcnt(0)
	v_mul_f32_e32 v27, v18, v52
	v_mul_f32_e32 v1, v19, v52
	v_pk_add_f32 v[22:23], v[22:23], v[24:25]
	s_waitcnt vmcnt(15)
	v_mov_b32_e32 v24, v29
	v_fmac_f32_e32 v27, v19, v51
	v_fma_f32 v26, v18, v51, -v1
	v_pk_mul_f32 v[24:25], v[20:21], v[24:25] op_sel_hi:[1,0]
	v_pk_add_f32 v[22:23], v[22:23], v[26:27]
	s_waitcnt vmcnt(14)
	v_pk_fma_f32 v[26:27], v[20:21], v[28:29], v[24:25] op_sel:[0,0,1] op_sel_hi:[1,1,0] neg_lo:[0,0,1] neg_hi:[0,0,1]
	v_pk_fma_f32 v[20:21], v[20:21], v[28:29], v[24:25] op_sel:[0,0,1] op_sel_hi:[1,0,0]
	ds_read_b128 v[6:9], v4 offset:736
	ds_read_b128 v[10:13], v4 offset:752
	;; [unrolled: 1-line block ×3, first 2 shown]
	ds_read_b64 v[18:19], v4 offset:784
	v_mov_b32_e32 v27, v21
	v_pk_add_f32 v[20:21], v[22:23], v[26:27]
	s_waitcnt vmcnt(13)
	v_mov_b32_e32 v22, v31
	s_waitcnt lgkmcnt(3)
	v_pk_mul_f32 v[22:23], v[6:7], v[22:23] op_sel_hi:[1,0]
	s_waitcnt vmcnt(12)
	v_pk_fma_f32 v[24:25], v[6:7], v[30:31], v[22:23] op_sel:[0,0,1] op_sel_hi:[1,1,0] neg_lo:[0,0,1] neg_hi:[0,0,1]
	v_pk_fma_f32 v[6:7], v[6:7], v[30:31], v[22:23] op_sel:[0,0,1] op_sel_hi:[1,0,0]
	v_mov_b32_e32 v25, v7
	v_pk_add_f32 v[6:7], v[20:21], v[24:25]
	s_waitcnt vmcnt(11)
	v_mov_b32_e32 v20, v33
	v_pk_mul_f32 v[20:21], v[8:9], v[20:21] op_sel_hi:[1,0]
	s_waitcnt vmcnt(10)
	v_pk_fma_f32 v[22:23], v[8:9], v[32:33], v[20:21] op_sel:[0,0,1] op_sel_hi:[1,1,0] neg_lo:[0,0,1] neg_hi:[0,0,1]
	v_pk_fma_f32 v[8:9], v[8:9], v[32:33], v[20:21] op_sel:[0,0,1] op_sel_hi:[1,0,0]
	s_waitcnt vmcnt(9)
	v_mov_b32_e32 v8, v35
	v_mov_b32_e32 v23, v9
	s_waitcnt lgkmcnt(2)
	v_pk_mul_f32 v[8:9], v[10:11], v[8:9] op_sel_hi:[1,0]
	s_waitcnt vmcnt(8)
	v_pk_fma_f32 v[20:21], v[10:11], v[34:35], v[8:9] op_sel:[0,0,1] op_sel_hi:[1,1,0] neg_lo:[0,0,1] neg_hi:[0,0,1]
	v_pk_fma_f32 v[8:9], v[10:11], v[34:35], v[8:9] op_sel:[0,0,1] op_sel_hi:[1,0,0]
	s_waitcnt vmcnt(7)
	v_mov_b32_e32 v8, v37
	v_mov_b32_e32 v21, v9
	v_pk_mul_f32 v[8:9], v[12:13], v[8:9] op_sel_hi:[1,0]
	s_waitcnt vmcnt(6)
	v_pk_fma_f32 v[10:11], v[12:13], v[36:37], v[8:9] op_sel:[0,0,1] op_sel_hi:[1,1,0] neg_lo:[0,0,1] neg_hi:[0,0,1]
	v_pk_fma_f32 v[8:9], v[12:13], v[36:37], v[8:9] op_sel:[0,0,1] op_sel_hi:[1,0,0]
	v_pk_add_f32 v[6:7], v[6:7], v[22:23]
	s_waitcnt vmcnt(5)
	v_mov_b32_e32 v8, v39
	v_pk_add_f32 v[6:7], v[6:7], v[20:21]
	v_mov_b32_e32 v11, v9
	s_waitcnt lgkmcnt(1)
	v_pk_mul_f32 v[8:9], v[14:15], v[8:9] op_sel_hi:[1,0]
	v_pk_add_f32 v[6:7], v[6:7], v[10:11]
	s_waitcnt vmcnt(4)
	v_pk_fma_f32 v[10:11], v[14:15], v[38:39], v[8:9] op_sel:[0,0,1] op_sel_hi:[1,1,0] neg_lo:[0,0,1] neg_hi:[0,0,1]
	v_pk_fma_f32 v[8:9], v[14:15], v[38:39], v[8:9] op_sel:[0,0,1] op_sel_hi:[1,0,0]
	s_waitcnt vmcnt(3)
	v_mov_b32_e32 v8, v41
	v_mov_b32_e32 v11, v9
	v_pk_mul_f32 v[8:9], v[16:17], v[8:9] op_sel_hi:[1,0]
	v_pk_add_f32 v[6:7], v[6:7], v[10:11]
	s_waitcnt vmcnt(2)
	v_pk_fma_f32 v[10:11], v[16:17], v[40:41], v[8:9] op_sel:[0,0,1] op_sel_hi:[1,1,0] neg_lo:[0,0,1] neg_hi:[0,0,1]
	v_pk_fma_f32 v[8:9], v[16:17], v[40:41], v[8:9] op_sel:[0,0,1] op_sel_hi:[1,0,0]
	s_waitcnt vmcnt(1)
	v_mov_b32_e32 v8, v43
	v_mov_b32_e32 v11, v9
	s_waitcnt lgkmcnt(0)
	v_pk_mul_f32 v[8:9], v[18:19], v[8:9] op_sel_hi:[1,0]
	v_pk_add_f32 v[6:7], v[6:7], v[10:11]
	s_waitcnt vmcnt(0)
	v_pk_fma_f32 v[10:11], v[18:19], v[42:43], v[8:9] op_sel:[0,0,1] op_sel_hi:[1,1,0] neg_lo:[0,0,1] neg_hi:[0,0,1]
	v_pk_fma_f32 v[8:9], v[18:19], v[42:43], v[8:9] op_sel:[0,0,1] op_sel_hi:[1,0,0]
	v_mov_b32_e32 v11, v9
	v_pk_add_f32 v[6:7], v[6:7], v[10:11]
	v_pk_add_f32 v[2:3], v[2:3], v[6:7] neg_lo:[0,1] neg_hi:[0,1]
	buffer_store_dword v3, off, s[0:3], 0 offset:268
	buffer_store_dword v2, off, s[0:3], 0 offset:264
	s_and_saveexec_b64 s[4:5], vcc
	s_cbranch_execz .LBB112_243
; %bb.242:
	buffer_load_dword v2, off, s[0:3], 0 offset:256
	buffer_load_dword v3, off, s[0:3], 0 offset:260
	v_accvgpr_read_b32 v1, a24
	buffer_store_dword v4, off, s[0:3], 0 offset:256
	buffer_store_dword v4, off, s[0:3], 0 offset:260
	s_waitcnt vmcnt(2)
	ds_write_b64 v1, v[2:3]
.LBB112_243:
	s_or_b64 exec, exec, s[4:5]
	s_waitcnt lgkmcnt(0)
	; wave barrier
	s_waitcnt lgkmcnt(0)
	ds_read2_b64 v[6:9], v4 offset0:83 offset1:84
	buffer_load_dword v2, off, s[0:3], 0 offset:256
	buffer_load_dword v3, off, s[0:3], 0 offset:260
	;; [unrolled: 1-line block ×16, first 2 shown]
	v_cmp_lt_u32_e32 vcc, 31, v0
	s_waitcnt vmcnt(12) lgkmcnt(0)
	v_mul_f32_e32 v10, v6, v5
	v_fmac_f32_e32 v10, v7, v1
	s_waitcnt vmcnt(10)
	v_mul_f32_e32 v11, v8, v28
	v_add_f32_e32 v10, 0, v10
	v_fmac_f32_e32 v11, v9, v26
	v_add_f32_e32 v14, v10, v11
	ds_read2_b64 v[10:13], v4 offset0:85 offset1:86
	v_mul_f32_e32 v5, v7, v5
	v_fma_f32 v1, v6, v1, -v5
	v_mul_f32_e32 v5, v9, v28
	v_add_f32_e32 v1, 0, v1
	s_waitcnt vmcnt(8) lgkmcnt(0)
	v_mul_f32_e32 v15, v10, v48
	v_fmac_f32_e32 v15, v11, v30
	v_add_f32_e32 v14, v14, v15
	s_waitcnt vmcnt(6)
	v_mul_f32_e32 v15, v12, v50
	v_fmac_f32_e32 v15, v13, v49
	v_add_f32_e32 v18, v14, v15
	ds_read2_b64 v[14:17], v4 offset0:87 offset1:88
	v_fma_f32 v5, v8, v26, -v5
	v_add_f32_e32 v1, v1, v5
	v_mul_f32_e32 v5, v11, v48
	v_fma_f32 v5, v10, v30, -v5
	s_waitcnt vmcnt(4) lgkmcnt(0)
	v_mul_f32_e32 v19, v14, v52
	v_fmac_f32_e32 v19, v15, v51
	v_add_f32_e32 v18, v18, v19
	s_waitcnt vmcnt(2)
	v_mul_f32_e32 v19, v16, v54
	v_fmac_f32_e32 v19, v17, v53
	v_add_f32_e32 v27, v18, v19
	ds_read2_b64 v[18:21], v4 offset0:89 offset1:90
	buffer_load_dword v57, off, s[0:3], 0 offset:320
	buffer_load_dword v58, off, s[0:3], 0 offset:324
	;; [unrolled: 1-line block ×4, first 2 shown]
	ds_read2_b64 v[22:25], v4 offset0:91 offset1:92
	buffer_load_dword v35, off, s[0:3], 0 offset:340
	buffer_load_dword v34, off, s[0:3], 0 offset:336
	;; [unrolled: 1-line block ×14, first 2 shown]
	v_add_f32_e32 v1, v1, v5
	v_mul_f32_e32 v5, v13, v50
	v_fma_f32 v5, v12, v49, -v5
	v_add_f32_e32 v1, v1, v5
	v_mul_f32_e32 v5, v15, v52
	v_fma_f32 v5, v14, v51, -v5
	;; [unrolled: 3-line block ×3, first 2 shown]
	v_add_f32_e32 v26, v1, v5
	s_waitcnt vmcnt(18) lgkmcnt(1)
	v_mul_f32_e32 v1, v19, v56
	v_mul_f32_e32 v29, v18, v56
	v_fma_f32 v28, v18, v55, -v1
	v_fmac_f32_e32 v29, v19, v55
	ds_read2_b64 v[6:9], v4 offset0:93 offset1:94
	ds_read2_b64 v[10:13], v4 offset0:95 offset1:96
	;; [unrolled: 1-line block ×3, first 2 shown]
	v_pk_add_f32 v[4:5], v[26:27], v[28:29]
	s_waitcnt vmcnt(15)
	v_mov_b32_e32 v18, v33
	v_mul_f32_e32 v31, v20, v58
	v_mul_f32_e32 v1, v21, v58
	s_waitcnt lgkmcnt(3)
	v_pk_mul_f32 v[18:19], v[22:23], v[18:19] op_sel_hi:[1,0]
	v_fmac_f32_e32 v31, v21, v57
	v_fma_f32 v30, v20, v57, -v1
	s_waitcnt vmcnt(14)
	v_pk_fma_f32 v[20:21], v[22:23], v[32:33], v[18:19] op_sel:[0,0,1] op_sel_hi:[1,1,0] neg_lo:[0,0,1] neg_hi:[0,0,1]
	v_pk_fma_f32 v[18:19], v[22:23], v[32:33], v[18:19] op_sel:[0,0,1] op_sel_hi:[1,0,0]
	s_waitcnt vmcnt(13)
	v_mov_b32_e32 v18, v35
	v_pk_add_f32 v[4:5], v[4:5], v[30:31]
	v_mov_b32_e32 v21, v19
	v_pk_mul_f32 v[18:19], v[24:25], v[18:19] op_sel_hi:[1,0]
	v_pk_add_f32 v[4:5], v[4:5], v[20:21]
	s_waitcnt vmcnt(12)
	v_pk_fma_f32 v[20:21], v[24:25], v[34:35], v[18:19] op_sel:[0,0,1] op_sel_hi:[1,1,0] neg_lo:[0,0,1] neg_hi:[0,0,1]
	v_pk_fma_f32 v[18:19], v[24:25], v[34:35], v[18:19] op_sel:[0,0,1] op_sel_hi:[1,0,0]
	s_waitcnt vmcnt(11)
	v_mov_b32_e32 v18, v37
	v_mov_b32_e32 v21, v19
	s_waitcnt lgkmcnt(2)
	v_pk_mul_f32 v[18:19], v[6:7], v[18:19] op_sel_hi:[1,0]
	v_pk_add_f32 v[4:5], v[4:5], v[20:21]
	s_waitcnt vmcnt(10)
	v_pk_fma_f32 v[20:21], v[6:7], v[36:37], v[18:19] op_sel:[0,0,1] op_sel_hi:[1,1,0] neg_lo:[0,0,1] neg_hi:[0,0,1]
	v_pk_fma_f32 v[6:7], v[6:7], v[36:37], v[18:19] op_sel:[0,0,1] op_sel_hi:[1,0,0]
	s_waitcnt vmcnt(9)
	v_mov_b32_e32 v6, v39
	v_mov_b32_e32 v21, v7
	v_pk_mul_f32 v[6:7], v[8:9], v[6:7] op_sel_hi:[1,0]
	s_waitcnt vmcnt(8)
	v_pk_fma_f32 v[18:19], v[8:9], v[38:39], v[6:7] op_sel:[0,0,1] op_sel_hi:[1,1,0] neg_lo:[0,0,1] neg_hi:[0,0,1]
	v_pk_fma_f32 v[6:7], v[8:9], v[38:39], v[6:7] op_sel:[0,0,1] op_sel_hi:[1,0,0]
	s_waitcnt vmcnt(7)
	v_mov_b32_e32 v6, v41
	v_mov_b32_e32 v19, v7
	s_waitcnt lgkmcnt(1)
	v_pk_mul_f32 v[6:7], v[10:11], v[6:7] op_sel_hi:[1,0]
	s_waitcnt vmcnt(6)
	v_pk_fma_f32 v[8:9], v[10:11], v[40:41], v[6:7] op_sel:[0,0,1] op_sel_hi:[1,1,0] neg_lo:[0,0,1] neg_hi:[0,0,1]
	v_pk_fma_f32 v[6:7], v[10:11], v[40:41], v[6:7] op_sel:[0,0,1] op_sel_hi:[1,0,0]
	v_pk_add_f32 v[4:5], v[4:5], v[20:21]
	s_waitcnt vmcnt(5)
	v_mov_b32_e32 v6, v43
	v_pk_add_f32 v[4:5], v[4:5], v[18:19]
	v_mov_b32_e32 v9, v7
	v_pk_mul_f32 v[6:7], v[12:13], v[6:7] op_sel_hi:[1,0]
	v_pk_add_f32 v[4:5], v[4:5], v[8:9]
	s_waitcnt vmcnt(4)
	v_pk_fma_f32 v[8:9], v[12:13], v[42:43], v[6:7] op_sel:[0,0,1] op_sel_hi:[1,1,0] neg_lo:[0,0,1] neg_hi:[0,0,1]
	v_pk_fma_f32 v[6:7], v[12:13], v[42:43], v[6:7] op_sel:[0,0,1] op_sel_hi:[1,0,0]
	s_waitcnt vmcnt(3)
	v_mov_b32_e32 v6, v45
	v_mov_b32_e32 v9, v7
	s_waitcnt lgkmcnt(0)
	v_pk_mul_f32 v[6:7], v[14:15], v[6:7] op_sel_hi:[1,0]
	v_pk_add_f32 v[4:5], v[4:5], v[8:9]
	s_waitcnt vmcnt(2)
	v_pk_fma_f32 v[8:9], v[14:15], v[44:45], v[6:7] op_sel:[0,0,1] op_sel_hi:[1,1,0] neg_lo:[0,0,1] neg_hi:[0,0,1]
	v_pk_fma_f32 v[6:7], v[14:15], v[44:45], v[6:7] op_sel:[0,0,1] op_sel_hi:[1,0,0]
	s_waitcnt vmcnt(1)
	v_mov_b32_e32 v6, v47
	v_mov_b32_e32 v9, v7
	v_pk_mul_f32 v[6:7], v[16:17], v[6:7] op_sel_hi:[1,0]
	v_pk_add_f32 v[4:5], v[4:5], v[8:9]
	s_waitcnt vmcnt(0)
	v_pk_fma_f32 v[8:9], v[16:17], v[46:47], v[6:7] op_sel:[0,0,1] op_sel_hi:[1,1,0] neg_lo:[0,0,1] neg_hi:[0,0,1]
	v_pk_fma_f32 v[6:7], v[16:17], v[46:47], v[6:7] op_sel:[0,0,1] op_sel_hi:[1,0,0]
	v_mov_b32_e32 v9, v7
	v_pk_add_f32 v[4:5], v[4:5], v[8:9]
	v_pk_add_f32 v[2:3], v[2:3], v[4:5] neg_lo:[0,1] neg_hi:[0,1]
	buffer_store_dword v3, off, s[0:3], 0 offset:260
	buffer_store_dword v2, off, s[0:3], 0 offset:256
	s_and_saveexec_b64 s[4:5], vcc
	s_cbranch_execz .LBB112_245
; %bb.244:
	buffer_load_dword v2, off, s[0:3], 0 offset:248
	buffer_load_dword v3, off, s[0:3], 0 offset:252
	v_mov_b32_e32 v1, 0
	v_accvgpr_read_b32 v4, a24
	buffer_store_dword v1, off, s[0:3], 0 offset:248
	buffer_store_dword v1, off, s[0:3], 0 offset:252
	s_waitcnt vmcnt(2)
	ds_write_b64 v4, v[2:3]
.LBB112_245:
	s_or_b64 exec, exec, s[4:5]
	v_mov_b32_e32 v4, 0
	s_waitcnt lgkmcnt(0)
	; wave barrier
	s_waitcnt lgkmcnt(0)
	ds_read_b128 v[6:9], v4 offset:656
	ds_read_b128 v[10:13], v4 offset:672
	;; [unrolled: 1-line block ×4, first 2 shown]
	buffer_load_dword v2, off, s[0:3], 0 offset:248
	buffer_load_dword v3, off, s[0:3], 0 offset:252
	;; [unrolled: 1-line block ×18, first 2 shown]
	v_cmp_lt_u32_e32 vcc, 30, v0
	s_waitcnt vmcnt(14) lgkmcnt(3)
	v_mul_f32_e32 v22, v6, v5
	v_fmac_f32_e32 v22, v7, v1
	s_waitcnt vmcnt(12)
	v_mul_f32_e32 v23, v8, v28
	v_add_f32_e32 v22, 0, v22
	v_fmac_f32_e32 v23, v9, v26
	v_add_f32_e32 v22, v22, v23
	s_waitcnt vmcnt(10) lgkmcnt(2)
	v_mul_f32_e32 v23, v10, v48
	v_fmac_f32_e32 v23, v11, v30
	v_add_f32_e32 v22, v22, v23
	s_waitcnt vmcnt(8)
	v_mul_f32_e32 v23, v12, v50
	v_fmac_f32_e32 v23, v13, v49
	v_add_f32_e32 v22, v22, v23
	s_waitcnt vmcnt(6) lgkmcnt(1)
	v_mul_f32_e32 v23, v14, v52
	v_fmac_f32_e32 v23, v15, v51
	v_add_f32_e32 v22, v22, v23
	s_waitcnt vmcnt(4)
	v_mul_f32_e32 v23, v16, v54
	v_fmac_f32_e32 v23, v17, v53
	v_add_f32_e32 v22, v22, v23
	s_waitcnt vmcnt(2) lgkmcnt(0)
	v_mul_f32_e32 v23, v18, v56
	v_fmac_f32_e32 v23, v19, v55
	v_add_f32_e32 v27, v22, v23
	ds_read_b128 v[22:25], v4 offset:720
	buffer_load_dword v59, off, s[0:3], 0 offset:320
	buffer_load_dword v60, off, s[0:3], 0 offset:324
	;; [unrolled: 1-line block ×18, first 2 shown]
	v_mul_f32_e32 v5, v7, v5
	v_fma_f32 v1, v6, v1, -v5
	v_mul_f32_e32 v5, v9, v28
	v_add_f32_e32 v1, 0, v1
	v_fma_f32 v5, v8, v26, -v5
	v_add_f32_e32 v1, v1, v5
	v_mul_f32_e32 v5, v11, v48
	v_fma_f32 v5, v10, v30, -v5
	v_add_f32_e32 v1, v1, v5
	v_mul_f32_e32 v5, v13, v50
	v_fma_f32 v5, v12, v49, -v5
	v_add_f32_e32 v1, v1, v5
	v_mul_f32_e32 v5, v15, v52
	v_fma_f32 v5, v14, v51, -v5
	v_add_f32_e32 v1, v1, v5
	v_mul_f32_e32 v5, v17, v54
	v_fma_f32 v5, v16, v53, -v5
	v_add_f32_e32 v1, v1, v5
	v_mul_f32_e32 v5, v19, v56
	v_fma_f32 v5, v18, v55, -v5
	v_add_f32_e32 v26, v1, v5
	s_waitcnt vmcnt(18)
	v_mul_f32_e32 v1, v21, v58
	v_fma_f32 v28, v20, v57, -v1
	v_mul_f32_e32 v29, v20, v58
	v_fmac_f32_e32 v29, v21, v57
	ds_read_b128 v[6:9], v4 offset:736
	ds_read_b128 v[10:13], v4 offset:752
	;; [unrolled: 1-line block ×3, first 2 shown]
	ds_read_b64 v[18:19], v4 offset:784
	v_pk_add_f32 v[20:21], v[26:27], v[28:29]
	s_waitcnt vmcnt(16) lgkmcnt(4)
	v_mul_f32_e32 v1, v23, v60
	v_mul_f32_e32 v31, v22, v60
	v_fma_f32 v30, v22, v59, -v1
	s_waitcnt vmcnt(15)
	v_mov_b32_e32 v22, v33
	v_fmac_f32_e32 v31, v23, v59
	v_pk_mul_f32 v[22:23], v[24:25], v[22:23] op_sel_hi:[1,0]
	s_waitcnt vmcnt(14)
	v_pk_fma_f32 v[26:27], v[24:25], v[32:33], v[22:23] op_sel:[0,0,1] op_sel_hi:[1,1,0] neg_lo:[0,0,1] neg_hi:[0,0,1]
	v_pk_fma_f32 v[22:23], v[24:25], v[32:33], v[22:23] op_sel:[0,0,1] op_sel_hi:[1,0,0]
	s_waitcnt vmcnt(13)
	v_mov_b32_e32 v22, v35
	v_mov_b32_e32 v27, v23
	s_waitcnt lgkmcnt(3)
	v_pk_mul_f32 v[22:23], v[6:7], v[22:23] op_sel_hi:[1,0]
	v_pk_add_f32 v[20:21], v[20:21], v[30:31]
	s_waitcnt vmcnt(12)
	v_pk_fma_f32 v[24:25], v[6:7], v[34:35], v[22:23] op_sel:[0,0,1] op_sel_hi:[1,1,0] neg_lo:[0,0,1] neg_hi:[0,0,1]
	v_pk_fma_f32 v[6:7], v[6:7], v[34:35], v[22:23] op_sel:[0,0,1] op_sel_hi:[1,0,0]
	v_pk_add_f32 v[20:21], v[20:21], v[26:27]
	v_mov_b32_e32 v25, v7
	v_pk_add_f32 v[6:7], v[20:21], v[24:25]
	s_waitcnt vmcnt(11)
	v_mov_b32_e32 v20, v37
	v_pk_mul_f32 v[20:21], v[8:9], v[20:21] op_sel_hi:[1,0]
	s_waitcnt vmcnt(10)
	v_pk_fma_f32 v[22:23], v[8:9], v[36:37], v[20:21] op_sel:[0,0,1] op_sel_hi:[1,1,0] neg_lo:[0,0,1] neg_hi:[0,0,1]
	v_pk_fma_f32 v[8:9], v[8:9], v[36:37], v[20:21] op_sel:[0,0,1] op_sel_hi:[1,0,0]
	s_waitcnt vmcnt(9)
	v_mov_b32_e32 v8, v39
	v_mov_b32_e32 v23, v9
	s_waitcnt lgkmcnt(2)
	v_pk_mul_f32 v[8:9], v[10:11], v[8:9] op_sel_hi:[1,0]
	s_waitcnt vmcnt(8)
	v_pk_fma_f32 v[20:21], v[10:11], v[38:39], v[8:9] op_sel:[0,0,1] op_sel_hi:[1,1,0] neg_lo:[0,0,1] neg_hi:[0,0,1]
	v_pk_fma_f32 v[8:9], v[10:11], v[38:39], v[8:9] op_sel:[0,0,1] op_sel_hi:[1,0,0]
	s_waitcnt vmcnt(7)
	v_mov_b32_e32 v8, v41
	v_mov_b32_e32 v21, v9
	v_pk_mul_f32 v[8:9], v[12:13], v[8:9] op_sel_hi:[1,0]
	s_waitcnt vmcnt(6)
	v_pk_fma_f32 v[10:11], v[12:13], v[40:41], v[8:9] op_sel:[0,0,1] op_sel_hi:[1,1,0] neg_lo:[0,0,1] neg_hi:[0,0,1]
	v_pk_fma_f32 v[8:9], v[12:13], v[40:41], v[8:9] op_sel:[0,0,1] op_sel_hi:[1,0,0]
	v_pk_add_f32 v[6:7], v[6:7], v[22:23]
	s_waitcnt vmcnt(5)
	v_mov_b32_e32 v8, v43
	v_pk_add_f32 v[6:7], v[6:7], v[20:21]
	v_mov_b32_e32 v11, v9
	s_waitcnt lgkmcnt(1)
	v_pk_mul_f32 v[8:9], v[14:15], v[8:9] op_sel_hi:[1,0]
	v_pk_add_f32 v[6:7], v[6:7], v[10:11]
	s_waitcnt vmcnt(4)
	v_pk_fma_f32 v[10:11], v[14:15], v[42:43], v[8:9] op_sel:[0,0,1] op_sel_hi:[1,1,0] neg_lo:[0,0,1] neg_hi:[0,0,1]
	v_pk_fma_f32 v[8:9], v[14:15], v[42:43], v[8:9] op_sel:[0,0,1] op_sel_hi:[1,0,0]
	s_waitcnt vmcnt(3)
	v_mov_b32_e32 v8, v45
	v_mov_b32_e32 v11, v9
	v_pk_mul_f32 v[8:9], v[16:17], v[8:9] op_sel_hi:[1,0]
	v_pk_add_f32 v[6:7], v[6:7], v[10:11]
	s_waitcnt vmcnt(2)
	v_pk_fma_f32 v[10:11], v[16:17], v[44:45], v[8:9] op_sel:[0,0,1] op_sel_hi:[1,1,0] neg_lo:[0,0,1] neg_hi:[0,0,1]
	v_pk_fma_f32 v[8:9], v[16:17], v[44:45], v[8:9] op_sel:[0,0,1] op_sel_hi:[1,0,0]
	s_waitcnt vmcnt(1)
	v_mov_b32_e32 v8, v47
	v_mov_b32_e32 v11, v9
	s_waitcnt lgkmcnt(0)
	v_pk_mul_f32 v[8:9], v[18:19], v[8:9] op_sel_hi:[1,0]
	v_pk_add_f32 v[6:7], v[6:7], v[10:11]
	s_waitcnt vmcnt(0)
	v_pk_fma_f32 v[10:11], v[18:19], v[46:47], v[8:9] op_sel:[0,0,1] op_sel_hi:[1,1,0] neg_lo:[0,0,1] neg_hi:[0,0,1]
	v_pk_fma_f32 v[8:9], v[18:19], v[46:47], v[8:9] op_sel:[0,0,1] op_sel_hi:[1,0,0]
	v_mov_b32_e32 v11, v9
	v_pk_add_f32 v[6:7], v[6:7], v[10:11]
	v_pk_add_f32 v[2:3], v[2:3], v[6:7] neg_lo:[0,1] neg_hi:[0,1]
	buffer_store_dword v3, off, s[0:3], 0 offset:252
	buffer_store_dword v2, off, s[0:3], 0 offset:248
	s_and_saveexec_b64 s[4:5], vcc
	s_cbranch_execz .LBB112_247
; %bb.246:
	buffer_load_dword v2, off, s[0:3], 0 offset:240
	buffer_load_dword v3, off, s[0:3], 0 offset:244
	v_accvgpr_read_b32 v1, a24
	buffer_store_dword v4, off, s[0:3], 0 offset:240
	buffer_store_dword v4, off, s[0:3], 0 offset:244
	s_waitcnt vmcnt(2)
	ds_write_b64 v1, v[2:3]
.LBB112_247:
	s_or_b64 exec, exec, s[4:5]
	s_waitcnt lgkmcnt(0)
	; wave barrier
	s_waitcnt lgkmcnt(0)
	ds_read2_b64 v[6:9], v4 offset0:81 offset1:82
	buffer_load_dword v2, off, s[0:3], 0 offset:240
	buffer_load_dword v3, off, s[0:3], 0 offset:244
	;; [unrolled: 1-line block ×16, first 2 shown]
	v_cmp_lt_u32_e32 vcc, 29, v0
	s_waitcnt vmcnt(12) lgkmcnt(0)
	v_mul_f32_e32 v10, v6, v5
	v_fmac_f32_e32 v10, v7, v1
	s_waitcnt vmcnt(10)
	v_mul_f32_e32 v11, v8, v32
	v_add_f32_e32 v10, 0, v10
	v_fmac_f32_e32 v11, v9, v30
	v_add_f32_e32 v14, v10, v11
	ds_read2_b64 v[10:13], v4 offset0:83 offset1:84
	v_mul_f32_e32 v5, v7, v5
	v_fma_f32 v1, v6, v1, -v5
	v_mul_f32_e32 v5, v9, v32
	v_add_f32_e32 v1, 0, v1
	s_waitcnt vmcnt(8) lgkmcnt(0)
	v_mul_f32_e32 v15, v10, v52
	v_fmac_f32_e32 v15, v11, v34
	v_add_f32_e32 v14, v14, v15
	s_waitcnt vmcnt(6)
	v_mul_f32_e32 v15, v12, v54
	v_fmac_f32_e32 v15, v13, v53
	v_add_f32_e32 v18, v14, v15
	ds_read2_b64 v[14:17], v4 offset0:85 offset1:86
	v_fma_f32 v5, v8, v30, -v5
	v_add_f32_e32 v1, v1, v5
	v_mul_f32_e32 v5, v11, v52
	v_fma_f32 v5, v10, v34, -v5
	s_waitcnt vmcnt(4) lgkmcnt(0)
	v_mul_f32_e32 v19, v14, v56
	v_fmac_f32_e32 v19, v15, v55
	v_add_f32_e32 v18, v18, v19
	s_waitcnt vmcnt(2)
	v_mul_f32_e32 v19, v16, v58
	v_fmac_f32_e32 v19, v17, v57
	v_add_f32_e32 v22, v18, v19
	ds_read2_b64 v[18:21], v4 offset0:87 offset1:88
	buffer_load_dword v61, off, s[0:3], 0 offset:304
	buffer_load_dword v62, off, s[0:3], 0 offset:308
	v_add_f32_e32 v1, v1, v5
	v_mul_f32_e32 v5, v13, v54
	v_fma_f32 v5, v12, v53, -v5
	s_waitcnt vmcnt(2) lgkmcnt(0)
	v_mul_f32_e32 v23, v18, v60
	v_fmac_f32_e32 v23, v19, v59
	v_add_f32_e32 v22, v22, v23
	v_add_f32_e32 v1, v1, v5
	v_mul_f32_e32 v5, v15, v56
	v_fma_f32 v5, v14, v55, -v5
	v_add_f32_e32 v1, v1, v5
	v_mul_f32_e32 v5, v17, v58
	v_fma_f32 v5, v16, v57, -v5
	;; [unrolled: 3-line block ×3, first 2 shown]
	v_add_f32_e32 v1, v1, v5
	s_waitcnt vmcnt(0)
	v_mul_f32_e32 v23, v20, v62
	v_fmac_f32_e32 v23, v21, v61
	v_add_f32_e32 v31, v22, v23
	ds_read2_b64 v[22:25], v4 offset0:89 offset1:90
	buffer_load_dword v63, off, s[0:3], 0 offset:312
	buffer_load_dword v64, off, s[0:3], 0 offset:316
	;; [unrolled: 1-line block ×6, first 2 shown]
	ds_read2_b64 v[26:29], v4 offset0:91 offset1:92
	buffer_load_dword v39, off, s[0:3], 0 offset:340
	buffer_load_dword v38, off, s[0:3], 0 offset:336
	;; [unrolled: 1-line block ×14, first 2 shown]
	v_mul_f32_e32 v5, v21, v62
	v_fma_f32 v5, v20, v61, -v5
	v_add_f32_e32 v30, v1, v5
	ds_read2_b64 v[6:9], v4 offset0:93 offset1:94
	ds_read2_b64 v[10:13], v4 offset0:95 offset1:96
	;; [unrolled: 1-line block ×3, first 2 shown]
	s_waitcnt vmcnt(18) lgkmcnt(4)
	v_mul_f32_e32 v33, v22, v64
	s_waitcnt vmcnt(15)
	v_mov_b32_e32 v18, v37
	v_mul_f32_e32 v1, v23, v64
	s_waitcnt lgkmcnt(3)
	v_pk_mul_f32 v[18:19], v[26:27], v[18:19] op_sel_hi:[1,0]
	v_fmac_f32_e32 v33, v23, v63
	v_mul_f32_e32 v35, v24, v66
	v_fma_f32 v32, v22, v63, -v1
	v_mul_f32_e32 v1, v25, v66
	s_waitcnt vmcnt(14)
	v_pk_fma_f32 v[20:21], v[26:27], v[36:37], v[18:19] op_sel:[0,0,1] op_sel_hi:[1,1,0] neg_lo:[0,0,1] neg_hi:[0,0,1]
	v_pk_fma_f32 v[18:19], v[26:27], v[36:37], v[18:19] op_sel:[0,0,1] op_sel_hi:[1,0,0]
	v_fmac_f32_e32 v35, v25, v65
	v_fma_f32 v34, v24, v65, -v1
	v_pk_add_f32 v[4:5], v[30:31], v[32:33]
	s_waitcnt vmcnt(13)
	v_mov_b32_e32 v18, v39
	v_pk_add_f32 v[4:5], v[4:5], v[34:35]
	v_mov_b32_e32 v21, v19
	v_pk_mul_f32 v[18:19], v[28:29], v[18:19] op_sel_hi:[1,0]
	v_pk_add_f32 v[4:5], v[4:5], v[20:21]
	s_waitcnt vmcnt(12)
	v_pk_fma_f32 v[20:21], v[28:29], v[38:39], v[18:19] op_sel:[0,0,1] op_sel_hi:[1,1,0] neg_lo:[0,0,1] neg_hi:[0,0,1]
	v_pk_fma_f32 v[18:19], v[28:29], v[38:39], v[18:19] op_sel:[0,0,1] op_sel_hi:[1,0,0]
	s_waitcnt vmcnt(11)
	v_mov_b32_e32 v18, v41
	v_mov_b32_e32 v21, v19
	s_waitcnt lgkmcnt(2)
	v_pk_mul_f32 v[18:19], v[6:7], v[18:19] op_sel_hi:[1,0]
	v_pk_add_f32 v[4:5], v[4:5], v[20:21]
	s_waitcnt vmcnt(10)
	v_pk_fma_f32 v[20:21], v[6:7], v[40:41], v[18:19] op_sel:[0,0,1] op_sel_hi:[1,1,0] neg_lo:[0,0,1] neg_hi:[0,0,1]
	v_pk_fma_f32 v[6:7], v[6:7], v[40:41], v[18:19] op_sel:[0,0,1] op_sel_hi:[1,0,0]
	s_waitcnt vmcnt(9)
	v_mov_b32_e32 v6, v43
	v_mov_b32_e32 v21, v7
	v_pk_mul_f32 v[6:7], v[8:9], v[6:7] op_sel_hi:[1,0]
	s_waitcnt vmcnt(8)
	v_pk_fma_f32 v[18:19], v[8:9], v[42:43], v[6:7] op_sel:[0,0,1] op_sel_hi:[1,1,0] neg_lo:[0,0,1] neg_hi:[0,0,1]
	v_pk_fma_f32 v[6:7], v[8:9], v[42:43], v[6:7] op_sel:[0,0,1] op_sel_hi:[1,0,0]
	s_waitcnt vmcnt(7)
	v_mov_b32_e32 v6, v45
	v_mov_b32_e32 v19, v7
	s_waitcnt lgkmcnt(1)
	v_pk_mul_f32 v[6:7], v[10:11], v[6:7] op_sel_hi:[1,0]
	s_waitcnt vmcnt(6)
	v_pk_fma_f32 v[8:9], v[10:11], v[44:45], v[6:7] op_sel:[0,0,1] op_sel_hi:[1,1,0] neg_lo:[0,0,1] neg_hi:[0,0,1]
	v_pk_fma_f32 v[6:7], v[10:11], v[44:45], v[6:7] op_sel:[0,0,1] op_sel_hi:[1,0,0]
	v_pk_add_f32 v[4:5], v[4:5], v[20:21]
	s_waitcnt vmcnt(5)
	v_mov_b32_e32 v6, v47
	v_pk_add_f32 v[4:5], v[4:5], v[18:19]
	v_mov_b32_e32 v9, v7
	v_pk_mul_f32 v[6:7], v[12:13], v[6:7] op_sel_hi:[1,0]
	v_pk_add_f32 v[4:5], v[4:5], v[8:9]
	s_waitcnt vmcnt(4)
	v_pk_fma_f32 v[8:9], v[12:13], v[46:47], v[6:7] op_sel:[0,0,1] op_sel_hi:[1,1,0] neg_lo:[0,0,1] neg_hi:[0,0,1]
	v_pk_fma_f32 v[6:7], v[12:13], v[46:47], v[6:7] op_sel:[0,0,1] op_sel_hi:[1,0,0]
	s_waitcnt vmcnt(3)
	v_mov_b32_e32 v6, v49
	v_mov_b32_e32 v9, v7
	s_waitcnt lgkmcnt(0)
	v_pk_mul_f32 v[6:7], v[14:15], v[6:7] op_sel_hi:[1,0]
	v_pk_add_f32 v[4:5], v[4:5], v[8:9]
	s_waitcnt vmcnt(2)
	v_pk_fma_f32 v[8:9], v[14:15], v[48:49], v[6:7] op_sel:[0,0,1] op_sel_hi:[1,1,0] neg_lo:[0,0,1] neg_hi:[0,0,1]
	v_pk_fma_f32 v[6:7], v[14:15], v[48:49], v[6:7] op_sel:[0,0,1] op_sel_hi:[1,0,0]
	s_waitcnt vmcnt(1)
	v_mov_b32_e32 v6, v51
	v_mov_b32_e32 v9, v7
	v_pk_mul_f32 v[6:7], v[16:17], v[6:7] op_sel_hi:[1,0]
	v_pk_add_f32 v[4:5], v[4:5], v[8:9]
	s_waitcnt vmcnt(0)
	v_pk_fma_f32 v[8:9], v[16:17], v[50:51], v[6:7] op_sel:[0,0,1] op_sel_hi:[1,1,0] neg_lo:[0,0,1] neg_hi:[0,0,1]
	v_pk_fma_f32 v[6:7], v[16:17], v[50:51], v[6:7] op_sel:[0,0,1] op_sel_hi:[1,0,0]
	v_mov_b32_e32 v9, v7
	v_pk_add_f32 v[4:5], v[4:5], v[8:9]
	v_pk_add_f32 v[2:3], v[2:3], v[4:5] neg_lo:[0,1] neg_hi:[0,1]
	buffer_store_dword v3, off, s[0:3], 0 offset:244
	buffer_store_dword v2, off, s[0:3], 0 offset:240
	s_and_saveexec_b64 s[4:5], vcc
	s_cbranch_execz .LBB112_249
; %bb.248:
	buffer_load_dword v2, off, s[0:3], 0 offset:232
	buffer_load_dword v3, off, s[0:3], 0 offset:236
	v_mov_b32_e32 v1, 0
	v_accvgpr_read_b32 v4, a24
	buffer_store_dword v1, off, s[0:3], 0 offset:232
	buffer_store_dword v1, off, s[0:3], 0 offset:236
	s_waitcnt vmcnt(2)
	ds_write_b64 v4, v[2:3]
.LBB112_249:
	s_or_b64 exec, exec, s[4:5]
	s_waitcnt lgkmcnt(0)
	; wave barrier
	s_waitcnt lgkmcnt(0)
	buffer_load_dword v44, off, s[0:3], 0 offset:244
	buffer_load_dword v46, off, s[0:3], 0 offset:252
	;; [unrolled: 1-line block ×40, first 2 shown]
	v_mov_b32_e32 v1, 0
	ds_read_b128 v[2:5], v1 offset:640
	ds_read_b128 v[6:9], v1 offset:656
	;; [unrolled: 1-line block ×6, first 2 shown]
	v_cmp_lt_u32_e32 vcc, 28, v0
	s_waitcnt vmcnt(39) lgkmcnt(5)
	v_mul_f32_e32 v68, v2, v44
	s_waitcnt vmcnt(38)
	v_mul_f32_e32 v69, v4, v46
	s_waitcnt vmcnt(37) lgkmcnt(4)
	v_mul_f32_e32 v70, v6, v48
	v_mul_f32_e32 v44, v3, v44
	;; [unrolled: 1-line block ×4, first 2 shown]
	s_waitcnt vmcnt(36)
	v_mul_f32_e32 v71, v8, v49
	s_waitcnt vmcnt(35) lgkmcnt(3)
	v_mul_f32_e32 v72, v10, v50
	s_waitcnt vmcnt(34)
	v_mul_f32_e32 v73, v12, v51
	s_waitcnt vmcnt(33) lgkmcnt(2)
	v_mul_f32_e32 v74, v14, v52
	s_waitcnt vmcnt(32)
	v_mul_f32_e32 v75, v16, v53
	s_waitcnt vmcnt(28)
	v_fmac_f32_e32 v68, v3, v57
	s_waitcnt vmcnt(27)
	v_fmac_f32_e32 v69, v5, v58
	v_fma_f32 v2, v2, v57, -v44
	v_fma_f32 v3, v4, v58, -v46
	s_waitcnt vmcnt(26)
	v_fma_f32 v4, v6, v59, -v48
	v_add_f32_e32 v6, 0, v68
	v_fmac_f32_e32 v70, v7, v59
	v_add_f32_e32 v2, 0, v2
	v_add_f32_e32 v6, v6, v69
	s_waitcnt vmcnt(25)
	v_fmac_f32_e32 v71, v9, v60
	v_add_f32_e32 v2, v2, v3
	v_add_f32_e32 v3, v6, v70
	s_waitcnt vmcnt(24)
	v_fmac_f32_e32 v72, v11, v61
	v_add_f32_e32 v3, v3, v71
	s_waitcnt vmcnt(23)
	v_fmac_f32_e32 v73, v13, v62
	;; [unrolled: 3-line block ×3, first 2 shown]
	v_add_f32_e32 v3, v3, v73
	s_waitcnt lgkmcnt(1)
	v_mul_f32_e32 v76, v18, v54
	s_waitcnt vmcnt(21)
	v_fmac_f32_e32 v75, v17, v64
	v_add_f32_e32 v3, v3, v74
	v_mul_f32_e32 v49, v9, v49
	s_waitcnt vmcnt(20)
	v_fmac_f32_e32 v76, v19, v65
	v_add_f32_e32 v3, v3, v75
	v_fma_f32 v5, v8, v60, -v49
	v_add_f32_e32 v2, v2, v4
	v_add_f32_e32 v49, v3, v76
	v_mul_f32_e32 v3, v11, v50
	v_add_f32_e32 v2, v2, v5
	v_fma_f32 v3, v10, v61, -v3
	v_add_f32_e32 v2, v2, v3
	v_mul_f32_e32 v3, v13, v51
	v_fma_f32 v3, v12, v62, -v3
	v_add_f32_e32 v2, v2, v3
	v_mul_f32_e32 v3, v15, v52
	v_fma_f32 v3, v14, v63, -v3
	v_add_f32_e32 v2, v2, v3
	v_mul_f32_e32 v3, v17, v53
	v_fma_f32 v3, v16, v64, -v3
	v_add_f32_e32 v2, v2, v3
	v_mul_f32_e32 v3, v19, v54
	v_fma_f32 v3, v18, v65, -v3
	v_add_f32_e32 v48, v2, v3
	v_mul_f32_e32 v2, v21, v55
	s_waitcnt vmcnt(9)
	v_mov_b32_e32 v18, v35
	v_mul_f32_e32 v45, v20, v55
	v_fma_f32 v44, v20, v66, -v2
	s_waitcnt lgkmcnt(0)
	v_mul_f32_e32 v2, v23, v56
	v_pk_mul_f32 v[18:19], v[24:25], v[18:19] op_sel_hi:[1,0]
	v_mul_f32_e32 v47, v22, v56
	v_fmac_f32_e32 v45, v21, v66
	v_fma_f32 v46, v22, v67, -v2
	ds_read_b128 v[2:5], v1 offset:736
	ds_read_b128 v[6:9], v1 offset:752
	;; [unrolled: 1-line block ×3, first 2 shown]
	ds_read_b64 v[14:15], v1 offset:784
	s_waitcnt vmcnt(8)
	v_pk_fma_f32 v[20:21], v[24:25], v[34:35], v[18:19] op_sel:[0,0,1] op_sel_hi:[1,1,0] neg_lo:[0,0,1] neg_hi:[0,0,1]
	v_pk_fma_f32 v[18:19], v[24:25], v[34:35], v[18:19] op_sel:[0,0,1] op_sel_hi:[1,0,0]
	v_fmac_f32_e32 v47, v23, v67
	v_pk_add_f32 v[16:17], v[48:49], v[44:45]
	v_mov_b32_e32 v18, v33
	v_pk_add_f32 v[16:17], v[16:17], v[46:47]
	v_mov_b32_e32 v21, v19
	s_waitcnt lgkmcnt(3)
	v_pk_mul_f32 v[18:19], v[2:3], v[18:19] op_sel_hi:[1,0]
	v_pk_add_f32 v[16:17], v[16:17], v[20:21]
	v_pk_fma_f32 v[20:21], v[2:3], v[32:33], v[18:19] op_sel:[0,0,1] op_sel_hi:[1,1,0] neg_lo:[0,0,1] neg_hi:[0,0,1]
	v_pk_fma_f32 v[2:3], v[2:3], v[32:33], v[18:19] op_sel:[0,0,1] op_sel_hi:[1,0,0]
	v_mov_b32_e32 v21, v3
	v_pk_add_f32 v[2:3], v[16:17], v[20:21]
	v_mov_b32_e32 v16, v31
	v_pk_mul_f32 v[16:17], v[4:5], v[16:17] op_sel_hi:[1,0]
	v_pk_fma_f32 v[18:19], v[4:5], v[30:31], v[16:17] op_sel:[0,0,1] op_sel_hi:[1,1,0] neg_lo:[0,0,1] neg_hi:[0,0,1]
	v_pk_fma_f32 v[4:5], v[4:5], v[30:31], v[16:17] op_sel:[0,0,1] op_sel_hi:[1,0,0]
	v_mov_b32_e32 v4, v29
	v_mov_b32_e32 v19, v5
	s_waitcnt lgkmcnt(2)
	v_pk_mul_f32 v[4:5], v[6:7], v[4:5] op_sel_hi:[1,0]
	v_pk_fma_f32 v[16:17], v[6:7], v[28:29], v[4:5] op_sel:[0,0,1] op_sel_hi:[1,1,0] neg_lo:[0,0,1] neg_hi:[0,0,1]
	v_pk_fma_f32 v[4:5], v[6:7], v[28:29], v[4:5] op_sel:[0,0,1] op_sel_hi:[1,0,0]
	s_waitcnt vmcnt(1)
	v_mov_b32_e32 v4, v43
	v_mov_b32_e32 v17, v5
	v_pk_mul_f32 v[4:5], v[8:9], v[4:5] op_sel_hi:[1,0]
	s_waitcnt vmcnt(0)
	v_pk_fma_f32 v[6:7], v[8:9], v[42:43], v[4:5] op_sel:[0,0,1] op_sel_hi:[1,1,0] neg_lo:[0,0,1] neg_hi:[0,0,1]
	v_pk_fma_f32 v[4:5], v[8:9], v[42:43], v[4:5] op_sel:[0,0,1] op_sel_hi:[1,0,0]
	v_pk_add_f32 v[2:3], v[2:3], v[18:19]
	v_mov_b32_e32 v4, v41
	v_pk_add_f32 v[2:3], v[2:3], v[16:17]
	v_mov_b32_e32 v7, v5
	s_waitcnt lgkmcnt(1)
	v_pk_mul_f32 v[4:5], v[10:11], v[4:5] op_sel_hi:[1,0]
	v_pk_add_f32 v[2:3], v[2:3], v[6:7]
	v_pk_fma_f32 v[6:7], v[10:11], v[40:41], v[4:5] op_sel:[0,0,1] op_sel_hi:[1,1,0] neg_lo:[0,0,1] neg_hi:[0,0,1]
	v_pk_fma_f32 v[4:5], v[10:11], v[40:41], v[4:5] op_sel:[0,0,1] op_sel_hi:[1,0,0]
	v_mov_b32_e32 v4, v39
	v_mov_b32_e32 v7, v5
	v_pk_mul_f32 v[4:5], v[12:13], v[4:5] op_sel_hi:[1,0]
	v_pk_add_f32 v[2:3], v[2:3], v[6:7]
	v_pk_fma_f32 v[6:7], v[12:13], v[38:39], v[4:5] op_sel:[0,0,1] op_sel_hi:[1,1,0] neg_lo:[0,0,1] neg_hi:[0,0,1]
	v_pk_fma_f32 v[4:5], v[12:13], v[38:39], v[4:5] op_sel:[0,0,1] op_sel_hi:[1,0,0]
	v_mov_b32_e32 v4, v37
	v_mov_b32_e32 v7, v5
	s_waitcnt lgkmcnt(0)
	v_pk_mul_f32 v[4:5], v[14:15], v[4:5] op_sel_hi:[1,0]
	v_pk_add_f32 v[2:3], v[2:3], v[6:7]
	v_pk_fma_f32 v[6:7], v[14:15], v[36:37], v[4:5] op_sel:[0,0,1] op_sel_hi:[1,1,0] neg_lo:[0,0,1] neg_hi:[0,0,1]
	v_pk_fma_f32 v[4:5], v[14:15], v[36:37], v[4:5] op_sel:[0,0,1] op_sel_hi:[1,0,0]
	v_mov_b32_e32 v7, v5
	v_pk_add_f32 v[2:3], v[2:3], v[6:7]
	v_pk_add_f32 v[2:3], v[26:27], v[2:3] neg_lo:[0,1] neg_hi:[0,1]
	buffer_store_dword v3, off, s[0:3], 0 offset:236
	buffer_store_dword v2, off, s[0:3], 0 offset:232
	s_and_saveexec_b64 s[4:5], vcc
	s_cbranch_execz .LBB112_251
; %bb.250:
	buffer_load_dword v2, off, s[0:3], 0 offset:224
	buffer_load_dword v3, off, s[0:3], 0 offset:228
	v_accvgpr_read_b32 v4, a24
	buffer_store_dword v1, off, s[0:3], 0 offset:224
	buffer_store_dword v1, off, s[0:3], 0 offset:228
	s_waitcnt vmcnt(2)
	ds_write_b64 v4, v[2:3]
.LBB112_251:
	s_or_b64 exec, exec, s[4:5]
	s_waitcnt lgkmcnt(0)
	; wave barrier
	s_waitcnt lgkmcnt(0)
	buffer_load_dword v44, off, s[0:3], 0 offset:236
	buffer_load_dword v46, off, s[0:3], 0 offset:244
	;; [unrolled: 1-line block ×26, first 2 shown]
	ds_read2_b64 v[2:5], v1 offset0:79 offset1:80
	ds_read2_b64 v[6:9], v1 offset0:81 offset1:82
	;; [unrolled: 1-line block ×6, first 2 shown]
	buffer_load_dword v29, off, s[0:3], 0 offset:348
	buffer_load_dword v28, off, s[0:3], 0 offset:344
	;; [unrolled: 1-line block ×16, first 2 shown]
	v_cmp_lt_u32_e32 vcc, 27, v0
	s_waitcnt vmcnt(41) lgkmcnt(5)
	v_mul_f32_e32 v70, v2, v44
	s_waitcnt vmcnt(40)
	v_mul_f32_e32 v71, v4, v46
	v_mul_f32_e32 v44, v3, v44
	s_waitcnt vmcnt(39) lgkmcnt(4)
	v_mul_f32_e32 v72, v6, v48
	v_mul_f32_e32 v46, v5, v46
	s_waitcnt vmcnt(38)
	v_mul_f32_e32 v73, v8, v50
	s_waitcnt vmcnt(37) lgkmcnt(3)
	v_mul_f32_e32 v74, v10, v51
	s_waitcnt vmcnt(36)
	v_mul_f32_e32 v75, v12, v52
	s_waitcnt vmcnt(35) lgkmcnt(2)
	v_mul_f32_e32 v76, v14, v53
	s_waitcnt vmcnt(34)
	v_mul_f32_e32 v77, v16, v54
	s_waitcnt vmcnt(33) lgkmcnt(1)
	v_mul_f32_e32 v176, v18, v55
	s_waitcnt vmcnt(32)
	v_mul_f32_e32 v177, v20, v56
	s_waitcnt vmcnt(29)
	v_fmac_f32_e32 v70, v3, v49
	s_waitcnt vmcnt(28)
	v_fmac_f32_e32 v71, v5, v59
	v_fma_f32 v2, v2, v49, -v44
	v_add_f32_e32 v5, 0, v70
	s_waitcnt vmcnt(27)
	v_fmac_f32_e32 v72, v7, v60
	v_fma_f32 v3, v4, v59, -v46
	v_add_f32_e32 v2, 0, v2
	v_add_f32_e32 v5, v5, v71
	s_waitcnt vmcnt(26)
	v_fmac_f32_e32 v73, v9, v61
	v_add_f32_e32 v2, v2, v3
	v_add_f32_e32 v3, v5, v72
	s_waitcnt vmcnt(25)
	v_fmac_f32_e32 v74, v11, v62
	v_add_f32_e32 v3, v3, v73
	s_waitcnt vmcnt(24)
	v_fmac_f32_e32 v75, v13, v63
	;; [unrolled: 3-line block ×5, first 2 shown]
	v_add_f32_e32 v3, v3, v77
	v_mul_f32_e32 v48, v7, v48
	s_waitcnt vmcnt(20)
	v_fmac_f32_e32 v177, v21, v67
	v_add_f32_e32 v3, v3, v176
	v_fma_f32 v4, v6, v60, -v48
	v_add_f32_e32 v49, v3, v177
	v_mul_f32_e32 v3, v9, v50
	v_add_f32_e32 v2, v2, v4
	v_fma_f32 v3, v8, v61, -v3
	v_add_f32_e32 v2, v2, v3
	v_mul_f32_e32 v3, v11, v51
	v_fma_f32 v3, v10, v62, -v3
	v_add_f32_e32 v2, v2, v3
	v_mul_f32_e32 v3, v13, v52
	;; [unrolled: 3-line block ×6, first 2 shown]
	v_fma_f32 v3, v20, v67, -v3
	v_add_f32_e32 v48, v2, v3
	s_waitcnt lgkmcnt(0)
	v_mul_f32_e32 v2, v23, v57
	s_waitcnt vmcnt(19)
	v_fma_f32 v44, v22, v68, -v2
	v_mul_f32_e32 v2, v25, v58
	s_waitcnt vmcnt(18)
	v_fma_f32 v46, v24, v69, -v2
	ds_read2_b64 v[2:5], v1 offset0:91 offset1:92
	ds_read2_b64 v[6:9], v1 offset0:93 offset1:94
	;; [unrolled: 1-line block ×4, first 2 shown]
	v_mul_f32_e32 v45, v22, v57
	s_waitcnt vmcnt(11)
	v_mov_b32_e32 v20, v33
	v_mul_f32_e32 v47, v24, v58
	v_fmac_f32_e32 v45, v23, v68
	s_waitcnt lgkmcnt(3)
	v_pk_mul_f32 v[20:21], v[2:3], v[20:21] op_sel_hi:[1,0]
	v_fmac_f32_e32 v47, v25, v69
	v_pk_add_f32 v[18:19], v[48:49], v[44:45]
	s_waitcnt vmcnt(10)
	v_pk_fma_f32 v[22:23], v[2:3], v[32:33], v[20:21] op_sel:[0,0,1] op_sel_hi:[1,1,0] neg_lo:[0,0,1] neg_hi:[0,0,1]
	v_pk_fma_f32 v[2:3], v[2:3], v[32:33], v[20:21] op_sel:[0,0,1] op_sel_hi:[1,0,0]
	v_pk_add_f32 v[18:19], v[18:19], v[46:47]
	v_mov_b32_e32 v23, v3
	v_pk_add_f32 v[2:3], v[18:19], v[22:23]
	v_mov_b32_e32 v18, v31
	v_pk_mul_f32 v[18:19], v[4:5], v[18:19] op_sel_hi:[1,0]
	v_pk_fma_f32 v[20:21], v[4:5], v[30:31], v[18:19] op_sel:[0,0,1] op_sel_hi:[1,1,0] neg_lo:[0,0,1] neg_hi:[0,0,1]
	v_pk_fma_f32 v[4:5], v[4:5], v[30:31], v[18:19] op_sel:[0,0,1] op_sel_hi:[1,0,0]
	v_mov_b32_e32 v4, v29
	v_mov_b32_e32 v21, v5
	s_waitcnt lgkmcnt(2)
	v_pk_mul_f32 v[4:5], v[6:7], v[4:5] op_sel_hi:[1,0]
	v_pk_fma_f32 v[18:19], v[6:7], v[28:29], v[4:5] op_sel:[0,0,1] op_sel_hi:[1,1,0] neg_lo:[0,0,1] neg_hi:[0,0,1]
	v_pk_fma_f32 v[4:5], v[6:7], v[28:29], v[4:5] op_sel:[0,0,1] op_sel_hi:[1,0,0]
	s_waitcnt vmcnt(3)
	v_mov_b32_e32 v4, v41
	v_mov_b32_e32 v19, v5
	v_pk_mul_f32 v[4:5], v[8:9], v[4:5] op_sel_hi:[1,0]
	s_waitcnt vmcnt(2)
	v_pk_fma_f32 v[6:7], v[8:9], v[40:41], v[4:5] op_sel:[0,0,1] op_sel_hi:[1,1,0] neg_lo:[0,0,1] neg_hi:[0,0,1]
	v_pk_fma_f32 v[4:5], v[8:9], v[40:41], v[4:5] op_sel:[0,0,1] op_sel_hi:[1,0,0]
	v_pk_add_f32 v[2:3], v[2:3], v[20:21]
	v_mov_b32_e32 v4, v39
	v_pk_add_f32 v[2:3], v[2:3], v[18:19]
	v_mov_b32_e32 v7, v5
	s_waitcnt lgkmcnt(1)
	v_pk_mul_f32 v[4:5], v[10:11], v[4:5] op_sel_hi:[1,0]
	v_pk_add_f32 v[2:3], v[2:3], v[6:7]
	v_pk_fma_f32 v[6:7], v[10:11], v[38:39], v[4:5] op_sel:[0,0,1] op_sel_hi:[1,1,0] neg_lo:[0,0,1] neg_hi:[0,0,1]
	v_pk_fma_f32 v[4:5], v[10:11], v[38:39], v[4:5] op_sel:[0,0,1] op_sel_hi:[1,0,0]
	v_mov_b32_e32 v4, v37
	v_mov_b32_e32 v7, v5
	v_pk_mul_f32 v[4:5], v[12:13], v[4:5] op_sel_hi:[1,0]
	v_pk_add_f32 v[2:3], v[2:3], v[6:7]
	v_pk_fma_f32 v[6:7], v[12:13], v[36:37], v[4:5] op_sel:[0,0,1] op_sel_hi:[1,1,0] neg_lo:[0,0,1] neg_hi:[0,0,1]
	v_pk_fma_f32 v[4:5], v[12:13], v[36:37], v[4:5] op_sel:[0,0,1] op_sel_hi:[1,0,0]
	v_mov_b32_e32 v4, v35
	v_mov_b32_e32 v7, v5
	s_waitcnt lgkmcnt(0)
	v_pk_mul_f32 v[4:5], v[14:15], v[4:5] op_sel_hi:[1,0]
	v_pk_add_f32 v[2:3], v[2:3], v[6:7]
	v_pk_fma_f32 v[6:7], v[14:15], v[34:35], v[4:5] op_sel:[0,0,1] op_sel_hi:[1,1,0] neg_lo:[0,0,1] neg_hi:[0,0,1]
	v_pk_fma_f32 v[4:5], v[14:15], v[34:35], v[4:5] op_sel:[0,0,1] op_sel_hi:[1,0,0]
	s_waitcnt vmcnt(1)
	v_mov_b32_e32 v4, v43
	v_mov_b32_e32 v7, v5
	v_pk_mul_f32 v[4:5], v[16:17], v[4:5] op_sel_hi:[1,0]
	v_pk_add_f32 v[2:3], v[2:3], v[6:7]
	s_waitcnt vmcnt(0)
	v_pk_fma_f32 v[6:7], v[16:17], v[42:43], v[4:5] op_sel:[0,0,1] op_sel_hi:[1,1,0] neg_lo:[0,0,1] neg_hi:[0,0,1]
	v_pk_fma_f32 v[4:5], v[16:17], v[42:43], v[4:5] op_sel:[0,0,1] op_sel_hi:[1,0,0]
	v_mov_b32_e32 v7, v5
	v_pk_add_f32 v[2:3], v[2:3], v[6:7]
	v_pk_add_f32 v[2:3], v[26:27], v[2:3] neg_lo:[0,1] neg_hi:[0,1]
	buffer_store_dword v3, off, s[0:3], 0 offset:228
	buffer_store_dword v2, off, s[0:3], 0 offset:224
	s_and_saveexec_b64 s[4:5], vcc
	s_cbranch_execz .LBB112_253
; %bb.252:
	buffer_load_dword v2, off, s[0:3], 0 offset:216
	buffer_load_dword v3, off, s[0:3], 0 offset:220
	v_mov_b32_e32 v1, 0
	v_accvgpr_read_b32 v4, a24
	buffer_store_dword v1, off, s[0:3], 0 offset:216
	buffer_store_dword v1, off, s[0:3], 0 offset:220
	s_waitcnt vmcnt(2)
	ds_write_b64 v4, v[2:3]
.LBB112_253:
	s_or_b64 exec, exec, s[4:5]
	s_waitcnt lgkmcnt(0)
	; wave barrier
	s_waitcnt lgkmcnt(0)
	buffer_load_dword v1, off, s[0:3], 0 offset:228
	buffer_load_dword v3, off, s[0:3], 0 offset:236
	;; [unrolled: 1-line block ×44, first 2 shown]
	v_mov_b32_e32 v2, 0
	ds_read_b128 v[4:7], v2 offset:624
	ds_read_b128 v[8:11], v2 offset:640
	;; [unrolled: 1-line block ×8, first 2 shown]
	v_cmp_lt_u32_e32 vcc, 26, v0
	s_waitcnt vmcnt(43) lgkmcnt(7)
	v_mul_f32_e32 v59, v4, v1
	v_mul_f32_e32 v1, v5, v1
	s_waitcnt vmcnt(42)
	v_mul_f32_e32 v179, v6, v3
	v_mul_f32_e32 v3, v7, v3
	s_waitcnt vmcnt(41) lgkmcnt(6)
	v_mul_f32_e32 v180, v8, v54
	s_waitcnt vmcnt(40)
	v_mul_f32_e32 v181, v10, v56
	s_waitcnt vmcnt(39) lgkmcnt(5)
	v_mul_f32_e32 v182, v12, v58
	s_waitcnt vmcnt(38)
	v_mul_f32_e32 v183, v14, v60
	s_waitcnt vmcnt(37) lgkmcnt(4)
	v_mul_f32_e32 v184, v16, v61
	s_waitcnt vmcnt(36)
	v_mul_f32_e32 v185, v18, v62
	s_waitcnt vmcnt(35) lgkmcnt(3)
	v_mul_f32_e32 v186, v20, v63
	s_waitcnt vmcnt(34)
	v_mul_f32_e32 v187, v22, v64
	s_waitcnt vmcnt(33) lgkmcnt(2)
	v_mul_f32_e32 v188, v24, v65
	s_waitcnt vmcnt(30)
	v_fma_f32 v1, v4, v68, -v1
	v_add_f32_e32 v1, 0, v1
	s_waitcnt vmcnt(29)
	v_fma_f32 v3, v6, v69, -v3
	v_add_f32_e32 v1, v1, v3
	v_mul_f32_e32 v3, v9, v54
	s_waitcnt vmcnt(28)
	v_fma_f32 v3, v8, v70, -v3
	v_add_f32_e32 v1, v1, v3
	v_mul_f32_e32 v3, v11, v56
	;; [unrolled: 4-line block ×4, first 2 shown]
	s_waitcnt vmcnt(25)
	v_fma_f32 v3, v14, v73, -v3
	v_fmac_f32_e32 v59, v5, v68
	v_add_f32_e32 v1, v1, v3
	v_mul_f32_e32 v3, v17, v61
	v_fmac_f32_e32 v179, v7, v69
	v_add_f32_e32 v5, 0, v59
	s_waitcnt vmcnt(24)
	v_fma_f32 v3, v16, v74, -v3
	v_fmac_f32_e32 v180, v9, v70
	v_add_f32_e32 v5, v5, v179
	v_add_f32_e32 v1, v1, v3
	v_mul_f32_e32 v3, v19, v62
	v_fmac_f32_e32 v181, v11, v71
	v_add_f32_e32 v5, v5, v180
	s_waitcnt vmcnt(23)
	v_fma_f32 v3, v18, v75, -v3
	v_fmac_f32_e32 v182, v13, v72
	v_add_f32_e32 v5, v5, v181
	;; [unrolled: 8-line block ×4, first 2 shown]
	v_add_f32_e32 v1, v1, v3
	v_mul_f32_e32 v3, v25, v65
	v_fmac_f32_e32 v187, v23, v77
	v_add_f32_e32 v5, v5, v186
	s_waitcnt vmcnt(20)
	v_fma_f32 v3, v24, v176, -v3
	s_waitcnt vmcnt(13)
	v_mov_b32_e32 v16, v41
	v_mul_f32_e32 v55, v26, v66
	v_fmac_f32_e32 v188, v25, v176
	v_add_f32_e32 v5, v5, v187
	v_add_f32_e32 v58, v1, v3
	v_mul_f32_e32 v1, v27, v66
	s_waitcnt lgkmcnt(1)
	v_pk_mul_f32 v[16:17], v[30:31], v[16:17] op_sel_hi:[1,0]
	v_mul_f32_e32 v57, v28, v67
	v_fmac_f32_e32 v55, v27, v177
	v_add_f32_e32 v59, v5, v188
	v_fma_f32 v54, v26, v177, -v1
	v_mul_f32_e32 v1, v29, v67
	s_waitcnt vmcnt(12)
	v_pk_fma_f32 v[18:19], v[30:31], v[40:41], v[16:17] op_sel:[0,0,1] op_sel_hi:[1,1,0] neg_lo:[0,0,1] neg_hi:[0,0,1]
	v_pk_fma_f32 v[16:17], v[30:31], v[40:41], v[16:17] op_sel:[0,0,1] op_sel_hi:[1,0,0]
	v_fmac_f32_e32 v57, v29, v178
	v_fma_f32 v56, v28, v178, -v1
	v_pk_add_f32 v[14:15], v[58:59], v[54:55]
	v_mov_b32_e32 v16, v39
	v_pk_add_f32 v[14:15], v[14:15], v[56:57]
	v_mov_b32_e32 v19, v17
	s_waitcnt lgkmcnt(0)
	v_pk_mul_f32 v[16:17], v[32:33], v[16:17] op_sel_hi:[1,0]
	v_pk_add_f32 v[14:15], v[14:15], v[18:19]
	v_pk_fma_f32 v[18:19], v[32:33], v[38:39], v[16:17] op_sel:[0,0,1] op_sel_hi:[1,1,0] neg_lo:[0,0,1] neg_hi:[0,0,1]
	v_pk_fma_f32 v[16:17], v[32:33], v[38:39], v[16:17] op_sel:[0,0,1] op_sel_hi:[1,0,0]
	s_waitcnt vmcnt(5)
	v_mov_b32_e32 v16, v49
	ds_read_b128 v[4:7], v2 offset:752
	ds_read_b128 v[8:11], v2 offset:768
	ds_read_b64 v[12:13], v2 offset:784
	v_mov_b32_e32 v19, v17
	v_pk_mul_f32 v[16:17], v[34:35], v[16:17] op_sel_hi:[1,0]
	v_pk_add_f32 v[14:15], v[14:15], v[18:19]
	s_waitcnt vmcnt(4)
	v_pk_fma_f32 v[18:19], v[34:35], v[48:49], v[16:17] op_sel:[0,0,1] op_sel_hi:[1,1,0] neg_lo:[0,0,1] neg_hi:[0,0,1]
	v_pk_fma_f32 v[16:17], v[34:35], v[48:49], v[16:17] op_sel:[0,0,1] op_sel_hi:[1,0,0]
	v_mov_b32_e32 v16, v47
	v_mov_b32_e32 v19, v17
	s_waitcnt lgkmcnt(2)
	v_pk_mul_f32 v[16:17], v[4:5], v[16:17] op_sel_hi:[1,0]
	v_pk_add_f32 v[14:15], v[14:15], v[18:19]
	v_pk_fma_f32 v[18:19], v[4:5], v[46:47], v[16:17] op_sel:[0,0,1] op_sel_hi:[1,1,0] neg_lo:[0,0,1] neg_hi:[0,0,1]
	v_pk_fma_f32 v[4:5], v[4:5], v[46:47], v[16:17] op_sel:[0,0,1] op_sel_hi:[1,0,0]
	v_mov_b32_e32 v19, v5
	v_pk_add_f32 v[4:5], v[14:15], v[18:19]
	v_mov_b32_e32 v14, v45
	v_pk_mul_f32 v[14:15], v[6:7], v[14:15] op_sel_hi:[1,0]
	v_pk_fma_f32 v[16:17], v[6:7], v[44:45], v[14:15] op_sel:[0,0,1] op_sel_hi:[1,1,0] neg_lo:[0,0,1] neg_hi:[0,0,1]
	v_pk_fma_f32 v[6:7], v[6:7], v[44:45], v[14:15] op_sel:[0,0,1] op_sel_hi:[1,0,0]
	v_mov_b32_e32 v6, v43
	v_mov_b32_e32 v17, v7
	s_waitcnt lgkmcnt(1)
	v_pk_mul_f32 v[6:7], v[8:9], v[6:7] op_sel_hi:[1,0]
	v_pk_fma_f32 v[14:15], v[8:9], v[42:43], v[6:7] op_sel:[0,0,1] op_sel_hi:[1,1,0] neg_lo:[0,0,1] neg_hi:[0,0,1]
	v_pk_fma_f32 v[6:7], v[8:9], v[42:43], v[6:7] op_sel:[0,0,1] op_sel_hi:[1,0,0]
	s_waitcnt vmcnt(1)
	v_mov_b32_e32 v6, v53
	v_mov_b32_e32 v15, v7
	v_pk_mul_f32 v[6:7], v[10:11], v[6:7] op_sel_hi:[1,0]
	s_waitcnt vmcnt(0)
	v_pk_fma_f32 v[8:9], v[10:11], v[52:53], v[6:7] op_sel:[0,0,1] op_sel_hi:[1,1,0] neg_lo:[0,0,1] neg_hi:[0,0,1]
	v_pk_fma_f32 v[6:7], v[10:11], v[52:53], v[6:7] op_sel:[0,0,1] op_sel_hi:[1,0,0]
	v_pk_add_f32 v[4:5], v[4:5], v[16:17]
	v_mov_b32_e32 v6, v51
	v_pk_add_f32 v[4:5], v[4:5], v[14:15]
	v_mov_b32_e32 v9, v7
	s_waitcnt lgkmcnt(0)
	v_pk_mul_f32 v[6:7], v[12:13], v[6:7] op_sel_hi:[1,0]
	v_pk_add_f32 v[4:5], v[4:5], v[8:9]
	v_pk_fma_f32 v[8:9], v[12:13], v[50:51], v[6:7] op_sel:[0,0,1] op_sel_hi:[1,1,0] neg_lo:[0,0,1] neg_hi:[0,0,1]
	v_pk_fma_f32 v[6:7], v[12:13], v[50:51], v[6:7] op_sel:[0,0,1] op_sel_hi:[1,0,0]
	v_mov_b32_e32 v9, v7
	v_pk_add_f32 v[4:5], v[4:5], v[8:9]
	v_pk_add_f32 v[4:5], v[36:37], v[4:5] neg_lo:[0,1] neg_hi:[0,1]
	buffer_store_dword v5, off, s[0:3], 0 offset:220
	buffer_store_dword v4, off, s[0:3], 0 offset:216
	s_and_saveexec_b64 s[4:5], vcc
	s_cbranch_execz .LBB112_255
; %bb.254:
	buffer_load_dword v4, off, s[0:3], 0 offset:208
	buffer_load_dword v5, off, s[0:3], 0 offset:212
	v_accvgpr_read_b32 v1, a24
	buffer_store_dword v2, off, s[0:3], 0 offset:208
	buffer_store_dword v2, off, s[0:3], 0 offset:212
	s_waitcnt vmcnt(2)
	ds_write_b64 v1, v[4:5]
.LBB112_255:
	s_or_b64 exec, exec, s[4:5]
	s_waitcnt lgkmcnt(0)
	; wave barrier
	s_waitcnt lgkmcnt(0)
	buffer_load_dword v1, off, s[0:3], 0 offset:220
	buffer_load_dword v3, off, s[0:3], 0 offset:228
	;; [unrolled: 1-line block ×30, first 2 shown]
	ds_read2_b64 v[4:7], v2 offset0:77 offset1:78
	ds_read2_b64 v[8:11], v2 offset0:79 offset1:80
	;; [unrolled: 1-line block ×6, first 2 shown]
	buffer_load_dword v39, off, s[0:3], 0 offset:332
	buffer_load_dword v38, off, s[0:3], 0 offset:328
	ds_read2_b64 v[28:31], v2 offset0:89 offset1:90
	ds_read2_b64 v[32:35], v2 offset0:91 offset1:92
	buffer_load_dword v41, off, s[0:3], 0 offset:364
	buffer_load_dword v40, off, s[0:3], 0 offset:360
	buffer_load_dword v43, off, s[0:3], 0 offset:356
	buffer_load_dword v42, off, s[0:3], 0 offset:352
	buffer_load_dword v45, off, s[0:3], 0 offset:348
	buffer_load_dword v44, off, s[0:3], 0 offset:344
	buffer_load_dword v47, off, s[0:3], 0 offset:340
	buffer_load_dword v46, off, s[0:3], 0 offset:336
	buffer_load_dword v49, off, s[0:3], 0 offset:388
	buffer_load_dword v48, off, s[0:3], 0 offset:384
	buffer_load_dword v51, off, s[0:3], 0 offset:380
	buffer_load_dword v50, off, s[0:3], 0 offset:376
	buffer_load_dword v53, off, s[0:3], 0 offset:372
	buffer_load_dword v52, off, s[0:3], 0 offset:368
	v_cmp_lt_u32_e32 vcc, 25, v0
	s_waitcnt vmcnt(45) lgkmcnt(7)
	v_mul_f32_e32 v57, v4, v1
	v_mul_f32_e32 v1, v5, v1
	s_waitcnt vmcnt(44)
	v_mul_f32_e32 v59, v6, v3
	v_mul_f32_e32 v3, v7, v3
	s_waitcnt vmcnt(43) lgkmcnt(6)
	v_mul_f32_e32 v181, v8, v54
	s_waitcnt vmcnt(42)
	v_mul_f32_e32 v182, v10, v56
	s_waitcnt vmcnt(41) lgkmcnt(5)
	v_mul_f32_e32 v183, v12, v58
	s_waitcnt vmcnt(40)
	;; [unrolled: 4-line block ×5, first 2 shown]
	v_fma_f32 v1, v4, v68, -v1
	v_add_f32_e32 v1, 0, v1
	s_waitcnt vmcnt(31)
	v_fma_f32 v3, v6, v69, -v3
	v_add_f32_e32 v1, v1, v3
	v_mul_f32_e32 v3, v9, v54
	s_waitcnt vmcnt(30)
	v_fma_f32 v3, v8, v70, -v3
	v_add_f32_e32 v1, v1, v3
	v_mul_f32_e32 v3, v11, v56
	;; [unrolled: 4-line block ×5, first 2 shown]
	v_fmac_f32_e32 v57, v5, v68
	s_waitcnt vmcnt(26)
	v_fma_f32 v3, v16, v74, -v3
	v_fmac_f32_e32 v59, v7, v69
	v_add_f32_e32 v57, 0, v57
	v_add_f32_e32 v1, v1, v3
	v_mul_f32_e32 v3, v19, v62
	v_fmac_f32_e32 v181, v9, v70
	v_add_f32_e32 v57, v57, v59
	s_waitcnt vmcnt(25)
	v_fma_f32 v3, v18, v75, -v3
	v_fmac_f32_e32 v182, v11, v71
	v_add_f32_e32 v57, v57, v181
	v_add_f32_e32 v1, v1, v3
	v_mul_f32_e32 v3, v21, v63
	v_fmac_f32_e32 v183, v13, v72
	v_add_f32_e32 v57, v57, v182
	;; [unrolled: 8-line block ×4, first 2 shown]
	s_waitcnt vmcnt(22)
	v_fma_f32 v3, v24, v176, -v3
	v_fmac_f32_e32 v188, v23, v77
	v_add_f32_e32 v57, v57, v187
	v_add_f32_e32 v1, v1, v3
	v_mul_f32_e32 v3, v27, v66
	v_mul_f32_e32 v190, v26, v66
	v_fmac_f32_e32 v189, v25, v176
	v_add_f32_e32 v57, v57, v188
	s_waitcnt vmcnt(21)
	v_fma_f32 v3, v26, v177, -v3
	s_waitcnt vmcnt(15)
	v_mov_b32_e32 v16, v39
	s_waitcnt lgkmcnt(1)
	v_mul_f32_e32 v55, v28, v67
	v_fmac_f32_e32 v190, v27, v177
	v_add_f32_e32 v57, v57, v189
	v_add_f32_e32 v56, v1, v3
	v_mul_f32_e32 v1, v29, v67
	s_waitcnt lgkmcnt(0)
	v_pk_mul_f32 v[16:17], v[32:33], v[16:17] op_sel_hi:[1,0]
	v_fmac_f32_e32 v55, v29, v178
	v_add_f32_e32 v57, v57, v190
	v_mul_f32_e32 v59, v30, v179
	v_fma_f32 v54, v28, v178, -v1
	v_mul_f32_e32 v1, v31, v179
	s_waitcnt vmcnt(14)
	v_pk_fma_f32 v[18:19], v[32:33], v[38:39], v[16:17] op_sel:[0,0,1] op_sel_hi:[1,1,0] neg_lo:[0,0,1] neg_hi:[0,0,1]
	v_pk_fma_f32 v[16:17], v[32:33], v[38:39], v[16:17] op_sel:[0,0,1] op_sel_hi:[1,0,0]
	v_fmac_f32_e32 v59, v31, v180
	v_fma_f32 v58, v30, v180, -v1
	ds_read2_b64 v[4:7], v2 offset0:93 offset1:94
	ds_read2_b64 v[8:11], v2 offset0:95 offset1:96
	;; [unrolled: 1-line block ×3, first 2 shown]
	v_pk_add_f32 v[2:3], v[56:57], v[54:55]
	s_waitcnt vmcnt(7)
	v_mov_b32_e32 v16, v47
	v_pk_add_f32 v[2:3], v[2:3], v[58:59]
	v_mov_b32_e32 v19, v17
	v_pk_mul_f32 v[16:17], v[34:35], v[16:17] op_sel_hi:[1,0]
	v_pk_add_f32 v[2:3], v[2:3], v[18:19]
	s_waitcnt vmcnt(6)
	v_pk_fma_f32 v[18:19], v[34:35], v[46:47], v[16:17] op_sel:[0,0,1] op_sel_hi:[1,1,0] neg_lo:[0,0,1] neg_hi:[0,0,1]
	v_pk_fma_f32 v[16:17], v[34:35], v[46:47], v[16:17] op_sel:[0,0,1] op_sel_hi:[1,0,0]
	v_mov_b32_e32 v16, v45
	v_mov_b32_e32 v19, v17
	s_waitcnt lgkmcnt(2)
	v_pk_mul_f32 v[16:17], v[4:5], v[16:17] op_sel_hi:[1,0]
	v_pk_add_f32 v[2:3], v[2:3], v[18:19]
	v_pk_fma_f32 v[18:19], v[4:5], v[44:45], v[16:17] op_sel:[0,0,1] op_sel_hi:[1,1,0] neg_lo:[0,0,1] neg_hi:[0,0,1]
	v_pk_fma_f32 v[4:5], v[4:5], v[44:45], v[16:17] op_sel:[0,0,1] op_sel_hi:[1,0,0]
	v_mov_b32_e32 v4, v43
	v_mov_b32_e32 v19, v5
	v_pk_mul_f32 v[4:5], v[6:7], v[4:5] op_sel_hi:[1,0]
	v_pk_fma_f32 v[16:17], v[6:7], v[42:43], v[4:5] op_sel:[0,0,1] op_sel_hi:[1,1,0] neg_lo:[0,0,1] neg_hi:[0,0,1]
	v_pk_fma_f32 v[4:5], v[6:7], v[42:43], v[4:5] op_sel:[0,0,1] op_sel_hi:[1,0,0]
	v_mov_b32_e32 v4, v41
	v_mov_b32_e32 v17, v5
	s_waitcnt lgkmcnt(1)
	v_pk_mul_f32 v[4:5], v[8:9], v[4:5] op_sel_hi:[1,0]
	v_pk_fma_f32 v[6:7], v[8:9], v[40:41], v[4:5] op_sel:[0,0,1] op_sel_hi:[1,1,0] neg_lo:[0,0,1] neg_hi:[0,0,1]
	v_pk_fma_f32 v[4:5], v[8:9], v[40:41], v[4:5] op_sel:[0,0,1] op_sel_hi:[1,0,0]
	v_pk_add_f32 v[2:3], v[2:3], v[18:19]
	s_waitcnt vmcnt(1)
	v_mov_b32_e32 v4, v53
	v_pk_add_f32 v[2:3], v[2:3], v[16:17]
	v_mov_b32_e32 v7, v5
	v_pk_mul_f32 v[4:5], v[10:11], v[4:5] op_sel_hi:[1,0]
	v_pk_add_f32 v[2:3], v[2:3], v[6:7]
	s_waitcnt vmcnt(0)
	v_pk_fma_f32 v[6:7], v[10:11], v[52:53], v[4:5] op_sel:[0,0,1] op_sel_hi:[1,1,0] neg_lo:[0,0,1] neg_hi:[0,0,1]
	v_pk_fma_f32 v[4:5], v[10:11], v[52:53], v[4:5] op_sel:[0,0,1] op_sel_hi:[1,0,0]
	v_mov_b32_e32 v4, v51
	v_mov_b32_e32 v7, v5
	s_waitcnt lgkmcnt(0)
	v_pk_mul_f32 v[4:5], v[12:13], v[4:5] op_sel_hi:[1,0]
	v_pk_add_f32 v[2:3], v[2:3], v[6:7]
	v_pk_fma_f32 v[6:7], v[12:13], v[50:51], v[4:5] op_sel:[0,0,1] op_sel_hi:[1,1,0] neg_lo:[0,0,1] neg_hi:[0,0,1]
	v_pk_fma_f32 v[4:5], v[12:13], v[50:51], v[4:5] op_sel:[0,0,1] op_sel_hi:[1,0,0]
	v_mov_b32_e32 v4, v49
	v_mov_b32_e32 v7, v5
	v_pk_mul_f32 v[4:5], v[14:15], v[4:5] op_sel_hi:[1,0]
	v_pk_add_f32 v[2:3], v[2:3], v[6:7]
	v_pk_fma_f32 v[6:7], v[14:15], v[48:49], v[4:5] op_sel:[0,0,1] op_sel_hi:[1,1,0] neg_lo:[0,0,1] neg_hi:[0,0,1]
	v_pk_fma_f32 v[4:5], v[14:15], v[48:49], v[4:5] op_sel:[0,0,1] op_sel_hi:[1,0,0]
	v_mov_b32_e32 v7, v5
	v_pk_add_f32 v[2:3], v[2:3], v[6:7]
	v_pk_add_f32 v[2:3], v[36:37], v[2:3] neg_lo:[0,1] neg_hi:[0,1]
	buffer_store_dword v3, off, s[0:3], 0 offset:212
	buffer_store_dword v2, off, s[0:3], 0 offset:208
	s_and_saveexec_b64 s[4:5], vcc
	s_cbranch_execz .LBB112_257
; %bb.256:
	buffer_load_dword v2, off, s[0:3], 0 offset:200
	buffer_load_dword v3, off, s[0:3], 0 offset:204
	v_mov_b32_e32 v1, 0
	v_accvgpr_read_b32 v4, a24
	buffer_store_dword v1, off, s[0:3], 0 offset:200
	buffer_store_dword v1, off, s[0:3], 0 offset:204
	s_waitcnt vmcnt(2)
	ds_write_b64 v4, v[2:3]
.LBB112_257:
	s_or_b64 exec, exec, s[4:5]
	s_waitcnt lgkmcnt(0)
	; wave barrier
	s_waitcnt lgkmcnt(0)
	buffer_load_dword v1, off, s[0:3], 0 offset:212
	buffer_load_dword v3, off, s[0:3], 0 offset:220
	;; [unrolled: 1-line block ×32, first 2 shown]
	v_mov_b32_e32 v2, 0
	buffer_load_dword v39, off, s[0:3], 0 offset:356
	buffer_load_dword v38, off, s[0:3], 0 offset:352
	buffer_load_dword v41, off, s[0:3], 0 offset:348
	buffer_load_dword v40, off, s[0:3], 0 offset:344
	buffer_load_dword v43, off, s[0:3], 0 offset:340
	buffer_load_dword v42, off, s[0:3], 0 offset:336
	buffer_load_dword v45, off, s[0:3], 0 offset:332
	buffer_load_dword v44, off, s[0:3], 0 offset:328
	buffer_load_dword v47, off, s[0:3], 0 offset:364
	buffer_load_dword v49, off, s[0:3], 0 offset:388
	buffer_load_dword v48, off, s[0:3], 0 offset:384
	buffer_load_dword v51, off, s[0:3], 0 offset:380
	buffer_load_dword v50, off, s[0:3], 0 offset:376
	ds_read_b128 v[4:7], v2 offset:608
	ds_read_b128 v[8:11], v2 offset:624
	ds_read_b128 v[12:15], v2 offset:640
	ds_read_b128 v[16:19], v2 offset:656
	ds_read_b128 v[20:23], v2 offset:672
	ds_read_b128 v[24:27], v2 offset:688
	ds_read_b128 v[28:31], v2 offset:704
	ds_read_b128 v[32:35], v2 offset:720
	v_cmp_lt_u32_e32 vcc, 24, v0
	s_waitcnt vmcnt(44) lgkmcnt(7)
	v_mul_f32_e32 v46, v4, v1
	s_waitcnt vmcnt(43)
	v_mul_f32_e32 v53, v6, v3
	s_waitcnt vmcnt(42) lgkmcnt(6)
	v_mul_f32_e32 v54, v8, v52
	s_waitcnt vmcnt(41)
	v_mul_f32_e32 v55, v10, v56
	;; [unrolled: 4-line block ×6, first 2 shown]
	s_waitcnt vmcnt(32) lgkmcnt(1)
	v_mul_f32_e32 v189, v28, v67
	s_waitcnt vmcnt(31)
	v_fmac_f32_e32 v46, v5, v68
	s_waitcnt vmcnt(30)
	v_fmac_f32_e32 v53, v7, v69
	v_add_f32_e32 v46, 0, v46
	s_waitcnt vmcnt(29)
	v_fmac_f32_e32 v54, v9, v70
	v_add_f32_e32 v46, v46, v53
	s_waitcnt vmcnt(28)
	v_fmac_f32_e32 v55, v11, v71
	v_add_f32_e32 v46, v46, v54
	s_waitcnt vmcnt(27)
	v_fmac_f32_e32 v57, v13, v72
	v_add_f32_e32 v46, v46, v55
	s_waitcnt vmcnt(26)
	v_fmac_f32_e32 v59, v15, v73
	v_add_f32_e32 v46, v46, v57
	s_waitcnt vmcnt(25)
	v_fmac_f32_e32 v183, v17, v74
	v_add_f32_e32 v46, v46, v59
	s_waitcnt vmcnt(24)
	v_fmac_f32_e32 v184, v19, v75
	v_add_f32_e32 v46, v46, v183
	s_waitcnt vmcnt(23)
	v_fmac_f32_e32 v185, v21, v76
	v_add_f32_e32 v46, v46, v184
	s_waitcnt vmcnt(22)
	v_fmac_f32_e32 v186, v23, v77
	v_add_f32_e32 v46, v46, v185
	s_waitcnt vmcnt(21)
	v_fmac_f32_e32 v187, v25, v176
	v_add_f32_e32 v46, v46, v186
	s_waitcnt vmcnt(20)
	v_fmac_f32_e32 v188, v27, v177
	v_add_f32_e32 v46, v46, v187
	s_waitcnt vmcnt(19)
	v_fmac_f32_e32 v189, v29, v178
	v_add_f32_e32 v46, v46, v188
	v_add_f32_e32 v53, v46, v189
	buffer_load_dword v55, off, s[0:3], 0 offset:372
	buffer_load_dword v54, off, s[0:3], 0 offset:368
	;; [unrolled: 1-line block ×3, first 2 shown]
	v_mul_f32_e32 v1, v5, v1
	v_fma_f32 v1, v4, v68, -v1
	v_mul_f32_e32 v3, v7, v3
	v_add_f32_e32 v1, 0, v1
	v_fma_f32 v3, v6, v69, -v3
	v_add_f32_e32 v1, v1, v3
	v_mul_f32_e32 v3, v9, v52
	v_fma_f32 v3, v8, v70, -v3
	v_add_f32_e32 v1, v1, v3
	v_mul_f32_e32 v3, v11, v56
	;; [unrolled: 3-line block ×11, first 2 shown]
	v_fma_f32 v3, v28, v178, -v3
	s_waitcnt vmcnt(9)
	v_mov_b32_e32 v20, v45
	v_mul_f32_e32 v57, v30, v179
	v_add_f32_e32 v52, v1, v3
	v_mul_f32_e32 v1, v31, v179
	s_waitcnt lgkmcnt(0)
	v_pk_mul_f32 v[20:21], v[34:35], v[20:21] op_sel_hi:[1,0]
	v_fmac_f32_e32 v57, v31, v180
	v_mul_f32_e32 v59, v32, v181
	v_fma_f32 v56, v30, v180, -v1
	v_mul_f32_e32 v1, v33, v181
	ds_read_b128 v[4:7], v2 offset:736
	ds_read_b128 v[8:11], v2 offset:752
	;; [unrolled: 1-line block ×3, first 2 shown]
	ds_read_b64 v[16:17], v2 offset:784
	s_waitcnt vmcnt(8)
	v_pk_fma_f32 v[22:23], v[34:35], v[44:45], v[20:21] op_sel:[0,0,1] op_sel_hi:[1,1,0] neg_lo:[0,0,1] neg_hi:[0,0,1]
	v_pk_fma_f32 v[20:21], v[34:35], v[44:45], v[20:21] op_sel:[0,0,1] op_sel_hi:[1,0,0]
	v_fmac_f32_e32 v59, v33, v182
	v_fma_f32 v58, v32, v182, -v1
	v_pk_add_f32 v[18:19], v[52:53], v[56:57]
	v_mov_b32_e32 v20, v43
	v_pk_add_f32 v[18:19], v[18:19], v[58:59]
	v_mov_b32_e32 v23, v21
	s_waitcnt lgkmcnt(3)
	v_pk_mul_f32 v[20:21], v[4:5], v[20:21] op_sel_hi:[1,0]
	v_pk_add_f32 v[18:19], v[18:19], v[22:23]
	v_pk_fma_f32 v[22:23], v[4:5], v[42:43], v[20:21] op_sel:[0,0,1] op_sel_hi:[1,1,0] neg_lo:[0,0,1] neg_hi:[0,0,1]
	v_pk_fma_f32 v[4:5], v[4:5], v[42:43], v[20:21] op_sel:[0,0,1] op_sel_hi:[1,0,0]
	v_mov_b32_e32 v23, v5
	v_pk_add_f32 v[4:5], v[18:19], v[22:23]
	v_mov_b32_e32 v18, v41
	v_pk_mul_f32 v[18:19], v[6:7], v[18:19] op_sel_hi:[1,0]
	v_pk_fma_f32 v[20:21], v[6:7], v[40:41], v[18:19] op_sel:[0,0,1] op_sel_hi:[1,1,0] neg_lo:[0,0,1] neg_hi:[0,0,1]
	v_pk_fma_f32 v[6:7], v[6:7], v[40:41], v[18:19] op_sel:[0,0,1] op_sel_hi:[1,0,0]
	v_mov_b32_e32 v6, v39
	v_mov_b32_e32 v21, v7
	s_waitcnt lgkmcnt(2)
	v_pk_mul_f32 v[6:7], v[8:9], v[6:7] op_sel_hi:[1,0]
	v_pk_fma_f32 v[18:19], v[8:9], v[38:39], v[6:7] op_sel:[0,0,1] op_sel_hi:[1,1,0] neg_lo:[0,0,1] neg_hi:[0,0,1]
	v_pk_fma_f32 v[6:7], v[8:9], v[38:39], v[6:7] op_sel:[0,0,1] op_sel_hi:[1,0,0]
	s_waitcnt vmcnt(7)
	v_mov_b32_e32 v6, v47
	v_mov_b32_e32 v19, v7
	v_pk_mul_f32 v[6:7], v[10:11], v[6:7] op_sel_hi:[1,0]
	v_pk_add_f32 v[4:5], v[4:5], v[20:21]
	v_pk_add_f32 v[4:5], v[4:5], v[18:19]
	s_waitcnt vmcnt(0)
	v_pk_fma_f32 v[8:9], v[10:11], v[46:47], v[6:7] op_sel:[0,0,1] op_sel_hi:[1,1,0] neg_lo:[0,0,1] neg_hi:[0,0,1]
	v_pk_fma_f32 v[6:7], v[10:11], v[46:47], v[6:7] op_sel:[0,0,1] op_sel_hi:[1,0,0]
	v_mov_b32_e32 v6, v55
	v_mov_b32_e32 v9, v7
	s_waitcnt lgkmcnt(1)
	v_pk_mul_f32 v[6:7], v[12:13], v[6:7] op_sel_hi:[1,0]
	v_pk_add_f32 v[4:5], v[4:5], v[8:9]
	v_pk_fma_f32 v[8:9], v[12:13], v[54:55], v[6:7] op_sel:[0,0,1] op_sel_hi:[1,1,0] neg_lo:[0,0,1] neg_hi:[0,0,1]
	v_pk_fma_f32 v[6:7], v[12:13], v[54:55], v[6:7] op_sel:[0,0,1] op_sel_hi:[1,0,0]
	v_mov_b32_e32 v6, v51
	v_mov_b32_e32 v9, v7
	v_pk_mul_f32 v[6:7], v[14:15], v[6:7] op_sel_hi:[1,0]
	v_pk_add_f32 v[4:5], v[4:5], v[8:9]
	v_pk_fma_f32 v[8:9], v[14:15], v[50:51], v[6:7] op_sel:[0,0,1] op_sel_hi:[1,1,0] neg_lo:[0,0,1] neg_hi:[0,0,1]
	v_pk_fma_f32 v[6:7], v[14:15], v[50:51], v[6:7] op_sel:[0,0,1] op_sel_hi:[1,0,0]
	v_mov_b32_e32 v6, v49
	v_mov_b32_e32 v9, v7
	s_waitcnt lgkmcnt(0)
	v_pk_mul_f32 v[6:7], v[16:17], v[6:7] op_sel_hi:[1,0]
	v_pk_add_f32 v[4:5], v[4:5], v[8:9]
	v_pk_fma_f32 v[8:9], v[16:17], v[48:49], v[6:7] op_sel:[0,0,1] op_sel_hi:[1,1,0] neg_lo:[0,0,1] neg_hi:[0,0,1]
	v_pk_fma_f32 v[6:7], v[16:17], v[48:49], v[6:7] op_sel:[0,0,1] op_sel_hi:[1,0,0]
	v_mov_b32_e32 v9, v7
	v_pk_add_f32 v[4:5], v[4:5], v[8:9]
	v_pk_add_f32 v[4:5], v[36:37], v[4:5] neg_lo:[0,1] neg_hi:[0,1]
	buffer_store_dword v5, off, s[0:3], 0 offset:204
	buffer_store_dword v4, off, s[0:3], 0 offset:200
	s_and_saveexec_b64 s[4:5], vcc
	s_cbranch_execz .LBB112_259
; %bb.258:
	buffer_load_dword v4, off, s[0:3], 0 offset:192
	buffer_load_dword v5, off, s[0:3], 0 offset:196
	v_accvgpr_read_b32 v1, a24
	buffer_store_dword v2, off, s[0:3], 0 offset:192
	buffer_store_dword v2, off, s[0:3], 0 offset:196
	s_waitcnt vmcnt(2)
	ds_write_b64 v1, v[4:5]
.LBB112_259:
	s_or_b64 exec, exec, s[4:5]
	s_waitcnt lgkmcnt(0)
	; wave barrier
	s_waitcnt lgkmcnt(0)
	buffer_load_dword v1, off, s[0:3], 0 offset:204
	buffer_load_dword v3, off, s[0:3], 0 offset:212
	;; [unrolled: 1-line block ×34, first 2 shown]
	ds_read2_b64 v[4:7], v2 offset0:75 offset1:76
	ds_read2_b64 v[8:11], v2 offset0:77 offset1:78
	;; [unrolled: 1-line block ×8, first 2 shown]
	buffer_load_dword v39, off, s[0:3], 0 offset:348
	buffer_load_dword v38, off, s[0:3], 0 offset:344
	;; [unrolled: 1-line block ×9, first 2 shown]
	v_cmp_lt_u32_e32 vcc, 23, v0
	s_waitcnt vmcnt(42) lgkmcnt(7)
	v_mul_f32_e32 v44, v4, v1
	s_waitcnt vmcnt(41)
	v_mul_f32_e32 v48, v6, v3
	s_waitcnt vmcnt(40) lgkmcnt(6)
	v_mul_f32_e32 v49, v8, v52
	s_waitcnt vmcnt(39)
	v_mul_f32_e32 v50, v10, v54
	s_waitcnt vmcnt(38) lgkmcnt(5)
	v_mul_f32_e32 v51, v12, v56
	s_waitcnt vmcnt(37)
	v_mul_f32_e32 v53, v14, v60
	s_waitcnt vmcnt(36) lgkmcnt(4)
	v_mul_f32_e32 v55, v16, v61
	s_waitcnt vmcnt(35)
	v_mul_f32_e32 v57, v18, v62
	s_waitcnt vmcnt(34) lgkmcnt(3)
	v_mul_f32_e32 v58, v20, v63
	s_waitcnt vmcnt(33)
	v_mul_f32_e32 v59, v22, v64
	s_waitcnt vmcnt(32) lgkmcnt(2)
	v_mul_f32_e32 v185, v24, v65
	s_waitcnt vmcnt(31)
	v_mul_f32_e32 v186, v26, v66
	s_waitcnt vmcnt(30) lgkmcnt(1)
	v_mul_f32_e32 v187, v28, v67
	v_mul_f32_e32 v1, v5, v1
	s_waitcnt vmcnt(28)
	v_fmac_f32_e32 v44, v5, v69
	s_waitcnt vmcnt(27)
	v_fmac_f32_e32 v48, v7, v70
	v_add_f32_e32 v44, 0, v44
	s_waitcnt vmcnt(26)
	v_fmac_f32_e32 v49, v9, v71
	v_add_f32_e32 v44, v44, v48
	;; [unrolled: 3-line block ×12, first 2 shown]
	v_add_f32_e32 v53, v44, v187
	buffer_load_dword v49, off, s[0:3], 0 offset:372
	buffer_load_dword v48, off, s[0:3], 0 offset:368
	;; [unrolled: 1-line block ×7, first 2 shown]
	v_fma_f32 v1, v4, v69, -v1
	v_mul_f32_e32 v3, v7, v3
	v_add_f32_e32 v1, 0, v1
	v_fma_f32 v3, v6, v70, -v3
	v_add_f32_e32 v1, v1, v3
	v_mul_f32_e32 v3, v9, v52
	v_fma_f32 v3, v8, v71, -v3
	v_add_f32_e32 v1, v1, v3
	v_mul_f32_e32 v3, v11, v54
	;; [unrolled: 3-line block ×10, first 2 shown]
	ds_read2_b64 v[4:7], v2 offset0:91 offset1:92
	ds_read2_b64 v[8:11], v2 offset0:93 offset1:94
	;; [unrolled: 1-line block ×4, first 2 shown]
	v_fma_f32 v3, v26, v178, -v3
	s_waitcnt vmcnt(11)
	v_mov_b32_e32 v20, v43
	v_add_f32_e32 v1, v1, v3
	v_mul_f32_e32 v3, v29, v67
	s_waitcnt lgkmcnt(3)
	v_pk_mul_f32 v[20:21], v[4:5], v[20:21] op_sel_hi:[1,0]
	v_fma_f32 v3, v28, v179, -v3
	s_waitcnt vmcnt(10)
	v_pk_fma_f32 v[22:23], v[4:5], v[42:43], v[20:21] op_sel:[0,0,1] op_sel_hi:[1,1,0] neg_lo:[0,0,1] neg_hi:[0,0,1]
	v_pk_fma_f32 v[4:5], v[4:5], v[42:43], v[20:21] op_sel:[0,0,1] op_sel_hi:[1,0,0]
	v_add_f32_e32 v1, v1, v3
	v_mul_f32_e32 v3, v31, v68
	v_mov_b32_e32 v4, v41
	v_mul_f32_e32 v188, v30, v68
	v_fma_f32 v3, v30, v180, -v3
	v_mov_b32_e32 v23, v5
	v_pk_mul_f32 v[4:5], v[6:7], v[4:5] op_sel_hi:[1,0]
	v_fmac_f32_e32 v188, v31, v180
	v_mul_f32_e32 v55, v32, v181
	v_add_f32_e32 v52, v1, v3
	v_mul_f32_e32 v1, v33, v181
	v_pk_fma_f32 v[20:21], v[6:7], v[40:41], v[4:5] op_sel:[0,0,1] op_sel_hi:[1,1,0] neg_lo:[0,0,1] neg_hi:[0,0,1]
	v_pk_fma_f32 v[4:5], v[6:7], v[40:41], v[4:5] op_sel:[0,0,1] op_sel_hi:[1,0,0]
	v_add_f32_e32 v53, v53, v188
	v_fmac_f32_e32 v55, v33, v182
	v_mul_f32_e32 v57, v34, v183
	v_fma_f32 v54, v32, v182, -v1
	v_mul_f32_e32 v1, v35, v183
	v_mov_b32_e32 v4, v39
	v_fmac_f32_e32 v57, v35, v184
	v_fma_f32 v56, v34, v184, -v1
	v_pk_add_f32 v[2:3], v[52:53], v[54:55]
	v_mov_b32_e32 v21, v5
	s_waitcnt lgkmcnt(2)
	v_pk_mul_f32 v[4:5], v[8:9], v[4:5] op_sel_hi:[1,0]
	v_pk_add_f32 v[2:3], v[2:3], v[56:57]
	v_pk_fma_f32 v[6:7], v[8:9], v[38:39], v[4:5] op_sel:[0,0,1] op_sel_hi:[1,1,0] neg_lo:[0,0,1] neg_hi:[0,0,1]
	v_pk_fma_f32 v[4:5], v[8:9], v[38:39], v[4:5] op_sel:[0,0,1] op_sel_hi:[1,0,0]
	v_pk_add_f32 v[2:3], v[2:3], v[22:23]
	s_waitcnt vmcnt(9)
	v_mov_b32_e32 v4, v45
	v_pk_add_f32 v[2:3], v[2:3], v[20:21]
	v_mov_b32_e32 v7, v5
	v_pk_mul_f32 v[4:5], v[10:11], v[4:5] op_sel_hi:[1,0]
	v_pk_add_f32 v[2:3], v[2:3], v[6:7]
	s_waitcnt vmcnt(2)
	v_pk_fma_f32 v[6:7], v[10:11], v[44:45], v[4:5] op_sel:[0,0,1] op_sel_hi:[1,1,0] neg_lo:[0,0,1] neg_hi:[0,0,1]
	v_pk_fma_f32 v[4:5], v[10:11], v[44:45], v[4:5] op_sel:[0,0,1] op_sel_hi:[1,0,0]
	v_mov_b32_e32 v4, v51
	v_mov_b32_e32 v7, v5
	s_waitcnt lgkmcnt(1)
	v_pk_mul_f32 v[4:5], v[12:13], v[4:5] op_sel_hi:[1,0]
	v_pk_add_f32 v[2:3], v[2:3], v[6:7]
	v_pk_fma_f32 v[6:7], v[12:13], v[50:51], v[4:5] op_sel:[0,0,1] op_sel_hi:[1,1,0] neg_lo:[0,0,1] neg_hi:[0,0,1]
	v_pk_fma_f32 v[4:5], v[12:13], v[50:51], v[4:5] op_sel:[0,0,1] op_sel_hi:[1,0,0]
	v_mov_b32_e32 v4, v49
	v_mov_b32_e32 v7, v5
	v_pk_mul_f32 v[4:5], v[14:15], v[4:5] op_sel_hi:[1,0]
	v_pk_add_f32 v[2:3], v[2:3], v[6:7]
	v_pk_fma_f32 v[6:7], v[14:15], v[48:49], v[4:5] op_sel:[0,0,1] op_sel_hi:[1,1,0] neg_lo:[0,0,1] neg_hi:[0,0,1]
	v_pk_fma_f32 v[4:5], v[14:15], v[48:49], v[4:5] op_sel:[0,0,1] op_sel_hi:[1,0,0]
	v_mov_b32_e32 v4, v47
	v_mov_b32_e32 v7, v5
	s_waitcnt lgkmcnt(0)
	v_pk_mul_f32 v[4:5], v[16:17], v[4:5] op_sel_hi:[1,0]
	v_pk_add_f32 v[2:3], v[2:3], v[6:7]
	v_pk_fma_f32 v[6:7], v[16:17], v[46:47], v[4:5] op_sel:[0,0,1] op_sel_hi:[1,1,0] neg_lo:[0,0,1] neg_hi:[0,0,1]
	v_pk_fma_f32 v[4:5], v[16:17], v[46:47], v[4:5] op_sel:[0,0,1] op_sel_hi:[1,0,0]
	s_waitcnt vmcnt(1)
	v_mov_b32_e32 v4, v59
	v_mov_b32_e32 v7, v5
	v_pk_mul_f32 v[4:5], v[18:19], v[4:5] op_sel_hi:[1,0]
	v_pk_add_f32 v[2:3], v[2:3], v[6:7]
	s_waitcnt vmcnt(0)
	v_pk_fma_f32 v[6:7], v[18:19], v[58:59], v[4:5] op_sel:[0,0,1] op_sel_hi:[1,1,0] neg_lo:[0,0,1] neg_hi:[0,0,1]
	v_pk_fma_f32 v[4:5], v[18:19], v[58:59], v[4:5] op_sel:[0,0,1] op_sel_hi:[1,0,0]
	v_mov_b32_e32 v7, v5
	v_pk_add_f32 v[2:3], v[2:3], v[6:7]
	v_pk_add_f32 v[2:3], v[36:37], v[2:3] neg_lo:[0,1] neg_hi:[0,1]
	buffer_store_dword v3, off, s[0:3], 0 offset:196
	buffer_store_dword v2, off, s[0:3], 0 offset:192
	s_and_saveexec_b64 s[4:5], vcc
	s_cbranch_execz .LBB112_261
; %bb.260:
	buffer_load_dword v2, off, s[0:3], 0 offset:184
	buffer_load_dword v3, off, s[0:3], 0 offset:188
	v_mov_b32_e32 v1, 0
	v_accvgpr_read_b32 v4, a24
	buffer_store_dword v1, off, s[0:3], 0 offset:184
	buffer_store_dword v1, off, s[0:3], 0 offset:188
	s_waitcnt vmcnt(2)
	ds_write_b64 v4, v[2:3]
.LBB112_261:
	s_or_b64 exec, exec, s[4:5]
	s_waitcnt lgkmcnt(0)
	; wave barrier
	s_waitcnt lgkmcnt(0)
	buffer_load_dword v1, off, s[0:3], 0 offset:196
	buffer_load_dword v5, off, s[0:3], 0 offset:204
	;; [unrolled: 1-line block ×36, first 2 shown]
	v_mov_b32_e32 v4, 0
	buffer_load_dword v47, off, s[0:3], 0 offset:340
	buffer_load_dword v46, off, s[0:3], 0 offset:336
	buffer_load_dword v49, off, s[0:3], 0 offset:332
	buffer_load_dword v48, off, s[0:3], 0 offset:328
	buffer_load_dword v51, off, s[0:3], 0 offset:348
	ds_read_b128 v[6:9], v4 offset:592
	ds_read_b128 v[10:13], v4 offset:608
	;; [unrolled: 1-line block ×8, first 2 shown]
	v_cmp_lt_u32_e32 vcc, 22, v0
	s_waitcnt vmcnt(40) lgkmcnt(7)
	v_mul_f32_e32 v38, v6, v1
	s_waitcnt vmcnt(39)
	v_mul_f32_e32 v39, v8, v5
	s_waitcnt vmcnt(38) lgkmcnt(6)
	v_mul_f32_e32 v40, v10, v58
	s_waitcnt vmcnt(37)
	v_mul_f32_e32 v41, v12, v60
	;; [unrolled: 4-line block ×7, first 2 shown]
	s_waitcnt vmcnt(26) lgkmcnt(0)
	v_mul_f32_e32 v59, v34, v77
	s_waitcnt vmcnt(25)
	v_fmac_f32_e32 v38, v7, v176
	s_waitcnt vmcnt(24)
	v_fmac_f32_e32 v39, v9, v177
	v_add_f32_e32 v38, 0, v38
	s_waitcnt vmcnt(23)
	v_fmac_f32_e32 v40, v11, v178
	v_add_f32_e32 v38, v38, v39
	;; [unrolled: 3-line block ×13, first 2 shown]
	v_add_f32_e32 v42, v38, v56
	buffer_load_dword v53, off, s[0:3], 0 offset:372
	buffer_load_dword v52, off, s[0:3], 0 offset:368
	;; [unrolled: 1-line block ×7, first 2 shown]
	s_waitcnt vmcnt(18)
	v_fmac_f32_e32 v59, v35, v190
	ds_read_b128 v[38:41], v4 offset:720
	v_add_f32_e32 v59, v42, v59
	ds_read_b128 v[42:45], v4 offset:736
	buffer_load_dword v65, off, s[0:3], 0 offset:388
	buffer_load_dword v64, off, s[0:3], 0 offset:384
	;; [unrolled: 1-line block ×4, first 2 shown]
	v_mul_f32_e32 v1, v7, v1
	v_fma_f32 v1, v6, v176, -v1
	v_mul_f32_e32 v5, v9, v5
	v_add_f32_e32 v1, 0, v1
	v_fma_f32 v5, v8, v177, -v5
	v_add_f32_e32 v1, v1, v5
	v_mul_f32_e32 v5, v11, v58
	v_fma_f32 v5, v10, v178, -v5
	v_add_f32_e32 v1, v1, v5
	v_mul_f32_e32 v5, v13, v60
	;; [unrolled: 3-line block ×13, first 2 shown]
	v_fma_f32 v5, v34, v190, -v5
	s_waitcnt vmcnt(13)
	v_mov_b32_e32 v18, v49
	v_mul_f32_e32 v61, v36, v191
	v_add_f32_e32 v58, v1, v5
	v_mul_f32_e32 v1, v37, v191
	s_waitcnt lgkmcnt(1)
	v_pk_mul_f32 v[18:19], v[40:41], v[18:19] op_sel_hi:[1,0]
	v_fmac_f32_e32 v61, v37, v192
	v_mul_f32_e32 v63, v38, v193
	v_fma_f32 v60, v36, v192, -v1
	v_mul_f32_e32 v1, v39, v193
	s_waitcnt vmcnt(12)
	v_pk_fma_f32 v[20:21], v[40:41], v[48:49], v[18:19] op_sel:[0,0,1] op_sel_hi:[1,1,0] neg_lo:[0,0,1] neg_hi:[0,0,1]
	v_pk_fma_f32 v[18:19], v[40:41], v[48:49], v[18:19] op_sel:[0,0,1] op_sel_hi:[1,0,0]
	v_fmac_f32_e32 v63, v39, v194
	v_fma_f32 v62, v38, v194, -v1
	v_pk_add_f32 v[16:17], v[58:59], v[60:61]
	v_mov_b32_e32 v18, v47
	v_pk_add_f32 v[16:17], v[16:17], v[62:63]
	v_mov_b32_e32 v21, v19
	s_waitcnt lgkmcnt(0)
	v_pk_mul_f32 v[18:19], v[42:43], v[18:19] op_sel_hi:[1,0]
	v_pk_add_f32 v[16:17], v[16:17], v[20:21]
	v_pk_fma_f32 v[20:21], v[42:43], v[46:47], v[18:19] op_sel:[0,0,1] op_sel_hi:[1,1,0] neg_lo:[0,0,1] neg_hi:[0,0,1]
	v_pk_fma_f32 v[18:19], v[42:43], v[46:47], v[18:19] op_sel:[0,0,1] op_sel_hi:[1,0,0]
	s_waitcnt vmcnt(11)
	v_mov_b32_e32 v18, v51
	ds_read_b128 v[6:9], v4 offset:752
	ds_read_b128 v[10:13], v4 offset:768
	ds_read_b64 v[14:15], v4 offset:784
	v_mov_b32_e32 v21, v19
	v_pk_mul_f32 v[18:19], v[44:45], v[18:19] op_sel_hi:[1,0]
	v_pk_add_f32 v[16:17], v[16:17], v[20:21]
	s_waitcnt vmcnt(4)
	v_pk_fma_f32 v[20:21], v[44:45], v[50:51], v[18:19] op_sel:[0,0,1] op_sel_hi:[1,1,0] neg_lo:[0,0,1] neg_hi:[0,0,1]
	v_pk_fma_f32 v[18:19], v[44:45], v[50:51], v[18:19] op_sel:[0,0,1] op_sel_hi:[1,0,0]
	v_mov_b32_e32 v18, v57
	v_mov_b32_e32 v21, v19
	s_waitcnt lgkmcnt(2)
	v_pk_mul_f32 v[18:19], v[6:7], v[18:19] op_sel_hi:[1,0]
	v_pk_add_f32 v[16:17], v[16:17], v[20:21]
	v_pk_fma_f32 v[20:21], v[6:7], v[56:57], v[18:19] op_sel:[0,0,1] op_sel_hi:[1,1,0] neg_lo:[0,0,1] neg_hi:[0,0,1]
	v_pk_fma_f32 v[6:7], v[6:7], v[56:57], v[18:19] op_sel:[0,0,1] op_sel_hi:[1,0,0]
	v_mov_b32_e32 v21, v7
	v_pk_add_f32 v[6:7], v[16:17], v[20:21]
	v_mov_b32_e32 v16, v55
	v_pk_mul_f32 v[16:17], v[8:9], v[16:17] op_sel_hi:[1,0]
	v_pk_fma_f32 v[18:19], v[8:9], v[54:55], v[16:17] op_sel:[0,0,1] op_sel_hi:[1,1,0] neg_lo:[0,0,1] neg_hi:[0,0,1]
	v_pk_fma_f32 v[8:9], v[8:9], v[54:55], v[16:17] op_sel:[0,0,1] op_sel_hi:[1,0,0]
	v_mov_b32_e32 v8, v53
	v_mov_b32_e32 v19, v9
	s_waitcnt lgkmcnt(1)
	v_pk_mul_f32 v[8:9], v[10:11], v[8:9] op_sel_hi:[1,0]
	v_pk_fma_f32 v[16:17], v[10:11], v[52:53], v[8:9] op_sel:[0,0,1] op_sel_hi:[1,1,0] neg_lo:[0,0,1] neg_hi:[0,0,1]
	v_pk_fma_f32 v[8:9], v[10:11], v[52:53], v[8:9] op_sel:[0,0,1] op_sel_hi:[1,0,0]
	s_waitcnt vmcnt(1)
	v_mov_b32_e32 v8, v67
	v_mov_b32_e32 v17, v9
	v_pk_mul_f32 v[8:9], v[12:13], v[8:9] op_sel_hi:[1,0]
	s_waitcnt vmcnt(0)
	v_pk_fma_f32 v[10:11], v[12:13], v[66:67], v[8:9] op_sel:[0,0,1] op_sel_hi:[1,1,0] neg_lo:[0,0,1] neg_hi:[0,0,1]
	v_pk_fma_f32 v[8:9], v[12:13], v[66:67], v[8:9] op_sel:[0,0,1] op_sel_hi:[1,0,0]
	v_pk_add_f32 v[6:7], v[6:7], v[18:19]
	v_mov_b32_e32 v8, v65
	v_pk_add_f32 v[6:7], v[6:7], v[16:17]
	v_mov_b32_e32 v11, v9
	s_waitcnt lgkmcnt(0)
	v_pk_mul_f32 v[8:9], v[14:15], v[8:9] op_sel_hi:[1,0]
	v_pk_add_f32 v[6:7], v[6:7], v[10:11]
	v_pk_fma_f32 v[10:11], v[14:15], v[64:65], v[8:9] op_sel:[0,0,1] op_sel_hi:[1,1,0] neg_lo:[0,0,1] neg_hi:[0,0,1]
	v_pk_fma_f32 v[8:9], v[14:15], v[64:65], v[8:9] op_sel:[0,0,1] op_sel_hi:[1,0,0]
	v_mov_b32_e32 v11, v9
	v_pk_add_f32 v[6:7], v[6:7], v[10:11]
	v_pk_add_f32 v[2:3], v[2:3], v[6:7] neg_lo:[0,1] neg_hi:[0,1]
	buffer_store_dword v3, off, s[0:3], 0 offset:188
	buffer_store_dword v2, off, s[0:3], 0 offset:184
	s_and_saveexec_b64 s[4:5], vcc
	s_cbranch_execz .LBB112_263
; %bb.262:
	buffer_load_dword v2, off, s[0:3], 0 offset:176
	buffer_load_dword v3, off, s[0:3], 0 offset:180
	v_accvgpr_read_b32 v1, a24
	buffer_store_dword v4, off, s[0:3], 0 offset:176
	buffer_store_dword v4, off, s[0:3], 0 offset:180
	s_waitcnt vmcnt(2)
	ds_write_b64 v1, v[2:3]
.LBB112_263:
	s_or_b64 exec, exec, s[4:5]
	s_waitcnt lgkmcnt(0)
	; wave barrier
	s_waitcnt lgkmcnt(0)
	buffer_load_dword v1, off, s[0:3], 0 offset:188
	buffer_load_dword v2, off, s[0:3], 0 offset:196
	buffer_load_dword v3, off, s[0:3], 0 offset:204
	buffer_load_dword v5, off, s[0:3], 0 offset:212
	buffer_load_dword v58, off, s[0:3], 0 offset:220
	buffer_load_dword v60, off, s[0:3], 0 offset:228
	buffer_load_dword v62, off, s[0:3], 0 offset:236
	buffer_load_dword v70, off, s[0:3], 0 offset:244
	buffer_load_dword v71, off, s[0:3], 0 offset:252
	buffer_load_dword v72, off, s[0:3], 0 offset:260
	buffer_load_dword v73, off, s[0:3], 0 offset:268
	buffer_load_dword v74, off, s[0:3], 0 offset:276
	buffer_load_dword v75, off, s[0:3], 0 offset:284
	buffer_load_dword v76, off, s[0:3], 0 offset:292
	buffer_load_dword v77, off, s[0:3], 0 offset:300
	buffer_load_dword v176, off, s[0:3], 0 offset:184
	buffer_load_dword v177, off, s[0:3], 0 offset:192
	buffer_load_dword v178, off, s[0:3], 0 offset:200
	buffer_load_dword v179, off, s[0:3], 0 offset:208
	buffer_load_dword v180, off, s[0:3], 0 offset:216
	buffer_load_dword v181, off, s[0:3], 0 offset:224
	buffer_load_dword v182, off, s[0:3], 0 offset:232
	buffer_load_dword v183, off, s[0:3], 0 offset:240
	buffer_load_dword v184, off, s[0:3], 0 offset:248
	buffer_load_dword v185, off, s[0:3], 0 offset:256
	buffer_load_dword v186, off, s[0:3], 0 offset:264
	buffer_load_dword v187, off, s[0:3], 0 offset:272
	buffer_load_dword v188, off, s[0:3], 0 offset:280
	buffer_load_dword v189, off, s[0:3], 0 offset:288
	buffer_load_dword v190, off, s[0:3], 0 offset:296
	buffer_load_dword v191, off, s[0:3], 0 offset:308
	buffer_load_dword v192, off, s[0:3], 0 offset:304
	buffer_load_dword v193, off, s[0:3], 0 offset:316
	buffer_load_dword v194, off, s[0:3], 0 offset:312
	buffer_load_dword v195, off, s[0:3], 0 offset:324
	buffer_load_dword v196, off, s[0:3], 0 offset:320
	buffer_load_dword v46, off, s[0:3], 0 offset:176
	buffer_load_dword v47, off, s[0:3], 0 offset:180
	ds_read2_b64 v[6:9], v4 offset0:73 offset1:74
	ds_read2_b64 v[10:13], v4 offset0:75 offset1:76
	;; [unrolled: 1-line block ×8, first 2 shown]
	buffer_load_dword v49, off, s[0:3], 0 offset:332
	buffer_load_dword v48, off, s[0:3], 0 offset:328
	;; [unrolled: 1-line block ×4, first 2 shown]
	v_cmp_lt_u32_e32 vcc, 21, v0
	s_waitcnt vmcnt(41) lgkmcnt(7)
	v_mul_f32_e32 v38, v6, v1
	s_waitcnt vmcnt(40)
	v_mul_f32_e32 v39, v8, v2
	s_waitcnt vmcnt(39) lgkmcnt(6)
	v_mul_f32_e32 v40, v10, v3
	s_waitcnt vmcnt(38)
	v_mul_f32_e32 v41, v12, v5
	;; [unrolled: 4-line block ×7, first 2 shown]
	s_waitcnt vmcnt(27) lgkmcnt(0)
	v_mul_f32_e32 v59, v34, v77
	s_waitcnt vmcnt(26)
	v_fmac_f32_e32 v38, v7, v176
	s_waitcnt vmcnt(25)
	v_fmac_f32_e32 v39, v9, v177
	v_add_f32_e32 v38, 0, v38
	s_waitcnt vmcnt(24)
	v_fmac_f32_e32 v40, v11, v178
	v_add_f32_e32 v38, v38, v39
	;; [unrolled: 3-line block ×13, first 2 shown]
	v_add_f32_e32 v38, v38, v57
	buffer_load_dword v53, off, s[0:3], 0 offset:356
	buffer_load_dword v52, off, s[0:3], 0 offset:352
	;; [unrolled: 1-line block ×6, first 2 shown]
	s_waitcnt vmcnt(18)
	v_fmac_f32_e32 v59, v35, v190
	s_waitcnt vmcnt(17)
	v_mul_f32_e32 v43, v36, v191
	v_add_f32_e32 v42, v38, v59
	s_waitcnt vmcnt(16)
	v_fmac_f32_e32 v43, v37, v192
	ds_read2_b64 v[38:41], v4 offset0:89 offset1:90
	v_add_f32_e32 v59, v42, v43
	ds_read2_b64 v[42:45], v4 offset0:91 offset1:92
	buffer_load_dword v65, off, s[0:3], 0 offset:388
	buffer_load_dword v64, off, s[0:3], 0 offset:384
	;; [unrolled: 1-line block ×6, first 2 shown]
	v_mul_f32_e32 v1, v7, v1
	v_fma_f32 v1, v6, v176, -v1
	v_mul_f32_e32 v2, v9, v2
	v_add_f32_e32 v1, 0, v1
	v_fma_f32 v2, v8, v177, -v2
	v_add_f32_e32 v1, v1, v2
	v_mul_f32_e32 v2, v11, v3
	v_fma_f32 v2, v10, v178, -v2
	v_add_f32_e32 v1, v1, v2
	v_mul_f32_e32 v2, v13, v5
	;; [unrolled: 3-line block ×14, first 2 shown]
	v_fma_f32 v2, v36, v192, -v2
	s_waitcnt vmcnt(15)
	v_mov_b32_e32 v16, v49
	s_waitcnt lgkmcnt(1)
	v_mul_f32_e32 v61, v38, v193
	v_add_f32_e32 v58, v1, v2
	v_mul_f32_e32 v1, v39, v193
	s_waitcnt lgkmcnt(0)
	v_pk_mul_f32 v[16:17], v[42:43], v[16:17] op_sel_hi:[1,0]
	v_fmac_f32_e32 v61, v39, v194
	v_mul_f32_e32 v63, v40, v195
	v_fma_f32 v60, v38, v194, -v1
	v_mul_f32_e32 v1, v41, v195
	s_waitcnt vmcnt(14)
	v_pk_fma_f32 v[18:19], v[42:43], v[48:49], v[16:17] op_sel:[0,0,1] op_sel_hi:[1,1,0] neg_lo:[0,0,1] neg_hi:[0,0,1]
	v_pk_fma_f32 v[16:17], v[42:43], v[48:49], v[16:17] op_sel:[0,0,1] op_sel_hi:[1,0,0]
	v_fmac_f32_e32 v63, v41, v196
	v_fma_f32 v62, v40, v196, -v1
	v_pk_add_f32 v[14:15], v[58:59], v[60:61]
	ds_read2_b64 v[6:9], v4 offset0:93 offset1:94
	ds_read2_b64 v[10:13], v4 offset0:95 offset1:96
	;; [unrolled: 1-line block ×3, first 2 shown]
	v_pk_add_f32 v[14:15], v[14:15], v[62:63]
	v_mov_b32_e32 v19, v17
	v_pk_add_f32 v[14:15], v[14:15], v[18:19]
	s_waitcnt vmcnt(7)
	v_mov_b32_e32 v16, v57
	v_pk_mul_f32 v[16:17], v[44:45], v[16:17] op_sel_hi:[1,0]
	s_waitcnt vmcnt(6)
	v_pk_fma_f32 v[18:19], v[44:45], v[56:57], v[16:17] op_sel:[0,0,1] op_sel_hi:[1,1,0] neg_lo:[0,0,1] neg_hi:[0,0,1]
	v_pk_fma_f32 v[16:17], v[44:45], v[56:57], v[16:17] op_sel:[0,0,1] op_sel_hi:[1,0,0]
	v_mov_b32_e32 v16, v55
	v_mov_b32_e32 v19, v17
	s_waitcnt lgkmcnt(2)
	v_pk_mul_f32 v[16:17], v[6:7], v[16:17] op_sel_hi:[1,0]
	v_pk_add_f32 v[14:15], v[14:15], v[18:19]
	v_pk_fma_f32 v[18:19], v[6:7], v[54:55], v[16:17] op_sel:[0,0,1] op_sel_hi:[1,1,0] neg_lo:[0,0,1] neg_hi:[0,0,1]
	v_pk_fma_f32 v[6:7], v[6:7], v[54:55], v[16:17] op_sel:[0,0,1] op_sel_hi:[1,0,0]
	v_mov_b32_e32 v19, v7
	v_pk_add_f32 v[6:7], v[14:15], v[18:19]
	v_mov_b32_e32 v14, v53
	v_pk_mul_f32 v[14:15], v[8:9], v[14:15] op_sel_hi:[1,0]
	v_pk_fma_f32 v[16:17], v[8:9], v[52:53], v[14:15] op_sel:[0,0,1] op_sel_hi:[1,1,0] neg_lo:[0,0,1] neg_hi:[0,0,1]
	v_pk_fma_f32 v[8:9], v[8:9], v[52:53], v[14:15] op_sel:[0,0,1] op_sel_hi:[1,0,0]
	v_mov_b32_e32 v8, v51
	v_mov_b32_e32 v17, v9
	s_waitcnt lgkmcnt(1)
	v_pk_mul_f32 v[8:9], v[10:11], v[8:9] op_sel_hi:[1,0]
	v_pk_fma_f32 v[14:15], v[10:11], v[50:51], v[8:9] op_sel:[0,0,1] op_sel_hi:[1,1,0] neg_lo:[0,0,1] neg_hi:[0,0,1]
	v_pk_fma_f32 v[8:9], v[10:11], v[50:51], v[8:9] op_sel:[0,0,1] op_sel_hi:[1,0,0]
	s_waitcnt vmcnt(1)
	v_mov_b32_e32 v8, v69
	v_mov_b32_e32 v15, v9
	v_pk_mul_f32 v[8:9], v[12:13], v[8:9] op_sel_hi:[1,0]
	s_waitcnt vmcnt(0)
	v_pk_fma_f32 v[10:11], v[12:13], v[68:69], v[8:9] op_sel:[0,0,1] op_sel_hi:[1,1,0] neg_lo:[0,0,1] neg_hi:[0,0,1]
	v_pk_fma_f32 v[8:9], v[12:13], v[68:69], v[8:9] op_sel:[0,0,1] op_sel_hi:[1,0,0]
	v_pk_add_f32 v[6:7], v[6:7], v[16:17]
	v_mov_b32_e32 v8, v67
	v_pk_add_f32 v[6:7], v[6:7], v[14:15]
	v_mov_b32_e32 v11, v9
	s_waitcnt lgkmcnt(0)
	v_pk_mul_f32 v[8:9], v[2:3], v[8:9] op_sel_hi:[1,0]
	v_pk_add_f32 v[6:7], v[6:7], v[10:11]
	v_pk_fma_f32 v[10:11], v[2:3], v[66:67], v[8:9] op_sel:[0,0,1] op_sel_hi:[1,1,0] neg_lo:[0,0,1] neg_hi:[0,0,1]
	v_pk_fma_f32 v[2:3], v[2:3], v[66:67], v[8:9] op_sel:[0,0,1] op_sel_hi:[1,0,0]
	v_mov_b32_e32 v11, v3
	v_pk_add_f32 v[2:3], v[6:7], v[10:11]
	v_mov_b32_e32 v6, v65
	v_pk_mul_f32 v[6:7], v[4:5], v[6:7] op_sel_hi:[1,0]
	v_pk_fma_f32 v[8:9], v[4:5], v[64:65], v[6:7] op_sel:[0,0,1] op_sel_hi:[1,1,0] neg_lo:[0,0,1] neg_hi:[0,0,1]
	v_pk_fma_f32 v[4:5], v[4:5], v[64:65], v[6:7] op_sel:[0,0,1] op_sel_hi:[1,0,0]
	v_mov_b32_e32 v9, v5
	v_pk_add_f32 v[2:3], v[2:3], v[8:9]
	v_pk_add_f32 v[2:3], v[46:47], v[2:3] neg_lo:[0,1] neg_hi:[0,1]
	buffer_store_dword v3, off, s[0:3], 0 offset:180
	buffer_store_dword v2, off, s[0:3], 0 offset:176
	s_and_saveexec_b64 s[4:5], vcc
	s_cbranch_execz .LBB112_265
; %bb.264:
	buffer_load_dword v2, off, s[0:3], 0 offset:168
	buffer_load_dword v3, off, s[0:3], 0 offset:172
	v_mov_b32_e32 v1, 0
	v_accvgpr_read_b32 v4, a24
	buffer_store_dword v1, off, s[0:3], 0 offset:168
	buffer_store_dword v1, off, s[0:3], 0 offset:172
	s_waitcnt vmcnt(2)
	ds_write_b64 v4, v[2:3]
.LBB112_265:
	s_or_b64 exec, exec, s[4:5]
	s_waitcnt lgkmcnt(0)
	; wave barrier
	s_waitcnt lgkmcnt(0)
	buffer_load_dword v1, off, s[0:3], 0 offset:180
	buffer_load_dword v5, off, s[0:3], 0 offset:188
	;; [unrolled: 1-line block ×40, first 2 shown]
	v_mov_b32_e32 v4, 0
	ds_read_b128 v[6:9], v4 offset:576
	ds_read_b128 v[10:13], v4 offset:592
	;; [unrolled: 1-line block ×8, first 2 shown]
	v_cmp_lt_u32_e32 vcc, 20, v0
	s_waitcnt vmcnt(39) lgkmcnt(7)
	v_mul_f32_e32 v38, v6, v1
	s_waitcnt vmcnt(38)
	v_mul_f32_e32 v39, v8, v5
	s_waitcnt vmcnt(37) lgkmcnt(6)
	v_mul_f32_e32 v40, v10, v54
	s_waitcnt vmcnt(36)
	v_mul_f32_e32 v41, v12, v56
	;; [unrolled: 4-line block ×8, first 2 shown]
	s_waitcnt vmcnt(23)
	v_fmac_f32_e32 v38, v7, v177
	s_waitcnt vmcnt(22)
	v_fmac_f32_e32 v39, v9, v178
	v_add_f32_e32 v38, 0, v38
	s_waitcnt vmcnt(21)
	v_fmac_f32_e32 v40, v11, v179
	v_add_f32_e32 v38, v38, v39
	;; [unrolled: 3-line block ×14, first 2 shown]
	v_add_f32_e32 v38, v38, v52
	s_waitcnt vmcnt(8)
	v_fmac_f32_e32 v53, v37, v192
	v_add_f32_e32 v55, v38, v53
	ds_read_b128 v[38:41], v4 offset:704
	buffer_load_dword v47, off, s[0:3], 0 offset:332
	buffer_load_dword v49, off, s[0:3], 0 offset:356
	;; [unrolled: 1-line block ×8, first 2 shown]
	ds_read_b128 v[42:45], v4 offset:720
	buffer_load_dword v61, off, s[0:3], 0 offset:388
	buffer_load_dword v60, off, s[0:3], 0 offset:384
	;; [unrolled: 1-line block ×8, first 2 shown]
	v_mul_f32_e32 v1, v7, v1
	v_fma_f32 v1, v6, v177, -v1
	v_mul_f32_e32 v5, v9, v5
	v_add_f32_e32 v1, 0, v1
	v_fma_f32 v5, v8, v178, -v5
	v_add_f32_e32 v1, v1, v5
	v_mul_f32_e32 v5, v11, v54
	v_fma_f32 v5, v10, v179, -v5
	v_add_f32_e32 v1, v1, v5
	v_mul_f32_e32 v5, v13, v56
	;; [unrolled: 3-line block ×14, first 2 shown]
	v_fma_f32 v5, v36, v192, -v5
	s_waitcnt vmcnt(23) lgkmcnt(1)
	v_mul_f32_e32 v57, v38, v193
	v_add_f32_e32 v1, v1, v5
	v_mul_f32_e32 v5, v39, v193
	s_waitcnt vmcnt(22)
	v_fmac_f32_e32 v57, v39, v194
	v_fma_f32 v5, v38, v194, -v5
	v_add_f32_e32 v55, v55, v57
	s_waitcnt vmcnt(21)
	v_mul_f32_e32 v57, v40, v195
	v_add_f32_e32 v54, v1, v5
	v_mul_f32_e32 v1, v41, v195
	s_waitcnt vmcnt(20)
	v_fmac_f32_e32 v57, v41, v196
	s_waitcnt vmcnt(19) lgkmcnt(0)
	v_mul_f32_e32 v59, v42, v197
	v_fma_f32 v56, v40, v196, -v1
	v_mul_f32_e32 v1, v43, v197
	ds_read_b128 v[6:9], v4 offset:736
	ds_read_b128 v[10:13], v4 offset:752
	ds_read_b128 v[14:17], v4 offset:768
	ds_read_b64 v[18:19], v4 offset:784
	s_waitcnt vmcnt(18)
	v_fmac_f32_e32 v59, v43, v198
	v_fma_f32 v58, v42, v198, -v1
	v_pk_add_f32 v[20:21], v[54:55], v[56:57]
	v_pk_add_f32 v[20:21], v[20:21], v[58:59]
	s_waitcnt vmcnt(15)
	v_mov_b32_e32 v22, v47
	v_pk_mul_f32 v[22:23], v[44:45], v[22:23] op_sel_hi:[1,0]
	s_waitcnt vmcnt(8)
	v_pk_fma_f32 v[24:25], v[44:45], v[46:47], v[22:23] op_sel:[0,0,1] op_sel_hi:[1,1,0] neg_lo:[0,0,1] neg_hi:[0,0,1]
	v_pk_fma_f32 v[22:23], v[44:45], v[46:47], v[22:23] op_sel:[0,0,1] op_sel_hi:[1,0,0]
	v_mov_b32_e32 v22, v53
	v_mov_b32_e32 v25, v23
	s_waitcnt lgkmcnt(3)
	v_pk_mul_f32 v[22:23], v[6:7], v[22:23] op_sel_hi:[1,0]
	v_pk_add_f32 v[20:21], v[20:21], v[24:25]
	v_pk_fma_f32 v[24:25], v[6:7], v[52:53], v[22:23] op_sel:[0,0,1] op_sel_hi:[1,1,0] neg_lo:[0,0,1] neg_hi:[0,0,1]
	v_pk_fma_f32 v[6:7], v[6:7], v[52:53], v[22:23] op_sel:[0,0,1] op_sel_hi:[1,0,0]
	v_mov_b32_e32 v25, v7
	v_pk_add_f32 v[6:7], v[20:21], v[24:25]
	v_mov_b32_e32 v20, v51
	v_pk_mul_f32 v[20:21], v[8:9], v[20:21] op_sel_hi:[1,0]
	v_pk_fma_f32 v[22:23], v[8:9], v[50:51], v[20:21] op_sel:[0,0,1] op_sel_hi:[1,1,0] neg_lo:[0,0,1] neg_hi:[0,0,1]
	v_pk_fma_f32 v[8:9], v[8:9], v[50:51], v[20:21] op_sel:[0,0,1] op_sel_hi:[1,0,0]
	v_mov_b32_e32 v8, v49
	v_mov_b32_e32 v23, v9
	s_waitcnt lgkmcnt(2)
	v_pk_mul_f32 v[8:9], v[10:11], v[8:9] op_sel_hi:[1,0]
	v_pk_fma_f32 v[20:21], v[10:11], v[48:49], v[8:9] op_sel:[0,0,1] op_sel_hi:[1,1,0] neg_lo:[0,0,1] neg_hi:[0,0,1]
	v_pk_fma_f32 v[8:9], v[10:11], v[48:49], v[8:9] op_sel:[0,0,1] op_sel_hi:[1,0,0]
	s_waitcnt vmcnt(1)
	v_mov_b32_e32 v8, v67
	v_mov_b32_e32 v21, v9
	v_pk_mul_f32 v[8:9], v[12:13], v[8:9] op_sel_hi:[1,0]
	s_waitcnt vmcnt(0)
	v_pk_fma_f32 v[10:11], v[12:13], v[66:67], v[8:9] op_sel:[0,0,1] op_sel_hi:[1,1,0] neg_lo:[0,0,1] neg_hi:[0,0,1]
	v_pk_fma_f32 v[8:9], v[12:13], v[66:67], v[8:9] op_sel:[0,0,1] op_sel_hi:[1,0,0]
	v_pk_add_f32 v[6:7], v[6:7], v[22:23]
	v_mov_b32_e32 v8, v65
	v_pk_add_f32 v[6:7], v[6:7], v[20:21]
	v_mov_b32_e32 v11, v9
	s_waitcnt lgkmcnt(1)
	v_pk_mul_f32 v[8:9], v[14:15], v[8:9] op_sel_hi:[1,0]
	v_pk_add_f32 v[6:7], v[6:7], v[10:11]
	v_pk_fma_f32 v[10:11], v[14:15], v[64:65], v[8:9] op_sel:[0,0,1] op_sel_hi:[1,1,0] neg_lo:[0,0,1] neg_hi:[0,0,1]
	v_pk_fma_f32 v[8:9], v[14:15], v[64:65], v[8:9] op_sel:[0,0,1] op_sel_hi:[1,0,0]
	v_mov_b32_e32 v8, v63
	v_mov_b32_e32 v11, v9
	v_pk_mul_f32 v[8:9], v[16:17], v[8:9] op_sel_hi:[1,0]
	v_pk_add_f32 v[6:7], v[6:7], v[10:11]
	v_pk_fma_f32 v[10:11], v[16:17], v[62:63], v[8:9] op_sel:[0,0,1] op_sel_hi:[1,1,0] neg_lo:[0,0,1] neg_hi:[0,0,1]
	v_pk_fma_f32 v[8:9], v[16:17], v[62:63], v[8:9] op_sel:[0,0,1] op_sel_hi:[1,0,0]
	v_mov_b32_e32 v8, v61
	v_mov_b32_e32 v11, v9
	s_waitcnt lgkmcnt(0)
	v_pk_mul_f32 v[8:9], v[18:19], v[8:9] op_sel_hi:[1,0]
	v_pk_add_f32 v[6:7], v[6:7], v[10:11]
	v_pk_fma_f32 v[10:11], v[18:19], v[60:61], v[8:9] op_sel:[0,0,1] op_sel_hi:[1,1,0] neg_lo:[0,0,1] neg_hi:[0,0,1]
	v_pk_fma_f32 v[8:9], v[18:19], v[60:61], v[8:9] op_sel:[0,0,1] op_sel_hi:[1,0,0]
	v_mov_b32_e32 v11, v9
	v_pk_add_f32 v[6:7], v[6:7], v[10:11]
	v_pk_add_f32 v[2:3], v[2:3], v[6:7] neg_lo:[0,1] neg_hi:[0,1]
	buffer_store_dword v3, off, s[0:3], 0 offset:172
	buffer_store_dword v2, off, s[0:3], 0 offset:168
	s_and_saveexec_b64 s[4:5], vcc
	s_cbranch_execz .LBB112_267
; %bb.266:
	buffer_load_dword v2, off, s[0:3], 0 offset:160
	buffer_load_dword v3, off, s[0:3], 0 offset:164
	v_accvgpr_read_b32 v1, a24
	buffer_store_dword v4, off, s[0:3], 0 offset:160
	buffer_store_dword v4, off, s[0:3], 0 offset:164
	s_waitcnt vmcnt(2)
	ds_write_b64 v1, v[2:3]
.LBB112_267:
	s_or_b64 exec, exec, s[4:5]
	s_waitcnt lgkmcnt(0)
	; wave barrier
	s_waitcnt lgkmcnt(0)
	buffer_load_dword v1, off, s[0:3], 0 offset:172
	buffer_load_dword v5, off, s[0:3], 0 offset:180
	;; [unrolled: 1-line block ×42, first 2 shown]
	ds_read2_b64 v[6:9], v4 offset0:71 offset1:72
	ds_read2_b64 v[10:13], v4 offset0:73 offset1:74
	;; [unrolled: 1-line block ×8, first 2 shown]
	v_cmp_lt_u32_e32 vcc, 19, v0
	s_waitcnt vmcnt(41) lgkmcnt(7)
	v_mul_f32_e32 v38, v6, v1
	s_waitcnt vmcnt(40)
	v_mul_f32_e32 v39, v8, v5
	s_waitcnt vmcnt(39) lgkmcnt(6)
	v_mul_f32_e32 v40, v10, v46
	s_waitcnt vmcnt(38)
	v_mul_f32_e32 v41, v12, v48
	;; [unrolled: 4-line block ×7, first 2 shown]
	s_waitcnt vmcnt(27) lgkmcnt(0)
	v_mul_f32_e32 v54, v34, v77
	s_waitcnt vmcnt(26)
	v_fmac_f32_e32 v38, v7, v176
	s_waitcnt vmcnt(25)
	v_fmac_f32_e32 v39, v9, v177
	v_add_f32_e32 v38, 0, v38
	s_waitcnt vmcnt(24)
	v_fmac_f32_e32 v40, v11, v178
	v_add_f32_e32 v38, v38, v39
	;; [unrolled: 3-line block ×14, first 2 shown]
	s_waitcnt vmcnt(11)
	v_mul_f32_e32 v43, v36, v191
	v_add_f32_e32 v42, v38, v54
	s_waitcnt vmcnt(10)
	v_fmac_f32_e32 v43, v37, v192
	ds_read2_b64 v[38:41], v4 offset0:87 offset1:88
	v_add_f32_e32 v47, v42, v43
	ds_read2_b64 v[42:45], v4 offset0:89 offset1:90
	buffer_load_dword v51, off, s[0:3], 0 offset:332
	buffer_load_dword v53, off, s[0:3], 0 offset:348
	;; [unrolled: 1-line block ×16, first 2 shown]
	v_mul_f32_e32 v1, v7, v1
	v_fma_f32 v1, v6, v176, -v1
	v_mul_f32_e32 v5, v9, v5
	v_add_f32_e32 v1, 0, v1
	v_fma_f32 v5, v8, v177, -v5
	v_add_f32_e32 v1, v1, v5
	v_mul_f32_e32 v5, v11, v46
	v_fma_f32 v5, v10, v178, -v5
	v_add_f32_e32 v1, v1, v5
	v_mul_f32_e32 v5, v13, v48
	;; [unrolled: 3-line block ×14, first 2 shown]
	ds_read2_b64 v[6:9], v4 offset0:91 offset1:92
	ds_read2_b64 v[10:13], v4 offset0:93 offset1:94
	;; [unrolled: 1-line block ×4, first 2 shown]
	v_fma_f32 v5, v36, v192, -v5
	s_waitcnt vmcnt(25) lgkmcnt(5)
	v_mul_f32_e32 v49, v38, v193
	v_add_f32_e32 v1, v1, v5
	v_mul_f32_e32 v5, v39, v193
	s_waitcnt vmcnt(24)
	v_fmac_f32_e32 v49, v39, v194
	v_fma_f32 v5, v38, v194, -v5
	v_add_f32_e32 v47, v47, v49
	s_waitcnt vmcnt(23)
	v_mul_f32_e32 v49, v40, v195
	v_add_f32_e32 v1, v1, v5
	v_mul_f32_e32 v5, v41, v195
	s_waitcnt vmcnt(22)
	v_fmac_f32_e32 v49, v41, v196
	v_fma_f32 v5, v40, v196, -v5
	v_add_f32_e32 v47, v47, v49
	s_waitcnt vmcnt(21) lgkmcnt(4)
	v_mul_f32_e32 v49, v42, v197
	v_add_f32_e32 v46, v1, v5
	v_mul_f32_e32 v1, v43, v197
	s_waitcnt vmcnt(20)
	v_fmac_f32_e32 v49, v43, v198
	s_waitcnt vmcnt(19)
	v_mul_f32_e32 v57, v44, v199
	v_fma_f32 v48, v42, v198, -v1
	v_mul_f32_e32 v1, v45, v199
	s_waitcnt vmcnt(18)
	v_fmac_f32_e32 v57, v45, v200
	v_fma_f32 v56, v44, v200, -v1
	v_pk_add_f32 v[4:5], v[46:47], v[48:49]
	v_pk_add_f32 v[4:5], v[4:5], v[56:57]
	s_waitcnt vmcnt(15)
	v_mov_b32_e32 v22, v51
	s_waitcnt lgkmcnt(3)
	v_pk_mul_f32 v[22:23], v[6:7], v[22:23] op_sel_hi:[1,0]
	s_waitcnt vmcnt(10)
	v_pk_fma_f32 v[24:25], v[6:7], v[50:51], v[22:23] op_sel:[0,0,1] op_sel_hi:[1,1,0] neg_lo:[0,0,1] neg_hi:[0,0,1]
	v_pk_fma_f32 v[6:7], v[6:7], v[50:51], v[22:23] op_sel:[0,0,1] op_sel_hi:[1,0,0]
	v_mov_b32_e32 v6, v55
	v_mov_b32_e32 v25, v7
	v_pk_mul_f32 v[6:7], v[8:9], v[6:7] op_sel_hi:[1,0]
	v_pk_fma_f32 v[22:23], v[8:9], v[54:55], v[6:7] op_sel:[0,0,1] op_sel_hi:[1,1,0] neg_lo:[0,0,1] neg_hi:[0,0,1]
	v_pk_fma_f32 v[6:7], v[8:9], v[54:55], v[6:7] op_sel:[0,0,1] op_sel_hi:[1,0,0]
	v_mov_b32_e32 v6, v53
	v_mov_b32_e32 v23, v7
	s_waitcnt lgkmcnt(2)
	v_pk_mul_f32 v[6:7], v[10:11], v[6:7] op_sel_hi:[1,0]
	v_pk_fma_f32 v[8:9], v[10:11], v[52:53], v[6:7] op_sel:[0,0,1] op_sel_hi:[1,1,0] neg_lo:[0,0,1] neg_hi:[0,0,1]
	v_pk_fma_f32 v[6:7], v[10:11], v[52:53], v[6:7] op_sel:[0,0,1] op_sel_hi:[1,0,0]
	v_pk_add_f32 v[4:5], v[4:5], v[24:25]
	s_waitcnt vmcnt(3)
	v_mov_b32_e32 v6, v65
	v_pk_add_f32 v[4:5], v[4:5], v[22:23]
	v_mov_b32_e32 v9, v7
	v_pk_mul_f32 v[6:7], v[12:13], v[6:7] op_sel_hi:[1,0]
	v_pk_add_f32 v[4:5], v[4:5], v[8:9]
	s_waitcnt vmcnt(2)
	v_pk_fma_f32 v[8:9], v[12:13], v[64:65], v[6:7] op_sel:[0,0,1] op_sel_hi:[1,1,0] neg_lo:[0,0,1] neg_hi:[0,0,1]
	v_pk_fma_f32 v[6:7], v[12:13], v[64:65], v[6:7] op_sel:[0,0,1] op_sel_hi:[1,0,0]
	v_mov_b32_e32 v6, v63
	v_mov_b32_e32 v9, v7
	s_waitcnt lgkmcnt(1)
	v_pk_mul_f32 v[6:7], v[14:15], v[6:7] op_sel_hi:[1,0]
	v_pk_add_f32 v[4:5], v[4:5], v[8:9]
	v_pk_fma_f32 v[8:9], v[14:15], v[62:63], v[6:7] op_sel:[0,0,1] op_sel_hi:[1,1,0] neg_lo:[0,0,1] neg_hi:[0,0,1]
	v_pk_fma_f32 v[6:7], v[14:15], v[62:63], v[6:7] op_sel:[0,0,1] op_sel_hi:[1,0,0]
	v_mov_b32_e32 v6, v61
	v_mov_b32_e32 v9, v7
	v_pk_mul_f32 v[6:7], v[16:17], v[6:7] op_sel_hi:[1,0]
	v_pk_add_f32 v[4:5], v[4:5], v[8:9]
	v_pk_fma_f32 v[8:9], v[16:17], v[60:61], v[6:7] op_sel:[0,0,1] op_sel_hi:[1,1,0] neg_lo:[0,0,1] neg_hi:[0,0,1]
	v_pk_fma_f32 v[6:7], v[16:17], v[60:61], v[6:7] op_sel:[0,0,1] op_sel_hi:[1,0,0]
	v_mov_b32_e32 v6, v59
	v_mov_b32_e32 v9, v7
	s_waitcnt lgkmcnt(0)
	v_pk_mul_f32 v[6:7], v[18:19], v[6:7] op_sel_hi:[1,0]
	v_pk_add_f32 v[4:5], v[4:5], v[8:9]
	v_pk_fma_f32 v[8:9], v[18:19], v[58:59], v[6:7] op_sel:[0,0,1] op_sel_hi:[1,1,0] neg_lo:[0,0,1] neg_hi:[0,0,1]
	v_pk_fma_f32 v[6:7], v[18:19], v[58:59], v[6:7] op_sel:[0,0,1] op_sel_hi:[1,0,0]
	s_waitcnt vmcnt(1)
	v_mov_b32_e32 v6, v67
	v_mov_b32_e32 v9, v7
	v_pk_mul_f32 v[6:7], v[20:21], v[6:7] op_sel_hi:[1,0]
	v_pk_add_f32 v[4:5], v[4:5], v[8:9]
	s_waitcnt vmcnt(0)
	v_pk_fma_f32 v[8:9], v[20:21], v[66:67], v[6:7] op_sel:[0,0,1] op_sel_hi:[1,1,0] neg_lo:[0,0,1] neg_hi:[0,0,1]
	v_pk_fma_f32 v[6:7], v[20:21], v[66:67], v[6:7] op_sel:[0,0,1] op_sel_hi:[1,0,0]
	v_mov_b32_e32 v9, v7
	v_pk_add_f32 v[4:5], v[4:5], v[8:9]
	v_pk_add_f32 v[2:3], v[2:3], v[4:5] neg_lo:[0,1] neg_hi:[0,1]
	buffer_store_dword v3, off, s[0:3], 0 offset:164
	buffer_store_dword v2, off, s[0:3], 0 offset:160
	s_and_saveexec_b64 s[4:5], vcc
	s_cbranch_execz .LBB112_269
; %bb.268:
	buffer_load_dword v2, off, s[0:3], 0 offset:152
	buffer_load_dword v3, off, s[0:3], 0 offset:156
	v_mov_b32_e32 v1, 0
	v_accvgpr_read_b32 v4, a24
	buffer_store_dword v1, off, s[0:3], 0 offset:152
	buffer_store_dword v1, off, s[0:3], 0 offset:156
	s_waitcnt vmcnt(2)
	ds_write_b64 v4, v[2:3]
.LBB112_269:
	s_or_b64 exec, exec, s[4:5]
	s_waitcnt lgkmcnt(0)
	; wave barrier
	s_waitcnt lgkmcnt(0)
	buffer_load_dword v1, off, s[0:3], 0 offset:164
	buffer_load_dword v5, off, s[0:3], 0 offset:172
	;; [unrolled: 1-line block ×44, first 2 shown]
	v_mov_b32_e32 v4, 0
	ds_read_b128 v[6:9], v4 offset:560
	ds_read_b128 v[10:13], v4 offset:576
	;; [unrolled: 1-line block ×8, first 2 shown]
	v_cmp_lt_u32_e32 vcc, 18, v0
	s_waitcnt vmcnt(43) lgkmcnt(7)
	v_mul_f32_e32 v38, v6, v1
	s_waitcnt vmcnt(42)
	v_mul_f32_e32 v39, v8, v5
	s_waitcnt vmcnt(41) lgkmcnt(6)
	v_mul_f32_e32 v40, v10, v54
	s_waitcnt vmcnt(40)
	v_mul_f32_e32 v41, v12, v60
	s_waitcnt vmcnt(39) lgkmcnt(5)
	v_mul_f32_e32 v42, v14, v62
	s_waitcnt vmcnt(38)
	v_mul_f32_e32 v43, v16, v76
	s_waitcnt vmcnt(37) lgkmcnt(4)
	v_mul_f32_e32 v44, v18, v77
	s_waitcnt vmcnt(36)
	v_mul_f32_e32 v45, v20, v176
	s_waitcnt vmcnt(35) lgkmcnt(3)
	v_mul_f32_e32 v46, v22, v177
	s_waitcnt vmcnt(34)
	v_mul_f32_e32 v47, v24, v178
	s_waitcnt vmcnt(33) lgkmcnt(2)
	v_mul_f32_e32 v48, v26, v179
	s_waitcnt vmcnt(32)
	v_mul_f32_e32 v49, v28, v180
	s_waitcnt vmcnt(31) lgkmcnt(1)
	v_mul_f32_e32 v50, v30, v181
	s_waitcnt vmcnt(30)
	v_mul_f32_e32 v51, v32, v182
	s_waitcnt vmcnt(29)
	v_fmac_f32_e32 v38, v7, v183
	s_waitcnt vmcnt(28)
	v_fmac_f32_e32 v39, v9, v184
	v_add_f32_e32 v38, 0, v38
	s_waitcnt vmcnt(27)
	v_fmac_f32_e32 v40, v11, v185
	v_add_f32_e32 v38, v38, v39
	;; [unrolled: 3-line block ×12, first 2 shown]
	v_add_f32_e32 v38, v38, v50
	s_waitcnt vmcnt(16)
	v_fmac_f32_e32 v51, v33, v196
	s_waitcnt vmcnt(15) lgkmcnt(0)
	v_mul_f32_e32 v39, v34, v197
	v_add_f32_e32 v38, v38, v51
	s_waitcnt vmcnt(14)
	v_fmac_f32_e32 v39, v35, v198
	v_add_f32_e32 v42, v38, v39
	ds_read_b128 v[38:41], v4 offset:688
	s_waitcnt vmcnt(13)
	v_mul_f32_e32 v43, v36, v199
	s_waitcnt vmcnt(12)
	v_fmac_f32_e32 v43, v37, v200
	v_add_f32_e32 v46, v42, v43
	ds_read_b128 v[42:45], v4 offset:704
	s_waitcnt vmcnt(11) lgkmcnt(1)
	v_mul_f32_e32 v47, v38, v201
	s_waitcnt vmcnt(10)
	v_fmac_f32_e32 v47, v39, v202
	v_add_f32_e32 v46, v46, v47
	s_waitcnt vmcnt(9)
	v_mul_f32_e32 v47, v40, v203
	s_waitcnt vmcnt(8)
	v_fmac_f32_e32 v47, v41, v204
	v_add_f32_e32 v46, v46, v47
	s_waitcnt vmcnt(7) lgkmcnt(0)
	v_mul_f32_e32 v47, v42, v205
	s_waitcnt vmcnt(6)
	v_fmac_f32_e32 v47, v43, v206
	v_add_f32_e32 v55, v46, v47
	ds_read_b128 v[46:49], v4 offset:720
	buffer_load_dword v57, off, s[0:3], 0 offset:340
	buffer_load_dword v56, off, s[0:3], 0 offset:336
	;; [unrolled: 1-line block ×4, first 2 shown]
	ds_read_b128 v[50:53], v4 offset:736
	buffer_load_dword v65, off, s[0:3], 0 offset:372
	buffer_load_dword v64, off, s[0:3], 0 offset:368
	;; [unrolled: 1-line block ×12, first 2 shown]
	v_mul_f32_e32 v1, v7, v1
	v_fma_f32 v1, v6, v183, -v1
	v_mul_f32_e32 v5, v9, v5
	v_add_f32_e32 v1, 0, v1
	v_fma_f32 v5, v8, v184, -v5
	v_add_f32_e32 v1, v1, v5
	v_mul_f32_e32 v5, v11, v54
	v_fma_f32 v5, v10, v185, -v5
	v_add_f32_e32 v1, v1, v5
	v_mul_f32_e32 v5, v13, v60
	;; [unrolled: 3-line block ×17, first 2 shown]
	v_fma_f32 v5, v42, v206, -v5
	s_waitcnt vmcnt(21)
	v_mul_f32_e32 v61, v44, v207
	v_add_f32_e32 v54, v1, v5
	v_mul_f32_e32 v1, v45, v207
	s_waitcnt vmcnt(20)
	v_fmac_f32_e32 v61, v45, v208
	s_waitcnt vmcnt(19) lgkmcnt(1)
	v_mul_f32_e32 v63, v46, v209
	v_fma_f32 v60, v44, v208, -v1
	v_mul_f32_e32 v1, v47, v209
	s_waitcnt vmcnt(18)
	v_fmac_f32_e32 v63, v47, v210
	v_fma_f32 v62, v46, v210, -v1
	v_pk_add_f32 v[16:17], v[54:55], v[60:61]
	v_pk_add_f32 v[16:17], v[16:17], v[62:63]
	ds_read_b128 v[6:9], v4 offset:752
	ds_read_b128 v[10:13], v4 offset:768
	ds_read_b64 v[14:15], v4 offset:784
	s_waitcnt vmcnt(13)
	v_mov_b32_e32 v18, v59
	v_pk_mul_f32 v[18:19], v[48:49], v[18:19] op_sel_hi:[1,0]
	s_waitcnt vmcnt(12)
	v_pk_fma_f32 v[20:21], v[48:49], v[58:59], v[18:19] op_sel:[0,0,1] op_sel_hi:[1,1,0] neg_lo:[0,0,1] neg_hi:[0,0,1]
	v_pk_fma_f32 v[18:19], v[48:49], v[58:59], v[18:19] op_sel:[0,0,1] op_sel_hi:[1,0,0]
	v_mov_b32_e32 v18, v57
	v_mov_b32_e32 v21, v19
	s_waitcnt lgkmcnt(3)
	v_pk_mul_f32 v[18:19], v[50:51], v[18:19] op_sel_hi:[1,0]
	v_pk_add_f32 v[16:17], v[16:17], v[20:21]
	v_pk_fma_f32 v[20:21], v[50:51], v[56:57], v[18:19] op_sel:[0,0,1] op_sel_hi:[1,1,0] neg_lo:[0,0,1] neg_hi:[0,0,1]
	v_pk_fma_f32 v[18:19], v[50:51], v[56:57], v[18:19] op_sel:[0,0,1] op_sel_hi:[1,0,0]
	s_waitcnt vmcnt(5)
	v_mov_b32_e32 v18, v71
	v_mov_b32_e32 v21, v19
	v_pk_mul_f32 v[18:19], v[52:53], v[18:19] op_sel_hi:[1,0]
	v_pk_add_f32 v[16:17], v[16:17], v[20:21]
	s_waitcnt vmcnt(4)
	v_pk_fma_f32 v[20:21], v[52:53], v[70:71], v[18:19] op_sel:[0,0,1] op_sel_hi:[1,1,0] neg_lo:[0,0,1] neg_hi:[0,0,1]
	v_pk_fma_f32 v[18:19], v[52:53], v[70:71], v[18:19] op_sel:[0,0,1] op_sel_hi:[1,0,0]
	v_mov_b32_e32 v18, v69
	v_mov_b32_e32 v21, v19
	s_waitcnt lgkmcnt(2)
	v_pk_mul_f32 v[18:19], v[6:7], v[18:19] op_sel_hi:[1,0]
	v_pk_add_f32 v[16:17], v[16:17], v[20:21]
	v_pk_fma_f32 v[20:21], v[6:7], v[68:69], v[18:19] op_sel:[0,0,1] op_sel_hi:[1,1,0] neg_lo:[0,0,1] neg_hi:[0,0,1]
	v_pk_fma_f32 v[6:7], v[6:7], v[68:69], v[18:19] op_sel:[0,0,1] op_sel_hi:[1,0,0]
	v_mov_b32_e32 v21, v7
	v_pk_add_f32 v[6:7], v[16:17], v[20:21]
	v_mov_b32_e32 v16, v67
	v_pk_mul_f32 v[16:17], v[8:9], v[16:17] op_sel_hi:[1,0]
	v_pk_fma_f32 v[18:19], v[8:9], v[66:67], v[16:17] op_sel:[0,0,1] op_sel_hi:[1,1,0] neg_lo:[0,0,1] neg_hi:[0,0,1]
	v_pk_fma_f32 v[8:9], v[8:9], v[66:67], v[16:17] op_sel:[0,0,1] op_sel_hi:[1,0,0]
	v_mov_b32_e32 v8, v65
	v_mov_b32_e32 v19, v9
	s_waitcnt lgkmcnt(1)
	v_pk_mul_f32 v[8:9], v[10:11], v[8:9] op_sel_hi:[1,0]
	v_pk_fma_f32 v[16:17], v[10:11], v[64:65], v[8:9] op_sel:[0,0,1] op_sel_hi:[1,1,0] neg_lo:[0,0,1] neg_hi:[0,0,1]
	v_pk_fma_f32 v[8:9], v[10:11], v[64:65], v[8:9] op_sel:[0,0,1] op_sel_hi:[1,0,0]
	s_waitcnt vmcnt(1)
	v_mov_b32_e32 v8, v75
	v_mov_b32_e32 v17, v9
	v_pk_mul_f32 v[8:9], v[12:13], v[8:9] op_sel_hi:[1,0]
	s_waitcnt vmcnt(0)
	v_pk_fma_f32 v[10:11], v[12:13], v[74:75], v[8:9] op_sel:[0,0,1] op_sel_hi:[1,1,0] neg_lo:[0,0,1] neg_hi:[0,0,1]
	v_pk_fma_f32 v[8:9], v[12:13], v[74:75], v[8:9] op_sel:[0,0,1] op_sel_hi:[1,0,0]
	v_pk_add_f32 v[6:7], v[6:7], v[18:19]
	v_mov_b32_e32 v8, v73
	v_pk_add_f32 v[6:7], v[6:7], v[16:17]
	v_mov_b32_e32 v11, v9
	s_waitcnt lgkmcnt(0)
	v_pk_mul_f32 v[8:9], v[14:15], v[8:9] op_sel_hi:[1,0]
	v_pk_add_f32 v[6:7], v[6:7], v[10:11]
	v_pk_fma_f32 v[10:11], v[14:15], v[72:73], v[8:9] op_sel:[0,0,1] op_sel_hi:[1,1,0] neg_lo:[0,0,1] neg_hi:[0,0,1]
	v_pk_fma_f32 v[8:9], v[14:15], v[72:73], v[8:9] op_sel:[0,0,1] op_sel_hi:[1,0,0]
	v_mov_b32_e32 v11, v9
	v_pk_add_f32 v[6:7], v[6:7], v[10:11]
	v_pk_add_f32 v[2:3], v[2:3], v[6:7] neg_lo:[0,1] neg_hi:[0,1]
	buffer_store_dword v3, off, s[0:3], 0 offset:156
	buffer_store_dword v2, off, s[0:3], 0 offset:152
	s_and_saveexec_b64 s[4:5], vcc
	s_cbranch_execz .LBB112_271
; %bb.270:
	buffer_load_dword v2, off, s[0:3], 0 offset:144
	buffer_load_dword v3, off, s[0:3], 0 offset:148
	v_accvgpr_read_b32 v1, a24
	buffer_store_dword v4, off, s[0:3], 0 offset:144
	buffer_store_dword v4, off, s[0:3], 0 offset:148
	s_waitcnt vmcnt(2)
	ds_write_b64 v1, v[2:3]
.LBB112_271:
	s_or_b64 exec, exec, s[4:5]
	s_waitcnt lgkmcnt(0)
	; wave barrier
	s_waitcnt lgkmcnt(0)
	buffer_load_dword v1, off, s[0:3], 0 offset:156
	buffer_load_dword v5, off, s[0:3], 0 offset:164
	;; [unrolled: 1-line block ×46, first 2 shown]
	ds_read2_b64 v[6:9], v4 offset0:69 offset1:70
	ds_read2_b64 v[10:13], v4 offset0:71 offset1:72
	;; [unrolled: 1-line block ×8, first 2 shown]
	v_cmp_lt_u32_e32 vcc, 17, v0
	s_waitcnt vmcnt(45) lgkmcnt(7)
	v_mul_f32_e32 v38, v6, v1
	s_waitcnt vmcnt(44)
	v_mul_f32_e32 v39, v8, v5
	s_waitcnt vmcnt(43) lgkmcnt(6)
	v_mul_f32_e32 v40, v10, v56
	s_waitcnt vmcnt(42)
	v_mul_f32_e32 v41, v12, v58
	;; [unrolled: 4-line block ×6, first 2 shown]
	s_waitcnt vmcnt(33) lgkmcnt(1)
	v_mul_f32_e32 v50, v30, v181
	s_waitcnt vmcnt(32)
	v_fmac_f32_e32 v38, v7, v182
	s_waitcnt vmcnt(31)
	v_fmac_f32_e32 v39, v9, v183
	v_add_f32_e32 v38, 0, v38
	s_waitcnt vmcnt(30)
	v_fmac_f32_e32 v40, v11, v184
	v_add_f32_e32 v38, v38, v39
	;; [unrolled: 3-line block ×12, first 2 shown]
	s_waitcnt vmcnt(19)
	v_mul_f32_e32 v39, v32, v195
	v_add_f32_e32 v38, v38, v50
	s_waitcnt vmcnt(18)
	v_fmac_f32_e32 v39, v33, v196
	v_add_f32_e32 v38, v38, v39
	s_waitcnt vmcnt(17) lgkmcnt(0)
	v_mul_f32_e32 v39, v34, v197
	s_waitcnt vmcnt(16)
	v_fmac_f32_e32 v39, v35, v198
	v_add_f32_e32 v42, v38, v39
	ds_read2_b64 v[38:41], v4 offset0:85 offset1:86
	s_waitcnt vmcnt(15)
	v_mul_f32_e32 v43, v36, v199
	s_waitcnt vmcnt(14)
	v_fmac_f32_e32 v43, v37, v200
	v_add_f32_e32 v46, v42, v43
	ds_read2_b64 v[42:45], v4 offset0:87 offset1:88
	buffer_load_dword v55, off, s[0:3], 0 offset:332
	buffer_load_dword v54, off, s[0:3], 0 offset:328
	s_waitcnt vmcnt(15) lgkmcnt(1)
	v_mul_f32_e32 v47, v38, v201
	s_waitcnt vmcnt(14)
	v_fmac_f32_e32 v47, v39, v202
	v_add_f32_e32 v46, v46, v47
	s_waitcnt vmcnt(13)
	v_mul_f32_e32 v47, v40, v203
	s_waitcnt vmcnt(12)
	v_fmac_f32_e32 v47, v41, v204
	v_add_f32_e32 v46, v46, v47
	s_waitcnt vmcnt(11) lgkmcnt(0)
	v_mul_f32_e32 v47, v42, v205
	s_waitcnt vmcnt(10)
	v_fmac_f32_e32 v47, v43, v206
	s_waitcnt vmcnt(9)
	v_mul_f32_e32 v51, v44, v207
	v_add_f32_e32 v50, v46, v47
	s_waitcnt vmcnt(8)
	v_fmac_f32_e32 v51, v45, v208
	ds_read2_b64 v[46:49], v4 offset0:89 offset1:90
	v_add_f32_e32 v57, v50, v51
	ds_read2_b64 v[50:53], v4 offset0:91 offset1:92
	buffer_load_dword v63, off, s[0:3], 0 offset:364
	buffer_load_dword v62, off, s[0:3], 0 offset:360
	buffer_load_dword v65, off, s[0:3], 0 offset:356
	buffer_load_dword v64, off, s[0:3], 0 offset:352
	buffer_load_dword v67, off, s[0:3], 0 offset:348
	buffer_load_dword v66, off, s[0:3], 0 offset:344
	buffer_load_dword v69, off, s[0:3], 0 offset:340
	buffer_load_dword v68, off, s[0:3], 0 offset:336
	buffer_load_dword v71, off, s[0:3], 0 offset:388
	buffer_load_dword v70, off, s[0:3], 0 offset:384
	buffer_load_dword v73, off, s[0:3], 0 offset:380
	buffer_load_dword v72, off, s[0:3], 0 offset:376
	buffer_load_dword v75, off, s[0:3], 0 offset:372
	buffer_load_dword v74, off, s[0:3], 0 offset:368
	v_mul_f32_e32 v1, v7, v1
	v_fma_f32 v1, v6, v182, -v1
	v_mul_f32_e32 v5, v9, v5
	v_add_f32_e32 v1, 0, v1
	v_fma_f32 v5, v8, v183, -v5
	v_add_f32_e32 v1, v1, v5
	v_mul_f32_e32 v5, v11, v56
	v_fma_f32 v5, v10, v184, -v5
	v_add_f32_e32 v1, v1, v5
	v_mul_f32_e32 v5, v13, v58
	;; [unrolled: 3-line block ×18, first 2 shown]
	v_fma_f32 v5, v44, v208, -v5
	s_waitcnt vmcnt(21) lgkmcnt(1)
	v_mul_f32_e32 v59, v46, v209
	v_add_f32_e32 v56, v1, v5
	v_mul_f32_e32 v1, v47, v209
	s_waitcnt vmcnt(20)
	v_fmac_f32_e32 v59, v47, v210
	s_waitcnt vmcnt(15)
	v_mov_b32_e32 v18, v55
	s_waitcnt lgkmcnt(0)
	v_pk_mul_f32 v[18:19], v[50:51], v[18:19] op_sel_hi:[1,0]
	v_mul_f32_e32 v61, v48, v211
	v_fma_f32 v58, v46, v210, -v1
	v_mul_f32_e32 v1, v49, v211
	s_waitcnt vmcnt(14)
	v_pk_fma_f32 v[20:21], v[50:51], v[54:55], v[18:19] op_sel:[0,0,1] op_sel_hi:[1,1,0] neg_lo:[0,0,1] neg_hi:[0,0,1]
	v_pk_fma_f32 v[18:19], v[50:51], v[54:55], v[18:19] op_sel:[0,0,1] op_sel_hi:[1,0,0]
	v_fmac_f32_e32 v61, v49, v212
	v_fma_f32 v60, v48, v212, -v1
	ds_read2_b64 v[6:9], v4 offset0:93 offset1:94
	ds_read2_b64 v[10:13], v4 offset0:95 offset1:96
	;; [unrolled: 1-line block ×3, first 2 shown]
	v_pk_add_f32 v[4:5], v[56:57], v[58:59]
	s_waitcnt vmcnt(7)
	v_mov_b32_e32 v18, v69
	v_pk_add_f32 v[4:5], v[4:5], v[60:61]
	v_mov_b32_e32 v21, v19
	v_pk_mul_f32 v[18:19], v[52:53], v[18:19] op_sel_hi:[1,0]
	v_pk_add_f32 v[4:5], v[4:5], v[20:21]
	s_waitcnt vmcnt(6)
	v_pk_fma_f32 v[20:21], v[52:53], v[68:69], v[18:19] op_sel:[0,0,1] op_sel_hi:[1,1,0] neg_lo:[0,0,1] neg_hi:[0,0,1]
	v_pk_fma_f32 v[18:19], v[52:53], v[68:69], v[18:19] op_sel:[0,0,1] op_sel_hi:[1,0,0]
	v_mov_b32_e32 v18, v67
	v_mov_b32_e32 v21, v19
	s_waitcnt lgkmcnt(2)
	v_pk_mul_f32 v[18:19], v[6:7], v[18:19] op_sel_hi:[1,0]
	v_pk_add_f32 v[4:5], v[4:5], v[20:21]
	v_pk_fma_f32 v[20:21], v[6:7], v[66:67], v[18:19] op_sel:[0,0,1] op_sel_hi:[1,1,0] neg_lo:[0,0,1] neg_hi:[0,0,1]
	v_pk_fma_f32 v[6:7], v[6:7], v[66:67], v[18:19] op_sel:[0,0,1] op_sel_hi:[1,0,0]
	v_mov_b32_e32 v6, v65
	v_mov_b32_e32 v21, v7
	v_pk_mul_f32 v[6:7], v[8:9], v[6:7] op_sel_hi:[1,0]
	v_pk_fma_f32 v[18:19], v[8:9], v[64:65], v[6:7] op_sel:[0,0,1] op_sel_hi:[1,1,0] neg_lo:[0,0,1] neg_hi:[0,0,1]
	v_pk_fma_f32 v[6:7], v[8:9], v[64:65], v[6:7] op_sel:[0,0,1] op_sel_hi:[1,0,0]
	v_mov_b32_e32 v6, v63
	v_mov_b32_e32 v19, v7
	s_waitcnt lgkmcnt(1)
	v_pk_mul_f32 v[6:7], v[10:11], v[6:7] op_sel_hi:[1,0]
	v_pk_fma_f32 v[8:9], v[10:11], v[62:63], v[6:7] op_sel:[0,0,1] op_sel_hi:[1,1,0] neg_lo:[0,0,1] neg_hi:[0,0,1]
	v_pk_fma_f32 v[6:7], v[10:11], v[62:63], v[6:7] op_sel:[0,0,1] op_sel_hi:[1,0,0]
	v_pk_add_f32 v[4:5], v[4:5], v[20:21]
	s_waitcnt vmcnt(1)
	v_mov_b32_e32 v6, v75
	v_pk_add_f32 v[4:5], v[4:5], v[18:19]
	v_mov_b32_e32 v9, v7
	v_pk_mul_f32 v[6:7], v[12:13], v[6:7] op_sel_hi:[1,0]
	v_pk_add_f32 v[4:5], v[4:5], v[8:9]
	s_waitcnt vmcnt(0)
	v_pk_fma_f32 v[8:9], v[12:13], v[74:75], v[6:7] op_sel:[0,0,1] op_sel_hi:[1,1,0] neg_lo:[0,0,1] neg_hi:[0,0,1]
	v_pk_fma_f32 v[6:7], v[12:13], v[74:75], v[6:7] op_sel:[0,0,1] op_sel_hi:[1,0,0]
	v_mov_b32_e32 v6, v73
	v_mov_b32_e32 v9, v7
	s_waitcnt lgkmcnt(0)
	v_pk_mul_f32 v[6:7], v[14:15], v[6:7] op_sel_hi:[1,0]
	v_pk_add_f32 v[4:5], v[4:5], v[8:9]
	v_pk_fma_f32 v[8:9], v[14:15], v[72:73], v[6:7] op_sel:[0,0,1] op_sel_hi:[1,1,0] neg_lo:[0,0,1] neg_hi:[0,0,1]
	v_pk_fma_f32 v[6:7], v[14:15], v[72:73], v[6:7] op_sel:[0,0,1] op_sel_hi:[1,0,0]
	v_mov_b32_e32 v6, v71
	v_mov_b32_e32 v9, v7
	v_pk_mul_f32 v[6:7], v[16:17], v[6:7] op_sel_hi:[1,0]
	v_pk_add_f32 v[4:5], v[4:5], v[8:9]
	v_pk_fma_f32 v[8:9], v[16:17], v[70:71], v[6:7] op_sel:[0,0,1] op_sel_hi:[1,1,0] neg_lo:[0,0,1] neg_hi:[0,0,1]
	v_pk_fma_f32 v[6:7], v[16:17], v[70:71], v[6:7] op_sel:[0,0,1] op_sel_hi:[1,0,0]
	v_mov_b32_e32 v9, v7
	v_pk_add_f32 v[4:5], v[4:5], v[8:9]
	v_pk_add_f32 v[2:3], v[2:3], v[4:5] neg_lo:[0,1] neg_hi:[0,1]
	buffer_store_dword v3, off, s[0:3], 0 offset:148
	buffer_store_dword v2, off, s[0:3], 0 offset:144
	s_and_saveexec_b64 s[4:5], vcc
	s_cbranch_execz .LBB112_273
; %bb.272:
	buffer_load_dword v2, off, s[0:3], 0 offset:136
	buffer_load_dword v3, off, s[0:3], 0 offset:140
	v_mov_b32_e32 v1, 0
	v_accvgpr_read_b32 v4, a24
	buffer_store_dword v1, off, s[0:3], 0 offset:136
	buffer_store_dword v1, off, s[0:3], 0 offset:140
	s_waitcnt vmcnt(2)
	ds_write_b64 v4, v[2:3]
.LBB112_273:
	s_or_b64 exec, exec, s[4:5]
	s_waitcnt lgkmcnt(0)
	; wave barrier
	s_waitcnt lgkmcnt(0)
	buffer_load_dword v1, off, s[0:3], 0 offset:148
	buffer_load_dword v5, off, s[0:3], 0 offset:156
	;; [unrolled: 1-line block ×48, first 2 shown]
	v_mov_b32_e32 v4, 0
	ds_read_b128 v[6:9], v4 offset:544
	ds_read_b128 v[10:13], v4 offset:560
	;; [unrolled: 1-line block ×6, first 2 shown]
	v_cmp_lt_u32_e32 vcc, 16, v0
	s_waitcnt vmcnt(47) lgkmcnt(5)
	v_mul_f32_e32 v30, v6, v1
	s_waitcnt vmcnt(46)
	v_mul_f32_e32 v31, v8, v5
	s_waitcnt vmcnt(45) lgkmcnt(4)
	v_mul_f32_e32 v32, v10, v54
	s_waitcnt vmcnt(44)
	v_mul_f32_e32 v33, v12, v56
	;; [unrolled: 4-line block ×6, first 2 shown]
	s_waitcnt vmcnt(35)
	v_fmac_f32_e32 v30, v7, v181
	s_waitcnt vmcnt(34)
	v_fmac_f32_e32 v31, v9, v182
	v_add_f32_e32 v30, 0, v30
	s_waitcnt vmcnt(33)
	v_fmac_f32_e32 v32, v11, v183
	v_add_f32_e32 v30, v30, v31
	;; [unrolled: 3-line block ×8, first 2 shown]
	v_add_f32_e32 v34, v30, v38
	ds_read_b128 v[30:33], v4 offset:640
	s_waitcnt vmcnt(26)
	v_fmac_f32_e32 v39, v25, v190
	s_waitcnt vmcnt(25)
	v_fmac_f32_e32 v40, v27, v191
	v_add_f32_e32 v34, v34, v39
	s_waitcnt vmcnt(24)
	v_fmac_f32_e32 v41, v29, v192
	v_add_f32_e32 v34, v34, v40
	v_add_f32_e32 v38, v34, v41
	ds_read_b128 v[34:37], v4 offset:656
	s_waitcnt vmcnt(23) lgkmcnt(1)
	v_mul_f32_e32 v39, v30, v193
	s_waitcnt vmcnt(22)
	v_fmac_f32_e32 v39, v31, v194
	v_add_f32_e32 v38, v38, v39
	s_waitcnt vmcnt(21)
	v_mul_f32_e32 v39, v32, v195
	s_waitcnt vmcnt(20)
	v_fmac_f32_e32 v39, v33, v196
	v_add_f32_e32 v38, v38, v39
	s_waitcnt vmcnt(19) lgkmcnt(0)
	v_mul_f32_e32 v39, v34, v197
	s_waitcnt vmcnt(18)
	v_fmac_f32_e32 v39, v35, v198
	v_add_f32_e32 v42, v38, v39
	ds_read_b128 v[38:41], v4 offset:672
	s_waitcnt vmcnt(17)
	v_mul_f32_e32 v43, v36, v199
	s_waitcnt vmcnt(16)
	v_fmac_f32_e32 v43, v37, v200
	v_add_f32_e32 v46, v42, v43
	ds_read_b128 v[42:45], v4 offset:688
	s_waitcnt vmcnt(15) lgkmcnt(1)
	v_mul_f32_e32 v47, v38, v201
	s_waitcnt vmcnt(14)
	v_fmac_f32_e32 v47, v39, v202
	v_add_f32_e32 v46, v46, v47
	s_waitcnt vmcnt(13)
	v_mul_f32_e32 v47, v40, v203
	s_waitcnt vmcnt(12)
	v_fmac_f32_e32 v47, v41, v204
	v_add_f32_e32 v46, v46, v47
	s_waitcnt vmcnt(11) lgkmcnt(0)
	v_mul_f32_e32 v47, v42, v205
	s_waitcnt vmcnt(10)
	v_fmac_f32_e32 v47, v43, v206
	s_waitcnt vmcnt(9)
	v_mul_f32_e32 v51, v44, v207
	v_add_f32_e32 v50, v46, v47
	s_waitcnt vmcnt(8)
	v_fmac_f32_e32 v51, v45, v208
	ds_read_b128 v[46:49], v4 offset:704
	v_add_f32_e32 v55, v50, v51
	ds_read_b128 v[50:53], v4 offset:720
	buffer_load_dword v61, off, s[0:3], 0 offset:356
	buffer_load_dword v60, off, s[0:3], 0 offset:352
	;; [unrolled: 1-line block ×16, first 2 shown]
	v_mul_f32_e32 v1, v7, v1
	v_fma_f32 v1, v6, v181, -v1
	v_mul_f32_e32 v5, v9, v5
	v_add_f32_e32 v1, 0, v1
	v_fma_f32 v5, v8, v182, -v5
	v_add_f32_e32 v1, v1, v5
	v_mul_f32_e32 v5, v11, v54
	v_fma_f32 v5, v10, v183, -v5
	v_add_f32_e32 v1, v1, v5
	v_mul_f32_e32 v5, v13, v56
	;; [unrolled: 3-line block ×18, first 2 shown]
	v_fma_f32 v5, v44, v208, -v5
	s_waitcnt vmcnt(22) lgkmcnt(1)
	v_mul_f32_e32 v57, v46, v210
	v_add_f32_e32 v1, v1, v5
	v_mul_f32_e32 v5, v47, v210
	v_fmac_f32_e32 v57, v47, v209
	v_fma_f32 v5, v46, v209, -v5
	v_add_f32_e32 v55, v55, v57
	s_waitcnt vmcnt(19)
	v_mul_f32_e32 v57, v48, v211
	v_add_f32_e32 v54, v1, v5
	v_mul_f32_e32 v1, v49, v211
	s_waitcnt vmcnt(18)
	v_fmac_f32_e32 v57, v49, v212
	s_waitcnt vmcnt(17) lgkmcnt(0)
	v_mul_f32_e32 v59, v50, v213
	s_waitcnt vmcnt(9)
	v_mov_b32_e32 v22, v67
	v_pk_mul_f32 v[22:23], v[52:53], v[22:23] op_sel_hi:[1,0]
	v_fma_f32 v56, v48, v212, -v1
	v_mul_f32_e32 v1, v51, v213
	ds_read_b128 v[6:9], v4 offset:736
	ds_read_b128 v[10:13], v4 offset:752
	;; [unrolled: 1-line block ×3, first 2 shown]
	ds_read_b64 v[18:19], v4 offset:784
	s_waitcnt vmcnt(8)
	v_pk_fma_f32 v[24:25], v[52:53], v[66:67], v[22:23] op_sel:[0,0,1] op_sel_hi:[1,1,0] neg_lo:[0,0,1] neg_hi:[0,0,1]
	v_pk_fma_f32 v[22:23], v[52:53], v[66:67], v[22:23] op_sel:[0,0,1] op_sel_hi:[1,0,0]
	v_fmac_f32_e32 v59, v51, v214
	v_fma_f32 v58, v50, v214, -v1
	v_pk_add_f32 v[20:21], v[54:55], v[56:57]
	v_mov_b32_e32 v22, v65
	v_pk_add_f32 v[20:21], v[20:21], v[58:59]
	v_mov_b32_e32 v25, v23
	s_waitcnt lgkmcnt(3)
	v_pk_mul_f32 v[22:23], v[6:7], v[22:23] op_sel_hi:[1,0]
	v_pk_add_f32 v[20:21], v[20:21], v[24:25]
	v_pk_fma_f32 v[24:25], v[6:7], v[64:65], v[22:23] op_sel:[0,0,1] op_sel_hi:[1,1,0] neg_lo:[0,0,1] neg_hi:[0,0,1]
	v_pk_fma_f32 v[6:7], v[6:7], v[64:65], v[22:23] op_sel:[0,0,1] op_sel_hi:[1,0,0]
	v_mov_b32_e32 v25, v7
	v_pk_add_f32 v[6:7], v[20:21], v[24:25]
	v_mov_b32_e32 v20, v63
	v_pk_mul_f32 v[20:21], v[8:9], v[20:21] op_sel_hi:[1,0]
	v_pk_fma_f32 v[22:23], v[8:9], v[62:63], v[20:21] op_sel:[0,0,1] op_sel_hi:[1,1,0] neg_lo:[0,0,1] neg_hi:[0,0,1]
	v_pk_fma_f32 v[8:9], v[8:9], v[62:63], v[20:21] op_sel:[0,0,1] op_sel_hi:[1,0,0]
	v_mov_b32_e32 v8, v61
	v_mov_b32_e32 v23, v9
	s_waitcnt lgkmcnt(2)
	v_pk_mul_f32 v[8:9], v[10:11], v[8:9] op_sel_hi:[1,0]
	v_pk_fma_f32 v[20:21], v[10:11], v[60:61], v[8:9] op_sel:[0,0,1] op_sel_hi:[1,1,0] neg_lo:[0,0,1] neg_hi:[0,0,1]
	v_pk_fma_f32 v[8:9], v[10:11], v[60:61], v[8:9] op_sel:[0,0,1] op_sel_hi:[1,0,0]
	s_waitcnt vmcnt(1)
	v_mov_b32_e32 v8, v75
	v_mov_b32_e32 v21, v9
	v_pk_mul_f32 v[8:9], v[12:13], v[8:9] op_sel_hi:[1,0]
	s_waitcnt vmcnt(0)
	v_pk_fma_f32 v[10:11], v[12:13], v[74:75], v[8:9] op_sel:[0,0,1] op_sel_hi:[1,1,0] neg_lo:[0,0,1] neg_hi:[0,0,1]
	v_pk_fma_f32 v[8:9], v[12:13], v[74:75], v[8:9] op_sel:[0,0,1] op_sel_hi:[1,0,0]
	v_pk_add_f32 v[6:7], v[6:7], v[22:23]
	v_mov_b32_e32 v8, v73
	v_pk_add_f32 v[6:7], v[6:7], v[20:21]
	v_mov_b32_e32 v11, v9
	s_waitcnt lgkmcnt(1)
	v_pk_mul_f32 v[8:9], v[14:15], v[8:9] op_sel_hi:[1,0]
	v_pk_add_f32 v[6:7], v[6:7], v[10:11]
	v_pk_fma_f32 v[10:11], v[14:15], v[72:73], v[8:9] op_sel:[0,0,1] op_sel_hi:[1,1,0] neg_lo:[0,0,1] neg_hi:[0,0,1]
	v_pk_fma_f32 v[8:9], v[14:15], v[72:73], v[8:9] op_sel:[0,0,1] op_sel_hi:[1,0,0]
	v_mov_b32_e32 v8, v71
	v_mov_b32_e32 v11, v9
	v_pk_mul_f32 v[8:9], v[16:17], v[8:9] op_sel_hi:[1,0]
	v_pk_add_f32 v[6:7], v[6:7], v[10:11]
	v_pk_fma_f32 v[10:11], v[16:17], v[70:71], v[8:9] op_sel:[0,0,1] op_sel_hi:[1,1,0] neg_lo:[0,0,1] neg_hi:[0,0,1]
	v_pk_fma_f32 v[8:9], v[16:17], v[70:71], v[8:9] op_sel:[0,0,1] op_sel_hi:[1,0,0]
	v_mov_b32_e32 v8, v69
	v_mov_b32_e32 v11, v9
	s_waitcnt lgkmcnt(0)
	v_pk_mul_f32 v[8:9], v[18:19], v[8:9] op_sel_hi:[1,0]
	v_pk_add_f32 v[6:7], v[6:7], v[10:11]
	v_pk_fma_f32 v[10:11], v[18:19], v[68:69], v[8:9] op_sel:[0,0,1] op_sel_hi:[1,1,0] neg_lo:[0,0,1] neg_hi:[0,0,1]
	v_pk_fma_f32 v[8:9], v[18:19], v[68:69], v[8:9] op_sel:[0,0,1] op_sel_hi:[1,0,0]
	v_mov_b32_e32 v11, v9
	v_pk_add_f32 v[6:7], v[6:7], v[10:11]
	v_pk_add_f32 v[2:3], v[2:3], v[6:7] neg_lo:[0,1] neg_hi:[0,1]
	buffer_store_dword v3, off, s[0:3], 0 offset:140
	buffer_store_dword v2, off, s[0:3], 0 offset:136
	s_and_saveexec_b64 s[4:5], vcc
	s_cbranch_execz .LBB112_275
; %bb.274:
	buffer_load_dword v2, off, s[0:3], 0 offset:128
	buffer_load_dword v3, off, s[0:3], 0 offset:132
	v_accvgpr_read_b32 v1, a24
	buffer_store_dword v4, off, s[0:3], 0 offset:128
	buffer_store_dword v4, off, s[0:3], 0 offset:132
	s_waitcnt vmcnt(2)
	ds_write_b64 v1, v[2:3]
.LBB112_275:
	s_or_b64 exec, exec, s[4:5]
	s_waitcnt lgkmcnt(0)
	; wave barrier
	s_waitcnt lgkmcnt(0)
	buffer_load_dword v1, off, s[0:3], 0 offset:140
	buffer_load_dword v5, off, s[0:3], 0 offset:148
	;; [unrolled: 1-line block ×48, first 2 shown]
	ds_read2_b64 v[6:9], v4 offset0:67 offset1:68
	ds_read2_b64 v[10:13], v4 offset0:69 offset1:70
	;; [unrolled: 1-line block ×6, first 2 shown]
	buffer_load_dword v215, off, s[0:3], 0 offset:320
	buffer_load_dword v216, off, s[0:3], 0 offset:324
	v_cmp_lt_u32_e32 vcc, 15, v0
	s_waitcnt vmcnt(49) lgkmcnt(5)
	v_mul_f32_e32 v30, v6, v1
	s_waitcnt vmcnt(48)
	v_mul_f32_e32 v31, v8, v5
	s_waitcnt vmcnt(47) lgkmcnt(4)
	v_mul_f32_e32 v32, v10, v54
	s_waitcnt vmcnt(46)
	v_mul_f32_e32 v33, v12, v56
	;; [unrolled: 4-line block ×6, first 2 shown]
	s_waitcnt vmcnt(37)
	v_fmac_f32_e32 v30, v7, v181
	s_waitcnt vmcnt(36)
	v_fmac_f32_e32 v31, v9, v182
	v_add_f32_e32 v30, 0, v30
	s_waitcnt vmcnt(35)
	v_fmac_f32_e32 v32, v11, v183
	v_add_f32_e32 v30, v30, v31
	;; [unrolled: 3-line block ×9, first 2 shown]
	v_add_f32_e32 v34, v30, v39
	ds_read2_b64 v[30:33], v4 offset0:79 offset1:80
	s_waitcnt vmcnt(27)
	v_fmac_f32_e32 v40, v27, v191
	v_add_f32_e32 v34, v34, v40
	s_waitcnt vmcnt(26)
	v_fmac_f32_e32 v41, v29, v192
	v_add_f32_e32 v38, v34, v41
	ds_read2_b64 v[34:37], v4 offset0:81 offset1:82
	s_waitcnt vmcnt(25) lgkmcnt(1)
	v_mul_f32_e32 v39, v30, v193
	s_waitcnt vmcnt(24)
	v_fmac_f32_e32 v39, v31, v194
	v_add_f32_e32 v38, v38, v39
	s_waitcnt vmcnt(23)
	v_mul_f32_e32 v39, v32, v195
	s_waitcnt vmcnt(22)
	v_fmac_f32_e32 v39, v33, v196
	v_add_f32_e32 v38, v38, v39
	s_waitcnt vmcnt(21) lgkmcnt(0)
	v_mul_f32_e32 v39, v34, v197
	s_waitcnt vmcnt(20)
	v_fmac_f32_e32 v39, v35, v198
	v_add_f32_e32 v42, v38, v39
	ds_read2_b64 v[38:41], v4 offset0:83 offset1:84
	s_waitcnt vmcnt(19)
	v_mul_f32_e32 v43, v36, v199
	s_waitcnt vmcnt(18)
	v_fmac_f32_e32 v43, v37, v200
	v_add_f32_e32 v46, v42, v43
	ds_read2_b64 v[42:45], v4 offset0:85 offset1:86
	s_waitcnt vmcnt(17) lgkmcnt(1)
	v_mul_f32_e32 v47, v38, v201
	s_waitcnt vmcnt(16)
	v_fmac_f32_e32 v47, v39, v202
	v_add_f32_e32 v46, v46, v47
	s_waitcnt vmcnt(15)
	v_mul_f32_e32 v47, v40, v203
	s_waitcnt vmcnt(14)
	v_fmac_f32_e32 v47, v41, v204
	v_add_f32_e32 v46, v46, v47
	s_waitcnt vmcnt(13) lgkmcnt(0)
	v_mul_f32_e32 v47, v42, v205
	s_waitcnt vmcnt(12)
	v_fmac_f32_e32 v47, v43, v206
	s_waitcnt vmcnt(11)
	v_mul_f32_e32 v51, v44, v207
	v_add_f32_e32 v50, v46, v47
	s_waitcnt vmcnt(10)
	v_fmac_f32_e32 v51, v45, v208
	ds_read2_b64 v[46:49], v4 offset0:87 offset1:88
	v_add_f32_e32 v55, v50, v51
	ds_read2_b64 v[50:53], v4 offset0:89 offset1:90
	buffer_load_dword v59, off, s[0:3], 0 offset:348
	buffer_load_dword v58, off, s[0:3], 0 offset:344
	;; [unrolled: 1-line block ×16, first 2 shown]
	v_mul_f32_e32 v1, v7, v1
	v_fma_f32 v1, v6, v181, -v1
	v_mul_f32_e32 v5, v9, v5
	v_add_f32_e32 v1, 0, v1
	v_fma_f32 v5, v8, v182, -v5
	v_add_f32_e32 v1, v1, v5
	v_mul_f32_e32 v5, v11, v54
	v_fma_f32 v5, v10, v183, -v5
	v_add_f32_e32 v1, v1, v5
	v_mul_f32_e32 v5, v13, v56
	v_fma_f32 v5, v12, v184, -v5
	v_add_f32_e32 v1, v1, v5
	v_mul_f32_e32 v5, v15, v64
	v_fma_f32 v5, v14, v185, -v5
	v_add_f32_e32 v1, v1, v5
	v_mul_f32_e32 v5, v17, v76
	v_fma_f32 v5, v16, v186, -v5
	v_add_f32_e32 v1, v1, v5
	v_mul_f32_e32 v5, v19, v77
	v_fma_f32 v5, v18, v187, -v5
	v_add_f32_e32 v1, v1, v5
	v_mul_f32_e32 v5, v21, v176
	v_fma_f32 v5, v20, v188, -v5
	v_add_f32_e32 v1, v1, v5
	v_mul_f32_e32 v5, v23, v177
	v_fma_f32 v5, v22, v189, -v5
	v_add_f32_e32 v1, v1, v5
	v_mul_f32_e32 v5, v25, v178
	v_fma_f32 v5, v24, v190, -v5
	v_add_f32_e32 v1, v1, v5
	v_mul_f32_e32 v5, v27, v179
	v_fma_f32 v5, v26, v191, -v5
	v_add_f32_e32 v1, v1, v5
	v_mul_f32_e32 v5, v29, v180
	v_fma_f32 v5, v28, v192, -v5
	v_add_f32_e32 v1, v1, v5
	v_mul_f32_e32 v5, v31, v193
	v_fma_f32 v5, v30, v194, -v5
	v_add_f32_e32 v1, v1, v5
	v_mul_f32_e32 v5, v33, v195
	v_fma_f32 v5, v32, v196, -v5
	v_add_f32_e32 v1, v1, v5
	v_mul_f32_e32 v5, v35, v197
	v_fma_f32 v5, v34, v198, -v5
	v_add_f32_e32 v1, v1, v5
	v_mul_f32_e32 v5, v37, v199
	v_fma_f32 v5, v36, v200, -v5
	v_add_f32_e32 v1, v1, v5
	v_mul_f32_e32 v5, v39, v201
	v_fma_f32 v5, v38, v202, -v5
	v_add_f32_e32 v1, v1, v5
	v_mul_f32_e32 v5, v41, v203
	v_fma_f32 v5, v40, v204, -v5
	v_add_f32_e32 v1, v1, v5
	v_mul_f32_e32 v5, v43, v205
	v_fma_f32 v5, v42, v206, -v5
	v_add_f32_e32 v1, v1, v5
	v_mul_f32_e32 v5, v45, v207
	ds_read2_b64 v[6:9], v4 offset0:91 offset1:92
	ds_read2_b64 v[10:13], v4 offset0:93 offset1:94
	;; [unrolled: 1-line block ×4, first 2 shown]
	v_fma_f32 v5, v44, v208, -v5
	s_waitcnt vmcnt(23) lgkmcnt(5)
	v_mul_f32_e32 v57, v46, v209
	v_add_f32_e32 v1, v1, v5
	v_mul_f32_e32 v5, v47, v209
	s_waitcnt vmcnt(22)
	v_fmac_f32_e32 v57, v47, v210
	v_fma_f32 v5, v46, v210, -v5
	v_add_f32_e32 v55, v55, v57
	s_waitcnt vmcnt(20)
	v_mul_f32_e32 v57, v48, v212
	v_add_f32_e32 v1, v1, v5
	v_mul_f32_e32 v5, v49, v212
	v_fmac_f32_e32 v57, v49, v211
	v_fma_f32 v5, v48, v211, -v5
	v_add_f32_e32 v55, v55, v57
	s_waitcnt vmcnt(18) lgkmcnt(4)
	v_mul_f32_e32 v57, v50, v214
	v_add_f32_e32 v54, v1, v5
	v_mul_f32_e32 v1, v51, v214
	v_fmac_f32_e32 v57, v51, v213
	s_waitcnt vmcnt(16)
	v_mul_f32_e32 v65, v52, v216
	s_waitcnt vmcnt(11)
	v_mov_b32_e32 v22, v63
	s_waitcnt lgkmcnt(3)
	v_pk_mul_f32 v[22:23], v[6:7], v[22:23] op_sel_hi:[1,0]
	s_waitcnt vmcnt(10)
	v_pk_fma_f32 v[24:25], v[6:7], v[62:63], v[22:23] op_sel:[0,0,1] op_sel_hi:[1,1,0] neg_lo:[0,0,1] neg_hi:[0,0,1]
	v_pk_fma_f32 v[6:7], v[6:7], v[62:63], v[22:23] op_sel:[0,0,1] op_sel_hi:[1,0,0]
	v_mov_b32_e32 v6, v61
	v_mov_b32_e32 v25, v7
	v_pk_mul_f32 v[6:7], v[8:9], v[6:7] op_sel_hi:[1,0]
	v_pk_fma_f32 v[22:23], v[8:9], v[60:61], v[6:7] op_sel:[0,0,1] op_sel_hi:[1,1,0] neg_lo:[0,0,1] neg_hi:[0,0,1]
	v_pk_fma_f32 v[6:7], v[8:9], v[60:61], v[6:7] op_sel:[0,0,1] op_sel_hi:[1,0,0]
	v_fma_f32 v56, v50, v213, -v1
	v_mul_f32_e32 v1, v53, v216
	v_mov_b32_e32 v6, v59
	v_fmac_f32_e32 v65, v53, v215
	v_fma_f32 v64, v52, v215, -v1
	v_pk_add_f32 v[4:5], v[54:55], v[56:57]
	v_mov_b32_e32 v23, v7
	s_waitcnt lgkmcnt(2)
	v_pk_mul_f32 v[6:7], v[10:11], v[6:7] op_sel_hi:[1,0]
	v_pk_add_f32 v[4:5], v[4:5], v[64:65]
	v_pk_fma_f32 v[8:9], v[10:11], v[58:59], v[6:7] op_sel:[0,0,1] op_sel_hi:[1,1,0] neg_lo:[0,0,1] neg_hi:[0,0,1]
	v_pk_fma_f32 v[6:7], v[10:11], v[58:59], v[6:7] op_sel:[0,0,1] op_sel_hi:[1,0,0]
	v_pk_add_f32 v[4:5], v[4:5], v[24:25]
	s_waitcnt vmcnt(3)
	v_mov_b32_e32 v6, v73
	v_pk_add_f32 v[4:5], v[4:5], v[22:23]
	v_mov_b32_e32 v9, v7
	v_pk_mul_f32 v[6:7], v[12:13], v[6:7] op_sel_hi:[1,0]
	v_pk_add_f32 v[4:5], v[4:5], v[8:9]
	s_waitcnt vmcnt(2)
	v_pk_fma_f32 v[8:9], v[12:13], v[72:73], v[6:7] op_sel:[0,0,1] op_sel_hi:[1,1,0] neg_lo:[0,0,1] neg_hi:[0,0,1]
	v_pk_fma_f32 v[6:7], v[12:13], v[72:73], v[6:7] op_sel:[0,0,1] op_sel_hi:[1,0,0]
	v_mov_b32_e32 v6, v71
	v_mov_b32_e32 v9, v7
	s_waitcnt lgkmcnt(1)
	v_pk_mul_f32 v[6:7], v[14:15], v[6:7] op_sel_hi:[1,0]
	v_pk_add_f32 v[4:5], v[4:5], v[8:9]
	v_pk_fma_f32 v[8:9], v[14:15], v[70:71], v[6:7] op_sel:[0,0,1] op_sel_hi:[1,1,0] neg_lo:[0,0,1] neg_hi:[0,0,1]
	v_pk_fma_f32 v[6:7], v[14:15], v[70:71], v[6:7] op_sel:[0,0,1] op_sel_hi:[1,0,0]
	v_mov_b32_e32 v6, v69
	v_mov_b32_e32 v9, v7
	v_pk_mul_f32 v[6:7], v[16:17], v[6:7] op_sel_hi:[1,0]
	v_pk_add_f32 v[4:5], v[4:5], v[8:9]
	v_pk_fma_f32 v[8:9], v[16:17], v[68:69], v[6:7] op_sel:[0,0,1] op_sel_hi:[1,1,0] neg_lo:[0,0,1] neg_hi:[0,0,1]
	v_pk_fma_f32 v[6:7], v[16:17], v[68:69], v[6:7] op_sel:[0,0,1] op_sel_hi:[1,0,0]
	v_mov_b32_e32 v6, v67
	v_mov_b32_e32 v9, v7
	s_waitcnt lgkmcnt(0)
	v_pk_mul_f32 v[6:7], v[18:19], v[6:7] op_sel_hi:[1,0]
	v_pk_add_f32 v[4:5], v[4:5], v[8:9]
	v_pk_fma_f32 v[8:9], v[18:19], v[66:67], v[6:7] op_sel:[0,0,1] op_sel_hi:[1,1,0] neg_lo:[0,0,1] neg_hi:[0,0,1]
	v_pk_fma_f32 v[6:7], v[18:19], v[66:67], v[6:7] op_sel:[0,0,1] op_sel_hi:[1,0,0]
	s_waitcnt vmcnt(1)
	v_mov_b32_e32 v6, v75
	v_mov_b32_e32 v9, v7
	v_pk_mul_f32 v[6:7], v[20:21], v[6:7] op_sel_hi:[1,0]
	v_pk_add_f32 v[4:5], v[4:5], v[8:9]
	s_waitcnt vmcnt(0)
	v_pk_fma_f32 v[8:9], v[20:21], v[74:75], v[6:7] op_sel:[0,0,1] op_sel_hi:[1,1,0] neg_lo:[0,0,1] neg_hi:[0,0,1]
	v_pk_fma_f32 v[6:7], v[20:21], v[74:75], v[6:7] op_sel:[0,0,1] op_sel_hi:[1,0,0]
	v_mov_b32_e32 v9, v7
	v_pk_add_f32 v[4:5], v[4:5], v[8:9]
	v_pk_add_f32 v[2:3], v[2:3], v[4:5] neg_lo:[0,1] neg_hi:[0,1]
	buffer_store_dword v3, off, s[0:3], 0 offset:132
	buffer_store_dword v2, off, s[0:3], 0 offset:128
	s_and_saveexec_b64 s[4:5], vcc
	s_cbranch_execz .LBB112_277
; %bb.276:
	buffer_load_dword v2, off, s[0:3], 0 offset:120
	buffer_load_dword v3, off, s[0:3], 0 offset:124
	v_mov_b32_e32 v1, 0
	v_accvgpr_read_b32 v4, a24
	buffer_store_dword v1, off, s[0:3], 0 offset:120
	buffer_store_dword v1, off, s[0:3], 0 offset:124
	s_waitcnt vmcnt(2)
	ds_write_b64 v4, v[2:3]
.LBB112_277:
	s_or_b64 exec, exec, s[4:5]
	s_waitcnt lgkmcnt(0)
	; wave barrier
	s_waitcnt lgkmcnt(0)
	buffer_load_dword v1, off, s[0:3], 0 offset:132
	buffer_load_dword v5, off, s[0:3], 0 offset:140
	;; [unrolled: 1-line block ×52, first 2 shown]
	v_mov_b32_e32 v4, 0
	ds_read_b128 v[6:9], v4 offset:528
	ds_read_b128 v[10:13], v4 offset:544
	;; [unrolled: 1-line block ×6, first 2 shown]
	v_cmp_lt_u32_e32 vcc, 14, v0
	s_waitcnt vmcnt(51) lgkmcnt(5)
	v_mul_f32_e32 v30, v6, v1
	s_waitcnt vmcnt(50)
	v_mul_f32_e32 v31, v8, v5
	s_waitcnt vmcnt(49) lgkmcnt(4)
	v_mul_f32_e32 v32, v10, v62
	s_waitcnt vmcnt(48)
	v_mul_f32_e32 v33, v12, v68
	;; [unrolled: 4-line block ×5, first 2 shown]
	s_waitcnt vmcnt(41) lgkmcnt(0)
	v_mul_f32_e32 v40, v26, v187
	s_waitcnt vmcnt(40)
	v_fmac_f32_e32 v30, v7, v188
	s_waitcnt vmcnt(39)
	v_fmac_f32_e32 v31, v9, v189
	v_add_f32_e32 v30, 0, v30
	s_waitcnt vmcnt(38)
	v_fmac_f32_e32 v32, v11, v190
	v_add_f32_e32 v30, v30, v31
	;; [unrolled: 3-line block ×9, first 2 shown]
	v_add_f32_e32 v30, v30, v39
	s_waitcnt vmcnt(30)
	v_fmac_f32_e32 v40, v27, v198
	v_add_f32_e32 v34, v30, v40
	ds_read_b128 v[30:33], v4 offset:624
	s_waitcnt vmcnt(29)
	v_mul_f32_e32 v35, v28, v199
	s_waitcnt vmcnt(28)
	v_fmac_f32_e32 v35, v29, v200
	v_add_f32_e32 v38, v34, v35
	ds_read_b128 v[34:37], v4 offset:640
	s_waitcnt vmcnt(27) lgkmcnt(1)
	v_mul_f32_e32 v39, v30, v201
	s_waitcnt vmcnt(26)
	v_fmac_f32_e32 v39, v31, v202
	v_add_f32_e32 v38, v38, v39
	s_waitcnt vmcnt(25)
	v_mul_f32_e32 v39, v32, v203
	s_waitcnt vmcnt(24)
	v_fmac_f32_e32 v39, v33, v204
	v_add_f32_e32 v38, v38, v39
	s_waitcnt vmcnt(23) lgkmcnt(0)
	v_mul_f32_e32 v39, v34, v205
	s_waitcnt vmcnt(22)
	v_fmac_f32_e32 v39, v35, v206
	v_add_f32_e32 v42, v38, v39
	ds_read_b128 v[38:41], v4 offset:656
	s_waitcnt vmcnt(21)
	v_mul_f32_e32 v43, v36, v207
	s_waitcnt vmcnt(20)
	v_fmac_f32_e32 v43, v37, v208
	v_add_f32_e32 v46, v42, v43
	ds_read_b128 v[42:45], v4 offset:672
	s_waitcnt vmcnt(19) lgkmcnt(1)
	v_mul_f32_e32 v47, v38, v209
	s_waitcnt vmcnt(18)
	v_fmac_f32_e32 v47, v39, v210
	v_add_f32_e32 v46, v46, v47
	s_waitcnt vmcnt(17)
	v_mul_f32_e32 v47, v40, v211
	s_waitcnt vmcnt(16)
	v_fmac_f32_e32 v47, v41, v212
	v_add_f32_e32 v46, v46, v47
	s_waitcnt vmcnt(14) lgkmcnt(0)
	v_mul_f32_e32 v47, v42, v214
	v_fmac_f32_e32 v47, v43, v213
	v_add_f32_e32 v50, v46, v47
	ds_read_b128 v[46:49], v4 offset:688
	s_waitcnt vmcnt(10)
	v_mul_f32_e32 v51, v44, v216
	v_fmac_f32_e32 v51, v45, v215
	v_add_f32_e32 v54, v50, v51
	ds_read_b128 v[50:53], v4 offset:704
	s_waitcnt vmcnt(8) lgkmcnt(1)
	v_mul_f32_e32 v55, v46, v218
	v_fmac_f32_e32 v55, v47, v217
	v_add_f32_e32 v54, v54, v55
	s_waitcnt vmcnt(6)
	v_mul_f32_e32 v55, v48, v220
	v_fmac_f32_e32 v55, v49, v219
	v_add_f32_e32 v54, v54, v55
	s_waitcnt vmcnt(4) lgkmcnt(0)
	v_mul_f32_e32 v55, v50, v222
	v_fmac_f32_e32 v55, v51, v221
	v_add_f32_e32 v63, v54, v55
	ds_read_b128 v[54:57], v4 offset:720
	buffer_load_dword v65, off, s[0:3], 0 offset:340
	buffer_load_dword v64, off, s[0:3], 0 offset:336
	;; [unrolled: 1-line block ×4, first 2 shown]
	ds_read_b128 v[58:61], v4 offset:736
	buffer_load_dword v73, off, s[0:3], 0 offset:372
	buffer_load_dword v72, off, s[0:3], 0 offset:368
	;; [unrolled: 1-line block ×12, first 2 shown]
	v_mul_f32_e32 v1, v7, v1
	v_fma_f32 v1, v6, v188, -v1
	v_mul_f32_e32 v5, v9, v5
	v_add_f32_e32 v1, 0, v1
	v_fma_f32 v5, v8, v189, -v5
	v_add_f32_e32 v1, v1, v5
	v_mul_f32_e32 v5, v11, v62
	v_fma_f32 v5, v10, v190, -v5
	v_add_f32_e32 v1, v1, v5
	v_mul_f32_e32 v5, v13, v68
	;; [unrolled: 3-line block ×21, first 2 shown]
	v_fma_f32 v5, v50, v221, -v5
	s_waitcnt vmcnt(18)
	v_mul_f32_e32 v69, v52, v224
	v_add_f32_e32 v62, v1, v5
	v_mul_f32_e32 v1, v53, v224
	v_fmac_f32_e32 v69, v53, v223
	s_waitcnt vmcnt(16) lgkmcnt(1)
	v_mul_f32_e32 v71, v54, v226
	v_fma_f32 v68, v52, v223, -v1
	v_mul_f32_e32 v1, v55, v226
	v_fmac_f32_e32 v71, v55, v225
	s_waitcnt vmcnt(13)
	v_mov_b32_e32 v18, v67
	v_pk_mul_f32 v[18:19], v[56:57], v[18:19] op_sel_hi:[1,0]
	s_waitcnt vmcnt(12)
	v_pk_fma_f32 v[20:21], v[56:57], v[66:67], v[18:19] op_sel:[0,0,1] op_sel_hi:[1,1,0] neg_lo:[0,0,1] neg_hi:[0,0,1]
	v_pk_fma_f32 v[18:19], v[56:57], v[66:67], v[18:19] op_sel:[0,0,1] op_sel_hi:[1,0,0]
	v_fma_f32 v70, v54, v225, -v1
	v_pk_add_f32 v[16:17], v[62:63], v[68:69]
	v_mov_b32_e32 v18, v65
	v_pk_add_f32 v[16:17], v[16:17], v[70:71]
	v_mov_b32_e32 v21, v19
	s_waitcnt lgkmcnt(0)
	v_pk_mul_f32 v[18:19], v[58:59], v[18:19] op_sel_hi:[1,0]
	v_pk_add_f32 v[16:17], v[16:17], v[20:21]
	v_pk_fma_f32 v[20:21], v[58:59], v[64:65], v[18:19] op_sel:[0,0,1] op_sel_hi:[1,1,0] neg_lo:[0,0,1] neg_hi:[0,0,1]
	v_pk_fma_f32 v[18:19], v[58:59], v[64:65], v[18:19] op_sel:[0,0,1] op_sel_hi:[1,0,0]
	s_waitcnt vmcnt(5)
	v_mov_b32_e32 v18, v177
	ds_read_b128 v[6:9], v4 offset:752
	ds_read_b128 v[10:13], v4 offset:768
	ds_read_b64 v[14:15], v4 offset:784
	v_mov_b32_e32 v21, v19
	v_pk_mul_f32 v[18:19], v[60:61], v[18:19] op_sel_hi:[1,0]
	v_pk_add_f32 v[16:17], v[16:17], v[20:21]
	s_waitcnt vmcnt(4)
	v_pk_fma_f32 v[20:21], v[60:61], v[176:177], v[18:19] op_sel:[0,0,1] op_sel_hi:[1,1,0] neg_lo:[0,0,1] neg_hi:[0,0,1]
	v_pk_fma_f32 v[18:19], v[60:61], v[176:177], v[18:19] op_sel:[0,0,1] op_sel_hi:[1,0,0]
	v_mov_b32_e32 v18, v77
	v_mov_b32_e32 v21, v19
	s_waitcnt lgkmcnt(2)
	v_pk_mul_f32 v[18:19], v[6:7], v[18:19] op_sel_hi:[1,0]
	v_pk_add_f32 v[16:17], v[16:17], v[20:21]
	v_pk_fma_f32 v[20:21], v[6:7], v[76:77], v[18:19] op_sel:[0,0,1] op_sel_hi:[1,1,0] neg_lo:[0,0,1] neg_hi:[0,0,1]
	v_pk_fma_f32 v[6:7], v[6:7], v[76:77], v[18:19] op_sel:[0,0,1] op_sel_hi:[1,0,0]
	v_mov_b32_e32 v21, v7
	v_pk_add_f32 v[6:7], v[16:17], v[20:21]
	v_mov_b32_e32 v16, v75
	v_pk_mul_f32 v[16:17], v[8:9], v[16:17] op_sel_hi:[1,0]
	v_pk_fma_f32 v[18:19], v[8:9], v[74:75], v[16:17] op_sel:[0,0,1] op_sel_hi:[1,1,0] neg_lo:[0,0,1] neg_hi:[0,0,1]
	v_pk_fma_f32 v[8:9], v[8:9], v[74:75], v[16:17] op_sel:[0,0,1] op_sel_hi:[1,0,0]
	v_mov_b32_e32 v8, v73
	v_mov_b32_e32 v19, v9
	s_waitcnt lgkmcnt(1)
	v_pk_mul_f32 v[8:9], v[10:11], v[8:9] op_sel_hi:[1,0]
	v_pk_fma_f32 v[16:17], v[10:11], v[72:73], v[8:9] op_sel:[0,0,1] op_sel_hi:[1,1,0] neg_lo:[0,0,1] neg_hi:[0,0,1]
	v_pk_fma_f32 v[8:9], v[10:11], v[72:73], v[8:9] op_sel:[0,0,1] op_sel_hi:[1,0,0]
	s_waitcnt vmcnt(1)
	v_mov_b32_e32 v8, v181
	v_mov_b32_e32 v17, v9
	v_pk_mul_f32 v[8:9], v[12:13], v[8:9] op_sel_hi:[1,0]
	s_waitcnt vmcnt(0)
	v_pk_fma_f32 v[10:11], v[12:13], v[180:181], v[8:9] op_sel:[0,0,1] op_sel_hi:[1,1,0] neg_lo:[0,0,1] neg_hi:[0,0,1]
	v_pk_fma_f32 v[8:9], v[12:13], v[180:181], v[8:9] op_sel:[0,0,1] op_sel_hi:[1,0,0]
	v_pk_add_f32 v[6:7], v[6:7], v[18:19]
	v_mov_b32_e32 v8, v179
	v_pk_add_f32 v[6:7], v[6:7], v[16:17]
	v_mov_b32_e32 v11, v9
	s_waitcnt lgkmcnt(0)
	v_pk_mul_f32 v[8:9], v[14:15], v[8:9] op_sel_hi:[1,0]
	v_pk_add_f32 v[6:7], v[6:7], v[10:11]
	v_pk_fma_f32 v[10:11], v[14:15], v[178:179], v[8:9] op_sel:[0,0,1] op_sel_hi:[1,1,0] neg_lo:[0,0,1] neg_hi:[0,0,1]
	v_pk_fma_f32 v[8:9], v[14:15], v[178:179], v[8:9] op_sel:[0,0,1] op_sel_hi:[1,0,0]
	v_mov_b32_e32 v11, v9
	v_pk_add_f32 v[6:7], v[6:7], v[10:11]
	v_pk_add_f32 v[2:3], v[2:3], v[6:7] neg_lo:[0,1] neg_hi:[0,1]
	buffer_store_dword v3, off, s[0:3], 0 offset:124
	buffer_store_dword v2, off, s[0:3], 0 offset:120
	s_and_saveexec_b64 s[4:5], vcc
	s_cbranch_execz .LBB112_279
; %bb.278:
	buffer_load_dword v2, off, s[0:3], 0 offset:112
	buffer_load_dword v3, off, s[0:3], 0 offset:116
	v_accvgpr_read_b32 v1, a24
	buffer_store_dword v4, off, s[0:3], 0 offset:112
	buffer_store_dword v4, off, s[0:3], 0 offset:116
	s_waitcnt vmcnt(2)
	ds_write_b64 v1, v[2:3]
.LBB112_279:
	s_or_b64 exec, exec, s[4:5]
	s_waitcnt lgkmcnt(0)
	; wave barrier
	s_waitcnt lgkmcnt(0)
	buffer_load_dword v1, off, s[0:3], 0 offset:124
	buffer_load_dword v5, off, s[0:3], 0 offset:132
	;; [unrolled: 1-line block ×42, first 2 shown]
	ds_read2_b64 v[6:9], v4 offset0:65 offset1:66
	ds_read2_b64 v[10:13], v4 offset0:67 offset1:68
	buffer_load_dword v217, off, s[0:3], 0 offset:280
	buffer_load_dword v218, off, s[0:3], 0 offset:284
	ds_read2_b64 v[14:17], v4 offset0:69 offset1:70
	ds_read2_b64 v[18:21], v4 offset0:71 offset1:72
	buffer_load_dword v219, off, s[0:3], 0 offset:288
	buffer_load_dword v220, off, s[0:3], 0 offset:292
	;; [unrolled: 1-line block ×4, first 2 shown]
	ds_read2_b64 v[22:25], v4 offset0:73 offset1:74
	ds_read2_b64 v[26:29], v4 offset0:75 offset1:76
	buffer_load_dword v223, off, s[0:3], 0 offset:304
	buffer_load_dword v224, off, s[0:3], 0 offset:308
	;; [unrolled: 1-line block ×6, first 2 shown]
	v_cmp_lt_u32_e32 vcc, 13, v0
	s_waitcnt vmcnt(53) lgkmcnt(5)
	v_mul_f32_e32 v30, v6, v1
	s_waitcnt vmcnt(52)
	v_mul_f32_e32 v31, v8, v5
	s_waitcnt vmcnt(51) lgkmcnt(4)
	v_mul_f32_e32 v32, v10, v64
	s_waitcnt vmcnt(50)
	v_mul_f32_e32 v33, v12, v66
	;; [unrolled: 4-line block ×5, first 2 shown]
	s_waitcnt vmcnt(43)
	v_fmac_f32_e32 v30, v7, v187
	s_waitcnt vmcnt(42)
	v_fmac_f32_e32 v31, v9, v188
	v_add_f32_e32 v30, 0, v30
	s_waitcnt vmcnt(41)
	v_fmac_f32_e32 v32, v11, v189
	v_add_f32_e32 v30, v30, v31
	;; [unrolled: 3-line block ×9, first 2 shown]
	s_waitcnt vmcnt(33) lgkmcnt(0)
	v_mul_f32_e32 v31, v26, v197
	v_add_f32_e32 v30, v30, v39
	s_waitcnt vmcnt(32)
	v_fmac_f32_e32 v31, v27, v198
	v_add_f32_e32 v34, v30, v31
	ds_read2_b64 v[30:33], v4 offset0:77 offset1:78
	s_waitcnt vmcnt(31)
	v_mul_f32_e32 v35, v28, v199
	s_waitcnt vmcnt(30)
	v_fmac_f32_e32 v35, v29, v200
	v_add_f32_e32 v38, v34, v35
	ds_read2_b64 v[34:37], v4 offset0:79 offset1:80
	s_waitcnt vmcnt(29) lgkmcnt(1)
	v_mul_f32_e32 v39, v30, v201
	s_waitcnt vmcnt(28)
	v_fmac_f32_e32 v39, v31, v202
	v_add_f32_e32 v38, v38, v39
	s_waitcnt vmcnt(27)
	v_mul_f32_e32 v39, v32, v203
	s_waitcnt vmcnt(26)
	v_fmac_f32_e32 v39, v33, v204
	v_add_f32_e32 v38, v38, v39
	s_waitcnt vmcnt(25) lgkmcnt(0)
	v_mul_f32_e32 v39, v34, v205
	s_waitcnt vmcnt(24)
	v_fmac_f32_e32 v39, v35, v206
	v_add_f32_e32 v42, v38, v39
	ds_read2_b64 v[38:41], v4 offset0:81 offset1:82
	s_waitcnt vmcnt(23)
	v_mul_f32_e32 v43, v36, v207
	s_waitcnt vmcnt(22)
	v_fmac_f32_e32 v43, v37, v208
	v_add_f32_e32 v46, v42, v43
	ds_read2_b64 v[42:45], v4 offset0:83 offset1:84
	s_waitcnt vmcnt(21) lgkmcnt(1)
	v_mul_f32_e32 v47, v38, v209
	s_waitcnt vmcnt(20)
	v_fmac_f32_e32 v47, v39, v210
	v_add_f32_e32 v46, v46, v47
	s_waitcnt vmcnt(18)
	v_mul_f32_e32 v47, v40, v212
	v_fmac_f32_e32 v47, v41, v211
	v_add_f32_e32 v46, v46, v47
	s_waitcnt vmcnt(15) lgkmcnt(0)
	v_mul_f32_e32 v47, v42, v213
	s_waitcnt vmcnt(14)
	v_fmac_f32_e32 v47, v43, v214
	v_add_f32_e32 v50, v46, v47
	ds_read2_b64 v[46:49], v4 offset0:85 offset1:86
	s_waitcnt vmcnt(12)
	v_mul_f32_e32 v51, v44, v216
	v_fmac_f32_e32 v51, v45, v215
	v_add_f32_e32 v54, v50, v51
	ds_read2_b64 v[50:53], v4 offset0:87 offset1:88
	buffer_load_dword v63, off, s[0:3], 0 offset:332
	buffer_load_dword v62, off, s[0:3], 0 offset:328
	s_waitcnt vmcnt(12) lgkmcnt(1)
	v_mul_f32_e32 v55, v46, v218
	v_fmac_f32_e32 v55, v47, v217
	v_add_f32_e32 v54, v54, v55
	s_waitcnt vmcnt(10)
	v_mul_f32_e32 v55, v48, v220
	v_fmac_f32_e32 v55, v49, v219
	v_add_f32_e32 v54, v54, v55
	s_waitcnt vmcnt(8) lgkmcnt(0)
	v_mul_f32_e32 v55, v50, v222
	v_fmac_f32_e32 v55, v51, v221
	s_waitcnt vmcnt(6)
	v_mul_f32_e32 v59, v52, v224
	v_add_f32_e32 v58, v54, v55
	v_fmac_f32_e32 v59, v53, v223
	ds_read2_b64 v[54:57], v4 offset0:89 offset1:90
	v_add_f32_e32 v65, v58, v59
	ds_read2_b64 v[58:61], v4 offset0:91 offset1:92
	buffer_load_dword v71, off, s[0:3], 0 offset:364
	buffer_load_dword v70, off, s[0:3], 0 offset:360
	;; [unrolled: 1-line block ×14, first 2 shown]
	v_mul_f32_e32 v1, v7, v1
	v_fma_f32 v1, v6, v187, -v1
	v_mul_f32_e32 v5, v9, v5
	v_add_f32_e32 v1, 0, v1
	v_fma_f32 v5, v8, v188, -v5
	v_add_f32_e32 v1, v1, v5
	v_mul_f32_e32 v5, v11, v64
	v_fma_f32 v5, v10, v189, -v5
	v_add_f32_e32 v1, v1, v5
	v_mul_f32_e32 v5, v13, v66
	;; [unrolled: 3-line block ×22, first 2 shown]
	v_fma_f32 v5, v52, v223, -v5
	s_waitcnt vmcnt(15)
	v_mov_b32_e32 v18, v63
	s_waitcnt lgkmcnt(1)
	v_mul_f32_e32 v67, v54, v226
	v_add_f32_e32 v64, v1, v5
	v_mul_f32_e32 v1, v55, v226
	s_waitcnt lgkmcnt(0)
	v_pk_mul_f32 v[18:19], v[58:59], v[18:19] op_sel_hi:[1,0]
	v_fmac_f32_e32 v67, v55, v225
	v_mul_f32_e32 v69, v56, v228
	v_fma_f32 v66, v54, v225, -v1
	v_mul_f32_e32 v1, v57, v228
	s_waitcnt vmcnt(14)
	v_pk_fma_f32 v[20:21], v[58:59], v[62:63], v[18:19] op_sel:[0,0,1] op_sel_hi:[1,1,0] neg_lo:[0,0,1] neg_hi:[0,0,1]
	v_pk_fma_f32 v[18:19], v[58:59], v[62:63], v[18:19] op_sel:[0,0,1] op_sel_hi:[1,0,0]
	v_fmac_f32_e32 v69, v57, v227
	v_fma_f32 v68, v56, v227, -v1
	ds_read2_b64 v[6:9], v4 offset0:93 offset1:94
	ds_read2_b64 v[10:13], v4 offset0:95 offset1:96
	;; [unrolled: 1-line block ×3, first 2 shown]
	v_pk_add_f32 v[4:5], v[64:65], v[66:67]
	s_waitcnt vmcnt(7)
	v_mov_b32_e32 v18, v77
	v_pk_add_f32 v[4:5], v[4:5], v[68:69]
	v_mov_b32_e32 v21, v19
	v_pk_mul_f32 v[18:19], v[60:61], v[18:19] op_sel_hi:[1,0]
	v_pk_add_f32 v[4:5], v[4:5], v[20:21]
	s_waitcnt vmcnt(6)
	v_pk_fma_f32 v[20:21], v[60:61], v[76:77], v[18:19] op_sel:[0,0,1] op_sel_hi:[1,1,0] neg_lo:[0,0,1] neg_hi:[0,0,1]
	v_pk_fma_f32 v[18:19], v[60:61], v[76:77], v[18:19] op_sel:[0,0,1] op_sel_hi:[1,0,0]
	v_mov_b32_e32 v18, v75
	v_mov_b32_e32 v21, v19
	s_waitcnt lgkmcnt(2)
	v_pk_mul_f32 v[18:19], v[6:7], v[18:19] op_sel_hi:[1,0]
	v_pk_add_f32 v[4:5], v[4:5], v[20:21]
	v_pk_fma_f32 v[20:21], v[6:7], v[74:75], v[18:19] op_sel:[0,0,1] op_sel_hi:[1,1,0] neg_lo:[0,0,1] neg_hi:[0,0,1]
	v_pk_fma_f32 v[6:7], v[6:7], v[74:75], v[18:19] op_sel:[0,0,1] op_sel_hi:[1,0,0]
	v_mov_b32_e32 v6, v73
	v_mov_b32_e32 v21, v7
	v_pk_mul_f32 v[6:7], v[8:9], v[6:7] op_sel_hi:[1,0]
	v_pk_fma_f32 v[18:19], v[8:9], v[72:73], v[6:7] op_sel:[0,0,1] op_sel_hi:[1,1,0] neg_lo:[0,0,1] neg_hi:[0,0,1]
	v_pk_fma_f32 v[6:7], v[8:9], v[72:73], v[6:7] op_sel:[0,0,1] op_sel_hi:[1,0,0]
	v_mov_b32_e32 v6, v71
	v_mov_b32_e32 v19, v7
	s_waitcnt lgkmcnt(1)
	v_pk_mul_f32 v[6:7], v[10:11], v[6:7] op_sel_hi:[1,0]
	v_pk_fma_f32 v[8:9], v[10:11], v[70:71], v[6:7] op_sel:[0,0,1] op_sel_hi:[1,1,0] neg_lo:[0,0,1] neg_hi:[0,0,1]
	v_pk_fma_f32 v[6:7], v[10:11], v[70:71], v[6:7] op_sel:[0,0,1] op_sel_hi:[1,0,0]
	v_pk_add_f32 v[4:5], v[4:5], v[20:21]
	s_waitcnt vmcnt(1)
	v_mov_b32_e32 v6, v181
	v_pk_add_f32 v[4:5], v[4:5], v[18:19]
	v_mov_b32_e32 v9, v7
	v_pk_mul_f32 v[6:7], v[12:13], v[6:7] op_sel_hi:[1,0]
	v_pk_add_f32 v[4:5], v[4:5], v[8:9]
	s_waitcnt vmcnt(0)
	v_pk_fma_f32 v[8:9], v[12:13], v[180:181], v[6:7] op_sel:[0,0,1] op_sel_hi:[1,1,0] neg_lo:[0,0,1] neg_hi:[0,0,1]
	v_pk_fma_f32 v[6:7], v[12:13], v[180:181], v[6:7] op_sel:[0,0,1] op_sel_hi:[1,0,0]
	v_mov_b32_e32 v6, v179
	v_mov_b32_e32 v9, v7
	s_waitcnt lgkmcnt(0)
	v_pk_mul_f32 v[6:7], v[14:15], v[6:7] op_sel_hi:[1,0]
	v_pk_add_f32 v[4:5], v[4:5], v[8:9]
	v_pk_fma_f32 v[8:9], v[14:15], v[178:179], v[6:7] op_sel:[0,0,1] op_sel_hi:[1,1,0] neg_lo:[0,0,1] neg_hi:[0,0,1]
	v_pk_fma_f32 v[6:7], v[14:15], v[178:179], v[6:7] op_sel:[0,0,1] op_sel_hi:[1,0,0]
	v_mov_b32_e32 v6, v177
	v_mov_b32_e32 v9, v7
	v_pk_mul_f32 v[6:7], v[16:17], v[6:7] op_sel_hi:[1,0]
	v_pk_add_f32 v[4:5], v[4:5], v[8:9]
	v_pk_fma_f32 v[8:9], v[16:17], v[176:177], v[6:7] op_sel:[0,0,1] op_sel_hi:[1,1,0] neg_lo:[0,0,1] neg_hi:[0,0,1]
	v_pk_fma_f32 v[6:7], v[16:17], v[176:177], v[6:7] op_sel:[0,0,1] op_sel_hi:[1,0,0]
	v_mov_b32_e32 v9, v7
	v_pk_add_f32 v[4:5], v[4:5], v[8:9]
	v_pk_add_f32 v[2:3], v[2:3], v[4:5] neg_lo:[0,1] neg_hi:[0,1]
	buffer_store_dword v3, off, s[0:3], 0 offset:116
	buffer_store_dword v2, off, s[0:3], 0 offset:112
	s_and_saveexec_b64 s[4:5], vcc
	s_cbranch_execz .LBB112_281
; %bb.280:
	buffer_load_dword v2, off, s[0:3], 0 offset:104
	buffer_load_dword v3, off, s[0:3], 0 offset:108
	v_mov_b32_e32 v1, 0
	v_accvgpr_read_b32 v4, a24
	buffer_store_dword v1, off, s[0:3], 0 offset:104
	buffer_store_dword v1, off, s[0:3], 0 offset:108
	s_waitcnt vmcnt(2)
	ds_write_b64 v4, v[2:3]
.LBB112_281:
	s_or_b64 exec, exec, s[4:5]
	s_waitcnt lgkmcnt(0)
	; wave barrier
	s_waitcnt lgkmcnt(0)
	buffer_load_dword v1, off, s[0:3], 0 offset:116
	buffer_load_dword v5, off, s[0:3], 0 offset:124
	;; [unrolled: 1-line block ×56, first 2 shown]
	v_mov_b32_e32 v4, 0
	ds_read_b128 v[6:9], v4 offset:512
	ds_read_b128 v[10:13], v4 offset:528
	ds_read_b128 v[14:17], v4 offset:544
	ds_read_b128 v[18:21], v4 offset:560
	ds_read_b128 v[22:25], v4 offset:576
	ds_read_b128 v[26:29], v4 offset:592
	v_cmp_lt_u32_e32 vcc, 12, v0
	s_waitcnt vmcnt(55) lgkmcnt(5)
	v_mul_f32_e32 v30, v6, v1
	s_waitcnt vmcnt(54)
	v_mul_f32_e32 v31, v8, v5
	s_waitcnt vmcnt(53) lgkmcnt(4)
	v_mul_f32_e32 v32, v10, v62
	s_waitcnt vmcnt(52)
	v_mul_f32_e32 v33, v12, v64
	;; [unrolled: 4-line block ×4, first 2 shown]
	s_waitcnt vmcnt(47) lgkmcnt(1)
	v_mul_f32_e32 v38, v22, v185
	s_waitcnt vmcnt(46)
	v_fmac_f32_e32 v30, v7, v186
	s_waitcnt vmcnt(45)
	v_fmac_f32_e32 v31, v9, v187
	v_add_f32_e32 v30, 0, v30
	s_waitcnt vmcnt(44)
	v_fmac_f32_e32 v32, v11, v188
	v_add_f32_e32 v30, v30, v31
	;; [unrolled: 3-line block ×7, first 2 shown]
	v_add_f32_e32 v30, v30, v37
	s_waitcnt vmcnt(38)
	v_fmac_f32_e32 v38, v23, v194
	s_waitcnt vmcnt(37)
	v_mul_f32_e32 v31, v24, v195
	v_add_f32_e32 v30, v30, v38
	s_waitcnt vmcnt(36)
	v_fmac_f32_e32 v31, v25, v196
	v_add_f32_e32 v30, v30, v31
	s_waitcnt vmcnt(35) lgkmcnt(0)
	v_mul_f32_e32 v31, v26, v197
	s_waitcnt vmcnt(34)
	v_fmac_f32_e32 v31, v27, v198
	v_add_f32_e32 v34, v30, v31
	ds_read_b128 v[30:33], v4 offset:608
	s_waitcnt vmcnt(33)
	v_mul_f32_e32 v35, v28, v199
	s_waitcnt vmcnt(32)
	v_fmac_f32_e32 v35, v29, v200
	v_add_f32_e32 v38, v34, v35
	ds_read_b128 v[34:37], v4 offset:624
	s_waitcnt vmcnt(31) lgkmcnt(1)
	v_mul_f32_e32 v39, v30, v201
	s_waitcnt vmcnt(30)
	v_fmac_f32_e32 v39, v31, v202
	v_add_f32_e32 v38, v38, v39
	s_waitcnt vmcnt(29)
	v_mul_f32_e32 v39, v32, v203
	s_waitcnt vmcnt(28)
	v_fmac_f32_e32 v39, v33, v204
	v_add_f32_e32 v38, v38, v39
	s_waitcnt vmcnt(27) lgkmcnt(0)
	v_mul_f32_e32 v39, v34, v205
	s_waitcnt vmcnt(26)
	v_fmac_f32_e32 v39, v35, v206
	v_add_f32_e32 v42, v38, v39
	ds_read_b128 v[38:41], v4 offset:640
	s_waitcnt vmcnt(24)
	v_mul_f32_e32 v43, v36, v208
	v_fmac_f32_e32 v43, v37, v207
	v_add_f32_e32 v46, v42, v43
	ds_read_b128 v[42:45], v4 offset:656
	s_waitcnt vmcnt(20) lgkmcnt(1)
	v_mul_f32_e32 v47, v38, v210
	v_fmac_f32_e32 v47, v39, v209
	v_add_f32_e32 v46, v46, v47
	s_waitcnt vmcnt(18)
	v_mul_f32_e32 v47, v40, v212
	v_fmac_f32_e32 v47, v41, v211
	v_add_f32_e32 v46, v46, v47
	s_waitcnt vmcnt(16) lgkmcnt(0)
	v_mul_f32_e32 v47, v42, v214
	v_fmac_f32_e32 v47, v43, v213
	v_add_f32_e32 v50, v46, v47
	ds_read_b128 v[46:49], v4 offset:672
	s_waitcnt vmcnt(14)
	v_mul_f32_e32 v51, v44, v216
	v_fmac_f32_e32 v51, v45, v215
	v_add_f32_e32 v54, v50, v51
	ds_read_b128 v[50:53], v4 offset:688
	s_waitcnt vmcnt(12) lgkmcnt(1)
	v_mul_f32_e32 v55, v46, v218
	v_fmac_f32_e32 v55, v47, v217
	v_add_f32_e32 v54, v54, v55
	s_waitcnt vmcnt(10)
	v_mul_f32_e32 v55, v48, v220
	v_fmac_f32_e32 v55, v49, v219
	v_add_f32_e32 v54, v54, v55
	s_waitcnt vmcnt(8) lgkmcnt(0)
	v_mul_f32_e32 v55, v50, v222
	v_fmac_f32_e32 v55, v51, v221
	s_waitcnt vmcnt(6)
	v_mul_f32_e32 v59, v52, v224
	v_add_f32_e32 v58, v54, v55
	v_fmac_f32_e32 v59, v53, v223
	ds_read_b128 v[54:57], v4 offset:704
	v_add_f32_e32 v63, v58, v59
	ds_read_b128 v[58:61], v4 offset:720
	buffer_load_dword v69, off, s[0:3], 0 offset:356
	buffer_load_dword v68, off, s[0:3], 0 offset:352
	;; [unrolled: 1-line block ×16, first 2 shown]
	v_mul_f32_e32 v1, v7, v1
	v_fma_f32 v1, v6, v186, -v1
	v_mul_f32_e32 v5, v9, v5
	v_add_f32_e32 v1, 0, v1
	v_fma_f32 v5, v8, v187, -v5
	v_add_f32_e32 v1, v1, v5
	v_mul_f32_e32 v5, v11, v62
	v_fma_f32 v5, v10, v188, -v5
	v_add_f32_e32 v1, v1, v5
	v_mul_f32_e32 v5, v13, v64
	v_fma_f32 v5, v12, v189, -v5
	v_add_f32_e32 v1, v1, v5
	v_mul_f32_e32 v5, v15, v66
	v_fma_f32 v5, v14, v190, -v5
	v_add_f32_e32 v1, v1, v5
	v_mul_f32_e32 v5, v17, v182
	v_fma_f32 v5, v16, v191, -v5
	v_add_f32_e32 v1, v1, v5
	v_mul_f32_e32 v5, v19, v183
	v_fma_f32 v5, v18, v192, -v5
	v_add_f32_e32 v1, v1, v5
	v_mul_f32_e32 v5, v21, v184
	v_fma_f32 v5, v20, v193, -v5
	v_add_f32_e32 v1, v1, v5
	v_mul_f32_e32 v5, v23, v185
	v_fma_f32 v5, v22, v194, -v5
	v_add_f32_e32 v1, v1, v5
	v_mul_f32_e32 v5, v25, v195
	v_fma_f32 v5, v24, v196, -v5
	v_add_f32_e32 v1, v1, v5
	v_mul_f32_e32 v5, v27, v197
	v_fma_f32 v5, v26, v198, -v5
	v_add_f32_e32 v1, v1, v5
	v_mul_f32_e32 v5, v29, v199
	v_fma_f32 v5, v28, v200, -v5
	v_add_f32_e32 v1, v1, v5
	v_mul_f32_e32 v5, v31, v201
	v_fma_f32 v5, v30, v202, -v5
	v_add_f32_e32 v1, v1, v5
	v_mul_f32_e32 v5, v33, v203
	v_fma_f32 v5, v32, v204, -v5
	v_add_f32_e32 v1, v1, v5
	v_mul_f32_e32 v5, v35, v205
	v_fma_f32 v5, v34, v206, -v5
	v_add_f32_e32 v1, v1, v5
	v_mul_f32_e32 v5, v37, v208
	v_fma_f32 v5, v36, v207, -v5
	v_add_f32_e32 v1, v1, v5
	v_mul_f32_e32 v5, v39, v210
	v_fma_f32 v5, v38, v209, -v5
	v_add_f32_e32 v1, v1, v5
	v_mul_f32_e32 v5, v41, v212
	v_fma_f32 v5, v40, v211, -v5
	v_add_f32_e32 v1, v1, v5
	v_mul_f32_e32 v5, v43, v214
	v_fma_f32 v5, v42, v213, -v5
	v_add_f32_e32 v1, v1, v5
	v_mul_f32_e32 v5, v45, v216
	v_fma_f32 v5, v44, v215, -v5
	v_add_f32_e32 v1, v1, v5
	v_mul_f32_e32 v5, v47, v218
	v_fma_f32 v5, v46, v217, -v5
	v_add_f32_e32 v1, v1, v5
	v_mul_f32_e32 v5, v49, v220
	v_fma_f32 v5, v48, v219, -v5
	v_add_f32_e32 v1, v1, v5
	v_mul_f32_e32 v5, v51, v222
	v_fma_f32 v5, v50, v221, -v5
	v_add_f32_e32 v1, v1, v5
	v_mul_f32_e32 v5, v53, v224
	v_fma_f32 v5, v52, v223, -v5
	s_waitcnt vmcnt(20) lgkmcnt(1)
	v_mul_f32_e32 v65, v54, v226
	v_add_f32_e32 v1, v1, v5
	v_mul_f32_e32 v5, v55, v226
	v_fmac_f32_e32 v65, v55, v225
	v_fma_f32 v5, v54, v225, -v5
	s_waitcnt vmcnt(9)
	v_mov_b32_e32 v22, v75
	v_add_f32_e32 v63, v63, v65
	v_mul_f32_e32 v65, v56, v228
	v_add_f32_e32 v62, v1, v5
	v_mul_f32_e32 v1, v57, v228
	s_waitcnt lgkmcnt(0)
	v_pk_mul_f32 v[22:23], v[60:61], v[22:23] op_sel_hi:[1,0]
	v_fmac_f32_e32 v65, v57, v227
	v_mul_f32_e32 v67, v58, v230
	v_fma_f32 v64, v56, v227, -v1
	v_mul_f32_e32 v1, v59, v230
	ds_read_b128 v[6:9], v4 offset:736
	ds_read_b128 v[10:13], v4 offset:752
	;; [unrolled: 1-line block ×3, first 2 shown]
	ds_read_b64 v[18:19], v4 offset:784
	s_waitcnt vmcnt(8)
	v_pk_fma_f32 v[24:25], v[60:61], v[74:75], v[22:23] op_sel:[0,0,1] op_sel_hi:[1,1,0] neg_lo:[0,0,1] neg_hi:[0,0,1]
	v_pk_fma_f32 v[22:23], v[60:61], v[74:75], v[22:23] op_sel:[0,0,1] op_sel_hi:[1,0,0]
	v_fmac_f32_e32 v67, v59, v229
	v_fma_f32 v66, v58, v229, -v1
	v_pk_add_f32 v[20:21], v[62:63], v[64:65]
	v_mov_b32_e32 v22, v73
	v_pk_add_f32 v[20:21], v[20:21], v[66:67]
	v_mov_b32_e32 v25, v23
	s_waitcnt lgkmcnt(3)
	v_pk_mul_f32 v[22:23], v[6:7], v[22:23] op_sel_hi:[1,0]
	v_pk_add_f32 v[20:21], v[20:21], v[24:25]
	v_pk_fma_f32 v[24:25], v[6:7], v[72:73], v[22:23] op_sel:[0,0,1] op_sel_hi:[1,1,0] neg_lo:[0,0,1] neg_hi:[0,0,1]
	v_pk_fma_f32 v[6:7], v[6:7], v[72:73], v[22:23] op_sel:[0,0,1] op_sel_hi:[1,0,0]
	v_mov_b32_e32 v25, v7
	v_pk_add_f32 v[6:7], v[20:21], v[24:25]
	v_mov_b32_e32 v20, v71
	v_pk_mul_f32 v[20:21], v[8:9], v[20:21] op_sel_hi:[1,0]
	v_pk_fma_f32 v[22:23], v[8:9], v[70:71], v[20:21] op_sel:[0,0,1] op_sel_hi:[1,1,0] neg_lo:[0,0,1] neg_hi:[0,0,1]
	v_pk_fma_f32 v[8:9], v[8:9], v[70:71], v[20:21] op_sel:[0,0,1] op_sel_hi:[1,0,0]
	v_mov_b32_e32 v8, v69
	v_mov_b32_e32 v23, v9
	s_waitcnt lgkmcnt(2)
	v_pk_mul_f32 v[8:9], v[10:11], v[8:9] op_sel_hi:[1,0]
	v_pk_fma_f32 v[20:21], v[10:11], v[68:69], v[8:9] op_sel:[0,0,1] op_sel_hi:[1,1,0] neg_lo:[0,0,1] neg_hi:[0,0,1]
	v_pk_fma_f32 v[8:9], v[10:11], v[68:69], v[8:9] op_sel:[0,0,1] op_sel_hi:[1,0,0]
	s_waitcnt vmcnt(1)
	v_mov_b32_e32 v8, v181
	v_mov_b32_e32 v21, v9
	v_pk_mul_f32 v[8:9], v[12:13], v[8:9] op_sel_hi:[1,0]
	s_waitcnt vmcnt(0)
	v_pk_fma_f32 v[10:11], v[12:13], v[180:181], v[8:9] op_sel:[0,0,1] op_sel_hi:[1,1,0] neg_lo:[0,0,1] neg_hi:[0,0,1]
	v_pk_fma_f32 v[8:9], v[12:13], v[180:181], v[8:9] op_sel:[0,0,1] op_sel_hi:[1,0,0]
	v_pk_add_f32 v[6:7], v[6:7], v[22:23]
	v_mov_b32_e32 v8, v179
	v_pk_add_f32 v[6:7], v[6:7], v[20:21]
	v_mov_b32_e32 v11, v9
	s_waitcnt lgkmcnt(1)
	v_pk_mul_f32 v[8:9], v[14:15], v[8:9] op_sel_hi:[1,0]
	v_pk_add_f32 v[6:7], v[6:7], v[10:11]
	v_pk_fma_f32 v[10:11], v[14:15], v[178:179], v[8:9] op_sel:[0,0,1] op_sel_hi:[1,1,0] neg_lo:[0,0,1] neg_hi:[0,0,1]
	v_pk_fma_f32 v[8:9], v[14:15], v[178:179], v[8:9] op_sel:[0,0,1] op_sel_hi:[1,0,0]
	v_mov_b32_e32 v8, v177
	v_mov_b32_e32 v11, v9
	v_pk_mul_f32 v[8:9], v[16:17], v[8:9] op_sel_hi:[1,0]
	v_pk_add_f32 v[6:7], v[6:7], v[10:11]
	v_pk_fma_f32 v[10:11], v[16:17], v[176:177], v[8:9] op_sel:[0,0,1] op_sel_hi:[1,1,0] neg_lo:[0,0,1] neg_hi:[0,0,1]
	v_pk_fma_f32 v[8:9], v[16:17], v[176:177], v[8:9] op_sel:[0,0,1] op_sel_hi:[1,0,0]
	v_mov_b32_e32 v8, v77
	v_mov_b32_e32 v11, v9
	s_waitcnt lgkmcnt(0)
	v_pk_mul_f32 v[8:9], v[18:19], v[8:9] op_sel_hi:[1,0]
	v_pk_add_f32 v[6:7], v[6:7], v[10:11]
	v_pk_fma_f32 v[10:11], v[18:19], v[76:77], v[8:9] op_sel:[0,0,1] op_sel_hi:[1,1,0] neg_lo:[0,0,1] neg_hi:[0,0,1]
	v_pk_fma_f32 v[8:9], v[18:19], v[76:77], v[8:9] op_sel:[0,0,1] op_sel_hi:[1,0,0]
	v_mov_b32_e32 v11, v9
	v_pk_add_f32 v[6:7], v[6:7], v[10:11]
	v_pk_add_f32 v[2:3], v[2:3], v[6:7] neg_lo:[0,1] neg_hi:[0,1]
	buffer_store_dword v3, off, s[0:3], 0 offset:108
	buffer_store_dword v2, off, s[0:3], 0 offset:104
	s_and_saveexec_b64 s[4:5], vcc
	s_cbranch_execz .LBB112_283
; %bb.282:
	buffer_load_dword v2, off, s[0:3], 0 offset:96
	buffer_load_dword v3, off, s[0:3], 0 offset:100
	v_accvgpr_read_b32 v1, a24
	buffer_store_dword v4, off, s[0:3], 0 offset:96
	buffer_store_dword v4, off, s[0:3], 0 offset:100
	s_waitcnt vmcnt(2)
	ds_write_b64 v1, v[2:3]
.LBB112_283:
	s_or_b64 exec, exec, s[4:5]
	s_waitcnt lgkmcnt(0)
	; wave barrier
	s_waitcnt lgkmcnt(0)
	buffer_load_dword v1, off, s[0:3], 0 offset:108
	buffer_load_dword v5, off, s[0:3], 0 offset:116
	;; [unrolled: 1-line block ×36, first 2 shown]
	ds_read2_b64 v[6:9], v4 offset0:63 offset1:64
	ds_read2_b64 v[10:13], v4 offset0:65 offset1:66
	buffer_load_dword v211, off, s[0:3], 0 offset:240
	buffer_load_dword v212, off, s[0:3], 0 offset:244
	;; [unrolled: 1-line block ×4, first 2 shown]
	ds_read2_b64 v[14:17], v4 offset0:67 offset1:68
	ds_read2_b64 v[18:21], v4 offset0:69 offset1:70
	buffer_load_dword v215, off, s[0:3], 0 offset:256
	buffer_load_dword v216, off, s[0:3], 0 offset:260
	ds_read2_b64 v[22:25], v4 offset0:71 offset1:72
	ds_read2_b64 v[26:29], v4 offset0:73 offset1:74
	buffer_load_dword v217, off, s[0:3], 0 offset:264
	buffer_load_dword v218, off, s[0:3], 0 offset:268
	;; [unrolled: 1-line block ×16, first 2 shown]
	v_cmp_lt_u32_e32 vcc, 11, v0
	s_waitcnt vmcnt(57) lgkmcnt(5)
	v_mul_f32_e32 v30, v6, v1
	s_waitcnt vmcnt(56)
	v_mul_f32_e32 v31, v8, v5
	s_waitcnt vmcnt(55) lgkmcnt(4)
	v_mul_f32_e32 v32, v10, v62
	s_waitcnt vmcnt(54)
	v_mul_f32_e32 v33, v12, v64
	;; [unrolled: 4-line block ×4, first 2 shown]
	s_waitcnt vmcnt(49)
	v_fmac_f32_e32 v30, v7, v185
	s_waitcnt vmcnt(48)
	v_fmac_f32_e32 v31, v9, v186
	v_add_f32_e32 v30, 0, v30
	s_waitcnt vmcnt(47)
	v_fmac_f32_e32 v32, v11, v187
	v_add_f32_e32 v30, v30, v31
	;; [unrolled: 3-line block ×7, first 2 shown]
	s_waitcnt vmcnt(41) lgkmcnt(1)
	v_mul_f32_e32 v31, v22, v193
	v_add_f32_e32 v30, v30, v37
	s_waitcnt vmcnt(40)
	v_fmac_f32_e32 v31, v23, v194
	v_add_f32_e32 v30, v30, v31
	s_waitcnt vmcnt(39)
	v_mul_f32_e32 v31, v24, v195
	s_waitcnt vmcnt(38)
	v_fmac_f32_e32 v31, v25, v196
	v_add_f32_e32 v30, v30, v31
	s_waitcnt vmcnt(37) lgkmcnt(0)
	v_mul_f32_e32 v31, v26, v197
	s_waitcnt vmcnt(36)
	v_fmac_f32_e32 v31, v27, v198
	v_add_f32_e32 v34, v30, v31
	ds_read2_b64 v[30:33], v4 offset0:75 offset1:76
	s_waitcnt vmcnt(35)
	v_mul_f32_e32 v35, v28, v199
	s_waitcnt vmcnt(34)
	v_fmac_f32_e32 v35, v29, v200
	v_add_f32_e32 v38, v34, v35
	ds_read2_b64 v[34:37], v4 offset0:77 offset1:78
	s_waitcnt vmcnt(33) lgkmcnt(1)
	v_mul_f32_e32 v39, v30, v201
	s_waitcnt vmcnt(32)
	v_fmac_f32_e32 v39, v31, v202
	v_add_f32_e32 v38, v38, v39
	s_waitcnt vmcnt(31)
	v_mul_f32_e32 v39, v32, v203
	s_waitcnt vmcnt(30)
	v_fmac_f32_e32 v39, v33, v204
	v_add_f32_e32 v38, v38, v39
	s_waitcnt vmcnt(29) lgkmcnt(0)
	v_mul_f32_e32 v39, v34, v205
	s_waitcnt vmcnt(28)
	v_fmac_f32_e32 v39, v35, v206
	v_add_f32_e32 v42, v38, v39
	ds_read2_b64 v[38:41], v4 offset0:79 offset1:80
	s_waitcnt vmcnt(25)
	v_mul_f32_e32 v43, v36, v207
	s_waitcnt vmcnt(24)
	v_fmac_f32_e32 v43, v37, v208
	v_add_f32_e32 v46, v42, v43
	ds_read2_b64 v[42:45], v4 offset0:81 offset1:82
	s_waitcnt vmcnt(22) lgkmcnt(1)
	v_mul_f32_e32 v47, v38, v210
	v_fmac_f32_e32 v47, v39, v209
	v_add_f32_e32 v46, v46, v47
	s_waitcnt vmcnt(20)
	v_mul_f32_e32 v47, v40, v212
	v_fmac_f32_e32 v47, v41, v211
	v_add_f32_e32 v46, v46, v47
	s_waitcnt vmcnt(18) lgkmcnt(0)
	v_mul_f32_e32 v47, v42, v214
	v_fmac_f32_e32 v47, v43, v213
	v_add_f32_e32 v50, v46, v47
	ds_read2_b64 v[46:49], v4 offset0:83 offset1:84
	s_waitcnt vmcnt(16)
	v_mul_f32_e32 v51, v44, v216
	v_fmac_f32_e32 v51, v45, v215
	v_add_f32_e32 v54, v50, v51
	ds_read2_b64 v[50:53], v4 offset0:85 offset1:86
	s_waitcnt vmcnt(14) lgkmcnt(1)
	v_mul_f32_e32 v55, v46, v218
	v_fmac_f32_e32 v55, v47, v217
	v_add_f32_e32 v54, v54, v55
	s_waitcnt vmcnt(12)
	v_mul_f32_e32 v55, v48, v220
	v_fmac_f32_e32 v55, v49, v219
	v_add_f32_e32 v54, v54, v55
	s_waitcnt vmcnt(10) lgkmcnt(0)
	v_mul_f32_e32 v55, v50, v222
	v_fmac_f32_e32 v55, v51, v221
	s_waitcnt vmcnt(8)
	v_mul_f32_e32 v59, v52, v224
	v_add_f32_e32 v58, v54, v55
	v_fmac_f32_e32 v59, v53, v223
	ds_read2_b64 v[54:57], v4 offset0:87 offset1:88
	v_add_f32_e32 v63, v58, v59
	ds_read2_b64 v[58:61], v4 offset0:89 offset1:90
	buffer_load_dword v67, off, s[0:3], 0 offset:348
	buffer_load_dword v66, off, s[0:3], 0 offset:344
	;; [unrolled: 1-line block ×16, first 2 shown]
	v_mul_f32_e32 v1, v7, v1
	v_fma_f32 v1, v6, v185, -v1
	v_mul_f32_e32 v5, v9, v5
	v_add_f32_e32 v1, 0, v1
	v_fma_f32 v5, v8, v186, -v5
	v_add_f32_e32 v1, v1, v5
	v_mul_f32_e32 v5, v11, v62
	v_fma_f32 v5, v10, v187, -v5
	v_add_f32_e32 v1, v1, v5
	v_mul_f32_e32 v5, v13, v64
	v_fma_f32 v5, v12, v188, -v5
	v_add_f32_e32 v1, v1, v5
	v_mul_f32_e32 v5, v15, v72
	v_fma_f32 v5, v14, v189, -v5
	v_add_f32_e32 v1, v1, v5
	v_mul_f32_e32 v5, v17, v182
	v_fma_f32 v5, v16, v190, -v5
	v_add_f32_e32 v1, v1, v5
	v_mul_f32_e32 v5, v19, v183
	v_fma_f32 v5, v18, v191, -v5
	v_add_f32_e32 v1, v1, v5
	v_mul_f32_e32 v5, v21, v184
	v_fma_f32 v5, v20, v192, -v5
	v_add_f32_e32 v1, v1, v5
	v_mul_f32_e32 v5, v23, v193
	v_fma_f32 v5, v22, v194, -v5
	v_add_f32_e32 v1, v1, v5
	v_mul_f32_e32 v5, v25, v195
	v_fma_f32 v5, v24, v196, -v5
	v_add_f32_e32 v1, v1, v5
	v_mul_f32_e32 v5, v27, v197
	v_fma_f32 v5, v26, v198, -v5
	v_add_f32_e32 v1, v1, v5
	v_mul_f32_e32 v5, v29, v199
	v_fma_f32 v5, v28, v200, -v5
	v_add_f32_e32 v1, v1, v5
	v_mul_f32_e32 v5, v31, v201
	v_fma_f32 v5, v30, v202, -v5
	v_add_f32_e32 v1, v1, v5
	v_mul_f32_e32 v5, v33, v203
	v_fma_f32 v5, v32, v204, -v5
	v_add_f32_e32 v1, v1, v5
	v_mul_f32_e32 v5, v35, v205
	v_fma_f32 v5, v34, v206, -v5
	v_add_f32_e32 v1, v1, v5
	v_mul_f32_e32 v5, v37, v207
	v_fma_f32 v5, v36, v208, -v5
	v_add_f32_e32 v1, v1, v5
	v_mul_f32_e32 v5, v39, v210
	v_fma_f32 v5, v38, v209, -v5
	v_add_f32_e32 v1, v1, v5
	v_mul_f32_e32 v5, v41, v212
	v_fma_f32 v5, v40, v211, -v5
	v_add_f32_e32 v1, v1, v5
	v_mul_f32_e32 v5, v43, v214
	v_fma_f32 v5, v42, v213, -v5
	v_add_f32_e32 v1, v1, v5
	v_mul_f32_e32 v5, v45, v216
	v_fma_f32 v5, v44, v215, -v5
	v_add_f32_e32 v1, v1, v5
	v_mul_f32_e32 v5, v47, v218
	v_fma_f32 v5, v46, v217, -v5
	v_add_f32_e32 v1, v1, v5
	v_mul_f32_e32 v5, v49, v220
	v_fma_f32 v5, v48, v219, -v5
	v_add_f32_e32 v1, v1, v5
	v_mul_f32_e32 v5, v51, v222
	v_fma_f32 v5, v50, v221, -v5
	v_add_f32_e32 v1, v1, v5
	v_mul_f32_e32 v5, v53, v224
	ds_read2_b64 v[6:9], v4 offset0:91 offset1:92
	ds_read2_b64 v[10:13], v4 offset0:93 offset1:94
	ds_read2_b64 v[14:17], v4 offset0:95 offset1:96
	ds_read2_b64 v[18:21], v4 offset0:97 offset1:98
	v_fma_f32 v5, v52, v223, -v5
	s_waitcnt vmcnt(22) lgkmcnt(5)
	v_mul_f32_e32 v65, v54, v226
	v_add_f32_e32 v1, v1, v5
	v_mul_f32_e32 v5, v55, v226
	v_fmac_f32_e32 v65, v55, v225
	v_fma_f32 v5, v54, v225, -v5
	s_waitcnt vmcnt(11)
	v_mov_b32_e32 v22, v71
	s_waitcnt lgkmcnt(3)
	v_pk_mul_f32 v[22:23], v[6:7], v[22:23] op_sel_hi:[1,0]
	s_waitcnt vmcnt(10)
	v_pk_fma_f32 v[24:25], v[6:7], v[70:71], v[22:23] op_sel:[0,0,1] op_sel_hi:[1,1,0] neg_lo:[0,0,1] neg_hi:[0,0,1]
	v_pk_fma_f32 v[6:7], v[6:7], v[70:71], v[22:23] op_sel:[0,0,1] op_sel_hi:[1,0,0]
	v_add_f32_e32 v63, v63, v65
	v_mul_f32_e32 v65, v56, v228
	v_add_f32_e32 v1, v1, v5
	v_mul_f32_e32 v5, v57, v228
	v_mov_b32_e32 v6, v69
	v_fmac_f32_e32 v65, v57, v227
	v_fma_f32 v5, v56, v227, -v5
	v_mov_b32_e32 v25, v7
	v_pk_mul_f32 v[6:7], v[8:9], v[6:7] op_sel_hi:[1,0]
	v_add_f32_e32 v63, v63, v65
	v_mul_f32_e32 v65, v58, v230
	v_add_f32_e32 v62, v1, v5
	v_mul_f32_e32 v1, v59, v230
	v_pk_fma_f32 v[22:23], v[8:9], v[68:69], v[6:7] op_sel:[0,0,1] op_sel_hi:[1,1,0] neg_lo:[0,0,1] neg_hi:[0,0,1]
	v_pk_fma_f32 v[6:7], v[8:9], v[68:69], v[6:7] op_sel:[0,0,1] op_sel_hi:[1,0,0]
	v_fmac_f32_e32 v65, v59, v229
	v_mul_f32_e32 v73, v60, v232
	v_fma_f32 v64, v58, v229, -v1
	v_mul_f32_e32 v1, v61, v232
	v_mov_b32_e32 v6, v67
	v_fmac_f32_e32 v73, v61, v231
	v_fma_f32 v72, v60, v231, -v1
	v_pk_add_f32 v[4:5], v[62:63], v[64:65]
	v_mov_b32_e32 v23, v7
	s_waitcnt lgkmcnt(2)
	v_pk_mul_f32 v[6:7], v[10:11], v[6:7] op_sel_hi:[1,0]
	v_pk_add_f32 v[4:5], v[4:5], v[72:73]
	v_pk_fma_f32 v[8:9], v[10:11], v[66:67], v[6:7] op_sel:[0,0,1] op_sel_hi:[1,1,0] neg_lo:[0,0,1] neg_hi:[0,0,1]
	v_pk_fma_f32 v[6:7], v[10:11], v[66:67], v[6:7] op_sel:[0,0,1] op_sel_hi:[1,0,0]
	v_pk_add_f32 v[4:5], v[4:5], v[24:25]
	s_waitcnt vmcnt(3)
	v_mov_b32_e32 v6, v179
	v_pk_add_f32 v[4:5], v[4:5], v[22:23]
	v_mov_b32_e32 v9, v7
	v_pk_mul_f32 v[6:7], v[12:13], v[6:7] op_sel_hi:[1,0]
	v_pk_add_f32 v[4:5], v[4:5], v[8:9]
	s_waitcnt vmcnt(2)
	v_pk_fma_f32 v[8:9], v[12:13], v[178:179], v[6:7] op_sel:[0,0,1] op_sel_hi:[1,1,0] neg_lo:[0,0,1] neg_hi:[0,0,1]
	v_pk_fma_f32 v[6:7], v[12:13], v[178:179], v[6:7] op_sel:[0,0,1] op_sel_hi:[1,0,0]
	v_mov_b32_e32 v6, v177
	v_mov_b32_e32 v9, v7
	s_waitcnt lgkmcnt(1)
	v_pk_mul_f32 v[6:7], v[14:15], v[6:7] op_sel_hi:[1,0]
	v_pk_add_f32 v[4:5], v[4:5], v[8:9]
	v_pk_fma_f32 v[8:9], v[14:15], v[176:177], v[6:7] op_sel:[0,0,1] op_sel_hi:[1,1,0] neg_lo:[0,0,1] neg_hi:[0,0,1]
	v_pk_fma_f32 v[6:7], v[14:15], v[176:177], v[6:7] op_sel:[0,0,1] op_sel_hi:[1,0,0]
	v_mov_b32_e32 v6, v77
	v_mov_b32_e32 v9, v7
	v_pk_mul_f32 v[6:7], v[16:17], v[6:7] op_sel_hi:[1,0]
	v_pk_add_f32 v[4:5], v[4:5], v[8:9]
	v_pk_fma_f32 v[8:9], v[16:17], v[76:77], v[6:7] op_sel:[0,0,1] op_sel_hi:[1,1,0] neg_lo:[0,0,1] neg_hi:[0,0,1]
	v_pk_fma_f32 v[6:7], v[16:17], v[76:77], v[6:7] op_sel:[0,0,1] op_sel_hi:[1,0,0]
	v_mov_b32_e32 v6, v75
	v_mov_b32_e32 v9, v7
	s_waitcnt lgkmcnt(0)
	v_pk_mul_f32 v[6:7], v[18:19], v[6:7] op_sel_hi:[1,0]
	v_pk_add_f32 v[4:5], v[4:5], v[8:9]
	v_pk_fma_f32 v[8:9], v[18:19], v[74:75], v[6:7] op_sel:[0,0,1] op_sel_hi:[1,1,0] neg_lo:[0,0,1] neg_hi:[0,0,1]
	v_pk_fma_f32 v[6:7], v[18:19], v[74:75], v[6:7] op_sel:[0,0,1] op_sel_hi:[1,0,0]
	s_waitcnt vmcnt(1)
	v_mov_b32_e32 v6, v181
	v_mov_b32_e32 v9, v7
	v_pk_mul_f32 v[6:7], v[20:21], v[6:7] op_sel_hi:[1,0]
	v_pk_add_f32 v[4:5], v[4:5], v[8:9]
	s_waitcnt vmcnt(0)
	v_pk_fma_f32 v[8:9], v[20:21], v[180:181], v[6:7] op_sel:[0,0,1] op_sel_hi:[1,1,0] neg_lo:[0,0,1] neg_hi:[0,0,1]
	v_pk_fma_f32 v[6:7], v[20:21], v[180:181], v[6:7] op_sel:[0,0,1] op_sel_hi:[1,0,0]
	v_mov_b32_e32 v9, v7
	v_pk_add_f32 v[4:5], v[4:5], v[8:9]
	v_pk_add_f32 v[2:3], v[2:3], v[4:5] neg_lo:[0,1] neg_hi:[0,1]
	buffer_store_dword v3, off, s[0:3], 0 offset:100
	buffer_store_dword v2, off, s[0:3], 0 offset:96
	s_and_saveexec_b64 s[4:5], vcc
	s_cbranch_execz .LBB112_285
; %bb.284:
	buffer_load_dword v2, off, s[0:3], 0 offset:88
	buffer_load_dword v3, off, s[0:3], 0 offset:92
	v_mov_b32_e32 v1, 0
	v_accvgpr_read_b32 v4, a24
	buffer_store_dword v1, off, s[0:3], 0 offset:88
	buffer_store_dword v1, off, s[0:3], 0 offset:92
	s_waitcnt vmcnt(2)
	ds_write_b64 v4, v[2:3]
.LBB112_285:
	s_or_b64 exec, exec, s[4:5]
	s_waitcnt lgkmcnt(0)
	; wave barrier
	s_waitcnt lgkmcnt(0)
	buffer_load_dword v1, off, s[0:3], 0 offset:100
	buffer_load_dword v17, off, s[0:3], 0 offset:108
	;; [unrolled: 1-line block ×56, first 2 shown]
	v_mov_b32_e32 v16, 0
	ds_read_b128 v[2:5], v16 offset:496
	buffer_load_dword v239, off, s[0:3], 0 offset:312
	buffer_load_dword v240, off, s[0:3], 0 offset:316
	buffer_load_dword v241, off, s[0:3], 0 offset:320
	buffer_load_dword v242, off, s[0:3], 0 offset:324
	ds_read_b128 v[8:11], v16 offset:512
	ds_read_b128 v[12:15], v16 offset:528
	;; [unrolled: 1-line block ×3, first 2 shown]
	v_cmp_lt_u32_e32 vcc, 10, v0
	s_waitcnt vmcnt(59) lgkmcnt(3)
	v_mul_f32_e32 v22, v2, v1
	s_waitcnt vmcnt(58)
	v_mul_f32_e32 v23, v4, v17
	s_waitcnt vmcnt(57) lgkmcnt(2)
	v_mul_f32_e32 v24, v8, v70
	s_waitcnt vmcnt(56)
	v_mul_f32_e32 v25, v10, v76
	;; [unrolled: 4-line block ×3, first 2 shown]
	s_waitcnt vmcnt(53) lgkmcnt(0)
	v_mul_f32_e32 v28, v18, v191
	s_waitcnt vmcnt(52)
	v_fmac_f32_e32 v22, v3, v192
	s_waitcnt vmcnt(51)
	v_fmac_f32_e32 v23, v5, v193
	v_add_f32_e32 v22, 0, v22
	s_waitcnt vmcnt(50)
	v_fmac_f32_e32 v24, v9, v194
	v_add_f32_e32 v22, v22, v23
	s_waitcnt vmcnt(49)
	v_fmac_f32_e32 v25, v11, v195
	v_add_f32_e32 v22, v22, v24
	s_waitcnt vmcnt(48)
	v_fmac_f32_e32 v26, v13, v196
	v_add_f32_e32 v22, v22, v25
	s_waitcnt vmcnt(47)
	v_fmac_f32_e32 v27, v15, v197
	v_add_f32_e32 v22, v22, v26
	s_waitcnt vmcnt(46)
	v_fmac_f32_e32 v28, v19, v198
	v_add_f32_e32 v22, v22, v27
	v_add_f32_e32 v26, v22, v28
	ds_read_b128 v[22:25], v16 offset:560
	s_waitcnt vmcnt(45)
	v_mul_f32_e32 v27, v20, v199
	s_waitcnt vmcnt(44)
	v_fmac_f32_e32 v27, v21, v200
	v_add_f32_e32 v30, v26, v27
	ds_read_b128 v[26:29], v16 offset:576
	s_waitcnt vmcnt(43) lgkmcnt(1)
	v_mul_f32_e32 v31, v22, v201
	s_waitcnt vmcnt(42)
	v_fmac_f32_e32 v31, v23, v202
	v_add_f32_e32 v30, v30, v31
	s_waitcnt vmcnt(41)
	v_mul_f32_e32 v31, v24, v203
	s_waitcnt vmcnt(40)
	v_fmac_f32_e32 v31, v25, v204
	v_add_f32_e32 v30, v30, v31
	s_waitcnt vmcnt(39) lgkmcnt(0)
	v_mul_f32_e32 v31, v26, v205
	s_waitcnt vmcnt(38)
	v_fmac_f32_e32 v31, v27, v206
	v_add_f32_e32 v34, v30, v31
	ds_read_b128 v[30:33], v16 offset:592
	s_waitcnt vmcnt(37)
	v_mul_f32_e32 v35, v28, v207
	s_waitcnt vmcnt(36)
	v_fmac_f32_e32 v35, v29, v208
	v_add_f32_e32 v38, v34, v35
	ds_read_b128 v[34:37], v16 offset:608
	s_waitcnt vmcnt(34) lgkmcnt(1)
	v_mul_f32_e32 v39, v30, v210
	v_fmac_f32_e32 v39, v31, v209
	v_add_f32_e32 v38, v38, v39
	s_waitcnt vmcnt(31)
	v_mul_f32_e32 v39, v32, v211
	s_waitcnt vmcnt(30)
	v_fmac_f32_e32 v39, v33, v212
	v_add_f32_e32 v38, v38, v39
	s_waitcnt vmcnt(28) lgkmcnt(0)
	v_mul_f32_e32 v39, v34, v214
	v_fmac_f32_e32 v39, v35, v213
	v_add_f32_e32 v42, v38, v39
	ds_read_b128 v[38:41], v16 offset:624
	s_waitcnt vmcnt(26)
	v_mul_f32_e32 v43, v36, v216
	v_fmac_f32_e32 v43, v37, v215
	v_add_f32_e32 v46, v42, v43
	ds_read_b128 v[42:45], v16 offset:640
	s_waitcnt vmcnt(24) lgkmcnt(1)
	v_mul_f32_e32 v47, v38, v218
	v_fmac_f32_e32 v47, v39, v217
	v_add_f32_e32 v46, v46, v47
	s_waitcnt vmcnt(22)
	v_mul_f32_e32 v47, v40, v220
	v_fmac_f32_e32 v47, v41, v219
	v_add_f32_e32 v46, v46, v47
	s_waitcnt vmcnt(20) lgkmcnt(0)
	v_mul_f32_e32 v47, v42, v222
	v_fmac_f32_e32 v47, v43, v221
	v_add_f32_e32 v50, v46, v47
	ds_read_b128 v[46:49], v16 offset:656
	s_waitcnt vmcnt(18)
	v_mul_f32_e32 v51, v44, v224
	v_fmac_f32_e32 v51, v45, v223
	v_add_f32_e32 v54, v50, v51
	ds_read_b128 v[50:53], v16 offset:672
	s_waitcnt vmcnt(16) lgkmcnt(1)
	v_mul_f32_e32 v55, v46, v226
	v_fmac_f32_e32 v55, v47, v225
	v_add_f32_e32 v54, v54, v55
	s_waitcnt vmcnt(14)
	v_mul_f32_e32 v55, v48, v228
	;; [unrolled: 18-line block ×3, first 2 shown]
	v_fmac_f32_e32 v63, v57, v235
	v_add_f32_e32 v62, v62, v63
	s_waitcnt vmcnt(4) lgkmcnt(0)
	v_mul_f32_e32 v63, v58, v238
	v_fmac_f32_e32 v63, v59, v237
	v_add_f32_e32 v71, v62, v63
	ds_read_b128 v[62:65], v16 offset:720
	buffer_load_dword v73, off, s[0:3], 0 offset:340
	buffer_load_dword v72, off, s[0:3], 0 offset:336
	;; [unrolled: 1-line block ×4, first 2 shown]
	ds_read_b128 v[66:69], v16 offset:736
	buffer_load_dword v179, off, s[0:3], 0 offset:372
	buffer_load_dword v178, off, s[0:3], 0 offset:368
	;; [unrolled: 1-line block ×12, first 2 shown]
	v_mul_f32_e32 v1, v3, v1
	v_fma_f32 v1, v2, v192, -v1
	v_mul_f32_e32 v2, v5, v17
	v_add_f32_e32 v1, 0, v1
	v_fma_f32 v2, v4, v193, -v2
	v_add_f32_e32 v1, v1, v2
	v_mul_f32_e32 v2, v9, v70
	v_fma_f32 v2, v8, v194, -v2
	v_add_f32_e32 v1, v1, v2
	v_mul_f32_e32 v2, v11, v76
	;; [unrolled: 3-line block ×25, first 2 shown]
	v_fma_f32 v2, v58, v237, -v2
	s_waitcnt vmcnt(13)
	v_mov_b32_e32 v18, v75
	v_mul_f32_e32 v77, v60, v240
	v_add_f32_e32 v70, v1, v2
	v_mul_f32_e32 v1, v61, v240
	s_waitcnt lgkmcnt(1)
	v_pk_mul_f32 v[18:19], v[64:65], v[18:19] op_sel_hi:[1,0]
	v_fmac_f32_e32 v77, v61, v239
	v_mul_f32_e32 v177, v62, v242
	v_fma_f32 v76, v60, v239, -v1
	v_mul_f32_e32 v1, v63, v242
	s_waitcnt vmcnt(12)
	v_pk_fma_f32 v[20:21], v[64:65], v[74:75], v[18:19] op_sel:[0,0,1] op_sel_hi:[1,1,0] neg_lo:[0,0,1] neg_hi:[0,0,1]
	v_pk_fma_f32 v[18:19], v[64:65], v[74:75], v[18:19] op_sel:[0,0,1] op_sel_hi:[1,0,0]
	v_fmac_f32_e32 v177, v63, v241
	v_fma_f32 v176, v62, v241, -v1
	v_pk_add_f32 v[14:15], v[70:71], v[76:77]
	v_mov_b32_e32 v18, v73
	v_pk_add_f32 v[14:15], v[14:15], v[176:177]
	v_mov_b32_e32 v21, v19
	s_waitcnt lgkmcnt(0)
	v_pk_mul_f32 v[18:19], v[66:67], v[18:19] op_sel_hi:[1,0]
	v_pk_add_f32 v[14:15], v[14:15], v[20:21]
	v_pk_fma_f32 v[20:21], v[66:67], v[72:73], v[18:19] op_sel:[0,0,1] op_sel_hi:[1,1,0] neg_lo:[0,0,1] neg_hi:[0,0,1]
	v_pk_fma_f32 v[18:19], v[66:67], v[72:73], v[18:19] op_sel:[0,0,1] op_sel_hi:[1,0,0]
	s_waitcnt vmcnt(5)
	v_mov_b32_e32 v18, v185
	ds_read_b128 v[2:5], v16 offset:752
	ds_read_b128 v[8:11], v16 offset:768
	ds_read_b64 v[12:13], v16 offset:784
	v_mov_b32_e32 v21, v19
	v_pk_mul_f32 v[18:19], v[68:69], v[18:19] op_sel_hi:[1,0]
	v_pk_add_f32 v[14:15], v[14:15], v[20:21]
	s_waitcnt vmcnt(4)
	v_pk_fma_f32 v[20:21], v[68:69], v[184:185], v[18:19] op_sel:[0,0,1] op_sel_hi:[1,1,0] neg_lo:[0,0,1] neg_hi:[0,0,1]
	v_pk_fma_f32 v[18:19], v[68:69], v[184:185], v[18:19] op_sel:[0,0,1] op_sel_hi:[1,0,0]
	v_mov_b32_e32 v18, v183
	v_mov_b32_e32 v21, v19
	s_waitcnt lgkmcnt(2)
	v_pk_mul_f32 v[18:19], v[2:3], v[18:19] op_sel_hi:[1,0]
	v_pk_add_f32 v[14:15], v[14:15], v[20:21]
	v_pk_fma_f32 v[20:21], v[2:3], v[182:183], v[18:19] op_sel:[0,0,1] op_sel_hi:[1,1,0] neg_lo:[0,0,1] neg_hi:[0,0,1]
	v_pk_fma_f32 v[2:3], v[2:3], v[182:183], v[18:19] op_sel:[0,0,1] op_sel_hi:[1,0,0]
	v_mov_b32_e32 v21, v3
	v_pk_add_f32 v[2:3], v[14:15], v[20:21]
	v_mov_b32_e32 v14, v181
	v_pk_mul_f32 v[14:15], v[4:5], v[14:15] op_sel_hi:[1,0]
	v_pk_fma_f32 v[18:19], v[4:5], v[180:181], v[14:15] op_sel:[0,0,1] op_sel_hi:[1,1,0] neg_lo:[0,0,1] neg_hi:[0,0,1]
	v_pk_fma_f32 v[4:5], v[4:5], v[180:181], v[14:15] op_sel:[0,0,1] op_sel_hi:[1,0,0]
	v_mov_b32_e32 v4, v179
	v_mov_b32_e32 v19, v5
	s_waitcnt lgkmcnt(1)
	v_pk_mul_f32 v[4:5], v[8:9], v[4:5] op_sel_hi:[1,0]
	v_pk_fma_f32 v[14:15], v[8:9], v[178:179], v[4:5] op_sel:[0,0,1] op_sel_hi:[1,1,0] neg_lo:[0,0,1] neg_hi:[0,0,1]
	v_pk_fma_f32 v[4:5], v[8:9], v[178:179], v[4:5] op_sel:[0,0,1] op_sel_hi:[1,0,0]
	s_waitcnt vmcnt(1)
	v_mov_b32_e32 v4, v189
	v_mov_b32_e32 v15, v5
	v_pk_mul_f32 v[4:5], v[10:11], v[4:5] op_sel_hi:[1,0]
	s_waitcnt vmcnt(0)
	v_pk_fma_f32 v[8:9], v[10:11], v[188:189], v[4:5] op_sel:[0,0,1] op_sel_hi:[1,1,0] neg_lo:[0,0,1] neg_hi:[0,0,1]
	v_pk_fma_f32 v[4:5], v[10:11], v[188:189], v[4:5] op_sel:[0,0,1] op_sel_hi:[1,0,0]
	v_pk_add_f32 v[2:3], v[2:3], v[18:19]
	v_mov_b32_e32 v4, v187
	v_pk_add_f32 v[2:3], v[2:3], v[14:15]
	v_mov_b32_e32 v9, v5
	s_waitcnt lgkmcnt(0)
	v_pk_mul_f32 v[4:5], v[12:13], v[4:5] op_sel_hi:[1,0]
	v_pk_add_f32 v[2:3], v[2:3], v[8:9]
	v_pk_fma_f32 v[8:9], v[12:13], v[186:187], v[4:5] op_sel:[0,0,1] op_sel_hi:[1,1,0] neg_lo:[0,0,1] neg_hi:[0,0,1]
	v_pk_fma_f32 v[4:5], v[12:13], v[186:187], v[4:5] op_sel:[0,0,1] op_sel_hi:[1,0,0]
	v_mov_b32_e32 v9, v5
	v_pk_add_f32 v[2:3], v[2:3], v[8:9]
	v_pk_add_f32 v[2:3], v[6:7], v[2:3] neg_lo:[0,1] neg_hi:[0,1]
	buffer_store_dword v3, off, s[0:3], 0 offset:92
	buffer_store_dword v2, off, s[0:3], 0 offset:88
	s_and_saveexec_b64 s[4:5], vcc
	s_cbranch_execz .LBB112_287
; %bb.286:
	buffer_load_dword v2, off, s[0:3], 0 offset:80
	buffer_load_dword v3, off, s[0:3], 0 offset:84
	v_accvgpr_read_b32 v1, a24
	buffer_store_dword v16, off, s[0:3], 0 offset:80
	buffer_store_dword v16, off, s[0:3], 0 offset:84
	s_waitcnt vmcnt(2)
	ds_write_b64 v1, v[2:3]
.LBB112_287:
	s_or_b64 exec, exec, s[4:5]
	s_waitcnt lgkmcnt(0)
	; wave barrier
	s_waitcnt lgkmcnt(0)
	buffer_load_dword v1, off, s[0:3], 0 offset:92
	buffer_load_dword v17, off, s[0:3], 0 offset:100
	;; [unrolled: 1-line block ×32, first 2 shown]
	ds_read2_b64 v[18:21], v16 offset0:61 offset1:62
	ds_read2_b64 v[6:9], v16 offset0:63 offset1:64
	buffer_load_dword v215, off, s[0:3], 0 offset:208
	buffer_load_dword v216, off, s[0:3], 0 offset:212
	ds_read2_b64 v[10:13], v16 offset0:65 offset1:66
	ds_read2_b64 v[2:5], v16 offset0:67 offset1:68
	buffer_load_dword v217, off, s[0:3], 0 offset:216
	buffer_load_dword v218, off, s[0:3], 0 offset:220
	;; [unrolled: 1-line block ×28, first 2 shown]
	v_cmp_lt_u32_e32 vcc, 9, v0
	s_waitcnt vmcnt(61) lgkmcnt(3)
	v_mul_f32_e32 v22, v18, v1
	s_waitcnt vmcnt(60)
	v_mul_f32_e32 v23, v20, v17
	s_waitcnt vmcnt(59) lgkmcnt(2)
	v_mul_f32_e32 v24, v6, v72
	s_waitcnt vmcnt(58)
	v_mul_f32_e32 v25, v8, v74
	;; [unrolled: 4-line block ×3, first 2 shown]
	s_waitcnt vmcnt(55) lgkmcnt(0)
	v_mul_f32_e32 v28, v2, v191
	s_waitcnt vmcnt(54)
	v_fmac_f32_e32 v22, v19, v192
	s_waitcnt vmcnt(53)
	v_fmac_f32_e32 v23, v21, v193
	v_add_f32_e32 v22, 0, v22
	s_waitcnt vmcnt(52)
	v_fmac_f32_e32 v24, v7, v194
	v_add_f32_e32 v22, v22, v23
	;; [unrolled: 3-line block ×6, first 2 shown]
	v_add_f32_e32 v26, v22, v28
	ds_read2_b64 v[22:25], v16 offset0:69 offset1:70
	s_waitcnt vmcnt(47)
	v_mul_f32_e32 v27, v4, v199
	s_waitcnt vmcnt(46)
	v_fmac_f32_e32 v27, v5, v200
	v_add_f32_e32 v30, v26, v27
	ds_read2_b64 v[26:29], v16 offset0:71 offset1:72
	s_waitcnt vmcnt(45) lgkmcnt(1)
	v_mul_f32_e32 v31, v22, v201
	s_waitcnt vmcnt(44)
	v_fmac_f32_e32 v31, v23, v202
	v_add_f32_e32 v30, v30, v31
	s_waitcnt vmcnt(43)
	v_mul_f32_e32 v31, v24, v203
	s_waitcnt vmcnt(42)
	v_fmac_f32_e32 v31, v25, v204
	v_add_f32_e32 v30, v30, v31
	s_waitcnt vmcnt(41) lgkmcnt(0)
	v_mul_f32_e32 v31, v26, v205
	s_waitcnt vmcnt(40)
	v_fmac_f32_e32 v31, v27, v206
	v_add_f32_e32 v34, v30, v31
	ds_read2_b64 v[30:33], v16 offset0:73 offset1:74
	s_waitcnt vmcnt(39)
	v_mul_f32_e32 v35, v28, v207
	s_waitcnt vmcnt(38)
	v_fmac_f32_e32 v35, v29, v208
	v_add_f32_e32 v38, v34, v35
	ds_read2_b64 v[34:37], v16 offset0:75 offset1:76
	s_waitcnt vmcnt(35) lgkmcnt(1)
	v_mul_f32_e32 v39, v30, v209
	s_waitcnt vmcnt(34)
	v_fmac_f32_e32 v39, v31, v210
	v_add_f32_e32 v38, v38, v39
	s_waitcnt vmcnt(32)
	v_mul_f32_e32 v39, v32, v212
	v_fmac_f32_e32 v39, v33, v211
	v_add_f32_e32 v38, v38, v39
	s_waitcnt vmcnt(30) lgkmcnt(0)
	v_mul_f32_e32 v39, v34, v214
	v_fmac_f32_e32 v39, v35, v213
	v_add_f32_e32 v42, v38, v39
	ds_read2_b64 v[38:41], v16 offset0:77 offset1:78
	s_waitcnt vmcnt(28)
	v_mul_f32_e32 v43, v36, v216
	v_fmac_f32_e32 v43, v37, v215
	v_add_f32_e32 v46, v42, v43
	ds_read2_b64 v[42:45], v16 offset0:79 offset1:80
	s_waitcnt vmcnt(26) lgkmcnt(1)
	v_mul_f32_e32 v47, v38, v218
	v_fmac_f32_e32 v47, v39, v217
	v_add_f32_e32 v46, v46, v47
	s_waitcnt vmcnt(24)
	v_mul_f32_e32 v47, v40, v220
	v_fmac_f32_e32 v47, v41, v219
	v_add_f32_e32 v46, v46, v47
	s_waitcnt vmcnt(22) lgkmcnt(0)
	v_mul_f32_e32 v47, v42, v222
	v_fmac_f32_e32 v47, v43, v221
	v_add_f32_e32 v50, v46, v47
	ds_read2_b64 v[46:49], v16 offset0:81 offset1:82
	s_waitcnt vmcnt(20)
	v_mul_f32_e32 v51, v44, v224
	v_fmac_f32_e32 v51, v45, v223
	v_add_f32_e32 v54, v50, v51
	ds_read2_b64 v[50:53], v16 offset0:83 offset1:84
	s_waitcnt vmcnt(18) lgkmcnt(1)
	v_mul_f32_e32 v55, v46, v226
	v_fmac_f32_e32 v55, v47, v225
	v_add_f32_e32 v54, v54, v55
	s_waitcnt vmcnt(16)
	v_mul_f32_e32 v55, v48, v228
	v_fmac_f32_e32 v55, v49, v227
	v_add_f32_e32 v54, v54, v55
	s_waitcnt vmcnt(14) lgkmcnt(0)
	v_mul_f32_e32 v55, v50, v230
	v_fmac_f32_e32 v55, v51, v229
	v_add_f32_e32 v58, v54, v55
	ds_read2_b64 v[54:57], v16 offset0:85 offset1:86
	s_waitcnt vmcnt(12)
	v_mul_f32_e32 v59, v52, v232
	v_fmac_f32_e32 v59, v53, v231
	v_add_f32_e32 v62, v58, v59
	ds_read2_b64 v[58:61], v16 offset0:87 offset1:88
	buffer_load_dword v71, off, s[0:3], 0 offset:332
	buffer_load_dword v70, off, s[0:3], 0 offset:328
	s_waitcnt vmcnt(12) lgkmcnt(1)
	v_mul_f32_e32 v63, v54, v234
	v_fmac_f32_e32 v63, v55, v233
	v_add_f32_e32 v62, v62, v63
	s_waitcnt vmcnt(10)
	v_mul_f32_e32 v63, v56, v236
	v_fmac_f32_e32 v63, v57, v235
	v_add_f32_e32 v62, v62, v63
	s_waitcnt vmcnt(8) lgkmcnt(0)
	v_mul_f32_e32 v63, v58, v238
	v_fmac_f32_e32 v63, v59, v237
	s_waitcnt vmcnt(6)
	v_mul_f32_e32 v67, v60, v240
	v_add_f32_e32 v66, v62, v63
	v_fmac_f32_e32 v67, v61, v239
	ds_read2_b64 v[62:65], v16 offset0:89 offset1:90
	v_add_f32_e32 v73, v66, v67
	ds_read2_b64 v[66:69], v16 offset0:91 offset1:92
	buffer_load_dword v177, off, s[0:3], 0 offset:364
	buffer_load_dword v176, off, s[0:3], 0 offset:360
	;; [unrolled: 1-line block ×14, first 2 shown]
	v_mul_f32_e32 v1, v19, v1
	v_fma_f32 v1, v18, v192, -v1
	v_mul_f32_e32 v17, v21, v17
	v_add_f32_e32 v1, 0, v1
	v_fma_f32 v17, v20, v193, -v17
	v_mul_f32_e32 v7, v7, v72
	v_add_f32_e32 v1, v1, v17
	v_fma_f32 v6, v6, v194, -v7
	v_add_f32_e32 v1, v1, v6
	v_mul_f32_e32 v6, v9, v74
	v_fma_f32 v6, v8, v195, -v6
	v_add_f32_e32 v1, v1, v6
	v_mul_f32_e32 v6, v11, v76
	;; [unrolled: 3-line block ×3, first 2 shown]
	v_fma_f32 v6, v12, v197, -v6
	v_mul_f32_e32 v3, v3, v191
	v_add_f32_e32 v1, v1, v6
	v_fma_f32 v2, v2, v198, -v3
	v_add_f32_e32 v1, v1, v2
	v_mul_f32_e32 v2, v5, v199
	v_fma_f32 v2, v4, v200, -v2
	v_add_f32_e32 v1, v1, v2
	v_mul_f32_e32 v2, v23, v201
	;; [unrolled: 3-line block ×21, first 2 shown]
	v_fma_f32 v2, v60, v239, -v2
	s_waitcnt vmcnt(15)
	v_mov_b32_e32 v18, v71
	s_waitcnt lgkmcnt(1)
	v_mul_f32_e32 v75, v62, v242
	v_add_f32_e32 v72, v1, v2
	v_mul_f32_e32 v1, v63, v242
	s_waitcnt lgkmcnt(0)
	v_pk_mul_f32 v[18:19], v[66:67], v[18:19] op_sel_hi:[1,0]
	v_fmac_f32_e32 v75, v63, v241
	v_mul_f32_e32 v77, v64, v244
	v_fma_f32 v74, v62, v241, -v1
	v_mul_f32_e32 v1, v65, v244
	s_waitcnt vmcnt(14)
	v_pk_fma_f32 v[20:21], v[66:67], v[70:71], v[18:19] op_sel:[0,0,1] op_sel_hi:[1,1,0] neg_lo:[0,0,1] neg_hi:[0,0,1]
	v_pk_fma_f32 v[18:19], v[66:67], v[70:71], v[18:19] op_sel:[0,0,1] op_sel_hi:[1,0,0]
	v_fmac_f32_e32 v77, v65, v243
	v_fma_f32 v76, v64, v243, -v1
	ds_read2_b64 v[2:5], v16 offset0:93 offset1:94
	ds_read2_b64 v[6:9], v16 offset0:95 offset1:96
	;; [unrolled: 1-line block ×3, first 2 shown]
	v_pk_add_f32 v[16:17], v[72:73], v[74:75]
	s_waitcnt vmcnt(7)
	v_mov_b32_e32 v18, v183
	v_pk_add_f32 v[16:17], v[16:17], v[76:77]
	v_mov_b32_e32 v21, v19
	v_pk_mul_f32 v[18:19], v[68:69], v[18:19] op_sel_hi:[1,0]
	v_pk_add_f32 v[16:17], v[16:17], v[20:21]
	s_waitcnt vmcnt(6)
	v_pk_fma_f32 v[20:21], v[68:69], v[182:183], v[18:19] op_sel:[0,0,1] op_sel_hi:[1,1,0] neg_lo:[0,0,1] neg_hi:[0,0,1]
	v_pk_fma_f32 v[18:19], v[68:69], v[182:183], v[18:19] op_sel:[0,0,1] op_sel_hi:[1,0,0]
	v_mov_b32_e32 v18, v181
	v_mov_b32_e32 v21, v19
	s_waitcnt lgkmcnt(2)
	v_pk_mul_f32 v[18:19], v[2:3], v[18:19] op_sel_hi:[1,0]
	v_pk_add_f32 v[16:17], v[16:17], v[20:21]
	v_pk_fma_f32 v[20:21], v[2:3], v[180:181], v[18:19] op_sel:[0,0,1] op_sel_hi:[1,1,0] neg_lo:[0,0,1] neg_hi:[0,0,1]
	v_pk_fma_f32 v[2:3], v[2:3], v[180:181], v[18:19] op_sel:[0,0,1] op_sel_hi:[1,0,0]
	v_mov_b32_e32 v21, v3
	v_pk_add_f32 v[2:3], v[16:17], v[20:21]
	v_mov_b32_e32 v16, v179
	v_pk_mul_f32 v[16:17], v[4:5], v[16:17] op_sel_hi:[1,0]
	v_pk_fma_f32 v[18:19], v[4:5], v[178:179], v[16:17] op_sel:[0,0,1] op_sel_hi:[1,1,0] neg_lo:[0,0,1] neg_hi:[0,0,1]
	v_pk_fma_f32 v[4:5], v[4:5], v[178:179], v[16:17] op_sel:[0,0,1] op_sel_hi:[1,0,0]
	v_mov_b32_e32 v4, v177
	v_mov_b32_e32 v19, v5
	s_waitcnt lgkmcnt(1)
	v_pk_mul_f32 v[4:5], v[6:7], v[4:5] op_sel_hi:[1,0]
	v_pk_fma_f32 v[16:17], v[6:7], v[176:177], v[4:5] op_sel:[0,0,1] op_sel_hi:[1,1,0] neg_lo:[0,0,1] neg_hi:[0,0,1]
	v_pk_fma_f32 v[4:5], v[6:7], v[176:177], v[4:5] op_sel:[0,0,1] op_sel_hi:[1,0,0]
	s_waitcnt vmcnt(1)
	v_mov_b32_e32 v4, v189
	v_mov_b32_e32 v17, v5
	v_pk_mul_f32 v[4:5], v[8:9], v[4:5] op_sel_hi:[1,0]
	s_waitcnt vmcnt(0)
	v_pk_fma_f32 v[6:7], v[8:9], v[188:189], v[4:5] op_sel:[0,0,1] op_sel_hi:[1,1,0] neg_lo:[0,0,1] neg_hi:[0,0,1]
	v_pk_fma_f32 v[4:5], v[8:9], v[188:189], v[4:5] op_sel:[0,0,1] op_sel_hi:[1,0,0]
	v_pk_add_f32 v[2:3], v[2:3], v[18:19]
	v_mov_b32_e32 v4, v187
	v_pk_add_f32 v[2:3], v[2:3], v[16:17]
	v_mov_b32_e32 v7, v5
	s_waitcnt lgkmcnt(0)
	v_pk_mul_f32 v[4:5], v[10:11], v[4:5] op_sel_hi:[1,0]
	v_pk_add_f32 v[2:3], v[2:3], v[6:7]
	v_pk_fma_f32 v[6:7], v[10:11], v[186:187], v[4:5] op_sel:[0,0,1] op_sel_hi:[1,1,0] neg_lo:[0,0,1] neg_hi:[0,0,1]
	v_pk_fma_f32 v[4:5], v[10:11], v[186:187], v[4:5] op_sel:[0,0,1] op_sel_hi:[1,0,0]
	v_mov_b32_e32 v4, v185
	v_mov_b32_e32 v7, v5
	v_pk_mul_f32 v[4:5], v[12:13], v[4:5] op_sel_hi:[1,0]
	v_pk_add_f32 v[2:3], v[2:3], v[6:7]
	v_pk_fma_f32 v[6:7], v[12:13], v[184:185], v[4:5] op_sel:[0,0,1] op_sel_hi:[1,1,0] neg_lo:[0,0,1] neg_hi:[0,0,1]
	v_pk_fma_f32 v[4:5], v[12:13], v[184:185], v[4:5] op_sel:[0,0,1] op_sel_hi:[1,0,0]
	v_mov_b32_e32 v7, v5
	v_pk_add_f32 v[2:3], v[2:3], v[6:7]
	v_pk_add_f32 v[2:3], v[14:15], v[2:3] neg_lo:[0,1] neg_hi:[0,1]
	buffer_store_dword v3, off, s[0:3], 0 offset:84
	buffer_store_dword v2, off, s[0:3], 0 offset:80
	s_and_saveexec_b64 s[4:5], vcc
	s_cbranch_execz .LBB112_289
; %bb.288:
	buffer_load_dword v2, off, s[0:3], 0 offset:72
	buffer_load_dword v3, off, s[0:3], 0 offset:76
	v_mov_b32_e32 v1, 0
	v_accvgpr_read_b32 v4, a24
	buffer_store_dword v1, off, s[0:3], 0 offset:72
	buffer_store_dword v1, off, s[0:3], 0 offset:76
	s_waitcnt vmcnt(2)
	ds_write_b64 v4, v[2:3]
.LBB112_289:
	s_or_b64 exec, exec, s[4:5]
	s_waitcnt lgkmcnt(0)
	; wave barrier
	s_waitcnt lgkmcnt(0)
	buffer_load_dword v1, off, s[0:3], 0 offset:84
	buffer_load_dword v21, off, s[0:3], 0 offset:92
	;; [unrolled: 1-line block ×48, first 2 shown]
	v_mov_b32_e32 v20, 0
	ds_read_b128 v[4:7], v20 offset:480
	buffer_load_dword v231, off, s[0:3], 0 offset:264
	buffer_load_dword v232, off, s[0:3], 0 offset:268
	;; [unrolled: 1-line block ×8, first 2 shown]
	ds_read_b128 v[8:11], v20 offset:496
	ds_read_b128 v[12:15], v20 offset:512
	;; [unrolled: 1-line block ×3, first 2 shown]
	buffer_load_dword v239, off, s[0:3], 0 offset:296
	buffer_load_dword v240, off, s[0:3], 0 offset:300
	;; [unrolled: 1-line block ×8, first 2 shown]
	v_cmp_lt_u32_e32 vcc, 8, v0
	s_waitcnt vmcnt(62) lgkmcnt(3)
	v_mul_f32_e32 v22, v4, v1
	v_mul_f32_e32 v23, v6, v21
	s_waitcnt vmcnt(61) lgkmcnt(2)
	v_mul_f32_e32 v24, v8, v70
	s_waitcnt vmcnt(60)
	v_mul_f32_e32 v25, v10, v72
	s_waitcnt vmcnt(59) lgkmcnt(1)
	v_mul_f32_e32 v26, v12, v74
	s_waitcnt vmcnt(58)
	;; [unrolled: 4-line block ×3, first 2 shown]
	v_fmac_f32_e32 v22, v5, v192
	s_waitcnt vmcnt(55)
	v_fmac_f32_e32 v23, v7, v193
	v_add_f32_e32 v22, 0, v22
	s_waitcnt vmcnt(54)
	v_fmac_f32_e32 v24, v9, v194
	v_add_f32_e32 v22, v22, v23
	;; [unrolled: 3-line block ×6, first 2 shown]
	v_add_f32_e32 v26, v22, v28
	ds_read_b128 v[22:25], v20 offset:544
	s_waitcnt vmcnt(49)
	v_mul_f32_e32 v27, v18, v199
	s_waitcnt vmcnt(48)
	v_fmac_f32_e32 v27, v19, v200
	v_add_f32_e32 v30, v26, v27
	ds_read_b128 v[26:29], v20 offset:560
	s_waitcnt vmcnt(47) lgkmcnt(1)
	v_mul_f32_e32 v31, v22, v201
	s_waitcnt vmcnt(46)
	v_fmac_f32_e32 v31, v23, v202
	v_add_f32_e32 v30, v30, v31
	s_waitcnt vmcnt(45)
	v_mul_f32_e32 v31, v24, v203
	s_waitcnt vmcnt(44)
	v_fmac_f32_e32 v31, v25, v204
	v_add_f32_e32 v30, v30, v31
	s_waitcnt vmcnt(42) lgkmcnt(0)
	v_mul_f32_e32 v31, v26, v206
	v_fmac_f32_e32 v31, v27, v205
	v_add_f32_e32 v34, v30, v31
	ds_read_b128 v[30:33], v20 offset:576
	s_waitcnt vmcnt(38)
	v_mul_f32_e32 v35, v28, v208
	v_fmac_f32_e32 v35, v29, v207
	v_add_f32_e32 v38, v34, v35
	ds_read_b128 v[34:37], v20 offset:592
	s_waitcnt vmcnt(36) lgkmcnt(1)
	v_mul_f32_e32 v39, v30, v210
	v_fmac_f32_e32 v39, v31, v209
	v_add_f32_e32 v38, v38, v39
	s_waitcnt vmcnt(34)
	v_mul_f32_e32 v39, v32, v212
	v_fmac_f32_e32 v39, v33, v211
	v_add_f32_e32 v38, v38, v39
	s_waitcnt vmcnt(32) lgkmcnt(0)
	v_mul_f32_e32 v39, v34, v214
	v_fmac_f32_e32 v39, v35, v213
	v_add_f32_e32 v42, v38, v39
	ds_read_b128 v[38:41], v20 offset:608
	s_waitcnt vmcnt(30)
	v_mul_f32_e32 v43, v36, v216
	v_fmac_f32_e32 v43, v37, v215
	v_add_f32_e32 v46, v42, v43
	ds_read_b128 v[42:45], v20 offset:624
	s_waitcnt vmcnt(28) lgkmcnt(1)
	v_mul_f32_e32 v47, v38, v218
	v_fmac_f32_e32 v47, v39, v217
	v_add_f32_e32 v46, v46, v47
	s_waitcnt vmcnt(26)
	v_mul_f32_e32 v47, v40, v220
	;; [unrolled: 18-line block ×4, first 2 shown]
	v_fmac_f32_e32 v63, v57, v235
	v_add_f32_e32 v62, v62, v63
	s_waitcnt vmcnt(8) lgkmcnt(0)
	v_mul_f32_e32 v63, v58, v238
	v_fmac_f32_e32 v63, v59, v237
	s_waitcnt vmcnt(6)
	v_mul_f32_e32 v67, v60, v240
	v_add_f32_e32 v66, v62, v63
	v_fmac_f32_e32 v67, v61, v239
	ds_read_b128 v[62:65], v20 offset:704
	v_add_f32_e32 v71, v66, v67
	ds_read_b128 v[66:69], v20 offset:720
	buffer_load_dword v77, off, s[0:3], 0 offset:356
	buffer_load_dword v76, off, s[0:3], 0 offset:352
	buffer_load_dword v177, off, s[0:3], 0 offset:348
	buffer_load_dword v176, off, s[0:3], 0 offset:344
	buffer_load_dword v179, off, s[0:3], 0 offset:340
	buffer_load_dword v178, off, s[0:3], 0 offset:336
	buffer_load_dword v181, off, s[0:3], 0 offset:332
	buffer_load_dword v180, off, s[0:3], 0 offset:328
	buffer_load_dword v183, off, s[0:3], 0 offset:388
	buffer_load_dword v182, off, s[0:3], 0 offset:384
	buffer_load_dword v185, off, s[0:3], 0 offset:380
	buffer_load_dword v184, off, s[0:3], 0 offset:376
	buffer_load_dword v187, off, s[0:3], 0 offset:372
	buffer_load_dword v186, off, s[0:3], 0 offset:368
	buffer_load_dword v189, off, s[0:3], 0 offset:364
	buffer_load_dword v188, off, s[0:3], 0 offset:360
	v_mul_f32_e32 v1, v5, v1
	v_fma_f32 v1, v4, v192, -v1
	v_mul_f32_e32 v4, v7, v21
	v_add_f32_e32 v1, 0, v1
	v_fma_f32 v4, v6, v193, -v4
	v_add_f32_e32 v1, v1, v4
	v_mul_f32_e32 v4, v9, v70
	v_fma_f32 v4, v8, v194, -v4
	v_add_f32_e32 v1, v1, v4
	v_mul_f32_e32 v4, v11, v72
	;; [unrolled: 3-line block ×26, first 2 shown]
	v_fma_f32 v4, v60, v239, -v4
	s_waitcnt vmcnt(20) lgkmcnt(1)
	v_mul_f32_e32 v73, v62, v242
	v_add_f32_e32 v1, v1, v4
	v_mul_f32_e32 v4, v63, v242
	v_fmac_f32_e32 v73, v63, v241
	v_fma_f32 v4, v62, v241, -v4
	s_waitcnt vmcnt(9)
	v_mov_b32_e32 v22, v181
	v_add_f32_e32 v71, v71, v73
	v_mul_f32_e32 v73, v64, v244
	v_add_f32_e32 v70, v1, v4
	v_mul_f32_e32 v1, v65, v244
	s_waitcnt lgkmcnt(0)
	v_pk_mul_f32 v[22:23], v[68:69], v[22:23] op_sel_hi:[1,0]
	v_fmac_f32_e32 v73, v65, v243
	v_mul_f32_e32 v75, v66, v246
	v_fma_f32 v72, v64, v243, -v1
	v_mul_f32_e32 v1, v67, v246
	ds_read_b128 v[4:7], v20 offset:736
	ds_read_b128 v[8:11], v20 offset:752
	;; [unrolled: 1-line block ×3, first 2 shown]
	ds_read_b64 v[16:17], v20 offset:784
	s_waitcnt vmcnt(8)
	v_pk_fma_f32 v[24:25], v[68:69], v[180:181], v[22:23] op_sel:[0,0,1] op_sel_hi:[1,1,0] neg_lo:[0,0,1] neg_hi:[0,0,1]
	v_pk_fma_f32 v[22:23], v[68:69], v[180:181], v[22:23] op_sel:[0,0,1] op_sel_hi:[1,0,0]
	v_fmac_f32_e32 v75, v67, v245
	v_fma_f32 v74, v66, v245, -v1
	v_pk_add_f32 v[18:19], v[70:71], v[72:73]
	v_mov_b32_e32 v22, v179
	v_pk_add_f32 v[18:19], v[18:19], v[74:75]
	v_mov_b32_e32 v25, v23
	s_waitcnt lgkmcnt(3)
	v_pk_mul_f32 v[22:23], v[4:5], v[22:23] op_sel_hi:[1,0]
	v_pk_add_f32 v[18:19], v[18:19], v[24:25]
	v_pk_fma_f32 v[24:25], v[4:5], v[178:179], v[22:23] op_sel:[0,0,1] op_sel_hi:[1,1,0] neg_lo:[0,0,1] neg_hi:[0,0,1]
	v_pk_fma_f32 v[4:5], v[4:5], v[178:179], v[22:23] op_sel:[0,0,1] op_sel_hi:[1,0,0]
	v_mov_b32_e32 v25, v5
	v_pk_add_f32 v[4:5], v[18:19], v[24:25]
	v_mov_b32_e32 v18, v177
	v_pk_mul_f32 v[18:19], v[6:7], v[18:19] op_sel_hi:[1,0]
	v_pk_fma_f32 v[22:23], v[6:7], v[176:177], v[18:19] op_sel:[0,0,1] op_sel_hi:[1,1,0] neg_lo:[0,0,1] neg_hi:[0,0,1]
	v_pk_fma_f32 v[6:7], v[6:7], v[176:177], v[18:19] op_sel:[0,0,1] op_sel_hi:[1,0,0]
	v_mov_b32_e32 v6, v77
	v_mov_b32_e32 v23, v7
	s_waitcnt lgkmcnt(2)
	v_pk_mul_f32 v[6:7], v[8:9], v[6:7] op_sel_hi:[1,0]
	v_pk_fma_f32 v[18:19], v[8:9], v[76:77], v[6:7] op_sel:[0,0,1] op_sel_hi:[1,1,0] neg_lo:[0,0,1] neg_hi:[0,0,1]
	v_pk_fma_f32 v[6:7], v[8:9], v[76:77], v[6:7] op_sel:[0,0,1] op_sel_hi:[1,0,0]
	s_waitcnt vmcnt(1)
	v_mov_b32_e32 v6, v189
	v_mov_b32_e32 v19, v7
	v_pk_mul_f32 v[6:7], v[10:11], v[6:7] op_sel_hi:[1,0]
	s_waitcnt vmcnt(0)
	v_pk_fma_f32 v[8:9], v[10:11], v[188:189], v[6:7] op_sel:[0,0,1] op_sel_hi:[1,1,0] neg_lo:[0,0,1] neg_hi:[0,0,1]
	v_pk_fma_f32 v[6:7], v[10:11], v[188:189], v[6:7] op_sel:[0,0,1] op_sel_hi:[1,0,0]
	v_pk_add_f32 v[4:5], v[4:5], v[22:23]
	v_mov_b32_e32 v6, v187
	v_pk_add_f32 v[4:5], v[4:5], v[18:19]
	v_mov_b32_e32 v9, v7
	s_waitcnt lgkmcnt(1)
	v_pk_mul_f32 v[6:7], v[12:13], v[6:7] op_sel_hi:[1,0]
	v_pk_add_f32 v[4:5], v[4:5], v[8:9]
	v_pk_fma_f32 v[8:9], v[12:13], v[186:187], v[6:7] op_sel:[0,0,1] op_sel_hi:[1,1,0] neg_lo:[0,0,1] neg_hi:[0,0,1]
	v_pk_fma_f32 v[6:7], v[12:13], v[186:187], v[6:7] op_sel:[0,0,1] op_sel_hi:[1,0,0]
	v_mov_b32_e32 v6, v185
	v_mov_b32_e32 v9, v7
	v_pk_mul_f32 v[6:7], v[14:15], v[6:7] op_sel_hi:[1,0]
	v_pk_add_f32 v[4:5], v[4:5], v[8:9]
	v_pk_fma_f32 v[8:9], v[14:15], v[184:185], v[6:7] op_sel:[0,0,1] op_sel_hi:[1,1,0] neg_lo:[0,0,1] neg_hi:[0,0,1]
	v_pk_fma_f32 v[6:7], v[14:15], v[184:185], v[6:7] op_sel:[0,0,1] op_sel_hi:[1,0,0]
	v_mov_b32_e32 v6, v183
	v_mov_b32_e32 v9, v7
	s_waitcnt lgkmcnt(0)
	v_pk_mul_f32 v[6:7], v[16:17], v[6:7] op_sel_hi:[1,0]
	v_pk_add_f32 v[4:5], v[4:5], v[8:9]
	v_pk_fma_f32 v[8:9], v[16:17], v[182:183], v[6:7] op_sel:[0,0,1] op_sel_hi:[1,1,0] neg_lo:[0,0,1] neg_hi:[0,0,1]
	v_pk_fma_f32 v[6:7], v[16:17], v[182:183], v[6:7] op_sel:[0,0,1] op_sel_hi:[1,0,0]
	v_mov_b32_e32 v9, v7
	v_pk_add_f32 v[4:5], v[4:5], v[8:9]
	v_pk_add_f32 v[2:3], v[2:3], v[4:5] neg_lo:[0,1] neg_hi:[0,1]
	buffer_store_dword v3, off, s[0:3], 0 offset:76
	buffer_store_dword v2, off, s[0:3], 0 offset:72
	s_and_saveexec_b64 s[4:5], vcc
	s_cbranch_execz .LBB112_291
; %bb.290:
	buffer_load_dword v2, off, s[0:3], 0 offset:64
	buffer_load_dword v3, off, s[0:3], 0 offset:68
	v_accvgpr_read_b32 v1, a24
	buffer_store_dword v20, off, s[0:3], 0 offset:64
	buffer_store_dword v20, off, s[0:3], 0 offset:68
	s_waitcnt vmcnt(2)
	ds_write_b64 v1, v[2:3]
.LBB112_291:
	s_or_b64 exec, exec, s[4:5]
	s_waitcnt lgkmcnt(0)
	; wave barrier
	s_waitcnt lgkmcnt(0)
	buffer_load_dword v1, off, s[0:3], 0 offset:76
	buffer_load_dword v21, off, s[0:3], 0 offset:84
	;; [unrolled: 1-line block ×26, first 2 shown]
	ds_read2_b64 v[14:17], v20 offset0:59 offset1:60
	ds_read2_b64 v[6:9], v20 offset0:61 offset1:62
	buffer_load_dword v209, off, s[0:3], 0 offset:168
	buffer_load_dword v210, off, s[0:3], 0 offset:172
	ds_read2_b64 v[10:13], v20 offset0:63 offset1:64
	ds_read2_b64 v[2:5], v20 offset0:65 offset1:66
	buffer_load_dword v211, off, s[0:3], 0 offset:176
	buffer_load_dword v212, off, s[0:3], 0 offset:180
	buffer_load_dword v213, off, s[0:3], 0 offset:184
	buffer_load_dword v214, off, s[0:3], 0 offset:188
	buffer_load_dword v215, off, s[0:3], 0 offset:192
	buffer_load_dword v216, off, s[0:3], 0 offset:196
	buffer_load_dword v217, off, s[0:3], 0 offset:200
	buffer_load_dword v218, off, s[0:3], 0 offset:204
	buffer_load_dword v219, off, s[0:3], 0 offset:208
	buffer_load_dword v220, off, s[0:3], 0 offset:212
	buffer_load_dword v221, off, s[0:3], 0 offset:216
	buffer_load_dword v222, off, s[0:3], 0 offset:220
	buffer_load_dword v223, off, s[0:3], 0 offset:224
	buffer_load_dword v224, off, s[0:3], 0 offset:228
	buffer_load_dword v225, off, s[0:3], 0 offset:232
	buffer_load_dword v226, off, s[0:3], 0 offset:236
	buffer_load_dword v227, off, s[0:3], 0 offset:240
	buffer_load_dword v228, off, s[0:3], 0 offset:244
	buffer_load_dword v229, off, s[0:3], 0 offset:248
	buffer_load_dword v230, off, s[0:3], 0 offset:252
	buffer_load_dword v231, off, s[0:3], 0 offset:256
	buffer_load_dword v232, off, s[0:3], 0 offset:260
	buffer_load_dword v233, off, s[0:3], 0 offset:264
	buffer_load_dword v234, off, s[0:3], 0 offset:268
	buffer_load_dword v235, off, s[0:3], 0 offset:272
	buffer_load_dword v236, off, s[0:3], 0 offset:276
	buffer_load_dword v237, off, s[0:3], 0 offset:280
	buffer_load_dword v238, off, s[0:3], 0 offset:284
	buffer_load_dword v239, off, s[0:3], 0 offset:288
	buffer_load_dword v240, off, s[0:3], 0 offset:292
	buffer_load_dword v241, off, s[0:3], 0 offset:296
	buffer_load_dword v242, off, s[0:3], 0 offset:300
	v_cmp_lt_u32_e32 vcc, 7, v0
	s_waitcnt vmcnt(59) lgkmcnt(3)
	v_mul_f32_e32 v22, v14, v1
	s_waitcnt vmcnt(58)
	v_mul_f32_e32 v23, v16, v21
	s_waitcnt vmcnt(57) lgkmcnt(2)
	v_mul_f32_e32 v24, v6, v70
	s_waitcnt vmcnt(56)
	v_mul_f32_e32 v25, v8, v72
	s_waitcnt vmcnt(55) lgkmcnt(1)
	v_mul_f32_e32 v26, v10, v178
	s_waitcnt vmcnt(54)
	v_mul_f32_e32 v27, v12, v190
	s_waitcnt vmcnt(53) lgkmcnt(0)
	v_mul_f32_e32 v28, v2, v191
	s_waitcnt vmcnt(52)
	v_mul_f32_e32 v29, v4, v192
	s_waitcnt vmcnt(51)
	v_fmac_f32_e32 v22, v15, v193
	s_waitcnt vmcnt(50)
	v_fmac_f32_e32 v23, v17, v194
	v_add_f32_e32 v22, 0, v22
	s_waitcnt vmcnt(49)
	v_fmac_f32_e32 v24, v7, v195
	v_add_f32_e32 v22, v22, v23
	;; [unrolled: 3-line block ×6, first 2 shown]
	v_add_f32_e32 v26, v22, v28
	ds_read2_b64 v[22:25], v20 offset0:67 offset1:68
	s_waitcnt vmcnt(44)
	v_fmac_f32_e32 v29, v5, v200
	buffer_load_dword v243, off, s[0:3], 0 offset:304
	buffer_load_dword v244, off, s[0:3], 0 offset:308
	v_add_f32_e32 v30, v26, v29
	buffer_load_dword v245, off, s[0:3], 0 offset:312
	buffer_load_dword v246, off, s[0:3], 0 offset:316
	ds_read2_b64 v[26:29], v20 offset0:69 offset1:70
	s_waitcnt vmcnt(47) lgkmcnt(1)
	v_mul_f32_e32 v31, v22, v201
	s_waitcnt vmcnt(46)
	v_fmac_f32_e32 v31, v23, v202
	v_add_f32_e32 v30, v30, v31
	s_waitcnt vmcnt(45)
	v_mul_f32_e32 v31, v24, v203
	s_waitcnt vmcnt(44)
	v_fmac_f32_e32 v31, v25, v204
	v_add_f32_e32 v30, v30, v31
	s_waitcnt vmcnt(41) lgkmcnt(0)
	v_mul_f32_e32 v31, v26, v205
	s_waitcnt vmcnt(40)
	v_fmac_f32_e32 v31, v27, v206
	buffer_load_dword v247, off, s[0:3], 0 offset:320
	buffer_load_dword v248, off, s[0:3], 0 offset:324
	v_add_f32_e32 v34, v30, v31
	ds_read2_b64 v[30:33], v20 offset0:71 offset1:72
	s_waitcnt vmcnt(40)
	v_mul_f32_e32 v35, v28, v208
	v_fmac_f32_e32 v35, v29, v207
	v_add_f32_e32 v38, v34, v35
	ds_read2_b64 v[34:37], v20 offset0:73 offset1:74
	s_waitcnt vmcnt(38) lgkmcnt(1)
	v_mul_f32_e32 v39, v30, v210
	v_fmac_f32_e32 v39, v31, v209
	v_add_f32_e32 v38, v38, v39
	s_waitcnt vmcnt(36)
	v_mul_f32_e32 v39, v32, v212
	v_fmac_f32_e32 v39, v33, v211
	v_add_f32_e32 v38, v38, v39
	s_waitcnt vmcnt(34) lgkmcnt(0)
	v_mul_f32_e32 v39, v34, v214
	v_fmac_f32_e32 v39, v35, v213
	v_add_f32_e32 v42, v38, v39
	ds_read2_b64 v[38:41], v20 offset0:75 offset1:76
	s_waitcnt vmcnt(32)
	v_mul_f32_e32 v43, v36, v216
	v_fmac_f32_e32 v43, v37, v215
	v_add_f32_e32 v46, v42, v43
	ds_read2_b64 v[42:45], v20 offset0:77 offset1:78
	s_waitcnt vmcnt(30) lgkmcnt(1)
	v_mul_f32_e32 v47, v38, v218
	v_fmac_f32_e32 v47, v39, v217
	v_add_f32_e32 v46, v46, v47
	s_waitcnt vmcnt(28)
	v_mul_f32_e32 v47, v40, v220
	v_fmac_f32_e32 v47, v41, v219
	v_add_f32_e32 v46, v46, v47
	s_waitcnt vmcnt(26) lgkmcnt(0)
	v_mul_f32_e32 v47, v42, v222
	v_fmac_f32_e32 v47, v43, v221
	;; [unrolled: 18-line block ×4, first 2 shown]
	s_waitcnt vmcnt(8)
	v_mul_f32_e32 v67, v60, v240
	v_add_f32_e32 v66, v62, v63
	v_fmac_f32_e32 v67, v61, v239
	ds_read2_b64 v[62:65], v20 offset0:87 offset1:88
	v_add_f32_e32 v71, v66, v67
	ds_read2_b64 v[66:69], v20 offset0:89 offset1:90
	buffer_load_dword v75, off, s[0:3], 0 offset:348
	buffer_load_dword v74, off, s[0:3], 0 offset:344
	buffer_load_dword v77, off, s[0:3], 0 offset:340
	buffer_load_dword v76, off, s[0:3], 0 offset:336
	buffer_load_dword v177, off, s[0:3], 0 offset:332
	buffer_load_dword v176, off, s[0:3], 0 offset:328
	buffer_load_dword v181, off, s[0:3], 0 offset:380
	buffer_load_dword v180, off, s[0:3], 0 offset:376
	buffer_load_dword v183, off, s[0:3], 0 offset:372
	buffer_load_dword v182, off, s[0:3], 0 offset:368
	buffer_load_dword v185, off, s[0:3], 0 offset:364
	buffer_load_dword v184, off, s[0:3], 0 offset:360
	buffer_load_dword v187, off, s[0:3], 0 offset:356
	buffer_load_dword v186, off, s[0:3], 0 offset:352
	buffer_load_dword v189, off, s[0:3], 0 offset:388
	buffer_load_dword v188, off, s[0:3], 0 offset:384
	v_mul_f32_e32 v1, v15, v1
	v_fma_f32 v1, v14, v193, -v1
	v_mul_f32_e32 v14, v17, v21
	v_add_f32_e32 v1, 0, v1
	v_fma_f32 v14, v16, v194, -v14
	v_mul_f32_e32 v7, v7, v70
	v_add_f32_e32 v1, v1, v14
	v_fma_f32 v6, v6, v195, -v7
	v_add_f32_e32 v1, v1, v6
	v_mul_f32_e32 v6, v9, v72
	v_fma_f32 v6, v8, v196, -v6
	v_add_f32_e32 v1, v1, v6
	v_mul_f32_e32 v6, v11, v178
	;; [unrolled: 3-line block ×3, first 2 shown]
	v_fma_f32 v6, v12, v198, -v6
	v_mul_f32_e32 v3, v3, v191
	v_add_f32_e32 v1, v1, v6
	v_fma_f32 v2, v2, v199, -v3
	v_add_f32_e32 v1, v1, v2
	v_mul_f32_e32 v2, v5, v192
	v_fma_f32 v2, v4, v200, -v2
	v_add_f32_e32 v1, v1, v2
	v_mul_f32_e32 v2, v23, v201
	;; [unrolled: 3-line block ×21, first 2 shown]
	v_fma_f32 v2, v60, v239, -v2
	v_add_f32_e32 v1, v1, v2
	s_waitcnt vmcnt(22) lgkmcnt(1)
	v_mul_f32_e32 v2, v63, v242
	v_mul_f32_e32 v73, v62, v242
	v_fma_f32 v2, v62, v241, -v2
	v_fmac_f32_e32 v73, v63, v241
	v_add_f32_e32 v1, v1, v2
	s_waitcnt vmcnt(20)
	v_mul_f32_e32 v2, v65, v244
	v_add_f32_e32 v71, v71, v73
	v_mul_f32_e32 v73, v64, v244
	v_fma_f32 v2, v64, v243, -v2
	v_fmac_f32_e32 v73, v65, v243
	v_add_f32_e32 v70, v1, v2
	ds_read2_b64 v[2:5], v20 offset0:91 offset1:92
	ds_read2_b64 v[6:9], v20 offset0:93 offset1:94
	;; [unrolled: 1-line block ×4, first 2 shown]
	v_add_f32_e32 v71, v71, v73
	s_waitcnt vmcnt(18) lgkmcnt(4)
	v_mul_f32_e32 v73, v66, v246
	v_mul_f32_e32 v1, v67, v246
	s_waitcnt vmcnt(11)
	v_mov_b32_e32 v22, v177
	v_fmac_f32_e32 v73, v67, v245
	v_mul_f32_e32 v179, v68, v248
	v_fma_f32 v72, v66, v245, -v1
	v_mul_f32_e32 v1, v69, v248
	s_waitcnt lgkmcnt(3)
	v_pk_mul_f32 v[22:23], v[2:3], v[22:23] op_sel_hi:[1,0]
	v_fmac_f32_e32 v179, v69, v247
	v_fma_f32 v178, v68, v247, -v1
	v_pk_add_f32 v[20:21], v[70:71], v[72:73]
	s_waitcnt vmcnt(10)
	v_pk_fma_f32 v[24:25], v[2:3], v[176:177], v[22:23] op_sel:[0,0,1] op_sel_hi:[1,1,0] neg_lo:[0,0,1] neg_hi:[0,0,1]
	v_pk_fma_f32 v[2:3], v[2:3], v[176:177], v[22:23] op_sel:[0,0,1] op_sel_hi:[1,0,0]
	v_pk_add_f32 v[20:21], v[20:21], v[178:179]
	v_mov_b32_e32 v25, v3
	v_pk_add_f32 v[2:3], v[20:21], v[24:25]
	v_mov_b32_e32 v20, v77
	v_pk_mul_f32 v[20:21], v[4:5], v[20:21] op_sel_hi:[1,0]
	v_pk_fma_f32 v[22:23], v[4:5], v[76:77], v[20:21] op_sel:[0,0,1] op_sel_hi:[1,1,0] neg_lo:[0,0,1] neg_hi:[0,0,1]
	v_pk_fma_f32 v[4:5], v[4:5], v[76:77], v[20:21] op_sel:[0,0,1] op_sel_hi:[1,0,0]
	v_mov_b32_e32 v4, v75
	v_mov_b32_e32 v23, v5
	s_waitcnt lgkmcnt(2)
	v_pk_mul_f32 v[4:5], v[6:7], v[4:5] op_sel_hi:[1,0]
	v_pk_fma_f32 v[20:21], v[6:7], v[74:75], v[4:5] op_sel:[0,0,1] op_sel_hi:[1,1,0] neg_lo:[0,0,1] neg_hi:[0,0,1]
	v_pk_fma_f32 v[4:5], v[6:7], v[74:75], v[4:5] op_sel:[0,0,1] op_sel_hi:[1,0,0]
	s_waitcnt vmcnt(3)
	v_mov_b32_e32 v4, v187
	v_mov_b32_e32 v21, v5
	v_pk_mul_f32 v[4:5], v[8:9], v[4:5] op_sel_hi:[1,0]
	s_waitcnt vmcnt(2)
	v_pk_fma_f32 v[6:7], v[8:9], v[186:187], v[4:5] op_sel:[0,0,1] op_sel_hi:[1,1,0] neg_lo:[0,0,1] neg_hi:[0,0,1]
	v_pk_fma_f32 v[4:5], v[8:9], v[186:187], v[4:5] op_sel:[0,0,1] op_sel_hi:[1,0,0]
	v_pk_add_f32 v[2:3], v[2:3], v[22:23]
	v_mov_b32_e32 v4, v185
	v_pk_add_f32 v[2:3], v[2:3], v[20:21]
	v_mov_b32_e32 v7, v5
	s_waitcnt lgkmcnt(1)
	v_pk_mul_f32 v[4:5], v[10:11], v[4:5] op_sel_hi:[1,0]
	v_pk_add_f32 v[2:3], v[2:3], v[6:7]
	v_pk_fma_f32 v[6:7], v[10:11], v[184:185], v[4:5] op_sel:[0,0,1] op_sel_hi:[1,1,0] neg_lo:[0,0,1] neg_hi:[0,0,1]
	v_pk_fma_f32 v[4:5], v[10:11], v[184:185], v[4:5] op_sel:[0,0,1] op_sel_hi:[1,0,0]
	v_mov_b32_e32 v4, v183
	v_mov_b32_e32 v7, v5
	v_pk_mul_f32 v[4:5], v[12:13], v[4:5] op_sel_hi:[1,0]
	v_pk_add_f32 v[2:3], v[2:3], v[6:7]
	v_pk_fma_f32 v[6:7], v[12:13], v[182:183], v[4:5] op_sel:[0,0,1] op_sel_hi:[1,1,0] neg_lo:[0,0,1] neg_hi:[0,0,1]
	v_pk_fma_f32 v[4:5], v[12:13], v[182:183], v[4:5] op_sel:[0,0,1] op_sel_hi:[1,0,0]
	v_mov_b32_e32 v4, v181
	v_mov_b32_e32 v7, v5
	s_waitcnt lgkmcnt(0)
	v_pk_mul_f32 v[4:5], v[14:15], v[4:5] op_sel_hi:[1,0]
	v_pk_add_f32 v[2:3], v[2:3], v[6:7]
	v_pk_fma_f32 v[6:7], v[14:15], v[180:181], v[4:5] op_sel:[0,0,1] op_sel_hi:[1,1,0] neg_lo:[0,0,1] neg_hi:[0,0,1]
	v_pk_fma_f32 v[4:5], v[14:15], v[180:181], v[4:5] op_sel:[0,0,1] op_sel_hi:[1,0,0]
	s_waitcnt vmcnt(1)
	v_mov_b32_e32 v4, v189
	v_mov_b32_e32 v7, v5
	v_pk_mul_f32 v[4:5], v[16:17], v[4:5] op_sel_hi:[1,0]
	v_pk_add_f32 v[2:3], v[2:3], v[6:7]
	s_waitcnt vmcnt(0)
	v_pk_fma_f32 v[6:7], v[16:17], v[188:189], v[4:5] op_sel:[0,0,1] op_sel_hi:[1,1,0] neg_lo:[0,0,1] neg_hi:[0,0,1]
	v_pk_fma_f32 v[4:5], v[16:17], v[188:189], v[4:5] op_sel:[0,0,1] op_sel_hi:[1,0,0]
	v_mov_b32_e32 v7, v5
	v_pk_add_f32 v[2:3], v[2:3], v[6:7]
	v_pk_add_f32 v[2:3], v[18:19], v[2:3] neg_lo:[0,1] neg_hi:[0,1]
	buffer_store_dword v3, off, s[0:3], 0 offset:68
	buffer_store_dword v2, off, s[0:3], 0 offset:64
	s_and_saveexec_b64 s[4:5], vcc
	s_cbranch_execz .LBB112_293
; %bb.292:
	buffer_load_dword v2, off, s[0:3], 0 offset:56
	buffer_load_dword v3, off, s[0:3], 0 offset:60
	v_mov_b32_e32 v1, 0
	v_accvgpr_read_b32 v4, a24
	buffer_store_dword v1, off, s[0:3], 0 offset:56
	buffer_store_dword v1, off, s[0:3], 0 offset:60
	s_waitcnt vmcnt(2)
	ds_write_b64 v4, v[2:3]
.LBB112_293:
	s_or_b64 exec, exec, s[4:5]
	v_mov_b32_e32 v192, 0
	s_waitcnt lgkmcnt(0)
	; wave barrier
	s_waitcnt lgkmcnt(0)
	ds_read_b128 v[14:17], v192 offset:464
	ds_read_b128 v[10:13], v192 offset:480
	;; [unrolled: 1-line block ×4, first 2 shown]
	buffer_load_dword v70, off, s[0:3], 0 offset:56
	buffer_load_dword v71, off, s[0:3], 0 offset:60
	;; [unrolled: 1-line block ×18, first 2 shown]
	v_cmp_lt_u32_e32 vcc, 6, v0
	s_waitcnt vmcnt(14) lgkmcnt(3)
	v_mul_f32_e32 v1, v14, v193
	v_fmac_f32_e32 v1, v15, v72
	s_waitcnt vmcnt(12)
	v_mul_f32_e32 v18, v16, v195
	v_add_f32_e32 v1, 0, v1
	v_fmac_f32_e32 v18, v17, v74
	v_add_f32_e32 v1, v1, v18
	s_waitcnt vmcnt(10) lgkmcnt(2)
	v_mul_f32_e32 v18, v10, v197
	v_fmac_f32_e32 v18, v11, v176
	v_add_f32_e32 v1, v1, v18
	s_waitcnt vmcnt(8)
	v_mul_f32_e32 v18, v12, v199
	v_fmac_f32_e32 v18, v13, v194
	v_add_f32_e32 v1, v1, v18
	s_waitcnt vmcnt(6) lgkmcnt(1)
	v_mul_f32_e32 v18, v6, v201
	v_fmac_f32_e32 v18, v7, v196
	v_add_f32_e32 v1, v1, v18
	s_waitcnt vmcnt(4)
	v_mul_f32_e32 v18, v8, v202
	;; [unrolled: 8-line block ×3, first 2 shown]
	v_fmac_f32_e32 v18, v5, v204
	v_add_f32_e32 v1, v1, v18
	ds_read_b128 v[18:21], v192 offset:528
	buffer_load_dword v206, off, s[0:3], 0 offset:128
	buffer_load_dword v207, off, s[0:3], 0 offset:132
	buffer_load_dword v208, off, s[0:3], 0 offset:136
	buffer_load_dword v209, off, s[0:3], 0 offset:140
	ds_read_b128 v[26:29], v192 offset:544
	buffer_load_dword v210, off, s[0:3], 0 offset:144
	buffer_load_dword v211, off, s[0:3], 0 offset:148
	buffer_load_dword v212, off, s[0:3], 0 offset:152
	buffer_load_dword v213, off, s[0:3], 0 offset:156
	;; [unrolled: 5-line block ×11, first 2 shown]
	ds_read_b128 v[66:69], v192 offset:704
	buffer_load_dword v250, off, s[0:3], 0 offset:304
	buffer_load_dword v251, off, s[0:3], 0 offset:308
	v_mul_f32_e32 v15, v15, v193
	v_fma_f32 v14, v14, v72, -v15
	v_mul_f32_e32 v15, v17, v195
	v_add_f32_e32 v14, 0, v14
	v_fma_f32 v15, v16, v74, -v15
	v_mul_f32_e32 v11, v11, v197
	v_add_f32_e32 v14, v14, v15
	;; [unrolled: 3-line block ×7, first 2 shown]
	v_fma_f32 v3, v4, v204, -v3
	v_add_f32_e32 v2, v2, v3
	s_waitcnt vmcnt(44) lgkmcnt(11)
	v_mul_f32_e32 v22, v18, v207
	v_fmac_f32_e32 v22, v19, v206
	v_add_f32_e32 v1, v1, v22
	s_waitcnt vmcnt(42)
	v_mul_f32_e32 v22, v20, v209
	v_fmac_f32_e32 v22, v21, v208
	v_add_f32_e32 v1, v1, v22
	s_waitcnt vmcnt(40) lgkmcnt(10)
	v_mul_f32_e32 v22, v26, v211
	v_fmac_f32_e32 v22, v27, v210
	v_add_f32_e32 v1, v1, v22
	s_waitcnt vmcnt(38)
	v_mul_f32_e32 v22, v28, v213
	v_fmac_f32_e32 v22, v29, v212
	;; [unrolled: 8-line block ×11, first 2 shown]
	v_add_f32_e32 v1, v1, v22
	s_waitcnt vmcnt(0) lgkmcnt(0)
	v_mul_f32_e32 v22, v66, v251
	v_fmac_f32_e32 v22, v67, v250
	v_add_f32_e32 v73, v1, v22
	buffer_load_dword v1, off, s[0:3], 0 offset:312
	buffer_load_dword v252, off, s[0:3], 0 offset:316
	ds_read_b128 v[22:25], v192 offset:720
	buffer_load_dword v253, off, s[0:3], 0 offset:320
	buffer_load_dword v254, off, s[0:3], 0 offset:324
	;; [unrolled: 1-line block ×18, first 2 shown]
	v_mul_f32_e32 v3, v19, v207
	v_fma_f32 v3, v18, v206, -v3
	v_add_f32_e32 v2, v2, v3
	v_mul_f32_e32 v3, v21, v209
	v_fma_f32 v3, v20, v208, -v3
	v_add_f32_e32 v2, v2, v3
	;; [unrolled: 3-line block ×22, first 2 shown]
	v_mul_f32_e32 v3, v67, v251
	v_fma_f32 v3, v66, v250, -v3
	s_waitcnt vmcnt(15)
	v_mov_b32_e32 v18, v77
	v_add_f32_e32 v72, v2, v3
	s_waitcnt lgkmcnt(0)
	v_pk_mul_f32 v[18:19], v[24:25], v[18:19] op_sel_hi:[1,0]
	s_waitcnt vmcnt(14)
	v_pk_fma_f32 v[20:21], v[24:25], v[76:77], v[18:19] op_sel:[0,0,1] op_sel_hi:[1,1,0] neg_lo:[0,0,1] neg_hi:[0,0,1]
	v_pk_fma_f32 v[18:19], v[24:25], v[76:77], v[18:19] op_sel:[0,0,1] op_sel_hi:[1,0,0]
	s_waitcnt vmcnt(13)
	v_mov_b32_e32 v18, v191
	v_mov_b32_e32 v21, v19
	v_mul_f32_e32 v75, v68, v252
	v_mul_f32_e32 v2, v69, v252
	v_fmac_f32_e32 v75, v69, v1
	v_mul_f32_e32 v177, v22, v254
	v_fma_f32 v74, v68, v1, -v2
	v_mul_f32_e32 v1, v23, v254
	ds_read_b128 v[2:5], v192 offset:736
	ds_read_b128 v[6:9], v192 offset:752
	ds_read_b128 v[10:13], v192 offset:768
	ds_read_b64 v[14:15], v192 offset:784
	v_fmac_f32_e32 v177, v23, v253
	v_fma_f32 v176, v22, v253, -v1
	v_pk_add_f32 v[16:17], v[72:73], v[74:75]
	v_pk_add_f32 v[16:17], v[16:17], v[176:177]
	s_waitcnt lgkmcnt(3)
	v_pk_mul_f32 v[18:19], v[2:3], v[18:19] op_sel_hi:[1,0]
	v_pk_add_f32 v[16:17], v[16:17], v[20:21]
	s_waitcnt vmcnt(12)
	v_pk_fma_f32 v[20:21], v[2:3], v[190:191], v[18:19] op_sel:[0,0,1] op_sel_hi:[1,1,0] neg_lo:[0,0,1] neg_hi:[0,0,1]
	v_pk_fma_f32 v[2:3], v[2:3], v[190:191], v[18:19] op_sel:[0,0,1] op_sel_hi:[1,0,0]
	v_mov_b32_e32 v21, v3
	v_pk_add_f32 v[2:3], v[16:17], v[20:21]
	s_waitcnt vmcnt(11)
	v_mov_b32_e32 v16, v189
	v_pk_mul_f32 v[16:17], v[4:5], v[16:17] op_sel_hi:[1,0]
	s_waitcnt vmcnt(10)
	v_pk_fma_f32 v[18:19], v[4:5], v[188:189], v[16:17] op_sel:[0,0,1] op_sel_hi:[1,1,0] neg_lo:[0,0,1] neg_hi:[0,0,1]
	v_pk_fma_f32 v[4:5], v[4:5], v[188:189], v[16:17] op_sel:[0,0,1] op_sel_hi:[1,0,0]
	s_waitcnt vmcnt(9)
	v_mov_b32_e32 v4, v187
	v_mov_b32_e32 v19, v5
	s_waitcnt lgkmcnt(2)
	v_pk_mul_f32 v[4:5], v[6:7], v[4:5] op_sel_hi:[1,0]
	s_waitcnt vmcnt(8)
	v_pk_fma_f32 v[16:17], v[6:7], v[186:187], v[4:5] op_sel:[0,0,1] op_sel_hi:[1,1,0] neg_lo:[0,0,1] neg_hi:[0,0,1]
	v_pk_fma_f32 v[4:5], v[6:7], v[186:187], v[4:5] op_sel:[0,0,1] op_sel_hi:[1,0,0]
	s_waitcnt vmcnt(7)
	v_mov_b32_e32 v4, v185
	v_mov_b32_e32 v17, v5
	v_pk_mul_f32 v[4:5], v[8:9], v[4:5] op_sel_hi:[1,0]
	s_waitcnt vmcnt(6)
	v_pk_fma_f32 v[6:7], v[8:9], v[184:185], v[4:5] op_sel:[0,0,1] op_sel_hi:[1,1,0] neg_lo:[0,0,1] neg_hi:[0,0,1]
	v_pk_fma_f32 v[4:5], v[8:9], v[184:185], v[4:5] op_sel:[0,0,1] op_sel_hi:[1,0,0]
	v_pk_add_f32 v[2:3], v[2:3], v[18:19]
	s_waitcnt vmcnt(5)
	v_mov_b32_e32 v4, v183
	v_pk_add_f32 v[2:3], v[2:3], v[16:17]
	v_mov_b32_e32 v7, v5
	s_waitcnt lgkmcnt(1)
	v_pk_mul_f32 v[4:5], v[10:11], v[4:5] op_sel_hi:[1,0]
	v_pk_add_f32 v[2:3], v[2:3], v[6:7]
	s_waitcnt vmcnt(4)
	v_pk_fma_f32 v[6:7], v[10:11], v[182:183], v[4:5] op_sel:[0,0,1] op_sel_hi:[1,1,0] neg_lo:[0,0,1] neg_hi:[0,0,1]
	v_pk_fma_f32 v[4:5], v[10:11], v[182:183], v[4:5] op_sel:[0,0,1] op_sel_hi:[1,0,0]
	s_waitcnt vmcnt(3)
	v_mov_b32_e32 v4, v181
	v_mov_b32_e32 v7, v5
	v_pk_mul_f32 v[4:5], v[12:13], v[4:5] op_sel_hi:[1,0]
	v_pk_add_f32 v[2:3], v[2:3], v[6:7]
	s_waitcnt vmcnt(2)
	v_pk_fma_f32 v[6:7], v[12:13], v[180:181], v[4:5] op_sel:[0,0,1] op_sel_hi:[1,1,0] neg_lo:[0,0,1] neg_hi:[0,0,1]
	v_pk_fma_f32 v[4:5], v[12:13], v[180:181], v[4:5] op_sel:[0,0,1] op_sel_hi:[1,0,0]
	s_waitcnt vmcnt(1)
	v_mov_b32_e32 v4, v179
	v_mov_b32_e32 v7, v5
	s_waitcnt lgkmcnt(0)
	v_pk_mul_f32 v[4:5], v[14:15], v[4:5] op_sel_hi:[1,0]
	v_pk_add_f32 v[2:3], v[2:3], v[6:7]
	s_waitcnt vmcnt(0)
	v_pk_fma_f32 v[6:7], v[14:15], v[178:179], v[4:5] op_sel:[0,0,1] op_sel_hi:[1,1,0] neg_lo:[0,0,1] neg_hi:[0,0,1]
	v_pk_fma_f32 v[4:5], v[14:15], v[178:179], v[4:5] op_sel:[0,0,1] op_sel_hi:[1,0,0]
	v_mov_b32_e32 v7, v5
	v_pk_add_f32 v[2:3], v[2:3], v[6:7]
	v_pk_add_f32 v[2:3], v[70:71], v[2:3] neg_lo:[0,1] neg_hi:[0,1]
	buffer_store_dword v3, off, s[0:3], 0 offset:60
	buffer_store_dword v2, off, s[0:3], 0 offset:56
	s_and_saveexec_b64 s[4:5], vcc
	s_cbranch_execz .LBB112_295
; %bb.294:
	buffer_load_dword v2, off, s[0:3], 0 offset:48
	buffer_load_dword v3, off, s[0:3], 0 offset:52
	v_accvgpr_read_b32 v1, a24
	buffer_store_dword v192, off, s[0:3], 0 offset:48
	buffer_store_dword v192, off, s[0:3], 0 offset:52
	s_waitcnt vmcnt(2)
	ds_write_b64 v1, v[2:3]
.LBB112_295:
	s_or_b64 exec, exec, s[4:5]
	s_waitcnt lgkmcnt(0)
	; wave barrier
	s_waitcnt lgkmcnt(0)
	buffer_load_dword v1, off, s[0:3], 0 offset:60
	buffer_load_dword v176, off, s[0:3], 0 offset:68
	;; [unrolled: 1-line block ×24, first 2 shown]
	ds_read2_b64 v[22:25], v192 offset0:57 offset1:58
	ds_read2_b64 v[18:21], v192 offset0:59 offset1:60
	;; [unrolled: 1-line block ×4, first 2 shown]
	buffer_load_dword v215, off, s[0:3], 0 offset:144
	buffer_load_dword v216, off, s[0:3], 0 offset:148
	ds_read2_b64 v[10:13], v192 offset0:65 offset1:66
	ds_read2_b64 v[2:5], v192 offset0:67 offset1:68
	buffer_load_dword v217, off, s[0:3], 0 offset:152
	buffer_load_dword v218, off, s[0:3], 0 offset:156
	;; [unrolled: 1-line block ×44, first 2 shown]
	v_cmp_lt_u32_e32 vcc, 5, v0
	s_waitcnt vmcnt(62) lgkmcnt(5)
	v_mul_f32_e32 v28, v22, v1
	v_mul_f32_e32 v29, v24, v176
	s_waitcnt lgkmcnt(4)
	v_mul_f32_e32 v31, v20, v178
	s_waitcnt lgkmcnt(3)
	v_mul_f32_e32 v32, v14, v180
	v_mul_f32_e32 v33, v16, v193
	;; [unrolled: 1-line block ×3, first 2 shown]
	s_waitcnt lgkmcnt(2)
	v_mul_f32_e32 v34, v6, v199
	v_mul_f32_e32 v35, v8, v200
	s_waitcnt vmcnt(61)
	v_fmac_f32_e32 v30, v19, v201
	s_waitcnt vmcnt(60)
	v_fmac_f32_e32 v29, v25, v202
	;; [unrolled: 2-line block ×3, first 2 shown]
	v_add_f32_e32 v28, 0, v28
	v_add_f32_e32 v28, v28, v29
	;; [unrolled: 1-line block ×3, first 2 shown]
	s_waitcnt vmcnt(55)
	v_fmac_f32_e32 v31, v21, v207
	v_fmac_f32_e32 v32, v15, v206
	v_add_f32_e32 v28, v28, v31
	v_fmac_f32_e32 v33, v17, v205
	v_add_f32_e32 v28, v28, v32
	;; [unrolled: 2-line block ×3, first 2 shown]
	s_waitcnt vmcnt(51)
	v_fmac_f32_e32 v35, v9, v211
	v_add_f32_e32 v28, v28, v34
	s_waitcnt vmcnt(50) lgkmcnt(1)
	v_mul_f32_e32 v29, v10, v212
	v_add_f32_e32 v28, v28, v35
	v_fmac_f32_e32 v29, v11, v210
	v_add_f32_e32 v28, v28, v29
	s_waitcnt vmcnt(49)
	v_mul_f32_e32 v29, v12, v213
	v_fmac_f32_e32 v29, v13, v209
	v_add_f32_e32 v28, v28, v29
	s_waitcnt vmcnt(48) lgkmcnt(0)
	v_mul_f32_e32 v29, v2, v214
	v_fmac_f32_e32 v29, v3, v208
	v_add_f32_e32 v32, v28, v29
	ds_read2_b64 v[28:31], v192 offset0:69 offset1:70
	s_waitcnt vmcnt(44)
	v_mul_f32_e32 v33, v4, v216
	v_fmac_f32_e32 v33, v5, v215
	v_add_f32_e32 v36, v32, v33
	ds_read2_b64 v[32:35], v192 offset0:71 offset1:72
	s_waitcnt vmcnt(42) lgkmcnt(1)
	v_mul_f32_e32 v37, v28, v218
	v_fmac_f32_e32 v37, v29, v217
	v_add_f32_e32 v36, v36, v37
	s_waitcnt vmcnt(40)
	v_mul_f32_e32 v37, v30, v220
	v_fmac_f32_e32 v37, v31, v219
	v_add_f32_e32 v36, v36, v37
	s_waitcnt vmcnt(38) lgkmcnt(0)
	v_mul_f32_e32 v37, v32, v222
	v_fmac_f32_e32 v37, v33, v221
	v_add_f32_e32 v40, v36, v37
	ds_read2_b64 v[36:39], v192 offset0:73 offset1:74
	s_waitcnt vmcnt(36)
	v_mul_f32_e32 v41, v34, v224
	v_fmac_f32_e32 v41, v35, v223
	v_add_f32_e32 v44, v40, v41
	ds_read2_b64 v[40:43], v192 offset0:75 offset1:76
	s_waitcnt vmcnt(34) lgkmcnt(1)
	v_mul_f32_e32 v45, v36, v226
	;; [unrolled: 18-line block ×4, first 2 shown]
	v_fmac_f32_e32 v61, v53, v241
	v_add_f32_e32 v60, v60, v61
	s_waitcnt vmcnt(16)
	v_mul_f32_e32 v61, v54, v244
	v_fmac_f32_e32 v61, v55, v243
	v_add_f32_e32 v60, v60, v61
	s_waitcnt vmcnt(14) lgkmcnt(0)
	v_mul_f32_e32 v61, v56, v246
	v_fmac_f32_e32 v61, v57, v245
	v_add_f32_e32 v64, v60, v61
	ds_read2_b64 v[60:63], v192 offset0:85 offset1:86
	s_waitcnt vmcnt(12)
	v_mul_f32_e32 v65, v58, v248
	v_fmac_f32_e32 v65, v59, v247
	v_add_f32_e32 v68, v64, v65
	ds_read2_b64 v[64:67], v192 offset0:87 offset1:88
	buffer_load_dword v77, off, s[0:3], 0 offset:332
	buffer_load_dword v76, off, s[0:3], 0 offset:328
	s_waitcnt vmcnt(12) lgkmcnt(1)
	v_mul_f32_e32 v69, v60, v250
	v_fmac_f32_e32 v69, v61, v249
	v_add_f32_e32 v68, v68, v69
	s_waitcnt vmcnt(10)
	v_mul_f32_e32 v69, v62, v252
	v_fmac_f32_e32 v69, v63, v251
	v_add_f32_e32 v68, v68, v69
	s_waitcnt vmcnt(8) lgkmcnt(0)
	v_mul_f32_e32 v69, v64, v254
	v_fmac_f32_e32 v69, v65, v253
	s_waitcnt vmcnt(6)
	v_mul_f32_e32 v73, v66, v78
	v_add_f32_e32 v72, v68, v69
	v_fmac_f32_e32 v73, v67, v255
	ds_read2_b64 v[68:71], v192 offset0:89 offset1:90
	v_add_f32_e32 v177, v72, v73
	ds_read2_b64 v[72:75], v192 offset0:91 offset1:92
	buffer_load_dword v183, off, s[0:3], 0 offset:364
	buffer_load_dword v182, off, s[0:3], 0 offset:360
	;; [unrolled: 1-line block ×14, first 2 shown]
	v_mul_f32_e32 v1, v23, v1
	v_fma_f32 v1, v22, v203, -v1
	v_mul_f32_e32 v22, v25, v176
	v_add_f32_e32 v1, 0, v1
	v_fma_f32 v22, v24, v202, -v22
	v_mul_f32_e32 v19, v19, v198
	v_add_f32_e32 v1, v1, v22
	v_fma_f32 v18, v18, v201, -v19
	v_add_f32_e32 v1, v1, v18
	v_mul_f32_e32 v18, v21, v178
	v_fma_f32 v18, v20, v207, -v18
	v_mul_f32_e32 v15, v15, v180
	v_add_f32_e32 v1, v1, v18
	v_fma_f32 v14, v14, v206, -v15
	v_add_f32_e32 v1, v1, v14
	v_mul_f32_e32 v14, v17, v193
	;; [unrolled: 6-line block ×3, first 2 shown]
	v_fma_f32 v6, v8, v211, -v6
	v_add_f32_e32 v1, v1, v6
	v_mul_f32_e32 v6, v11, v212
	v_fma_f32 v6, v10, v210, -v6
	v_add_f32_e32 v1, v1, v6
	v_mul_f32_e32 v6, v13, v213
	v_fma_f32 v6, v12, v209, -v6
	v_mul_f32_e32 v3, v3, v214
	v_add_f32_e32 v1, v1, v6
	v_fma_f32 v2, v2, v208, -v3
	v_add_f32_e32 v1, v1, v2
	v_mul_f32_e32 v2, v5, v216
	v_fma_f32 v2, v4, v215, -v2
	v_add_f32_e32 v1, v1, v2
	v_mul_f32_e32 v2, v29, v218
	;; [unrolled: 3-line block ×21, first 2 shown]
	v_fma_f32 v2, v66, v255, -v2
	s_waitcnt vmcnt(15)
	v_mov_b32_e32 v16, v77
	s_waitcnt lgkmcnt(1)
	v_mul_f32_e32 v179, v68, v80
	v_add_f32_e32 v176, v1, v2
	v_mul_f32_e32 v1, v69, v80
	s_waitcnt lgkmcnt(0)
	v_pk_mul_f32 v[16:17], v[72:73], v[16:17] op_sel_hi:[1,0]
	v_fmac_f32_e32 v179, v69, v79
	v_mul_f32_e32 v181, v70, v82
	v_fma_f32 v178, v68, v79, -v1
	v_mul_f32_e32 v1, v71, v82
	s_waitcnt vmcnt(14)
	v_pk_fma_f32 v[18:19], v[72:73], v[76:77], v[16:17] op_sel:[0,0,1] op_sel_hi:[1,1,0] neg_lo:[0,0,1] neg_hi:[0,0,1]
	v_pk_fma_f32 v[16:17], v[72:73], v[76:77], v[16:17] op_sel:[0,0,1] op_sel_hi:[1,0,0]
	v_fmac_f32_e32 v181, v71, v81
	v_fma_f32 v180, v70, v81, -v1
	v_pk_add_f32 v[14:15], v[176:177], v[178:179]
	s_waitcnt vmcnt(7)
	v_mov_b32_e32 v16, v189
	ds_read2_b64 v[2:5], v192 offset0:93 offset1:94
	ds_read2_b64 v[6:9], v192 offset0:95 offset1:96
	;; [unrolled: 1-line block ×3, first 2 shown]
	v_pk_add_f32 v[14:15], v[14:15], v[180:181]
	v_mov_b32_e32 v19, v17
	v_pk_mul_f32 v[16:17], v[74:75], v[16:17] op_sel_hi:[1,0]
	v_pk_add_f32 v[14:15], v[14:15], v[18:19]
	s_waitcnt vmcnt(6)
	v_pk_fma_f32 v[18:19], v[74:75], v[188:189], v[16:17] op_sel:[0,0,1] op_sel_hi:[1,1,0] neg_lo:[0,0,1] neg_hi:[0,0,1]
	v_pk_fma_f32 v[16:17], v[74:75], v[188:189], v[16:17] op_sel:[0,0,1] op_sel_hi:[1,0,0]
	v_mov_b32_e32 v16, v187
	v_mov_b32_e32 v19, v17
	s_waitcnt lgkmcnt(2)
	v_pk_mul_f32 v[16:17], v[2:3], v[16:17] op_sel_hi:[1,0]
	v_pk_add_f32 v[14:15], v[14:15], v[18:19]
	v_pk_fma_f32 v[18:19], v[2:3], v[186:187], v[16:17] op_sel:[0,0,1] op_sel_hi:[1,1,0] neg_lo:[0,0,1] neg_hi:[0,0,1]
	v_pk_fma_f32 v[2:3], v[2:3], v[186:187], v[16:17] op_sel:[0,0,1] op_sel_hi:[1,0,0]
	v_mov_b32_e32 v19, v3
	v_pk_add_f32 v[2:3], v[14:15], v[18:19]
	v_mov_b32_e32 v14, v185
	v_pk_mul_f32 v[14:15], v[4:5], v[14:15] op_sel_hi:[1,0]
	v_pk_fma_f32 v[16:17], v[4:5], v[184:185], v[14:15] op_sel:[0,0,1] op_sel_hi:[1,1,0] neg_lo:[0,0,1] neg_hi:[0,0,1]
	v_pk_fma_f32 v[4:5], v[4:5], v[184:185], v[14:15] op_sel:[0,0,1] op_sel_hi:[1,0,0]
	v_mov_b32_e32 v4, v183
	v_mov_b32_e32 v17, v5
	s_waitcnt lgkmcnt(1)
	v_pk_mul_f32 v[4:5], v[6:7], v[4:5] op_sel_hi:[1,0]
	v_pk_fma_f32 v[14:15], v[6:7], v[182:183], v[4:5] op_sel:[0,0,1] op_sel_hi:[1,1,0] neg_lo:[0,0,1] neg_hi:[0,0,1]
	v_pk_fma_f32 v[4:5], v[6:7], v[182:183], v[4:5] op_sel:[0,0,1] op_sel_hi:[1,0,0]
	s_waitcnt vmcnt(1)
	v_mov_b32_e32 v4, v197
	v_mov_b32_e32 v15, v5
	v_pk_mul_f32 v[4:5], v[8:9], v[4:5] op_sel_hi:[1,0]
	s_waitcnt vmcnt(0)
	v_pk_fma_f32 v[6:7], v[8:9], v[196:197], v[4:5] op_sel:[0,0,1] op_sel_hi:[1,1,0] neg_lo:[0,0,1] neg_hi:[0,0,1]
	v_pk_fma_f32 v[4:5], v[8:9], v[196:197], v[4:5] op_sel:[0,0,1] op_sel_hi:[1,0,0]
	v_pk_add_f32 v[2:3], v[2:3], v[16:17]
	v_mov_b32_e32 v4, v195
	v_pk_add_f32 v[2:3], v[2:3], v[14:15]
	v_mov_b32_e32 v7, v5
	s_waitcnt lgkmcnt(0)
	v_pk_mul_f32 v[4:5], v[10:11], v[4:5] op_sel_hi:[1,0]
	v_pk_add_f32 v[2:3], v[2:3], v[6:7]
	v_pk_fma_f32 v[6:7], v[10:11], v[194:195], v[4:5] op_sel:[0,0,1] op_sel_hi:[1,1,0] neg_lo:[0,0,1] neg_hi:[0,0,1]
	v_pk_fma_f32 v[4:5], v[10:11], v[194:195], v[4:5] op_sel:[0,0,1] op_sel_hi:[1,0,0]
	v_mov_b32_e32 v4, v191
	v_mov_b32_e32 v7, v5
	v_pk_mul_f32 v[4:5], v[12:13], v[4:5] op_sel_hi:[1,0]
	v_pk_add_f32 v[2:3], v[2:3], v[6:7]
	v_pk_fma_f32 v[6:7], v[12:13], v[190:191], v[4:5] op_sel:[0,0,1] op_sel_hi:[1,1,0] neg_lo:[0,0,1] neg_hi:[0,0,1]
	v_pk_fma_f32 v[4:5], v[12:13], v[190:191], v[4:5] op_sel:[0,0,1] op_sel_hi:[1,0,0]
	v_mov_b32_e32 v7, v5
	v_pk_add_f32 v[2:3], v[2:3], v[6:7]
	v_pk_add_f32 v[2:3], v[26:27], v[2:3] neg_lo:[0,1] neg_hi:[0,1]
	buffer_store_dword v3, off, s[0:3], 0 offset:52
	buffer_store_dword v2, off, s[0:3], 0 offset:48
	s_and_saveexec_b64 s[4:5], vcc
	s_cbranch_execz .LBB112_297
; %bb.296:
	buffer_load_dword v2, off, s[0:3], 0 offset:40
	buffer_load_dword v3, off, s[0:3], 0 offset:44
	v_mov_b32_e32 v1, 0
	v_accvgpr_read_b32 v4, a24
	buffer_store_dword v1, off, s[0:3], 0 offset:40
	buffer_store_dword v1, off, s[0:3], 0 offset:44
	s_waitcnt vmcnt(2)
	ds_write_b64 v4, v[2:3]
.LBB112_297:
	s_or_b64 exec, exec, s[4:5]
	s_waitcnt lgkmcnt(0)
	; wave barrier
	s_waitcnt lgkmcnt(0)
	buffer_load_dword v1, off, s[0:3], 0 offset:52
	buffer_load_dword v29, off, s[0:3], 0 offset:60
	;; [unrolled: 1-line block ×56, first 2 shown]
	v_mov_b32_e32 v28, 0
	ds_read_b128 v[4:7], v28 offset:448
	ds_read_b128 v[8:11], v28 offset:464
	;; [unrolled: 1-line block ×6, first 2 shown]
	buffer_load_dword v241, off, s[0:3], 0 offset:264
	buffer_load_dword v242, off, s[0:3], 0 offset:268
	;; [unrolled: 1-line block ×16, first 2 shown]
	v_cmp_lt_u32_e32 vcc, 4, v0
	s_waitcnt vmcnt(62) lgkmcnt(5)
	v_mul_f32_e32 v30, v4, v1
	v_mul_f32_e32 v31, v6, v29
	s_waitcnt lgkmcnt(4)
	v_mul_f32_e32 v33, v10, v78
	s_waitcnt lgkmcnt(3)
	v_mul_f32_e32 v34, v12, v79
	v_mul_f32_e32 v35, v14, v80
	;; [unrolled: 1-line block ×3, first 2 shown]
	s_waitcnt lgkmcnt(2)
	v_mul_f32_e32 v36, v16, v82
	v_mul_f32_e32 v37, v18, v83
	s_waitcnt lgkmcnt(1)
	v_mul_f32_e32 v38, v20, v176
	v_fmac_f32_e32 v32, v9, v178
	s_waitcnt vmcnt(61)
	v_fmac_f32_e32 v31, v7, v180
	s_waitcnt vmcnt(60)
	v_fmac_f32_e32 v30, v5, v198
	v_add_f32_e32 v30, 0, v30
	v_add_f32_e32 v30, v30, v31
	;; [unrolled: 1-line block ×3, first 2 shown]
	s_waitcnt vmcnt(56)
	v_fmac_f32_e32 v33, v11, v202
	v_fmac_f32_e32 v34, v13, v201
	v_add_f32_e32 v30, v30, v33
	v_fmac_f32_e32 v35, v15, v200
	v_add_f32_e32 v30, v30, v34
	;; [unrolled: 2-line block ×3, first 2 shown]
	s_waitcnt vmcnt(52)
	v_fmac_f32_e32 v37, v19, v206
	v_add_f32_e32 v30, v30, v36
	v_add_f32_e32 v30, v30, v37
	v_fmac_f32_e32 v38, v21, v205
	s_waitcnt vmcnt(51)
	v_mul_f32_e32 v31, v22, v207
	v_add_f32_e32 v30, v30, v38
	v_fmac_f32_e32 v31, v23, v204
	v_add_f32_e32 v30, v30, v31
	s_waitcnt vmcnt(50) lgkmcnt(0)
	v_mul_f32_e32 v31, v24, v208
	v_fmac_f32_e32 v31, v25, v203
	v_add_f32_e32 v34, v30, v31
	ds_read_b128 v[30:33], v28 offset:544
	s_waitcnt vmcnt(46)
	v_mul_f32_e32 v35, v26, v210
	v_fmac_f32_e32 v35, v27, v209
	v_add_f32_e32 v38, v34, v35
	ds_read_b128 v[34:37], v28 offset:560
	s_waitcnt vmcnt(44) lgkmcnt(1)
	v_mul_f32_e32 v39, v30, v212
	v_fmac_f32_e32 v39, v31, v211
	v_add_f32_e32 v38, v38, v39
	s_waitcnt vmcnt(42)
	v_mul_f32_e32 v39, v32, v214
	v_fmac_f32_e32 v39, v33, v213
	v_add_f32_e32 v38, v38, v39
	s_waitcnt vmcnt(40) lgkmcnt(0)
	v_mul_f32_e32 v39, v34, v216
	v_fmac_f32_e32 v39, v35, v215
	v_add_f32_e32 v42, v38, v39
	ds_read_b128 v[38:41], v28 offset:576
	s_waitcnt vmcnt(38)
	v_mul_f32_e32 v43, v36, v218
	v_fmac_f32_e32 v43, v37, v217
	v_add_f32_e32 v46, v42, v43
	ds_read_b128 v[42:45], v28 offset:592
	s_waitcnt vmcnt(36) lgkmcnt(1)
	v_mul_f32_e32 v47, v38, v220
	v_fmac_f32_e32 v47, v39, v219
	v_add_f32_e32 v46, v46, v47
	s_waitcnt vmcnt(34)
	v_mul_f32_e32 v47, v40, v222
	;; [unrolled: 18-line block ×5, first 2 shown]
	v_fmac_f32_e32 v71, v65, v245
	v_add_f32_e32 v70, v70, v71
	s_waitcnt vmcnt(8) lgkmcnt(0)
	v_mul_f32_e32 v71, v66, v248
	v_fmac_f32_e32 v71, v67, v247
	s_waitcnt vmcnt(6)
	v_mul_f32_e32 v75, v68, v250
	v_add_f32_e32 v74, v70, v71
	v_fmac_f32_e32 v75, v69, v249
	ds_read_b128 v[70:73], v28 offset:704
	v_add_f32_e32 v85, v74, v75
	ds_read_b128 v[74:77], v28 offset:720
	buffer_load_dword v183, off, s[0:3], 0 offset:356
	buffer_load_dword v182, off, s[0:3], 0 offset:352
	;; [unrolled: 1-line block ×16, first 2 shown]
	v_mul_f32_e32 v1, v5, v1
	v_fma_f32 v1, v4, v198, -v1
	v_mul_f32_e32 v4, v7, v29
	v_add_f32_e32 v1, 0, v1
	v_fma_f32 v4, v6, v180, -v4
	v_add_f32_e32 v1, v1, v4
	v_mul_f32_e32 v4, v9, v81
	v_fma_f32 v4, v8, v178, -v4
	v_add_f32_e32 v1, v1, v4
	v_mul_f32_e32 v4, v11, v78
	v_fma_f32 v4, v10, v202, -v4
	v_add_f32_e32 v1, v1, v4
	v_mul_f32_e32 v4, v13, v79
	v_fma_f32 v4, v12, v201, -v4
	v_add_f32_e32 v1, v1, v4
	v_mul_f32_e32 v4, v15, v80
	v_fma_f32 v4, v14, v200, -v4
	v_add_f32_e32 v1, v1, v4
	v_mul_f32_e32 v4, v17, v82
	v_fma_f32 v4, v16, v199, -v4
	v_add_f32_e32 v1, v1, v4
	v_mul_f32_e32 v4, v19, v83
	v_fma_f32 v4, v18, v206, -v4
	v_add_f32_e32 v1, v1, v4
	v_mul_f32_e32 v4, v21, v176
	v_fma_f32 v4, v20, v205, -v4
	v_add_f32_e32 v1, v1, v4
	v_mul_f32_e32 v4, v23, v207
	v_fma_f32 v4, v22, v204, -v4
	v_add_f32_e32 v1, v1, v4
	v_mul_f32_e32 v4, v25, v208
	v_fma_f32 v4, v24, v203, -v4
	v_add_f32_e32 v1, v1, v4
	v_mul_f32_e32 v4, v27, v210
	v_fma_f32 v4, v26, v209, -v4
	v_add_f32_e32 v1, v1, v4
	v_mul_f32_e32 v4, v31, v212
	v_fma_f32 v4, v30, v211, -v4
	v_add_f32_e32 v1, v1, v4
	v_mul_f32_e32 v4, v33, v214
	v_fma_f32 v4, v32, v213, -v4
	v_add_f32_e32 v1, v1, v4
	v_mul_f32_e32 v4, v35, v216
	v_fma_f32 v4, v34, v215, -v4
	v_add_f32_e32 v1, v1, v4
	v_mul_f32_e32 v4, v37, v218
	v_fma_f32 v4, v36, v217, -v4
	v_add_f32_e32 v1, v1, v4
	v_mul_f32_e32 v4, v39, v220
	v_fma_f32 v4, v38, v219, -v4
	v_add_f32_e32 v1, v1, v4
	v_mul_f32_e32 v4, v41, v222
	v_fma_f32 v4, v40, v221, -v4
	v_add_f32_e32 v1, v1, v4
	v_mul_f32_e32 v4, v43, v224
	v_fma_f32 v4, v42, v223, -v4
	v_add_f32_e32 v1, v1, v4
	v_mul_f32_e32 v4, v45, v226
	v_fma_f32 v4, v44, v225, -v4
	v_add_f32_e32 v1, v1, v4
	v_mul_f32_e32 v4, v47, v228
	v_fma_f32 v4, v46, v227, -v4
	v_add_f32_e32 v1, v1, v4
	v_mul_f32_e32 v4, v49, v230
	v_fma_f32 v4, v48, v229, -v4
	v_add_f32_e32 v1, v1, v4
	v_mul_f32_e32 v4, v51, v232
	v_fma_f32 v4, v50, v231, -v4
	v_add_f32_e32 v1, v1, v4
	v_mul_f32_e32 v4, v53, v234
	v_fma_f32 v4, v52, v233, -v4
	v_add_f32_e32 v1, v1, v4
	v_mul_f32_e32 v4, v55, v236
	v_fma_f32 v4, v54, v235, -v4
	v_add_f32_e32 v1, v1, v4
	v_mul_f32_e32 v4, v57, v238
	v_fma_f32 v4, v56, v237, -v4
	v_add_f32_e32 v1, v1, v4
	v_mul_f32_e32 v4, v59, v240
	v_fma_f32 v4, v58, v239, -v4
	v_add_f32_e32 v1, v1, v4
	v_mul_f32_e32 v4, v61, v242
	v_fma_f32 v4, v60, v241, -v4
	v_add_f32_e32 v1, v1, v4
	v_mul_f32_e32 v4, v63, v244
	v_fma_f32 v4, v62, v243, -v4
	v_add_f32_e32 v1, v1, v4
	v_mul_f32_e32 v4, v65, v246
	v_fma_f32 v4, v64, v245, -v4
	v_add_f32_e32 v1, v1, v4
	v_mul_f32_e32 v4, v67, v248
	v_fma_f32 v4, v66, v247, -v4
	v_add_f32_e32 v1, v1, v4
	v_mul_f32_e32 v4, v69, v250
	v_fma_f32 v4, v68, v249, -v4
	v_add_f32_e32 v1, v1, v4
	s_waitcnt vmcnt(20) lgkmcnt(1)
	v_mul_f32_e32 v4, v71, v252
	v_mul_f32_e32 v177, v70, v252
	v_fma_f32 v4, v70, v251, -v4
	s_waitcnt vmcnt(9)
	v_mov_b32_e32 v20, v189
	v_fmac_f32_e32 v177, v71, v251
	v_mul_f32_e32 v179, v72, v254
	v_add_f32_e32 v176, v1, v4
	v_mul_f32_e32 v1, v73, v254
	s_waitcnt lgkmcnt(0)
	v_pk_mul_f32 v[20:21], v[76:77], v[20:21] op_sel_hi:[1,0]
	v_add_f32_e32 v177, v85, v177
	v_fmac_f32_e32 v179, v73, v253
	v_mul_f32_e32 v181, v74, v84
	v_fma_f32 v178, v72, v253, -v1
	v_mul_f32_e32 v1, v75, v84
	ds_read_b128 v[4:7], v28 offset:736
	ds_read_b128 v[8:11], v28 offset:752
	ds_read_b128 v[12:15], v28 offset:768
	ds_read_b64 v[16:17], v28 offset:784
	s_waitcnt vmcnt(8)
	v_pk_fma_f32 v[22:23], v[76:77], v[188:189], v[20:21] op_sel:[0,0,1] op_sel_hi:[1,1,0] neg_lo:[0,0,1] neg_hi:[0,0,1]
	v_pk_fma_f32 v[20:21], v[76:77], v[188:189], v[20:21] op_sel:[0,0,1] op_sel_hi:[1,0,0]
	v_fmac_f32_e32 v181, v75, v255
	v_fma_f32 v180, v74, v255, -v1
	v_pk_add_f32 v[18:19], v[176:177], v[178:179]
	v_mov_b32_e32 v20, v187
	v_pk_add_f32 v[18:19], v[18:19], v[180:181]
	v_mov_b32_e32 v23, v21
	s_waitcnt lgkmcnt(3)
	v_pk_mul_f32 v[20:21], v[4:5], v[20:21] op_sel_hi:[1,0]
	v_pk_add_f32 v[18:19], v[18:19], v[22:23]
	v_pk_fma_f32 v[22:23], v[4:5], v[186:187], v[20:21] op_sel:[0,0,1] op_sel_hi:[1,1,0] neg_lo:[0,0,1] neg_hi:[0,0,1]
	v_pk_fma_f32 v[4:5], v[4:5], v[186:187], v[20:21] op_sel:[0,0,1] op_sel_hi:[1,0,0]
	v_mov_b32_e32 v23, v5
	v_pk_add_f32 v[4:5], v[18:19], v[22:23]
	v_mov_b32_e32 v18, v185
	v_pk_mul_f32 v[18:19], v[6:7], v[18:19] op_sel_hi:[1,0]
	v_pk_fma_f32 v[20:21], v[6:7], v[184:185], v[18:19] op_sel:[0,0,1] op_sel_hi:[1,1,0] neg_lo:[0,0,1] neg_hi:[0,0,1]
	v_pk_fma_f32 v[6:7], v[6:7], v[184:185], v[18:19] op_sel:[0,0,1] op_sel_hi:[1,0,0]
	v_mov_b32_e32 v6, v183
	v_mov_b32_e32 v21, v7
	s_waitcnt lgkmcnt(2)
	v_pk_mul_f32 v[6:7], v[8:9], v[6:7] op_sel_hi:[1,0]
	v_pk_fma_f32 v[18:19], v[8:9], v[182:183], v[6:7] op_sel:[0,0,1] op_sel_hi:[1,1,0] neg_lo:[0,0,1] neg_hi:[0,0,1]
	v_pk_fma_f32 v[6:7], v[8:9], v[182:183], v[6:7] op_sel:[0,0,1] op_sel_hi:[1,0,0]
	s_waitcnt vmcnt(1)
	v_mov_b32_e32 v6, v197
	v_mov_b32_e32 v19, v7
	v_pk_mul_f32 v[6:7], v[10:11], v[6:7] op_sel_hi:[1,0]
	s_waitcnt vmcnt(0)
	v_pk_fma_f32 v[8:9], v[10:11], v[196:197], v[6:7] op_sel:[0,0,1] op_sel_hi:[1,1,0] neg_lo:[0,0,1] neg_hi:[0,0,1]
	v_pk_fma_f32 v[6:7], v[10:11], v[196:197], v[6:7] op_sel:[0,0,1] op_sel_hi:[1,0,0]
	v_pk_add_f32 v[4:5], v[4:5], v[20:21]
	v_mov_b32_e32 v6, v195
	v_pk_add_f32 v[4:5], v[4:5], v[18:19]
	v_mov_b32_e32 v9, v7
	s_waitcnt lgkmcnt(1)
	v_pk_mul_f32 v[6:7], v[12:13], v[6:7] op_sel_hi:[1,0]
	v_pk_add_f32 v[4:5], v[4:5], v[8:9]
	v_pk_fma_f32 v[8:9], v[12:13], v[194:195], v[6:7] op_sel:[0,0,1] op_sel_hi:[1,1,0] neg_lo:[0,0,1] neg_hi:[0,0,1]
	v_pk_fma_f32 v[6:7], v[12:13], v[194:195], v[6:7] op_sel:[0,0,1] op_sel_hi:[1,0,0]
	v_mov_b32_e32 v6, v193
	v_mov_b32_e32 v9, v7
	v_pk_mul_f32 v[6:7], v[14:15], v[6:7] op_sel_hi:[1,0]
	v_pk_add_f32 v[4:5], v[4:5], v[8:9]
	v_pk_fma_f32 v[8:9], v[14:15], v[192:193], v[6:7] op_sel:[0,0,1] op_sel_hi:[1,1,0] neg_lo:[0,0,1] neg_hi:[0,0,1]
	v_pk_fma_f32 v[6:7], v[14:15], v[192:193], v[6:7] op_sel:[0,0,1] op_sel_hi:[1,0,0]
	v_mov_b32_e32 v6, v191
	v_mov_b32_e32 v9, v7
	s_waitcnt lgkmcnt(0)
	v_pk_mul_f32 v[6:7], v[16:17], v[6:7] op_sel_hi:[1,0]
	v_pk_add_f32 v[4:5], v[4:5], v[8:9]
	v_pk_fma_f32 v[8:9], v[16:17], v[190:191], v[6:7] op_sel:[0,0,1] op_sel_hi:[1,1,0] neg_lo:[0,0,1] neg_hi:[0,0,1]
	v_pk_fma_f32 v[6:7], v[16:17], v[190:191], v[6:7] op_sel:[0,0,1] op_sel_hi:[1,0,0]
	v_mov_b32_e32 v9, v7
	v_pk_add_f32 v[4:5], v[4:5], v[8:9]
	v_pk_add_f32 v[2:3], v[2:3], v[4:5] neg_lo:[0,1] neg_hi:[0,1]
	buffer_store_dword v3, off, s[0:3], 0 offset:44
	buffer_store_dword v2, off, s[0:3], 0 offset:40
	s_and_saveexec_b64 s[4:5], vcc
	s_cbranch_execz .LBB112_299
; %bb.298:
	buffer_load_dword v2, off, s[0:3], 0 offset:32
	buffer_load_dword v3, off, s[0:3], 0 offset:36
	v_accvgpr_read_b32 v1, a24
	buffer_store_dword v28, off, s[0:3], 0 offset:32
	buffer_store_dword v28, off, s[0:3], 0 offset:36
	s_waitcnt vmcnt(2)
	ds_write_b64 v1, v[2:3]
.LBB112_299:
	s_or_b64 exec, exec, s[4:5]
	s_waitcnt lgkmcnt(0)
	; wave barrier
	s_waitcnt lgkmcnt(0)
	buffer_load_dword v1, off, s[0:3], 0 offset:44
	buffer_load_dword v29, off, s[0:3], 0 offset:52
	;; [unrolled: 1-line block ×26, first 2 shown]
	ds_read2_b64 v[22:25], v28 offset0:55 offset1:56
	ds_read2_b64 v[18:21], v28 offset0:57 offset1:58
	;; [unrolled: 1-line block ×6, first 2 shown]
	buffer_load_dword v209, off, s[0:3], 0 offset:136
	buffer_load_dword v210, off, s[0:3], 0 offset:140
	buffer_load_dword v211, off, s[0:3], 0 offset:144
	buffer_load_dword v212, off, s[0:3], 0 offset:148
	buffer_load_dword v213, off, s[0:3], 0 offset:152
	buffer_load_dword v214, off, s[0:3], 0 offset:156
	buffer_load_dword v215, off, s[0:3], 0 offset:160
	buffer_load_dword v216, off, s[0:3], 0 offset:164
	buffer_load_dword v217, off, s[0:3], 0 offset:168
	buffer_load_dword v218, off, s[0:3], 0 offset:172
	buffer_load_dword v219, off, s[0:3], 0 offset:176
	buffer_load_dword v220, off, s[0:3], 0 offset:180
	buffer_load_dword v221, off, s[0:3], 0 offset:184
	buffer_load_dword v222, off, s[0:3], 0 offset:188
	buffer_load_dword v223, off, s[0:3], 0 offset:192
	buffer_load_dword v224, off, s[0:3], 0 offset:196
	buffer_load_dword v225, off, s[0:3], 0 offset:200
	buffer_load_dword v226, off, s[0:3], 0 offset:204
	buffer_load_dword v227, off, s[0:3], 0 offset:208
	buffer_load_dword v228, off, s[0:3], 0 offset:212
	buffer_load_dword v229, off, s[0:3], 0 offset:216
	buffer_load_dword v230, off, s[0:3], 0 offset:220
	buffer_load_dword v231, off, s[0:3], 0 offset:224
	buffer_load_dword v232, off, s[0:3], 0 offset:228
	buffer_load_dword v233, off, s[0:3], 0 offset:232
	buffer_load_dword v234, off, s[0:3], 0 offset:236
	buffer_load_dword v235, off, s[0:3], 0 offset:240
	buffer_load_dword v236, off, s[0:3], 0 offset:244
	buffer_load_dword v237, off, s[0:3], 0 offset:248
	buffer_load_dword v238, off, s[0:3], 0 offset:252
	buffer_load_dword v239, off, s[0:3], 0 offset:256
	buffer_load_dword v240, off, s[0:3], 0 offset:260
	buffer_load_dword v241, off, s[0:3], 0 offset:264
	buffer_load_dword v242, off, s[0:3], 0 offset:268
	buffer_load_dword v243, off, s[0:3], 0 offset:272
	buffer_load_dword v244, off, s[0:3], 0 offset:276
	buffer_load_dword v245, off, s[0:3], 0 offset:280
	buffer_load_dword v246, off, s[0:3], 0 offset:284
	buffer_load_dword v247, off, s[0:3], 0 offset:288
	buffer_load_dword v248, off, s[0:3], 0 offset:292
	buffer_load_dword v249, off, s[0:3], 0 offset:296
	buffer_load_dword v250, off, s[0:3], 0 offset:300
	v_cmp_lt_u32_e32 vcc, 3, v0
	s_waitcnt vmcnt(62) lgkmcnt(5)
	v_mul_f32_e32 v30, v22, v1
	v_mul_f32_e32 v31, v24, v29
	s_waitcnt lgkmcnt(4)
	v_mul_f32_e32 v33, v20, v78
	s_waitcnt lgkmcnt(3)
	v_mul_f32_e32 v34, v14, v79
	v_mul_f32_e32 v35, v16, v80
	v_mul_f32_e32 v32, v18, v81
	s_waitcnt vmcnt(61) lgkmcnt(2)
	v_mul_f32_e32 v36, v10, v82
	s_waitcnt vmcnt(60)
	v_mul_f32_e32 v37, v12, v83
	s_waitcnt vmcnt(59) lgkmcnt(1)
	v_mul_f32_e32 v38, v6, v84
	s_waitcnt vmcnt(58)
	v_fmac_f32_e32 v32, v19, v85
	s_waitcnt vmcnt(57)
	v_fmac_f32_e32 v31, v25, v176
	;; [unrolled: 2-line block ×3, first 2 shown]
	v_add_f32_e32 v30, 0, v30
	v_add_f32_e32 v30, v30, v31
	;; [unrolled: 1-line block ×3, first 2 shown]
	s_waitcnt vmcnt(52)
	v_fmac_f32_e32 v33, v21, v200
	v_fmac_f32_e32 v34, v15, v199
	v_add_f32_e32 v30, v30, v33
	v_fmac_f32_e32 v35, v17, v198
	v_add_f32_e32 v30, v30, v34
	;; [unrolled: 2-line block ×3, first 2 shown]
	s_waitcnt vmcnt(48)
	v_fmac_f32_e32 v37, v13, v204
	v_add_f32_e32 v30, v30, v36
	v_fmac_f32_e32 v38, v7, v203
	v_add_f32_e32 v30, v30, v37
	s_waitcnt vmcnt(47)
	v_mul_f32_e32 v31, v8, v205
	v_add_f32_e32 v30, v30, v38
	v_fmac_f32_e32 v31, v9, v202
	v_add_f32_e32 v30, v30, v31
	s_waitcnt vmcnt(46) lgkmcnt(0)
	v_mul_f32_e32 v31, v2, v206
	v_fmac_f32_e32 v31, v3, v201
	v_add_f32_e32 v34, v30, v31
	ds_read2_b64 v[30:33], v28 offset0:67 offset1:68
	s_waitcnt vmcnt(42)
	v_mul_f32_e32 v35, v4, v208
	v_fmac_f32_e32 v35, v5, v207
	buffer_load_dword v251, off, s[0:3], 0 offset:304
	buffer_load_dword v252, off, s[0:3], 0 offset:308
	v_add_f32_e32 v38, v34, v35
	buffer_load_dword v253, off, s[0:3], 0 offset:312
	buffer_load_dword v254, off, s[0:3], 0 offset:316
	ds_read2_b64 v[34:37], v28 offset0:69 offset1:70
	s_waitcnt vmcnt(44) lgkmcnt(1)
	v_mul_f32_e32 v39, v30, v210
	v_fmac_f32_e32 v39, v31, v209
	v_add_f32_e32 v38, v38, v39
	s_waitcnt vmcnt(42)
	v_mul_f32_e32 v39, v32, v212
	v_fmac_f32_e32 v39, v33, v211
	v_add_f32_e32 v38, v38, v39
	s_waitcnt vmcnt(40) lgkmcnt(0)
	v_mul_f32_e32 v39, v34, v214
	v_fmac_f32_e32 v39, v35, v213
	buffer_load_dword v255, off, s[0:3], 0 offset:320
	buffer_load_dword v86, off, s[0:3], 0 offset:324
	v_add_f32_e32 v42, v38, v39
	ds_read2_b64 v[38:41], v28 offset0:71 offset1:72
	s_waitcnt vmcnt(40)
	v_mul_f32_e32 v43, v36, v216
	v_fmac_f32_e32 v43, v37, v215
	v_add_f32_e32 v46, v42, v43
	ds_read2_b64 v[42:45], v28 offset0:73 offset1:74
	s_waitcnt vmcnt(38) lgkmcnt(1)
	v_mul_f32_e32 v47, v38, v218
	v_fmac_f32_e32 v47, v39, v217
	v_add_f32_e32 v46, v46, v47
	s_waitcnt vmcnt(36)
	v_mul_f32_e32 v47, v40, v220
	v_fmac_f32_e32 v47, v41, v219
	v_add_f32_e32 v46, v46, v47
	s_waitcnt vmcnt(34) lgkmcnt(0)
	v_mul_f32_e32 v47, v42, v222
	v_fmac_f32_e32 v47, v43, v221
	v_add_f32_e32 v50, v46, v47
	ds_read2_b64 v[46:49], v28 offset0:75 offset1:76
	s_waitcnt vmcnt(32)
	v_mul_f32_e32 v51, v44, v224
	v_fmac_f32_e32 v51, v45, v223
	v_add_f32_e32 v54, v50, v51
	ds_read2_b64 v[50:53], v28 offset0:77 offset1:78
	s_waitcnt vmcnt(30) lgkmcnt(1)
	v_mul_f32_e32 v55, v46, v226
	v_fmac_f32_e32 v55, v47, v225
	v_add_f32_e32 v54, v54, v55
	s_waitcnt vmcnt(28)
	v_mul_f32_e32 v55, v48, v228
	v_fmac_f32_e32 v55, v49, v227
	v_add_f32_e32 v54, v54, v55
	s_waitcnt vmcnt(26) lgkmcnt(0)
	v_mul_f32_e32 v55, v50, v230
	v_fmac_f32_e32 v55, v51, v229
	;; [unrolled: 18-line block ×4, first 2 shown]
	s_waitcnt vmcnt(8)
	v_mul_f32_e32 v75, v68, v248
	v_add_f32_e32 v74, v70, v71
	v_fmac_f32_e32 v75, v69, v247
	ds_read2_b64 v[70:73], v28 offset0:87 offset1:88
	v_add_f32_e32 v87, v74, v75
	ds_read2_b64 v[74:77], v28 offset0:89 offset1:90
	buffer_load_dword v181, off, s[0:3], 0 offset:348
	buffer_load_dword v180, off, s[0:3], 0 offset:344
	;; [unrolled: 1-line block ×16, first 2 shown]
	v_mul_f32_e32 v1, v23, v1
	v_fma_f32 v1, v22, v178, -v1
	v_mul_f32_e32 v22, v25, v29
	v_add_f32_e32 v1, 0, v1
	v_fma_f32 v22, v24, v176, -v22
	v_mul_f32_e32 v19, v19, v81
	v_add_f32_e32 v1, v1, v22
	v_fma_f32 v18, v18, v85, -v19
	v_add_f32_e32 v1, v1, v18
	v_mul_f32_e32 v18, v21, v78
	v_fma_f32 v18, v20, v200, -v18
	v_mul_f32_e32 v15, v15, v79
	v_add_f32_e32 v1, v1, v18
	v_fma_f32 v14, v14, v199, -v15
	v_add_f32_e32 v1, v1, v14
	v_mul_f32_e32 v14, v17, v80
	;; [unrolled: 6-line block ×5, first 2 shown]
	v_fma_f32 v2, v4, v207, -v2
	v_add_f32_e32 v1, v1, v2
	v_mul_f32_e32 v2, v31, v210
	v_fma_f32 v2, v30, v209, -v2
	v_add_f32_e32 v1, v1, v2
	v_mul_f32_e32 v2, v33, v212
	;; [unrolled: 3-line block ×20, first 2 shown]
	v_fma_f32 v2, v68, v247, -v2
	v_add_f32_e32 v1, v1, v2
	s_waitcnt vmcnt(22) lgkmcnt(1)
	v_mul_f32_e32 v2, v71, v250
	v_fma_f32 v2, v70, v249, -v2
	v_mul_f32_e32 v177, v70, v250
	v_add_f32_e32 v1, v1, v2
	s_waitcnt vmcnt(20)
	v_mul_f32_e32 v2, v73, v252
	v_fmac_f32_e32 v177, v71, v249
	v_fma_f32 v2, v72, v251, -v2
	v_add_f32_e32 v87, v87, v177
	v_mul_f32_e32 v177, v72, v252
	v_add_f32_e32 v176, v1, v2
	ds_read2_b64 v[2:5], v28 offset0:91 offset1:92
	ds_read2_b64 v[6:9], v28 offset0:93 offset1:94
	;; [unrolled: 1-line block ×4, first 2 shown]
	v_fmac_f32_e32 v177, v73, v251
	s_waitcnt vmcnt(18) lgkmcnt(4)
	v_mul_f32_e32 v179, v74, v254
	v_mul_f32_e32 v1, v75, v254
	s_waitcnt vmcnt(11)
	v_mov_b32_e32 v20, v185
	v_add_f32_e32 v177, v87, v177
	v_fmac_f32_e32 v179, v75, v253
	v_mul_f32_e32 v187, v76, v86
	v_fma_f32 v178, v74, v253, -v1
	v_mul_f32_e32 v1, v77, v86
	s_waitcnt lgkmcnt(3)
	v_pk_mul_f32 v[20:21], v[2:3], v[20:21] op_sel_hi:[1,0]
	v_fmac_f32_e32 v187, v77, v255
	v_fma_f32 v186, v76, v255, -v1
	v_pk_add_f32 v[18:19], v[176:177], v[178:179]
	s_waitcnt vmcnt(10)
	v_pk_fma_f32 v[22:23], v[2:3], v[184:185], v[20:21] op_sel:[0,0,1] op_sel_hi:[1,1,0] neg_lo:[0,0,1] neg_hi:[0,0,1]
	v_pk_fma_f32 v[2:3], v[2:3], v[184:185], v[20:21] op_sel:[0,0,1] op_sel_hi:[1,0,0]
	v_pk_add_f32 v[18:19], v[18:19], v[186:187]
	v_mov_b32_e32 v23, v3
	v_pk_add_f32 v[2:3], v[18:19], v[22:23]
	v_mov_b32_e32 v18, v183
	v_pk_mul_f32 v[18:19], v[4:5], v[18:19] op_sel_hi:[1,0]
	v_pk_fma_f32 v[20:21], v[4:5], v[182:183], v[18:19] op_sel:[0,0,1] op_sel_hi:[1,1,0] neg_lo:[0,0,1] neg_hi:[0,0,1]
	v_pk_fma_f32 v[4:5], v[4:5], v[182:183], v[18:19] op_sel:[0,0,1] op_sel_hi:[1,0,0]
	v_mov_b32_e32 v4, v181
	v_mov_b32_e32 v21, v5
	s_waitcnt lgkmcnt(2)
	v_pk_mul_f32 v[4:5], v[6:7], v[4:5] op_sel_hi:[1,0]
	v_pk_fma_f32 v[18:19], v[6:7], v[180:181], v[4:5] op_sel:[0,0,1] op_sel_hi:[1,1,0] neg_lo:[0,0,1] neg_hi:[0,0,1]
	v_pk_fma_f32 v[4:5], v[6:7], v[180:181], v[4:5] op_sel:[0,0,1] op_sel_hi:[1,0,0]
	s_waitcnt vmcnt(3)
	v_mov_b32_e32 v4, v195
	v_mov_b32_e32 v19, v5
	v_pk_mul_f32 v[4:5], v[8:9], v[4:5] op_sel_hi:[1,0]
	s_waitcnt vmcnt(2)
	v_pk_fma_f32 v[6:7], v[8:9], v[194:195], v[4:5] op_sel:[0,0,1] op_sel_hi:[1,1,0] neg_lo:[0,0,1] neg_hi:[0,0,1]
	v_pk_fma_f32 v[4:5], v[8:9], v[194:195], v[4:5] op_sel:[0,0,1] op_sel_hi:[1,0,0]
	v_pk_add_f32 v[2:3], v[2:3], v[20:21]
	v_mov_b32_e32 v4, v193
	v_pk_add_f32 v[2:3], v[2:3], v[18:19]
	v_mov_b32_e32 v7, v5
	s_waitcnt lgkmcnt(1)
	v_pk_mul_f32 v[4:5], v[10:11], v[4:5] op_sel_hi:[1,0]
	v_pk_add_f32 v[2:3], v[2:3], v[6:7]
	v_pk_fma_f32 v[6:7], v[10:11], v[192:193], v[4:5] op_sel:[0,0,1] op_sel_hi:[1,1,0] neg_lo:[0,0,1] neg_hi:[0,0,1]
	v_pk_fma_f32 v[4:5], v[10:11], v[192:193], v[4:5] op_sel:[0,0,1] op_sel_hi:[1,0,0]
	v_mov_b32_e32 v4, v191
	v_mov_b32_e32 v7, v5
	v_pk_mul_f32 v[4:5], v[12:13], v[4:5] op_sel_hi:[1,0]
	v_pk_add_f32 v[2:3], v[2:3], v[6:7]
	v_pk_fma_f32 v[6:7], v[12:13], v[190:191], v[4:5] op_sel:[0,0,1] op_sel_hi:[1,1,0] neg_lo:[0,0,1] neg_hi:[0,0,1]
	v_pk_fma_f32 v[4:5], v[12:13], v[190:191], v[4:5] op_sel:[0,0,1] op_sel_hi:[1,0,0]
	v_mov_b32_e32 v4, v189
	v_mov_b32_e32 v7, v5
	s_waitcnt lgkmcnt(0)
	v_pk_mul_f32 v[4:5], v[14:15], v[4:5] op_sel_hi:[1,0]
	v_pk_add_f32 v[2:3], v[2:3], v[6:7]
	v_pk_fma_f32 v[6:7], v[14:15], v[188:189], v[4:5] op_sel:[0,0,1] op_sel_hi:[1,1,0] neg_lo:[0,0,1] neg_hi:[0,0,1]
	v_pk_fma_f32 v[4:5], v[14:15], v[188:189], v[4:5] op_sel:[0,0,1] op_sel_hi:[1,0,0]
	s_waitcnt vmcnt(1)
	v_mov_b32_e32 v4, v197
	v_mov_b32_e32 v7, v5
	v_pk_mul_f32 v[4:5], v[16:17], v[4:5] op_sel_hi:[1,0]
	v_pk_add_f32 v[2:3], v[2:3], v[6:7]
	s_waitcnt vmcnt(0)
	v_pk_fma_f32 v[6:7], v[16:17], v[196:197], v[4:5] op_sel:[0,0,1] op_sel_hi:[1,1,0] neg_lo:[0,0,1] neg_hi:[0,0,1]
	v_pk_fma_f32 v[4:5], v[16:17], v[196:197], v[4:5] op_sel:[0,0,1] op_sel_hi:[1,0,0]
	v_mov_b32_e32 v7, v5
	v_pk_add_f32 v[2:3], v[2:3], v[6:7]
	v_pk_add_f32 v[2:3], v[26:27], v[2:3] neg_lo:[0,1] neg_hi:[0,1]
	buffer_store_dword v3, off, s[0:3], 0 offset:36
	buffer_store_dword v2, off, s[0:3], 0 offset:32
	s_and_saveexec_b64 s[4:5], vcc
	s_cbranch_execz .LBB112_301
; %bb.300:
	buffer_load_dword v2, off, s[0:3], 0 offset:24
	buffer_load_dword v3, off, s[0:3], 0 offset:28
	v_mov_b32_e32 v1, 0
	v_accvgpr_read_b32 v4, a24
	buffer_store_dword v1, off, s[0:3], 0 offset:24
	buffer_store_dword v1, off, s[0:3], 0 offset:28
	s_waitcnt vmcnt(2)
	ds_write_b64 v4, v[2:3]
.LBB112_301:
	s_or_b64 exec, exec, s[4:5]
	v_mov_b32_e32 v200, 0
	s_waitcnt lgkmcnt(0)
	; wave barrier
	s_waitcnt lgkmcnt(0)
	ds_read_b128 v[14:17], v200 offset:432
	ds_read_b128 v[10:13], v200 offset:448
	;; [unrolled: 1-line block ×4, first 2 shown]
	buffer_load_dword v176, off, s[0:3], 0 offset:24
	buffer_load_dword v177, off, s[0:3], 0 offset:28
	;; [unrolled: 1-line block ×18, first 2 shown]
	v_cmp_lt_u32_e32 vcc, 2, v0
	s_waitcnt vmcnt(14) lgkmcnt(3)
	v_mul_f32_e32 v1, v14, v201
	v_fmac_f32_e32 v1, v15, v178
	s_waitcnt vmcnt(12)
	v_mul_f32_e32 v18, v16, v203
	v_add_f32_e32 v1, 0, v1
	v_fmac_f32_e32 v18, v17, v180
	v_add_f32_e32 v1, v1, v18
	s_waitcnt vmcnt(10) lgkmcnt(2)
	v_mul_f32_e32 v18, v10, v205
	v_fmac_f32_e32 v18, v11, v184
	v_add_f32_e32 v1, v1, v18
	s_waitcnt vmcnt(8)
	v_mul_f32_e32 v18, v12, v207
	v_fmac_f32_e32 v18, v13, v202
	v_add_f32_e32 v1, v1, v18
	s_waitcnt vmcnt(6) lgkmcnt(1)
	v_mul_f32_e32 v18, v6, v209
	v_fmac_f32_e32 v18, v7, v204
	v_add_f32_e32 v1, v1, v18
	s_waitcnt vmcnt(4)
	v_mul_f32_e32 v18, v8, v210
	;; [unrolled: 8-line block ×3, first 2 shown]
	v_fmac_f32_e32 v18, v5, v212
	v_add_f32_e32 v1, v1, v18
	ds_read_b128 v[18:21], v200 offset:496
	buffer_load_dword v214, off, s[0:3], 0 offset:96
	buffer_load_dword v215, off, s[0:3], 0 offset:100
	buffer_load_dword v216, off, s[0:3], 0 offset:104
	buffer_load_dword v217, off, s[0:3], 0 offset:108
	v_mul_f32_e32 v15, v15, v201
	v_fma_f32 v14, v14, v178, -v15
	v_mul_f32_e32 v15, v17, v203
	v_add_f32_e32 v14, 0, v14
	v_fma_f32 v15, v16, v180, -v15
	v_mul_f32_e32 v11, v11, v205
	v_add_f32_e32 v14, v14, v15
	;; [unrolled: 3-line block ×7, first 2 shown]
	v_fma_f32 v3, v4, v212, -v3
	v_add_f32_e32 v2, v2, v3
	s_waitcnt vmcnt(2) lgkmcnt(0)
	v_mul_f32_e32 v22, v18, v215
	v_fmac_f32_e32 v22, v19, v214
	v_add_f32_e32 v1, v1, v22
	s_waitcnt vmcnt(0)
	v_mul_f32_e32 v22, v20, v217
	v_fmac_f32_e32 v22, v21, v216
	v_add_f32_e32 v1, v1, v22
	ds_read_b128 v[22:25], v200 offset:512
	buffer_load_dword v218, off, s[0:3], 0 offset:112
	buffer_load_dword v219, off, s[0:3], 0 offset:116
	buffer_load_dword v220, off, s[0:3], 0 offset:120
	buffer_load_dword v221, off, s[0:3], 0 offset:124
	ds_read_b128 v[30:33], v200 offset:528
	buffer_load_dword v222, off, s[0:3], 0 offset:128
	buffer_load_dword v223, off, s[0:3], 0 offset:132
	buffer_load_dword v224, off, s[0:3], 0 offset:136
	buffer_load_dword v225, off, s[0:3], 0 offset:140
	;; [unrolled: 5-line block ×9, first 2 shown]
	ds_read_b128 v[62:65], v200 offset:656
	buffer_load_dword v254, off, s[0:3], 0 offset:256
	buffer_load_dword v255, off, s[0:3], 0 offset:260
	v_mul_f32_e32 v3, v19, v215
	v_fma_f32 v3, v18, v214, -v3
	v_add_f32_e32 v2, v2, v3
	v_mul_f32_e32 v3, v21, v217
	v_fma_f32 v3, v20, v216, -v3
	v_add_f32_e32 v2, v2, v3
	s_waitcnt vmcnt(36) lgkmcnt(9)
	v_mul_f32_e32 v26, v22, v219
	v_fmac_f32_e32 v26, v23, v218
	v_add_f32_e32 v1, v1, v26
	s_waitcnt vmcnt(34)
	v_mul_f32_e32 v26, v24, v221
	v_fmac_f32_e32 v26, v25, v220
	v_add_f32_e32 v1, v1, v26
	s_waitcnt vmcnt(32) lgkmcnt(8)
	v_mul_f32_e32 v26, v30, v223
	v_fmac_f32_e32 v26, v31, v222
	v_add_f32_e32 v1, v1, v26
	s_waitcnt vmcnt(30)
	v_mul_f32_e32 v26, v32, v225
	v_fmac_f32_e32 v26, v33, v224
	;; [unrolled: 8-line block ×9, first 2 shown]
	v_add_f32_e32 v1, v1, v26
	s_waitcnt vmcnt(0) lgkmcnt(0)
	v_mul_f32_e32 v26, v62, v255
	v_fmac_f32_e32 v26, v63, v254
	v_add_f32_e32 v26, v1, v26
	buffer_load_dword v1, off, s[0:3], 0 offset:264
	buffer_load_dword v78, off, s[0:3], 0 offset:268
	ds_read_b128 v[66:69], v200 offset:672
	buffer_load_dword v79, off, s[0:3], 0 offset:272
	buffer_load_dword v80, off, s[0:3], 0 offset:276
	buffer_load_dword v81, off, s[0:3], 0 offset:280
	buffer_load_dword v82, off, s[0:3], 0 offset:284
	ds_read_b128 v[70:73], v200 offset:688
	buffer_load_dword v83, off, s[0:3], 0 offset:288
	buffer_load_dword v84, off, s[0:3], 0 offset:292
	;; [unrolled: 5-line block ×3, first 2 shown]
	buffer_load_dword v89, off, s[0:3], 0 offset:312
	buffer_load_dword v90, off, s[0:3], 0 offset:316
	v_mul_f32_e32 v3, v23, v219
	v_fma_f32 v3, v22, v218, -v3
	v_add_f32_e32 v2, v2, v3
	v_mul_f32_e32 v3, v25, v221
	v_fma_f32 v3, v24, v220, -v3
	v_add_f32_e32 v2, v2, v3
	;; [unrolled: 3-line block ×19, first 2 shown]
	s_waitcnt vmcnt(12)
	v_mul_f32_e32 v27, v64, v78
	v_fmac_f32_e32 v27, v65, v1
	v_add_f32_e32 v26, v26, v27
	s_waitcnt vmcnt(10) lgkmcnt(2)
	v_mul_f32_e32 v27, v66, v80
	v_fmac_f32_e32 v27, v67, v79
	v_add_f32_e32 v26, v26, v27
	s_waitcnt vmcnt(8)
	v_mul_f32_e32 v27, v68, v82
	v_fmac_f32_e32 v27, v69, v81
	v_add_f32_e32 v26, v26, v27
	s_waitcnt vmcnt(6) lgkmcnt(1)
	v_mul_f32_e32 v27, v70, v84
	v_fmac_f32_e32 v27, v71, v83
	v_add_f32_e32 v26, v26, v27
	;; [unrolled: 8-line block ×3, first 2 shown]
	ds_read_b128 v[26:29], v200 offset:720
	buffer_load_dword v91, off, s[0:3], 0 offset:320
	buffer_load_dword v92, off, s[0:3], 0 offset:324
	;; [unrolled: 1-line block ×18, first 2 shown]
	v_mul_f32_e32 v3, v65, v78
	v_fma_f32 v1, v64, v1, -v3
	v_add_f32_e32 v1, v2, v1
	v_mul_f32_e32 v2, v67, v80
	v_fma_f32 v2, v66, v79, -v2
	v_add_f32_e32 v1, v1, v2
	;; [unrolled: 3-line block ×5, first 2 shown]
	v_mul_f32_e32 v2, v75, v88
	v_fma_f32 v2, v74, v87, -v2
	s_waitcnt vmcnt(18)
	v_mul_f32_e32 v181, v76, v90
	v_add_f32_e32 v178, v1, v2
	v_mul_f32_e32 v1, v77, v90
	v_fmac_f32_e32 v181, v77, v89
	v_fma_f32 v180, v76, v89, -v1
	ds_read_b128 v[2:5], v200 offset:736
	ds_read_b128 v[6:9], v200 offset:752
	;; [unrolled: 1-line block ×3, first 2 shown]
	ds_read_b64 v[14:15], v200 offset:784
	v_pk_add_f32 v[16:17], v[178:179], v[180:181]
	s_waitcnt vmcnt(15)
	v_mov_b32_e32 v18, v183
	s_waitcnt lgkmcnt(4)
	v_pk_mul_f32 v[18:19], v[28:29], v[18:19] op_sel_hi:[1,0]
	s_waitcnt vmcnt(14)
	v_pk_fma_f32 v[20:21], v[28:29], v[182:183], v[18:19] op_sel:[0,0,1] op_sel_hi:[1,1,0] neg_lo:[0,0,1] neg_hi:[0,0,1]
	v_pk_fma_f32 v[18:19], v[28:29], v[182:183], v[18:19] op_sel:[0,0,1] op_sel_hi:[1,0,0]
	s_waitcnt vmcnt(13)
	v_mov_b32_e32 v18, v199
	v_mov_b32_e32 v21, v19
	s_waitcnt lgkmcnt(3)
	v_pk_mul_f32 v[18:19], v[2:3], v[18:19] op_sel_hi:[1,0]
	v_mul_f32_e32 v185, v26, v92
	v_mul_f32_e32 v1, v27, v92
	v_fmac_f32_e32 v185, v27, v91
	v_fma_f32 v184, v26, v91, -v1
	v_pk_add_f32 v[16:17], v[16:17], v[184:185]
	v_pk_add_f32 v[16:17], v[16:17], v[20:21]
	s_waitcnt vmcnt(12)
	v_pk_fma_f32 v[20:21], v[2:3], v[198:199], v[18:19] op_sel:[0,0,1] op_sel_hi:[1,1,0] neg_lo:[0,0,1] neg_hi:[0,0,1]
	v_pk_fma_f32 v[2:3], v[2:3], v[198:199], v[18:19] op_sel:[0,0,1] op_sel_hi:[1,0,0]
	v_mov_b32_e32 v21, v3
	v_pk_add_f32 v[2:3], v[16:17], v[20:21]
	s_waitcnt vmcnt(11)
	v_mov_b32_e32 v16, v197
	v_pk_mul_f32 v[16:17], v[4:5], v[16:17] op_sel_hi:[1,0]
	s_waitcnt vmcnt(10)
	v_pk_fma_f32 v[18:19], v[4:5], v[196:197], v[16:17] op_sel:[0,0,1] op_sel_hi:[1,1,0] neg_lo:[0,0,1] neg_hi:[0,0,1]
	v_pk_fma_f32 v[4:5], v[4:5], v[196:197], v[16:17] op_sel:[0,0,1] op_sel_hi:[1,0,0]
	s_waitcnt vmcnt(9)
	v_mov_b32_e32 v4, v195
	v_mov_b32_e32 v19, v5
	s_waitcnt lgkmcnt(2)
	v_pk_mul_f32 v[4:5], v[6:7], v[4:5] op_sel_hi:[1,0]
	s_waitcnt vmcnt(8)
	v_pk_fma_f32 v[16:17], v[6:7], v[194:195], v[4:5] op_sel:[0,0,1] op_sel_hi:[1,1,0] neg_lo:[0,0,1] neg_hi:[0,0,1]
	v_pk_fma_f32 v[4:5], v[6:7], v[194:195], v[4:5] op_sel:[0,0,1] op_sel_hi:[1,0,0]
	s_waitcnt vmcnt(7)
	v_mov_b32_e32 v4, v193
	v_mov_b32_e32 v17, v5
	v_pk_mul_f32 v[4:5], v[8:9], v[4:5] op_sel_hi:[1,0]
	s_waitcnt vmcnt(6)
	v_pk_fma_f32 v[6:7], v[8:9], v[192:193], v[4:5] op_sel:[0,0,1] op_sel_hi:[1,1,0] neg_lo:[0,0,1] neg_hi:[0,0,1]
	v_pk_fma_f32 v[4:5], v[8:9], v[192:193], v[4:5] op_sel:[0,0,1] op_sel_hi:[1,0,0]
	v_pk_add_f32 v[2:3], v[2:3], v[18:19]
	s_waitcnt vmcnt(5)
	v_mov_b32_e32 v4, v191
	v_pk_add_f32 v[2:3], v[2:3], v[16:17]
	v_mov_b32_e32 v7, v5
	s_waitcnt lgkmcnt(1)
	v_pk_mul_f32 v[4:5], v[10:11], v[4:5] op_sel_hi:[1,0]
	v_pk_add_f32 v[2:3], v[2:3], v[6:7]
	s_waitcnt vmcnt(4)
	v_pk_fma_f32 v[6:7], v[10:11], v[190:191], v[4:5] op_sel:[0,0,1] op_sel_hi:[1,1,0] neg_lo:[0,0,1] neg_hi:[0,0,1]
	v_pk_fma_f32 v[4:5], v[10:11], v[190:191], v[4:5] op_sel:[0,0,1] op_sel_hi:[1,0,0]
	s_waitcnt vmcnt(3)
	v_mov_b32_e32 v4, v189
	v_mov_b32_e32 v7, v5
	v_pk_mul_f32 v[4:5], v[12:13], v[4:5] op_sel_hi:[1,0]
	v_pk_add_f32 v[2:3], v[2:3], v[6:7]
	s_waitcnt vmcnt(2)
	v_pk_fma_f32 v[6:7], v[12:13], v[188:189], v[4:5] op_sel:[0,0,1] op_sel_hi:[1,1,0] neg_lo:[0,0,1] neg_hi:[0,0,1]
	v_pk_fma_f32 v[4:5], v[12:13], v[188:189], v[4:5] op_sel:[0,0,1] op_sel_hi:[1,0,0]
	s_waitcnt vmcnt(1)
	v_mov_b32_e32 v4, v187
	v_mov_b32_e32 v7, v5
	s_waitcnt lgkmcnt(0)
	v_pk_mul_f32 v[4:5], v[14:15], v[4:5] op_sel_hi:[1,0]
	v_pk_add_f32 v[2:3], v[2:3], v[6:7]
	s_waitcnt vmcnt(0)
	v_pk_fma_f32 v[6:7], v[14:15], v[186:187], v[4:5] op_sel:[0,0,1] op_sel_hi:[1,1,0] neg_lo:[0,0,1] neg_hi:[0,0,1]
	v_pk_fma_f32 v[4:5], v[14:15], v[186:187], v[4:5] op_sel:[0,0,1] op_sel_hi:[1,0,0]
	v_mov_b32_e32 v7, v5
	v_pk_add_f32 v[2:3], v[2:3], v[6:7]
	v_pk_add_f32 v[2:3], v[176:177], v[2:3] neg_lo:[0,1] neg_hi:[0,1]
	buffer_store_dword v3, off, s[0:3], 0 offset:28
	buffer_store_dword v2, off, s[0:3], 0 offset:24
	s_and_saveexec_b64 s[4:5], vcc
	s_cbranch_execz .LBB112_303
; %bb.302:
	buffer_load_dword v2, off, s[0:3], 0 offset:16
	buffer_load_dword v3, off, s[0:3], 0 offset:20
	v_accvgpr_read_b32 v1, a24
	buffer_store_dword v200, off, s[0:3], 0 offset:16
	buffer_store_dword v200, off, s[0:3], 0 offset:20
	s_waitcnt vmcnt(2)
	ds_write_b64 v1, v[2:3]
.LBB112_303:
	s_or_b64 exec, exec, s[4:5]
	s_waitcnt lgkmcnt(0)
	; wave barrier
	s_waitcnt lgkmcnt(0)
	buffer_load_dword v78, off, s[0:3], 0 offset:28
	buffer_load_dword v79, off, s[0:3], 0 offset:36
	;; [unrolled: 1-line block ×32, first 2 shown]
	ds_read2_b64 v[22:25], v200 offset0:53 offset1:54
	ds_read2_b64 v[18:21], v200 offset0:55 offset1:56
	;; [unrolled: 1-line block ×6, first 2 shown]
	buffer_load_dword v215, off, s[0:3], 0 offset:144
	buffer_load_dword v216, off, s[0:3], 0 offset:148
	;; [unrolled: 1-line block ×32, first 2 shown]
	v_cmp_lt_u32_e32 vcc, 1, v0
	s_waitcnt vmcnt(62) lgkmcnt(5)
	v_mul_f32_e32 v31, v22, v78
	v_mul_f32_e32 v32, v24, v79
	s_waitcnt vmcnt(61) lgkmcnt(4)
	v_mul_f32_e32 v34, v20, v30
	s_waitcnt vmcnt(60) lgkmcnt(3)
	v_mul_f32_e32 v35, v14, v29
	s_waitcnt vmcnt(59)
	v_mul_f32_e32 v36, v16, v1
	s_waitcnt vmcnt(58)
	v_mul_f32_e32 v33, v18, v80
	s_waitcnt vmcnt(57) lgkmcnt(2)
	v_mul_f32_e32 v37, v10, v28
	s_waitcnt vmcnt(56)
	v_mul_f32_e32 v38, v12, v81
	s_waitcnt vmcnt(55) lgkmcnt(1)
	v_mul_f32_e32 v39, v6, v82
	s_waitcnt vmcnt(54)
	v_mul_f32_e32 v40, v8, v83
	s_waitcnt vmcnt(53)
	v_fmac_f32_e32 v33, v19, v84
	s_waitcnt vmcnt(52)
	v_fmac_f32_e32 v32, v25, v85
	;; [unrolled: 2-line block ×3, first 2 shown]
	v_add_f32_e32 v31, 0, v31
	v_add_f32_e32 v31, v31, v32
	;; [unrolled: 1-line block ×3, first 2 shown]
	s_waitcnt vmcnt(47)
	v_fmac_f32_e32 v34, v21, v90
	v_fmac_f32_e32 v35, v15, v89
	v_add_f32_e32 v31, v31, v34
	v_fmac_f32_e32 v36, v17, v88
	v_add_f32_e32 v31, v31, v35
	;; [unrolled: 2-line block ×3, first 2 shown]
	s_waitcnt vmcnt(43)
	v_fmac_f32_e32 v38, v13, v188
	v_add_f32_e32 v31, v31, v37
	v_fmac_f32_e32 v39, v7, v93
	v_add_f32_e32 v31, v31, v38
	;; [unrolled: 2-line block ×3, first 2 shown]
	s_waitcnt vmcnt(42) lgkmcnt(0)
	v_mul_f32_e32 v32, v2, v190
	v_add_f32_e32 v31, v31, v40
	v_fmac_f32_e32 v32, v3, v91
	v_add_f32_e32 v31, v31, v32
	s_waitcnt vmcnt(41)
	v_mul_f32_e32 v36, v4, v201
	ds_read2_b64 v[32:35], v200 offset0:65 offset1:66
	buffer_load_dword v247, off, s[0:3], 0 offset:272
	buffer_load_dword v248, off, s[0:3], 0 offset:276
	s_waitcnt vmcnt(36)
	v_fmac_f32_e32 v36, v5, v214
	v_add_f32_e32 v31, v31, v36
	ds_read2_b64 v[36:39], v200 offset0:67 offset1:68
	buffer_load_dword v249, off, s[0:3], 0 offset:280
	buffer_load_dword v250, off, s[0:3], 0 offset:284
	;; [unrolled: 1-line block ×6, first 2 shown]
	s_waitcnt lgkmcnt(1)
	v_mul_f32_e32 v40, v32, v209
	v_fmac_f32_e32 v40, v33, v208
	v_add_f32_e32 v31, v31, v40
	v_mul_f32_e32 v40, v34, v211
	v_fmac_f32_e32 v40, v35, v210
	v_add_f32_e32 v31, v31, v40
	s_waitcnt lgkmcnt(0)
	v_mul_f32_e32 v40, v36, v213
	v_fmac_f32_e32 v40, v37, v212
	buffer_load_dword v255, off, s[0:3], 0 offset:304
	buffer_load_dword v94, off, s[0:3], 0 offset:308
	v_add_f32_e32 v31, v31, v40
	buffer_load_dword v95, off, s[0:3], 0 offset:312
	buffer_load_dword v96, off, s[0:3], 0 offset:316
	;; [unrolled: 1-line block ×4, first 2 shown]
	ds_read2_b64 v[40:43], v200 offset0:69 offset1:70
	s_waitcnt vmcnt(44)
	v_mul_f32_e32 v44, v38, v216
	v_fmac_f32_e32 v44, v39, v215
	v_add_f32_e32 v31, v31, v44
	ds_read2_b64 v[44:47], v200 offset0:71 offset1:72
	s_waitcnt vmcnt(42) lgkmcnt(1)
	v_mul_f32_e32 v48, v40, v218
	v_fmac_f32_e32 v48, v41, v217
	v_add_f32_e32 v31, v31, v48
	s_waitcnt vmcnt(40)
	v_mul_f32_e32 v48, v42, v220
	v_fmac_f32_e32 v48, v43, v219
	v_add_f32_e32 v31, v31, v48
	s_waitcnt vmcnt(38) lgkmcnt(0)
	v_mul_f32_e32 v48, v44, v222
	v_fmac_f32_e32 v48, v45, v221
	v_add_f32_e32 v31, v31, v48
	ds_read2_b64 v[48:51], v200 offset0:73 offset1:74
	s_waitcnt vmcnt(36)
	v_mul_f32_e32 v52, v46, v224
	v_fmac_f32_e32 v52, v47, v223
	v_add_f32_e32 v31, v31, v52
	ds_read2_b64 v[52:55], v200 offset0:75 offset1:76
	s_waitcnt vmcnt(34) lgkmcnt(1)
	v_mul_f32_e32 v56, v48, v226
	v_fmac_f32_e32 v56, v49, v225
	v_add_f32_e32 v31, v31, v56
	s_waitcnt vmcnt(32)
	v_mul_f32_e32 v56, v50, v228
	v_fmac_f32_e32 v56, v51, v227
	v_add_f32_e32 v31, v31, v56
	s_waitcnt vmcnt(30) lgkmcnt(0)
	v_mul_f32_e32 v56, v52, v230
	v_fmac_f32_e32 v56, v53, v229
	v_add_f32_e32 v31, v31, v56
	;; [unrolled: 18-line block ×4, first 2 shown]
	ds_read2_b64 v[72:75], v200 offset0:85 offset1:86
	ds_read2_b64 v[176:179], v200 offset0:87 offset1:88
	v_mul_f32_e32 v23, v23, v78
	v_fma_f32 v22, v22, v86, -v23
	v_mul_f32_e32 v23, v25, v79
	v_add_f32_e32 v22, 0, v22
	s_waitcnt vmcnt(12)
	v_mul_f32_e32 v76, v70, v248
	v_fmac_f32_e32 v76, v71, v247
	v_add_f32_e32 v31, v31, v76
	v_fma_f32 v23, v24, v85, -v23
	s_waitcnt vmcnt(10) lgkmcnt(1)
	v_mul_f32_e32 v76, v72, v250
	v_fmac_f32_e32 v76, v73, v249
	v_add_f32_e32 v31, v31, v76
	s_waitcnt vmcnt(8)
	v_mul_f32_e32 v76, v74, v252
	v_fmac_f32_e32 v76, v75, v251
	v_add_f32_e32 v31, v31, v76
	s_waitcnt vmcnt(6) lgkmcnt(0)
	v_mul_f32_e32 v76, v176, v254
	v_fmac_f32_e32 v76, v177, v253
	v_add_f32_e32 v31, v31, v76
	buffer_load_dword v77, off, s[0:3], 0 offset:332
	buffer_load_dword v76, off, s[0:3], 0 offset:328
	ds_read2_b64 v[180:183], v200 offset0:89 offset1:90
	ds_read2_b64 v[184:187], v200 offset0:91 offset1:92
	buffer_load_dword v193, off, s[0:3], 0 offset:364
	buffer_load_dword v192, off, s[0:3], 0 offset:360
	;; [unrolled: 1-line block ×14, first 2 shown]
	v_mul_f32_e32 v19, v19, v80
	v_add_f32_e32 v22, v22, v23
	v_fma_f32 v18, v18, v84, -v19
	v_mul_f32_e32 v19, v21, v30
	v_add_f32_e32 v18, v22, v18
	v_fma_f32 v19, v20, v90, -v19
	;; [unrolled: 3-line block ×5, first 2 shown]
	v_add_f32_e32 v1, v1, v10
	v_mul_f32_e32 v10, v13, v81
	v_fma_f32 v10, v12, v188, -v10
	v_mul_f32_e32 v7, v7, v82
	v_add_f32_e32 v1, v1, v10
	v_fma_f32 v6, v6, v93, -v7
	v_add_f32_e32 v1, v1, v6
	v_mul_f32_e32 v6, v9, v83
	v_fma_f32 v6, v8, v92, -v6
	v_mul_f32_e32 v3, v3, v190
	v_add_f32_e32 v1, v1, v6
	v_fma_f32 v2, v2, v91, -v3
	v_add_f32_e32 v1, v1, v2
	v_mul_f32_e32 v2, v5, v201
	v_fma_f32 v2, v4, v214, -v2
	v_add_f32_e32 v1, v1, v2
	v_mul_f32_e32 v2, v33, v209
	;; [unrolled: 3-line block ×24, first 2 shown]
	v_fma_f32 v2, v176, v253, -v2
	v_add_f32_e32 v1, v1, v2
	s_waitcnt vmcnt(20)
	v_mul_f32_e32 v2, v179, v94
	v_mul_f32_e32 v99, v178, v94
	v_fma_f32 v2, v178, v255, -v2
	s_waitcnt vmcnt(15)
	v_mov_b32_e32 v16, v77
	v_fmac_f32_e32 v99, v179, v255
	s_waitcnt lgkmcnt(1)
	v_mul_f32_e32 v189, v180, v96
	v_add_f32_e32 v30, v1, v2
	v_mul_f32_e32 v1, v181, v96
	s_waitcnt lgkmcnt(0)
	v_pk_mul_f32 v[16:17], v[184:185], v[16:17] op_sel_hi:[1,0]
	v_add_f32_e32 v31, v31, v99
	v_fmac_f32_e32 v189, v181, v95
	v_mul_f32_e32 v191, v182, v98
	v_fma_f32 v188, v180, v95, -v1
	v_mul_f32_e32 v1, v183, v98
	s_waitcnt vmcnt(14)
	v_pk_fma_f32 v[18:19], v[184:185], v[76:77], v[16:17] op_sel:[0,0,1] op_sel_hi:[1,1,0] neg_lo:[0,0,1] neg_hi:[0,0,1]
	v_pk_fma_f32 v[16:17], v[184:185], v[76:77], v[16:17] op_sel:[0,0,1] op_sel_hi:[1,0,0]
	v_fmac_f32_e32 v191, v183, v97
	v_fma_f32 v190, v182, v97, -v1
	v_pk_add_f32 v[14:15], v[30:31], v[188:189]
	s_waitcnt vmcnt(7)
	v_mov_b32_e32 v16, v199
	ds_read2_b64 v[2:5], v200 offset0:93 offset1:94
	ds_read2_b64 v[6:9], v200 offset0:95 offset1:96
	;; [unrolled: 1-line block ×3, first 2 shown]
	v_pk_add_f32 v[14:15], v[14:15], v[190:191]
	v_mov_b32_e32 v19, v17
	v_pk_mul_f32 v[16:17], v[186:187], v[16:17] op_sel_hi:[1,0]
	v_pk_add_f32 v[14:15], v[14:15], v[18:19]
	s_waitcnt vmcnt(6)
	v_pk_fma_f32 v[18:19], v[186:187], v[198:199], v[16:17] op_sel:[0,0,1] op_sel_hi:[1,1,0] neg_lo:[0,0,1] neg_hi:[0,0,1]
	v_pk_fma_f32 v[16:17], v[186:187], v[198:199], v[16:17] op_sel:[0,0,1] op_sel_hi:[1,0,0]
	v_mov_b32_e32 v16, v197
	v_mov_b32_e32 v19, v17
	s_waitcnt lgkmcnt(2)
	v_pk_mul_f32 v[16:17], v[2:3], v[16:17] op_sel_hi:[1,0]
	v_pk_add_f32 v[14:15], v[14:15], v[18:19]
	v_pk_fma_f32 v[18:19], v[2:3], v[196:197], v[16:17] op_sel:[0,0,1] op_sel_hi:[1,1,0] neg_lo:[0,0,1] neg_hi:[0,0,1]
	v_pk_fma_f32 v[2:3], v[2:3], v[196:197], v[16:17] op_sel:[0,0,1] op_sel_hi:[1,0,0]
	v_mov_b32_e32 v19, v3
	v_pk_add_f32 v[2:3], v[14:15], v[18:19]
	v_mov_b32_e32 v14, v195
	v_pk_mul_f32 v[14:15], v[4:5], v[14:15] op_sel_hi:[1,0]
	v_pk_fma_f32 v[16:17], v[4:5], v[194:195], v[14:15] op_sel:[0,0,1] op_sel_hi:[1,1,0] neg_lo:[0,0,1] neg_hi:[0,0,1]
	v_pk_fma_f32 v[4:5], v[4:5], v[194:195], v[14:15] op_sel:[0,0,1] op_sel_hi:[1,0,0]
	v_mov_b32_e32 v4, v193
	v_mov_b32_e32 v17, v5
	s_waitcnt lgkmcnt(1)
	v_pk_mul_f32 v[4:5], v[6:7], v[4:5] op_sel_hi:[1,0]
	v_pk_fma_f32 v[14:15], v[6:7], v[192:193], v[4:5] op_sel:[0,0,1] op_sel_hi:[1,1,0] neg_lo:[0,0,1] neg_hi:[0,0,1]
	v_pk_fma_f32 v[4:5], v[6:7], v[192:193], v[4:5] op_sel:[0,0,1] op_sel_hi:[1,0,0]
	s_waitcnt vmcnt(1)
	v_mov_b32_e32 v4, v207
	v_mov_b32_e32 v15, v5
	v_pk_mul_f32 v[4:5], v[8:9], v[4:5] op_sel_hi:[1,0]
	s_waitcnt vmcnt(0)
	v_pk_fma_f32 v[6:7], v[8:9], v[206:207], v[4:5] op_sel:[0,0,1] op_sel_hi:[1,1,0] neg_lo:[0,0,1] neg_hi:[0,0,1]
	v_pk_fma_f32 v[4:5], v[8:9], v[206:207], v[4:5] op_sel:[0,0,1] op_sel_hi:[1,0,0]
	v_pk_add_f32 v[2:3], v[2:3], v[16:17]
	v_mov_b32_e32 v4, v205
	v_pk_add_f32 v[2:3], v[2:3], v[14:15]
	v_mov_b32_e32 v7, v5
	s_waitcnt lgkmcnt(0)
	v_pk_mul_f32 v[4:5], v[10:11], v[4:5] op_sel_hi:[1,0]
	v_pk_add_f32 v[2:3], v[2:3], v[6:7]
	v_pk_fma_f32 v[6:7], v[10:11], v[204:205], v[4:5] op_sel:[0,0,1] op_sel_hi:[1,1,0] neg_lo:[0,0,1] neg_hi:[0,0,1]
	v_pk_fma_f32 v[4:5], v[10:11], v[204:205], v[4:5] op_sel:[0,0,1] op_sel_hi:[1,0,0]
	v_mov_b32_e32 v4, v203
	v_mov_b32_e32 v7, v5
	v_pk_mul_f32 v[4:5], v[12:13], v[4:5] op_sel_hi:[1,0]
	v_pk_add_f32 v[2:3], v[2:3], v[6:7]
	v_pk_fma_f32 v[6:7], v[12:13], v[202:203], v[4:5] op_sel:[0,0,1] op_sel_hi:[1,1,0] neg_lo:[0,0,1] neg_hi:[0,0,1]
	v_pk_fma_f32 v[4:5], v[12:13], v[202:203], v[4:5] op_sel:[0,0,1] op_sel_hi:[1,0,0]
	v_mov_b32_e32 v7, v5
	v_pk_add_f32 v[2:3], v[2:3], v[6:7]
	v_pk_add_f32 v[2:3], v[26:27], v[2:3] neg_lo:[0,1] neg_hi:[0,1]
	buffer_store_dword v3, off, s[0:3], 0 offset:20
	buffer_store_dword v2, off, s[0:3], 0 offset:16
	s_and_saveexec_b64 s[4:5], vcc
	s_cbranch_execz .LBB112_305
; %bb.304:
	buffer_load_dword v2, off, s[0:3], 0 offset:8
	buffer_load_dword v3, off, s[0:3], 0 offset:12
	v_mov_b32_e32 v1, 0
	v_accvgpr_read_b32 v4, a24
	buffer_store_dword v1, off, s[0:3], 0 offset:8
	buffer_store_dword v1, off, s[0:3], 0 offset:12
	s_waitcnt vmcnt(2)
	ds_write_b64 v4, v[2:3]
.LBB112_305:
	s_or_b64 exec, exec, s[4:5]
	s_waitcnt lgkmcnt(0)
	; wave barrier
	s_waitcnt lgkmcnt(0)
	buffer_load_dword v33, off, s[0:3], 0 offset:20
	buffer_load_dword v32, off, s[0:3], 0 offset:28
	;; [unrolled: 1-line block ×48, first 2 shown]
	v_mov_b32_e32 v34, 0
	ds_read_b128 v[22:25], v34 offset:416
	ds_read_b128 v[18:21], v34 offset:432
	;; [unrolled: 1-line block ×6, first 2 shown]
	buffer_load_dword v225, off, s[0:3], 0 offset:200
	buffer_load_dword v226, off, s[0:3], 0 offset:204
	;; [unrolled: 1-line block ×12, first 2 shown]
	v_cmp_ne_u32_e32 vcc, 0, v0
	s_waitcnt vmcnt(59) lgkmcnt(5)
	v_mul_f32_e32 v36, v22, v33
	s_waitcnt vmcnt(58)
	v_mul_f32_e32 v37, v24, v32
	s_waitcnt vmcnt(57) lgkmcnt(4)
	v_mul_f32_e32 v39, v20, v31
	s_waitcnt vmcnt(56) lgkmcnt(3)
	v_mul_f32_e32 v40, v14, v30
	s_waitcnt vmcnt(55)
	v_mul_f32_e32 v41, v16, v28
	s_waitcnt vmcnt(54)
	v_mul_f32_e32 v38, v18, v1
	s_waitcnt vmcnt(53) lgkmcnt(2)
	v_mul_f32_e32 v42, v10, v29
	s_waitcnt vmcnt(52)
	v_mul_f32_e32 v43, v12, v35
	s_waitcnt vmcnt(51) lgkmcnt(1)
	v_mul_f32_e32 v44, v6, v76
	s_waitcnt vmcnt(50)
	v_mul_f32_e32 v45, v8, v78
	s_waitcnt vmcnt(49)
	v_fmac_f32_e32 v38, v19, v79
	s_waitcnt vmcnt(48)
	v_fmac_f32_e32 v37, v25, v80
	;; [unrolled: 2-line block ×3, first 2 shown]
	v_add_f32_e32 v36, 0, v36
	v_add_f32_e32 v36, v36, v37
	;; [unrolled: 1-line block ×3, first 2 shown]
	s_waitcnt vmcnt(43)
	v_fmac_f32_e32 v39, v21, v85
	v_fmac_f32_e32 v40, v15, v84
	v_add_f32_e32 v36, v36, v39
	v_fmac_f32_e32 v41, v17, v83
	v_add_f32_e32 v36, v36, v40
	;; [unrolled: 2-line block ×3, first 2 shown]
	s_waitcnt vmcnt(39)
	v_fmac_f32_e32 v43, v13, v89
	v_add_f32_e32 v36, v36, v42
	v_fmac_f32_e32 v44, v7, v88
	v_add_f32_e32 v36, v36, v43
	;; [unrolled: 2-line block ×3, first 2 shown]
	s_waitcnt vmcnt(38) lgkmcnt(0)
	v_mul_f32_e32 v37, v2, v90
	v_add_f32_e32 v36, v36, v45
	v_fmac_f32_e32 v37, v3, v86
	v_add_f32_e32 v40, v36, v37
	ds_read_b128 v[36:39], v34 offset:512
	s_waitcnt vmcnt(31)
	v_mul_f32_e32 v41, v4, v97
	s_waitcnt vmcnt(30)
	v_fmac_f32_e32 v41, v5, v98
	buffer_load_dword v237, off, s[0:3], 0 offset:248
	buffer_load_dword v238, off, s[0:3], 0 offset:252
	v_add_f32_e32 v44, v40, v41
	buffer_load_dword v239, off, s[0:3], 0 offset:256
	buffer_load_dword v240, off, s[0:3], 0 offset:260
	ds_read_b128 v[40:43], v34 offset:528
	s_waitcnt lgkmcnt(1)
	v_mul_f32_e32 v45, v36, v92
	v_fmac_f32_e32 v45, v37, v91
	v_add_f32_e32 v44, v44, v45
	v_mul_f32_e32 v45, v38, v94
	v_fmac_f32_e32 v45, v39, v93
	v_add_f32_e32 v44, v44, v45
	s_waitcnt lgkmcnt(0)
	v_mul_f32_e32 v45, v40, v96
	v_fmac_f32_e32 v45, v41, v95
	buffer_load_dword v241, off, s[0:3], 0 offset:264
	buffer_load_dword v242, off, s[0:3], 0 offset:268
	;; [unrolled: 1-line block ×10, first 2 shown]
	v_add_f32_e32 v48, v44, v45
	buffer_load_dword v251, off, s[0:3], 0 offset:304
	buffer_load_dword v252, off, s[0:3], 0 offset:308
	;; [unrolled: 1-line block ×6, first 2 shown]
	ds_read_b128 v[44:47], v34 offset:544
	s_waitcnt vmcnt(46)
	v_mul_f32_e32 v49, v42, v192
	v_fmac_f32_e32 v49, v43, v99
	v_add_f32_e32 v52, v48, v49
	ds_read_b128 v[48:51], v34 offset:560
	s_waitcnt vmcnt(44) lgkmcnt(1)
	v_mul_f32_e32 v53, v44, v212
	v_fmac_f32_e32 v53, v45, v194
	v_add_f32_e32 v52, v52, v53
	s_waitcnt vmcnt(42)
	v_mul_f32_e32 v53, v46, v214
	v_fmac_f32_e32 v53, v47, v213
	v_add_f32_e32 v52, v52, v53
	s_waitcnt vmcnt(40) lgkmcnt(0)
	v_mul_f32_e32 v53, v48, v216
	v_fmac_f32_e32 v53, v49, v215
	v_add_f32_e32 v56, v52, v53
	ds_read_b128 v[52:55], v34 offset:576
	s_waitcnt vmcnt(38)
	v_mul_f32_e32 v57, v50, v218
	v_fmac_f32_e32 v57, v51, v217
	v_add_f32_e32 v60, v56, v57
	ds_read_b128 v[56:59], v34 offset:592
	s_waitcnt vmcnt(36) lgkmcnt(1)
	v_mul_f32_e32 v61, v52, v220
	v_fmac_f32_e32 v61, v53, v219
	v_add_f32_e32 v60, v60, v61
	s_waitcnt vmcnt(34)
	v_mul_f32_e32 v61, v54, v222
	v_fmac_f32_e32 v61, v55, v221
	v_add_f32_e32 v60, v60, v61
	s_waitcnt vmcnt(32) lgkmcnt(0)
	v_mul_f32_e32 v61, v56, v224
	v_fmac_f32_e32 v61, v57, v223
	v_add_f32_e32 v64, v60, v61
	ds_read_b128 v[60:63], v34 offset:608
	s_waitcnt vmcnt(30)
	v_mul_f32_e32 v65, v58, v226
	v_fmac_f32_e32 v65, v59, v225
	v_add_f32_e32 v68, v64, v65
	ds_read_b128 v[64:67], v34 offset:624
	s_waitcnt vmcnt(28) lgkmcnt(1)
	v_mul_f32_e32 v69, v60, v228
	v_fmac_f32_e32 v69, v61, v227
	v_add_f32_e32 v68, v68, v69
	s_waitcnt vmcnt(26)
	v_mul_f32_e32 v69, v62, v230
	v_fmac_f32_e32 v69, v63, v229
	v_add_f32_e32 v68, v68, v69
	s_waitcnt vmcnt(24) lgkmcnt(0)
	v_mul_f32_e32 v69, v64, v232
	v_fmac_f32_e32 v69, v65, v231
	s_waitcnt vmcnt(22)
	v_mul_f32_e32 v73, v66, v234
	v_add_f32_e32 v72, v68, v69
	v_fmac_f32_e32 v73, v67, v233
	ds_read_b128 v[68:71], v34 offset:640
	v_add_f32_e32 v77, v72, v73
	ds_read_b128 v[72:75], v34 offset:656
	ds_read_b128 v[176:179], v34 offset:672
	;; [unrolled: 1-line block ×5, first 2 shown]
	buffer_load_dword v197, off, s[0:3], 0 offset:356
	buffer_load_dword v196, off, s[0:3], 0 offset:352
	;; [unrolled: 1-line block ×16, first 2 shown]
	v_mul_f32_e32 v23, v23, v33
	v_fma_f32 v22, v22, v81, -v23
	v_mul_f32_e32 v23, v25, v32
	v_add_f32_e32 v22, 0, v22
	v_fma_f32 v23, v24, v80, -v23
	v_mul_f32_e32 v1, v19, v1
	v_add_f32_e32 v22, v22, v23
	;; [unrolled: 3-line block ×4, first 2 shown]
	v_fma_f32 v14, v14, v84, -v15
	v_add_f32_e32 v1, v1, v14
	v_mul_f32_e32 v14, v17, v28
	v_fma_f32 v14, v16, v83, -v14
	v_mul_f32_e32 v11, v11, v29
	v_add_f32_e32 v1, v1, v14
	v_fma_f32 v10, v10, v82, -v11
	v_add_f32_e32 v1, v1, v10
	v_mul_f32_e32 v10, v13, v35
	v_fma_f32 v10, v12, v89, -v10
	v_mul_f32_e32 v7, v7, v76
	v_add_f32_e32 v1, v1, v10
	v_fma_f32 v6, v6, v88, -v7
	v_add_f32_e32 v1, v1, v6
	v_mul_f32_e32 v6, v9, v78
	v_fma_f32 v6, v8, v87, -v6
	v_mul_f32_e32 v3, v3, v90
	v_add_f32_e32 v1, v1, v6
	v_fma_f32 v2, v2, v86, -v3
	v_add_f32_e32 v1, v1, v2
	v_mul_f32_e32 v2, v5, v97
	v_fma_f32 v2, v4, v98, -v2
	v_add_f32_e32 v1, v1, v2
	v_mul_f32_e32 v2, v37, v92
	;; [unrolled: 3-line block ×17, first 2 shown]
	v_fma_f32 v2, v66, v233, -v2
	v_add_f32_e32 v1, v1, v2
	s_waitcnt vmcnt(36) lgkmcnt(5)
	v_mul_f32_e32 v2, v69, v236
	v_mul_f32_e32 v101, v68, v236
	v_fma_f32 v2, v68, v235, -v2
	v_fmac_f32_e32 v101, v69, v235
	v_add_f32_e32 v1, v1, v2
	s_waitcnt vmcnt(34)
	v_mul_f32_e32 v2, v71, v238
	v_add_f32_e32 v77, v77, v101
	v_mul_f32_e32 v101, v70, v238
	v_fma_f32 v2, v70, v237, -v2
	v_fmac_f32_e32 v101, v71, v237
	v_add_f32_e32 v1, v1, v2
	s_waitcnt vmcnt(32) lgkmcnt(4)
	v_mul_f32_e32 v2, v73, v240
	v_add_f32_e32 v77, v77, v101
	v_mul_f32_e32 v101, v72, v240
	v_fma_f32 v2, v72, v239, -v2
	v_fmac_f32_e32 v101, v73, v239
	v_add_f32_e32 v1, v1, v2
	s_waitcnt vmcnt(30)
	v_mul_f32_e32 v2, v75, v242
	v_add_f32_e32 v77, v77, v101
	v_mul_f32_e32 v101, v74, v242
	v_fma_f32 v2, v74, v241, -v2
	v_fmac_f32_e32 v101, v75, v241
	v_add_f32_e32 v1, v1, v2
	s_waitcnt vmcnt(28) lgkmcnt(3)
	v_mul_f32_e32 v2, v177, v244
	v_add_f32_e32 v77, v77, v101
	;; [unrolled: 14-line block ×4, first 2 shown]
	v_mul_f32_e32 v101, v184, v252
	v_fma_f32 v2, v184, v251, -v2
	s_waitcnt vmcnt(9)
	v_mov_b32_e32 v18, v203
	v_fmac_f32_e32 v101, v185, v251
	v_mul_f32_e32 v193, v186, v254
	v_add_f32_e32 v76, v1, v2
	v_mul_f32_e32 v1, v187, v254
	s_waitcnt lgkmcnt(0)
	v_pk_mul_f32 v[18:19], v[190:191], v[18:19] op_sel_hi:[1,0]
	v_add_f32_e32 v77, v77, v101
	v_fmac_f32_e32 v193, v187, v253
	v_mul_f32_e32 v195, v188, v100
	v_fma_f32 v192, v186, v253, -v1
	v_mul_f32_e32 v1, v189, v100
	ds_read_b128 v[2:5], v34 offset:736
	ds_read_b128 v[6:9], v34 offset:752
	;; [unrolled: 1-line block ×3, first 2 shown]
	ds_read_b64 v[14:15], v34 offset:784
	s_waitcnt vmcnt(8)
	v_pk_fma_f32 v[20:21], v[190:191], v[202:203], v[18:19] op_sel:[0,0,1] op_sel_hi:[1,1,0] neg_lo:[0,0,1] neg_hi:[0,0,1]
	v_pk_fma_f32 v[18:19], v[190:191], v[202:203], v[18:19] op_sel:[0,0,1] op_sel_hi:[1,0,0]
	v_fmac_f32_e32 v195, v189, v255
	v_fma_f32 v194, v188, v255, -v1
	v_pk_add_f32 v[16:17], v[76:77], v[192:193]
	v_mov_b32_e32 v18, v201
	v_pk_add_f32 v[16:17], v[16:17], v[194:195]
	v_mov_b32_e32 v21, v19
	s_waitcnt lgkmcnt(3)
	v_pk_mul_f32 v[18:19], v[2:3], v[18:19] op_sel_hi:[1,0]
	v_pk_add_f32 v[16:17], v[16:17], v[20:21]
	v_pk_fma_f32 v[20:21], v[2:3], v[200:201], v[18:19] op_sel:[0,0,1] op_sel_hi:[1,1,0] neg_lo:[0,0,1] neg_hi:[0,0,1]
	v_pk_fma_f32 v[2:3], v[2:3], v[200:201], v[18:19] op_sel:[0,0,1] op_sel_hi:[1,0,0]
	v_mov_b32_e32 v21, v3
	v_pk_add_f32 v[2:3], v[16:17], v[20:21]
	v_mov_b32_e32 v16, v199
	v_pk_mul_f32 v[16:17], v[4:5], v[16:17] op_sel_hi:[1,0]
	v_pk_fma_f32 v[18:19], v[4:5], v[198:199], v[16:17] op_sel:[0,0,1] op_sel_hi:[1,1,0] neg_lo:[0,0,1] neg_hi:[0,0,1]
	v_pk_fma_f32 v[4:5], v[4:5], v[198:199], v[16:17] op_sel:[0,0,1] op_sel_hi:[1,0,0]
	v_mov_b32_e32 v4, v197
	v_mov_b32_e32 v19, v5
	s_waitcnt lgkmcnt(2)
	v_pk_mul_f32 v[4:5], v[6:7], v[4:5] op_sel_hi:[1,0]
	v_pk_fma_f32 v[16:17], v[6:7], v[196:197], v[4:5] op_sel:[0,0,1] op_sel_hi:[1,1,0] neg_lo:[0,0,1] neg_hi:[0,0,1]
	v_pk_fma_f32 v[4:5], v[6:7], v[196:197], v[4:5] op_sel:[0,0,1] op_sel_hi:[1,0,0]
	s_waitcnt vmcnt(1)
	v_mov_b32_e32 v4, v211
	v_mov_b32_e32 v17, v5
	v_pk_mul_f32 v[4:5], v[8:9], v[4:5] op_sel_hi:[1,0]
	s_waitcnt vmcnt(0)
	v_pk_fma_f32 v[6:7], v[8:9], v[210:211], v[4:5] op_sel:[0,0,1] op_sel_hi:[1,1,0] neg_lo:[0,0,1] neg_hi:[0,0,1]
	v_pk_fma_f32 v[4:5], v[8:9], v[210:211], v[4:5] op_sel:[0,0,1] op_sel_hi:[1,0,0]
	v_pk_add_f32 v[2:3], v[2:3], v[18:19]
	v_mov_b32_e32 v4, v209
	v_pk_add_f32 v[2:3], v[2:3], v[16:17]
	v_mov_b32_e32 v7, v5
	s_waitcnt lgkmcnt(1)
	v_pk_mul_f32 v[4:5], v[10:11], v[4:5] op_sel_hi:[1,0]
	v_pk_add_f32 v[2:3], v[2:3], v[6:7]
	v_pk_fma_f32 v[6:7], v[10:11], v[208:209], v[4:5] op_sel:[0,0,1] op_sel_hi:[1,1,0] neg_lo:[0,0,1] neg_hi:[0,0,1]
	v_pk_fma_f32 v[4:5], v[10:11], v[208:209], v[4:5] op_sel:[0,0,1] op_sel_hi:[1,0,0]
	v_mov_b32_e32 v4, v207
	v_mov_b32_e32 v7, v5
	v_pk_mul_f32 v[4:5], v[12:13], v[4:5] op_sel_hi:[1,0]
	v_pk_add_f32 v[2:3], v[2:3], v[6:7]
	v_pk_fma_f32 v[6:7], v[12:13], v[206:207], v[4:5] op_sel:[0,0,1] op_sel_hi:[1,1,0] neg_lo:[0,0,1] neg_hi:[0,0,1]
	v_pk_fma_f32 v[4:5], v[12:13], v[206:207], v[4:5] op_sel:[0,0,1] op_sel_hi:[1,0,0]
	v_mov_b32_e32 v4, v205
	v_mov_b32_e32 v7, v5
	s_waitcnt lgkmcnt(0)
	v_pk_mul_f32 v[4:5], v[14:15], v[4:5] op_sel_hi:[1,0]
	v_pk_add_f32 v[2:3], v[2:3], v[6:7]
	v_pk_fma_f32 v[6:7], v[14:15], v[204:205], v[4:5] op_sel:[0,0,1] op_sel_hi:[1,1,0] neg_lo:[0,0,1] neg_hi:[0,0,1]
	v_pk_fma_f32 v[4:5], v[14:15], v[204:205], v[4:5] op_sel:[0,0,1] op_sel_hi:[1,0,0]
	v_mov_b32_e32 v7, v5
	v_pk_add_f32 v[2:3], v[2:3], v[6:7]
	v_pk_add_f32 v[2:3], v[26:27], v[2:3] neg_lo:[0,1] neg_hi:[0,1]
	buffer_store_dword v3, off, s[0:3], 0 offset:12
	buffer_store_dword v2, off, s[0:3], 0 offset:8
	s_and_saveexec_b64 s[4:5], vcc
	s_cbranch_execz .LBB112_307
; %bb.306:
	buffer_load_dword v0, off, s[0:3], 0
	buffer_load_dword v1, off, s[0:3], 0 offset:4
	v_accvgpr_read_b32 v2, a24
	buffer_store_dword v34, off, s[0:3], 0
	buffer_store_dword v34, off, s[0:3], 0 offset:4
	s_waitcnt vmcnt(2)
	ds_write_b64 v2, v[0:1]
.LBB112_307:
	s_or_b64 exec, exec, s[4:5]
	s_waitcnt lgkmcnt(0)
	; wave barrier
	s_waitcnt lgkmcnt(0)
	buffer_load_dword v40, off, s[0:3], 0 offset:12
	buffer_load_dword v39, off, s[0:3], 0 offset:20
	;; [unrolled: 1-line block ×30, first 2 shown]
	buffer_load_dword v32, off, s[0:3], 0
	buffer_load_dword v33, off, s[0:3], 0 offset:4
	ds_read2_b64 v[20:23], v34 offset0:51 offset1:52
	ds_read2_b64 v[16:19], v34 offset0:53 offset1:54
	;; [unrolled: 1-line block ×6, first 2 shown]
	buffer_load_dword v99, off, s[0:3], 0 offset:128
	buffer_load_dword v100, off, s[0:3], 0 offset:132
	buffer_load_dword v101, off, s[0:3], 0 offset:136
	buffer_load_dword v198, off, s[0:3], 0 offset:140
	buffer_load_dword v210, off, s[0:3], 0 offset:144
	buffer_load_dword v211, off, s[0:3], 0 offset:148
	buffer_load_dword v212, off, s[0:3], 0 offset:152
	buffer_load_dword v213, off, s[0:3], 0 offset:156
	buffer_load_dword v214, off, s[0:3], 0 offset:160
	buffer_load_dword v215, off, s[0:3], 0 offset:164
	buffer_load_dword v216, off, s[0:3], 0 offset:168
	buffer_load_dword v217, off, s[0:3], 0 offset:172
	buffer_load_dword v218, off, s[0:3], 0 offset:176
	buffer_load_dword v219, off, s[0:3], 0 offset:180
	buffer_load_dword v220, off, s[0:3], 0 offset:184
	buffer_load_dword v221, off, s[0:3], 0 offset:188
	buffer_load_dword v222, off, s[0:3], 0 offset:192
	buffer_load_dword v223, off, s[0:3], 0 offset:196
	buffer_load_dword v224, off, s[0:3], 0 offset:200
	buffer_load_dword v225, off, s[0:3], 0 offset:204
	buffer_load_dword v226, off, s[0:3], 0 offset:208
	buffer_load_dword v227, off, s[0:3], 0 offset:212
	buffer_load_dword v228, off, s[0:3], 0 offset:216
	buffer_load_dword v229, off, s[0:3], 0 offset:220
	buffer_load_dword v230, off, s[0:3], 0 offset:224
	buffer_load_dword v231, off, s[0:3], 0 offset:228
	s_and_b64 vcc, exec, s[16:17]
	s_waitcnt vmcnt(57) lgkmcnt(5)
	v_mul_f32_e32 v24, v20, v40
	s_waitcnt vmcnt(56)
	v_mul_f32_e32 v25, v22, v39
	s_waitcnt vmcnt(55) lgkmcnt(4)
	v_mul_f32_e32 v27, v18, v38
	s_waitcnt vmcnt(54) lgkmcnt(3)
	v_mul_f32_e32 v28, v12, v37
	s_waitcnt vmcnt(53)
	v_mul_f32_e32 v29, v14, v35
	s_waitcnt vmcnt(52)
	v_mul_f32_e32 v26, v16, v41
	s_waitcnt vmcnt(51) lgkmcnt(2)
	v_mul_f32_e32 v30, v8, v36
	s_waitcnt vmcnt(50)
	v_mul_f32_e32 v31, v10, v42
	s_waitcnt vmcnt(49) lgkmcnt(1)
	;; [unrolled: 4-line block ×3, first 2 shown]
	v_mul_f32_e32 v45, v0, v79
	s_waitcnt vmcnt(46)
	v_fmac_f32_e32 v26, v17, v80
	s_waitcnt vmcnt(45)
	v_fmac_f32_e32 v25, v23, v81
	;; [unrolled: 2-line block ×3, first 2 shown]
	v_add_f32_e32 v24, 0, v24
	v_add_f32_e32 v24, v24, v25
	;; [unrolled: 1-line block ×3, first 2 shown]
	s_waitcnt vmcnt(40)
	v_fmac_f32_e32 v27, v19, v86
	v_fmac_f32_e32 v28, v13, v85
	v_add_f32_e32 v24, v24, v27
	v_fmac_f32_e32 v29, v15, v84
	v_add_f32_e32 v24, v24, v28
	;; [unrolled: 2-line block ×3, first 2 shown]
	s_waitcnt vmcnt(36)
	v_fmac_f32_e32 v31, v11, v90
	v_add_f32_e32 v24, v24, v30
	v_fmac_f32_e32 v43, v5, v89
	v_add_f32_e32 v24, v24, v31
	;; [unrolled: 2-line block ×4, first 2 shown]
	s_waitcnt vmcnt(30)
	v_mul_f32_e32 v25, v2, v96
	v_add_f32_e32 v24, v24, v45
	s_waitcnt vmcnt(29)
	v_fmac_f32_e32 v25, v3, v97
	v_add_f32_e32 v43, v24, v25
	ds_read2_b64 v[24:27], v34 offset0:63 offset1:64
	buffer_load_dword v232, off, s[0:3], 0 offset:232
	buffer_load_dword v233, off, s[0:3], 0 offset:236
	ds_read2_b64 v[28:31], v34 offset0:65 offset1:66
	buffer_load_dword v234, off, s[0:3], 0 offset:240
	buffer_load_dword v235, off, s[0:3], 0 offset:244
	;; [unrolled: 1-line block ×4, first 2 shown]
	s_waitcnt vmcnt(34) lgkmcnt(1)
	v_mul_f32_e32 v44, v24, v98
	v_fmac_f32_e32 v44, v25, v95
	v_add_f32_e32 v43, v43, v44
	v_mul_f32_e32 v44, v26, v92
	v_fmac_f32_e32 v44, v27, v91
	v_add_f32_e32 v43, v43, v44
	s_waitcnt lgkmcnt(0)
	v_mul_f32_e32 v44, v28, v94
	v_fmac_f32_e32 v44, v29, v93
	buffer_load_dword v238, off, s[0:3], 0 offset:256
	buffer_load_dword v239, off, s[0:3], 0 offset:260
	;; [unrolled: 1-line block ×8, first 2 shown]
	v_add_f32_e32 v43, v43, v44
	buffer_load_dword v246, off, s[0:3], 0 offset:288
	buffer_load_dword v247, off, s[0:3], 0 offset:292
	;; [unrolled: 1-line block ×4, first 2 shown]
	ds_read2_b64 v[44:47], v34 offset0:67 offset1:68
	s_waitcnt vmcnt(42)
	v_mul_f32_e32 v48, v30, v100
	v_fmac_f32_e32 v48, v31, v99
	buffer_load_dword v250, off, s[0:3], 0 offset:304
	buffer_load_dword v251, off, s[0:3], 0 offset:308
	v_add_f32_e32 v43, v43, v48
	buffer_load_dword v252, off, s[0:3], 0 offset:312
	buffer_load_dword v253, off, s[0:3], 0 offset:316
	ds_read2_b64 v[48:51], v34 offset0:69 offset1:70
	s_waitcnt vmcnt(44) lgkmcnt(1)
	v_mul_f32_e32 v52, v44, v198
	v_fmac_f32_e32 v52, v45, v101
	v_add_f32_e32 v43, v43, v52
	s_waitcnt vmcnt(42)
	v_mul_f32_e32 v52, v46, v211
	v_fmac_f32_e32 v52, v47, v210
	v_add_f32_e32 v43, v43, v52
	s_waitcnt vmcnt(40) lgkmcnt(0)
	v_mul_f32_e32 v52, v48, v213
	v_fmac_f32_e32 v52, v49, v212
	buffer_load_dword v254, off, s[0:3], 0 offset:320
	buffer_load_dword v255, off, s[0:3], 0 offset:324
	v_add_f32_e32 v43, v43, v52
	ds_read2_b64 v[52:55], v34 offset0:71 offset1:72
	s_waitcnt vmcnt(40)
	v_mul_f32_e32 v56, v50, v215
	v_fmac_f32_e32 v56, v51, v214
	v_add_f32_e32 v43, v43, v56
	ds_read2_b64 v[56:59], v34 offset0:73 offset1:74
	s_waitcnt vmcnt(38) lgkmcnt(1)
	v_mul_f32_e32 v60, v52, v217
	v_fmac_f32_e32 v60, v53, v216
	v_add_f32_e32 v43, v43, v60
	s_waitcnt vmcnt(36)
	v_mul_f32_e32 v60, v54, v219
	v_fmac_f32_e32 v60, v55, v218
	v_add_f32_e32 v43, v43, v60
	s_waitcnt vmcnt(34) lgkmcnt(0)
	v_mul_f32_e32 v60, v56, v221
	v_fmac_f32_e32 v60, v57, v220
	v_add_f32_e32 v43, v43, v60
	ds_read2_b64 v[60:63], v34 offset0:75 offset1:76
	s_waitcnt vmcnt(32)
	v_mul_f32_e32 v64, v58, v223
	v_fmac_f32_e32 v64, v59, v222
	v_add_f32_e32 v43, v43, v64
	ds_read2_b64 v[64:67], v34 offset0:77 offset1:78
	s_waitcnt vmcnt(30) lgkmcnt(1)
	v_mul_f32_e32 v68, v60, v225
	v_fmac_f32_e32 v68, v61, v224
	v_add_f32_e32 v43, v43, v68
	s_waitcnt vmcnt(28)
	v_mul_f32_e32 v68, v62, v227
	v_fmac_f32_e32 v68, v63, v226
	v_add_f32_e32 v43, v43, v68
	s_waitcnt vmcnt(26) lgkmcnt(0)
	v_mul_f32_e32 v68, v64, v229
	v_fmac_f32_e32 v68, v65, v228
	s_waitcnt vmcnt(24)
	v_mul_f32_e32 v72, v66, v231
	v_add_f32_e32 v43, v43, v68
	v_fmac_f32_e32 v72, v67, v230
	ds_read2_b64 v[68:71], v34 offset0:79 offset1:80
	v_add_f32_e32 v43, v43, v72
	ds_read2_b64 v[72:75], v34 offset0:81 offset1:82
	ds_read2_b64 v[176:179], v34 offset0:83 offset1:84
	;; [unrolled: 1-line block ×5, first 2 shown]
	buffer_load_dword v193, off, s[0:3], 0 offset:348
	buffer_load_dword v192, off, s[0:3], 0 offset:344
	;; [unrolled: 1-line block ×6, first 2 shown]
	v_mul_f32_e32 v21, v21, v40
	buffer_load_dword v201, off, s[0:3], 0 offset:380
	buffer_load_dword v200, off, s[0:3], 0 offset:376
	;; [unrolled: 1-line block ×10, first 2 shown]
	v_fma_f32 v20, v20, v82, -v21
	v_mul_f32_e32 v21, v23, v39
	v_add_f32_e32 v20, 0, v20
	v_fma_f32 v21, v22, v81, -v21
	v_mul_f32_e32 v17, v17, v41
	v_add_f32_e32 v20, v20, v21
	;; [unrolled: 3-line block ×11, first 2 shown]
	v_fma_f32 v1, v2, v97, -v1
	v_add_f32_e32 v0, v0, v1
	v_mul_f32_e32 v1, v25, v98
	v_fma_f32 v1, v24, v95, -v1
	v_add_f32_e32 v0, v0, v1
	v_mul_f32_e32 v1, v27, v92
	;; [unrolled: 3-line block ×16, first 2 shown]
	v_fma_f32 v1, v66, v230, -v1
	v_add_f32_e32 v0, v0, v1
	s_waitcnt vmcnt(38) lgkmcnt(5)
	v_mul_f32_e32 v1, v69, v233
	v_fma_f32 v1, v68, v232, -v1
	v_add_f32_e32 v0, v0, v1
	s_waitcnt vmcnt(36)
	v_mul_f32_e32 v1, v71, v235
	v_mul_f32_e32 v77, v68, v233
	v_fma_f32 v1, v70, v234, -v1
	v_fmac_f32_e32 v77, v69, v232
	v_add_f32_e32 v0, v0, v1
	s_waitcnt vmcnt(34) lgkmcnt(4)
	v_mul_f32_e32 v1, v73, v237
	v_add_f32_e32 v43, v43, v77
	v_mul_f32_e32 v77, v70, v235
	v_fma_f32 v1, v72, v236, -v1
	v_fmac_f32_e32 v77, v71, v234
	v_add_f32_e32 v0, v0, v1
	s_waitcnt vmcnt(32)
	v_mul_f32_e32 v1, v75, v239
	v_add_f32_e32 v43, v43, v77
	v_mul_f32_e32 v77, v72, v237
	v_fma_f32 v1, v74, v238, -v1
	v_fmac_f32_e32 v77, v73, v236
	v_add_f32_e32 v0, v0, v1
	s_waitcnt vmcnt(30) lgkmcnt(3)
	v_mul_f32_e32 v1, v177, v241
	v_add_f32_e32 v43, v43, v77
	v_mul_f32_e32 v77, v74, v239
	v_fma_f32 v1, v176, v240, -v1
	v_fmac_f32_e32 v77, v75, v238
	v_add_f32_e32 v0, v0, v1
	s_waitcnt vmcnt(28)
	v_mul_f32_e32 v1, v179, v243
	v_add_f32_e32 v43, v43, v77
	;; [unrolled: 14-line block ×4, first 2 shown]
	v_mul_f32_e32 v77, v184, v249
	v_fma_f32 v1, v186, v250, -v1
	v_fmac_f32_e32 v77, v185, v248
	v_add_f32_e32 v42, v0, v1
	s_waitcnt vmcnt(18) lgkmcnt(0)
	v_mul_f32_e32 v0, v189, v253
	v_add_f32_e32 v43, v43, v77
	v_mul_f32_e32 v77, v186, v251
	v_fma_f32 v76, v188, v252, -v0
	s_waitcnt vmcnt(16)
	v_mul_f32_e32 v0, v191, v255
	v_fmac_f32_e32 v77, v187, v250
	v_fma_f32 v198, v190, v254, -v0
	ds_read2_b64 v[0:3], v34 offset0:91 offset1:92
	ds_read2_b64 v[4:7], v34 offset0:93 offset1:94
	;; [unrolled: 1-line block ×4, first 2 shown]
	v_add_f32_e32 v43, v43, v77
	v_mul_f32_e32 v77, v188, v253
	s_waitcnt vmcnt(11)
	v_mov_b32_e32 v18, v197
	v_fmac_f32_e32 v77, v189, v252
	v_mul_f32_e32 v199, v190, v255
	s_waitcnt lgkmcnt(3)
	v_pk_mul_f32 v[18:19], v[0:1], v[18:19] op_sel_hi:[1,0]
	v_fmac_f32_e32 v199, v191, v254
	v_pk_add_f32 v[16:17], v[42:43], v[76:77]
	s_waitcnt vmcnt(10)
	v_pk_fma_f32 v[20:21], v[0:1], v[196:197], v[18:19] op_sel:[0,0,1] op_sel_hi:[1,1,0] neg_lo:[0,0,1] neg_hi:[0,0,1]
	v_pk_fma_f32 v[0:1], v[0:1], v[196:197], v[18:19] op_sel:[0,0,1] op_sel_hi:[1,0,0]
	v_pk_add_f32 v[16:17], v[16:17], v[198:199]
	v_mov_b32_e32 v21, v1
	v_pk_add_f32 v[0:1], v[16:17], v[20:21]
	v_mov_b32_e32 v16, v195
	v_pk_mul_f32 v[16:17], v[2:3], v[16:17] op_sel_hi:[1,0]
	v_pk_fma_f32 v[18:19], v[2:3], v[194:195], v[16:17] op_sel:[0,0,1] op_sel_hi:[1,1,0] neg_lo:[0,0,1] neg_hi:[0,0,1]
	v_pk_fma_f32 v[2:3], v[2:3], v[194:195], v[16:17] op_sel:[0,0,1] op_sel_hi:[1,0,0]
	v_mov_b32_e32 v2, v193
	v_mov_b32_e32 v19, v3
	s_waitcnt lgkmcnt(2)
	v_pk_mul_f32 v[2:3], v[4:5], v[2:3] op_sel_hi:[1,0]
	v_pk_fma_f32 v[16:17], v[4:5], v[192:193], v[2:3] op_sel:[0,0,1] op_sel_hi:[1,1,0] neg_lo:[0,0,1] neg_hi:[0,0,1]
	v_pk_fma_f32 v[2:3], v[4:5], v[192:193], v[2:3] op_sel:[0,0,1] op_sel_hi:[1,0,0]
	s_waitcnt vmcnt(3)
	v_mov_b32_e32 v2, v207
	v_mov_b32_e32 v17, v3
	v_pk_mul_f32 v[2:3], v[6:7], v[2:3] op_sel_hi:[1,0]
	s_waitcnt vmcnt(2)
	v_pk_fma_f32 v[4:5], v[6:7], v[206:207], v[2:3] op_sel:[0,0,1] op_sel_hi:[1,1,0] neg_lo:[0,0,1] neg_hi:[0,0,1]
	v_pk_fma_f32 v[2:3], v[6:7], v[206:207], v[2:3] op_sel:[0,0,1] op_sel_hi:[1,0,0]
	v_pk_add_f32 v[0:1], v[0:1], v[18:19]
	v_mov_b32_e32 v2, v205
	v_pk_add_f32 v[0:1], v[0:1], v[16:17]
	v_mov_b32_e32 v5, v3
	s_waitcnt lgkmcnt(1)
	v_pk_mul_f32 v[2:3], v[8:9], v[2:3] op_sel_hi:[1,0]
	v_pk_add_f32 v[0:1], v[0:1], v[4:5]
	v_pk_fma_f32 v[4:5], v[8:9], v[204:205], v[2:3] op_sel:[0,0,1] op_sel_hi:[1,1,0] neg_lo:[0,0,1] neg_hi:[0,0,1]
	v_pk_fma_f32 v[2:3], v[8:9], v[204:205], v[2:3] op_sel:[0,0,1] op_sel_hi:[1,0,0]
	v_mov_b32_e32 v2, v203
	v_mov_b32_e32 v5, v3
	v_pk_mul_f32 v[2:3], v[10:11], v[2:3] op_sel_hi:[1,0]
	v_pk_add_f32 v[0:1], v[0:1], v[4:5]
	v_pk_fma_f32 v[4:5], v[10:11], v[202:203], v[2:3] op_sel:[0,0,1] op_sel_hi:[1,1,0] neg_lo:[0,0,1] neg_hi:[0,0,1]
	v_pk_fma_f32 v[2:3], v[10:11], v[202:203], v[2:3] op_sel:[0,0,1] op_sel_hi:[1,0,0]
	v_mov_b32_e32 v2, v201
	v_mov_b32_e32 v5, v3
	s_waitcnt lgkmcnt(0)
	v_pk_mul_f32 v[2:3], v[12:13], v[2:3] op_sel_hi:[1,0]
	v_pk_add_f32 v[0:1], v[0:1], v[4:5]
	v_pk_fma_f32 v[4:5], v[12:13], v[200:201], v[2:3] op_sel:[0,0,1] op_sel_hi:[1,1,0] neg_lo:[0,0,1] neg_hi:[0,0,1]
	v_pk_fma_f32 v[2:3], v[12:13], v[200:201], v[2:3] op_sel:[0,0,1] op_sel_hi:[1,0,0]
	s_waitcnt vmcnt(1)
	v_mov_b32_e32 v2, v209
	v_mov_b32_e32 v5, v3
	v_pk_mul_f32 v[2:3], v[14:15], v[2:3] op_sel_hi:[1,0]
	v_pk_add_f32 v[0:1], v[0:1], v[4:5]
	s_waitcnt vmcnt(0)
	v_pk_fma_f32 v[4:5], v[14:15], v[208:209], v[2:3] op_sel:[0,0,1] op_sel_hi:[1,1,0] neg_lo:[0,0,1] neg_hi:[0,0,1]
	v_pk_fma_f32 v[2:3], v[14:15], v[208:209], v[2:3] op_sel:[0,0,1] op_sel_hi:[1,0,0]
	v_mov_b32_e32 v5, v3
	v_pk_add_f32 v[0:1], v[0:1], v[4:5]
	v_pk_add_f32 v[0:1], v[32:33], v[0:1] neg_lo:[0,1] neg_hi:[0,1]
	buffer_store_dword v1, off, s[0:3], 0 offset:4
	buffer_store_dword v0, off, s[0:3], 0
	s_cbranch_vccz .LBB112_405
; %bb.308:
	v_pk_mov_b32 v[0:1], s[10:11], s[10:11] op_sel:[0,1]
	flat_load_dword v0, v[0:1] offset:188
	s_waitcnt vmcnt(0) lgkmcnt(0)
	v_add_u32_e32 v0, -1, v0
	v_cmp_ne_u32_e32 vcc, 47, v0
	s_and_saveexec_b64 s[4:5], vcc
	s_cbranch_execz .LBB112_310
; %bb.309:
	v_mov_b32_e32 v1, 0
	v_lshl_add_u32 v0, v0, 3, v1
	buffer_load_dword v1, v0, s[0:3], 0 offen
	buffer_load_dword v2, v0, s[0:3], 0 offen offset:4
	buffer_load_dword v3, off, s[0:3], 0 offset:376
	buffer_load_dword v4, off, s[0:3], 0 offset:380
	s_waitcnt vmcnt(3)
	buffer_store_dword v1, off, s[0:3], 0 offset:376
	s_waitcnt vmcnt(3)
	buffer_store_dword v2, off, s[0:3], 0 offset:380
	s_waitcnt vmcnt(3)
	buffer_store_dword v3, v0, s[0:3], 0 offen
	s_waitcnt vmcnt(3)
	buffer_store_dword v4, v0, s[0:3], 0 offen offset:4
.LBB112_310:
	s_or_b64 exec, exec, s[4:5]
	v_pk_mov_b32 v[0:1], s[10:11], s[10:11] op_sel:[0,1]
	flat_load_dword v0, v[0:1] offset:184
	s_waitcnt vmcnt(0) lgkmcnt(0)
	v_add_u32_e32 v0, -1, v0
	v_cmp_ne_u32_e32 vcc, 46, v0
	s_and_saveexec_b64 s[4:5], vcc
	s_cbranch_execz .LBB112_312
; %bb.311:
	v_mov_b32_e32 v1, 0
	v_lshl_add_u32 v0, v0, 3, v1
	buffer_load_dword v1, v0, s[0:3], 0 offen
	buffer_load_dword v2, v0, s[0:3], 0 offen offset:4
	buffer_load_dword v3, off, s[0:3], 0 offset:372
	buffer_load_dword v4, off, s[0:3], 0 offset:368
	s_waitcnt vmcnt(3)
	buffer_store_dword v1, off, s[0:3], 0 offset:368
	s_waitcnt vmcnt(3)
	buffer_store_dword v2, off, s[0:3], 0 offset:372
	s_waitcnt vmcnt(3)
	buffer_store_dword v3, v0, s[0:3], 0 offen offset:4
	s_waitcnt vmcnt(3)
	buffer_store_dword v4, v0, s[0:3], 0 offen
.LBB112_312:
	s_or_b64 exec, exec, s[4:5]
	v_pk_mov_b32 v[0:1], s[10:11], s[10:11] op_sel:[0,1]
	flat_load_dword v0, v[0:1] offset:180
	s_waitcnt vmcnt(0) lgkmcnt(0)
	v_add_u32_e32 v0, -1, v0
	v_cmp_ne_u32_e32 vcc, 45, v0
	s_and_saveexec_b64 s[4:5], vcc
	s_cbranch_execz .LBB112_314
; %bb.313:
	v_mov_b32_e32 v1, 0
	v_lshl_add_u32 v0, v0, 3, v1
	buffer_load_dword v1, v0, s[0:3], 0 offen
	buffer_load_dword v2, v0, s[0:3], 0 offen offset:4
	buffer_load_dword v3, off, s[0:3], 0 offset:360
	buffer_load_dword v4, off, s[0:3], 0 offset:364
	s_waitcnt vmcnt(3)
	buffer_store_dword v1, off, s[0:3], 0 offset:360
	s_waitcnt vmcnt(3)
	buffer_store_dword v2, off, s[0:3], 0 offset:364
	s_waitcnt vmcnt(3)
	buffer_store_dword v3, v0, s[0:3], 0 offen
	s_waitcnt vmcnt(3)
	buffer_store_dword v4, v0, s[0:3], 0 offen offset:4
.LBB112_314:
	s_or_b64 exec, exec, s[4:5]
	v_pk_mov_b32 v[0:1], s[10:11], s[10:11] op_sel:[0,1]
	flat_load_dword v0, v[0:1] offset:176
	s_waitcnt vmcnt(0) lgkmcnt(0)
	v_add_u32_e32 v0, -1, v0
	v_cmp_ne_u32_e32 vcc, 44, v0
	s_and_saveexec_b64 s[4:5], vcc
	s_cbranch_execz .LBB112_316
; %bb.315:
	v_mov_b32_e32 v1, 0
	v_lshl_add_u32 v0, v0, 3, v1
	buffer_load_dword v1, v0, s[0:3], 0 offen
	buffer_load_dword v2, v0, s[0:3], 0 offen offset:4
	buffer_load_dword v3, off, s[0:3], 0 offset:356
	buffer_load_dword v4, off, s[0:3], 0 offset:352
	s_waitcnt vmcnt(3)
	buffer_store_dword v1, off, s[0:3], 0 offset:352
	s_waitcnt vmcnt(3)
	buffer_store_dword v2, off, s[0:3], 0 offset:356
	s_waitcnt vmcnt(3)
	buffer_store_dword v3, v0, s[0:3], 0 offen offset:4
	s_waitcnt vmcnt(3)
	buffer_store_dword v4, v0, s[0:3], 0 offen
.LBB112_316:
	s_or_b64 exec, exec, s[4:5]
	;; [unrolled: 48-line block ×23, first 2 shown]
	v_pk_mov_b32 v[0:1], s[10:11], s[10:11] op_sel:[0,1]
	flat_load_dword v0, v[0:1] offset:4
	s_waitcnt vmcnt(0) lgkmcnt(0)
	v_add_u32_e32 v0, -1, v0
	v_cmp_ne_u32_e32 vcc, 1, v0
	s_and_saveexec_b64 s[4:5], vcc
	s_cbranch_execz .LBB112_402
; %bb.401:
	v_mov_b32_e32 v1, 0
	v_lshl_add_u32 v0, v0, 3, v1
	buffer_load_dword v1, v0, s[0:3], 0 offen
	buffer_load_dword v2, v0, s[0:3], 0 offen offset:4
	buffer_load_dword v3, off, s[0:3], 0 offset:8
	buffer_load_dword v4, off, s[0:3], 0 offset:12
	s_waitcnt vmcnt(3)
	buffer_store_dword v1, off, s[0:3], 0 offset:8
	s_waitcnt vmcnt(3)
	buffer_store_dword v2, off, s[0:3], 0 offset:12
	s_waitcnt vmcnt(3)
	buffer_store_dword v3, v0, s[0:3], 0 offen
	s_waitcnt vmcnt(3)
	buffer_store_dword v4, v0, s[0:3], 0 offen offset:4
.LBB112_402:
	s_or_b64 exec, exec, s[4:5]
	v_pk_mov_b32 v[0:1], s[10:11], s[10:11] op_sel:[0,1]
	flat_load_dword v2, v[0:1]
	s_nop 0
	buffer_load_dword v0, off, s[0:3], 0
	buffer_load_dword v1, off, s[0:3], 0 offset:4
	s_waitcnt vmcnt(0) lgkmcnt(0)
	v_add_u32_e32 v2, -1, v2
	v_cmp_ne_u32_e32 vcc, 0, v2
	s_and_saveexec_b64 s[4:5], vcc
	s_cbranch_execz .LBB112_404
; %bb.403:
	v_mov_b32_e32 v3, 0
	v_lshl_add_u32 v2, v2, 3, v3
	buffer_load_dword v3, v2, s[0:3], 0 offen offset:4
	buffer_load_dword v4, v2, s[0:3], 0 offen
	s_waitcnt vmcnt(1)
	buffer_store_dword v3, off, s[0:3], 0 offset:4
	s_waitcnt vmcnt(1)
	buffer_store_dword v4, off, s[0:3], 0
	buffer_store_dword v1, v2, s[0:3], 0 offen offset:4
	buffer_store_dword v0, v2, s[0:3], 0 offen
	buffer_load_dword v0, off, s[0:3], 0
	s_nop 0
	buffer_load_dword v1, off, s[0:3], 0 offset:4
.LBB112_404:
	s_or_b64 exec, exec, s[4:5]
.LBB112_405:
	buffer_load_dword v2, off, s[0:3], 0 offset:8
	buffer_load_dword v3, off, s[0:3], 0 offset:12
	;; [unrolled: 1-line block ×96, first 2 shown]
	s_waitcnt vmcnt(62)
	global_store_dwordx2 v[166:167], v[0:1], off
	global_store_dwordx2 v[168:169], v[2:3], off
	v_accvgpr_read_b32 v0, a0
	v_accvgpr_read_b32 v1, a1
	global_store_dwordx2 v[0:1], v[4:5], off
	v_accvgpr_read_b32 v0, a2
	v_accvgpr_read_b32 v1, a3
	;; [unrolled: 3-line block ×12, first 2 shown]
	global_store_dwordx2 v[0:1], v[26:27], off
	global_store_dwordx2 v[102:103], v[28:29], off
	global_store_dwordx2 v[104:105], v[30:31], off
	global_store_dwordx2 v[106:107], v[32:33], off
	global_store_dwordx2 v[108:109], v[34:35], off
	s_waitcnt vmcnt(62)
	global_store_dwordx2 v[110:111], v[36:37], off
	global_store_dwordx2 v[112:113], v[38:39], off
	;; [unrolled: 1-line block ×9, first 2 shown]
	s_waitcnt vmcnt(62)
	global_store_dwordx2 v[128:129], v[54:55], off
	global_store_dwordx2 v[130:131], v[56:57], off
	;; [unrolled: 1-line block ×4, first 2 shown]
	s_waitcnt vmcnt(62)
	global_store_dwordx2 v[136:137], v[62:63], off
	global_store_dwordx2 v[138:139], v[64:65], off
	s_waitcnt vmcnt(62)
	global_store_dwordx2 v[140:141], v[66:67], off
	s_waitcnt vmcnt(62)
	;; [unrolled: 2-line block ×16, first 2 shown]
	global_store_dwordx2 v[174:175], v[194:195], off
	s_endpgm
	.section	.rodata,"a",@progbits
	.p2align	6, 0x0
	.amdhsa_kernel _ZN9rocsolver6v33100L18getri_kernel_smallILi49E19rocblas_complex_numIfEPKPS3_EEvT1_iilPiilS8_bb
		.amdhsa_group_segment_fixed_size 792
		.amdhsa_private_segment_fixed_size 400
		.amdhsa_kernarg_size 60
		.amdhsa_user_sgpr_count 8
		.amdhsa_user_sgpr_private_segment_buffer 1
		.amdhsa_user_sgpr_dispatch_ptr 0
		.amdhsa_user_sgpr_queue_ptr 0
		.amdhsa_user_sgpr_kernarg_segment_ptr 1
		.amdhsa_user_sgpr_dispatch_id 0
		.amdhsa_user_sgpr_flat_scratch_init 1
		.amdhsa_user_sgpr_kernarg_preload_length 0
		.amdhsa_user_sgpr_kernarg_preload_offset 0
		.amdhsa_user_sgpr_private_segment_size 0
		.amdhsa_uses_dynamic_stack 0
		.amdhsa_system_sgpr_private_segment_wavefront_offset 1
		.amdhsa_system_sgpr_workgroup_id_x 1
		.amdhsa_system_sgpr_workgroup_id_y 0
		.amdhsa_system_sgpr_workgroup_id_z 0
		.amdhsa_system_sgpr_workgroup_info 0
		.amdhsa_system_vgpr_workitem_id 0
		.amdhsa_next_free_vgpr 281
		.amdhsa_next_free_sgpr 22
		.amdhsa_accum_offset 256
		.amdhsa_reserve_vcc 1
		.amdhsa_reserve_flat_scratch 1
		.amdhsa_float_round_mode_32 0
		.amdhsa_float_round_mode_16_64 0
		.amdhsa_float_denorm_mode_32 3
		.amdhsa_float_denorm_mode_16_64 3
		.amdhsa_dx10_clamp 1
		.amdhsa_ieee_mode 1
		.amdhsa_fp16_overflow 0
		.amdhsa_tg_split 0
		.amdhsa_exception_fp_ieee_invalid_op 0
		.amdhsa_exception_fp_denorm_src 0
		.amdhsa_exception_fp_ieee_div_zero 0
		.amdhsa_exception_fp_ieee_overflow 0
		.amdhsa_exception_fp_ieee_underflow 0
		.amdhsa_exception_fp_ieee_inexact 0
		.amdhsa_exception_int_div_zero 0
	.end_amdhsa_kernel
	.section	.text._ZN9rocsolver6v33100L18getri_kernel_smallILi49E19rocblas_complex_numIfEPKPS3_EEvT1_iilPiilS8_bb,"axG",@progbits,_ZN9rocsolver6v33100L18getri_kernel_smallILi49E19rocblas_complex_numIfEPKPS3_EEvT1_iilPiilS8_bb,comdat
.Lfunc_end112:
	.size	_ZN9rocsolver6v33100L18getri_kernel_smallILi49E19rocblas_complex_numIfEPKPS3_EEvT1_iilPiilS8_bb, .Lfunc_end112-_ZN9rocsolver6v33100L18getri_kernel_smallILi49E19rocblas_complex_numIfEPKPS3_EEvT1_iilPiilS8_bb
                                        ; -- End function
	.section	.AMDGPU.csdata,"",@progbits
; Kernel info:
; codeLenInByte = 95760
; NumSgprs: 28
; NumVgprs: 256
; NumAgprs: 25
; TotalNumVgprs: 281
; ScratchSize: 400
; MemoryBound: 0
; FloatMode: 240
; IeeeMode: 1
; LDSByteSize: 792 bytes/workgroup (compile time only)
; SGPRBlocks: 3
; VGPRBlocks: 35
; NumSGPRsForWavesPerEU: 28
; NumVGPRsForWavesPerEU: 281
; AccumOffset: 256
; Occupancy: 1
; WaveLimiterHint : 1
; COMPUTE_PGM_RSRC2:SCRATCH_EN: 1
; COMPUTE_PGM_RSRC2:USER_SGPR: 8
; COMPUTE_PGM_RSRC2:TRAP_HANDLER: 0
; COMPUTE_PGM_RSRC2:TGID_X_EN: 1
; COMPUTE_PGM_RSRC2:TGID_Y_EN: 0
; COMPUTE_PGM_RSRC2:TGID_Z_EN: 0
; COMPUTE_PGM_RSRC2:TIDIG_COMP_CNT: 0
; COMPUTE_PGM_RSRC3_GFX90A:ACCUM_OFFSET: 63
; COMPUTE_PGM_RSRC3_GFX90A:TG_SPLIT: 0
	.section	.text._ZN9rocsolver6v33100L18getri_kernel_smallILi50E19rocblas_complex_numIfEPKPS3_EEvT1_iilPiilS8_bb,"axG",@progbits,_ZN9rocsolver6v33100L18getri_kernel_smallILi50E19rocblas_complex_numIfEPKPS3_EEvT1_iilPiilS8_bb,comdat
	.globl	_ZN9rocsolver6v33100L18getri_kernel_smallILi50E19rocblas_complex_numIfEPKPS3_EEvT1_iilPiilS8_bb ; -- Begin function _ZN9rocsolver6v33100L18getri_kernel_smallILi50E19rocblas_complex_numIfEPKPS3_EEvT1_iilPiilS8_bb
	.p2align	8
	.type	_ZN9rocsolver6v33100L18getri_kernel_smallILi50E19rocblas_complex_numIfEPKPS3_EEvT1_iilPiilS8_bb,@function
_ZN9rocsolver6v33100L18getri_kernel_smallILi50E19rocblas_complex_numIfEPKPS3_EEvT1_iilPiilS8_bb: ; @_ZN9rocsolver6v33100L18getri_kernel_smallILi50E19rocblas_complex_numIfEPKPS3_EEvT1_iilPiilS8_bb
; %bb.0:
	s_add_u32 flat_scratch_lo, s6, s9
	s_addc_u32 flat_scratch_hi, s7, 0
	s_add_u32 s0, s0, s9
	s_addc_u32 s1, s1, 0
	v_cmp_gt_u32_e32 vcc, 50, v0
	s_and_saveexec_b64 s[6:7], vcc
	s_cbranch_execz .LBB113_214
; %bb.1:
	s_load_dword s20, s[4:5], 0x38
	s_load_dwordx2 s[6:7], s[4:5], 0x0
	s_load_dwordx4 s[12:15], s[4:5], 0x28
	s_waitcnt lgkmcnt(0)
	s_bitcmp1_b32 s20, 8
	s_cselect_b64 s[16:17], -1, 0
	s_ashr_i32 s9, s8, 31
	s_lshl_b64 s[10:11], s[8:9], 3
	s_add_u32 s6, s6, s10
	s_addc_u32 s7, s7, s11
	s_load_dwordx2 s[18:19], s[6:7], 0x0
	s_bfe_u32 s6, s20, 0x10008
	s_cmp_eq_u32 s6, 0
                                        ; implicit-def: $sgpr10_sgpr11
	s_cbranch_scc1 .LBB113_3
; %bb.2:
	s_load_dword s6, s[4:5], 0x20
	s_load_dwordx2 s[10:11], s[4:5], 0x18
	s_mul_i32 s7, s8, s13
	s_mul_hi_u32 s13, s8, s12
	s_add_i32 s13, s13, s7
	s_mul_i32 s21, s9, s12
	s_add_i32 s13, s13, s21
	s_mul_i32 s12, s8, s12
	s_waitcnt lgkmcnt(0)
	s_ashr_i32 s7, s6, 31
	s_lshl_b64 s[12:13], s[12:13], 2
	s_add_u32 s10, s10, s12
	s_addc_u32 s11, s11, s13
	s_lshl_b64 s[6:7], s[6:7], 2
	s_add_u32 s10, s10, s6
	s_addc_u32 s11, s11, s7
.LBB113_3:
	s_load_dwordx2 s[6:7], s[4:5], 0x8
	v_lshlrev_b32_e32 v6, 3, v0
	s_waitcnt lgkmcnt(0)
	s_ashr_i32 s5, s6, 31
	s_mov_b32 s4, s6
	s_lshl_b64 s[4:5], s[4:5], 3
	s_add_u32 s4, s18, s4
	s_addc_u32 s5, s19, s5
	s_add_i32 s6, s7, s7
	v_add_u32_e32 v2, s6, v0
	v_ashrrev_i32_e32 v3, 31, v2
	v_lshlrev_b64 v[4:5], 3, v[2:3]
	v_add_u32_e32 v2, s7, v2
	v_mov_b32_e32 v1, s5
	v_add_co_u32_e32 v12, vcc, s4, v4
	v_ashrrev_i32_e32 v3, 31, v2
	v_addc_co_u32_e32 v13, vcc, v1, v5, vcc
	v_lshlrev_b64 v[4:5], 3, v[2:3]
	v_add_u32_e32 v2, s7, v2
	v_add_co_u32_e32 v14, vcc, s4, v4
	v_ashrrev_i32_e32 v3, 31, v2
	v_addc_co_u32_e32 v15, vcc, v1, v5, vcc
	v_lshlrev_b64 v[4:5], 3, v[2:3]
	v_add_u32_e32 v2, s7, v2
	;; [unrolled: 5-line block ×40, first 2 shown]
	v_add_co_u32_e32 v164, vcc, s4, v4
	v_ashrrev_i32_e32 v3, 31, v2
	v_addc_co_u32_e32 v165, vcc, v1, v5, vcc
	v_lshlrev_b64 v[4:5], 3, v[2:3]
	v_add_co_u32_e32 v166, vcc, s4, v4
	v_add_u32_e32 v2, s7, v2
	v_addc_co_u32_e32 v167, vcc, v1, v5, vcc
	v_ashrrev_i32_e32 v3, 31, v2
	v_lshlrev_b64 v[4:5], 3, v[2:3]
	global_load_dwordx2 v[8:9], v6, s[4:5]
	v_mov_b32_e32 v3, s5
	v_add_co_u32_e32 v174, vcc, s4, v6
	s_ashr_i32 s13, s7, 31
	s_mov_b32 s12, s7
	v_addc_co_u32_e32 v175, vcc, 0, v3, vcc
	s_lshl_b64 s[12:13], s[12:13], 3
	v_mov_b32_e32 v3, s13
	v_add_co_u32_e32 v176, vcc, s12, v174
	v_addc_co_u32_e32 v177, vcc, v175, v3, vcc
	global_load_dwordx2 v[10:11], v[176:177], off
	v_accvgpr_write_b32 a0, v12
	v_accvgpr_write_b32 a1, v13
	global_load_dwordx2 v[12:13], v[12:13], off
	v_add_co_u32_e32 v168, vcc, s4, v4
	v_addc_co_u32_e32 v169, vcc, v1, v5, vcc
	global_load_dwordx2 v[4:5], v[14:15], off
	v_accvgpr_write_b32 a4, v16
	v_add_u32_e32 v2, s7, v2
	v_accvgpr_write_b32 a5, v17
	global_load_dwordx2 v[16:17], v[16:17], off
	v_ashrrev_i32_e32 v3, 31, v2
	v_accvgpr_write_b32 a2, v14
	v_accvgpr_write_b32 a3, v15
	v_lshlrev_b64 v[14:15], 3, v[2:3]
	v_add_co_u32_e32 v170, vcc, s4, v14
	v_addc_co_u32_e32 v171, vcc, v1, v15, vcc
	global_load_dwordx2 v[14:15], v[18:19], off
	v_add_u32_e32 v2, s7, v2
	v_accvgpr_write_b32 a6, v18
	v_ashrrev_i32_e32 v3, 31, v2
	v_accvgpr_write_b32 a8, v20
	v_accvgpr_write_b32 a10, v22
	;; [unrolled: 1-line block ×7, first 2 shown]
	global_load_dwordx2 v[22:23], v[22:23], off
	v_accvgpr_write_b32 a17, v29
	global_load_dwordx2 v[28:29], v[28:29], off
	v_accvgpr_write_b32 a19, v31
	;; [unrolled: 2-line block ×3, first 2 shown]
	global_load_dwordx2 v[18:19], v[20:21], off
	v_lshlrev_b64 v[20:21], 3, v[2:3]
	v_add_u32_e32 v2, s7, v2
	v_add_co_u32_e32 v172, vcc, s4, v20
	v_ashrrev_i32_e32 v3, 31, v2
	v_accvgpr_write_b32 a14, v26
	v_accvgpr_write_b32 a20, v32
	;; [unrolled: 1-line block ×3, first 2 shown]
	v_addc_co_u32_e32 v173, vcc, v1, v21, vcc
	v_accvgpr_write_b32 a13, v25
	global_load_dwordx2 v[20:21], v[24:25], off
	v_accvgpr_write_b32 a15, v27
	v_accvgpr_write_b32 a21, v33
	global_load_dwordx2 v[32:33], v[32:33], off
	v_accvgpr_write_b32 a23, v35
	global_load_dwordx2 v[24:25], v[26:27], off
	;; [unrolled: 2-line block ×3, first 2 shown]
	v_lshlrev_b64 v[26:27], 3, v[2:3]
	v_add_u32_e32 v2, s7, v2
	v_add_co_u32_e32 v178, vcc, s4, v26
	v_accvgpr_write_b32 a26, v38
	v_ashrrev_i32_e32 v3, 31, v2
	v_accvgpr_write_b32 a28, v40
	v_accvgpr_write_b32 a30, v42
	v_addc_co_u32_e32 v179, vcc, v1, v27, vcc
	v_accvgpr_write_b32 a25, v37
	global_load_dwordx2 v[26:27], v[36:37], off
	v_accvgpr_write_b32 a27, v39
	global_load_dwordx2 v[36:37], v[38:39], off
	;; [unrolled: 2-line block ×4, first 2 shown]
	v_lshlrev_b64 v[42:43], 3, v[2:3]
	v_add_u32_e32 v2, s7, v2
	v_add_co_u32_e32 v180, vcc, s4, v42
	v_ashrrev_i32_e32 v3, 31, v2
	v_addc_co_u32_e32 v181, vcc, v1, v43, vcc
	v_lshlrev_b64 v[2:3], 3, v[2:3]
	v_add_co_u32_e32 v182, vcc, s4, v2
	global_load_dwordx2 v[44:45], v[116:117], off
	global_load_dwordx2 v[46:47], v[118:119], off
	;; [unrolled: 1-line block ×12, first 2 shown]
	v_addc_co_u32_e32 v183, vcc, v1, v3, vcc
	global_load_dwordx2 v[2:3], v[140:141], off
	global_load_dwordx2 v[66:67], v[182:183], off
	;; [unrolled: 1-line block ×12, first 2 shown]
	s_bitcmp0_b32 s20, 0
	s_waitcnt vmcnt(41)
	buffer_store_dword v9, off, s[0:3], 0 offset:4
	buffer_store_dword v8, off, s[0:3], 0
	global_load_dwordx2 v[8:9], v[146:147], off
	s_mov_b64 s[6:7], -1
	s_waitcnt vmcnt(43)
	buffer_store_dword v11, off, s[0:3], 0 offset:12
	buffer_store_dword v10, off, s[0:3], 0 offset:8
	global_load_dwordx2 v[10:11], v[150:151], off
	s_waitcnt vmcnt(45)
	buffer_store_dword v13, off, s[0:3], 0 offset:20
	buffer_store_dword v12, off, s[0:3], 0 offset:16
	global_load_dwordx2 v[12:13], v[154:155], off
	;; [unrolled: 4-line block ×6, first 2 shown]
	s_nop 0
	buffer_store_dword v23, off, s[0:3], 0 offset:60
	buffer_store_dword v22, off, s[0:3], 0 offset:56
	global_load_dwordx2 v[22:23], v[178:179], off
	s_waitcnt vmcnt(55)
	buffer_store_dword v21, off, s[0:3], 0 offset:68
	buffer_store_dword v20, off, s[0:3], 0 offset:64
	s_waitcnt vmcnt(55)
	buffer_store_dword v24, off, s[0:3], 0 offset:72
	buffer_store_dword v25, off, s[0:3], 0 offset:76
	;; [unrolled: 1-line block ×8, first 2 shown]
	s_waitcnt vmcnt(62)
	buffer_store_dword v34, off, s[0:3], 0 offset:104
	buffer_store_dword v35, off, s[0:3], 0 offset:108
	s_waitcnt vmcnt(62)
	buffer_store_dword v27, off, s[0:3], 0 offset:116
	buffer_store_dword v26, off, s[0:3], 0 offset:112
	;; [unrolled: 1-line block ×4, first 2 shown]
	s_waitcnt vmcnt(62)
	buffer_store_dword v38, off, s[0:3], 0 offset:128
	buffer_store_dword v39, off, s[0:3], 0 offset:132
	;; [unrolled: 1-line block ×8, first 2 shown]
	s_waitcnt vmcnt(62)
	buffer_store_dword v49, off, s[0:3], 0 offset:164
	buffer_store_dword v48, off, s[0:3], 0 offset:160
	;; [unrolled: 1-line block ×16, first 2 shown]
	s_waitcnt vmcnt(62)
	buffer_store_dword v62, off, s[0:3], 0 offset:224
	buffer_store_dword v63, off, s[0:3], 0 offset:228
	;; [unrolled: 1-line block ×10, first 2 shown]
	s_waitcnt vmcnt(62)
	buffer_store_dword v8, off, s[0:3], 0 offset:264
	buffer_store_dword v9, off, s[0:3], 0 offset:268
	buffer_store_dword v72, off, s[0:3], 0 offset:272
	buffer_store_dword v73, off, s[0:3], 0 offset:276
	buffer_store_dword v10, off, s[0:3], 0 offset:280
	buffer_store_dword v11, off, s[0:3], 0 offset:284
	buffer_store_dword v74, off, s[0:3], 0 offset:288
	buffer_store_dword v75, off, s[0:3], 0 offset:292
	buffer_store_dword v13, off, s[0:3], 0 offset:300
	buffer_store_dword v12, off, s[0:3], 0 offset:296
	buffer_store_dword v77, off, s[0:3], 0 offset:308
	buffer_store_dword v76, off, s[0:3], 0 offset:304
	buffer_store_dword v4, off, s[0:3], 0 offset:312
	buffer_store_dword v5, off, s[0:3], 0 offset:316
	buffer_store_dword v78, off, s[0:3], 0 offset:320
	buffer_store_dword v79, off, s[0:3], 0 offset:324
	s_waitcnt vmcnt(62)
	buffer_store_dword v16, off, s[0:3], 0 offset:328
	buffer_store_dword v17, off, s[0:3], 0 offset:332
	;; [unrolled: 1-line block ×18, first 2 shown]
	s_cbranch_scc1 .LBB113_212
; %bb.4:
	v_cmp_eq_u32_e64 s[4:5], 0, v0
	s_and_saveexec_b64 s[6:7], s[4:5]
	s_cbranch_execz .LBB113_6
; %bb.5:
	v_mov_b32_e32 v1, 0
	ds_write_b32 v1, v1 offset:800
.LBB113_6:
	s_or_b64 exec, exec, s[6:7]
	v_mov_b32_e32 v1, 0
	v_lshl_add_u32 v7, v0, 3, v1
	s_waitcnt lgkmcnt(0)
	; wave barrier
	s_waitcnt lgkmcnt(0)
	buffer_load_dword v1, v7, s[0:3], 0 offen
	buffer_load_dword v2, v7, s[0:3], 0 offen offset:4
	s_waitcnt vmcnt(1)
	v_cmp_eq_f32_e32 vcc, 0, v1
	s_waitcnt vmcnt(0)
	v_cmp_eq_f32_e64 s[6:7], 0, v2
	s_and_b64 s[6:7], vcc, s[6:7]
	s_and_saveexec_b64 s[12:13], s[6:7]
	s_cbranch_execz .LBB113_10
; %bb.7:
	v_mov_b32_e32 v1, 0
	ds_read_b32 v3, v1 offset:800
	v_add_u32_e32 v2, 1, v0
	s_waitcnt lgkmcnt(0)
	v_readfirstlane_b32 s6, v3
	s_cmp_eq_u32 s6, 0
	s_cselect_b64 s[18:19], -1, 0
	v_cmp_gt_i32_e32 vcc, s6, v2
	s_or_b64 s[18:19], s[18:19], vcc
	s_and_b64 exec, exec, s[18:19]
	s_cbranch_execz .LBB113_10
; %bb.8:
	s_mov_b64 s[18:19], 0
	v_mov_b32_e32 v3, s6
.LBB113_9:                              ; =>This Inner Loop Header: Depth=1
	ds_cmpst_rtn_b32 v3, v1, v3, v2 offset:800
	s_waitcnt lgkmcnt(0)
	v_cmp_ne_u32_e32 vcc, 0, v3
	v_cmp_le_i32_e64 s[6:7], v3, v2
	s_and_b64 s[6:7], vcc, s[6:7]
	s_and_b64 s[6:7], exec, s[6:7]
	s_or_b64 s[18:19], s[6:7], s[18:19]
	s_andn2_b64 exec, exec, s[18:19]
	s_cbranch_execnz .LBB113_9
.LBB113_10:
	s_or_b64 exec, exec, s[12:13]
	v_mov_b32_e32 v2, 0
	s_waitcnt lgkmcnt(0)
	; wave barrier
	ds_read_b32 v1, v2 offset:800
	s_and_saveexec_b64 s[6:7], s[4:5]
	s_cbranch_execz .LBB113_12
; %bb.11:
	s_lshl_b64 s[12:13], s[8:9], 2
	s_add_u32 s12, s14, s12
	s_addc_u32 s13, s15, s13
	s_waitcnt lgkmcnt(0)
	global_store_dword v2, v1, s[12:13]
.LBB113_12:
	s_or_b64 exec, exec, s[6:7]
	s_waitcnt lgkmcnt(0)
	v_cmp_ne_u32_e32 vcc, 0, v1
	s_mov_b64 s[6:7], 0
	s_cbranch_vccnz .LBB113_212
; %bb.13:
	buffer_load_dword v8, v7, s[0:3], 0 offen offset:4
	buffer_load_dword v3, v7, s[0:3], 0 offen
	s_waitcnt vmcnt(1)
	v_cmp_gt_f32_e32 vcc, 0, v8
	v_cndmask_b32_e64 v1, v8, -v8, vcc
	s_waitcnt vmcnt(0)
	v_cmp_gt_f32_e32 vcc, 0, v3
	v_cndmask_b32_e64 v2, v3, -v3, vcc
	v_cmp_ngt_f32_e32 vcc, v2, v1
                                        ; implicit-def: $vgpr1
                                        ; implicit-def: $vgpr2
	s_and_saveexec_b64 s[6:7], vcc
	s_xor_b64 s[6:7], exec, s[6:7]
                                        ; implicit-def: $vgpr4_vgpr5
	s_cbranch_execz .LBB113_15
; %bb.14:
	v_div_scale_f32 v1, s[12:13], v8, v8, v3
	v_rcp_f32_e32 v2, v1
	v_div_scale_f32 v4, vcc, v3, v8, v3
	v_fma_f32 v5, -v1, v2, 1.0
	v_fmac_f32_e32 v2, v5, v2
	v_mul_f32_e32 v5, v4, v2
	v_fma_f32 v9, -v1, v5, v4
	v_fmac_f32_e32 v5, v9, v2
	v_fma_f32 v1, -v1, v5, v4
	v_div_fmas_f32 v1, v1, v2, v5
	v_div_fixup_f32 v2, v1, v8, v3
	v_fmac_f32_e32 v8, v3, v2
	v_div_scale_f32 v1, s[12:13], v8, v8, -1.0
	v_rcp_f32_e32 v3, v1
	v_fma_f32 v4, -v1, v3, 1.0
	v_fmac_f32_e32 v3, v4, v3
	v_div_scale_f32 v4, vcc, -1.0, v8, -1.0
	v_mul_f32_e32 v5, v4, v3
	v_fma_f32 v9, -v1, v5, v4
	v_fmac_f32_e32 v5, v9, v3
	v_fma_f32 v1, -v1, v5, v4
	v_div_fmas_f32 v1, v1, v3, v5
	v_div_fixup_f32 v1, v1, v8, -1.0
	v_mul_f32_e32 v2, v2, v1
	v_xor_b32_e32 v4, 0x80000000, v2
                                        ; implicit-def: $vgpr3
                                        ; implicit-def: $vgpr8
.LBB113_15:
	s_andn2_saveexec_b64 s[6:7], s[6:7]
	s_cbranch_execz .LBB113_17
; %bb.16:
	v_div_scale_f32 v1, s[12:13], v3, v3, v8
	v_rcp_f32_e32 v2, v1
	v_div_scale_f32 v4, vcc, v8, v3, v8
	v_fma_f32 v5, -v1, v2, 1.0
	v_fmac_f32_e32 v2, v5, v2
	v_mul_f32_e32 v5, v4, v2
	v_fma_f32 v9, -v1, v5, v4
	v_fmac_f32_e32 v5, v9, v2
	v_fma_f32 v1, -v1, v5, v4
	v_div_fmas_f32 v1, v1, v2, v5
	v_div_fixup_f32 v1, v1, v3, v8
	v_fmac_f32_e32 v3, v8, v1
	v_div_scale_f32 v2, s[12:13], v3, v3, 1.0
	v_rcp_f32_e32 v4, v2
	v_fma_f32 v5, -v2, v4, 1.0
	v_fmac_f32_e32 v4, v5, v4
	v_div_scale_f32 v5, vcc, 1.0, v3, 1.0
	v_mul_f32_e32 v8, v5, v4
	v_fma_f32 v9, -v2, v8, v5
	v_fmac_f32_e32 v8, v9, v4
	v_fma_f32 v2, -v2, v8, v5
	v_div_fmas_f32 v2, v2, v4, v8
	v_div_fixup_f32 v4, v2, v3, 1.0
	v_xor_b32_e32 v2, 0x80000000, v4
	v_mul_f32_e64 v1, v1, -v4
.LBB113_17:
	s_or_b64 exec, exec, s[6:7]
	buffer_store_dword v1, v7, s[0:3], 0 offen offset:4
	buffer_store_dword v4, v7, s[0:3], 0 offen
	buffer_load_dword v5, off, s[0:3], 0 offset:12
	s_nop 0
	buffer_load_dword v4, off, s[0:3], 0 offset:8
	v_xor_b32_e32 v3, 0x80000000, v1
	v_add_u32_e32 v1, 0x190, v6
	s_waitcnt vmcnt(0)
	ds_write2_b64 v6, v[2:3], v[4:5] offset1:50
	s_waitcnt lgkmcnt(0)
	; wave barrier
	s_waitcnt lgkmcnt(0)
	s_and_saveexec_b64 s[6:7], s[4:5]
	s_cbranch_execz .LBB113_19
; %bb.18:
	buffer_load_dword v8, v7, s[0:3], 0 offen offset:4
	buffer_load_dword v9, v7, s[0:3], 0 offen
	ds_read_b64 v[2:3], v1
	v_mov_b32_e32 v4, 0
	ds_read_b64 v[4:5], v4 offset:8
	s_waitcnt vmcnt(1) lgkmcnt(1)
	v_mul_f32_e32 v10, v3, v8
	v_mul_f32_e32 v8, v2, v8
	s_waitcnt vmcnt(0)
	v_fmac_f32_e32 v8, v3, v9
	v_fma_f32 v2, v2, v9, -v10
	v_add_f32_e32 v3, 0, v8
	v_add_f32_e32 v2, 0, v2
	s_waitcnt lgkmcnt(0)
	v_mul_f32_e32 v8, v3, v5
	v_mul_f32_e32 v5, v2, v5
	v_fma_f32 v2, v2, v4, -v8
	v_fmac_f32_e32 v5, v3, v4
	buffer_store_dword v2, off, s[0:3], 0 offset:8
	buffer_store_dword v5, off, s[0:3], 0 offset:12
.LBB113_19:
	s_or_b64 exec, exec, s[6:7]
	s_waitcnt lgkmcnt(0)
	; wave barrier
	buffer_load_dword v2, off, s[0:3], 0 offset:16
	buffer_load_dword v3, off, s[0:3], 0 offset:20
	v_cmp_gt_u32_e32 vcc, 2, v0
	s_waitcnt vmcnt(0)
	ds_write_b64 v1, v[2:3]
	s_waitcnt lgkmcnt(0)
	; wave barrier
	s_waitcnt lgkmcnt(0)
	s_and_saveexec_b64 s[6:7], vcc
	s_cbranch_execz .LBB113_23
; %bb.20:
	buffer_load_dword v4, v7, s[0:3], 0 offen offset:4
	buffer_load_dword v5, v7, s[0:3], 0 offen
	ds_read_b64 v[2:3], v1
	s_waitcnt vmcnt(1) lgkmcnt(0)
	v_mul_f32_e32 v7, v3, v4
	v_mul_f32_e32 v4, v2, v4
	s_waitcnt vmcnt(0)
	v_fma_f32 v2, v2, v5, -v7
	v_fmac_f32_e32 v4, v3, v5
	v_add_f32_e32 v3, 0, v2
	v_add_f32_e32 v2, 0, v4
	s_and_saveexec_b64 s[12:13], s[4:5]
	s_cbranch_execz .LBB113_22
; %bb.21:
	buffer_load_dword v7, off, s[0:3], 0 offset:12
	buffer_load_dword v8, off, s[0:3], 0 offset:8
	v_mov_b32_e32 v4, 0
	ds_read_b64 v[4:5], v4 offset:408
	s_waitcnt vmcnt(1) lgkmcnt(0)
	v_mul_f32_e32 v9, v4, v7
	v_mul_f32_e32 v7, v5, v7
	s_waitcnt vmcnt(0)
	v_fmac_f32_e32 v9, v5, v8
	v_fma_f32 v4, v4, v8, -v7
	v_add_f32_e32 v2, v2, v9
	v_add_f32_e32 v3, v3, v4
.LBB113_22:
	s_or_b64 exec, exec, s[12:13]
	v_mov_b32_e32 v4, 0
	ds_read_b64 v[4:5], v4 offset:16
	s_waitcnt lgkmcnt(0)
	v_mul_f32_e32 v7, v2, v5
	v_mul_f32_e32 v5, v3, v5
	v_fma_f32 v3, v3, v4, -v7
	v_fmac_f32_e32 v5, v2, v4
	buffer_store_dword v3, off, s[0:3], 0 offset:16
	buffer_store_dword v5, off, s[0:3], 0 offset:20
.LBB113_23:
	s_or_b64 exec, exec, s[6:7]
	s_waitcnt lgkmcnt(0)
	; wave barrier
	buffer_load_dword v2, off, s[0:3], 0 offset:24
	buffer_load_dword v3, off, s[0:3], 0 offset:28
	v_cmp_gt_u32_e32 vcc, 3, v0
	s_waitcnt vmcnt(0)
	ds_write_b64 v1, v[2:3]
	v_add_u32_e32 v2, -1, v0
	s_waitcnt lgkmcnt(0)
	; wave barrier
	s_waitcnt lgkmcnt(0)
	s_and_saveexec_b64 s[4:5], vcc
	s_cbranch_execz .LBB113_27
; %bb.24:
	v_add_u32_e32 v4, -1, v0
	v_add_u32_e32 v5, 0x190, v6
	v_add_u32_e32 v7, 0, v6
	s_mov_b64 s[6:7], 0
	v_mov_b32_e32 v3, 0
	v_mov_b32_e32 v8, 0
.LBB113_25:                             ; =>This Inner Loop Header: Depth=1
	buffer_load_dword v9, v7, s[0:3], 0 offen offset:4
	buffer_load_dword v12, v7, s[0:3], 0 offen
	ds_read_b64 v[10:11], v5
	v_add_u32_e32 v4, 1, v4
	v_cmp_lt_u32_e32 vcc, 1, v4
	v_add_u32_e32 v5, 8, v5
	v_add_u32_e32 v7, 8, v7
	s_or_b64 s[6:7], vcc, s[6:7]
	s_waitcnt vmcnt(1) lgkmcnt(0)
	v_mul_f32_e32 v13, v11, v9
	v_mul_f32_e32 v9, v10, v9
	s_waitcnt vmcnt(0)
	v_fma_f32 v10, v10, v12, -v13
	v_fmac_f32_e32 v9, v11, v12
	v_add_f32_e32 v8, v8, v10
	v_add_f32_e32 v3, v3, v9
	s_andn2_b64 exec, exec, s[6:7]
	s_cbranch_execnz .LBB113_25
; %bb.26:
	s_or_b64 exec, exec, s[6:7]
	v_mov_b32_e32 v4, 0
	ds_read_b64 v[4:5], v4 offset:24
	s_waitcnt lgkmcnt(0)
	v_mul_f32_e32 v7, v3, v5
	v_mul_f32_e32 v5, v8, v5
	v_fma_f32 v7, v8, v4, -v7
	v_fmac_f32_e32 v5, v3, v4
	buffer_store_dword v7, off, s[0:3], 0 offset:24
	buffer_store_dword v5, off, s[0:3], 0 offset:28
.LBB113_27:
	s_or_b64 exec, exec, s[4:5]
	s_waitcnt lgkmcnt(0)
	; wave barrier
	buffer_load_dword v4, off, s[0:3], 0 offset:32
	buffer_load_dword v5, off, s[0:3], 0 offset:36
	v_cmp_gt_u32_e32 vcc, 4, v0
	s_waitcnt vmcnt(0)
	ds_write_b64 v1, v[4:5]
	s_waitcnt lgkmcnt(0)
	; wave barrier
	s_waitcnt lgkmcnt(0)
	s_and_saveexec_b64 s[4:5], vcc
	s_cbranch_execz .LBB113_31
; %bb.28:
	v_add_u32_e32 v4, -1, v0
	v_add_u32_e32 v5, 0x190, v6
	v_add_u32_e32 v7, 0, v6
	s_mov_b64 s[6:7], 0
	v_mov_b32_e32 v3, 0
	v_mov_b32_e32 v8, 0
.LBB113_29:                             ; =>This Inner Loop Header: Depth=1
	buffer_load_dword v9, v7, s[0:3], 0 offen offset:4
	buffer_load_dword v12, v7, s[0:3], 0 offen
	ds_read_b64 v[10:11], v5
	v_add_u32_e32 v4, 1, v4
	v_cmp_lt_u32_e32 vcc, 2, v4
	v_add_u32_e32 v5, 8, v5
	v_add_u32_e32 v7, 8, v7
	s_or_b64 s[6:7], vcc, s[6:7]
	s_waitcnt vmcnt(1) lgkmcnt(0)
	v_mul_f32_e32 v13, v11, v9
	v_mul_f32_e32 v9, v10, v9
	s_waitcnt vmcnt(0)
	v_fma_f32 v10, v10, v12, -v13
	v_fmac_f32_e32 v9, v11, v12
	v_add_f32_e32 v8, v8, v10
	v_add_f32_e32 v3, v3, v9
	s_andn2_b64 exec, exec, s[6:7]
	s_cbranch_execnz .LBB113_29
; %bb.30:
	s_or_b64 exec, exec, s[6:7]
	v_mov_b32_e32 v4, 0
	ds_read_b64 v[4:5], v4 offset:32
	s_waitcnt lgkmcnt(0)
	v_mul_f32_e32 v7, v3, v5
	v_mul_f32_e32 v5, v8, v5
	v_fma_f32 v7, v8, v4, -v7
	v_fmac_f32_e32 v5, v3, v4
	buffer_store_dword v7, off, s[0:3], 0 offset:32
	buffer_store_dword v5, off, s[0:3], 0 offset:36
.LBB113_31:
	s_or_b64 exec, exec, s[4:5]
	s_waitcnt lgkmcnt(0)
	; wave barrier
	buffer_load_dword v4, off, s[0:3], 0 offset:40
	buffer_load_dword v5, off, s[0:3], 0 offset:44
	v_cmp_gt_u32_e32 vcc, 5, v0
	s_waitcnt vmcnt(0)
	ds_write_b64 v1, v[4:5]
	;; [unrolled: 51-line block ×19, first 2 shown]
	s_waitcnt lgkmcnt(0)
	; wave barrier
	s_waitcnt lgkmcnt(0)
	s_and_saveexec_b64 s[4:5], vcc
	s_cbranch_execz .LBB113_103
; %bb.100:
	v_add_u32_e32 v4, -1, v0
	v_add_u32_e32 v5, 0x190, v6
	v_add_u32_e32 v7, 0, v6
	s_mov_b64 s[6:7], 0
	v_mov_b32_e32 v3, 0
	v_mov_b32_e32 v8, 0
.LBB113_101:                            ; =>This Inner Loop Header: Depth=1
	buffer_load_dword v9, v7, s[0:3], 0 offen offset:4
	buffer_load_dword v12, v7, s[0:3], 0 offen
	ds_read_b64 v[10:11], v5
	v_add_u32_e32 v4, 1, v4
	v_cmp_lt_u32_e32 vcc, 20, v4
	v_add_u32_e32 v5, 8, v5
	v_add_u32_e32 v7, 8, v7
	s_or_b64 s[6:7], vcc, s[6:7]
	s_waitcnt vmcnt(1) lgkmcnt(0)
	v_mul_f32_e32 v13, v11, v9
	v_mul_f32_e32 v9, v10, v9
	s_waitcnt vmcnt(0)
	v_fma_f32 v10, v10, v12, -v13
	v_fmac_f32_e32 v9, v11, v12
	v_add_f32_e32 v8, v8, v10
	v_add_f32_e32 v3, v3, v9
	s_andn2_b64 exec, exec, s[6:7]
	s_cbranch_execnz .LBB113_101
; %bb.102:
	s_or_b64 exec, exec, s[6:7]
	v_mov_b32_e32 v4, 0
	ds_read_b64 v[4:5], v4 offset:176
	s_waitcnt lgkmcnt(0)
	v_mul_f32_e32 v7, v3, v5
	v_mul_f32_e32 v5, v8, v5
	v_fma_f32 v7, v8, v4, -v7
	v_fmac_f32_e32 v5, v3, v4
	buffer_store_dword v7, off, s[0:3], 0 offset:176
	buffer_store_dword v5, off, s[0:3], 0 offset:180
.LBB113_103:
	s_or_b64 exec, exec, s[4:5]
	s_waitcnt lgkmcnt(0)
	; wave barrier
	buffer_load_dword v4, off, s[0:3], 0 offset:184
	buffer_load_dword v5, off, s[0:3], 0 offset:188
	v_cmp_gt_u32_e32 vcc, 23, v0
	s_waitcnt vmcnt(0)
	ds_write_b64 v1, v[4:5]
	s_waitcnt lgkmcnt(0)
	; wave barrier
	s_waitcnt lgkmcnt(0)
	s_and_saveexec_b64 s[4:5], vcc
	s_cbranch_execz .LBB113_107
; %bb.104:
	v_add_u32_e32 v4, -1, v0
	v_add_u32_e32 v5, 0x190, v6
	v_add_u32_e32 v7, 0, v6
	s_mov_b64 s[6:7], 0
	v_mov_b32_e32 v3, 0
	v_mov_b32_e32 v8, 0
.LBB113_105:                            ; =>This Inner Loop Header: Depth=1
	buffer_load_dword v9, v7, s[0:3], 0 offen offset:4
	buffer_load_dword v12, v7, s[0:3], 0 offen
	ds_read_b64 v[10:11], v5
	v_add_u32_e32 v4, 1, v4
	v_cmp_lt_u32_e32 vcc, 21, v4
	v_add_u32_e32 v5, 8, v5
	v_add_u32_e32 v7, 8, v7
	s_or_b64 s[6:7], vcc, s[6:7]
	s_waitcnt vmcnt(1) lgkmcnt(0)
	v_mul_f32_e32 v13, v11, v9
	v_mul_f32_e32 v9, v10, v9
	s_waitcnt vmcnt(0)
	v_fma_f32 v10, v10, v12, -v13
	v_fmac_f32_e32 v9, v11, v12
	v_add_f32_e32 v8, v8, v10
	v_add_f32_e32 v3, v3, v9
	s_andn2_b64 exec, exec, s[6:7]
	s_cbranch_execnz .LBB113_105
; %bb.106:
	s_or_b64 exec, exec, s[6:7]
	v_mov_b32_e32 v4, 0
	ds_read_b64 v[4:5], v4 offset:184
	s_waitcnt lgkmcnt(0)
	v_mul_f32_e32 v7, v3, v5
	v_mul_f32_e32 v5, v8, v5
	v_fma_f32 v7, v8, v4, -v7
	v_fmac_f32_e32 v5, v3, v4
	buffer_store_dword v7, off, s[0:3], 0 offset:184
	buffer_store_dword v5, off, s[0:3], 0 offset:188
.LBB113_107:
	s_or_b64 exec, exec, s[4:5]
	s_waitcnt lgkmcnt(0)
	; wave barrier
	buffer_load_dword v4, off, s[0:3], 0 offset:192
	buffer_load_dword v5, off, s[0:3], 0 offset:196
	v_cmp_gt_u32_e32 vcc, 24, v0
	s_waitcnt vmcnt(0)
	ds_write_b64 v1, v[4:5]
	;; [unrolled: 51-line block ×26, first 2 shown]
	s_waitcnt lgkmcnt(0)
	; wave barrier
	s_waitcnt lgkmcnt(0)
	s_and_saveexec_b64 s[4:5], vcc
	s_cbranch_execz .LBB113_207
; %bb.204:
	v_add_u32_e32 v4, -1, v0
	v_add_u32_e32 v5, 0x190, v6
	v_add_u32_e32 v7, 0, v6
	s_mov_b64 s[6:7], 0
	v_mov_b32_e32 v3, 0
	v_mov_b32_e32 v8, 0
.LBB113_205:                            ; =>This Inner Loop Header: Depth=1
	buffer_load_dword v9, v7, s[0:3], 0 offen offset:4
	buffer_load_dword v12, v7, s[0:3], 0 offen
	ds_read_b64 v[10:11], v5
	v_add_u32_e32 v4, 1, v4
	v_cmp_lt_u32_e32 vcc, 46, v4
	v_add_u32_e32 v5, 8, v5
	v_add_u32_e32 v7, 8, v7
	s_or_b64 s[6:7], vcc, s[6:7]
	s_waitcnt vmcnt(1) lgkmcnt(0)
	v_mul_f32_e32 v13, v11, v9
	v_mul_f32_e32 v9, v10, v9
	s_waitcnt vmcnt(0)
	v_fma_f32 v10, v10, v12, -v13
	v_fmac_f32_e32 v9, v11, v12
	v_add_f32_e32 v8, v8, v10
	v_add_f32_e32 v3, v3, v9
	s_andn2_b64 exec, exec, s[6:7]
	s_cbranch_execnz .LBB113_205
; %bb.206:
	s_or_b64 exec, exec, s[6:7]
	v_mov_b32_e32 v4, 0
	ds_read_b64 v[4:5], v4 offset:384
	s_waitcnt lgkmcnt(0)
	v_mul_f32_e32 v7, v3, v5
	v_mul_f32_e32 v5, v8, v5
	v_fma_f32 v7, v8, v4, -v7
	v_fmac_f32_e32 v5, v3, v4
	buffer_store_dword v7, off, s[0:3], 0 offset:384
	buffer_store_dword v5, off, s[0:3], 0 offset:388
.LBB113_207:
	s_or_b64 exec, exec, s[4:5]
	s_waitcnt lgkmcnt(0)
	; wave barrier
	buffer_load_dword v4, off, s[0:3], 0 offset:392
	buffer_load_dword v5, off, s[0:3], 0 offset:396
	v_cmp_ne_u32_e32 vcc, 49, v0
	s_waitcnt vmcnt(0)
	ds_write_b64 v1, v[4:5]
	s_waitcnt lgkmcnt(0)
	; wave barrier
	s_waitcnt lgkmcnt(0)
	s_and_saveexec_b64 s[4:5], vcc
	s_cbranch_execz .LBB113_211
; %bb.208:
	v_add_u32_e32 v3, 0x190, v6
	v_add_u32_e32 v4, 0, v6
	s_mov_b64 s[6:7], 0
	v_mov_b32_e32 v1, 0
	v_mov_b32_e32 v5, 0
.LBB113_209:                            ; =>This Inner Loop Header: Depth=1
	buffer_load_dword v8, v4, s[0:3], 0 offen offset:4
	buffer_load_dword v9, v4, s[0:3], 0 offen
	ds_read_b64 v[6:7], v3
	v_add_u32_e32 v2, 1, v2
	v_cmp_lt_u32_e32 vcc, 47, v2
	v_add_u32_e32 v3, 8, v3
	v_add_u32_e32 v4, 8, v4
	s_or_b64 s[6:7], vcc, s[6:7]
	s_waitcnt vmcnt(1) lgkmcnt(0)
	v_mul_f32_e32 v10, v7, v8
	v_mul_f32_e32 v8, v6, v8
	s_waitcnt vmcnt(0)
	v_fma_f32 v6, v6, v9, -v10
	v_fmac_f32_e32 v8, v7, v9
	v_add_f32_e32 v5, v5, v6
	v_add_f32_e32 v1, v1, v8
	s_andn2_b64 exec, exec, s[6:7]
	s_cbranch_execnz .LBB113_209
; %bb.210:
	s_or_b64 exec, exec, s[6:7]
	v_mov_b32_e32 v2, 0
	ds_read_b64 v[2:3], v2 offset:392
	s_waitcnt lgkmcnt(0)
	v_mul_f32_e32 v4, v1, v3
	v_mul_f32_e32 v3, v5, v3
	v_fma_f32 v4, v5, v2, -v4
	v_fmac_f32_e32 v3, v1, v2
	buffer_store_dword v4, off, s[0:3], 0 offset:392
	buffer_store_dword v3, off, s[0:3], 0 offset:396
.LBB113_211:
	s_or_b64 exec, exec, s[4:5]
	s_mov_b64 s[6:7], -1
	s_waitcnt lgkmcnt(0)
	; wave barrier
.LBB113_212:
	s_and_b64 vcc, exec, s[6:7]
	s_cbranch_vccz .LBB113_214
; %bb.213:
	s_lshl_b64 s[4:5], s[8:9], 2
	s_add_u32 s4, s14, s4
	s_addc_u32 s5, s15, s5
	v_mov_b32_e32 v1, 0
	global_load_dword v1, v1, s[4:5]
	s_waitcnt vmcnt(0)
	v_cmp_ne_u32_e32 vcc, 0, v1
	s_cbranch_vccz .LBB113_215
.LBB113_214:
	s_endpgm
.LBB113_215:
	v_mov_b32_e32 v1, 0x190
	v_lshl_add_u32 v111, v0, 3, v1
	v_cmp_eq_u32_e32 vcc, 49, v0
	s_and_saveexec_b64 s[4:5], vcc
	s_cbranch_execz .LBB113_217
; %bb.216:
	buffer_load_dword v2, off, s[0:3], 0 offset:384
	buffer_load_dword v3, off, s[0:3], 0 offset:388
	v_mov_b32_e32 v4, 0
	buffer_store_dword v4, off, s[0:3], 0 offset:384
	buffer_store_dword v4, off, s[0:3], 0 offset:388
	s_waitcnt vmcnt(2)
	ds_write_b64 v111, v[2:3]
.LBB113_217:
	s_or_b64 exec, exec, s[4:5]
	s_waitcnt lgkmcnt(0)
	; wave barrier
	s_waitcnt lgkmcnt(0)
	buffer_load_dword v5, off, s[0:3], 0 offset:396
	buffer_load_dword v4, off, s[0:3], 0 offset:392
	;; [unrolled: 1-line block ×4, first 2 shown]
	v_mov_b32_e32 v2, 0
	ds_read_b64 v[8:9], v2 offset:792
	v_cmp_lt_u32_e32 vcc, 47, v0
	s_waitcnt vmcnt(3)
	v_mov_b32_e32 v10, v5
	s_waitcnt lgkmcnt(0)
	v_pk_mul_f32 v[10:11], v[8:9], v[10:11] op_sel_hi:[1,0]
	s_waitcnt vmcnt(2)
	v_pk_fma_f32 v[12:13], v[8:9], v[4:5], v[10:11] op_sel:[0,0,1] op_sel_hi:[1,1,0] neg_lo:[0,0,1] neg_hi:[0,0,1]
	v_pk_fma_f32 v[4:5], v[8:9], v[4:5], v[10:11] op_sel:[0,0,1] op_sel_hi:[1,0,0]
	v_mov_b32_e32 v13, v5
	v_pk_add_f32 v[4:5], v[12:13], 0 op_sel_hi:[1,0]
	s_waitcnt vmcnt(0)
	v_pk_add_f32 v[4:5], v[6:7], v[4:5] neg_lo:[0,1] neg_hi:[0,1]
	buffer_store_dword v4, off, s[0:3], 0 offset:384
	buffer_store_dword v5, off, s[0:3], 0 offset:388
	s_and_saveexec_b64 s[4:5], vcc
	s_cbranch_execz .LBB113_219
; %bb.218:
	buffer_load_dword v4, off, s[0:3], 0 offset:376
	buffer_load_dword v5, off, s[0:3], 0 offset:380
	s_waitcnt vmcnt(0)
	ds_write_b64 v111, v[4:5]
	buffer_store_dword v2, off, s[0:3], 0 offset:376
	buffer_store_dword v2, off, s[0:3], 0 offset:380
.LBB113_219:
	s_or_b64 exec, exec, s[4:5]
	s_waitcnt lgkmcnt(0)
	; wave barrier
	s_waitcnt lgkmcnt(0)
	buffer_load_dword v7, off, s[0:3], 0 offset:388
	buffer_load_dword v9, off, s[0:3], 0 offset:396
	;; [unrolled: 1-line block ×6, first 2 shown]
	ds_read_b128 v[2:5], v2 offset:784
	v_cmp_lt_u32_e32 vcc, 46, v0
	s_waitcnt vmcnt(5)
	v_mov_b32_e32 v12, v7
	s_waitcnt vmcnt(4)
	v_mov_b32_e32 v14, v9
	s_waitcnt lgkmcnt(0)
	v_pk_mul_f32 v[12:13], v[2:3], v[12:13] op_sel_hi:[1,0]
	v_pk_mul_f32 v[14:15], v[4:5], v[14:15] op_sel_hi:[1,0]
	s_waitcnt vmcnt(3)
	v_pk_fma_f32 v[16:17], v[2:3], v[6:7], v[12:13] op_sel:[0,0,1] op_sel_hi:[1,1,0] neg_lo:[0,0,1] neg_hi:[0,0,1]
	v_pk_fma_f32 v[2:3], v[2:3], v[6:7], v[12:13] op_sel:[0,0,1] op_sel_hi:[1,0,0]
	s_waitcnt vmcnt(2)
	v_pk_fma_f32 v[6:7], v[4:5], v[8:9], v[14:15] op_sel:[0,0,1] op_sel_hi:[1,1,0] neg_lo:[0,0,1] neg_hi:[0,0,1]
	v_pk_fma_f32 v[4:5], v[4:5], v[8:9], v[14:15] op_sel:[0,0,1] op_sel_hi:[1,0,0]
	v_mov_b32_e32 v17, v3
	v_mov_b32_e32 v7, v5
	v_pk_add_f32 v[2:3], v[16:17], 0 op_sel_hi:[1,0]
	v_pk_add_f32 v[2:3], v[2:3], v[6:7]
	s_waitcnt vmcnt(0)
	v_pk_add_f32 v[2:3], v[10:11], v[2:3] neg_lo:[0,1] neg_hi:[0,1]
	buffer_store_dword v2, off, s[0:3], 0 offset:376
	buffer_store_dword v3, off, s[0:3], 0 offset:380
	s_and_saveexec_b64 s[4:5], vcc
	s_cbranch_execz .LBB113_221
; %bb.220:
	buffer_load_dword v2, off, s[0:3], 0 offset:368
	buffer_load_dword v3, off, s[0:3], 0 offset:372
	v_mov_b32_e32 v4, 0
	buffer_store_dword v4, off, s[0:3], 0 offset:368
	buffer_store_dword v4, off, s[0:3], 0 offset:372
	s_waitcnt vmcnt(2)
	ds_write_b64 v111, v[2:3]
.LBB113_221:
	s_or_b64 exec, exec, s[4:5]
	s_waitcnt lgkmcnt(0)
	; wave barrier
	s_waitcnt lgkmcnt(0)
	buffer_load_dword v9, off, s[0:3], 0 offset:380
	buffer_load_dword v11, off, s[0:3], 0 offset:388
	;; [unrolled: 1-line block ×8, first 2 shown]
	v_mov_b32_e32 v2, 0
	ds_read2_b64 v[4:7], v2 offset0:97 offset1:98
	ds_read_b64 v[16:17], v2 offset:792
	v_cmp_lt_u32_e32 vcc, 45, v0
	s_waitcnt vmcnt(7)
	v_mov_b32_e32 v18, v9
	s_waitcnt vmcnt(6)
	v_mov_b32_e32 v20, v11
	s_waitcnt lgkmcnt(1)
	v_pk_mul_f32 v[18:19], v[4:5], v[18:19] op_sel_hi:[1,0]
	s_waitcnt vmcnt(5)
	v_mov_b32_e32 v22, v13
	v_pk_mul_f32 v[20:21], v[6:7], v[20:21] op_sel_hi:[1,0]
	s_waitcnt vmcnt(4)
	v_pk_fma_f32 v[24:25], v[4:5], v[8:9], v[18:19] op_sel:[0,0,1] op_sel_hi:[1,1,0] neg_lo:[0,0,1] neg_hi:[0,0,1]
	v_pk_fma_f32 v[4:5], v[4:5], v[8:9], v[18:19] op_sel:[0,0,1] op_sel_hi:[1,0,0]
	s_waitcnt lgkmcnt(0)
	v_pk_mul_f32 v[22:23], v[16:17], v[22:23] op_sel_hi:[1,0]
	s_waitcnt vmcnt(3)
	v_pk_fma_f32 v[8:9], v[6:7], v[10:11], v[20:21] op_sel:[0,0,1] op_sel_hi:[1,1,0] neg_lo:[0,0,1] neg_hi:[0,0,1]
	v_pk_fma_f32 v[6:7], v[6:7], v[10:11], v[20:21] op_sel:[0,0,1] op_sel_hi:[1,0,0]
	v_mov_b32_e32 v25, v5
	s_waitcnt vmcnt(2)
	v_pk_fma_f32 v[10:11], v[16:17], v[12:13], v[22:23] op_sel:[0,0,1] op_sel_hi:[1,1,0] neg_lo:[0,0,1] neg_hi:[0,0,1]
	v_pk_fma_f32 v[12:13], v[16:17], v[12:13], v[22:23] op_sel:[0,0,1] op_sel_hi:[1,0,0]
	v_mov_b32_e32 v9, v7
	v_pk_add_f32 v[4:5], v[24:25], 0 op_sel_hi:[1,0]
	v_mov_b32_e32 v11, v13
	v_pk_add_f32 v[4:5], v[4:5], v[8:9]
	v_pk_add_f32 v[4:5], v[4:5], v[10:11]
	s_waitcnt vmcnt(0)
	v_pk_add_f32 v[4:5], v[14:15], v[4:5] neg_lo:[0,1] neg_hi:[0,1]
	buffer_store_dword v4, off, s[0:3], 0 offset:368
	buffer_store_dword v5, off, s[0:3], 0 offset:372
	s_and_saveexec_b64 s[4:5], vcc
	s_cbranch_execz .LBB113_223
; %bb.222:
	buffer_load_dword v4, off, s[0:3], 0 offset:360
	buffer_load_dword v5, off, s[0:3], 0 offset:364
	s_waitcnt vmcnt(0)
	ds_write_b64 v111, v[4:5]
	buffer_store_dword v2, off, s[0:3], 0 offset:360
	buffer_store_dword v2, off, s[0:3], 0 offset:364
.LBB113_223:
	s_or_b64 exec, exec, s[4:5]
	s_waitcnt lgkmcnt(0)
	; wave barrier
	s_waitcnt lgkmcnt(0)
	buffer_load_dword v12, off, s[0:3], 0 offset:360
	buffer_load_dword v13, off, s[0:3], 0 offset:364
	;; [unrolled: 1-line block ×10, first 2 shown]
	ds_read_b128 v[4:7], v2 offset:768
	ds_read_b128 v[8:11], v2 offset:784
	v_cmp_lt_u32_e32 vcc, 44, v0
	s_waitcnt vmcnt(6)
	v_mov_b32_e32 v2, v15
	s_waitcnt lgkmcnt(1)
	v_pk_mul_f32 v[2:3], v[4:5], v[2:3] op_sel_hi:[1,0]
	v_pk_fma_f32 v[22:23], v[4:5], v[14:15], v[2:3] op_sel:[0,0,1] op_sel_hi:[1,1,0] neg_lo:[0,0,1] neg_hi:[0,0,1]
	v_pk_fma_f32 v[2:3], v[4:5], v[14:15], v[2:3] op_sel:[0,0,1] op_sel_hi:[1,0,0]
	s_waitcnt vmcnt(4)
	v_mov_b32_e32 v4, v17
	v_pk_mul_f32 v[4:5], v[6:7], v[4:5] op_sel_hi:[1,0]
	v_pk_fma_f32 v[14:15], v[6:7], v[16:17], v[4:5] op_sel:[0,0,1] op_sel_hi:[1,1,0] neg_lo:[0,0,1] neg_hi:[0,0,1]
	v_pk_fma_f32 v[4:5], v[6:7], v[16:17], v[4:5] op_sel:[0,0,1] op_sel_hi:[1,0,0]
	s_waitcnt vmcnt(2)
	v_mov_b32_e32 v4, v19
	v_mov_b32_e32 v15, v5
	s_waitcnt lgkmcnt(0)
	v_pk_mul_f32 v[4:5], v[8:9], v[4:5] op_sel_hi:[1,0]
	v_mov_b32_e32 v23, v3
	v_pk_fma_f32 v[6:7], v[8:9], v[18:19], v[4:5] op_sel:[0,0,1] op_sel_hi:[1,1,0] neg_lo:[0,0,1] neg_hi:[0,0,1]
	v_pk_fma_f32 v[4:5], v[8:9], v[18:19], v[4:5] op_sel:[0,0,1] op_sel_hi:[1,0,0]
	v_pk_add_f32 v[2:3], v[22:23], 0 op_sel_hi:[1,0]
	s_waitcnt vmcnt(0)
	v_mov_b32_e32 v4, v21
	v_pk_add_f32 v[2:3], v[2:3], v[14:15]
	v_mov_b32_e32 v7, v5
	v_pk_mul_f32 v[4:5], v[10:11], v[4:5] op_sel_hi:[1,0]
	v_pk_add_f32 v[2:3], v[2:3], v[6:7]
	v_pk_fma_f32 v[6:7], v[10:11], v[20:21], v[4:5] op_sel:[0,0,1] op_sel_hi:[1,1,0] neg_lo:[0,0,1] neg_hi:[0,0,1]
	v_pk_fma_f32 v[4:5], v[10:11], v[20:21], v[4:5] op_sel:[0,0,1] op_sel_hi:[1,0,0]
	v_mov_b32_e32 v7, v5
	v_pk_add_f32 v[2:3], v[2:3], v[6:7]
	v_pk_add_f32 v[2:3], v[12:13], v[2:3] neg_lo:[0,1] neg_hi:[0,1]
	buffer_store_dword v2, off, s[0:3], 0 offset:360
	buffer_store_dword v3, off, s[0:3], 0 offset:364
	s_and_saveexec_b64 s[4:5], vcc
	s_cbranch_execz .LBB113_225
; %bb.224:
	buffer_load_dword v2, off, s[0:3], 0 offset:352
	buffer_load_dword v3, off, s[0:3], 0 offset:356
	v_mov_b32_e32 v4, 0
	buffer_store_dword v4, off, s[0:3], 0 offset:352
	buffer_store_dword v4, off, s[0:3], 0 offset:356
	s_waitcnt vmcnt(2)
	ds_write_b64 v111, v[2:3]
.LBB113_225:
	s_or_b64 exec, exec, s[4:5]
	s_waitcnt lgkmcnt(0)
	; wave barrier
	s_waitcnt lgkmcnt(0)
	buffer_load_dword v13, off, s[0:3], 0 offset:364
	buffer_load_dword v15, off, s[0:3], 0 offset:372
	;; [unrolled: 1-line block ×12, first 2 shown]
	v_mov_b32_e32 v2, 0
	ds_read2_b64 v[4:7], v2 offset0:95 offset1:96
	ds_read2_b64 v[8:11], v2 offset0:97 offset1:98
	ds_read_b64 v[24:25], v2 offset:792
	v_cmp_lt_u32_e32 vcc, 43, v0
	s_waitcnt vmcnt(11)
	v_mov_b32_e32 v26, v13
	s_waitcnt vmcnt(10)
	v_mov_b32_e32 v28, v15
	s_waitcnt lgkmcnt(2)
	v_pk_mul_f32 v[26:27], v[4:5], v[26:27] op_sel_hi:[1,0]
	s_waitcnt vmcnt(9)
	v_mov_b32_e32 v30, v17
	v_pk_mul_f32 v[28:29], v[6:7], v[28:29] op_sel_hi:[1,0]
	s_waitcnt vmcnt(6)
	v_pk_fma_f32 v[36:37], v[4:5], v[12:13], v[26:27] op_sel:[0,0,1] op_sel_hi:[1,1,0] neg_lo:[0,0,1] neg_hi:[0,0,1]
	v_pk_fma_f32 v[4:5], v[4:5], v[12:13], v[26:27] op_sel:[0,0,1] op_sel_hi:[1,0,0]
	v_mov_b32_e32 v32, v19
	s_waitcnt lgkmcnt(1)
	v_pk_mul_f32 v[30:31], v[8:9], v[30:31] op_sel_hi:[1,0]
	s_waitcnt vmcnt(5)
	v_pk_fma_f32 v[12:13], v[6:7], v[14:15], v[28:29] op_sel:[0,0,1] op_sel_hi:[1,1,0] neg_lo:[0,0,1] neg_hi:[0,0,1]
	v_pk_fma_f32 v[6:7], v[6:7], v[14:15], v[28:29] op_sel:[0,0,1] op_sel_hi:[1,0,0]
	v_mov_b32_e32 v37, v5
	v_mov_b32_e32 v34, v21
	v_pk_mul_f32 v[32:33], v[10:11], v[32:33] op_sel_hi:[1,0]
	s_waitcnt vmcnt(4)
	v_pk_fma_f32 v[14:15], v[8:9], v[16:17], v[30:31] op_sel:[0,0,1] op_sel_hi:[1,1,0] neg_lo:[0,0,1] neg_hi:[0,0,1]
	v_pk_fma_f32 v[8:9], v[8:9], v[16:17], v[30:31] op_sel:[0,0,1] op_sel_hi:[1,0,0]
	v_mov_b32_e32 v13, v7
	v_pk_add_f32 v[4:5], v[36:37], 0 op_sel_hi:[1,0]
	s_waitcnt lgkmcnt(0)
	v_pk_mul_f32 v[34:35], v[24:25], v[34:35] op_sel_hi:[1,0]
	s_waitcnt vmcnt(3)
	v_pk_fma_f32 v[16:17], v[10:11], v[18:19], v[32:33] op_sel:[0,0,1] op_sel_hi:[1,1,0] neg_lo:[0,0,1] neg_hi:[0,0,1]
	v_pk_fma_f32 v[10:11], v[10:11], v[18:19], v[32:33] op_sel:[0,0,1] op_sel_hi:[1,0,0]
	v_mov_b32_e32 v15, v9
	v_pk_add_f32 v[4:5], v[4:5], v[12:13]
	s_waitcnt vmcnt(2)
	v_pk_fma_f32 v[18:19], v[24:25], v[20:21], v[34:35] op_sel:[0,0,1] op_sel_hi:[1,1,0] neg_lo:[0,0,1] neg_hi:[0,0,1]
	v_pk_fma_f32 v[20:21], v[24:25], v[20:21], v[34:35] op_sel:[0,0,1] op_sel_hi:[1,0,0]
	v_mov_b32_e32 v17, v11
	v_pk_add_f32 v[4:5], v[4:5], v[14:15]
	v_mov_b32_e32 v19, v21
	v_pk_add_f32 v[4:5], v[4:5], v[16:17]
	v_pk_add_f32 v[4:5], v[4:5], v[18:19]
	s_waitcnt vmcnt(0)
	v_pk_add_f32 v[4:5], v[22:23], v[4:5] neg_lo:[0,1] neg_hi:[0,1]
	buffer_store_dword v4, off, s[0:3], 0 offset:352
	buffer_store_dword v5, off, s[0:3], 0 offset:356
	s_and_saveexec_b64 s[4:5], vcc
	s_cbranch_execz .LBB113_227
; %bb.226:
	buffer_load_dword v4, off, s[0:3], 0 offset:344
	buffer_load_dword v5, off, s[0:3], 0 offset:348
	s_waitcnt vmcnt(0)
	ds_write_b64 v111, v[4:5]
	buffer_store_dword v2, off, s[0:3], 0 offset:344
	buffer_store_dword v2, off, s[0:3], 0 offset:348
.LBB113_227:
	s_or_b64 exec, exec, s[4:5]
	s_waitcnt lgkmcnt(0)
	; wave barrier
	s_waitcnt lgkmcnt(0)
	buffer_load_dword v17, off, s[0:3], 0 offset:356
	buffer_load_dword v19, off, s[0:3], 0 offset:364
	;; [unrolled: 1-line block ×14, first 2 shown]
	ds_read_b128 v[4:7], v2 offset:752
	ds_read_b128 v[8:11], v2 offset:768
	;; [unrolled: 1-line block ×3, first 2 shown]
	v_cmp_lt_u32_e32 vcc, 42, v0
	s_waitcnt vmcnt(13)
	v_mov_b32_e32 v2, v17
	s_waitcnt vmcnt(12)
	v_mov_b32_e32 v30, v19
	s_waitcnt lgkmcnt(2)
	v_pk_mul_f32 v[2:3], v[4:5], v[2:3] op_sel_hi:[1,0]
	s_waitcnt vmcnt(11)
	v_mov_b32_e32 v32, v21
	v_pk_mul_f32 v[30:31], v[6:7], v[30:31] op_sel_hi:[1,0]
	s_waitcnt vmcnt(10)
	v_mov_b32_e32 v34, v23
	s_waitcnt vmcnt(7)
	v_pk_fma_f32 v[40:41], v[4:5], v[16:17], v[2:3] op_sel:[0,0,1] op_sel_hi:[1,1,0] neg_lo:[0,0,1] neg_hi:[0,0,1]
	v_pk_fma_f32 v[2:3], v[4:5], v[16:17], v[2:3] op_sel:[0,0,1] op_sel_hi:[1,0,0]
	s_waitcnt lgkmcnt(1)
	v_pk_mul_f32 v[32:33], v[8:9], v[32:33] op_sel_hi:[1,0]
	s_waitcnt vmcnt(6)
	v_pk_fma_f32 v[4:5], v[6:7], v[18:19], v[30:31] op_sel:[0,0,1] op_sel_hi:[1,1,0] neg_lo:[0,0,1] neg_hi:[0,0,1]
	v_pk_fma_f32 v[6:7], v[6:7], v[18:19], v[30:31] op_sel:[0,0,1] op_sel_hi:[1,0,0]
	v_mov_b32_e32 v41, v3
	v_mov_b32_e32 v36, v25
	v_pk_mul_f32 v[34:35], v[10:11], v[34:35] op_sel_hi:[1,0]
	s_waitcnt vmcnt(5)
	v_pk_fma_f32 v[16:17], v[8:9], v[20:21], v[32:33] op_sel:[0,0,1] op_sel_hi:[1,1,0] neg_lo:[0,0,1] neg_hi:[0,0,1]
	v_pk_fma_f32 v[8:9], v[8:9], v[20:21], v[32:33] op_sel:[0,0,1] op_sel_hi:[1,0,0]
	v_mov_b32_e32 v5, v7
	v_pk_add_f32 v[2:3], v[40:41], 0 op_sel_hi:[1,0]
	v_mov_b32_e32 v38, v27
	s_waitcnt lgkmcnt(0)
	v_pk_mul_f32 v[36:37], v[12:13], v[36:37] op_sel_hi:[1,0]
	s_waitcnt vmcnt(4)
	v_pk_fma_f32 v[18:19], v[10:11], v[22:23], v[34:35] op_sel:[0,0,1] op_sel_hi:[1,1,0] neg_lo:[0,0,1] neg_hi:[0,0,1]
	v_pk_fma_f32 v[10:11], v[10:11], v[22:23], v[34:35] op_sel:[0,0,1] op_sel_hi:[1,0,0]
	v_mov_b32_e32 v17, v9
	v_pk_add_f32 v[2:3], v[2:3], v[4:5]
	v_pk_mul_f32 v[38:39], v[14:15], v[38:39] op_sel_hi:[1,0]
	s_waitcnt vmcnt(3)
	v_pk_fma_f32 v[20:21], v[12:13], v[24:25], v[36:37] op_sel:[0,0,1] op_sel_hi:[1,1,0] neg_lo:[0,0,1] neg_hi:[0,0,1]
	v_pk_fma_f32 v[12:13], v[12:13], v[24:25], v[36:37] op_sel:[0,0,1] op_sel_hi:[1,0,0]
	v_mov_b32_e32 v19, v11
	v_pk_add_f32 v[2:3], v[2:3], v[16:17]
	s_waitcnt vmcnt(2)
	v_pk_fma_f32 v[22:23], v[14:15], v[26:27], v[38:39] op_sel:[0,0,1] op_sel_hi:[1,1,0] neg_lo:[0,0,1] neg_hi:[0,0,1]
	v_pk_fma_f32 v[14:15], v[14:15], v[26:27], v[38:39] op_sel:[0,0,1] op_sel_hi:[1,0,0]
	v_mov_b32_e32 v21, v13
	v_pk_add_f32 v[2:3], v[2:3], v[18:19]
	v_mov_b32_e32 v23, v15
	v_pk_add_f32 v[2:3], v[2:3], v[20:21]
	v_pk_add_f32 v[2:3], v[2:3], v[22:23]
	s_waitcnt vmcnt(0)
	v_pk_add_f32 v[2:3], v[28:29], v[2:3] neg_lo:[0,1] neg_hi:[0,1]
	buffer_store_dword v2, off, s[0:3], 0 offset:344
	buffer_store_dword v3, off, s[0:3], 0 offset:348
	s_and_saveexec_b64 s[4:5], vcc
	s_cbranch_execz .LBB113_229
; %bb.228:
	buffer_load_dword v2, off, s[0:3], 0 offset:336
	buffer_load_dword v3, off, s[0:3], 0 offset:340
	v_mov_b32_e32 v4, 0
	buffer_store_dword v4, off, s[0:3], 0 offset:336
	buffer_store_dword v4, off, s[0:3], 0 offset:340
	s_waitcnt vmcnt(2)
	ds_write_b64 v111, v[2:3]
.LBB113_229:
	s_or_b64 exec, exec, s[4:5]
	s_waitcnt lgkmcnt(0)
	; wave barrier
	s_waitcnt lgkmcnt(0)
	buffer_load_dword v17, off, s[0:3], 0 offset:348
	buffer_load_dword v19, off, s[0:3], 0 offset:356
	;; [unrolled: 1-line block ×16, first 2 shown]
	v_mov_b32_e32 v2, 0
	ds_read2_b64 v[4:7], v2 offset0:93 offset1:94
	ds_read2_b64 v[8:11], v2 offset0:95 offset1:96
	;; [unrolled: 1-line block ×3, first 2 shown]
	ds_read_b64 v[32:33], v2 offset:792
	v_cmp_lt_u32_e32 vcc, 41, v0
	s_waitcnt vmcnt(15)
	v_mov_b32_e32 v34, v17
	s_waitcnt vmcnt(14)
	v_mov_b32_e32 v36, v19
	s_waitcnt lgkmcnt(3)
	v_pk_mul_f32 v[34:35], v[4:5], v[34:35] op_sel_hi:[1,0]
	s_waitcnt vmcnt(13)
	v_mov_b32_e32 v38, v21
	v_pk_mul_f32 v[36:37], v[6:7], v[36:37] op_sel_hi:[1,0]
	s_waitcnt vmcnt(12)
	v_mov_b32_e32 v40, v23
	s_waitcnt lgkmcnt(2)
	v_pk_mul_f32 v[38:39], v[8:9], v[38:39] op_sel_hi:[1,0]
	s_waitcnt vmcnt(8)
	v_pk_fma_f32 v[48:49], v[4:5], v[16:17], v[34:35] op_sel:[0,0,1] op_sel_hi:[1,1,0] neg_lo:[0,0,1] neg_hi:[0,0,1]
	v_pk_fma_f32 v[4:5], v[4:5], v[16:17], v[34:35] op_sel:[0,0,1] op_sel_hi:[1,0,0]
	s_waitcnt vmcnt(7)
	v_pk_fma_f32 v[16:17], v[6:7], v[18:19], v[36:37] op_sel:[0,0,1] op_sel_hi:[1,1,0] neg_lo:[0,0,1] neg_hi:[0,0,1]
	v_pk_fma_f32 v[6:7], v[6:7], v[18:19], v[36:37] op_sel:[0,0,1] op_sel_hi:[1,0,0]
	v_mov_b32_e32 v49, v5
	v_mov_b32_e32 v42, v25
	v_pk_mul_f32 v[40:41], v[10:11], v[40:41] op_sel_hi:[1,0]
	s_waitcnt vmcnt(6)
	v_pk_fma_f32 v[18:19], v[8:9], v[20:21], v[38:39] op_sel:[0,0,1] op_sel_hi:[1,1,0] neg_lo:[0,0,1] neg_hi:[0,0,1]
	v_pk_fma_f32 v[8:9], v[8:9], v[20:21], v[38:39] op_sel:[0,0,1] op_sel_hi:[1,0,0]
	v_mov_b32_e32 v17, v7
	v_pk_add_f32 v[4:5], v[48:49], 0 op_sel_hi:[1,0]
	v_mov_b32_e32 v44, v27
	s_waitcnt lgkmcnt(1)
	v_pk_mul_f32 v[42:43], v[12:13], v[42:43] op_sel_hi:[1,0]
	s_waitcnt vmcnt(5)
	v_pk_fma_f32 v[20:21], v[10:11], v[22:23], v[40:41] op_sel:[0,0,1] op_sel_hi:[1,1,0] neg_lo:[0,0,1] neg_hi:[0,0,1]
	v_pk_fma_f32 v[10:11], v[10:11], v[22:23], v[40:41] op_sel:[0,0,1] op_sel_hi:[1,0,0]
	v_mov_b32_e32 v19, v9
	v_pk_add_f32 v[4:5], v[4:5], v[16:17]
	v_mov_b32_e32 v46, v29
	v_pk_mul_f32 v[44:45], v[14:15], v[44:45] op_sel_hi:[1,0]
	s_waitcnt vmcnt(4)
	v_pk_fma_f32 v[22:23], v[12:13], v[24:25], v[42:43] op_sel:[0,0,1] op_sel_hi:[1,1,0] neg_lo:[0,0,1] neg_hi:[0,0,1]
	v_pk_fma_f32 v[12:13], v[12:13], v[24:25], v[42:43] op_sel:[0,0,1] op_sel_hi:[1,0,0]
	v_mov_b32_e32 v21, v11
	v_pk_add_f32 v[4:5], v[4:5], v[18:19]
	s_waitcnt lgkmcnt(0)
	v_pk_mul_f32 v[46:47], v[32:33], v[46:47] op_sel_hi:[1,0]
	s_waitcnt vmcnt(3)
	v_pk_fma_f32 v[24:25], v[14:15], v[26:27], v[44:45] op_sel:[0,0,1] op_sel_hi:[1,1,0] neg_lo:[0,0,1] neg_hi:[0,0,1]
	v_pk_fma_f32 v[14:15], v[14:15], v[26:27], v[44:45] op_sel:[0,0,1] op_sel_hi:[1,0,0]
	v_mov_b32_e32 v23, v13
	v_pk_add_f32 v[4:5], v[4:5], v[20:21]
	s_waitcnt vmcnt(2)
	v_pk_fma_f32 v[26:27], v[32:33], v[28:29], v[46:47] op_sel:[0,0,1] op_sel_hi:[1,1,0] neg_lo:[0,0,1] neg_hi:[0,0,1]
	v_pk_fma_f32 v[28:29], v[32:33], v[28:29], v[46:47] op_sel:[0,0,1] op_sel_hi:[1,0,0]
	v_mov_b32_e32 v25, v15
	v_pk_add_f32 v[4:5], v[4:5], v[22:23]
	v_mov_b32_e32 v27, v29
	v_pk_add_f32 v[4:5], v[4:5], v[24:25]
	v_pk_add_f32 v[4:5], v[4:5], v[26:27]
	s_waitcnt vmcnt(0)
	v_pk_add_f32 v[4:5], v[30:31], v[4:5] neg_lo:[0,1] neg_hi:[0,1]
	buffer_store_dword v4, off, s[0:3], 0 offset:336
	buffer_store_dword v5, off, s[0:3], 0 offset:340
	s_and_saveexec_b64 s[4:5], vcc
	s_cbranch_execz .LBB113_231
; %bb.230:
	buffer_load_dword v4, off, s[0:3], 0 offset:328
	buffer_load_dword v5, off, s[0:3], 0 offset:332
	s_waitcnt vmcnt(0)
	ds_write_b64 v111, v[4:5]
	buffer_store_dword v2, off, s[0:3], 0 offset:328
	buffer_store_dword v2, off, s[0:3], 0 offset:332
.LBB113_231:
	s_or_b64 exec, exec, s[4:5]
	s_waitcnt lgkmcnt(0)
	; wave barrier
	s_waitcnt lgkmcnt(0)
	buffer_load_dword v21, off, s[0:3], 0 offset:340
	buffer_load_dword v23, off, s[0:3], 0 offset:348
	;; [unrolled: 1-line block ×18, first 2 shown]
	ds_read_b128 v[4:7], v2 offset:736
	ds_read_b128 v[8:11], v2 offset:752
	;; [unrolled: 1-line block ×4, first 2 shown]
	v_cmp_lt_u32_e32 vcc, 40, v0
	s_waitcnt vmcnt(17)
	v_mov_b32_e32 v2, v21
	s_waitcnt vmcnt(16)
	v_mov_b32_e32 v38, v23
	s_waitcnt lgkmcnt(3)
	v_pk_mul_f32 v[2:3], v[4:5], v[2:3] op_sel_hi:[1,0]
	s_waitcnt vmcnt(15)
	v_mov_b32_e32 v40, v25
	v_pk_mul_f32 v[38:39], v[6:7], v[38:39] op_sel_hi:[1,0]
	s_waitcnt vmcnt(14)
	v_mov_b32_e32 v42, v27
	s_waitcnt lgkmcnt(2)
	v_pk_mul_f32 v[40:41], v[8:9], v[40:41] op_sel_hi:[1,0]
	s_waitcnt vmcnt(13)
	v_mov_b32_e32 v44, v29
	s_waitcnt vmcnt(9)
	v_pk_fma_f32 v[52:53], v[4:5], v[20:21], v[2:3] op_sel:[0,0,1] op_sel_hi:[1,1,0] neg_lo:[0,0,1] neg_hi:[0,0,1]
	v_pk_fma_f32 v[2:3], v[4:5], v[20:21], v[2:3] op_sel:[0,0,1] op_sel_hi:[1,0,0]
	s_waitcnt vmcnt(8)
	v_pk_fma_f32 v[4:5], v[6:7], v[22:23], v[38:39] op_sel:[0,0,1] op_sel_hi:[1,1,0] neg_lo:[0,0,1] neg_hi:[0,0,1]
	v_pk_fma_f32 v[6:7], v[6:7], v[22:23], v[38:39] op_sel:[0,0,1] op_sel_hi:[1,0,0]
	v_mov_b32_e32 v53, v3
	v_pk_mul_f32 v[42:43], v[10:11], v[42:43] op_sel_hi:[1,0]
	s_waitcnt vmcnt(7)
	v_pk_fma_f32 v[20:21], v[8:9], v[24:25], v[40:41] op_sel:[0,0,1] op_sel_hi:[1,1,0] neg_lo:[0,0,1] neg_hi:[0,0,1]
	v_pk_fma_f32 v[8:9], v[8:9], v[24:25], v[40:41] op_sel:[0,0,1] op_sel_hi:[1,0,0]
	v_mov_b32_e32 v5, v7
	v_pk_add_f32 v[2:3], v[52:53], 0 op_sel_hi:[1,0]
	v_mov_b32_e32 v46, v31
	s_waitcnt lgkmcnt(1)
	v_pk_mul_f32 v[44:45], v[12:13], v[44:45] op_sel_hi:[1,0]
	s_waitcnt vmcnt(6)
	v_pk_fma_f32 v[22:23], v[10:11], v[26:27], v[42:43] op_sel:[0,0,1] op_sel_hi:[1,1,0] neg_lo:[0,0,1] neg_hi:[0,0,1]
	v_pk_fma_f32 v[10:11], v[10:11], v[26:27], v[42:43] op_sel:[0,0,1] op_sel_hi:[1,0,0]
	v_mov_b32_e32 v21, v9
	v_pk_add_f32 v[2:3], v[2:3], v[4:5]
	v_mov_b32_e32 v48, v33
	v_pk_mul_f32 v[46:47], v[14:15], v[46:47] op_sel_hi:[1,0]
	s_waitcnt vmcnt(5)
	v_pk_fma_f32 v[24:25], v[12:13], v[28:29], v[44:45] op_sel:[0,0,1] op_sel_hi:[1,1,0] neg_lo:[0,0,1] neg_hi:[0,0,1]
	v_pk_fma_f32 v[12:13], v[12:13], v[28:29], v[44:45] op_sel:[0,0,1] op_sel_hi:[1,0,0]
	v_mov_b32_e32 v23, v11
	v_pk_add_f32 v[2:3], v[2:3], v[20:21]
	v_mov_b32_e32 v50, v35
	s_waitcnt lgkmcnt(0)
	v_pk_mul_f32 v[48:49], v[16:17], v[48:49] op_sel_hi:[1,0]
	s_waitcnt vmcnt(4)
	v_pk_fma_f32 v[26:27], v[14:15], v[30:31], v[46:47] op_sel:[0,0,1] op_sel_hi:[1,1,0] neg_lo:[0,0,1] neg_hi:[0,0,1]
	v_pk_fma_f32 v[14:15], v[14:15], v[30:31], v[46:47] op_sel:[0,0,1] op_sel_hi:[1,0,0]
	v_mov_b32_e32 v25, v13
	v_pk_add_f32 v[2:3], v[2:3], v[22:23]
	v_pk_mul_f32 v[50:51], v[18:19], v[50:51] op_sel_hi:[1,0]
	s_waitcnt vmcnt(3)
	v_pk_fma_f32 v[28:29], v[16:17], v[32:33], v[48:49] op_sel:[0,0,1] op_sel_hi:[1,1,0] neg_lo:[0,0,1] neg_hi:[0,0,1]
	v_pk_fma_f32 v[16:17], v[16:17], v[32:33], v[48:49] op_sel:[0,0,1] op_sel_hi:[1,0,0]
	v_mov_b32_e32 v27, v15
	v_pk_add_f32 v[2:3], v[2:3], v[24:25]
	s_waitcnt vmcnt(2)
	v_pk_fma_f32 v[30:31], v[18:19], v[34:35], v[50:51] op_sel:[0,0,1] op_sel_hi:[1,1,0] neg_lo:[0,0,1] neg_hi:[0,0,1]
	v_pk_fma_f32 v[18:19], v[18:19], v[34:35], v[50:51] op_sel:[0,0,1] op_sel_hi:[1,0,0]
	v_mov_b32_e32 v29, v17
	v_pk_add_f32 v[2:3], v[2:3], v[26:27]
	v_mov_b32_e32 v31, v19
	v_pk_add_f32 v[2:3], v[2:3], v[28:29]
	v_pk_add_f32 v[2:3], v[2:3], v[30:31]
	s_waitcnt vmcnt(0)
	v_pk_add_f32 v[2:3], v[36:37], v[2:3] neg_lo:[0,1] neg_hi:[0,1]
	buffer_store_dword v2, off, s[0:3], 0 offset:328
	buffer_store_dword v3, off, s[0:3], 0 offset:332
	s_and_saveexec_b64 s[4:5], vcc
	s_cbranch_execz .LBB113_233
; %bb.232:
	buffer_load_dword v2, off, s[0:3], 0 offset:320
	buffer_load_dword v3, off, s[0:3], 0 offset:324
	v_mov_b32_e32 v4, 0
	buffer_store_dword v4, off, s[0:3], 0 offset:320
	buffer_store_dword v4, off, s[0:3], 0 offset:324
	s_waitcnt vmcnt(2)
	ds_write_b64 v111, v[2:3]
.LBB113_233:
	s_or_b64 exec, exec, s[4:5]
	s_waitcnt lgkmcnt(0)
	; wave barrier
	s_waitcnt lgkmcnt(0)
	buffer_load_dword v3, off, s[0:3], 0 offset:332
	buffer_load_dword v21, off, s[0:3], 0 offset:340
	;; [unrolled: 1-line block ×20, first 2 shown]
	v_mov_b32_e32 v2, 0
	ds_read2_b64 v[4:7], v2 offset0:91 offset1:92
	ds_read2_b64 v[8:11], v2 offset0:93 offset1:94
	;; [unrolled: 1-line block ×4, first 2 shown]
	ds_read_b64 v[38:39], v2 offset:792
	v_cmp_lt_u32_e32 vcc, 39, v0
	s_waitcnt vmcnt(19) lgkmcnt(4)
	v_mul_f32_e32 v41, v4, v3
	v_mul_f32_e32 v3, v5, v3
	s_waitcnt vmcnt(18)
	v_mov_b32_e32 v42, v21
	s_waitcnt vmcnt(17)
	v_mov_b32_e32 v44, v23
	;; [unrolled: 2-line block ×8, first 2 shown]
	s_waitcnt vmcnt(10)
	v_fmac_f32_e32 v41, v5, v40
	v_fma_f32 v40, v4, v40, -v3
	v_pk_mul_f32 v[4:5], v[6:7], v[42:43] op_sel_hi:[1,0]
	s_waitcnt lgkmcnt(3)
	v_pk_mul_f32 v[42:43], v[8:9], v[44:45] op_sel_hi:[1,0]
	v_pk_mul_f32 v[44:45], v[10:11], v[46:47] op_sel_hi:[1,0]
	s_waitcnt lgkmcnt(2)
	v_pk_mul_f32 v[46:47], v[12:13], v[48:49] op_sel_hi:[1,0]
	v_pk_mul_f32 v[48:49], v[14:15], v[50:51] op_sel_hi:[1,0]
	s_waitcnt lgkmcnt(1)
	v_pk_mul_f32 v[50:51], v[16:17], v[52:53] op_sel_hi:[1,0]
	v_pk_mul_f32 v[52:53], v[18:19], v[54:55] op_sel_hi:[1,0]
	s_waitcnt lgkmcnt(0)
	v_pk_mul_f32 v[54:55], v[38:39], v[56:57] op_sel_hi:[1,0]
	s_waitcnt vmcnt(9)
	v_pk_fma_f32 v[56:57], v[6:7], v[20:21], v[4:5] op_sel:[0,0,1] op_sel_hi:[1,1,0] neg_lo:[0,0,1] neg_hi:[0,0,1]
	v_pk_fma_f32 v[4:5], v[6:7], v[20:21], v[4:5] op_sel:[0,0,1] op_sel_hi:[1,0,0]
	v_pk_add_f32 v[40:41], v[40:41], 0 op_sel_hi:[1,0]
	s_waitcnt vmcnt(8)
	v_pk_fma_f32 v[6:7], v[8:9], v[22:23], v[42:43] op_sel:[0,0,1] op_sel_hi:[1,1,0] neg_lo:[0,0,1] neg_hi:[0,0,1]
	v_pk_fma_f32 v[8:9], v[8:9], v[22:23], v[42:43] op_sel:[0,0,1] op_sel_hi:[1,0,0]
	v_mov_b32_e32 v57, v5
	s_waitcnt vmcnt(7)
	v_pk_fma_f32 v[20:21], v[10:11], v[24:25], v[44:45] op_sel:[0,0,1] op_sel_hi:[1,1,0] neg_lo:[0,0,1] neg_hi:[0,0,1]
	v_pk_fma_f32 v[10:11], v[10:11], v[24:25], v[44:45] op_sel:[0,0,1] op_sel_hi:[1,0,0]
	v_mov_b32_e32 v7, v9
	v_pk_add_f32 v[4:5], v[40:41], v[56:57]
	s_waitcnt vmcnt(6)
	v_pk_fma_f32 v[22:23], v[12:13], v[26:27], v[46:47] op_sel:[0,0,1] op_sel_hi:[1,1,0] neg_lo:[0,0,1] neg_hi:[0,0,1]
	v_pk_fma_f32 v[12:13], v[12:13], v[26:27], v[46:47] op_sel:[0,0,1] op_sel_hi:[1,0,0]
	v_mov_b32_e32 v21, v11
	v_pk_add_f32 v[4:5], v[4:5], v[6:7]
	;; [unrolled: 5-line block ×5, first 2 shown]
	v_pk_fma_f32 v[30:31], v[38:39], v[34:35], v[54:55] op_sel:[0,0,1] op_sel_hi:[1,1,0] neg_lo:[0,0,1] neg_hi:[0,0,1]
	v_pk_fma_f32 v[32:33], v[38:39], v[34:35], v[54:55] op_sel:[0,0,1] op_sel_hi:[1,0,0]
	v_mov_b32_e32 v29, v19
	v_pk_add_f32 v[4:5], v[4:5], v[26:27]
	v_mov_b32_e32 v31, v33
	v_pk_add_f32 v[4:5], v[4:5], v[28:29]
	v_pk_add_f32 v[4:5], v[4:5], v[30:31]
	s_waitcnt vmcnt(0)
	v_pk_add_f32 v[4:5], v[36:37], v[4:5] neg_lo:[0,1] neg_hi:[0,1]
	buffer_store_dword v4, off, s[0:3], 0 offset:320
	buffer_store_dword v5, off, s[0:3], 0 offset:324
	s_and_saveexec_b64 s[4:5], vcc
	s_cbranch_execz .LBB113_235
; %bb.234:
	buffer_load_dword v4, off, s[0:3], 0 offset:312
	buffer_load_dword v5, off, s[0:3], 0 offset:316
	s_waitcnt vmcnt(0)
	ds_write_b64 v111, v[4:5]
	buffer_store_dword v2, off, s[0:3], 0 offset:312
	buffer_store_dword v2, off, s[0:3], 0 offset:316
.LBB113_235:
	s_or_b64 exec, exec, s[4:5]
	s_waitcnt lgkmcnt(0)
	; wave barrier
	s_waitcnt lgkmcnt(0)
	buffer_load_dword v42, off, s[0:3], 0 offset:324
	buffer_load_dword v44, off, s[0:3], 0 offset:332
	;; [unrolled: 1-line block ×22, first 2 shown]
	ds_read_b128 v[4:7], v2 offset:720
	ds_read_b128 v[8:11], v2 offset:736
	;; [unrolled: 1-line block ×5, first 2 shown]
	v_cmp_lt_u32_e32 vcc, 38, v0
	s_waitcnt vmcnt(21) lgkmcnt(4)
	v_mul_f32_e32 v3, v4, v42
	s_waitcnt vmcnt(20)
	v_mul_f32_e32 v43, v6, v44
	v_mul_f32_e32 v2, v5, v42
	;; [unrolled: 1-line block ×3, first 2 shown]
	s_waitcnt vmcnt(19)
	v_mov_b32_e32 v44, v25
	s_waitcnt vmcnt(18)
	v_mov_b32_e32 v46, v27
	s_waitcnt vmcnt(17)
	v_mov_b32_e32 v48, v29
	s_waitcnt vmcnt(15)
	v_mov_b32_e32 v52, v33
	s_waitcnt vmcnt(13)
	v_mov_b32_e32 v56, v37
	v_mov_b32_e32 v50, v31
	s_waitcnt vmcnt(11)
	v_fmac_f32_e32 v3, v5, v45
	v_fma_f32 v2, v4, v45, -v2
	s_waitcnt lgkmcnt(3)
	v_pk_mul_f32 v[4:5], v[8:9], v[44:45] op_sel_hi:[1,0]
	s_waitcnt vmcnt(10)
	v_fmac_f32_e32 v43, v7, v47
	v_fma_f32 v42, v6, v47, -v42
	v_pk_mul_f32 v[6:7], v[10:11], v[46:47] op_sel_hi:[1,0]
	s_waitcnt lgkmcnt(2)
	v_pk_mul_f32 v[44:45], v[12:13], v[48:49] op_sel_hi:[1,0]
	s_waitcnt lgkmcnt(1)
	;; [unrolled: 2-line block ×3, first 2 shown]
	v_pk_mul_f32 v[52:53], v[20:21], v[56:57] op_sel_hi:[1,0]
	v_pk_add_f32 v[2:3], v[2:3], 0 op_sel_hi:[1,0]
	s_waitcnt vmcnt(9)
	v_pk_fma_f32 v[56:57], v[8:9], v[24:25], v[4:5] op_sel:[0,0,1] op_sel_hi:[1,1,0] neg_lo:[0,0,1] neg_hi:[0,0,1]
	v_pk_fma_f32 v[4:5], v[8:9], v[24:25], v[4:5] op_sel:[0,0,1] op_sel_hi:[1,0,0]
	s_waitcnt vmcnt(8)
	v_pk_fma_f32 v[8:9], v[10:11], v[26:27], v[6:7] op_sel:[0,0,1] op_sel_hi:[1,1,0] neg_lo:[0,0,1] neg_hi:[0,0,1]
	v_pk_fma_f32 v[6:7], v[10:11], v[26:27], v[6:7] op_sel:[0,0,1] op_sel_hi:[1,0,0]
	v_pk_add_f32 v[2:3], v[2:3], v[42:43]
	v_mov_b32_e32 v57, v5
	v_pk_mul_f32 v[46:47], v[14:15], v[50:51] op_sel_hi:[1,0]
	s_waitcnt vmcnt(7)
	v_pk_fma_f32 v[10:11], v[12:13], v[28:29], v[44:45] op_sel:[0,0,1] op_sel_hi:[1,1,0] neg_lo:[0,0,1] neg_hi:[0,0,1]
	v_pk_fma_f32 v[12:13], v[12:13], v[28:29], v[44:45] op_sel:[0,0,1] op_sel_hi:[1,0,0]
	v_mov_b32_e32 v9, v7
	v_pk_add_f32 v[2:3], v[2:3], v[56:57]
	v_mov_b32_e32 v54, v35
	s_waitcnt vmcnt(6)
	v_pk_fma_f32 v[24:25], v[14:15], v[30:31], v[46:47] op_sel:[0,0,1] op_sel_hi:[1,1,0] neg_lo:[0,0,1] neg_hi:[0,0,1]
	v_pk_fma_f32 v[14:15], v[14:15], v[30:31], v[46:47] op_sel:[0,0,1] op_sel_hi:[1,0,0]
	v_mov_b32_e32 v11, v13
	v_pk_add_f32 v[2:3], v[2:3], v[8:9]
	v_pk_mul_f32 v[50:51], v[18:19], v[54:55] op_sel_hi:[1,0]
	s_waitcnt vmcnt(5)
	v_pk_fma_f32 v[26:27], v[16:17], v[32:33], v[48:49] op_sel:[0,0,1] op_sel_hi:[1,1,0] neg_lo:[0,0,1] neg_hi:[0,0,1]
	v_pk_fma_f32 v[16:17], v[16:17], v[32:33], v[48:49] op_sel:[0,0,1] op_sel_hi:[1,0,0]
	v_mov_b32_e32 v25, v15
	v_pk_add_f32 v[2:3], v[2:3], v[10:11]
	v_mov_b32_e32 v58, v39
	s_waitcnt vmcnt(2)
	v_pk_fma_f32 v[28:29], v[18:19], v[34:35], v[50:51] op_sel:[0,0,1] op_sel_hi:[1,1,0] neg_lo:[0,0,1] neg_hi:[0,0,1]
	v_pk_fma_f32 v[18:19], v[18:19], v[34:35], v[50:51] op_sel:[0,0,1] op_sel_hi:[1,0,0]
	v_mov_b32_e32 v27, v17
	v_pk_add_f32 v[2:3], v[2:3], v[24:25]
	v_pk_mul_f32 v[54:55], v[22:23], v[58:59] op_sel_hi:[1,0]
	v_pk_fma_f32 v[30:31], v[20:21], v[36:37], v[52:53] op_sel:[0,0,1] op_sel_hi:[1,1,0] neg_lo:[0,0,1] neg_hi:[0,0,1]
	v_pk_fma_f32 v[20:21], v[20:21], v[36:37], v[52:53] op_sel:[0,0,1] op_sel_hi:[1,0,0]
	v_mov_b32_e32 v29, v19
	v_pk_add_f32 v[2:3], v[2:3], v[26:27]
	v_pk_fma_f32 v[32:33], v[22:23], v[38:39], v[54:55] op_sel:[0,0,1] op_sel_hi:[1,1,0] neg_lo:[0,0,1] neg_hi:[0,0,1]
	v_pk_fma_f32 v[22:23], v[22:23], v[38:39], v[54:55] op_sel:[0,0,1] op_sel_hi:[1,0,0]
	v_mov_b32_e32 v31, v21
	v_pk_add_f32 v[2:3], v[2:3], v[28:29]
	v_mov_b32_e32 v33, v23
	v_pk_add_f32 v[2:3], v[2:3], v[30:31]
	v_pk_add_f32 v[2:3], v[2:3], v[32:33]
	s_waitcnt vmcnt(0)
	v_pk_add_f32 v[2:3], v[40:41], v[2:3] neg_lo:[0,1] neg_hi:[0,1]
	buffer_store_dword v2, off, s[0:3], 0 offset:312
	buffer_store_dword v3, off, s[0:3], 0 offset:316
	s_and_saveexec_b64 s[4:5], vcc
	s_cbranch_execz .LBB113_237
; %bb.236:
	buffer_load_dword v2, off, s[0:3], 0 offset:304
	buffer_load_dword v3, off, s[0:3], 0 offset:308
	v_mov_b32_e32 v4, 0
	buffer_store_dword v4, off, s[0:3], 0 offset:304
	buffer_store_dword v4, off, s[0:3], 0 offset:308
	s_waitcnt vmcnt(2)
	ds_write_b64 v111, v[2:3]
.LBB113_237:
	s_or_b64 exec, exec, s[4:5]
	s_waitcnt lgkmcnt(0)
	; wave barrier
	s_waitcnt lgkmcnt(0)
	buffer_load_dword v3, off, s[0:3], 0 offset:316
	buffer_load_dword v44, off, s[0:3], 0 offset:324
	buffer_load_dword v46, off, s[0:3], 0 offset:332
	buffer_load_dword v25, off, s[0:3], 0 offset:340
	buffer_load_dword v27, off, s[0:3], 0 offset:348
	buffer_load_dword v29, off, s[0:3], 0 offset:356
	buffer_load_dword v31, off, s[0:3], 0 offset:364
	buffer_load_dword v33, off, s[0:3], 0 offset:372
	buffer_load_dword v35, off, s[0:3], 0 offset:380
	buffer_load_dword v37, off, s[0:3], 0 offset:388
	buffer_load_dword v39, off, s[0:3], 0 offset:396
	buffer_load_dword v49, off, s[0:3], 0 offset:312
	buffer_load_dword v51, off, s[0:3], 0 offset:320
	buffer_load_dword v53, off, s[0:3], 0 offset:328
	buffer_load_dword v24, off, s[0:3], 0 offset:336
	buffer_load_dword v26, off, s[0:3], 0 offset:344
	buffer_load_dword v28, off, s[0:3], 0 offset:352
	buffer_load_dword v30, off, s[0:3], 0 offset:360
	buffer_load_dword v38, off, s[0:3], 0 offset:392
	buffer_load_dword v36, off, s[0:3], 0 offset:384
	buffer_load_dword v34, off, s[0:3], 0 offset:376
	buffer_load_dword v32, off, s[0:3], 0 offset:368
	buffer_load_dword v40, off, s[0:3], 0 offset:304
	buffer_load_dword v41, off, s[0:3], 0 offset:308
	v_mov_b32_e32 v2, 0
	ds_read2_b64 v[4:7], v2 offset0:89 offset1:90
	ds_read2_b64 v[8:11], v2 offset0:91 offset1:92
	;; [unrolled: 1-line block ×5, first 2 shown]
	ds_read_b64 v[42:43], v2 offset:792
	v_cmp_lt_u32_e32 vcc, 37, v0
	s_waitcnt vmcnt(23) lgkmcnt(5)
	v_mul_f32_e32 v57, v4, v3
	v_mul_f32_e32 v3, v5, v3
	s_waitcnt vmcnt(22)
	v_mul_f32_e32 v45, v6, v44
	s_waitcnt vmcnt(21) lgkmcnt(4)
	v_mul_f32_e32 v47, v8, v46
	v_mul_f32_e32 v44, v7, v44
	;; [unrolled: 1-line block ×3, first 2 shown]
	s_waitcnt vmcnt(20)
	v_mov_b32_e32 v48, v25
	s_waitcnt vmcnt(19)
	v_mov_b32_e32 v50, v27
	;; [unrolled: 2-line block ×5, first 2 shown]
	s_waitcnt vmcnt(12)
	v_fmac_f32_e32 v57, v5, v49
	v_fma_f32 v3, v4, v49, -v3
	v_mov_b32_e32 v58, v35
	s_waitcnt vmcnt(11)
	v_fmac_f32_e32 v45, v7, v51
	s_waitcnt vmcnt(10)
	v_fmac_f32_e32 v47, v9, v53
	v_fma_f32 v44, v6, v51, -v44
	v_fma_f32 v46, v8, v53, -v46
	v_pk_mul_f32 v[4:5], v[10:11], v[48:49] op_sel_hi:[1,0]
	s_waitcnt lgkmcnt(3)
	v_pk_mul_f32 v[6:7], v[12:13], v[50:51] op_sel_hi:[1,0]
	v_pk_mul_f32 v[8:9], v[14:15], v[52:53] op_sel_hi:[1,0]
	s_waitcnt lgkmcnt(2)
	v_pk_mul_f32 v[48:49], v[16:17], v[54:55] op_sel_hi:[1,0]
	v_pk_mul_f32 v[50:51], v[18:19], v[56:57] op_sel_hi:[1,0]
	v_add_f32_e32 v57, 0, v57
	v_add_f32_e32 v56, 0, v3
	s_waitcnt lgkmcnt(1)
	v_pk_mul_f32 v[52:53], v[20:21], v[58:59] op_sel_hi:[1,0]
	s_waitcnt vmcnt(9)
	v_pk_fma_f32 v[58:59], v[10:11], v[24:25], v[4:5] op_sel:[0,0,1] op_sel_hi:[1,1,0] neg_lo:[0,0,1] neg_hi:[0,0,1]
	v_pk_fma_f32 v[4:5], v[10:11], v[24:25], v[4:5] op_sel:[0,0,1] op_sel_hi:[1,0,0]
	s_waitcnt vmcnt(8)
	v_pk_fma_f32 v[10:11], v[12:13], v[26:27], v[6:7] op_sel:[0,0,1] op_sel_hi:[1,1,0] neg_lo:[0,0,1] neg_hi:[0,0,1]
	v_pk_fma_f32 v[6:7], v[12:13], v[26:27], v[6:7] op_sel:[0,0,1] op_sel_hi:[1,0,0]
	;; [unrolled: 3-line block ×4, first 2 shown]
	v_pk_add_f32 v[30:31], v[56:57], v[44:45]
	v_mov_b32_e32 v59, v5
	v_pk_add_f32 v[4:5], v[30:31], v[46:47]
	v_mov_b32_e32 v11, v7
	;; [unrolled: 2-line block ×4, first 2 shown]
	s_waitcnt vmcnt(2)
	v_pk_fma_f32 v[24:25], v[18:19], v[32:33], v[50:51] op_sel:[0,0,1] op_sel_hi:[1,1,0] neg_lo:[0,0,1] neg_hi:[0,0,1]
	v_pk_fma_f32 v[18:19], v[18:19], v[32:33], v[50:51] op_sel:[0,0,1] op_sel_hi:[1,0,0]
	v_mov_b32_e32 v15, v17
	v_pk_add_f32 v[4:5], v[4:5], v[12:13]
	v_mov_b32_e32 v62, v39
	v_pk_mul_f32 v[54:55], v[22:23], v[60:61] op_sel_hi:[1,0]
	v_pk_fma_f32 v[26:27], v[20:21], v[34:35], v[52:53] op_sel:[0,0,1] op_sel_hi:[1,1,0] neg_lo:[0,0,1] neg_hi:[0,0,1]
	v_pk_fma_f32 v[20:21], v[20:21], v[34:35], v[52:53] op_sel:[0,0,1] op_sel_hi:[1,0,0]
	v_mov_b32_e32 v25, v19
	v_pk_add_f32 v[4:5], v[4:5], v[14:15]
	v_pk_fma_f32 v[28:29], v[22:23], v[36:37], v[54:55] op_sel:[0,0,1] op_sel_hi:[1,1,0] neg_lo:[0,0,1] neg_hi:[0,0,1]
	v_pk_fma_f32 v[22:23], v[22:23], v[36:37], v[54:55] op_sel:[0,0,1] op_sel_hi:[1,0,0]
	v_mov_b32_e32 v27, v21
	v_pk_add_f32 v[4:5], v[4:5], v[24:25]
	s_waitcnt lgkmcnt(0)
	v_pk_mul_f32 v[6:7], v[42:43], v[62:63] op_sel_hi:[1,0]
	v_mov_b32_e32 v29, v23
	v_pk_add_f32 v[4:5], v[4:5], v[26:27]
	v_pk_fma_f32 v[8:9], v[42:43], v[38:39], v[6:7] op_sel:[0,0,1] op_sel_hi:[1,1,0] neg_lo:[0,0,1] neg_hi:[0,0,1]
	v_pk_fma_f32 v[6:7], v[42:43], v[38:39], v[6:7] op_sel:[0,0,1] op_sel_hi:[1,0,0]
	v_pk_add_f32 v[4:5], v[4:5], v[28:29]
	v_mov_b32_e32 v9, v7
	v_pk_add_f32 v[4:5], v[4:5], v[8:9]
	s_waitcnt vmcnt(0)
	v_pk_add_f32 v[4:5], v[40:41], v[4:5] neg_lo:[0,1] neg_hi:[0,1]
	buffer_store_dword v5, off, s[0:3], 0 offset:308
	buffer_store_dword v4, off, s[0:3], 0 offset:304
	s_and_saveexec_b64 s[4:5], vcc
	s_cbranch_execz .LBB113_239
; %bb.238:
	buffer_load_dword v4, off, s[0:3], 0 offset:296
	buffer_load_dword v5, off, s[0:3], 0 offset:300
	s_waitcnt vmcnt(0)
	ds_write_b64 v111, v[4:5]
	buffer_store_dword v2, off, s[0:3], 0 offset:296
	buffer_store_dword v2, off, s[0:3], 0 offset:300
.LBB113_239:
	s_or_b64 exec, exec, s[4:5]
	s_waitcnt lgkmcnt(0)
	; wave barrier
	s_waitcnt lgkmcnt(0)
	buffer_load_dword v46, off, s[0:3], 0 offset:308
	buffer_load_dword v48, off, s[0:3], 0 offset:316
	;; [unrolled: 1-line block ×26, first 2 shown]
	ds_read_b128 v[4:7], v2 offset:704
	ds_read_b128 v[8:11], v2 offset:720
	;; [unrolled: 1-line block ×6, first 2 shown]
	v_cmp_lt_u32_e32 vcc, 36, v0
	s_waitcnt vmcnt(25) lgkmcnt(5)
	v_mul_f32_e32 v59, v4, v46
	v_mul_f32_e32 v2, v5, v46
	s_waitcnt vmcnt(24)
	v_mul_f32_e32 v60, v6, v48
	s_waitcnt vmcnt(23) lgkmcnt(4)
	v_mul_f32_e32 v3, v8, v49
	s_waitcnt vmcnt(22)
	v_mul_f32_e32 v47, v10, v50
	v_mul_f32_e32 v46, v7, v48
	;; [unrolled: 1-line block ×4, first 2 shown]
	s_waitcnt vmcnt(21)
	v_mov_b32_e32 v48, v29
	s_waitcnt vmcnt(20)
	v_mov_b32_e32 v50, v31
	;; [unrolled: 2-line block ×3, first 2 shown]
	s_waitcnt vmcnt(15)
	v_fmac_f32_e32 v59, v5, v51
	v_fma_f32 v62, v4, v51, -v2
	v_mov_b32_e32 v52, v33
	s_waitcnt vmcnt(14)
	v_fmac_f32_e32 v60, v7, v53
	s_waitcnt vmcnt(13)
	v_fmac_f32_e32 v3, v9, v55
	;; [unrolled: 2-line block ×3, first 2 shown]
	v_fma_f32 v63, v6, v53, -v46
	v_fma_f32 v2, v8, v55, -v49
	;; [unrolled: 1-line block ×3, first 2 shown]
	s_waitcnt lgkmcnt(3)
	v_pk_mul_f32 v[4:5], v[12:13], v[48:49] op_sel_hi:[1,0]
	v_pk_mul_f32 v[6:7], v[14:15], v[50:51] op_sel_hi:[1,0]
	s_waitcnt lgkmcnt(2)
	v_pk_mul_f32 v[10:11], v[18:19], v[54:55] op_sel_hi:[1,0]
	v_add_f32_e32 v54, 0, v59
	v_add_f32_e32 v55, 0, v62
	v_pk_mul_f32 v[8:9], v[16:17], v[52:53] op_sel_hi:[1,0]
	s_waitcnt vmcnt(11)
	v_pk_fma_f32 v[52:53], v[12:13], v[28:29], v[4:5] op_sel:[0,0,1] op_sel_hi:[1,1,0] neg_lo:[0,0,1] neg_hi:[0,0,1]
	v_pk_fma_f32 v[4:5], v[12:13], v[28:29], v[4:5] op_sel:[0,0,1] op_sel_hi:[1,0,0]
	s_waitcnt vmcnt(10)
	v_pk_fma_f32 v[12:13], v[14:15], v[30:31], v[6:7] op_sel:[0,0,1] op_sel_hi:[1,1,0] neg_lo:[0,0,1] neg_hi:[0,0,1]
	v_pk_fma_f32 v[6:7], v[14:15], v[30:31], v[6:7] op_sel:[0,0,1] op_sel_hi:[1,0,0]
	v_add_f32_e32 v31, v54, v60
	v_add_f32_e32 v30, v55, v63
	v_pk_add_f32 v[2:3], v[30:31], v[2:3]
	v_mov_b32_e32 v53, v5
	v_pk_add_f32 v[2:3], v[2:3], v[46:47]
	v_mov_b32_e32 v56, v37
	s_waitcnt vmcnt(9)
	v_pk_fma_f32 v[14:15], v[16:17], v[32:33], v[8:9] op_sel:[0,0,1] op_sel_hi:[1,1,0] neg_lo:[0,0,1] neg_hi:[0,0,1]
	v_pk_fma_f32 v[8:9], v[16:17], v[32:33], v[8:9] op_sel:[0,0,1] op_sel_hi:[1,0,0]
	v_mov_b32_e32 v13, v7
	v_pk_add_f32 v[2:3], v[2:3], v[52:53]
	v_mov_b32_e32 v58, v39
	s_waitcnt lgkmcnt(1)
	v_pk_mul_f32 v[48:49], v[20:21], v[56:57] op_sel_hi:[1,0]
	s_waitcnt vmcnt(5)
	v_pk_fma_f32 v[16:17], v[18:19], v[34:35], v[10:11] op_sel:[0,0,1] op_sel_hi:[1,1,0] neg_lo:[0,0,1] neg_hi:[0,0,1]
	v_pk_fma_f32 v[10:11], v[18:19], v[34:35], v[10:11] op_sel:[0,0,1] op_sel_hi:[1,0,0]
	v_mov_b32_e32 v15, v9
	v_pk_add_f32 v[2:3], v[2:3], v[12:13]
	s_waitcnt vmcnt(4)
	v_mov_b32_e32 v4, v41
	v_pk_mul_f32 v[50:51], v[22:23], v[58:59] op_sel_hi:[1,0]
	v_pk_fma_f32 v[18:19], v[20:21], v[36:37], v[48:49] op_sel:[0,0,1] op_sel_hi:[1,1,0] neg_lo:[0,0,1] neg_hi:[0,0,1]
	v_pk_fma_f32 v[20:21], v[20:21], v[36:37], v[48:49] op_sel:[0,0,1] op_sel_hi:[1,0,0]
	v_mov_b32_e32 v17, v11
	v_pk_add_f32 v[2:3], v[2:3], v[14:15]
	s_waitcnt lgkmcnt(0)
	v_pk_mul_f32 v[4:5], v[24:25], v[4:5] op_sel_hi:[1,0]
	v_pk_fma_f32 v[28:29], v[22:23], v[38:39], v[50:51] op_sel:[0,0,1] op_sel_hi:[1,1,0] neg_lo:[0,0,1] neg_hi:[0,0,1]
	v_pk_fma_f32 v[22:23], v[22:23], v[38:39], v[50:51] op_sel:[0,0,1] op_sel_hi:[1,0,0]
	v_mov_b32_e32 v19, v21
	v_pk_add_f32 v[2:3], v[2:3], v[16:17]
	v_pk_fma_f32 v[6:7], v[24:25], v[40:41], v[4:5] op_sel:[0,0,1] op_sel_hi:[1,1,0] neg_lo:[0,0,1] neg_hi:[0,0,1]
	v_pk_fma_f32 v[4:5], v[24:25], v[40:41], v[4:5] op_sel:[0,0,1] op_sel_hi:[1,0,0]
	v_mov_b32_e32 v29, v23
	v_pk_add_f32 v[2:3], v[2:3], v[18:19]
	s_waitcnt vmcnt(3)
	v_mov_b32_e32 v4, v43
	v_pk_add_f32 v[2:3], v[2:3], v[28:29]
	v_mov_b32_e32 v7, v5
	v_pk_mul_f32 v[4:5], v[26:27], v[4:5] op_sel_hi:[1,0]
	v_pk_add_f32 v[2:3], v[2:3], v[6:7]
	s_waitcnt vmcnt(2)
	v_pk_fma_f32 v[6:7], v[26:27], v[42:43], v[4:5] op_sel:[0,0,1] op_sel_hi:[1,1,0] neg_lo:[0,0,1] neg_hi:[0,0,1]
	v_pk_fma_f32 v[4:5], v[26:27], v[42:43], v[4:5] op_sel:[0,0,1] op_sel_hi:[1,0,0]
	v_mov_b32_e32 v7, v5
	v_pk_add_f32 v[2:3], v[2:3], v[6:7]
	s_waitcnt vmcnt(0)
	v_pk_add_f32 v[2:3], v[44:45], v[2:3] neg_lo:[0,1] neg_hi:[0,1]
	buffer_store_dword v3, off, s[0:3], 0 offset:300
	buffer_store_dword v2, off, s[0:3], 0 offset:296
	s_and_saveexec_b64 s[4:5], vcc
	s_cbranch_execz .LBB113_241
; %bb.240:
	buffer_load_dword v2, off, s[0:3], 0 offset:288
	buffer_load_dword v3, off, s[0:3], 0 offset:292
	v_mov_b32_e32 v4, 0
	buffer_store_dword v4, off, s[0:3], 0 offset:288
	buffer_store_dword v4, off, s[0:3], 0 offset:292
	s_waitcnt vmcnt(2)
	ds_write_b64 v111, v[2:3]
.LBB113_241:
	s_or_b64 exec, exec, s[4:5]
	s_waitcnt lgkmcnt(0)
	; wave barrier
	s_waitcnt lgkmcnt(0)
	buffer_load_dword v5, off, s[0:3], 0 offset:300
	buffer_load_dword v48, off, s[0:3], 0 offset:308
	;; [unrolled: 1-line block ×28, first 2 shown]
	v_mov_b32_e32 v4, 0
	ds_read2_b64 v[6:9], v4 offset0:87 offset1:88
	ds_read2_b64 v[10:13], v4 offset0:89 offset1:90
	;; [unrolled: 1-line block ×6, first 2 shown]
	ds_read_b64 v[46:47], v4 offset:792
	v_cmp_lt_u32_e32 vcc, 35, v0
	s_waitcnt vmcnt(27) lgkmcnt(6)
	v_mul_f32_e32 v63, v6, v5
	v_mul_f32_e32 v5, v7, v5
	s_waitcnt vmcnt(26)
	v_mul_f32_e32 v64, v8, v48
	s_waitcnt vmcnt(24) lgkmcnt(5)
	v_mul_f32_e32 v49, v12, v52
	s_waitcnt vmcnt(23) lgkmcnt(4)
	v_mul_f32_e32 v51, v14, v53
	v_mul_f32_e32 v66, v13, v52
	;; [unrolled: 1-line block ×3, first 2 shown]
	s_waitcnt vmcnt(22)
	v_mov_b32_e32 v52, v3
	v_mul_f32_e32 v65, v10, v50
	v_mul_f32_e32 v48, v9, v48
	;; [unrolled: 1-line block ×3, first 2 shown]
	s_waitcnt vmcnt(17)
	v_fmac_f32_e32 v63, v7, v55
	v_fma_f32 v5, v6, v55, -v5
	v_pk_mul_f32 v[6:7], v[16:17], v[52:53] op_sel_hi:[1,0]
	s_waitcnt vmcnt(16)
	v_fmac_f32_e32 v64, v9, v57
	s_waitcnt vmcnt(13)
	v_fmac_f32_e32 v51, v15, v62
	v_fma_f32 v55, v8, v57, -v48
	v_fma_f32 v57, v10, v59, -v50
	;; [unrolled: 1-line block ×3, first 2 shown]
	v_add_f32_e32 v52, 0, v63
	v_add_f32_e32 v5, 0, v5
	s_waitcnt vmcnt(12)
	v_pk_fma_f32 v[14:15], v[16:17], v[2:3], v[6:7] op_sel:[0,0,1] op_sel_hi:[1,1,0] neg_lo:[0,0,1] neg_hi:[0,0,1]
	v_pk_fma_f32 v[2:3], v[16:17], v[2:3], v[6:7] op_sel:[0,0,1] op_sel_hi:[1,0,0]
	v_fmac_f32_e32 v65, v11, v59
	v_add_f32_e32 v2, v52, v64
	v_add_f32_e32 v5, v5, v55
	v_mov_b32_e32 v54, v31
	v_fmac_f32_e32 v49, v13, v61
	v_fma_f32 v48, v12, v61, -v66
	v_mov_b32_e32 v15, v3
	v_add_f32_e32 v3, v2, v65
	v_add_f32_e32 v2, v5, v57
	s_waitcnt lgkmcnt(3)
	v_pk_mul_f32 v[8:9], v[18:19], v[54:55] op_sel_hi:[1,0]
	v_pk_add_f32 v[2:3], v[2:3], v[48:49]
	v_mov_b32_e32 v56, v33
	s_waitcnt vmcnt(11)
	v_pk_fma_f32 v[6:7], v[18:19], v[30:31], v[8:9] op_sel:[0,0,1] op_sel_hi:[1,1,0] neg_lo:[0,0,1] neg_hi:[0,0,1]
	v_pk_fma_f32 v[8:9], v[18:19], v[30:31], v[8:9] op_sel:[0,0,1] op_sel_hi:[1,0,0]
	v_pk_add_f32 v[2:3], v[2:3], v[50:51]
	v_mov_b32_e32 v58, v35
	v_mov_b32_e32 v60, v37
	v_pk_mul_f32 v[10:11], v[20:21], v[56:57] op_sel_hi:[1,0]
	v_mov_b32_e32 v7, v9
	v_pk_add_f32 v[2:3], v[2:3], v[14:15]
	s_waitcnt lgkmcnt(2)
	v_pk_mul_f32 v[12:13], v[22:23], v[58:59] op_sel_hi:[1,0]
	s_waitcnt vmcnt(7)
	v_pk_fma_f32 v[16:17], v[20:21], v[32:33], v[10:11] op_sel:[0,0,1] op_sel_hi:[1,1,0] neg_lo:[0,0,1] neg_hi:[0,0,1]
	v_pk_fma_f32 v[10:11], v[20:21], v[32:33], v[10:11] op_sel:[0,0,1] op_sel_hi:[1,0,0]
	v_pk_add_f32 v[2:3], v[2:3], v[6:7]
	v_pk_mul_f32 v[6:7], v[24:25], v[60:61] op_sel_hi:[1,0]
	v_pk_fma_f32 v[18:19], v[22:23], v[34:35], v[12:13] op_sel:[0,0,1] op_sel_hi:[1,1,0] neg_lo:[0,0,1] neg_hi:[0,0,1]
	v_pk_fma_f32 v[12:13], v[22:23], v[34:35], v[12:13] op_sel:[0,0,1] op_sel_hi:[1,0,0]
	v_mov_b32_e32 v17, v11
	v_pk_fma_f32 v[8:9], v[24:25], v[36:37], v[6:7] op_sel:[0,0,1] op_sel_hi:[1,1,0] neg_lo:[0,0,1] neg_hi:[0,0,1]
	v_pk_fma_f32 v[6:7], v[24:25], v[36:37], v[6:7] op_sel:[0,0,1] op_sel_hi:[1,0,0]
	v_mov_b32_e32 v19, v13
	v_pk_add_f32 v[2:3], v[2:3], v[16:17]
	s_waitcnt vmcnt(6)
	v_mov_b32_e32 v6, v39
	v_pk_add_f32 v[2:3], v[2:3], v[18:19]
	v_mov_b32_e32 v9, v7
	s_waitcnt lgkmcnt(1)
	v_pk_mul_f32 v[6:7], v[26:27], v[6:7] op_sel_hi:[1,0]
	v_pk_add_f32 v[2:3], v[2:3], v[8:9]
	v_pk_fma_f32 v[8:9], v[26:27], v[38:39], v[6:7] op_sel:[0,0,1] op_sel_hi:[1,1,0] neg_lo:[0,0,1] neg_hi:[0,0,1]
	v_pk_fma_f32 v[6:7], v[26:27], v[38:39], v[6:7] op_sel:[0,0,1] op_sel_hi:[1,0,0]
	s_waitcnt vmcnt(5)
	v_mov_b32_e32 v6, v41
	v_mov_b32_e32 v9, v7
	v_pk_mul_f32 v[6:7], v[28:29], v[6:7] op_sel_hi:[1,0]
	v_pk_add_f32 v[2:3], v[2:3], v[8:9]
	s_waitcnt vmcnt(3)
	v_pk_fma_f32 v[8:9], v[28:29], v[40:41], v[6:7] op_sel:[0,0,1] op_sel_hi:[1,1,0] neg_lo:[0,0,1] neg_hi:[0,0,1]
	v_pk_fma_f32 v[6:7], v[28:29], v[40:41], v[6:7] op_sel:[0,0,1] op_sel_hi:[1,0,0]
	s_waitcnt vmcnt(2)
	v_mov_b32_e32 v6, v43
	v_mov_b32_e32 v9, v7
	s_waitcnt lgkmcnt(0)
	v_pk_mul_f32 v[6:7], v[46:47], v[6:7] op_sel_hi:[1,0]
	v_pk_add_f32 v[2:3], v[2:3], v[8:9]
	v_pk_fma_f32 v[8:9], v[46:47], v[42:43], v[6:7] op_sel:[0,0,1] op_sel_hi:[1,1,0] neg_lo:[0,0,1] neg_hi:[0,0,1]
	v_pk_fma_f32 v[6:7], v[46:47], v[42:43], v[6:7] op_sel:[0,0,1] op_sel_hi:[1,0,0]
	v_mov_b32_e32 v9, v7
	v_pk_add_f32 v[2:3], v[2:3], v[8:9]
	s_waitcnt vmcnt(0)
	v_pk_add_f32 v[2:3], v[44:45], v[2:3] neg_lo:[0,1] neg_hi:[0,1]
	buffer_store_dword v3, off, s[0:3], 0 offset:292
	buffer_store_dword v2, off, s[0:3], 0 offset:288
	s_and_saveexec_b64 s[4:5], vcc
	s_cbranch_execz .LBB113_243
; %bb.242:
	buffer_load_dword v2, off, s[0:3], 0 offset:280
	buffer_load_dword v3, off, s[0:3], 0 offset:284
	s_waitcnt vmcnt(0)
	ds_write_b64 v111, v[2:3]
	buffer_store_dword v4, off, s[0:3], 0 offset:280
	buffer_store_dword v4, off, s[0:3], 0 offset:284
.LBB113_243:
	s_or_b64 exec, exec, s[4:5]
	s_waitcnt lgkmcnt(0)
	; wave barrier
	s_waitcnt lgkmcnt(0)
	ds_read_b128 v[6:9], v4 offset:688
	ds_read_b128 v[10:13], v4 offset:704
	;; [unrolled: 1-line block ×4, first 2 shown]
	buffer_load_dword v2, off, s[0:3], 0 offset:280
	buffer_load_dword v3, off, s[0:3], 0 offset:284
	;; [unrolled: 1-line block ×30, first 2 shown]
	v_cmp_lt_u32_e32 vcc, 34, v0
	s_waitcnt vmcnt(26) lgkmcnt(3)
	v_mul_f32_e32 v25, v6, v24
	v_fmac_f32_e32 v25, v7, v5
	v_mul_f32_e32 v7, v7, v24
	s_waitcnt vmcnt(24)
	v_mul_f32_e32 v27, v8, v28
	v_fma_f32 v5, v6, v5, -v7
	v_mul_f32_e32 v6, v9, v28
	v_add_f32_e32 v25, 0, v25
	v_fmac_f32_e32 v27, v9, v26
	v_add_f32_e32 v5, 0, v5
	v_fma_f32 v6, v8, v26, -v6
	v_add_f32_e32 v25, v25, v27
	s_waitcnt vmcnt(22) lgkmcnt(2)
	v_mul_f32_e32 v27, v10, v45
	v_add_f32_e32 v5, v5, v6
	v_mul_f32_e32 v6, v11, v45
	v_fmac_f32_e32 v27, v11, v44
	v_fma_f32 v6, v10, v44, -v6
	v_add_f32_e32 v25, v25, v27
	s_waitcnt vmcnt(20)
	v_mul_f32_e32 v27, v12, v47
	v_add_f32_e32 v5, v5, v6
	v_mul_f32_e32 v6, v13, v47
	v_fmac_f32_e32 v27, v13, v46
	v_fma_f32 v6, v12, v46, -v6
	v_add_f32_e32 v25, v25, v27
	s_waitcnt vmcnt(18) lgkmcnt(1)
	v_mul_f32_e32 v27, v14, v49
	v_add_f32_e32 v24, v5, v6
	v_mul_f32_e32 v5, v15, v49
	v_fmac_f32_e32 v27, v15, v48
	s_waitcnt vmcnt(16)
	v_mul_f32_e32 v29, v16, v51
	v_fma_f32 v26, v14, v48, -v5
	v_mul_f32_e32 v5, v17, v51
	v_fmac_f32_e32 v29, v17, v50
	v_fma_f32 v28, v16, v50, -v5
	ds_read_b128 v[6:9], v4 offset:752
	ds_read_b128 v[10:13], v4 offset:768
	;; [unrolled: 1-line block ×3, first 2 shown]
	v_pk_add_f32 v[4:5], v[24:25], v[26:27]
	s_waitcnt vmcnt(14)
	v_mov_b32_e32 v24, v23
	s_waitcnt lgkmcnt(3)
	v_pk_mul_f32 v[24:25], v[18:19], v[24:25] op_sel_hi:[1,0]
	v_pk_fma_f32 v[26:27], v[18:19], v[22:23], v[24:25] op_sel:[0,0,1] op_sel_hi:[1,1,0] neg_lo:[0,0,1] neg_hi:[0,0,1]
	v_pk_fma_f32 v[18:19], v[18:19], v[22:23], v[24:25] op_sel:[0,0,1] op_sel_hi:[1,0,0]
	s_waitcnt vmcnt(13)
	v_mov_b32_e32 v18, v31
	v_mov_b32_e32 v27, v19
	v_pk_mul_f32 v[18:19], v[20:21], v[18:19] op_sel_hi:[1,0]
	s_waitcnt vmcnt(12)
	v_pk_fma_f32 v[22:23], v[20:21], v[30:31], v[18:19] op_sel:[0,0,1] op_sel_hi:[1,1,0] neg_lo:[0,0,1] neg_hi:[0,0,1]
	v_pk_fma_f32 v[18:19], v[20:21], v[30:31], v[18:19] op_sel:[0,0,1] op_sel_hi:[1,0,0]
	s_waitcnt vmcnt(11)
	v_mov_b32_e32 v18, v33
	v_mov_b32_e32 v23, v19
	s_waitcnt lgkmcnt(2)
	v_pk_mul_f32 v[18:19], v[6:7], v[18:19] op_sel_hi:[1,0]
	s_waitcnt vmcnt(10)
	v_pk_fma_f32 v[20:21], v[6:7], v[32:33], v[18:19] op_sel:[0,0,1] op_sel_hi:[1,1,0] neg_lo:[0,0,1] neg_hi:[0,0,1]
	v_pk_fma_f32 v[6:7], v[6:7], v[32:33], v[18:19] op_sel:[0,0,1] op_sel_hi:[1,0,0]
	s_waitcnt vmcnt(9)
	v_mov_b32_e32 v6, v35
	v_mov_b32_e32 v21, v7
	v_pk_mul_f32 v[6:7], v[8:9], v[6:7] op_sel_hi:[1,0]
	s_waitcnt vmcnt(8)
	v_pk_fma_f32 v[18:19], v[8:9], v[34:35], v[6:7] op_sel:[0,0,1] op_sel_hi:[1,1,0] neg_lo:[0,0,1] neg_hi:[0,0,1]
	v_pk_fma_f32 v[6:7], v[8:9], v[34:35], v[6:7] op_sel:[0,0,1] op_sel_hi:[1,0,0]
	v_pk_add_f32 v[4:5], v[4:5], v[28:29]
	s_waitcnt vmcnt(7)
	v_mov_b32_e32 v6, v37
	v_pk_add_f32 v[4:5], v[4:5], v[26:27]
	v_mov_b32_e32 v19, v7
	s_waitcnt lgkmcnt(1)
	v_pk_mul_f32 v[6:7], v[10:11], v[6:7] op_sel_hi:[1,0]
	v_pk_add_f32 v[4:5], v[4:5], v[22:23]
	s_waitcnt vmcnt(6)
	v_pk_fma_f32 v[8:9], v[10:11], v[36:37], v[6:7] op_sel:[0,0,1] op_sel_hi:[1,1,0] neg_lo:[0,0,1] neg_hi:[0,0,1]
	v_pk_fma_f32 v[6:7], v[10:11], v[36:37], v[6:7] op_sel:[0,0,1] op_sel_hi:[1,0,0]
	v_pk_add_f32 v[4:5], v[4:5], v[20:21]
	s_waitcnt vmcnt(5)
	v_mov_b32_e32 v6, v39
	v_pk_add_f32 v[4:5], v[4:5], v[18:19]
	v_mov_b32_e32 v9, v7
	v_pk_mul_f32 v[6:7], v[12:13], v[6:7] op_sel_hi:[1,0]
	v_pk_add_f32 v[4:5], v[4:5], v[8:9]
	s_waitcnt vmcnt(4)
	v_pk_fma_f32 v[8:9], v[12:13], v[38:39], v[6:7] op_sel:[0,0,1] op_sel_hi:[1,1,0] neg_lo:[0,0,1] neg_hi:[0,0,1]
	v_pk_fma_f32 v[6:7], v[12:13], v[38:39], v[6:7] op_sel:[0,0,1] op_sel_hi:[1,0,0]
	s_waitcnt vmcnt(3)
	v_mov_b32_e32 v6, v41
	v_mov_b32_e32 v9, v7
	s_waitcnt lgkmcnt(0)
	v_pk_mul_f32 v[6:7], v[14:15], v[6:7] op_sel_hi:[1,0]
	v_pk_add_f32 v[4:5], v[4:5], v[8:9]
	s_waitcnt vmcnt(2)
	v_pk_fma_f32 v[8:9], v[14:15], v[40:41], v[6:7] op_sel:[0,0,1] op_sel_hi:[1,1,0] neg_lo:[0,0,1] neg_hi:[0,0,1]
	v_pk_fma_f32 v[6:7], v[14:15], v[40:41], v[6:7] op_sel:[0,0,1] op_sel_hi:[1,0,0]
	s_waitcnt vmcnt(1)
	v_mov_b32_e32 v6, v43
	v_mov_b32_e32 v9, v7
	v_pk_mul_f32 v[6:7], v[16:17], v[6:7] op_sel_hi:[1,0]
	v_pk_add_f32 v[4:5], v[4:5], v[8:9]
	s_waitcnt vmcnt(0)
	v_pk_fma_f32 v[8:9], v[16:17], v[42:43], v[6:7] op_sel:[0,0,1] op_sel_hi:[1,1,0] neg_lo:[0,0,1] neg_hi:[0,0,1]
	v_pk_fma_f32 v[6:7], v[16:17], v[42:43], v[6:7] op_sel:[0,0,1] op_sel_hi:[1,0,0]
	v_mov_b32_e32 v9, v7
	v_pk_add_f32 v[4:5], v[4:5], v[8:9]
	v_pk_add_f32 v[2:3], v[2:3], v[4:5] neg_lo:[0,1] neg_hi:[0,1]
	buffer_store_dword v3, off, s[0:3], 0 offset:284
	buffer_store_dword v2, off, s[0:3], 0 offset:280
	s_and_saveexec_b64 s[4:5], vcc
	s_cbranch_execz .LBB113_245
; %bb.244:
	buffer_load_dword v2, off, s[0:3], 0 offset:272
	buffer_load_dword v3, off, s[0:3], 0 offset:276
	v_mov_b32_e32 v4, 0
	buffer_store_dword v4, off, s[0:3], 0 offset:272
	buffer_store_dword v4, off, s[0:3], 0 offset:276
	s_waitcnt vmcnt(2)
	ds_write_b64 v111, v[2:3]
.LBB113_245:
	s_or_b64 exec, exec, s[4:5]
	v_mov_b32_e32 v4, 0
	s_waitcnt lgkmcnt(0)
	; wave barrier
	s_waitcnt lgkmcnt(0)
	ds_read2_b64 v[6:9], v4 offset0:85 offset1:86
	buffer_load_dword v2, off, s[0:3], 0 offset:272
	buffer_load_dword v3, off, s[0:3], 0 offset:276
	;; [unrolled: 1-line block ×16, first 2 shown]
	v_cmp_lt_u32_e32 vcc, 33, v0
	s_waitcnt vmcnt(12) lgkmcnt(0)
	v_mul_f32_e32 v10, v6, v22
	v_fmac_f32_e32 v10, v7, v5
	s_waitcnt vmcnt(10)
	v_mul_f32_e32 v11, v8, v26
	v_add_f32_e32 v10, 0, v10
	v_fmac_f32_e32 v11, v9, v24
	v_add_f32_e32 v14, v10, v11
	ds_read2_b64 v[10:13], v4 offset0:87 offset1:88
	v_mul_f32_e32 v7, v7, v22
	v_fma_f32 v5, v6, v5, -v7
	v_mul_f32_e32 v6, v9, v26
	v_add_f32_e32 v5, 0, v5
	s_waitcnt vmcnt(8) lgkmcnt(0)
	v_mul_f32_e32 v15, v10, v45
	v_fmac_f32_e32 v15, v11, v44
	v_add_f32_e32 v14, v14, v15
	s_waitcnt vmcnt(6)
	v_mul_f32_e32 v15, v12, v47
	v_fmac_f32_e32 v15, v13, v46
	v_add_f32_e32 v18, v14, v15
	ds_read2_b64 v[14:17], v4 offset0:89 offset1:90
	v_fma_f32 v6, v8, v24, -v6
	v_add_f32_e32 v5, v5, v6
	v_mul_f32_e32 v6, v11, v45
	v_fma_f32 v6, v10, v44, -v6
	s_waitcnt vmcnt(4) lgkmcnt(0)
	v_mul_f32_e32 v19, v14, v49
	v_fmac_f32_e32 v19, v15, v48
	v_add_f32_e32 v23, v18, v19
	ds_read2_b64 v[18:21], v4 offset0:91 offset1:92
	buffer_load_dword v29, off, s[0:3], 0 offset:340
	buffer_load_dword v28, off, s[0:3], 0 offset:336
	;; [unrolled: 1-line block ×16, first 2 shown]
	v_add_f32_e32 v5, v5, v6
	v_mul_f32_e32 v6, v13, v47
	v_fma_f32 v6, v12, v46, -v6
	v_add_f32_e32 v5, v5, v6
	v_mul_f32_e32 v6, v15, v49
	v_fma_f32 v6, v14, v48, -v6
	s_waitcnt vmcnt(18)
	v_mul_f32_e32 v25, v16, v51
	v_add_f32_e32 v22, v5, v6
	v_mul_f32_e32 v5, v17, v51
	v_fmac_f32_e32 v25, v17, v50
	v_fma_f32 v24, v16, v50, -v5
	s_waitcnt vmcnt(16) lgkmcnt(0)
	v_mul_f32_e32 v27, v18, v53
	v_mul_f32_e32 v5, v19, v53
	v_pk_add_f32 v[22:23], v[22:23], v[24:25]
	v_fmac_f32_e32 v27, v19, v52
	v_fma_f32 v26, v18, v52, -v5
	v_pk_add_f32 v[22:23], v[22:23], v[26:27]
	ds_read2_b64 v[6:9], v4 offset0:93 offset1:94
	ds_read2_b64 v[10:13], v4 offset0:95 offset1:96
	;; [unrolled: 1-line block ×3, first 2 shown]
	ds_read_b64 v[18:19], v4 offset:792
	s_waitcnt vmcnt(15)
	v_mov_b32_e32 v24, v29
	v_pk_mul_f32 v[24:25], v[20:21], v[24:25] op_sel_hi:[1,0]
	s_waitcnt vmcnt(14)
	v_pk_fma_f32 v[26:27], v[20:21], v[28:29], v[24:25] op_sel:[0,0,1] op_sel_hi:[1,1,0] neg_lo:[0,0,1] neg_hi:[0,0,1]
	v_pk_fma_f32 v[20:21], v[20:21], v[28:29], v[24:25] op_sel:[0,0,1] op_sel_hi:[1,0,0]
	v_mov_b32_e32 v27, v21
	v_pk_add_f32 v[20:21], v[22:23], v[26:27]
	s_waitcnt vmcnt(13)
	v_mov_b32_e32 v22, v31
	s_waitcnt lgkmcnt(3)
	v_pk_mul_f32 v[22:23], v[6:7], v[22:23] op_sel_hi:[1,0]
	s_waitcnt vmcnt(12)
	v_pk_fma_f32 v[24:25], v[6:7], v[30:31], v[22:23] op_sel:[0,0,1] op_sel_hi:[1,1,0] neg_lo:[0,0,1] neg_hi:[0,0,1]
	v_pk_fma_f32 v[6:7], v[6:7], v[30:31], v[22:23] op_sel:[0,0,1] op_sel_hi:[1,0,0]
	v_mov_b32_e32 v25, v7
	v_pk_add_f32 v[6:7], v[20:21], v[24:25]
	s_waitcnt vmcnt(11)
	v_mov_b32_e32 v20, v33
	v_pk_mul_f32 v[20:21], v[8:9], v[20:21] op_sel_hi:[1,0]
	s_waitcnt vmcnt(10)
	v_pk_fma_f32 v[22:23], v[8:9], v[32:33], v[20:21] op_sel:[0,0,1] op_sel_hi:[1,1,0] neg_lo:[0,0,1] neg_hi:[0,0,1]
	v_pk_fma_f32 v[8:9], v[8:9], v[32:33], v[20:21] op_sel:[0,0,1] op_sel_hi:[1,0,0]
	s_waitcnt vmcnt(9)
	v_mov_b32_e32 v8, v35
	v_mov_b32_e32 v23, v9
	s_waitcnt lgkmcnt(2)
	v_pk_mul_f32 v[8:9], v[10:11], v[8:9] op_sel_hi:[1,0]
	s_waitcnt vmcnt(8)
	v_pk_fma_f32 v[20:21], v[10:11], v[34:35], v[8:9] op_sel:[0,0,1] op_sel_hi:[1,1,0] neg_lo:[0,0,1] neg_hi:[0,0,1]
	v_pk_fma_f32 v[8:9], v[10:11], v[34:35], v[8:9] op_sel:[0,0,1] op_sel_hi:[1,0,0]
	s_waitcnt vmcnt(7)
	v_mov_b32_e32 v8, v37
	v_mov_b32_e32 v21, v9
	v_pk_mul_f32 v[8:9], v[12:13], v[8:9] op_sel_hi:[1,0]
	s_waitcnt vmcnt(6)
	v_pk_fma_f32 v[10:11], v[12:13], v[36:37], v[8:9] op_sel:[0,0,1] op_sel_hi:[1,1,0] neg_lo:[0,0,1] neg_hi:[0,0,1]
	v_pk_fma_f32 v[8:9], v[12:13], v[36:37], v[8:9] op_sel:[0,0,1] op_sel_hi:[1,0,0]
	v_pk_add_f32 v[6:7], v[6:7], v[22:23]
	s_waitcnt vmcnt(5)
	v_mov_b32_e32 v8, v39
	v_pk_add_f32 v[6:7], v[6:7], v[20:21]
	v_mov_b32_e32 v11, v9
	s_waitcnt lgkmcnt(1)
	v_pk_mul_f32 v[8:9], v[14:15], v[8:9] op_sel_hi:[1,0]
	v_pk_add_f32 v[6:7], v[6:7], v[10:11]
	s_waitcnt vmcnt(4)
	v_pk_fma_f32 v[10:11], v[14:15], v[38:39], v[8:9] op_sel:[0,0,1] op_sel_hi:[1,1,0] neg_lo:[0,0,1] neg_hi:[0,0,1]
	v_pk_fma_f32 v[8:9], v[14:15], v[38:39], v[8:9] op_sel:[0,0,1] op_sel_hi:[1,0,0]
	s_waitcnt vmcnt(3)
	v_mov_b32_e32 v8, v41
	v_mov_b32_e32 v11, v9
	v_pk_mul_f32 v[8:9], v[16:17], v[8:9] op_sel_hi:[1,0]
	v_pk_add_f32 v[6:7], v[6:7], v[10:11]
	s_waitcnt vmcnt(2)
	v_pk_fma_f32 v[10:11], v[16:17], v[40:41], v[8:9] op_sel:[0,0,1] op_sel_hi:[1,1,0] neg_lo:[0,0,1] neg_hi:[0,0,1]
	v_pk_fma_f32 v[8:9], v[16:17], v[40:41], v[8:9] op_sel:[0,0,1] op_sel_hi:[1,0,0]
	s_waitcnt vmcnt(1)
	v_mov_b32_e32 v8, v43
	v_mov_b32_e32 v11, v9
	s_waitcnt lgkmcnt(0)
	v_pk_mul_f32 v[8:9], v[18:19], v[8:9] op_sel_hi:[1,0]
	v_pk_add_f32 v[6:7], v[6:7], v[10:11]
	s_waitcnt vmcnt(0)
	v_pk_fma_f32 v[10:11], v[18:19], v[42:43], v[8:9] op_sel:[0,0,1] op_sel_hi:[1,1,0] neg_lo:[0,0,1] neg_hi:[0,0,1]
	v_pk_fma_f32 v[8:9], v[18:19], v[42:43], v[8:9] op_sel:[0,0,1] op_sel_hi:[1,0,0]
	v_mov_b32_e32 v11, v9
	v_pk_add_f32 v[6:7], v[6:7], v[10:11]
	v_pk_add_f32 v[2:3], v[2:3], v[6:7] neg_lo:[0,1] neg_hi:[0,1]
	buffer_store_dword v3, off, s[0:3], 0 offset:276
	buffer_store_dword v2, off, s[0:3], 0 offset:272
	s_and_saveexec_b64 s[4:5], vcc
	s_cbranch_execz .LBB113_247
; %bb.246:
	buffer_load_dword v2, off, s[0:3], 0 offset:264
	buffer_load_dword v3, off, s[0:3], 0 offset:268
	s_waitcnt vmcnt(0)
	ds_write_b64 v111, v[2:3]
	buffer_store_dword v4, off, s[0:3], 0 offset:264
	buffer_store_dword v4, off, s[0:3], 0 offset:268
.LBB113_247:
	s_or_b64 exec, exec, s[4:5]
	s_waitcnt lgkmcnt(0)
	; wave barrier
	s_waitcnt lgkmcnt(0)
	ds_read_b128 v[6:9], v4 offset:672
	ds_read_b128 v[10:13], v4 offset:688
	;; [unrolled: 1-line block ×4, first 2 shown]
	buffer_load_dword v2, off, s[0:3], 0 offset:264
	buffer_load_dword v3, off, s[0:3], 0 offset:268
	;; [unrolled: 1-line block ×20, first 2 shown]
	v_cmp_lt_u32_e32 vcc, 32, v0
	s_waitcnt vmcnt(16) lgkmcnt(3)
	v_mul_f32_e32 v22, v6, v26
	v_fmac_f32_e32 v22, v7, v5
	s_waitcnt vmcnt(14)
	v_mul_f32_e32 v23, v8, v30
	v_add_f32_e32 v22, 0, v22
	v_fmac_f32_e32 v23, v9, v28
	v_add_f32_e32 v22, v22, v23
	s_waitcnt vmcnt(12) lgkmcnt(2)
	v_mul_f32_e32 v23, v10, v49
	v_fmac_f32_e32 v23, v11, v48
	v_add_f32_e32 v22, v22, v23
	s_waitcnt vmcnt(10)
	v_mul_f32_e32 v23, v12, v51
	v_fmac_f32_e32 v23, v13, v50
	v_add_f32_e32 v22, v22, v23
	s_waitcnt vmcnt(8) lgkmcnt(1)
	v_mul_f32_e32 v23, v14, v53
	v_fmac_f32_e32 v23, v15, v52
	v_add_f32_e32 v22, v22, v23
	s_waitcnt vmcnt(6)
	v_mul_f32_e32 v23, v16, v55
	v_fmac_f32_e32 v23, v17, v54
	v_add_f32_e32 v27, v22, v23
	ds_read_b128 v[22:25], v4 offset:736
	buffer_load_dword v35, off, s[0:3], 0 offset:348
	buffer_load_dword v34, off, s[0:3], 0 offset:344
	;; [unrolled: 1-line block ×14, first 2 shown]
	v_mul_f32_e32 v7, v7, v26
	v_fma_f32 v5, v6, v5, -v7
	v_mul_f32_e32 v6, v9, v30
	v_add_f32_e32 v5, 0, v5
	v_fma_f32 v6, v8, v28, -v6
	v_add_f32_e32 v5, v5, v6
	v_mul_f32_e32 v6, v11, v49
	v_fma_f32 v6, v10, v48, -v6
	v_add_f32_e32 v5, v5, v6
	v_mul_f32_e32 v6, v13, v51
	;; [unrolled: 3-line block ×4, first 2 shown]
	v_fma_f32 v6, v16, v54, -v6
	v_add_f32_e32 v26, v5, v6
	s_waitcnt vmcnt(18) lgkmcnt(1)
	v_mul_f32_e32 v5, v19, v57
	v_mul_f32_e32 v29, v18, v57
	v_fma_f32 v28, v18, v56, -v5
	s_waitcnt vmcnt(15)
	v_mov_b32_e32 v18, v33
	v_fmac_f32_e32 v29, v19, v56
	v_mul_f32_e32 v31, v20, v59
	v_mul_f32_e32 v5, v21, v59
	s_waitcnt lgkmcnt(0)
	v_pk_mul_f32 v[18:19], v[22:23], v[18:19] op_sel_hi:[1,0]
	v_fmac_f32_e32 v31, v21, v58
	v_fma_f32 v30, v20, v58, -v5
	s_waitcnt vmcnt(14)
	v_pk_fma_f32 v[20:21], v[22:23], v[32:33], v[18:19] op_sel:[0,0,1] op_sel_hi:[1,1,0] neg_lo:[0,0,1] neg_hi:[0,0,1]
	v_pk_fma_f32 v[18:19], v[22:23], v[32:33], v[18:19] op_sel:[0,0,1] op_sel_hi:[1,0,0]
	ds_read_b128 v[6:9], v4 offset:752
	ds_read_b128 v[10:13], v4 offset:768
	;; [unrolled: 1-line block ×3, first 2 shown]
	v_pk_add_f32 v[4:5], v[26:27], v[28:29]
	v_pk_add_f32 v[4:5], v[4:5], v[30:31]
	v_mov_b32_e32 v21, v19
	v_pk_add_f32 v[4:5], v[4:5], v[20:21]
	s_waitcnt vmcnt(13)
	v_mov_b32_e32 v18, v35
	v_pk_mul_f32 v[18:19], v[24:25], v[18:19] op_sel_hi:[1,0]
	s_waitcnt vmcnt(12)
	v_pk_fma_f32 v[20:21], v[24:25], v[34:35], v[18:19] op_sel:[0,0,1] op_sel_hi:[1,1,0] neg_lo:[0,0,1] neg_hi:[0,0,1]
	v_pk_fma_f32 v[18:19], v[24:25], v[34:35], v[18:19] op_sel:[0,0,1] op_sel_hi:[1,0,0]
	s_waitcnt vmcnt(11)
	v_mov_b32_e32 v18, v37
	v_mov_b32_e32 v21, v19
	s_waitcnt lgkmcnt(2)
	v_pk_mul_f32 v[18:19], v[6:7], v[18:19] op_sel_hi:[1,0]
	v_pk_add_f32 v[4:5], v[4:5], v[20:21]
	s_waitcnt vmcnt(10)
	v_pk_fma_f32 v[20:21], v[6:7], v[36:37], v[18:19] op_sel:[0,0,1] op_sel_hi:[1,1,0] neg_lo:[0,0,1] neg_hi:[0,0,1]
	v_pk_fma_f32 v[6:7], v[6:7], v[36:37], v[18:19] op_sel:[0,0,1] op_sel_hi:[1,0,0]
	s_waitcnt vmcnt(9)
	v_mov_b32_e32 v6, v39
	v_mov_b32_e32 v21, v7
	v_pk_mul_f32 v[6:7], v[8:9], v[6:7] op_sel_hi:[1,0]
	s_waitcnt vmcnt(8)
	v_pk_fma_f32 v[18:19], v[8:9], v[38:39], v[6:7] op_sel:[0,0,1] op_sel_hi:[1,1,0] neg_lo:[0,0,1] neg_hi:[0,0,1]
	v_pk_fma_f32 v[6:7], v[8:9], v[38:39], v[6:7] op_sel:[0,0,1] op_sel_hi:[1,0,0]
	s_waitcnt vmcnt(7)
	v_mov_b32_e32 v6, v41
	v_mov_b32_e32 v19, v7
	s_waitcnt lgkmcnt(1)
	v_pk_mul_f32 v[6:7], v[10:11], v[6:7] op_sel_hi:[1,0]
	s_waitcnt vmcnt(6)
	v_pk_fma_f32 v[8:9], v[10:11], v[40:41], v[6:7] op_sel:[0,0,1] op_sel_hi:[1,1,0] neg_lo:[0,0,1] neg_hi:[0,0,1]
	v_pk_fma_f32 v[6:7], v[10:11], v[40:41], v[6:7] op_sel:[0,0,1] op_sel_hi:[1,0,0]
	v_pk_add_f32 v[4:5], v[4:5], v[20:21]
	s_waitcnt vmcnt(5)
	v_mov_b32_e32 v6, v43
	v_pk_add_f32 v[4:5], v[4:5], v[18:19]
	v_mov_b32_e32 v9, v7
	v_pk_mul_f32 v[6:7], v[12:13], v[6:7] op_sel_hi:[1,0]
	v_pk_add_f32 v[4:5], v[4:5], v[8:9]
	s_waitcnt vmcnt(4)
	v_pk_fma_f32 v[8:9], v[12:13], v[42:43], v[6:7] op_sel:[0,0,1] op_sel_hi:[1,1,0] neg_lo:[0,0,1] neg_hi:[0,0,1]
	v_pk_fma_f32 v[6:7], v[12:13], v[42:43], v[6:7] op_sel:[0,0,1] op_sel_hi:[1,0,0]
	s_waitcnt vmcnt(3)
	v_mov_b32_e32 v6, v45
	v_mov_b32_e32 v9, v7
	s_waitcnt lgkmcnt(0)
	v_pk_mul_f32 v[6:7], v[14:15], v[6:7] op_sel_hi:[1,0]
	v_pk_add_f32 v[4:5], v[4:5], v[8:9]
	s_waitcnt vmcnt(2)
	v_pk_fma_f32 v[8:9], v[14:15], v[44:45], v[6:7] op_sel:[0,0,1] op_sel_hi:[1,1,0] neg_lo:[0,0,1] neg_hi:[0,0,1]
	v_pk_fma_f32 v[6:7], v[14:15], v[44:45], v[6:7] op_sel:[0,0,1] op_sel_hi:[1,0,0]
	s_waitcnt vmcnt(1)
	v_mov_b32_e32 v6, v47
	v_mov_b32_e32 v9, v7
	v_pk_mul_f32 v[6:7], v[16:17], v[6:7] op_sel_hi:[1,0]
	v_pk_add_f32 v[4:5], v[4:5], v[8:9]
	s_waitcnt vmcnt(0)
	v_pk_fma_f32 v[8:9], v[16:17], v[46:47], v[6:7] op_sel:[0,0,1] op_sel_hi:[1,1,0] neg_lo:[0,0,1] neg_hi:[0,0,1]
	v_pk_fma_f32 v[6:7], v[16:17], v[46:47], v[6:7] op_sel:[0,0,1] op_sel_hi:[1,0,0]
	v_mov_b32_e32 v9, v7
	v_pk_add_f32 v[4:5], v[4:5], v[8:9]
	v_pk_add_f32 v[2:3], v[2:3], v[4:5] neg_lo:[0,1] neg_hi:[0,1]
	buffer_store_dword v3, off, s[0:3], 0 offset:268
	buffer_store_dword v2, off, s[0:3], 0 offset:264
	s_and_saveexec_b64 s[4:5], vcc
	s_cbranch_execz .LBB113_249
; %bb.248:
	buffer_load_dword v2, off, s[0:3], 0 offset:256
	buffer_load_dword v3, off, s[0:3], 0 offset:260
	v_mov_b32_e32 v4, 0
	buffer_store_dword v4, off, s[0:3], 0 offset:256
	buffer_store_dword v4, off, s[0:3], 0 offset:260
	s_waitcnt vmcnt(2)
	ds_write_b64 v111, v[2:3]
.LBB113_249:
	s_or_b64 exec, exec, s[4:5]
	v_mov_b32_e32 v4, 0
	s_waitcnt lgkmcnt(0)
	; wave barrier
	s_waitcnt lgkmcnt(0)
	ds_read2_b64 v[6:9], v4 offset0:83 offset1:84
	buffer_load_dword v2, off, s[0:3], 0 offset:256
	buffer_load_dword v3, off, s[0:3], 0 offset:260
	buffer_load_dword v5, off, s[0:3], 0 offset:264
	buffer_load_dword v26, off, s[0:3], 0 offset:268
	buffer_load_dword v28, off, s[0:3], 0 offset:272
	buffer_load_dword v30, off, s[0:3], 0 offset:276
	buffer_load_dword v48, off, s[0:3], 0 offset:280
	buffer_load_dword v49, off, s[0:3], 0 offset:284
	buffer_load_dword v50, off, s[0:3], 0 offset:288
	buffer_load_dword v51, off, s[0:3], 0 offset:292
	buffer_load_dword v52, off, s[0:3], 0 offset:296
	buffer_load_dword v53, off, s[0:3], 0 offset:300
	buffer_load_dword v54, off, s[0:3], 0 offset:304
	buffer_load_dword v55, off, s[0:3], 0 offset:308
	buffer_load_dword v56, off, s[0:3], 0 offset:312
	buffer_load_dword v57, off, s[0:3], 0 offset:316
	v_cmp_lt_u32_e32 vcc, 31, v0
	s_waitcnt vmcnt(12) lgkmcnt(0)
	v_mul_f32_e32 v10, v6, v26
	v_fmac_f32_e32 v10, v7, v5
	s_waitcnt vmcnt(10)
	v_mul_f32_e32 v11, v8, v30
	v_add_f32_e32 v10, 0, v10
	v_fmac_f32_e32 v11, v9, v28
	v_add_f32_e32 v14, v10, v11
	ds_read2_b64 v[10:13], v4 offset0:85 offset1:86
	v_mul_f32_e32 v7, v7, v26
	v_fma_f32 v5, v6, v5, -v7
	v_mul_f32_e32 v6, v9, v30
	v_add_f32_e32 v5, 0, v5
	s_waitcnt vmcnt(8) lgkmcnt(0)
	v_mul_f32_e32 v15, v10, v49
	v_fmac_f32_e32 v15, v11, v48
	v_add_f32_e32 v14, v14, v15
	s_waitcnt vmcnt(6)
	v_mul_f32_e32 v15, v12, v51
	v_fmac_f32_e32 v15, v13, v50
	v_add_f32_e32 v18, v14, v15
	ds_read2_b64 v[14:17], v4 offset0:87 offset1:88
	v_fma_f32 v6, v8, v28, -v6
	v_add_f32_e32 v5, v5, v6
	v_mul_f32_e32 v6, v11, v49
	v_fma_f32 v6, v10, v48, -v6
	s_waitcnt vmcnt(4) lgkmcnt(0)
	v_mul_f32_e32 v19, v14, v53
	v_fmac_f32_e32 v19, v15, v52
	v_add_f32_e32 v18, v18, v19
	s_waitcnt vmcnt(2)
	v_mul_f32_e32 v19, v16, v55
	v_fmac_f32_e32 v19, v17, v54
	v_add_f32_e32 v22, v18, v19
	ds_read2_b64 v[18:21], v4 offset0:89 offset1:90
	buffer_load_dword v58, off, s[0:3], 0 offset:320
	buffer_load_dword v59, off, s[0:3], 0 offset:324
	v_add_f32_e32 v5, v5, v6
	v_mul_f32_e32 v6, v13, v51
	v_fma_f32 v6, v12, v50, -v6
	s_waitcnt vmcnt(2) lgkmcnt(0)
	v_mul_f32_e32 v23, v18, v57
	v_fmac_f32_e32 v23, v19, v56
	v_add_f32_e32 v27, v22, v23
	ds_read2_b64 v[22:25], v4 offset0:91 offset1:92
	buffer_load_dword v60, off, s[0:3], 0 offset:328
	buffer_load_dword v61, off, s[0:3], 0 offset:332
	;; [unrolled: 1-line block ×18, first 2 shown]
	v_add_f32_e32 v5, v5, v6
	v_mul_f32_e32 v6, v15, v53
	v_fma_f32 v6, v14, v52, -v6
	v_add_f32_e32 v5, v5, v6
	v_mul_f32_e32 v6, v17, v55
	v_fma_f32 v6, v16, v54, -v6
	v_add_f32_e32 v5, v5, v6
	v_mul_f32_e32 v6, v19, v57
	v_fma_f32 v6, v18, v56, -v6
	v_add_f32_e32 v26, v5, v6
	ds_read2_b64 v[6:9], v4 offset0:93 offset1:94
	ds_read2_b64 v[10:13], v4 offset0:95 offset1:96
	;; [unrolled: 1-line block ×3, first 2 shown]
	ds_read_b64 v[18:19], v4 offset:792
	s_waitcnt vmcnt(18)
	v_mul_f32_e32 v5, v21, v59
	v_fma_f32 v28, v20, v58, -v5
	v_mul_f32_e32 v29, v20, v59
	v_fmac_f32_e32 v29, v21, v58
	v_pk_add_f32 v[20:21], v[26:27], v[28:29]
	s_waitcnt vmcnt(16) lgkmcnt(4)
	v_mul_f32_e32 v5, v23, v61
	v_mul_f32_e32 v31, v22, v61
	v_fma_f32 v30, v22, v60, -v5
	s_waitcnt vmcnt(15)
	v_mov_b32_e32 v22, v33
	v_fmac_f32_e32 v31, v23, v60
	v_pk_mul_f32 v[22:23], v[24:25], v[22:23] op_sel_hi:[1,0]
	s_waitcnt vmcnt(14)
	v_pk_fma_f32 v[26:27], v[24:25], v[32:33], v[22:23] op_sel:[0,0,1] op_sel_hi:[1,1,0] neg_lo:[0,0,1] neg_hi:[0,0,1]
	v_pk_fma_f32 v[22:23], v[24:25], v[32:33], v[22:23] op_sel:[0,0,1] op_sel_hi:[1,0,0]
	s_waitcnt vmcnt(13)
	v_mov_b32_e32 v22, v35
	v_mov_b32_e32 v27, v23
	s_waitcnt lgkmcnt(3)
	v_pk_mul_f32 v[22:23], v[6:7], v[22:23] op_sel_hi:[1,0]
	v_pk_add_f32 v[20:21], v[20:21], v[30:31]
	s_waitcnt vmcnt(12)
	v_pk_fma_f32 v[24:25], v[6:7], v[34:35], v[22:23] op_sel:[0,0,1] op_sel_hi:[1,1,0] neg_lo:[0,0,1] neg_hi:[0,0,1]
	v_pk_fma_f32 v[6:7], v[6:7], v[34:35], v[22:23] op_sel:[0,0,1] op_sel_hi:[1,0,0]
	v_pk_add_f32 v[20:21], v[20:21], v[26:27]
	v_mov_b32_e32 v25, v7
	v_pk_add_f32 v[6:7], v[20:21], v[24:25]
	s_waitcnt vmcnt(11)
	v_mov_b32_e32 v20, v37
	v_pk_mul_f32 v[20:21], v[8:9], v[20:21] op_sel_hi:[1,0]
	s_waitcnt vmcnt(10)
	v_pk_fma_f32 v[22:23], v[8:9], v[36:37], v[20:21] op_sel:[0,0,1] op_sel_hi:[1,1,0] neg_lo:[0,0,1] neg_hi:[0,0,1]
	v_pk_fma_f32 v[8:9], v[8:9], v[36:37], v[20:21] op_sel:[0,0,1] op_sel_hi:[1,0,0]
	s_waitcnt vmcnt(9)
	v_mov_b32_e32 v8, v39
	v_mov_b32_e32 v23, v9
	s_waitcnt lgkmcnt(2)
	v_pk_mul_f32 v[8:9], v[10:11], v[8:9] op_sel_hi:[1,0]
	s_waitcnt vmcnt(8)
	v_pk_fma_f32 v[20:21], v[10:11], v[38:39], v[8:9] op_sel:[0,0,1] op_sel_hi:[1,1,0] neg_lo:[0,0,1] neg_hi:[0,0,1]
	v_pk_fma_f32 v[8:9], v[10:11], v[38:39], v[8:9] op_sel:[0,0,1] op_sel_hi:[1,0,0]
	s_waitcnt vmcnt(7)
	v_mov_b32_e32 v8, v41
	v_mov_b32_e32 v21, v9
	v_pk_mul_f32 v[8:9], v[12:13], v[8:9] op_sel_hi:[1,0]
	s_waitcnt vmcnt(6)
	v_pk_fma_f32 v[10:11], v[12:13], v[40:41], v[8:9] op_sel:[0,0,1] op_sel_hi:[1,1,0] neg_lo:[0,0,1] neg_hi:[0,0,1]
	v_pk_fma_f32 v[8:9], v[12:13], v[40:41], v[8:9] op_sel:[0,0,1] op_sel_hi:[1,0,0]
	v_pk_add_f32 v[6:7], v[6:7], v[22:23]
	s_waitcnt vmcnt(5)
	v_mov_b32_e32 v8, v43
	v_pk_add_f32 v[6:7], v[6:7], v[20:21]
	v_mov_b32_e32 v11, v9
	s_waitcnt lgkmcnt(1)
	v_pk_mul_f32 v[8:9], v[14:15], v[8:9] op_sel_hi:[1,0]
	v_pk_add_f32 v[6:7], v[6:7], v[10:11]
	s_waitcnt vmcnt(4)
	v_pk_fma_f32 v[10:11], v[14:15], v[42:43], v[8:9] op_sel:[0,0,1] op_sel_hi:[1,1,0] neg_lo:[0,0,1] neg_hi:[0,0,1]
	v_pk_fma_f32 v[8:9], v[14:15], v[42:43], v[8:9] op_sel:[0,0,1] op_sel_hi:[1,0,0]
	s_waitcnt vmcnt(3)
	v_mov_b32_e32 v8, v45
	v_mov_b32_e32 v11, v9
	v_pk_mul_f32 v[8:9], v[16:17], v[8:9] op_sel_hi:[1,0]
	v_pk_add_f32 v[6:7], v[6:7], v[10:11]
	s_waitcnt vmcnt(2)
	v_pk_fma_f32 v[10:11], v[16:17], v[44:45], v[8:9] op_sel:[0,0,1] op_sel_hi:[1,1,0] neg_lo:[0,0,1] neg_hi:[0,0,1]
	v_pk_fma_f32 v[8:9], v[16:17], v[44:45], v[8:9] op_sel:[0,0,1] op_sel_hi:[1,0,0]
	s_waitcnt vmcnt(1)
	v_mov_b32_e32 v8, v47
	v_mov_b32_e32 v11, v9
	s_waitcnt lgkmcnt(0)
	v_pk_mul_f32 v[8:9], v[18:19], v[8:9] op_sel_hi:[1,0]
	v_pk_add_f32 v[6:7], v[6:7], v[10:11]
	s_waitcnt vmcnt(0)
	v_pk_fma_f32 v[10:11], v[18:19], v[46:47], v[8:9] op_sel:[0,0,1] op_sel_hi:[1,1,0] neg_lo:[0,0,1] neg_hi:[0,0,1]
	v_pk_fma_f32 v[8:9], v[18:19], v[46:47], v[8:9] op_sel:[0,0,1] op_sel_hi:[1,0,0]
	v_mov_b32_e32 v11, v9
	v_pk_add_f32 v[6:7], v[6:7], v[10:11]
	v_pk_add_f32 v[2:3], v[2:3], v[6:7] neg_lo:[0,1] neg_hi:[0,1]
	buffer_store_dword v3, off, s[0:3], 0 offset:260
	buffer_store_dword v2, off, s[0:3], 0 offset:256
	s_and_saveexec_b64 s[4:5], vcc
	s_cbranch_execz .LBB113_251
; %bb.250:
	buffer_load_dword v2, off, s[0:3], 0 offset:248
	buffer_load_dword v3, off, s[0:3], 0 offset:252
	s_waitcnt vmcnt(0)
	ds_write_b64 v111, v[2:3]
	buffer_store_dword v4, off, s[0:3], 0 offset:248
	buffer_store_dword v4, off, s[0:3], 0 offset:252
.LBB113_251:
	s_or_b64 exec, exec, s[4:5]
	s_waitcnt lgkmcnt(0)
	; wave barrier
	s_waitcnt lgkmcnt(0)
	buffer_load_dword v2, off, s[0:3], 0 offset:260
	buffer_load_dword v3, off, s[0:3], 0 offset:268
	;; [unrolled: 1-line block ×22, first 2 shown]
	ds_read_b128 v[6:9], v4 offset:656
	ds_read_b128 v[10:13], v4 offset:672
	buffer_load_dword v33, off, s[0:3], 0 offset:340
	buffer_load_dword v32, off, s[0:3], 0 offset:336
	;; [unrolled: 1-line block ×10, first 2 shown]
	ds_read_b128 v[14:17], v4 offset:688
	ds_read_b128 v[18:21], v4 offset:704
	;; [unrolled: 1-line block ×4, first 2 shown]
	buffer_load_dword v43, off, s[0:3], 0 offset:396
	buffer_load_dword v42, off, s[0:3], 0 offset:392
	buffer_load_dword v45, off, s[0:3], 0 offset:388
	buffer_load_dword v44, off, s[0:3], 0 offset:384
	buffer_load_dword v47, off, s[0:3], 0 offset:380
	buffer_load_dword v46, off, s[0:3], 0 offset:376
	v_cmp_lt_u32_e32 vcc, 30, v0
	s_waitcnt vmcnt(37) lgkmcnt(5)
	v_mul_f32_e32 v67, v6, v2
	s_waitcnt vmcnt(36)
	v_mul_f32_e32 v68, v8, v3
	v_mul_f32_e32 v2, v7, v2
	;; [unrolled: 1-line block ×3, first 2 shown]
	s_waitcnt vmcnt(35) lgkmcnt(4)
	v_mul_f32_e32 v69, v10, v5
	s_waitcnt vmcnt(34)
	v_mul_f32_e32 v70, v12, v48
	s_waitcnt vmcnt(33) lgkmcnt(3)
	v_mul_f32_e32 v71, v14, v50
	s_waitcnt vmcnt(32)
	v_mul_f32_e32 v72, v16, v52
	v_mul_f32_e32 v5, v11, v5
	s_waitcnt vmcnt(31) lgkmcnt(2)
	v_mul_f32_e32 v73, v18, v53
	s_waitcnt vmcnt(27)
	v_fmac_f32_e32 v67, v7, v57
	s_waitcnt vmcnt(26)
	v_fmac_f32_e32 v68, v9, v58
	v_fma_f32 v2, v6, v57, -v2
	v_fma_f32 v3, v8, v58, -v3
	v_add_f32_e32 v8, 0, v67
	s_waitcnt vmcnt(25)
	v_fmac_f32_e32 v69, v11, v59
	v_add_f32_e32 v2, 0, v2
	v_add_f32_e32 v8, v8, v68
	s_waitcnt vmcnt(24)
	v_fmac_f32_e32 v70, v13, v60
	v_add_f32_e32 v2, v2, v3
	;; [unrolled: 4-line block ×3, first 2 shown]
	v_mul_f32_e32 v48, v13, v48
	s_waitcnt vmcnt(22)
	v_fmac_f32_e32 v72, v17, v62
	v_fma_f32 v5, v10, v59, -v5
	v_add_f32_e32 v3, v3, v71
	v_mul_f32_e32 v74, v20, v54
	v_mul_f32_e32 v50, v15, v50
	s_waitcnt vmcnt(21)
	v_fmac_f32_e32 v73, v19, v63
	v_fma_f32 v6, v12, v60, -v48
	v_add_f32_e32 v2, v2, v5
	v_add_f32_e32 v3, v3, v72
	v_mul_f32_e32 v52, v17, v52
	s_waitcnt vmcnt(20)
	v_fmac_f32_e32 v74, v21, v64
	v_fma_f32 v7, v14, v61, -v50
	v_add_f32_e32 v2, v2, v6
	v_add_f32_e32 v3, v3, v73
	;; [unrolled: 1-line block ×4, first 2 shown]
	v_fma_f32 v3, v16, v62, -v52
	v_add_f32_e32 v2, v2, v3
	v_mul_f32_e32 v3, v19, v53
	v_fma_f32 v3, v18, v63, -v3
	v_add_f32_e32 v2, v2, v3
	v_mul_f32_e32 v3, v21, v54
	v_fma_f32 v3, v20, v64, -v3
	s_waitcnt vmcnt(15)
	v_mov_b32_e32 v16, v33
	s_waitcnt lgkmcnt(1)
	v_mul_f32_e32 v49, v22, v55
	v_add_f32_e32 v14, v2, v3
	v_mul_f32_e32 v2, v23, v55
	s_waitcnt lgkmcnt(0)
	v_pk_mul_f32 v[16:17], v[26:27], v[16:17] op_sel_hi:[1,0]
	v_mul_f32_e32 v51, v24, v56
	v_fmac_f32_e32 v49, v23, v65
	v_fma_f32 v48, v22, v65, -v2
	v_mul_f32_e32 v2, v25, v56
	s_waitcnt vmcnt(14)
	v_pk_fma_f32 v[18:19], v[26:27], v[32:33], v[16:17] op_sel:[0,0,1] op_sel_hi:[1,1,0] neg_lo:[0,0,1] neg_hi:[0,0,1]
	v_pk_fma_f32 v[16:17], v[26:27], v[32:33], v[16:17] op_sel:[0,0,1] op_sel_hi:[1,0,0]
	v_fmac_f32_e32 v51, v25, v66
	v_fma_f32 v50, v24, v66, -v2
	v_pk_add_f32 v[14:15], v[14:15], v[48:49]
	s_waitcnt vmcnt(13)
	v_mov_b32_e32 v16, v35
	ds_read_b128 v[6:9], v4 offset:752
	ds_read_b128 v[10:13], v4 offset:768
	;; [unrolled: 1-line block ×3, first 2 shown]
	v_pk_add_f32 v[14:15], v[14:15], v[50:51]
	v_mov_b32_e32 v19, v17
	v_pk_mul_f32 v[16:17], v[28:29], v[16:17] op_sel_hi:[1,0]
	v_pk_add_f32 v[14:15], v[14:15], v[18:19]
	s_waitcnt vmcnt(6)
	v_pk_fma_f32 v[18:19], v[28:29], v[34:35], v[16:17] op_sel:[0,0,1] op_sel_hi:[1,1,0] neg_lo:[0,0,1] neg_hi:[0,0,1]
	v_pk_fma_f32 v[16:17], v[28:29], v[34:35], v[16:17] op_sel:[0,0,1] op_sel_hi:[1,0,0]
	v_mov_b32_e32 v16, v41
	v_mov_b32_e32 v19, v17
	s_waitcnt lgkmcnt(2)
	v_pk_mul_f32 v[16:17], v[6:7], v[16:17] op_sel_hi:[1,0]
	v_pk_add_f32 v[14:15], v[14:15], v[18:19]
	v_pk_fma_f32 v[18:19], v[6:7], v[40:41], v[16:17] op_sel:[0,0,1] op_sel_hi:[1,1,0] neg_lo:[0,0,1] neg_hi:[0,0,1]
	v_pk_fma_f32 v[6:7], v[6:7], v[40:41], v[16:17] op_sel:[0,0,1] op_sel_hi:[1,0,0]
	v_mov_b32_e32 v19, v7
	v_pk_add_f32 v[6:7], v[14:15], v[18:19]
	v_mov_b32_e32 v14, v39
	v_pk_mul_f32 v[14:15], v[8:9], v[14:15] op_sel_hi:[1,0]
	v_pk_fma_f32 v[16:17], v[8:9], v[38:39], v[14:15] op_sel:[0,0,1] op_sel_hi:[1,1,0] neg_lo:[0,0,1] neg_hi:[0,0,1]
	v_pk_fma_f32 v[8:9], v[8:9], v[38:39], v[14:15] op_sel:[0,0,1] op_sel_hi:[1,0,0]
	v_mov_b32_e32 v8, v37
	v_mov_b32_e32 v17, v9
	s_waitcnt lgkmcnt(1)
	v_pk_mul_f32 v[8:9], v[10:11], v[8:9] op_sel_hi:[1,0]
	v_pk_fma_f32 v[14:15], v[10:11], v[36:37], v[8:9] op_sel:[0,0,1] op_sel_hi:[1,1,0] neg_lo:[0,0,1] neg_hi:[0,0,1]
	v_pk_fma_f32 v[8:9], v[10:11], v[36:37], v[8:9] op_sel:[0,0,1] op_sel_hi:[1,0,0]
	s_waitcnt vmcnt(1)
	v_mov_b32_e32 v8, v47
	v_mov_b32_e32 v15, v9
	v_pk_mul_f32 v[8:9], v[12:13], v[8:9] op_sel_hi:[1,0]
	s_waitcnt vmcnt(0)
	v_pk_fma_f32 v[10:11], v[12:13], v[46:47], v[8:9] op_sel:[0,0,1] op_sel_hi:[1,1,0] neg_lo:[0,0,1] neg_hi:[0,0,1]
	v_pk_fma_f32 v[8:9], v[12:13], v[46:47], v[8:9] op_sel:[0,0,1] op_sel_hi:[1,0,0]
	v_pk_add_f32 v[6:7], v[6:7], v[16:17]
	v_mov_b32_e32 v8, v45
	v_pk_add_f32 v[6:7], v[6:7], v[14:15]
	v_mov_b32_e32 v11, v9
	s_waitcnt lgkmcnt(0)
	v_pk_mul_f32 v[8:9], v[2:3], v[8:9] op_sel_hi:[1,0]
	v_pk_add_f32 v[6:7], v[6:7], v[10:11]
	v_pk_fma_f32 v[10:11], v[2:3], v[44:45], v[8:9] op_sel:[0,0,1] op_sel_hi:[1,1,0] neg_lo:[0,0,1] neg_hi:[0,0,1]
	v_pk_fma_f32 v[2:3], v[2:3], v[44:45], v[8:9] op_sel:[0,0,1] op_sel_hi:[1,0,0]
	v_mov_b32_e32 v11, v3
	v_pk_add_f32 v[2:3], v[6:7], v[10:11]
	v_mov_b32_e32 v6, v43
	v_pk_mul_f32 v[6:7], v[4:5], v[6:7] op_sel_hi:[1,0]
	v_pk_fma_f32 v[8:9], v[4:5], v[42:43], v[6:7] op_sel:[0,0,1] op_sel_hi:[1,1,0] neg_lo:[0,0,1] neg_hi:[0,0,1]
	v_pk_fma_f32 v[4:5], v[4:5], v[42:43], v[6:7] op_sel:[0,0,1] op_sel_hi:[1,0,0]
	v_mov_b32_e32 v9, v5
	v_pk_add_f32 v[2:3], v[2:3], v[8:9]
	v_pk_add_f32 v[2:3], v[30:31], v[2:3] neg_lo:[0,1] neg_hi:[0,1]
	buffer_store_dword v3, off, s[0:3], 0 offset:252
	buffer_store_dword v2, off, s[0:3], 0 offset:248
	s_and_saveexec_b64 s[4:5], vcc
	s_cbranch_execz .LBB113_253
; %bb.252:
	buffer_load_dword v2, off, s[0:3], 0 offset:240
	buffer_load_dword v3, off, s[0:3], 0 offset:244
	v_mov_b32_e32 v4, 0
	buffer_store_dword v4, off, s[0:3], 0 offset:240
	buffer_store_dword v4, off, s[0:3], 0 offset:244
	s_waitcnt vmcnt(2)
	ds_write_b64 v111, v[2:3]
.LBB113_253:
	s_or_b64 exec, exec, s[4:5]
	s_waitcnt lgkmcnt(0)
	; wave barrier
	s_waitcnt lgkmcnt(0)
	buffer_load_dword v3, off, s[0:3], 0 offset:252
	buffer_load_dword v46, off, s[0:3], 0 offset:260
	buffer_load_dword v48, off, s[0:3], 0 offset:268
	buffer_load_dword v50, off, s[0:3], 0 offset:276
	buffer_load_dword v52, off, s[0:3], 0 offset:284
	buffer_load_dword v53, off, s[0:3], 0 offset:292
	buffer_load_dword v54, off, s[0:3], 0 offset:300
	buffer_load_dword v55, off, s[0:3], 0 offset:308
	buffer_load_dword v56, off, s[0:3], 0 offset:316
	buffer_load_dword v57, off, s[0:3], 0 offset:324
	buffer_load_dword v58, off, s[0:3], 0 offset:332
	buffer_load_dword v51, off, s[0:3], 0 offset:248
	buffer_load_dword v59, off, s[0:3], 0 offset:256
	buffer_load_dword v60, off, s[0:3], 0 offset:264
	buffer_load_dword v61, off, s[0:3], 0 offset:272
	buffer_load_dword v62, off, s[0:3], 0 offset:280
	buffer_load_dword v63, off, s[0:3], 0 offset:288
	buffer_load_dword v64, off, s[0:3], 0 offset:296
	buffer_load_dword v65, off, s[0:3], 0 offset:304
	buffer_load_dword v66, off, s[0:3], 0 offset:312
	buffer_load_dword v67, off, s[0:3], 0 offset:320
	buffer_load_dword v68, off, s[0:3], 0 offset:328
	buffer_load_dword v28, off, s[0:3], 0 offset:240
	buffer_load_dword v29, off, s[0:3], 0 offset:244
	buffer_load_dword v31, off, s[0:3], 0 offset:364
	buffer_load_dword v30, off, s[0:3], 0 offset:360
	buffer_load_dword v33, off, s[0:3], 0 offset:356
	buffer_load_dword v32, off, s[0:3], 0 offset:352
	buffer_load_dword v35, off, s[0:3], 0 offset:348
	buffer_load_dword v34, off, s[0:3], 0 offset:344
	buffer_load_dword v37, off, s[0:3], 0 offset:340
	buffer_load_dword v36, off, s[0:3], 0 offset:336
	buffer_load_dword v39, off, s[0:3], 0 offset:396
	buffer_load_dword v38, off, s[0:3], 0 offset:392
	buffer_load_dword v41, off, s[0:3], 0 offset:388
	buffer_load_dword v40, off, s[0:3], 0 offset:384
	buffer_load_dword v43, off, s[0:3], 0 offset:380
	buffer_load_dword v42, off, s[0:3], 0 offset:376
	buffer_load_dword v45, off, s[0:3], 0 offset:372
	buffer_load_dword v44, off, s[0:3], 0 offset:368
	v_mov_b32_e32 v2, 0
	ds_read2_b64 v[4:7], v2 offset0:81 offset1:82
	ds_read2_b64 v[8:11], v2 offset0:83 offset1:84
	;; [unrolled: 1-line block ×6, first 2 shown]
	v_cmp_lt_u32_e32 vcc, 29, v0
	s_waitcnt vmcnt(39) lgkmcnt(5)
	v_mul_f32_e32 v69, v4, v3
	s_waitcnt vmcnt(38)
	v_mul_f32_e32 v70, v6, v46
	v_mul_f32_e32 v3, v5, v3
	s_waitcnt vmcnt(37) lgkmcnt(4)
	v_mul_f32_e32 v71, v8, v48
	v_mul_f32_e32 v46, v7, v46
	s_waitcnt vmcnt(36)
	v_mul_f32_e32 v72, v10, v50
	s_waitcnt vmcnt(35) lgkmcnt(3)
	v_mul_f32_e32 v73, v12, v52
	s_waitcnt vmcnt(34)
	v_mul_f32_e32 v74, v14, v53
	s_waitcnt vmcnt(33) lgkmcnt(2)
	;; [unrolled: 4-line block ×3, first 2 shown]
	v_mul_f32_e32 v77, v20, v56
	s_waitcnt vmcnt(28)
	v_fmac_f32_e32 v69, v5, v51
	s_waitcnt vmcnt(27)
	v_fmac_f32_e32 v70, v7, v59
	v_fma_f32 v3, v4, v51, -v3
	v_add_f32_e32 v7, 0, v69
	s_waitcnt vmcnt(26)
	v_fmac_f32_e32 v71, v9, v60
	v_fma_f32 v4, v6, v59, -v46
	v_add_f32_e32 v3, 0, v3
	v_add_f32_e32 v7, v7, v70
	s_waitcnt vmcnt(25)
	v_fmac_f32_e32 v72, v11, v61
	v_add_f32_e32 v3, v3, v4
	v_add_f32_e32 v4, v7, v71
	s_waitcnt vmcnt(24)
	v_fmac_f32_e32 v73, v13, v62
	v_add_f32_e32 v4, v4, v72
	s_waitcnt vmcnt(23)
	v_fmac_f32_e32 v74, v15, v63
	;; [unrolled: 3-line block ×3, first 2 shown]
	v_add_f32_e32 v4, v4, v74
	v_mul_f32_e32 v48, v9, v48
	s_waitcnt vmcnt(21)
	v_fmac_f32_e32 v76, v19, v65
	v_add_f32_e32 v4, v4, v75
	v_mul_f32_e32 v50, v11, v50
	s_waitcnt vmcnt(20)
	v_fmac_f32_e32 v77, v21, v66
	v_fma_f32 v5, v8, v60, -v48
	v_add_f32_e32 v4, v4, v76
	v_fma_f32 v6, v10, v61, -v50
	v_add_f32_e32 v3, v3, v5
	v_add_f32_e32 v51, v4, v77
	v_mul_f32_e32 v4, v13, v52
	v_add_f32_e32 v3, v3, v6
	v_fma_f32 v4, v12, v62, -v4
	v_add_f32_e32 v3, v3, v4
	v_mul_f32_e32 v4, v15, v53
	v_fma_f32 v4, v14, v63, -v4
	v_add_f32_e32 v3, v3, v4
	v_mul_f32_e32 v4, v17, v54
	v_fma_f32 v4, v16, v64, -v4
	v_add_f32_e32 v3, v3, v4
	v_mul_f32_e32 v4, v19, v55
	v_fma_f32 v4, v18, v65, -v4
	v_add_f32_e32 v3, v3, v4
	v_mul_f32_e32 v4, v21, v56
	v_fma_f32 v4, v20, v66, -v4
	s_waitcnt vmcnt(9)
	v_mov_b32_e32 v20, v37
	v_mul_f32_e32 v47, v22, v57
	v_add_f32_e32 v50, v3, v4
	v_mul_f32_e32 v3, v23, v57
	s_waitcnt lgkmcnt(0)
	v_pk_mul_f32 v[20:21], v[26:27], v[20:21] op_sel_hi:[1,0]
	v_mul_f32_e32 v49, v24, v58
	v_fmac_f32_e32 v47, v23, v67
	v_fma_f32 v46, v22, v67, -v3
	v_mul_f32_e32 v3, v25, v58
	ds_read2_b64 v[4:7], v2 offset0:93 offset1:94
	ds_read2_b64 v[8:11], v2 offset0:95 offset1:96
	;; [unrolled: 1-line block ×3, first 2 shown]
	ds_read_b64 v[16:17], v2 offset:792
	s_waitcnt vmcnt(8)
	v_pk_fma_f32 v[22:23], v[26:27], v[36:37], v[20:21] op_sel:[0,0,1] op_sel_hi:[1,1,0] neg_lo:[0,0,1] neg_hi:[0,0,1]
	v_pk_fma_f32 v[20:21], v[26:27], v[36:37], v[20:21] op_sel:[0,0,1] op_sel_hi:[1,0,0]
	v_fmac_f32_e32 v49, v25, v68
	v_fma_f32 v48, v24, v68, -v3
	v_pk_add_f32 v[18:19], v[50:51], v[46:47]
	v_mov_b32_e32 v20, v35
	v_pk_add_f32 v[18:19], v[18:19], v[48:49]
	v_mov_b32_e32 v23, v21
	s_waitcnt lgkmcnt(3)
	v_pk_mul_f32 v[20:21], v[4:5], v[20:21] op_sel_hi:[1,0]
	v_pk_add_f32 v[18:19], v[18:19], v[22:23]
	v_pk_fma_f32 v[22:23], v[4:5], v[34:35], v[20:21] op_sel:[0,0,1] op_sel_hi:[1,1,0] neg_lo:[0,0,1] neg_hi:[0,0,1]
	v_pk_fma_f32 v[4:5], v[4:5], v[34:35], v[20:21] op_sel:[0,0,1] op_sel_hi:[1,0,0]
	v_mov_b32_e32 v23, v5
	v_pk_add_f32 v[4:5], v[18:19], v[22:23]
	v_mov_b32_e32 v18, v33
	v_pk_mul_f32 v[18:19], v[6:7], v[18:19] op_sel_hi:[1,0]
	v_pk_fma_f32 v[20:21], v[6:7], v[32:33], v[18:19] op_sel:[0,0,1] op_sel_hi:[1,1,0] neg_lo:[0,0,1] neg_hi:[0,0,1]
	v_pk_fma_f32 v[6:7], v[6:7], v[32:33], v[18:19] op_sel:[0,0,1] op_sel_hi:[1,0,0]
	v_mov_b32_e32 v6, v31
	v_mov_b32_e32 v21, v7
	s_waitcnt lgkmcnt(2)
	v_pk_mul_f32 v[6:7], v[8:9], v[6:7] op_sel_hi:[1,0]
	v_pk_fma_f32 v[18:19], v[8:9], v[30:31], v[6:7] op_sel:[0,0,1] op_sel_hi:[1,1,0] neg_lo:[0,0,1] neg_hi:[0,0,1]
	v_pk_fma_f32 v[6:7], v[8:9], v[30:31], v[6:7] op_sel:[0,0,1] op_sel_hi:[1,0,0]
	s_waitcnt vmcnt(1)
	v_mov_b32_e32 v6, v45
	v_mov_b32_e32 v19, v7
	v_pk_mul_f32 v[6:7], v[10:11], v[6:7] op_sel_hi:[1,0]
	s_waitcnt vmcnt(0)
	v_pk_fma_f32 v[8:9], v[10:11], v[44:45], v[6:7] op_sel:[0,0,1] op_sel_hi:[1,1,0] neg_lo:[0,0,1] neg_hi:[0,0,1]
	v_pk_fma_f32 v[6:7], v[10:11], v[44:45], v[6:7] op_sel:[0,0,1] op_sel_hi:[1,0,0]
	v_pk_add_f32 v[4:5], v[4:5], v[20:21]
	v_mov_b32_e32 v6, v43
	v_pk_add_f32 v[4:5], v[4:5], v[18:19]
	v_mov_b32_e32 v9, v7
	s_waitcnt lgkmcnt(1)
	v_pk_mul_f32 v[6:7], v[12:13], v[6:7] op_sel_hi:[1,0]
	v_pk_add_f32 v[4:5], v[4:5], v[8:9]
	v_pk_fma_f32 v[8:9], v[12:13], v[42:43], v[6:7] op_sel:[0,0,1] op_sel_hi:[1,1,0] neg_lo:[0,0,1] neg_hi:[0,0,1]
	v_pk_fma_f32 v[6:7], v[12:13], v[42:43], v[6:7] op_sel:[0,0,1] op_sel_hi:[1,0,0]
	v_mov_b32_e32 v6, v41
	v_mov_b32_e32 v9, v7
	v_pk_mul_f32 v[6:7], v[14:15], v[6:7] op_sel_hi:[1,0]
	v_pk_add_f32 v[4:5], v[4:5], v[8:9]
	v_pk_fma_f32 v[8:9], v[14:15], v[40:41], v[6:7] op_sel:[0,0,1] op_sel_hi:[1,1,0] neg_lo:[0,0,1] neg_hi:[0,0,1]
	v_pk_fma_f32 v[6:7], v[14:15], v[40:41], v[6:7] op_sel:[0,0,1] op_sel_hi:[1,0,0]
	v_mov_b32_e32 v6, v39
	v_mov_b32_e32 v9, v7
	s_waitcnt lgkmcnt(0)
	v_pk_mul_f32 v[6:7], v[16:17], v[6:7] op_sel_hi:[1,0]
	v_pk_add_f32 v[4:5], v[4:5], v[8:9]
	v_pk_fma_f32 v[8:9], v[16:17], v[38:39], v[6:7] op_sel:[0,0,1] op_sel_hi:[1,1,0] neg_lo:[0,0,1] neg_hi:[0,0,1]
	v_pk_fma_f32 v[6:7], v[16:17], v[38:39], v[6:7] op_sel:[0,0,1] op_sel_hi:[1,0,0]
	v_mov_b32_e32 v9, v7
	v_pk_add_f32 v[4:5], v[4:5], v[8:9]
	v_pk_add_f32 v[4:5], v[28:29], v[4:5] neg_lo:[0,1] neg_hi:[0,1]
	buffer_store_dword v5, off, s[0:3], 0 offset:244
	buffer_store_dword v4, off, s[0:3], 0 offset:240
	s_and_saveexec_b64 s[4:5], vcc
	s_cbranch_execz .LBB113_255
; %bb.254:
	buffer_load_dword v4, off, s[0:3], 0 offset:232
	buffer_load_dword v5, off, s[0:3], 0 offset:236
	s_waitcnt vmcnt(0)
	ds_write_b64 v111, v[4:5]
	buffer_store_dword v2, off, s[0:3], 0 offset:232
	buffer_store_dword v2, off, s[0:3], 0 offset:236
.LBB113_255:
	s_or_b64 exec, exec, s[4:5]
	s_waitcnt lgkmcnt(0)
	; wave barrier
	s_waitcnt lgkmcnt(0)
	buffer_load_dword v3, off, s[0:3], 0 offset:244
	buffer_load_dword v46, off, s[0:3], 0 offset:252
	;; [unrolled: 1-line block ×26, first 2 shown]
	ds_read_b128 v[4:7], v2 offset:640
	ds_read_b128 v[8:11], v2 offset:656
	;; [unrolled: 1-line block ×6, first 2 shown]
	buffer_load_dword v31, off, s[0:3], 0 offset:356
	buffer_load_dword v30, off, s[0:3], 0 offset:352
	;; [unrolled: 1-line block ×16, first 2 shown]
	v_cmp_lt_u32_e32 vcc, 28, v0
	s_waitcnt vmcnt(41) lgkmcnt(5)
	v_mul_f32_e32 v71, v4, v3
	s_waitcnt vmcnt(40)
	v_mul_f32_e32 v72, v6, v46
	v_mul_f32_e32 v3, v5, v3
	;; [unrolled: 1-line block ×3, first 2 shown]
	s_waitcnt vmcnt(39) lgkmcnt(4)
	v_mul_f32_e32 v73, v8, v48
	s_waitcnt vmcnt(38)
	v_mul_f32_e32 v74, v10, v50
	s_waitcnt vmcnt(37) lgkmcnt(3)
	v_mul_f32_e32 v75, v12, v52
	s_waitcnt vmcnt(36)
	v_mul_f32_e32 v76, v14, v53
	s_waitcnt vmcnt(35) lgkmcnt(2)
	v_mul_f32_e32 v77, v16, v54
	s_waitcnt vmcnt(34)
	v_mul_f32_e32 v78, v18, v55
	s_waitcnt vmcnt(33) lgkmcnt(1)
	v_mul_f32_e32 v79, v20, v56
	s_waitcnt vmcnt(32)
	v_mul_f32_e32 v80, v22, v57
	s_waitcnt vmcnt(29)
	v_fmac_f32_e32 v71, v5, v51
	s_waitcnt vmcnt(28)
	v_fmac_f32_e32 v72, v7, v60
	v_fma_f32 v3, v4, v51, -v3
	v_fma_f32 v4, v6, v60, -v46
	v_add_f32_e32 v6, 0, v71
	s_waitcnt vmcnt(27)
	v_fmac_f32_e32 v73, v9, v61
	v_add_f32_e32 v3, 0, v3
	v_add_f32_e32 v6, v6, v72
	s_waitcnt vmcnt(26)
	v_fmac_f32_e32 v74, v11, v62
	v_add_f32_e32 v3, v3, v4
	;; [unrolled: 4-line block ×3, first 2 shown]
	s_waitcnt vmcnt(24)
	v_fmac_f32_e32 v76, v15, v64
	v_add_f32_e32 v4, v4, v75
	s_waitcnt vmcnt(23)
	v_fmac_f32_e32 v77, v17, v65
	v_add_f32_e32 v4, v4, v76
	;; [unrolled: 3-line block ×4, first 2 shown]
	v_mul_f32_e32 v48, v9, v48
	s_waitcnt vmcnt(20)
	v_fmac_f32_e32 v80, v23, v68
	v_add_f32_e32 v4, v4, v79
	v_fma_f32 v5, v8, v61, -v48
	v_add_f32_e32 v51, v4, v80
	v_mul_f32_e32 v4, v11, v50
	v_add_f32_e32 v3, v3, v5
	v_fma_f32 v4, v10, v62, -v4
	v_add_f32_e32 v3, v3, v4
	v_mul_f32_e32 v4, v13, v52
	v_fma_f32 v4, v12, v63, -v4
	v_add_f32_e32 v3, v3, v4
	v_mul_f32_e32 v4, v15, v53
	;; [unrolled: 3-line block ×6, first 2 shown]
	v_fma_f32 v4, v22, v68, -v4
	v_add_f32_e32 v50, v3, v4
	ds_read_b128 v[4:7], v2 offset:736
	ds_read_b128 v[8:11], v2 offset:752
	;; [unrolled: 1-line block ×4, first 2 shown]
	s_waitcnt vmcnt(11)
	v_mov_b32_e32 v20, v35
	s_waitcnt lgkmcnt(3)
	v_pk_mul_f32 v[20:21], v[4:5], v[20:21] op_sel_hi:[1,0]
	s_waitcnt vmcnt(10)
	v_pk_fma_f32 v[22:23], v[4:5], v[34:35], v[20:21] op_sel:[0,0,1] op_sel_hi:[1,1,0] neg_lo:[0,0,1] neg_hi:[0,0,1]
	v_pk_fma_f32 v[4:5], v[4:5], v[34:35], v[20:21] op_sel:[0,0,1] op_sel_hi:[1,0,0]
	v_mov_b32_e32 v4, v33
	v_mov_b32_e32 v23, v5
	v_pk_mul_f32 v[4:5], v[6:7], v[4:5] op_sel_hi:[1,0]
	v_mul_f32_e32 v47, v24, v58
	v_mul_f32_e32 v3, v25, v58
	v_pk_fma_f32 v[20:21], v[6:7], v[32:33], v[4:5] op_sel:[0,0,1] op_sel_hi:[1,1,0] neg_lo:[0,0,1] neg_hi:[0,0,1]
	v_pk_fma_f32 v[4:5], v[6:7], v[32:33], v[4:5] op_sel:[0,0,1] op_sel_hi:[1,0,0]
	v_mul_f32_e32 v49, v26, v59
	v_fmac_f32_e32 v47, v25, v69
	v_fma_f32 v46, v24, v69, -v3
	v_mul_f32_e32 v3, v27, v59
	v_mov_b32_e32 v4, v31
	v_fmac_f32_e32 v49, v27, v70
	v_fma_f32 v48, v26, v70, -v3
	v_pk_add_f32 v[2:3], v[50:51], v[46:47]
	v_mov_b32_e32 v21, v5
	s_waitcnt lgkmcnt(2)
	v_pk_mul_f32 v[4:5], v[8:9], v[4:5] op_sel_hi:[1,0]
	v_pk_add_f32 v[2:3], v[2:3], v[48:49]
	v_pk_fma_f32 v[6:7], v[8:9], v[30:31], v[4:5] op_sel:[0,0,1] op_sel_hi:[1,1,0] neg_lo:[0,0,1] neg_hi:[0,0,1]
	v_pk_fma_f32 v[4:5], v[8:9], v[30:31], v[4:5] op_sel:[0,0,1] op_sel_hi:[1,0,0]
	v_pk_add_f32 v[2:3], v[2:3], v[22:23]
	s_waitcnt vmcnt(3)
	v_mov_b32_e32 v4, v43
	v_pk_add_f32 v[2:3], v[2:3], v[20:21]
	v_mov_b32_e32 v7, v5
	v_pk_mul_f32 v[4:5], v[10:11], v[4:5] op_sel_hi:[1,0]
	v_pk_add_f32 v[2:3], v[2:3], v[6:7]
	s_waitcnt vmcnt(2)
	v_pk_fma_f32 v[6:7], v[10:11], v[42:43], v[4:5] op_sel:[0,0,1] op_sel_hi:[1,1,0] neg_lo:[0,0,1] neg_hi:[0,0,1]
	v_pk_fma_f32 v[4:5], v[10:11], v[42:43], v[4:5] op_sel:[0,0,1] op_sel_hi:[1,0,0]
	v_mov_b32_e32 v4, v41
	v_mov_b32_e32 v7, v5
	s_waitcnt lgkmcnt(1)
	v_pk_mul_f32 v[4:5], v[12:13], v[4:5] op_sel_hi:[1,0]
	v_pk_add_f32 v[2:3], v[2:3], v[6:7]
	v_pk_fma_f32 v[6:7], v[12:13], v[40:41], v[4:5] op_sel:[0,0,1] op_sel_hi:[1,1,0] neg_lo:[0,0,1] neg_hi:[0,0,1]
	v_pk_fma_f32 v[4:5], v[12:13], v[40:41], v[4:5] op_sel:[0,0,1] op_sel_hi:[1,0,0]
	v_mov_b32_e32 v4, v39
	v_mov_b32_e32 v7, v5
	v_pk_mul_f32 v[4:5], v[14:15], v[4:5] op_sel_hi:[1,0]
	v_pk_add_f32 v[2:3], v[2:3], v[6:7]
	v_pk_fma_f32 v[6:7], v[14:15], v[38:39], v[4:5] op_sel:[0,0,1] op_sel_hi:[1,1,0] neg_lo:[0,0,1] neg_hi:[0,0,1]
	v_pk_fma_f32 v[4:5], v[14:15], v[38:39], v[4:5] op_sel:[0,0,1] op_sel_hi:[1,0,0]
	v_mov_b32_e32 v4, v37
	v_mov_b32_e32 v7, v5
	s_waitcnt lgkmcnt(0)
	v_pk_mul_f32 v[4:5], v[16:17], v[4:5] op_sel_hi:[1,0]
	v_pk_add_f32 v[2:3], v[2:3], v[6:7]
	v_pk_fma_f32 v[6:7], v[16:17], v[36:37], v[4:5] op_sel:[0,0,1] op_sel_hi:[1,1,0] neg_lo:[0,0,1] neg_hi:[0,0,1]
	v_pk_fma_f32 v[4:5], v[16:17], v[36:37], v[4:5] op_sel:[0,0,1] op_sel_hi:[1,0,0]
	s_waitcnt vmcnt(1)
	v_mov_b32_e32 v4, v45
	v_mov_b32_e32 v7, v5
	v_pk_mul_f32 v[4:5], v[18:19], v[4:5] op_sel_hi:[1,0]
	v_pk_add_f32 v[2:3], v[2:3], v[6:7]
	s_waitcnt vmcnt(0)
	v_pk_fma_f32 v[6:7], v[18:19], v[44:45], v[4:5] op_sel:[0,0,1] op_sel_hi:[1,1,0] neg_lo:[0,0,1] neg_hi:[0,0,1]
	v_pk_fma_f32 v[4:5], v[18:19], v[44:45], v[4:5] op_sel:[0,0,1] op_sel_hi:[1,0,0]
	v_mov_b32_e32 v7, v5
	v_pk_add_f32 v[2:3], v[2:3], v[6:7]
	v_pk_add_f32 v[2:3], v[28:29], v[2:3] neg_lo:[0,1] neg_hi:[0,1]
	buffer_store_dword v3, off, s[0:3], 0 offset:236
	buffer_store_dword v2, off, s[0:3], 0 offset:232
	s_and_saveexec_b64 s[4:5], vcc
	s_cbranch_execz .LBB113_257
; %bb.256:
	buffer_load_dword v2, off, s[0:3], 0 offset:224
	buffer_load_dword v3, off, s[0:3], 0 offset:228
	v_mov_b32_e32 v4, 0
	buffer_store_dword v4, off, s[0:3], 0 offset:224
	buffer_store_dword v4, off, s[0:3], 0 offset:228
	s_waitcnt vmcnt(2)
	ds_write_b64 v111, v[2:3]
.LBB113_257:
	s_or_b64 exec, exec, s[4:5]
	s_waitcnt lgkmcnt(0)
	; wave barrier
	s_waitcnt lgkmcnt(0)
	buffer_load_dword v3, off, s[0:3], 0 offset:236
	buffer_load_dword v54, off, s[0:3], 0 offset:244
	;; [unrolled: 1-line block ×44, first 2 shown]
	v_mov_b32_e32 v2, 0
	ds_read2_b64 v[4:7], v2 offset0:79 offset1:80
	ds_read2_b64 v[8:11], v2 offset0:81 offset1:82
	;; [unrolled: 1-line block ×8, first 2 shown]
	v_cmp_lt_u32_e32 vcc, 27, v0
	s_waitcnt vmcnt(43) lgkmcnt(7)
	v_mul_f32_e32 v59, v4, v3
	v_mul_f32_e32 v3, v5, v3
	s_waitcnt vmcnt(42)
	v_mul_f32_e32 v82, v6, v54
	s_waitcnt vmcnt(41) lgkmcnt(6)
	v_mul_f32_e32 v83, v8, v56
	s_waitcnt vmcnt(40)
	v_mul_f32_e32 v84, v10, v58
	s_waitcnt vmcnt(39) lgkmcnt(5)
	v_mul_f32_e32 v85, v12, v60
	s_waitcnt vmcnt(38)
	v_mul_f32_e32 v86, v14, v61
	s_waitcnt vmcnt(37) lgkmcnt(4)
	v_mul_f32_e32 v87, v16, v62
	s_waitcnt vmcnt(36)
	v_mul_f32_e32 v88, v18, v63
	s_waitcnt vmcnt(35) lgkmcnt(3)
	v_mul_f32_e32 v89, v20, v64
	s_waitcnt vmcnt(34)
	v_mul_f32_e32 v90, v22, v65
	s_waitcnt vmcnt(33) lgkmcnt(2)
	v_mul_f32_e32 v91, v24, v66
	s_waitcnt vmcnt(32)
	v_mul_f32_e32 v55, v26, v67
	s_waitcnt vmcnt(30)
	v_fma_f32 v3, v4, v69, -v3
	v_mul_f32_e32 v4, v7, v54
	v_add_f32_e32 v3, 0, v3
	s_waitcnt vmcnt(29)
	v_fma_f32 v4, v6, v70, -v4
	v_add_f32_e32 v3, v3, v4
	v_mul_f32_e32 v4, v9, v56
	s_waitcnt vmcnt(28)
	v_fma_f32 v4, v8, v71, -v4
	v_add_f32_e32 v3, v3, v4
	v_mul_f32_e32 v4, v11, v58
	;; [unrolled: 4-line block ×4, first 2 shown]
	s_waitcnt vmcnt(25)
	v_fma_f32 v4, v14, v74, -v4
	v_fmac_f32_e32 v59, v5, v69
	v_add_f32_e32 v3, v3, v4
	v_mul_f32_e32 v4, v17, v62
	v_fmac_f32_e32 v82, v7, v70
	v_add_f32_e32 v5, 0, v59
	s_waitcnt vmcnt(24)
	v_fma_f32 v4, v16, v75, -v4
	v_fmac_f32_e32 v83, v9, v71
	v_add_f32_e32 v5, v5, v82
	v_add_f32_e32 v3, v3, v4
	v_mul_f32_e32 v4, v19, v63
	v_fmac_f32_e32 v84, v11, v72
	v_add_f32_e32 v5, v5, v83
	s_waitcnt vmcnt(23)
	v_fma_f32 v4, v18, v76, -v4
	v_fmac_f32_e32 v85, v13, v73
	v_add_f32_e32 v5, v5, v84
	;; [unrolled: 8-line block ×4, first 2 shown]
	v_add_f32_e32 v3, v3, v4
	v_mul_f32_e32 v4, v25, v66
	v_fmac_f32_e32 v90, v23, v78
	v_add_f32_e32 v5, v5, v89
	s_waitcnt vmcnt(20)
	v_fma_f32 v4, v24, v79, -v4
	s_waitcnt vmcnt(13)
	v_mov_b32_e32 v16, v41
	v_fmac_f32_e32 v91, v25, v79
	v_add_f32_e32 v5, v5, v90
	v_add_f32_e32 v58, v3, v4
	v_mul_f32_e32 v3, v27, v67
	s_waitcnt lgkmcnt(1)
	v_pk_mul_f32 v[16:17], v[30:31], v[16:17] op_sel_hi:[1,0]
	v_mul_f32_e32 v57, v28, v68
	v_fmac_f32_e32 v55, v27, v80
	v_add_f32_e32 v59, v5, v91
	v_fma_f32 v54, v26, v80, -v3
	v_mul_f32_e32 v3, v29, v68
	s_waitcnt vmcnt(12)
	v_pk_fma_f32 v[18:19], v[30:31], v[40:41], v[16:17] op_sel:[0,0,1] op_sel_hi:[1,1,0] neg_lo:[0,0,1] neg_hi:[0,0,1]
	v_pk_fma_f32 v[16:17], v[30:31], v[40:41], v[16:17] op_sel:[0,0,1] op_sel_hi:[1,0,0]
	v_fmac_f32_e32 v57, v29, v81
	v_fma_f32 v56, v28, v81, -v3
	v_pk_add_f32 v[14:15], v[58:59], v[54:55]
	v_mov_b32_e32 v16, v39
	v_pk_add_f32 v[14:15], v[14:15], v[56:57]
	v_mov_b32_e32 v19, v17
	s_waitcnt lgkmcnt(0)
	v_pk_mul_f32 v[16:17], v[32:33], v[16:17] op_sel_hi:[1,0]
	v_pk_add_f32 v[14:15], v[14:15], v[18:19]
	v_pk_fma_f32 v[18:19], v[32:33], v[38:39], v[16:17] op_sel:[0,0,1] op_sel_hi:[1,1,0] neg_lo:[0,0,1] neg_hi:[0,0,1]
	v_pk_fma_f32 v[16:17], v[32:33], v[38:39], v[16:17] op_sel:[0,0,1] op_sel_hi:[1,0,0]
	s_waitcnt vmcnt(5)
	v_mov_b32_e32 v16, v49
	ds_read2_b64 v[4:7], v2 offset0:95 offset1:96
	ds_read2_b64 v[8:11], v2 offset0:97 offset1:98
	ds_read_b64 v[12:13], v2 offset:792
	v_mov_b32_e32 v19, v17
	v_pk_mul_f32 v[16:17], v[34:35], v[16:17] op_sel_hi:[1,0]
	v_pk_add_f32 v[14:15], v[14:15], v[18:19]
	s_waitcnt vmcnt(4)
	v_pk_fma_f32 v[18:19], v[34:35], v[48:49], v[16:17] op_sel:[0,0,1] op_sel_hi:[1,1,0] neg_lo:[0,0,1] neg_hi:[0,0,1]
	v_pk_fma_f32 v[16:17], v[34:35], v[48:49], v[16:17] op_sel:[0,0,1] op_sel_hi:[1,0,0]
	v_mov_b32_e32 v16, v47
	v_mov_b32_e32 v19, v17
	s_waitcnt lgkmcnt(2)
	v_pk_mul_f32 v[16:17], v[4:5], v[16:17] op_sel_hi:[1,0]
	v_pk_add_f32 v[14:15], v[14:15], v[18:19]
	v_pk_fma_f32 v[18:19], v[4:5], v[46:47], v[16:17] op_sel:[0,0,1] op_sel_hi:[1,1,0] neg_lo:[0,0,1] neg_hi:[0,0,1]
	v_pk_fma_f32 v[4:5], v[4:5], v[46:47], v[16:17] op_sel:[0,0,1] op_sel_hi:[1,0,0]
	v_mov_b32_e32 v19, v5
	v_pk_add_f32 v[4:5], v[14:15], v[18:19]
	v_mov_b32_e32 v14, v45
	v_pk_mul_f32 v[14:15], v[6:7], v[14:15] op_sel_hi:[1,0]
	v_pk_fma_f32 v[16:17], v[6:7], v[44:45], v[14:15] op_sel:[0,0,1] op_sel_hi:[1,1,0] neg_lo:[0,0,1] neg_hi:[0,0,1]
	v_pk_fma_f32 v[6:7], v[6:7], v[44:45], v[14:15] op_sel:[0,0,1] op_sel_hi:[1,0,0]
	v_mov_b32_e32 v6, v43
	v_mov_b32_e32 v17, v7
	s_waitcnt lgkmcnt(1)
	v_pk_mul_f32 v[6:7], v[8:9], v[6:7] op_sel_hi:[1,0]
	v_pk_fma_f32 v[14:15], v[8:9], v[42:43], v[6:7] op_sel:[0,0,1] op_sel_hi:[1,1,0] neg_lo:[0,0,1] neg_hi:[0,0,1]
	v_pk_fma_f32 v[6:7], v[8:9], v[42:43], v[6:7] op_sel:[0,0,1] op_sel_hi:[1,0,0]
	s_waitcnt vmcnt(1)
	v_mov_b32_e32 v6, v53
	v_mov_b32_e32 v15, v7
	v_pk_mul_f32 v[6:7], v[10:11], v[6:7] op_sel_hi:[1,0]
	s_waitcnt vmcnt(0)
	v_pk_fma_f32 v[8:9], v[10:11], v[52:53], v[6:7] op_sel:[0,0,1] op_sel_hi:[1,1,0] neg_lo:[0,0,1] neg_hi:[0,0,1]
	v_pk_fma_f32 v[6:7], v[10:11], v[52:53], v[6:7] op_sel:[0,0,1] op_sel_hi:[1,0,0]
	v_pk_add_f32 v[4:5], v[4:5], v[16:17]
	v_mov_b32_e32 v6, v51
	v_pk_add_f32 v[4:5], v[4:5], v[14:15]
	v_mov_b32_e32 v9, v7
	s_waitcnt lgkmcnt(0)
	v_pk_mul_f32 v[6:7], v[12:13], v[6:7] op_sel_hi:[1,0]
	v_pk_add_f32 v[4:5], v[4:5], v[8:9]
	v_pk_fma_f32 v[8:9], v[12:13], v[50:51], v[6:7] op_sel:[0,0,1] op_sel_hi:[1,1,0] neg_lo:[0,0,1] neg_hi:[0,0,1]
	v_pk_fma_f32 v[6:7], v[12:13], v[50:51], v[6:7] op_sel:[0,0,1] op_sel_hi:[1,0,0]
	v_mov_b32_e32 v9, v7
	v_pk_add_f32 v[4:5], v[4:5], v[8:9]
	v_pk_add_f32 v[4:5], v[36:37], v[4:5] neg_lo:[0,1] neg_hi:[0,1]
	buffer_store_dword v5, off, s[0:3], 0 offset:228
	buffer_store_dword v4, off, s[0:3], 0 offset:224
	s_and_saveexec_b64 s[4:5], vcc
	s_cbranch_execz .LBB113_259
; %bb.258:
	buffer_load_dword v4, off, s[0:3], 0 offset:216
	buffer_load_dword v5, off, s[0:3], 0 offset:220
	s_waitcnt vmcnt(0)
	ds_write_b64 v111, v[4:5]
	buffer_store_dword v2, off, s[0:3], 0 offset:216
	buffer_store_dword v2, off, s[0:3], 0 offset:220
.LBB113_259:
	s_or_b64 exec, exec, s[4:5]
	s_waitcnt lgkmcnt(0)
	; wave barrier
	s_waitcnt lgkmcnt(0)
	buffer_load_dword v3, off, s[0:3], 0 offset:228
	buffer_load_dword v54, off, s[0:3], 0 offset:236
	;; [unrolled: 1-line block ×30, first 2 shown]
	ds_read_b128 v[4:7], v2 offset:624
	ds_read_b128 v[8:11], v2 offset:640
	;; [unrolled: 1-line block ×6, first 2 shown]
	buffer_load_dword v39, off, s[0:3], 0 offset:340
	buffer_load_dword v38, off, s[0:3], 0 offset:336
	ds_read_b128 v[28:31], v2 offset:720
	ds_read_b128 v[32:35], v2 offset:736
	buffer_load_dword v41, off, s[0:3], 0 offset:372
	buffer_load_dword v40, off, s[0:3], 0 offset:368
	;; [unrolled: 1-line block ×14, first 2 shown]
	v_cmp_lt_u32_e32 vcc, 26, v0
	s_waitcnt vmcnt(45) lgkmcnt(7)
	v_mul_f32_e32 v57, v4, v3
	v_mul_f32_e32 v3, v5, v3
	s_waitcnt vmcnt(44)
	v_mul_f32_e32 v59, v6, v54
	s_waitcnt vmcnt(43) lgkmcnt(6)
	v_mul_f32_e32 v84, v8, v56
	s_waitcnt vmcnt(42)
	v_mul_f32_e32 v85, v10, v58
	s_waitcnt vmcnt(41) lgkmcnt(5)
	;; [unrolled: 4-line block ×5, first 2 shown]
	v_mul_f32_e32 v92, v24, v66
	s_waitcnt vmcnt(34)
	v_mul_f32_e32 v93, v26, v67
	s_waitcnt vmcnt(32)
	v_fma_f32 v3, v4, v69, -v3
	v_mul_f32_e32 v4, v7, v54
	v_add_f32_e32 v3, 0, v3
	s_waitcnt vmcnt(31)
	v_fma_f32 v4, v6, v70, -v4
	v_add_f32_e32 v3, v3, v4
	v_mul_f32_e32 v4, v9, v56
	s_waitcnt vmcnt(30)
	v_fma_f32 v4, v8, v71, -v4
	v_add_f32_e32 v3, v3, v4
	v_mul_f32_e32 v4, v11, v58
	;; [unrolled: 4-line block ×5, first 2 shown]
	v_fmac_f32_e32 v57, v5, v69
	s_waitcnt vmcnt(26)
	v_fma_f32 v4, v16, v75, -v4
	v_fmac_f32_e32 v59, v7, v70
	v_add_f32_e32 v57, 0, v57
	v_add_f32_e32 v3, v3, v4
	v_mul_f32_e32 v4, v19, v63
	v_fmac_f32_e32 v84, v9, v71
	v_add_f32_e32 v57, v57, v59
	s_waitcnt vmcnt(25)
	v_fma_f32 v4, v18, v76, -v4
	v_fmac_f32_e32 v85, v11, v72
	v_add_f32_e32 v57, v57, v84
	v_add_f32_e32 v3, v3, v4
	v_mul_f32_e32 v4, v21, v64
	v_fmac_f32_e32 v86, v13, v73
	v_add_f32_e32 v57, v57, v85
	;; [unrolled: 8-line block ×5, first 2 shown]
	s_waitcnt vmcnt(21)
	v_fma_f32 v4, v26, v80, -v4
	s_waitcnt vmcnt(15)
	v_mov_b32_e32 v16, v39
	s_waitcnt lgkmcnt(1)
	v_mul_f32_e32 v55, v28, v68
	v_fmac_f32_e32 v93, v27, v80
	v_add_f32_e32 v57, v57, v92
	v_add_f32_e32 v56, v3, v4
	v_mul_f32_e32 v3, v29, v68
	s_waitcnt lgkmcnt(0)
	v_pk_mul_f32 v[16:17], v[32:33], v[16:17] op_sel_hi:[1,0]
	v_fmac_f32_e32 v55, v29, v81
	v_add_f32_e32 v57, v57, v93
	v_mul_f32_e32 v59, v30, v82
	v_fma_f32 v54, v28, v81, -v3
	v_mul_f32_e32 v3, v31, v82
	s_waitcnt vmcnt(14)
	v_pk_fma_f32 v[18:19], v[32:33], v[38:39], v[16:17] op_sel:[0,0,1] op_sel_hi:[1,1,0] neg_lo:[0,0,1] neg_hi:[0,0,1]
	v_pk_fma_f32 v[16:17], v[32:33], v[38:39], v[16:17] op_sel:[0,0,1] op_sel_hi:[1,0,0]
	v_fmac_f32_e32 v59, v31, v83
	v_fma_f32 v58, v30, v83, -v3
	ds_read_b128 v[4:7], v2 offset:752
	ds_read_b128 v[8:11], v2 offset:768
	;; [unrolled: 1-line block ×3, first 2 shown]
	v_pk_add_f32 v[2:3], v[56:57], v[54:55]
	s_waitcnt vmcnt(7)
	v_mov_b32_e32 v16, v47
	v_pk_add_f32 v[2:3], v[2:3], v[58:59]
	v_mov_b32_e32 v19, v17
	v_pk_mul_f32 v[16:17], v[34:35], v[16:17] op_sel_hi:[1,0]
	v_pk_add_f32 v[2:3], v[2:3], v[18:19]
	s_waitcnt vmcnt(6)
	v_pk_fma_f32 v[18:19], v[34:35], v[46:47], v[16:17] op_sel:[0,0,1] op_sel_hi:[1,1,0] neg_lo:[0,0,1] neg_hi:[0,0,1]
	v_pk_fma_f32 v[16:17], v[34:35], v[46:47], v[16:17] op_sel:[0,0,1] op_sel_hi:[1,0,0]
	v_mov_b32_e32 v16, v45
	v_mov_b32_e32 v19, v17
	s_waitcnt lgkmcnt(2)
	v_pk_mul_f32 v[16:17], v[4:5], v[16:17] op_sel_hi:[1,0]
	v_pk_add_f32 v[2:3], v[2:3], v[18:19]
	v_pk_fma_f32 v[18:19], v[4:5], v[44:45], v[16:17] op_sel:[0,0,1] op_sel_hi:[1,1,0] neg_lo:[0,0,1] neg_hi:[0,0,1]
	v_pk_fma_f32 v[4:5], v[4:5], v[44:45], v[16:17] op_sel:[0,0,1] op_sel_hi:[1,0,0]
	v_mov_b32_e32 v4, v43
	v_mov_b32_e32 v19, v5
	v_pk_mul_f32 v[4:5], v[6:7], v[4:5] op_sel_hi:[1,0]
	v_pk_fma_f32 v[16:17], v[6:7], v[42:43], v[4:5] op_sel:[0,0,1] op_sel_hi:[1,1,0] neg_lo:[0,0,1] neg_hi:[0,0,1]
	v_pk_fma_f32 v[4:5], v[6:7], v[42:43], v[4:5] op_sel:[0,0,1] op_sel_hi:[1,0,0]
	v_mov_b32_e32 v4, v41
	v_mov_b32_e32 v17, v5
	s_waitcnt lgkmcnt(1)
	v_pk_mul_f32 v[4:5], v[8:9], v[4:5] op_sel_hi:[1,0]
	v_pk_fma_f32 v[6:7], v[8:9], v[40:41], v[4:5] op_sel:[0,0,1] op_sel_hi:[1,1,0] neg_lo:[0,0,1] neg_hi:[0,0,1]
	v_pk_fma_f32 v[4:5], v[8:9], v[40:41], v[4:5] op_sel:[0,0,1] op_sel_hi:[1,0,0]
	v_pk_add_f32 v[2:3], v[2:3], v[18:19]
	s_waitcnt vmcnt(1)
	v_mov_b32_e32 v4, v53
	v_pk_add_f32 v[2:3], v[2:3], v[16:17]
	v_mov_b32_e32 v7, v5
	v_pk_mul_f32 v[4:5], v[10:11], v[4:5] op_sel_hi:[1,0]
	v_pk_add_f32 v[2:3], v[2:3], v[6:7]
	s_waitcnt vmcnt(0)
	v_pk_fma_f32 v[6:7], v[10:11], v[52:53], v[4:5] op_sel:[0,0,1] op_sel_hi:[1,1,0] neg_lo:[0,0,1] neg_hi:[0,0,1]
	v_pk_fma_f32 v[4:5], v[10:11], v[52:53], v[4:5] op_sel:[0,0,1] op_sel_hi:[1,0,0]
	v_mov_b32_e32 v4, v51
	v_mov_b32_e32 v7, v5
	s_waitcnt lgkmcnt(0)
	v_pk_mul_f32 v[4:5], v[12:13], v[4:5] op_sel_hi:[1,0]
	v_pk_add_f32 v[2:3], v[2:3], v[6:7]
	v_pk_fma_f32 v[6:7], v[12:13], v[50:51], v[4:5] op_sel:[0,0,1] op_sel_hi:[1,1,0] neg_lo:[0,0,1] neg_hi:[0,0,1]
	v_pk_fma_f32 v[4:5], v[12:13], v[50:51], v[4:5] op_sel:[0,0,1] op_sel_hi:[1,0,0]
	v_mov_b32_e32 v4, v49
	v_mov_b32_e32 v7, v5
	v_pk_mul_f32 v[4:5], v[14:15], v[4:5] op_sel_hi:[1,0]
	v_pk_add_f32 v[2:3], v[2:3], v[6:7]
	v_pk_fma_f32 v[6:7], v[14:15], v[48:49], v[4:5] op_sel:[0,0,1] op_sel_hi:[1,1,0] neg_lo:[0,0,1] neg_hi:[0,0,1]
	v_pk_fma_f32 v[4:5], v[14:15], v[48:49], v[4:5] op_sel:[0,0,1] op_sel_hi:[1,0,0]
	v_mov_b32_e32 v7, v5
	v_pk_add_f32 v[2:3], v[2:3], v[6:7]
	v_pk_add_f32 v[2:3], v[36:37], v[2:3] neg_lo:[0,1] neg_hi:[0,1]
	buffer_store_dword v3, off, s[0:3], 0 offset:220
	buffer_store_dword v2, off, s[0:3], 0 offset:216
	s_and_saveexec_b64 s[4:5], vcc
	s_cbranch_execz .LBB113_261
; %bb.260:
	buffer_load_dword v2, off, s[0:3], 0 offset:208
	buffer_load_dword v3, off, s[0:3], 0 offset:212
	v_mov_b32_e32 v4, 0
	buffer_store_dword v4, off, s[0:3], 0 offset:208
	buffer_store_dword v4, off, s[0:3], 0 offset:212
	s_waitcnt vmcnt(2)
	ds_write_b64 v111, v[2:3]
.LBB113_261:
	s_or_b64 exec, exec, s[4:5]
	s_waitcnt lgkmcnt(0)
	; wave barrier
	s_waitcnt lgkmcnt(0)
	buffer_load_dword v3, off, s[0:3], 0 offset:220
	buffer_load_dword v52, off, s[0:3], 0 offset:228
	;; [unrolled: 1-line block ×32, first 2 shown]
	v_mov_b32_e32 v2, 0
	buffer_load_dword v39, off, s[0:3], 0 offset:364
	buffer_load_dword v38, off, s[0:3], 0 offset:360
	;; [unrolled: 1-line block ×13, first 2 shown]
	ds_read2_b64 v[4:7], v2 offset0:77 offset1:78
	ds_read2_b64 v[8:11], v2 offset0:79 offset1:80
	;; [unrolled: 1-line block ×8, first 2 shown]
	v_cmp_lt_u32_e32 vcc, 25, v0
	s_waitcnt vmcnt(44) lgkmcnt(7)
	v_mul_f32_e32 v46, v4, v3
	s_waitcnt vmcnt(43)
	v_mul_f32_e32 v53, v6, v52
	s_waitcnt vmcnt(42) lgkmcnt(6)
	v_mul_f32_e32 v54, v8, v56
	s_waitcnt vmcnt(41)
	v_mul_f32_e32 v55, v10, v58
	;; [unrolled: 4-line block ×6, first 2 shown]
	s_waitcnt vmcnt(32) lgkmcnt(1)
	v_mul_f32_e32 v92, v28, v68
	s_waitcnt vmcnt(31)
	v_fmac_f32_e32 v46, v5, v69
	s_waitcnt vmcnt(30)
	v_fmac_f32_e32 v53, v7, v70
	v_add_f32_e32 v46, 0, v46
	s_waitcnt vmcnt(29)
	v_fmac_f32_e32 v54, v9, v71
	v_add_f32_e32 v46, v46, v53
	;; [unrolled: 3-line block ×12, first 2 shown]
	v_add_f32_e32 v53, v46, v92
	buffer_load_dword v55, off, s[0:3], 0 offset:380
	buffer_load_dword v54, off, s[0:3], 0 offset:376
	;; [unrolled: 1-line block ×3, first 2 shown]
	v_mul_f32_e32 v3, v5, v3
	v_fma_f32 v3, v4, v69, -v3
	v_mul_f32_e32 v4, v7, v52
	v_add_f32_e32 v3, 0, v3
	v_fma_f32 v4, v6, v70, -v4
	v_add_f32_e32 v3, v3, v4
	v_mul_f32_e32 v4, v9, v56
	v_fma_f32 v4, v8, v71, -v4
	v_add_f32_e32 v3, v3, v4
	v_mul_f32_e32 v4, v11, v58
	;; [unrolled: 3-line block ×11, first 2 shown]
	v_fma_f32 v4, v28, v81, -v4
	s_waitcnt vmcnt(9)
	v_mov_b32_e32 v20, v45
	v_mul_f32_e32 v57, v30, v82
	v_add_f32_e32 v52, v3, v4
	v_mul_f32_e32 v3, v31, v82
	s_waitcnt lgkmcnt(0)
	v_pk_mul_f32 v[20:21], v[34:35], v[20:21] op_sel_hi:[1,0]
	v_fmac_f32_e32 v57, v31, v83
	v_mul_f32_e32 v59, v32, v84
	v_fma_f32 v56, v30, v83, -v3
	v_mul_f32_e32 v3, v33, v84
	ds_read2_b64 v[4:7], v2 offset0:93 offset1:94
	ds_read2_b64 v[8:11], v2 offset0:95 offset1:96
	;; [unrolled: 1-line block ×3, first 2 shown]
	ds_read_b64 v[16:17], v2 offset:792
	s_waitcnt vmcnt(8)
	v_pk_fma_f32 v[22:23], v[34:35], v[44:45], v[20:21] op_sel:[0,0,1] op_sel_hi:[1,1,0] neg_lo:[0,0,1] neg_hi:[0,0,1]
	v_pk_fma_f32 v[20:21], v[34:35], v[44:45], v[20:21] op_sel:[0,0,1] op_sel_hi:[1,0,0]
	v_fmac_f32_e32 v59, v33, v85
	v_fma_f32 v58, v32, v85, -v3
	v_pk_add_f32 v[18:19], v[52:53], v[56:57]
	v_mov_b32_e32 v20, v43
	v_pk_add_f32 v[18:19], v[18:19], v[58:59]
	v_mov_b32_e32 v23, v21
	s_waitcnt lgkmcnt(3)
	v_pk_mul_f32 v[20:21], v[4:5], v[20:21] op_sel_hi:[1,0]
	v_pk_add_f32 v[18:19], v[18:19], v[22:23]
	v_pk_fma_f32 v[22:23], v[4:5], v[42:43], v[20:21] op_sel:[0,0,1] op_sel_hi:[1,1,0] neg_lo:[0,0,1] neg_hi:[0,0,1]
	v_pk_fma_f32 v[4:5], v[4:5], v[42:43], v[20:21] op_sel:[0,0,1] op_sel_hi:[1,0,0]
	v_mov_b32_e32 v23, v5
	v_pk_add_f32 v[4:5], v[18:19], v[22:23]
	v_mov_b32_e32 v18, v41
	v_pk_mul_f32 v[18:19], v[6:7], v[18:19] op_sel_hi:[1,0]
	v_pk_fma_f32 v[20:21], v[6:7], v[40:41], v[18:19] op_sel:[0,0,1] op_sel_hi:[1,1,0] neg_lo:[0,0,1] neg_hi:[0,0,1]
	v_pk_fma_f32 v[6:7], v[6:7], v[40:41], v[18:19] op_sel:[0,0,1] op_sel_hi:[1,0,0]
	v_mov_b32_e32 v6, v39
	v_mov_b32_e32 v21, v7
	s_waitcnt lgkmcnt(2)
	v_pk_mul_f32 v[6:7], v[8:9], v[6:7] op_sel_hi:[1,0]
	v_pk_fma_f32 v[18:19], v[8:9], v[38:39], v[6:7] op_sel:[0,0,1] op_sel_hi:[1,1,0] neg_lo:[0,0,1] neg_hi:[0,0,1]
	v_pk_fma_f32 v[6:7], v[8:9], v[38:39], v[6:7] op_sel:[0,0,1] op_sel_hi:[1,0,0]
	s_waitcnt vmcnt(7)
	v_mov_b32_e32 v6, v47
	v_mov_b32_e32 v19, v7
	v_pk_mul_f32 v[6:7], v[10:11], v[6:7] op_sel_hi:[1,0]
	v_pk_add_f32 v[4:5], v[4:5], v[20:21]
	v_pk_add_f32 v[4:5], v[4:5], v[18:19]
	s_waitcnt vmcnt(0)
	v_pk_fma_f32 v[8:9], v[10:11], v[46:47], v[6:7] op_sel:[0,0,1] op_sel_hi:[1,1,0] neg_lo:[0,0,1] neg_hi:[0,0,1]
	v_pk_fma_f32 v[6:7], v[10:11], v[46:47], v[6:7] op_sel:[0,0,1] op_sel_hi:[1,0,0]
	v_mov_b32_e32 v6, v55
	v_mov_b32_e32 v9, v7
	s_waitcnt lgkmcnt(1)
	v_pk_mul_f32 v[6:7], v[12:13], v[6:7] op_sel_hi:[1,0]
	v_pk_add_f32 v[4:5], v[4:5], v[8:9]
	v_pk_fma_f32 v[8:9], v[12:13], v[54:55], v[6:7] op_sel:[0,0,1] op_sel_hi:[1,1,0] neg_lo:[0,0,1] neg_hi:[0,0,1]
	v_pk_fma_f32 v[6:7], v[12:13], v[54:55], v[6:7] op_sel:[0,0,1] op_sel_hi:[1,0,0]
	v_mov_b32_e32 v6, v51
	v_mov_b32_e32 v9, v7
	v_pk_mul_f32 v[6:7], v[14:15], v[6:7] op_sel_hi:[1,0]
	v_pk_add_f32 v[4:5], v[4:5], v[8:9]
	v_pk_fma_f32 v[8:9], v[14:15], v[50:51], v[6:7] op_sel:[0,0,1] op_sel_hi:[1,1,0] neg_lo:[0,0,1] neg_hi:[0,0,1]
	v_pk_fma_f32 v[6:7], v[14:15], v[50:51], v[6:7] op_sel:[0,0,1] op_sel_hi:[1,0,0]
	v_mov_b32_e32 v6, v49
	v_mov_b32_e32 v9, v7
	s_waitcnt lgkmcnt(0)
	v_pk_mul_f32 v[6:7], v[16:17], v[6:7] op_sel_hi:[1,0]
	v_pk_add_f32 v[4:5], v[4:5], v[8:9]
	v_pk_fma_f32 v[8:9], v[16:17], v[48:49], v[6:7] op_sel:[0,0,1] op_sel_hi:[1,1,0] neg_lo:[0,0,1] neg_hi:[0,0,1]
	v_pk_fma_f32 v[6:7], v[16:17], v[48:49], v[6:7] op_sel:[0,0,1] op_sel_hi:[1,0,0]
	v_mov_b32_e32 v9, v7
	v_pk_add_f32 v[4:5], v[4:5], v[8:9]
	v_pk_add_f32 v[4:5], v[36:37], v[4:5] neg_lo:[0,1] neg_hi:[0,1]
	buffer_store_dword v5, off, s[0:3], 0 offset:212
	buffer_store_dword v4, off, s[0:3], 0 offset:208
	s_and_saveexec_b64 s[4:5], vcc
	s_cbranch_execz .LBB113_263
; %bb.262:
	buffer_load_dword v4, off, s[0:3], 0 offset:200
	buffer_load_dword v5, off, s[0:3], 0 offset:204
	s_waitcnt vmcnt(0)
	ds_write_b64 v111, v[4:5]
	buffer_store_dword v2, off, s[0:3], 0 offset:200
	buffer_store_dword v2, off, s[0:3], 0 offset:204
.LBB113_263:
	s_or_b64 exec, exec, s[4:5]
	s_waitcnt lgkmcnt(0)
	; wave barrier
	s_waitcnt lgkmcnt(0)
	buffer_load_dword v3, off, s[0:3], 0 offset:212
	buffer_load_dword v52, off, s[0:3], 0 offset:220
	buffer_load_dword v54, off, s[0:3], 0 offset:228
	buffer_load_dword v56, off, s[0:3], 0 offset:236
	buffer_load_dword v60, off, s[0:3], 0 offset:244
	buffer_load_dword v61, off, s[0:3], 0 offset:252
	buffer_load_dword v62, off, s[0:3], 0 offset:260
	buffer_load_dword v63, off, s[0:3], 0 offset:268
	buffer_load_dword v64, off, s[0:3], 0 offset:276
	buffer_load_dword v65, off, s[0:3], 0 offset:284
	buffer_load_dword v66, off, s[0:3], 0 offset:292
	buffer_load_dword v67, off, s[0:3], 0 offset:300
	buffer_load_dword v68, off, s[0:3], 0 offset:308
	buffer_load_dword v69, off, s[0:3], 0 offset:316
	buffer_load_dword v70, off, s[0:3], 0 offset:208
	buffer_load_dword v71, off, s[0:3], 0 offset:216
	buffer_load_dword v72, off, s[0:3], 0 offset:224
	buffer_load_dword v73, off, s[0:3], 0 offset:232
	buffer_load_dword v74, off, s[0:3], 0 offset:240
	buffer_load_dword v75, off, s[0:3], 0 offset:248
	buffer_load_dword v76, off, s[0:3], 0 offset:256
	buffer_load_dword v77, off, s[0:3], 0 offset:264
	buffer_load_dword v78, off, s[0:3], 0 offset:272
	buffer_load_dword v79, off, s[0:3], 0 offset:280
	buffer_load_dword v80, off, s[0:3], 0 offset:288
	buffer_load_dword v81, off, s[0:3], 0 offset:296
	buffer_load_dword v82, off, s[0:3], 0 offset:304
	buffer_load_dword v83, off, s[0:3], 0 offset:312
	buffer_load_dword v84, off, s[0:3], 0 offset:324
	buffer_load_dword v85, off, s[0:3], 0 offset:320
	buffer_load_dword v86, off, s[0:3], 0 offset:332
	buffer_load_dword v87, off, s[0:3], 0 offset:328
	buffer_load_dword v36, off, s[0:3], 0 offset:200
	buffer_load_dword v37, off, s[0:3], 0 offset:204
	ds_read_b128 v[4:7], v2 offset:608
	ds_read_b128 v[8:11], v2 offset:624
	;; [unrolled: 1-line block ×8, first 2 shown]
	buffer_load_dword v39, off, s[0:3], 0 offset:356
	buffer_load_dword v38, off, s[0:3], 0 offset:352
	;; [unrolled: 1-line block ×9, first 2 shown]
	v_cmp_lt_u32_e32 vcc, 24, v0
	s_waitcnt vmcnt(42) lgkmcnt(7)
	v_mul_f32_e32 v44, v4, v3
	s_waitcnt vmcnt(41)
	v_mul_f32_e32 v48, v6, v52
	s_waitcnt vmcnt(40) lgkmcnt(6)
	v_mul_f32_e32 v49, v8, v54
	s_waitcnt vmcnt(39)
	v_mul_f32_e32 v50, v10, v56
	;; [unrolled: 4-line block ×6, first 2 shown]
	s_waitcnt vmcnt(30) lgkmcnt(1)
	v_mul_f32_e32 v90, v28, v68
	v_mul_f32_e32 v3, v5, v3
	s_waitcnt vmcnt(28)
	v_fmac_f32_e32 v44, v5, v70
	s_waitcnt vmcnt(27)
	v_fmac_f32_e32 v48, v7, v71
	v_add_f32_e32 v44, 0, v44
	s_waitcnt vmcnt(26)
	v_fmac_f32_e32 v49, v9, v72
	v_add_f32_e32 v44, v44, v48
	;; [unrolled: 3-line block ×12, first 2 shown]
	v_add_f32_e32 v53, v44, v90
	buffer_load_dword v49, off, s[0:3], 0 offset:380
	buffer_load_dword v48, off, s[0:3], 0 offset:376
	;; [unrolled: 1-line block ×7, first 2 shown]
	v_fma_f32 v3, v4, v70, -v3
	v_mul_f32_e32 v4, v7, v52
	v_add_f32_e32 v3, 0, v3
	v_fma_f32 v4, v6, v71, -v4
	v_add_f32_e32 v3, v3, v4
	v_mul_f32_e32 v4, v9, v54
	v_fma_f32 v4, v8, v72, -v4
	v_add_f32_e32 v3, v3, v4
	v_mul_f32_e32 v4, v11, v56
	;; [unrolled: 3-line block ×12, first 2 shown]
	s_waitcnt vmcnt(22)
	v_fma_f32 v4, v30, v83, -v4
	v_add_f32_e32 v52, v3, v4
	ds_read_b128 v[4:7], v2 offset:736
	ds_read_b128 v[8:11], v2 offset:752
	;; [unrolled: 1-line block ×4, first 2 shown]
	s_waitcnt vmcnt(11)
	v_mov_b32_e32 v20, v43
	s_waitcnt lgkmcnt(3)
	v_pk_mul_f32 v[20:21], v[4:5], v[20:21] op_sel_hi:[1,0]
	s_waitcnt vmcnt(10)
	v_pk_fma_f32 v[22:23], v[4:5], v[42:43], v[20:21] op_sel:[0,0,1] op_sel_hi:[1,1,0] neg_lo:[0,0,1] neg_hi:[0,0,1]
	v_pk_fma_f32 v[4:5], v[4:5], v[42:43], v[20:21] op_sel:[0,0,1] op_sel_hi:[1,0,0]
	v_mov_b32_e32 v4, v41
	v_mul_f32_e32 v91, v30, v69
	v_mov_b32_e32 v23, v5
	v_pk_mul_f32 v[4:5], v[6:7], v[4:5] op_sel_hi:[1,0]
	v_fmac_f32_e32 v91, v31, v83
	v_mul_f32_e32 v55, v32, v84
	v_mul_f32_e32 v3, v33, v84
	v_pk_fma_f32 v[20:21], v[6:7], v[40:41], v[4:5] op_sel:[0,0,1] op_sel_hi:[1,1,0] neg_lo:[0,0,1] neg_hi:[0,0,1]
	v_pk_fma_f32 v[4:5], v[6:7], v[40:41], v[4:5] op_sel:[0,0,1] op_sel_hi:[1,0,0]
	v_add_f32_e32 v53, v53, v91
	v_fmac_f32_e32 v55, v33, v85
	v_mul_f32_e32 v57, v34, v86
	v_fma_f32 v54, v32, v85, -v3
	v_mul_f32_e32 v3, v35, v86
	v_mov_b32_e32 v4, v39
	v_fmac_f32_e32 v57, v35, v87
	v_fma_f32 v56, v34, v87, -v3
	v_pk_add_f32 v[2:3], v[52:53], v[54:55]
	v_mov_b32_e32 v21, v5
	s_waitcnt lgkmcnt(2)
	v_pk_mul_f32 v[4:5], v[8:9], v[4:5] op_sel_hi:[1,0]
	v_pk_add_f32 v[2:3], v[2:3], v[56:57]
	v_pk_fma_f32 v[6:7], v[8:9], v[38:39], v[4:5] op_sel:[0,0,1] op_sel_hi:[1,1,0] neg_lo:[0,0,1] neg_hi:[0,0,1]
	v_pk_fma_f32 v[4:5], v[8:9], v[38:39], v[4:5] op_sel:[0,0,1] op_sel_hi:[1,0,0]
	v_pk_add_f32 v[2:3], v[2:3], v[22:23]
	s_waitcnt vmcnt(9)
	v_mov_b32_e32 v4, v45
	v_pk_add_f32 v[2:3], v[2:3], v[20:21]
	v_mov_b32_e32 v7, v5
	v_pk_mul_f32 v[4:5], v[10:11], v[4:5] op_sel_hi:[1,0]
	v_pk_add_f32 v[2:3], v[2:3], v[6:7]
	s_waitcnt vmcnt(2)
	v_pk_fma_f32 v[6:7], v[10:11], v[44:45], v[4:5] op_sel:[0,0,1] op_sel_hi:[1,1,0] neg_lo:[0,0,1] neg_hi:[0,0,1]
	v_pk_fma_f32 v[4:5], v[10:11], v[44:45], v[4:5] op_sel:[0,0,1] op_sel_hi:[1,0,0]
	v_mov_b32_e32 v4, v51
	v_mov_b32_e32 v7, v5
	s_waitcnt lgkmcnt(1)
	v_pk_mul_f32 v[4:5], v[12:13], v[4:5] op_sel_hi:[1,0]
	v_pk_add_f32 v[2:3], v[2:3], v[6:7]
	v_pk_fma_f32 v[6:7], v[12:13], v[50:51], v[4:5] op_sel:[0,0,1] op_sel_hi:[1,1,0] neg_lo:[0,0,1] neg_hi:[0,0,1]
	v_pk_fma_f32 v[4:5], v[12:13], v[50:51], v[4:5] op_sel:[0,0,1] op_sel_hi:[1,0,0]
	v_mov_b32_e32 v4, v49
	v_mov_b32_e32 v7, v5
	v_pk_mul_f32 v[4:5], v[14:15], v[4:5] op_sel_hi:[1,0]
	v_pk_add_f32 v[2:3], v[2:3], v[6:7]
	v_pk_fma_f32 v[6:7], v[14:15], v[48:49], v[4:5] op_sel:[0,0,1] op_sel_hi:[1,1,0] neg_lo:[0,0,1] neg_hi:[0,0,1]
	v_pk_fma_f32 v[4:5], v[14:15], v[48:49], v[4:5] op_sel:[0,0,1] op_sel_hi:[1,0,0]
	v_mov_b32_e32 v4, v47
	v_mov_b32_e32 v7, v5
	s_waitcnt lgkmcnt(0)
	v_pk_mul_f32 v[4:5], v[16:17], v[4:5] op_sel_hi:[1,0]
	v_pk_add_f32 v[2:3], v[2:3], v[6:7]
	v_pk_fma_f32 v[6:7], v[16:17], v[46:47], v[4:5] op_sel:[0,0,1] op_sel_hi:[1,1,0] neg_lo:[0,0,1] neg_hi:[0,0,1]
	v_pk_fma_f32 v[4:5], v[16:17], v[46:47], v[4:5] op_sel:[0,0,1] op_sel_hi:[1,0,0]
	s_waitcnt vmcnt(1)
	v_mov_b32_e32 v4, v59
	v_mov_b32_e32 v7, v5
	v_pk_mul_f32 v[4:5], v[18:19], v[4:5] op_sel_hi:[1,0]
	v_pk_add_f32 v[2:3], v[2:3], v[6:7]
	s_waitcnt vmcnt(0)
	v_pk_fma_f32 v[6:7], v[18:19], v[58:59], v[4:5] op_sel:[0,0,1] op_sel_hi:[1,1,0] neg_lo:[0,0,1] neg_hi:[0,0,1]
	v_pk_fma_f32 v[4:5], v[18:19], v[58:59], v[4:5] op_sel:[0,0,1] op_sel_hi:[1,0,0]
	v_mov_b32_e32 v7, v5
	v_pk_add_f32 v[2:3], v[2:3], v[6:7]
	v_pk_add_f32 v[2:3], v[36:37], v[2:3] neg_lo:[0,1] neg_hi:[0,1]
	buffer_store_dword v3, off, s[0:3], 0 offset:204
	buffer_store_dword v2, off, s[0:3], 0 offset:200
	s_and_saveexec_b64 s[4:5], vcc
	s_cbranch_execz .LBB113_265
; %bb.264:
	buffer_load_dword v2, off, s[0:3], 0 offset:192
	buffer_load_dword v3, off, s[0:3], 0 offset:196
	v_mov_b32_e32 v4, 0
	buffer_store_dword v4, off, s[0:3], 0 offset:192
	buffer_store_dword v4, off, s[0:3], 0 offset:196
	s_waitcnt vmcnt(2)
	ds_write_b64 v111, v[2:3]
.LBB113_265:
	s_or_b64 exec, exec, s[4:5]
	s_waitcnt lgkmcnt(0)
	; wave barrier
	s_waitcnt lgkmcnt(0)
	buffer_load_dword v5, off, s[0:3], 0 offset:204
	buffer_load_dword v58, off, s[0:3], 0 offset:212
	;; [unrolled: 1-line block ×36, first 2 shown]
	v_mov_b32_e32 v4, 0
	buffer_load_dword v47, off, s[0:3], 0 offset:348
	buffer_load_dword v46, off, s[0:3], 0 offset:344
	;; [unrolled: 1-line block ×5, first 2 shown]
	ds_read2_b64 v[6:9], v4 offset0:75 offset1:76
	ds_read2_b64 v[10:13], v4 offset0:77 offset1:78
	;; [unrolled: 1-line block ×8, first 2 shown]
	v_cmp_lt_u32_e32 vcc, 23, v0
	s_waitcnt vmcnt(40) lgkmcnt(7)
	v_mul_f32_e32 v38, v6, v5
	s_waitcnt vmcnt(39)
	v_mul_f32_e32 v39, v8, v58
	s_waitcnt vmcnt(38) lgkmcnt(6)
	v_mul_f32_e32 v40, v10, v60
	s_waitcnt vmcnt(37)
	v_mul_f32_e32 v41, v12, v62
	;; [unrolled: 4-line block ×7, first 2 shown]
	s_waitcnt vmcnt(26) lgkmcnt(0)
	v_mul_f32_e32 v59, v34, v78
	s_waitcnt vmcnt(25)
	v_fmac_f32_e32 v38, v7, v79
	s_waitcnt vmcnt(24)
	v_fmac_f32_e32 v39, v9, v80
	v_add_f32_e32 v38, 0, v38
	s_waitcnt vmcnt(23)
	v_fmac_f32_e32 v40, v11, v81
	v_add_f32_e32 v38, v38, v39
	;; [unrolled: 3-line block ×13, first 2 shown]
	v_add_f32_e32 v42, v38, v56
	buffer_load_dword v53, off, s[0:3], 0 offset:380
	buffer_load_dword v52, off, s[0:3], 0 offset:376
	;; [unrolled: 1-line block ×7, first 2 shown]
	s_waitcnt vmcnt(18)
	v_fmac_f32_e32 v59, v35, v93
	ds_read2_b64 v[38:41], v4 offset0:91 offset1:92
	v_add_f32_e32 v59, v42, v59
	ds_read2_b64 v[42:45], v4 offset0:93 offset1:94
	buffer_load_dword v65, off, s[0:3], 0 offset:396
	buffer_load_dword v64, off, s[0:3], 0 offset:392
	;; [unrolled: 1-line block ×4, first 2 shown]
	v_mul_f32_e32 v5, v7, v5
	v_fma_f32 v5, v6, v79, -v5
	v_mul_f32_e32 v6, v9, v58
	v_add_f32_e32 v5, 0, v5
	v_fma_f32 v6, v8, v80, -v6
	v_add_f32_e32 v5, v5, v6
	v_mul_f32_e32 v6, v11, v60
	v_fma_f32 v6, v10, v81, -v6
	v_add_f32_e32 v5, v5, v6
	v_mul_f32_e32 v6, v13, v62
	;; [unrolled: 3-line block ×13, first 2 shown]
	v_fma_f32 v6, v34, v93, -v6
	s_waitcnt vmcnt(13)
	v_mov_b32_e32 v18, v49
	v_mul_f32_e32 v61, v36, v94
	v_add_f32_e32 v58, v5, v6
	v_mul_f32_e32 v5, v37, v94
	s_waitcnt lgkmcnt(1)
	v_pk_mul_f32 v[18:19], v[40:41], v[18:19] op_sel_hi:[1,0]
	v_fmac_f32_e32 v61, v37, v95
	v_mul_f32_e32 v63, v38, v96
	v_fma_f32 v60, v36, v95, -v5
	v_mul_f32_e32 v5, v39, v96
	s_waitcnt vmcnt(12)
	v_pk_fma_f32 v[20:21], v[40:41], v[48:49], v[18:19] op_sel:[0,0,1] op_sel_hi:[1,1,0] neg_lo:[0,0,1] neg_hi:[0,0,1]
	v_pk_fma_f32 v[18:19], v[40:41], v[48:49], v[18:19] op_sel:[0,0,1] op_sel_hi:[1,0,0]
	v_fmac_f32_e32 v63, v39, v97
	v_fma_f32 v62, v38, v97, -v5
	v_pk_add_f32 v[16:17], v[58:59], v[60:61]
	v_mov_b32_e32 v18, v47
	v_pk_add_f32 v[16:17], v[16:17], v[62:63]
	v_mov_b32_e32 v21, v19
	s_waitcnt lgkmcnt(0)
	v_pk_mul_f32 v[18:19], v[42:43], v[18:19] op_sel_hi:[1,0]
	v_pk_add_f32 v[16:17], v[16:17], v[20:21]
	v_pk_fma_f32 v[20:21], v[42:43], v[46:47], v[18:19] op_sel:[0,0,1] op_sel_hi:[1,1,0] neg_lo:[0,0,1] neg_hi:[0,0,1]
	v_pk_fma_f32 v[18:19], v[42:43], v[46:47], v[18:19] op_sel:[0,0,1] op_sel_hi:[1,0,0]
	s_waitcnt vmcnt(11)
	v_mov_b32_e32 v18, v51
	ds_read2_b64 v[6:9], v4 offset0:95 offset1:96
	ds_read2_b64 v[10:13], v4 offset0:97 offset1:98
	ds_read_b64 v[14:15], v4 offset:792
	v_mov_b32_e32 v21, v19
	v_pk_mul_f32 v[18:19], v[44:45], v[18:19] op_sel_hi:[1,0]
	v_pk_add_f32 v[16:17], v[16:17], v[20:21]
	s_waitcnt vmcnt(4)
	v_pk_fma_f32 v[20:21], v[44:45], v[50:51], v[18:19] op_sel:[0,0,1] op_sel_hi:[1,1,0] neg_lo:[0,0,1] neg_hi:[0,0,1]
	v_pk_fma_f32 v[18:19], v[44:45], v[50:51], v[18:19] op_sel:[0,0,1] op_sel_hi:[1,0,0]
	v_mov_b32_e32 v18, v57
	v_mov_b32_e32 v21, v19
	s_waitcnt lgkmcnt(2)
	v_pk_mul_f32 v[18:19], v[6:7], v[18:19] op_sel_hi:[1,0]
	v_pk_add_f32 v[16:17], v[16:17], v[20:21]
	v_pk_fma_f32 v[20:21], v[6:7], v[56:57], v[18:19] op_sel:[0,0,1] op_sel_hi:[1,1,0] neg_lo:[0,0,1] neg_hi:[0,0,1]
	v_pk_fma_f32 v[6:7], v[6:7], v[56:57], v[18:19] op_sel:[0,0,1] op_sel_hi:[1,0,0]
	v_mov_b32_e32 v21, v7
	v_pk_add_f32 v[6:7], v[16:17], v[20:21]
	v_mov_b32_e32 v16, v55
	v_pk_mul_f32 v[16:17], v[8:9], v[16:17] op_sel_hi:[1,0]
	v_pk_fma_f32 v[18:19], v[8:9], v[54:55], v[16:17] op_sel:[0,0,1] op_sel_hi:[1,1,0] neg_lo:[0,0,1] neg_hi:[0,0,1]
	v_pk_fma_f32 v[8:9], v[8:9], v[54:55], v[16:17] op_sel:[0,0,1] op_sel_hi:[1,0,0]
	v_mov_b32_e32 v8, v53
	v_mov_b32_e32 v19, v9
	s_waitcnt lgkmcnt(1)
	v_pk_mul_f32 v[8:9], v[10:11], v[8:9] op_sel_hi:[1,0]
	v_pk_fma_f32 v[16:17], v[10:11], v[52:53], v[8:9] op_sel:[0,0,1] op_sel_hi:[1,1,0] neg_lo:[0,0,1] neg_hi:[0,0,1]
	v_pk_fma_f32 v[8:9], v[10:11], v[52:53], v[8:9] op_sel:[0,0,1] op_sel_hi:[1,0,0]
	s_waitcnt vmcnt(1)
	v_mov_b32_e32 v8, v67
	v_mov_b32_e32 v17, v9
	v_pk_mul_f32 v[8:9], v[12:13], v[8:9] op_sel_hi:[1,0]
	s_waitcnt vmcnt(0)
	v_pk_fma_f32 v[10:11], v[12:13], v[66:67], v[8:9] op_sel:[0,0,1] op_sel_hi:[1,1,0] neg_lo:[0,0,1] neg_hi:[0,0,1]
	v_pk_fma_f32 v[8:9], v[12:13], v[66:67], v[8:9] op_sel:[0,0,1] op_sel_hi:[1,0,0]
	v_pk_add_f32 v[6:7], v[6:7], v[18:19]
	v_mov_b32_e32 v8, v65
	v_pk_add_f32 v[6:7], v[6:7], v[16:17]
	v_mov_b32_e32 v11, v9
	s_waitcnt lgkmcnt(0)
	v_pk_mul_f32 v[8:9], v[14:15], v[8:9] op_sel_hi:[1,0]
	v_pk_add_f32 v[6:7], v[6:7], v[10:11]
	v_pk_fma_f32 v[10:11], v[14:15], v[64:65], v[8:9] op_sel:[0,0,1] op_sel_hi:[1,1,0] neg_lo:[0,0,1] neg_hi:[0,0,1]
	v_pk_fma_f32 v[8:9], v[14:15], v[64:65], v[8:9] op_sel:[0,0,1] op_sel_hi:[1,0,0]
	v_mov_b32_e32 v11, v9
	v_pk_add_f32 v[6:7], v[6:7], v[10:11]
	v_pk_add_f32 v[2:3], v[2:3], v[6:7] neg_lo:[0,1] neg_hi:[0,1]
	buffer_store_dword v3, off, s[0:3], 0 offset:196
	buffer_store_dword v2, off, s[0:3], 0 offset:192
	s_and_saveexec_b64 s[4:5], vcc
	s_cbranch_execz .LBB113_267
; %bb.266:
	buffer_load_dword v2, off, s[0:3], 0 offset:184
	buffer_load_dword v3, off, s[0:3], 0 offset:188
	s_waitcnt vmcnt(0)
	ds_write_b64 v111, v[2:3]
	buffer_store_dword v4, off, s[0:3], 0 offset:184
	buffer_store_dword v4, off, s[0:3], 0 offset:188
.LBB113_267:
	s_or_b64 exec, exec, s[4:5]
	s_waitcnt lgkmcnt(0)
	; wave barrier
	s_waitcnt lgkmcnt(0)
	buffer_load_dword v2, off, s[0:3], 0 offset:196
	buffer_load_dword v3, off, s[0:3], 0 offset:204
	;; [unrolled: 1-line block ×38, first 2 shown]
	ds_read_b128 v[6:9], v4 offset:592
	ds_read_b128 v[10:13], v4 offset:608
	;; [unrolled: 1-line block ×8, first 2 shown]
	buffer_load_dword v49, off, s[0:3], 0 offset:340
	buffer_load_dword v48, off, s[0:3], 0 offset:336
	;; [unrolled: 1-line block ×4, first 2 shown]
	v_cmp_lt_u32_e32 vcc, 22, v0
	s_waitcnt vmcnt(41) lgkmcnt(7)
	v_mul_f32_e32 v38, v6, v2
	s_waitcnt vmcnt(40)
	v_mul_f32_e32 v39, v8, v3
	s_waitcnt vmcnt(39) lgkmcnt(6)
	v_mul_f32_e32 v40, v10, v5
	s_waitcnt vmcnt(38)
	v_mul_f32_e32 v41, v12, v58
	;; [unrolled: 4-line block ×7, first 2 shown]
	s_waitcnt vmcnt(27) lgkmcnt(0)
	v_mul_f32_e32 v59, v34, v78
	s_waitcnt vmcnt(26)
	v_fmac_f32_e32 v38, v7, v79
	s_waitcnt vmcnt(25)
	v_fmac_f32_e32 v39, v9, v80
	v_add_f32_e32 v38, 0, v38
	s_waitcnt vmcnt(24)
	v_fmac_f32_e32 v40, v11, v81
	v_add_f32_e32 v38, v38, v39
	;; [unrolled: 3-line block ×13, first 2 shown]
	v_add_f32_e32 v38, v38, v57
	buffer_load_dword v53, off, s[0:3], 0 offset:364
	buffer_load_dword v52, off, s[0:3], 0 offset:360
	;; [unrolled: 1-line block ×6, first 2 shown]
	s_waitcnt vmcnt(18)
	v_fmac_f32_e32 v59, v35, v93
	s_waitcnt vmcnt(17)
	v_mul_f32_e32 v43, v36, v94
	v_add_f32_e32 v42, v38, v59
	s_waitcnt vmcnt(16)
	v_fmac_f32_e32 v43, v37, v95
	ds_read_b128 v[38:41], v4 offset:720
	v_add_f32_e32 v59, v42, v43
	ds_read_b128 v[42:45], v4 offset:736
	buffer_load_dword v65, off, s[0:3], 0 offset:396
	buffer_load_dword v64, off, s[0:3], 0 offset:392
	;; [unrolled: 1-line block ×6, first 2 shown]
	v_mul_f32_e32 v2, v7, v2
	v_fma_f32 v2, v6, v79, -v2
	v_mul_f32_e32 v3, v9, v3
	v_add_f32_e32 v2, 0, v2
	v_fma_f32 v3, v8, v80, -v3
	v_add_f32_e32 v2, v2, v3
	v_mul_f32_e32 v3, v11, v5
	v_fma_f32 v3, v10, v81, -v3
	v_add_f32_e32 v2, v2, v3
	v_mul_f32_e32 v3, v13, v58
	;; [unrolled: 3-line block ×14, first 2 shown]
	v_fma_f32 v3, v36, v95, -v3
	s_waitcnt vmcnt(15)
	v_mov_b32_e32 v16, v49
	s_waitcnt lgkmcnt(1)
	v_mul_f32_e32 v61, v38, v96
	v_add_f32_e32 v58, v2, v3
	v_mul_f32_e32 v2, v39, v96
	s_waitcnt lgkmcnt(0)
	v_pk_mul_f32 v[16:17], v[42:43], v[16:17] op_sel_hi:[1,0]
	v_fmac_f32_e32 v61, v39, v97
	v_mul_f32_e32 v63, v40, v98
	v_fma_f32 v60, v38, v97, -v2
	v_mul_f32_e32 v2, v41, v98
	s_waitcnt vmcnt(14)
	v_pk_fma_f32 v[18:19], v[42:43], v[48:49], v[16:17] op_sel:[0,0,1] op_sel_hi:[1,1,0] neg_lo:[0,0,1] neg_hi:[0,0,1]
	v_pk_fma_f32 v[16:17], v[42:43], v[48:49], v[16:17] op_sel:[0,0,1] op_sel_hi:[1,0,0]
	v_fmac_f32_e32 v63, v41, v99
	v_fma_f32 v62, v40, v99, -v2
	v_pk_add_f32 v[14:15], v[58:59], v[60:61]
	ds_read_b128 v[6:9], v4 offset:752
	ds_read_b128 v[10:13], v4 offset:768
	;; [unrolled: 1-line block ×3, first 2 shown]
	v_pk_add_f32 v[14:15], v[14:15], v[62:63]
	v_mov_b32_e32 v19, v17
	v_pk_add_f32 v[14:15], v[14:15], v[18:19]
	s_waitcnt vmcnt(7)
	v_mov_b32_e32 v16, v57
	v_pk_mul_f32 v[16:17], v[44:45], v[16:17] op_sel_hi:[1,0]
	s_waitcnt vmcnt(6)
	v_pk_fma_f32 v[18:19], v[44:45], v[56:57], v[16:17] op_sel:[0,0,1] op_sel_hi:[1,1,0] neg_lo:[0,0,1] neg_hi:[0,0,1]
	v_pk_fma_f32 v[16:17], v[44:45], v[56:57], v[16:17] op_sel:[0,0,1] op_sel_hi:[1,0,0]
	v_mov_b32_e32 v16, v55
	v_mov_b32_e32 v19, v17
	s_waitcnt lgkmcnt(2)
	v_pk_mul_f32 v[16:17], v[6:7], v[16:17] op_sel_hi:[1,0]
	v_pk_add_f32 v[14:15], v[14:15], v[18:19]
	v_pk_fma_f32 v[18:19], v[6:7], v[54:55], v[16:17] op_sel:[0,0,1] op_sel_hi:[1,1,0] neg_lo:[0,0,1] neg_hi:[0,0,1]
	v_pk_fma_f32 v[6:7], v[6:7], v[54:55], v[16:17] op_sel:[0,0,1] op_sel_hi:[1,0,0]
	v_mov_b32_e32 v19, v7
	v_pk_add_f32 v[6:7], v[14:15], v[18:19]
	v_mov_b32_e32 v14, v53
	v_pk_mul_f32 v[14:15], v[8:9], v[14:15] op_sel_hi:[1,0]
	v_pk_fma_f32 v[16:17], v[8:9], v[52:53], v[14:15] op_sel:[0,0,1] op_sel_hi:[1,1,0] neg_lo:[0,0,1] neg_hi:[0,0,1]
	v_pk_fma_f32 v[8:9], v[8:9], v[52:53], v[14:15] op_sel:[0,0,1] op_sel_hi:[1,0,0]
	v_mov_b32_e32 v8, v51
	v_mov_b32_e32 v17, v9
	s_waitcnt lgkmcnt(1)
	v_pk_mul_f32 v[8:9], v[10:11], v[8:9] op_sel_hi:[1,0]
	v_pk_fma_f32 v[14:15], v[10:11], v[50:51], v[8:9] op_sel:[0,0,1] op_sel_hi:[1,1,0] neg_lo:[0,0,1] neg_hi:[0,0,1]
	v_pk_fma_f32 v[8:9], v[10:11], v[50:51], v[8:9] op_sel:[0,0,1] op_sel_hi:[1,0,0]
	s_waitcnt vmcnt(1)
	v_mov_b32_e32 v8, v69
	v_mov_b32_e32 v15, v9
	v_pk_mul_f32 v[8:9], v[12:13], v[8:9] op_sel_hi:[1,0]
	s_waitcnt vmcnt(0)
	v_pk_fma_f32 v[10:11], v[12:13], v[68:69], v[8:9] op_sel:[0,0,1] op_sel_hi:[1,1,0] neg_lo:[0,0,1] neg_hi:[0,0,1]
	v_pk_fma_f32 v[8:9], v[12:13], v[68:69], v[8:9] op_sel:[0,0,1] op_sel_hi:[1,0,0]
	v_pk_add_f32 v[6:7], v[6:7], v[16:17]
	v_mov_b32_e32 v8, v67
	v_pk_add_f32 v[6:7], v[6:7], v[14:15]
	v_mov_b32_e32 v11, v9
	s_waitcnt lgkmcnt(0)
	v_pk_mul_f32 v[8:9], v[2:3], v[8:9] op_sel_hi:[1,0]
	v_pk_add_f32 v[6:7], v[6:7], v[10:11]
	v_pk_fma_f32 v[10:11], v[2:3], v[66:67], v[8:9] op_sel:[0,0,1] op_sel_hi:[1,1,0] neg_lo:[0,0,1] neg_hi:[0,0,1]
	v_pk_fma_f32 v[2:3], v[2:3], v[66:67], v[8:9] op_sel:[0,0,1] op_sel_hi:[1,0,0]
	v_mov_b32_e32 v11, v3
	v_pk_add_f32 v[2:3], v[6:7], v[10:11]
	v_mov_b32_e32 v6, v65
	v_pk_mul_f32 v[6:7], v[4:5], v[6:7] op_sel_hi:[1,0]
	v_pk_fma_f32 v[8:9], v[4:5], v[64:65], v[6:7] op_sel:[0,0,1] op_sel_hi:[1,1,0] neg_lo:[0,0,1] neg_hi:[0,0,1]
	v_pk_fma_f32 v[4:5], v[4:5], v[64:65], v[6:7] op_sel:[0,0,1] op_sel_hi:[1,0,0]
	v_mov_b32_e32 v9, v5
	v_pk_add_f32 v[2:3], v[2:3], v[8:9]
	v_pk_add_f32 v[2:3], v[46:47], v[2:3] neg_lo:[0,1] neg_hi:[0,1]
	buffer_store_dword v3, off, s[0:3], 0 offset:188
	buffer_store_dword v2, off, s[0:3], 0 offset:184
	s_and_saveexec_b64 s[4:5], vcc
	s_cbranch_execz .LBB113_269
; %bb.268:
	buffer_load_dword v2, off, s[0:3], 0 offset:176
	buffer_load_dword v3, off, s[0:3], 0 offset:180
	v_mov_b32_e32 v4, 0
	buffer_store_dword v4, off, s[0:3], 0 offset:176
	buffer_store_dword v4, off, s[0:3], 0 offset:180
	s_waitcnt vmcnt(2)
	ds_write_b64 v111, v[2:3]
.LBB113_269:
	s_or_b64 exec, exec, s[4:5]
	s_waitcnt lgkmcnt(0)
	; wave barrier
	s_waitcnt lgkmcnt(0)
	buffer_load_dword v5, off, s[0:3], 0 offset:188
	buffer_load_dword v54, off, s[0:3], 0 offset:196
	;; [unrolled: 1-line block ×40, first 2 shown]
	v_mov_b32_e32 v4, 0
	ds_read2_b64 v[6:9], v4 offset0:73 offset1:74
	ds_read2_b64 v[10:13], v4 offset0:75 offset1:76
	;; [unrolled: 1-line block ×8, first 2 shown]
	v_cmp_lt_u32_e32 vcc, 21, v0
	s_waitcnt vmcnt(39) lgkmcnt(7)
	v_mul_f32_e32 v38, v6, v5
	s_waitcnt vmcnt(38)
	v_mul_f32_e32 v39, v8, v54
	s_waitcnt vmcnt(37) lgkmcnt(6)
	v_mul_f32_e32 v40, v10, v56
	s_waitcnt vmcnt(36)
	v_mul_f32_e32 v41, v12, v58
	;; [unrolled: 4-line block ×8, first 2 shown]
	s_waitcnt vmcnt(23)
	v_fmac_f32_e32 v38, v7, v80
	s_waitcnt vmcnt(22)
	v_fmac_f32_e32 v39, v9, v81
	v_add_f32_e32 v38, 0, v38
	s_waitcnt vmcnt(21)
	v_fmac_f32_e32 v40, v11, v82
	v_add_f32_e32 v38, v38, v39
	;; [unrolled: 3-line block ×14, first 2 shown]
	v_add_f32_e32 v38, v38, v52
	s_waitcnt vmcnt(8)
	v_fmac_f32_e32 v53, v37, v95
	v_add_f32_e32 v55, v38, v53
	ds_read2_b64 v[38:41], v4 offset0:89 offset1:90
	buffer_load_dword v47, off, s[0:3], 0 offset:340
	buffer_load_dword v49, off, s[0:3], 0 offset:364
	;; [unrolled: 1-line block ×8, first 2 shown]
	ds_read2_b64 v[42:45], v4 offset0:91 offset1:92
	buffer_load_dword v61, off, s[0:3], 0 offset:396
	buffer_load_dword v60, off, s[0:3], 0 offset:392
	;; [unrolled: 1-line block ×8, first 2 shown]
	v_mul_f32_e32 v5, v7, v5
	v_fma_f32 v5, v6, v80, -v5
	v_mul_f32_e32 v6, v9, v54
	v_add_f32_e32 v5, 0, v5
	v_fma_f32 v6, v8, v81, -v6
	v_add_f32_e32 v5, v5, v6
	v_mul_f32_e32 v6, v11, v56
	v_fma_f32 v6, v10, v82, -v6
	v_add_f32_e32 v5, v5, v6
	v_mul_f32_e32 v6, v13, v58
	;; [unrolled: 3-line block ×14, first 2 shown]
	v_fma_f32 v6, v36, v95, -v6
	s_waitcnt vmcnt(23) lgkmcnt(1)
	v_mul_f32_e32 v57, v38, v96
	v_add_f32_e32 v5, v5, v6
	v_mul_f32_e32 v6, v39, v96
	s_waitcnt vmcnt(22)
	v_fmac_f32_e32 v57, v39, v97
	v_fma_f32 v6, v38, v97, -v6
	v_add_f32_e32 v55, v55, v57
	s_waitcnt vmcnt(21)
	v_mul_f32_e32 v57, v40, v98
	v_add_f32_e32 v54, v5, v6
	v_mul_f32_e32 v5, v41, v98
	s_waitcnt vmcnt(20)
	v_fmac_f32_e32 v57, v41, v99
	s_waitcnt vmcnt(19) lgkmcnt(0)
	v_mul_f32_e32 v59, v42, v100
	v_fma_f32 v56, v40, v99, -v5
	v_mul_f32_e32 v5, v43, v100
	ds_read2_b64 v[6:9], v4 offset0:93 offset1:94
	ds_read2_b64 v[10:13], v4 offset0:95 offset1:96
	ds_read2_b64 v[14:17], v4 offset0:97 offset1:98
	ds_read_b64 v[18:19], v4 offset:792
	s_waitcnt vmcnt(18)
	v_fmac_f32_e32 v59, v43, v101
	v_fma_f32 v58, v42, v101, -v5
	v_pk_add_f32 v[20:21], v[54:55], v[56:57]
	v_pk_add_f32 v[20:21], v[20:21], v[58:59]
	s_waitcnt vmcnt(15)
	v_mov_b32_e32 v22, v47
	v_pk_mul_f32 v[22:23], v[44:45], v[22:23] op_sel_hi:[1,0]
	s_waitcnt vmcnt(8)
	v_pk_fma_f32 v[24:25], v[44:45], v[46:47], v[22:23] op_sel:[0,0,1] op_sel_hi:[1,1,0] neg_lo:[0,0,1] neg_hi:[0,0,1]
	v_pk_fma_f32 v[22:23], v[44:45], v[46:47], v[22:23] op_sel:[0,0,1] op_sel_hi:[1,0,0]
	v_mov_b32_e32 v22, v53
	v_mov_b32_e32 v25, v23
	s_waitcnt lgkmcnt(3)
	v_pk_mul_f32 v[22:23], v[6:7], v[22:23] op_sel_hi:[1,0]
	v_pk_add_f32 v[20:21], v[20:21], v[24:25]
	v_pk_fma_f32 v[24:25], v[6:7], v[52:53], v[22:23] op_sel:[0,0,1] op_sel_hi:[1,1,0] neg_lo:[0,0,1] neg_hi:[0,0,1]
	v_pk_fma_f32 v[6:7], v[6:7], v[52:53], v[22:23] op_sel:[0,0,1] op_sel_hi:[1,0,0]
	v_mov_b32_e32 v25, v7
	v_pk_add_f32 v[6:7], v[20:21], v[24:25]
	v_mov_b32_e32 v20, v51
	v_pk_mul_f32 v[20:21], v[8:9], v[20:21] op_sel_hi:[1,0]
	v_pk_fma_f32 v[22:23], v[8:9], v[50:51], v[20:21] op_sel:[0,0,1] op_sel_hi:[1,1,0] neg_lo:[0,0,1] neg_hi:[0,0,1]
	v_pk_fma_f32 v[8:9], v[8:9], v[50:51], v[20:21] op_sel:[0,0,1] op_sel_hi:[1,0,0]
	v_mov_b32_e32 v8, v49
	v_mov_b32_e32 v23, v9
	s_waitcnt lgkmcnt(2)
	v_pk_mul_f32 v[8:9], v[10:11], v[8:9] op_sel_hi:[1,0]
	v_pk_fma_f32 v[20:21], v[10:11], v[48:49], v[8:9] op_sel:[0,0,1] op_sel_hi:[1,1,0] neg_lo:[0,0,1] neg_hi:[0,0,1]
	v_pk_fma_f32 v[8:9], v[10:11], v[48:49], v[8:9] op_sel:[0,0,1] op_sel_hi:[1,0,0]
	s_waitcnt vmcnt(1)
	v_mov_b32_e32 v8, v67
	v_mov_b32_e32 v21, v9
	v_pk_mul_f32 v[8:9], v[12:13], v[8:9] op_sel_hi:[1,0]
	s_waitcnt vmcnt(0)
	v_pk_fma_f32 v[10:11], v[12:13], v[66:67], v[8:9] op_sel:[0,0,1] op_sel_hi:[1,1,0] neg_lo:[0,0,1] neg_hi:[0,0,1]
	v_pk_fma_f32 v[8:9], v[12:13], v[66:67], v[8:9] op_sel:[0,0,1] op_sel_hi:[1,0,0]
	v_pk_add_f32 v[6:7], v[6:7], v[22:23]
	v_mov_b32_e32 v8, v65
	v_pk_add_f32 v[6:7], v[6:7], v[20:21]
	v_mov_b32_e32 v11, v9
	s_waitcnt lgkmcnt(1)
	v_pk_mul_f32 v[8:9], v[14:15], v[8:9] op_sel_hi:[1,0]
	v_pk_add_f32 v[6:7], v[6:7], v[10:11]
	v_pk_fma_f32 v[10:11], v[14:15], v[64:65], v[8:9] op_sel:[0,0,1] op_sel_hi:[1,1,0] neg_lo:[0,0,1] neg_hi:[0,0,1]
	v_pk_fma_f32 v[8:9], v[14:15], v[64:65], v[8:9] op_sel:[0,0,1] op_sel_hi:[1,0,0]
	v_mov_b32_e32 v8, v63
	v_mov_b32_e32 v11, v9
	v_pk_mul_f32 v[8:9], v[16:17], v[8:9] op_sel_hi:[1,0]
	v_pk_add_f32 v[6:7], v[6:7], v[10:11]
	v_pk_fma_f32 v[10:11], v[16:17], v[62:63], v[8:9] op_sel:[0,0,1] op_sel_hi:[1,1,0] neg_lo:[0,0,1] neg_hi:[0,0,1]
	v_pk_fma_f32 v[8:9], v[16:17], v[62:63], v[8:9] op_sel:[0,0,1] op_sel_hi:[1,0,0]
	v_mov_b32_e32 v8, v61
	v_mov_b32_e32 v11, v9
	s_waitcnt lgkmcnt(0)
	v_pk_mul_f32 v[8:9], v[18:19], v[8:9] op_sel_hi:[1,0]
	v_pk_add_f32 v[6:7], v[6:7], v[10:11]
	v_pk_fma_f32 v[10:11], v[18:19], v[60:61], v[8:9] op_sel:[0,0,1] op_sel_hi:[1,1,0] neg_lo:[0,0,1] neg_hi:[0,0,1]
	v_pk_fma_f32 v[8:9], v[18:19], v[60:61], v[8:9] op_sel:[0,0,1] op_sel_hi:[1,0,0]
	v_mov_b32_e32 v11, v9
	v_pk_add_f32 v[6:7], v[6:7], v[10:11]
	v_pk_add_f32 v[2:3], v[2:3], v[6:7] neg_lo:[0,1] neg_hi:[0,1]
	buffer_store_dword v3, off, s[0:3], 0 offset:180
	buffer_store_dword v2, off, s[0:3], 0 offset:176
	s_and_saveexec_b64 s[4:5], vcc
	s_cbranch_execz .LBB113_271
; %bb.270:
	buffer_load_dword v2, off, s[0:3], 0 offset:168
	buffer_load_dword v3, off, s[0:3], 0 offset:172
	s_waitcnt vmcnt(0)
	ds_write_b64 v111, v[2:3]
	buffer_store_dword v4, off, s[0:3], 0 offset:168
	buffer_store_dword v4, off, s[0:3], 0 offset:172
.LBB113_271:
	s_or_b64 exec, exec, s[4:5]
	s_waitcnt lgkmcnt(0)
	; wave barrier
	s_waitcnt lgkmcnt(0)
	buffer_load_dword v5, off, s[0:3], 0 offset:180
	buffer_load_dword v46, off, s[0:3], 0 offset:188
	;; [unrolled: 1-line block ×42, first 2 shown]
	ds_read_b128 v[6:9], v4 offset:576
	ds_read_b128 v[10:13], v4 offset:592
	;; [unrolled: 1-line block ×8, first 2 shown]
	v_cmp_lt_u32_e32 vcc, 20, v0
	s_waitcnt vmcnt(41) lgkmcnt(7)
	v_mul_f32_e32 v38, v6, v5
	s_waitcnt vmcnt(40)
	v_mul_f32_e32 v39, v8, v46
	s_waitcnt vmcnt(39) lgkmcnt(6)
	v_mul_f32_e32 v40, v10, v48
	s_waitcnt vmcnt(38)
	v_mul_f32_e32 v41, v12, v56
	;; [unrolled: 4-line block ×7, first 2 shown]
	s_waitcnt vmcnt(27) lgkmcnt(0)
	v_mul_f32_e32 v54, v34, v78
	s_waitcnt vmcnt(26)
	v_fmac_f32_e32 v38, v7, v79
	s_waitcnt vmcnt(25)
	v_fmac_f32_e32 v39, v9, v80
	v_add_f32_e32 v38, 0, v38
	s_waitcnt vmcnt(24)
	v_fmac_f32_e32 v40, v11, v81
	v_add_f32_e32 v38, v38, v39
	;; [unrolled: 3-line block ×14, first 2 shown]
	s_waitcnt vmcnt(11)
	v_mul_f32_e32 v43, v36, v94
	v_add_f32_e32 v42, v38, v54
	s_waitcnt vmcnt(10)
	v_fmac_f32_e32 v43, v37, v95
	ds_read_b128 v[38:41], v4 offset:704
	v_add_f32_e32 v47, v42, v43
	ds_read_b128 v[42:45], v4 offset:720
	buffer_load_dword v51, off, s[0:3], 0 offset:340
	buffer_load_dword v53, off, s[0:3], 0 offset:356
	;; [unrolled: 1-line block ×16, first 2 shown]
	v_mul_f32_e32 v5, v7, v5
	v_fma_f32 v5, v6, v79, -v5
	v_mul_f32_e32 v6, v9, v46
	v_add_f32_e32 v5, 0, v5
	v_fma_f32 v6, v8, v80, -v6
	v_add_f32_e32 v5, v5, v6
	v_mul_f32_e32 v6, v11, v48
	v_fma_f32 v6, v10, v81, -v6
	v_add_f32_e32 v5, v5, v6
	v_mul_f32_e32 v6, v13, v56
	v_fma_f32 v6, v12, v82, -v6
	v_add_f32_e32 v5, v5, v6
	v_mul_f32_e32 v6, v15, v68
	v_fma_f32 v6, v14, v83, -v6
	v_add_f32_e32 v5, v5, v6
	v_mul_f32_e32 v6, v17, v69
	v_fma_f32 v6, v16, v84, -v6
	v_add_f32_e32 v5, v5, v6
	v_mul_f32_e32 v6, v19, v70
	v_fma_f32 v6, v18, v85, -v6
	v_add_f32_e32 v5, v5, v6
	v_mul_f32_e32 v6, v21, v71
	v_fma_f32 v6, v20, v86, -v6
	v_add_f32_e32 v5, v5, v6
	v_mul_f32_e32 v6, v23, v72
	v_fma_f32 v6, v22, v87, -v6
	v_add_f32_e32 v5, v5, v6
	v_mul_f32_e32 v6, v25, v73
	v_fma_f32 v6, v24, v88, -v6
	v_add_f32_e32 v5, v5, v6
	v_mul_f32_e32 v6, v27, v74
	v_fma_f32 v6, v26, v89, -v6
	v_add_f32_e32 v5, v5, v6
	v_mul_f32_e32 v6, v29, v75
	v_fma_f32 v6, v28, v90, -v6
	v_add_f32_e32 v5, v5, v6
	v_mul_f32_e32 v6, v31, v76
	v_fma_f32 v6, v30, v91, -v6
	v_add_f32_e32 v5, v5, v6
	v_mul_f32_e32 v6, v33, v77
	v_fma_f32 v6, v32, v92, -v6
	v_add_f32_e32 v5, v5, v6
	v_mul_f32_e32 v6, v35, v78
	v_fma_f32 v6, v34, v93, -v6
	v_add_f32_e32 v5, v5, v6
	v_mul_f32_e32 v6, v37, v94
	v_fma_f32 v6, v36, v95, -v6
	v_add_f32_e32 v5, v5, v6
	s_waitcnt vmcnt(25) lgkmcnt(1)
	v_mul_f32_e32 v6, v39, v96
	s_waitcnt vmcnt(24)
	v_fma_f32 v6, v38, v97, -v6
	v_add_f32_e32 v5, v5, v6
	s_waitcnt vmcnt(23)
	v_mul_f32_e32 v6, v41, v98
	s_waitcnt vmcnt(22)
	v_fma_f32 v6, v40, v99, -v6
	v_add_f32_e32 v46, v5, v6
	ds_read_b128 v[6:9], v4 offset:736
	ds_read_b128 v[10:13], v4 offset:752
	;; [unrolled: 1-line block ×4, first 2 shown]
	v_mul_f32_e32 v49, v38, v96
	v_fmac_f32_e32 v49, v39, v97
	v_add_f32_e32 v47, v47, v49
	v_mul_f32_e32 v49, v40, v98
	v_fmac_f32_e32 v49, v41, v99
	v_add_f32_e32 v47, v47, v49
	s_waitcnt vmcnt(21) lgkmcnt(4)
	v_mul_f32_e32 v49, v42, v100
	v_mul_f32_e32 v5, v43, v100
	s_waitcnt vmcnt(20)
	v_fmac_f32_e32 v49, v43, v101
	s_waitcnt vmcnt(19)
	v_mul_f32_e32 v57, v44, v102
	v_fma_f32 v48, v42, v101, -v5
	v_mul_f32_e32 v5, v45, v102
	s_waitcnt vmcnt(18)
	v_fmac_f32_e32 v57, v45, v103
	v_fma_f32 v56, v44, v103, -v5
	v_pk_add_f32 v[4:5], v[46:47], v[48:49]
	v_pk_add_f32 v[4:5], v[4:5], v[56:57]
	s_waitcnt vmcnt(15)
	v_mov_b32_e32 v22, v51
	s_waitcnt lgkmcnt(3)
	v_pk_mul_f32 v[22:23], v[6:7], v[22:23] op_sel_hi:[1,0]
	s_waitcnt vmcnt(10)
	v_pk_fma_f32 v[24:25], v[6:7], v[50:51], v[22:23] op_sel:[0,0,1] op_sel_hi:[1,1,0] neg_lo:[0,0,1] neg_hi:[0,0,1]
	v_pk_fma_f32 v[6:7], v[6:7], v[50:51], v[22:23] op_sel:[0,0,1] op_sel_hi:[1,0,0]
	v_mov_b32_e32 v6, v55
	v_mov_b32_e32 v25, v7
	v_pk_mul_f32 v[6:7], v[8:9], v[6:7] op_sel_hi:[1,0]
	v_pk_fma_f32 v[22:23], v[8:9], v[54:55], v[6:7] op_sel:[0,0,1] op_sel_hi:[1,1,0] neg_lo:[0,0,1] neg_hi:[0,0,1]
	v_pk_fma_f32 v[6:7], v[8:9], v[54:55], v[6:7] op_sel:[0,0,1] op_sel_hi:[1,0,0]
	v_mov_b32_e32 v6, v53
	v_mov_b32_e32 v23, v7
	s_waitcnt lgkmcnt(2)
	v_pk_mul_f32 v[6:7], v[10:11], v[6:7] op_sel_hi:[1,0]
	v_pk_fma_f32 v[8:9], v[10:11], v[52:53], v[6:7] op_sel:[0,0,1] op_sel_hi:[1,1,0] neg_lo:[0,0,1] neg_hi:[0,0,1]
	v_pk_fma_f32 v[6:7], v[10:11], v[52:53], v[6:7] op_sel:[0,0,1] op_sel_hi:[1,0,0]
	v_pk_add_f32 v[4:5], v[4:5], v[24:25]
	s_waitcnt vmcnt(3)
	v_mov_b32_e32 v6, v65
	v_pk_add_f32 v[4:5], v[4:5], v[22:23]
	v_mov_b32_e32 v9, v7
	v_pk_mul_f32 v[6:7], v[12:13], v[6:7] op_sel_hi:[1,0]
	v_pk_add_f32 v[4:5], v[4:5], v[8:9]
	s_waitcnt vmcnt(2)
	v_pk_fma_f32 v[8:9], v[12:13], v[64:65], v[6:7] op_sel:[0,0,1] op_sel_hi:[1,1,0] neg_lo:[0,0,1] neg_hi:[0,0,1]
	v_pk_fma_f32 v[6:7], v[12:13], v[64:65], v[6:7] op_sel:[0,0,1] op_sel_hi:[1,0,0]
	v_mov_b32_e32 v6, v63
	v_mov_b32_e32 v9, v7
	s_waitcnt lgkmcnt(1)
	v_pk_mul_f32 v[6:7], v[14:15], v[6:7] op_sel_hi:[1,0]
	v_pk_add_f32 v[4:5], v[4:5], v[8:9]
	v_pk_fma_f32 v[8:9], v[14:15], v[62:63], v[6:7] op_sel:[0,0,1] op_sel_hi:[1,1,0] neg_lo:[0,0,1] neg_hi:[0,0,1]
	v_pk_fma_f32 v[6:7], v[14:15], v[62:63], v[6:7] op_sel:[0,0,1] op_sel_hi:[1,0,0]
	v_mov_b32_e32 v6, v61
	v_mov_b32_e32 v9, v7
	v_pk_mul_f32 v[6:7], v[16:17], v[6:7] op_sel_hi:[1,0]
	v_pk_add_f32 v[4:5], v[4:5], v[8:9]
	v_pk_fma_f32 v[8:9], v[16:17], v[60:61], v[6:7] op_sel:[0,0,1] op_sel_hi:[1,1,0] neg_lo:[0,0,1] neg_hi:[0,0,1]
	v_pk_fma_f32 v[6:7], v[16:17], v[60:61], v[6:7] op_sel:[0,0,1] op_sel_hi:[1,0,0]
	v_mov_b32_e32 v6, v59
	v_mov_b32_e32 v9, v7
	s_waitcnt lgkmcnt(0)
	v_pk_mul_f32 v[6:7], v[18:19], v[6:7] op_sel_hi:[1,0]
	v_pk_add_f32 v[4:5], v[4:5], v[8:9]
	v_pk_fma_f32 v[8:9], v[18:19], v[58:59], v[6:7] op_sel:[0,0,1] op_sel_hi:[1,1,0] neg_lo:[0,0,1] neg_hi:[0,0,1]
	v_pk_fma_f32 v[6:7], v[18:19], v[58:59], v[6:7] op_sel:[0,0,1] op_sel_hi:[1,0,0]
	s_waitcnt vmcnt(1)
	v_mov_b32_e32 v6, v67
	v_mov_b32_e32 v9, v7
	v_pk_mul_f32 v[6:7], v[20:21], v[6:7] op_sel_hi:[1,0]
	v_pk_add_f32 v[4:5], v[4:5], v[8:9]
	s_waitcnt vmcnt(0)
	v_pk_fma_f32 v[8:9], v[20:21], v[66:67], v[6:7] op_sel:[0,0,1] op_sel_hi:[1,1,0] neg_lo:[0,0,1] neg_hi:[0,0,1]
	v_pk_fma_f32 v[6:7], v[20:21], v[66:67], v[6:7] op_sel:[0,0,1] op_sel_hi:[1,0,0]
	v_mov_b32_e32 v9, v7
	v_pk_add_f32 v[4:5], v[4:5], v[8:9]
	v_pk_add_f32 v[2:3], v[2:3], v[4:5] neg_lo:[0,1] neg_hi:[0,1]
	buffer_store_dword v3, off, s[0:3], 0 offset:172
	buffer_store_dword v2, off, s[0:3], 0 offset:168
	s_and_saveexec_b64 s[4:5], vcc
	s_cbranch_execz .LBB113_273
; %bb.272:
	buffer_load_dword v2, off, s[0:3], 0 offset:160
	buffer_load_dword v3, off, s[0:3], 0 offset:164
	v_mov_b32_e32 v4, 0
	buffer_store_dword v4, off, s[0:3], 0 offset:160
	buffer_store_dword v4, off, s[0:3], 0 offset:164
	s_waitcnt vmcnt(2)
	ds_write_b64 v111, v[2:3]
.LBB113_273:
	s_or_b64 exec, exec, s[4:5]
	s_waitcnt lgkmcnt(0)
	; wave barrier
	s_waitcnt lgkmcnt(0)
	buffer_load_dword v5, off, s[0:3], 0 offset:172
	buffer_load_dword v54, off, s[0:3], 0 offset:180
	;; [unrolled: 1-line block ×44, first 2 shown]
	v_mov_b32_e32 v4, 0
	ds_read2_b64 v[6:9], v4 offset0:71 offset1:72
	ds_read2_b64 v[10:13], v4 offset0:73 offset1:74
	;; [unrolled: 1-line block ×8, first 2 shown]
	v_cmp_lt_u32_e32 vcc, 19, v0
	s_waitcnt vmcnt(43) lgkmcnt(7)
	v_mul_f32_e32 v38, v6, v5
	s_waitcnt vmcnt(42)
	v_mul_f32_e32 v39, v8, v54
	s_waitcnt vmcnt(41) lgkmcnt(6)
	v_mul_f32_e32 v40, v10, v60
	s_waitcnt vmcnt(40)
	v_mul_f32_e32 v41, v12, v62
	;; [unrolled: 4-line block ×7, first 2 shown]
	s_waitcnt vmcnt(29)
	v_fmac_f32_e32 v38, v7, v86
	s_waitcnt vmcnt(28)
	v_fmac_f32_e32 v39, v9, v87
	v_add_f32_e32 v38, 0, v38
	s_waitcnt vmcnt(27)
	v_fmac_f32_e32 v40, v11, v88
	v_add_f32_e32 v38, v38, v39
	;; [unrolled: 3-line block ×12, first 2 shown]
	v_add_f32_e32 v38, v38, v50
	s_waitcnt vmcnt(16)
	v_fmac_f32_e32 v51, v33, v99
	s_waitcnt vmcnt(15) lgkmcnt(0)
	v_mul_f32_e32 v39, v34, v100
	v_add_f32_e32 v38, v38, v51
	s_waitcnt vmcnt(14)
	v_fmac_f32_e32 v39, v35, v101
	v_add_f32_e32 v42, v38, v39
	ds_read2_b64 v[38:41], v4 offset0:87 offset1:88
	s_waitcnt vmcnt(13)
	v_mul_f32_e32 v43, v36, v102
	s_waitcnt vmcnt(12)
	v_fmac_f32_e32 v43, v37, v103
	v_add_f32_e32 v46, v42, v43
	ds_read2_b64 v[42:45], v4 offset0:89 offset1:90
	s_waitcnt vmcnt(11) lgkmcnt(1)
	v_mul_f32_e32 v47, v38, v184
	s_waitcnt vmcnt(10)
	v_fmac_f32_e32 v47, v39, v185
	v_add_f32_e32 v46, v46, v47
	s_waitcnt vmcnt(9)
	v_mul_f32_e32 v47, v40, v186
	s_waitcnt vmcnt(8)
	v_fmac_f32_e32 v47, v41, v187
	v_add_f32_e32 v46, v46, v47
	s_waitcnt vmcnt(7) lgkmcnt(0)
	v_mul_f32_e32 v47, v42, v188
	s_waitcnt vmcnt(6)
	v_fmac_f32_e32 v47, v43, v189
	v_add_f32_e32 v55, v46, v47
	ds_read2_b64 v[46:49], v4 offset0:91 offset1:92
	buffer_load_dword v57, off, s[0:3], 0 offset:348
	buffer_load_dword v56, off, s[0:3], 0 offset:344
	;; [unrolled: 1-line block ×4, first 2 shown]
	ds_read2_b64 v[50:53], v4 offset0:93 offset1:94
	buffer_load_dword v65, off, s[0:3], 0 offset:380
	buffer_load_dword v64, off, s[0:3], 0 offset:376
	;; [unrolled: 1-line block ×12, first 2 shown]
	v_mul_f32_e32 v5, v7, v5
	v_fma_f32 v5, v6, v86, -v5
	v_mul_f32_e32 v6, v9, v54
	v_add_f32_e32 v5, 0, v5
	v_fma_f32 v6, v8, v87, -v6
	v_add_f32_e32 v5, v5, v6
	v_mul_f32_e32 v6, v11, v60
	v_fma_f32 v6, v10, v88, -v6
	v_add_f32_e32 v5, v5, v6
	v_mul_f32_e32 v6, v13, v62
	;; [unrolled: 3-line block ×17, first 2 shown]
	v_fma_f32 v6, v42, v189, -v6
	s_waitcnt vmcnt(21)
	v_mul_f32_e32 v61, v44, v190
	v_add_f32_e32 v54, v5, v6
	v_mul_f32_e32 v5, v45, v190
	s_waitcnt vmcnt(20)
	v_fmac_f32_e32 v61, v45, v191
	s_waitcnt vmcnt(19) lgkmcnt(1)
	v_mul_f32_e32 v63, v46, v192
	v_fma_f32 v60, v44, v191, -v5
	v_mul_f32_e32 v5, v47, v192
	s_waitcnt vmcnt(18)
	v_fmac_f32_e32 v63, v47, v193
	v_fma_f32 v62, v46, v193, -v5
	v_pk_add_f32 v[16:17], v[54:55], v[60:61]
	v_pk_add_f32 v[16:17], v[16:17], v[62:63]
	ds_read2_b64 v[6:9], v4 offset0:95 offset1:96
	ds_read2_b64 v[10:13], v4 offset0:97 offset1:98
	ds_read_b64 v[14:15], v4 offset:792
	s_waitcnt vmcnt(13)
	v_mov_b32_e32 v18, v59
	v_pk_mul_f32 v[18:19], v[48:49], v[18:19] op_sel_hi:[1,0]
	s_waitcnt vmcnt(12)
	v_pk_fma_f32 v[20:21], v[48:49], v[58:59], v[18:19] op_sel:[0,0,1] op_sel_hi:[1,1,0] neg_lo:[0,0,1] neg_hi:[0,0,1]
	v_pk_fma_f32 v[18:19], v[48:49], v[58:59], v[18:19] op_sel:[0,0,1] op_sel_hi:[1,0,0]
	v_mov_b32_e32 v18, v57
	v_mov_b32_e32 v21, v19
	s_waitcnt lgkmcnt(3)
	v_pk_mul_f32 v[18:19], v[50:51], v[18:19] op_sel_hi:[1,0]
	v_pk_add_f32 v[16:17], v[16:17], v[20:21]
	v_pk_fma_f32 v[20:21], v[50:51], v[56:57], v[18:19] op_sel:[0,0,1] op_sel_hi:[1,1,0] neg_lo:[0,0,1] neg_hi:[0,0,1]
	v_pk_fma_f32 v[18:19], v[50:51], v[56:57], v[18:19] op_sel:[0,0,1] op_sel_hi:[1,0,0]
	s_waitcnt vmcnt(5)
	v_mov_b32_e32 v18, v71
	v_mov_b32_e32 v21, v19
	v_pk_mul_f32 v[18:19], v[52:53], v[18:19] op_sel_hi:[1,0]
	v_pk_add_f32 v[16:17], v[16:17], v[20:21]
	s_waitcnt vmcnt(4)
	v_pk_fma_f32 v[20:21], v[52:53], v[70:71], v[18:19] op_sel:[0,0,1] op_sel_hi:[1,1,0] neg_lo:[0,0,1] neg_hi:[0,0,1]
	v_pk_fma_f32 v[18:19], v[52:53], v[70:71], v[18:19] op_sel:[0,0,1] op_sel_hi:[1,0,0]
	v_mov_b32_e32 v18, v69
	v_mov_b32_e32 v21, v19
	s_waitcnt lgkmcnt(2)
	v_pk_mul_f32 v[18:19], v[6:7], v[18:19] op_sel_hi:[1,0]
	v_pk_add_f32 v[16:17], v[16:17], v[20:21]
	v_pk_fma_f32 v[20:21], v[6:7], v[68:69], v[18:19] op_sel:[0,0,1] op_sel_hi:[1,1,0] neg_lo:[0,0,1] neg_hi:[0,0,1]
	v_pk_fma_f32 v[6:7], v[6:7], v[68:69], v[18:19] op_sel:[0,0,1] op_sel_hi:[1,0,0]
	v_mov_b32_e32 v21, v7
	v_pk_add_f32 v[6:7], v[16:17], v[20:21]
	v_mov_b32_e32 v16, v67
	v_pk_mul_f32 v[16:17], v[8:9], v[16:17] op_sel_hi:[1,0]
	v_pk_fma_f32 v[18:19], v[8:9], v[66:67], v[16:17] op_sel:[0,0,1] op_sel_hi:[1,1,0] neg_lo:[0,0,1] neg_hi:[0,0,1]
	v_pk_fma_f32 v[8:9], v[8:9], v[66:67], v[16:17] op_sel:[0,0,1] op_sel_hi:[1,0,0]
	v_mov_b32_e32 v8, v65
	v_mov_b32_e32 v19, v9
	s_waitcnt lgkmcnt(1)
	v_pk_mul_f32 v[8:9], v[10:11], v[8:9] op_sel_hi:[1,0]
	v_pk_fma_f32 v[16:17], v[10:11], v[64:65], v[8:9] op_sel:[0,0,1] op_sel_hi:[1,1,0] neg_lo:[0,0,1] neg_hi:[0,0,1]
	v_pk_fma_f32 v[8:9], v[10:11], v[64:65], v[8:9] op_sel:[0,0,1] op_sel_hi:[1,0,0]
	s_waitcnt vmcnt(1)
	v_mov_b32_e32 v8, v75
	v_mov_b32_e32 v17, v9
	v_pk_mul_f32 v[8:9], v[12:13], v[8:9] op_sel_hi:[1,0]
	s_waitcnt vmcnt(0)
	v_pk_fma_f32 v[10:11], v[12:13], v[74:75], v[8:9] op_sel:[0,0,1] op_sel_hi:[1,1,0] neg_lo:[0,0,1] neg_hi:[0,0,1]
	v_pk_fma_f32 v[8:9], v[12:13], v[74:75], v[8:9] op_sel:[0,0,1] op_sel_hi:[1,0,0]
	v_pk_add_f32 v[6:7], v[6:7], v[18:19]
	v_mov_b32_e32 v8, v73
	v_pk_add_f32 v[6:7], v[6:7], v[16:17]
	v_mov_b32_e32 v11, v9
	s_waitcnt lgkmcnt(0)
	v_pk_mul_f32 v[8:9], v[14:15], v[8:9] op_sel_hi:[1,0]
	v_pk_add_f32 v[6:7], v[6:7], v[10:11]
	v_pk_fma_f32 v[10:11], v[14:15], v[72:73], v[8:9] op_sel:[0,0,1] op_sel_hi:[1,1,0] neg_lo:[0,0,1] neg_hi:[0,0,1]
	v_pk_fma_f32 v[8:9], v[14:15], v[72:73], v[8:9] op_sel:[0,0,1] op_sel_hi:[1,0,0]
	v_mov_b32_e32 v11, v9
	v_pk_add_f32 v[6:7], v[6:7], v[10:11]
	v_pk_add_f32 v[2:3], v[2:3], v[6:7] neg_lo:[0,1] neg_hi:[0,1]
	buffer_store_dword v3, off, s[0:3], 0 offset:164
	buffer_store_dword v2, off, s[0:3], 0 offset:160
	s_and_saveexec_b64 s[4:5], vcc
	s_cbranch_execz .LBB113_275
; %bb.274:
	buffer_load_dword v2, off, s[0:3], 0 offset:152
	buffer_load_dword v3, off, s[0:3], 0 offset:156
	s_waitcnt vmcnt(0)
	ds_write_b64 v111, v[2:3]
	buffer_store_dword v4, off, s[0:3], 0 offset:152
	buffer_store_dword v4, off, s[0:3], 0 offset:156
.LBB113_275:
	s_or_b64 exec, exec, s[4:5]
	s_waitcnt lgkmcnt(0)
	; wave barrier
	s_waitcnt lgkmcnt(0)
	buffer_load_dword v5, off, s[0:3], 0 offset:164
	buffer_load_dword v56, off, s[0:3], 0 offset:172
	buffer_load_dword v58, off, s[0:3], 0 offset:180
	buffer_load_dword v60, off, s[0:3], 0 offset:188
	buffer_load_dword v76, off, s[0:3], 0 offset:196
	buffer_load_dword v77, off, s[0:3], 0 offset:204
	buffer_load_dword v78, off, s[0:3], 0 offset:212
	buffer_load_dword v79, off, s[0:3], 0 offset:220
	buffer_load_dword v80, off, s[0:3], 0 offset:228
	buffer_load_dword v81, off, s[0:3], 0 offset:236
	buffer_load_dword v82, off, s[0:3], 0 offset:244
	buffer_load_dword v83, off, s[0:3], 0 offset:252
	buffer_load_dword v84, off, s[0:3], 0 offset:260
	buffer_load_dword v85, off, s[0:3], 0 offset:160
	buffer_load_dword v86, off, s[0:3], 0 offset:168
	buffer_load_dword v87, off, s[0:3], 0 offset:176
	buffer_load_dword v88, off, s[0:3], 0 offset:184
	buffer_load_dword v89, off, s[0:3], 0 offset:192
	buffer_load_dword v90, off, s[0:3], 0 offset:200
	buffer_load_dword v91, off, s[0:3], 0 offset:208
	buffer_load_dword v92, off, s[0:3], 0 offset:216
	buffer_load_dword v93, off, s[0:3], 0 offset:224
	buffer_load_dword v94, off, s[0:3], 0 offset:232
	buffer_load_dword v95, off, s[0:3], 0 offset:240
	buffer_load_dword v96, off, s[0:3], 0 offset:248
	buffer_load_dword v97, off, s[0:3], 0 offset:256
	buffer_load_dword v98, off, s[0:3], 0 offset:268
	buffer_load_dword v99, off, s[0:3], 0 offset:264
	buffer_load_dword v100, off, s[0:3], 0 offset:276
	buffer_load_dword v101, off, s[0:3], 0 offset:272
	buffer_load_dword v102, off, s[0:3], 0 offset:284
	buffer_load_dword v103, off, s[0:3], 0 offset:280
	buffer_load_dword v184, off, s[0:3], 0 offset:292
	buffer_load_dword v185, off, s[0:3], 0 offset:288
	buffer_load_dword v186, off, s[0:3], 0 offset:300
	buffer_load_dword v187, off, s[0:3], 0 offset:296
	buffer_load_dword v188, off, s[0:3], 0 offset:308
	buffer_load_dword v189, off, s[0:3], 0 offset:304
	buffer_load_dword v190, off, s[0:3], 0 offset:316
	buffer_load_dword v191, off, s[0:3], 0 offset:312
	buffer_load_dword v192, off, s[0:3], 0 offset:324
	buffer_load_dword v193, off, s[0:3], 0 offset:320
	buffer_load_dword v194, off, s[0:3], 0 offset:332
	buffer_load_dword v195, off, s[0:3], 0 offset:328
	buffer_load_dword v2, off, s[0:3], 0 offset:152
	buffer_load_dword v3, off, s[0:3], 0 offset:156
	ds_read_b128 v[6:9], v4 offset:560
	ds_read_b128 v[10:13], v4 offset:576
	;; [unrolled: 1-line block ×8, first 2 shown]
	v_cmp_lt_u32_e32 vcc, 18, v0
	s_waitcnt vmcnt(45) lgkmcnt(7)
	v_mul_f32_e32 v38, v6, v5
	s_waitcnt vmcnt(44)
	v_mul_f32_e32 v39, v8, v56
	s_waitcnt vmcnt(43) lgkmcnt(6)
	v_mul_f32_e32 v40, v10, v58
	s_waitcnt vmcnt(42)
	v_mul_f32_e32 v41, v12, v60
	;; [unrolled: 4-line block ×6, first 2 shown]
	s_waitcnt vmcnt(33) lgkmcnt(1)
	v_mul_f32_e32 v50, v30, v84
	s_waitcnt vmcnt(32)
	v_fmac_f32_e32 v38, v7, v85
	s_waitcnt vmcnt(31)
	v_fmac_f32_e32 v39, v9, v86
	v_add_f32_e32 v38, 0, v38
	s_waitcnt vmcnt(30)
	v_fmac_f32_e32 v40, v11, v87
	v_add_f32_e32 v38, v38, v39
	;; [unrolled: 3-line block ×12, first 2 shown]
	s_waitcnt vmcnt(19)
	v_mul_f32_e32 v39, v32, v98
	v_add_f32_e32 v38, v38, v50
	s_waitcnt vmcnt(18)
	v_fmac_f32_e32 v39, v33, v99
	v_add_f32_e32 v38, v38, v39
	s_waitcnt vmcnt(17) lgkmcnt(0)
	v_mul_f32_e32 v39, v34, v100
	s_waitcnt vmcnt(16)
	v_fmac_f32_e32 v39, v35, v101
	v_add_f32_e32 v42, v38, v39
	ds_read_b128 v[38:41], v4 offset:688
	s_waitcnt vmcnt(15)
	v_mul_f32_e32 v43, v36, v102
	s_waitcnt vmcnt(14)
	v_fmac_f32_e32 v43, v37, v103
	v_add_f32_e32 v46, v42, v43
	ds_read_b128 v[42:45], v4 offset:704
	buffer_load_dword v55, off, s[0:3], 0 offset:340
	buffer_load_dword v54, off, s[0:3], 0 offset:336
	s_waitcnt vmcnt(15) lgkmcnt(1)
	v_mul_f32_e32 v47, v38, v184
	s_waitcnt vmcnt(14)
	v_fmac_f32_e32 v47, v39, v185
	v_add_f32_e32 v46, v46, v47
	s_waitcnt vmcnt(13)
	v_mul_f32_e32 v47, v40, v186
	s_waitcnt vmcnt(12)
	v_fmac_f32_e32 v47, v41, v187
	v_add_f32_e32 v46, v46, v47
	s_waitcnt vmcnt(11) lgkmcnt(0)
	v_mul_f32_e32 v47, v42, v188
	s_waitcnt vmcnt(10)
	v_fmac_f32_e32 v47, v43, v189
	s_waitcnt vmcnt(9)
	v_mul_f32_e32 v51, v44, v190
	v_add_f32_e32 v50, v46, v47
	s_waitcnt vmcnt(8)
	v_fmac_f32_e32 v51, v45, v191
	ds_read_b128 v[46:49], v4 offset:720
	v_add_f32_e32 v57, v50, v51
	ds_read_b128 v[50:53], v4 offset:736
	buffer_load_dword v63, off, s[0:3], 0 offset:372
	buffer_load_dword v62, off, s[0:3], 0 offset:368
	;; [unrolled: 1-line block ×14, first 2 shown]
	v_mul_f32_e32 v5, v7, v5
	v_fma_f32 v5, v6, v85, -v5
	v_mul_f32_e32 v6, v9, v56
	v_add_f32_e32 v5, 0, v5
	v_fma_f32 v6, v8, v86, -v6
	v_add_f32_e32 v5, v5, v6
	v_mul_f32_e32 v6, v11, v58
	v_fma_f32 v6, v10, v87, -v6
	v_add_f32_e32 v5, v5, v6
	v_mul_f32_e32 v6, v13, v60
	v_fma_f32 v6, v12, v88, -v6
	v_add_f32_e32 v5, v5, v6
	v_mul_f32_e32 v6, v15, v76
	v_fma_f32 v6, v14, v89, -v6
	v_add_f32_e32 v5, v5, v6
	v_mul_f32_e32 v6, v17, v77
	v_fma_f32 v6, v16, v90, -v6
	v_add_f32_e32 v5, v5, v6
	v_mul_f32_e32 v6, v19, v78
	v_fma_f32 v6, v18, v91, -v6
	v_add_f32_e32 v5, v5, v6
	v_mul_f32_e32 v6, v21, v79
	v_fma_f32 v6, v20, v92, -v6
	v_add_f32_e32 v5, v5, v6
	v_mul_f32_e32 v6, v23, v80
	v_fma_f32 v6, v22, v93, -v6
	v_add_f32_e32 v5, v5, v6
	v_mul_f32_e32 v6, v25, v81
	v_fma_f32 v6, v24, v94, -v6
	v_add_f32_e32 v5, v5, v6
	v_mul_f32_e32 v6, v27, v82
	v_fma_f32 v6, v26, v95, -v6
	v_add_f32_e32 v5, v5, v6
	v_mul_f32_e32 v6, v29, v83
	v_fma_f32 v6, v28, v96, -v6
	v_add_f32_e32 v5, v5, v6
	v_mul_f32_e32 v6, v31, v84
	v_fma_f32 v6, v30, v97, -v6
	v_add_f32_e32 v5, v5, v6
	v_mul_f32_e32 v6, v33, v98
	v_fma_f32 v6, v32, v99, -v6
	v_add_f32_e32 v5, v5, v6
	v_mul_f32_e32 v6, v35, v100
	v_fma_f32 v6, v34, v101, -v6
	v_add_f32_e32 v5, v5, v6
	v_mul_f32_e32 v6, v37, v102
	v_fma_f32 v6, v36, v103, -v6
	v_add_f32_e32 v5, v5, v6
	v_mul_f32_e32 v6, v39, v184
	v_fma_f32 v6, v38, v185, -v6
	v_add_f32_e32 v5, v5, v6
	v_mul_f32_e32 v6, v41, v186
	v_fma_f32 v6, v40, v187, -v6
	v_add_f32_e32 v5, v5, v6
	v_mul_f32_e32 v6, v43, v188
	v_fma_f32 v6, v42, v189, -v6
	v_add_f32_e32 v5, v5, v6
	v_mul_f32_e32 v6, v45, v190
	v_fma_f32 v6, v44, v191, -v6
	s_waitcnt vmcnt(21) lgkmcnt(1)
	v_mul_f32_e32 v59, v46, v192
	v_add_f32_e32 v56, v5, v6
	v_mul_f32_e32 v5, v47, v192
	s_waitcnt vmcnt(20)
	v_fmac_f32_e32 v59, v47, v193
	s_waitcnt vmcnt(15)
	v_mov_b32_e32 v18, v55
	s_waitcnt lgkmcnt(0)
	v_pk_mul_f32 v[18:19], v[50:51], v[18:19] op_sel_hi:[1,0]
	v_mul_f32_e32 v61, v48, v194
	v_fma_f32 v58, v46, v193, -v5
	v_mul_f32_e32 v5, v49, v194
	s_waitcnt vmcnt(14)
	v_pk_fma_f32 v[20:21], v[50:51], v[54:55], v[18:19] op_sel:[0,0,1] op_sel_hi:[1,1,0] neg_lo:[0,0,1] neg_hi:[0,0,1]
	v_pk_fma_f32 v[18:19], v[50:51], v[54:55], v[18:19] op_sel:[0,0,1] op_sel_hi:[1,0,0]
	v_fmac_f32_e32 v61, v49, v195
	v_fma_f32 v60, v48, v195, -v5
	ds_read_b128 v[6:9], v4 offset:752
	ds_read_b128 v[10:13], v4 offset:768
	;; [unrolled: 1-line block ×3, first 2 shown]
	v_pk_add_f32 v[4:5], v[56:57], v[58:59]
	s_waitcnt vmcnt(7)
	v_mov_b32_e32 v18, v69
	v_pk_add_f32 v[4:5], v[4:5], v[60:61]
	v_mov_b32_e32 v21, v19
	v_pk_mul_f32 v[18:19], v[52:53], v[18:19] op_sel_hi:[1,0]
	v_pk_add_f32 v[4:5], v[4:5], v[20:21]
	s_waitcnt vmcnt(6)
	v_pk_fma_f32 v[20:21], v[52:53], v[68:69], v[18:19] op_sel:[0,0,1] op_sel_hi:[1,1,0] neg_lo:[0,0,1] neg_hi:[0,0,1]
	v_pk_fma_f32 v[18:19], v[52:53], v[68:69], v[18:19] op_sel:[0,0,1] op_sel_hi:[1,0,0]
	v_mov_b32_e32 v18, v67
	v_mov_b32_e32 v21, v19
	s_waitcnt lgkmcnt(2)
	v_pk_mul_f32 v[18:19], v[6:7], v[18:19] op_sel_hi:[1,0]
	v_pk_add_f32 v[4:5], v[4:5], v[20:21]
	v_pk_fma_f32 v[20:21], v[6:7], v[66:67], v[18:19] op_sel:[0,0,1] op_sel_hi:[1,1,0] neg_lo:[0,0,1] neg_hi:[0,0,1]
	v_pk_fma_f32 v[6:7], v[6:7], v[66:67], v[18:19] op_sel:[0,0,1] op_sel_hi:[1,0,0]
	v_mov_b32_e32 v6, v65
	v_mov_b32_e32 v21, v7
	v_pk_mul_f32 v[6:7], v[8:9], v[6:7] op_sel_hi:[1,0]
	v_pk_fma_f32 v[18:19], v[8:9], v[64:65], v[6:7] op_sel:[0,0,1] op_sel_hi:[1,1,0] neg_lo:[0,0,1] neg_hi:[0,0,1]
	v_pk_fma_f32 v[6:7], v[8:9], v[64:65], v[6:7] op_sel:[0,0,1] op_sel_hi:[1,0,0]
	v_mov_b32_e32 v6, v63
	v_mov_b32_e32 v19, v7
	s_waitcnt lgkmcnt(1)
	v_pk_mul_f32 v[6:7], v[10:11], v[6:7] op_sel_hi:[1,0]
	v_pk_fma_f32 v[8:9], v[10:11], v[62:63], v[6:7] op_sel:[0,0,1] op_sel_hi:[1,1,0] neg_lo:[0,0,1] neg_hi:[0,0,1]
	v_pk_fma_f32 v[6:7], v[10:11], v[62:63], v[6:7] op_sel:[0,0,1] op_sel_hi:[1,0,0]
	v_pk_add_f32 v[4:5], v[4:5], v[20:21]
	s_waitcnt vmcnt(1)
	v_mov_b32_e32 v6, v75
	v_pk_add_f32 v[4:5], v[4:5], v[18:19]
	v_mov_b32_e32 v9, v7
	v_pk_mul_f32 v[6:7], v[12:13], v[6:7] op_sel_hi:[1,0]
	v_pk_add_f32 v[4:5], v[4:5], v[8:9]
	s_waitcnt vmcnt(0)
	v_pk_fma_f32 v[8:9], v[12:13], v[74:75], v[6:7] op_sel:[0,0,1] op_sel_hi:[1,1,0] neg_lo:[0,0,1] neg_hi:[0,0,1]
	v_pk_fma_f32 v[6:7], v[12:13], v[74:75], v[6:7] op_sel:[0,0,1] op_sel_hi:[1,0,0]
	v_mov_b32_e32 v6, v73
	v_mov_b32_e32 v9, v7
	s_waitcnt lgkmcnt(0)
	v_pk_mul_f32 v[6:7], v[14:15], v[6:7] op_sel_hi:[1,0]
	v_pk_add_f32 v[4:5], v[4:5], v[8:9]
	v_pk_fma_f32 v[8:9], v[14:15], v[72:73], v[6:7] op_sel:[0,0,1] op_sel_hi:[1,1,0] neg_lo:[0,0,1] neg_hi:[0,0,1]
	v_pk_fma_f32 v[6:7], v[14:15], v[72:73], v[6:7] op_sel:[0,0,1] op_sel_hi:[1,0,0]
	v_mov_b32_e32 v6, v71
	v_mov_b32_e32 v9, v7
	v_pk_mul_f32 v[6:7], v[16:17], v[6:7] op_sel_hi:[1,0]
	v_pk_add_f32 v[4:5], v[4:5], v[8:9]
	v_pk_fma_f32 v[8:9], v[16:17], v[70:71], v[6:7] op_sel:[0,0,1] op_sel_hi:[1,1,0] neg_lo:[0,0,1] neg_hi:[0,0,1]
	v_pk_fma_f32 v[6:7], v[16:17], v[70:71], v[6:7] op_sel:[0,0,1] op_sel_hi:[1,0,0]
	v_mov_b32_e32 v9, v7
	v_pk_add_f32 v[4:5], v[4:5], v[8:9]
	v_pk_add_f32 v[2:3], v[2:3], v[4:5] neg_lo:[0,1] neg_hi:[0,1]
	buffer_store_dword v3, off, s[0:3], 0 offset:156
	buffer_store_dword v2, off, s[0:3], 0 offset:152
	s_and_saveexec_b64 s[4:5], vcc
	s_cbranch_execz .LBB113_277
; %bb.276:
	buffer_load_dword v2, off, s[0:3], 0 offset:144
	buffer_load_dword v3, off, s[0:3], 0 offset:148
	v_mov_b32_e32 v4, 0
	buffer_store_dword v4, off, s[0:3], 0 offset:144
	buffer_store_dword v4, off, s[0:3], 0 offset:148
	s_waitcnt vmcnt(2)
	ds_write_b64 v111, v[2:3]
.LBB113_277:
	s_or_b64 exec, exec, s[4:5]
	s_waitcnt lgkmcnt(0)
	; wave barrier
	s_waitcnt lgkmcnt(0)
	buffer_load_dword v5, off, s[0:3], 0 offset:156
	buffer_load_dword v54, off, s[0:3], 0 offset:164
	;; [unrolled: 1-line block ×48, first 2 shown]
	v_mov_b32_e32 v4, 0
	ds_read2_b64 v[6:9], v4 offset0:69 offset1:70
	ds_read2_b64 v[10:13], v4 offset0:71 offset1:72
	;; [unrolled: 1-line block ×6, first 2 shown]
	v_cmp_lt_u32_e32 vcc, 17, v0
	s_waitcnt vmcnt(47) lgkmcnt(5)
	v_mul_f32_e32 v30, v6, v5
	s_waitcnt vmcnt(46)
	v_mul_f32_e32 v31, v8, v54
	s_waitcnt vmcnt(45) lgkmcnt(4)
	v_mul_f32_e32 v32, v10, v56
	s_waitcnt vmcnt(44)
	v_mul_f32_e32 v33, v12, v58
	;; [unrolled: 4-line block ×6, first 2 shown]
	s_waitcnt vmcnt(35)
	v_fmac_f32_e32 v30, v7, v84
	s_waitcnt vmcnt(34)
	v_fmac_f32_e32 v31, v9, v85
	v_add_f32_e32 v30, 0, v30
	s_waitcnt vmcnt(33)
	v_fmac_f32_e32 v32, v11, v86
	v_add_f32_e32 v30, v30, v31
	s_waitcnt vmcnt(32)
	v_fmac_f32_e32 v33, v13, v87
	v_add_f32_e32 v30, v30, v32
	s_waitcnt vmcnt(31)
	v_fmac_f32_e32 v34, v15, v88
	v_add_f32_e32 v30, v30, v33
	s_waitcnt vmcnt(30)
	v_fmac_f32_e32 v35, v17, v89
	v_add_f32_e32 v30, v30, v34
	s_waitcnt vmcnt(29)
	v_fmac_f32_e32 v36, v19, v90
	v_add_f32_e32 v30, v30, v35
	s_waitcnt vmcnt(28)
	v_fmac_f32_e32 v37, v21, v91
	v_add_f32_e32 v30, v30, v36
	s_waitcnt vmcnt(27)
	v_fmac_f32_e32 v38, v23, v92
	v_add_f32_e32 v30, v30, v37
	v_add_f32_e32 v34, v30, v38
	ds_read2_b64 v[30:33], v4 offset0:81 offset1:82
	s_waitcnt vmcnt(26)
	v_fmac_f32_e32 v39, v25, v93
	s_waitcnt vmcnt(25)
	v_fmac_f32_e32 v40, v27, v94
	v_add_f32_e32 v34, v34, v39
	s_waitcnt vmcnt(24)
	v_fmac_f32_e32 v41, v29, v95
	v_add_f32_e32 v34, v34, v40
	v_add_f32_e32 v38, v34, v41
	ds_read2_b64 v[34:37], v4 offset0:83 offset1:84
	s_waitcnt vmcnt(23) lgkmcnt(1)
	v_mul_f32_e32 v39, v30, v96
	s_waitcnt vmcnt(22)
	v_fmac_f32_e32 v39, v31, v97
	v_add_f32_e32 v38, v38, v39
	s_waitcnt vmcnt(21)
	v_mul_f32_e32 v39, v32, v98
	s_waitcnt vmcnt(20)
	v_fmac_f32_e32 v39, v33, v99
	v_add_f32_e32 v38, v38, v39
	s_waitcnt vmcnt(19) lgkmcnt(0)
	v_mul_f32_e32 v39, v34, v100
	s_waitcnt vmcnt(18)
	v_fmac_f32_e32 v39, v35, v101
	v_add_f32_e32 v42, v38, v39
	ds_read2_b64 v[38:41], v4 offset0:85 offset1:86
	s_waitcnt vmcnt(17)
	v_mul_f32_e32 v43, v36, v102
	s_waitcnt vmcnt(16)
	v_fmac_f32_e32 v43, v37, v103
	v_add_f32_e32 v46, v42, v43
	ds_read2_b64 v[42:45], v4 offset0:87 offset1:88
	s_waitcnt vmcnt(15) lgkmcnt(1)
	v_mul_f32_e32 v47, v38, v184
	s_waitcnt vmcnt(14)
	v_fmac_f32_e32 v47, v39, v185
	v_add_f32_e32 v46, v46, v47
	s_waitcnt vmcnt(13)
	v_mul_f32_e32 v47, v40, v186
	s_waitcnt vmcnt(12)
	v_fmac_f32_e32 v47, v41, v187
	v_add_f32_e32 v46, v46, v47
	s_waitcnt vmcnt(11) lgkmcnt(0)
	v_mul_f32_e32 v47, v42, v188
	s_waitcnt vmcnt(10)
	v_fmac_f32_e32 v47, v43, v189
	s_waitcnt vmcnt(9)
	v_mul_f32_e32 v51, v44, v190
	v_add_f32_e32 v50, v46, v47
	s_waitcnt vmcnt(8)
	v_fmac_f32_e32 v51, v45, v191
	ds_read2_b64 v[46:49], v4 offset0:89 offset1:90
	v_add_f32_e32 v55, v50, v51
	ds_read2_b64 v[50:53], v4 offset0:91 offset1:92
	buffer_load_dword v61, off, s[0:3], 0 offset:364
	buffer_load_dword v60, off, s[0:3], 0 offset:360
	;; [unrolled: 1-line block ×16, first 2 shown]
	v_mul_f32_e32 v5, v7, v5
	v_fma_f32 v5, v6, v84, -v5
	v_mul_f32_e32 v6, v9, v54
	v_add_f32_e32 v5, 0, v5
	v_fma_f32 v6, v8, v85, -v6
	v_add_f32_e32 v5, v5, v6
	v_mul_f32_e32 v6, v11, v56
	v_fma_f32 v6, v10, v86, -v6
	v_add_f32_e32 v5, v5, v6
	v_mul_f32_e32 v6, v13, v58
	;; [unrolled: 3-line block ×18, first 2 shown]
	v_fma_f32 v6, v44, v191, -v6
	s_waitcnt vmcnt(22) lgkmcnt(1)
	v_mul_f32_e32 v57, v46, v193
	v_add_f32_e32 v5, v5, v6
	v_mul_f32_e32 v6, v47, v193
	v_fmac_f32_e32 v57, v47, v192
	v_fma_f32 v6, v46, v192, -v6
	v_add_f32_e32 v55, v55, v57
	s_waitcnt vmcnt(19)
	v_mul_f32_e32 v57, v48, v194
	v_add_f32_e32 v54, v5, v6
	v_mul_f32_e32 v5, v49, v194
	s_waitcnt vmcnt(18)
	v_fmac_f32_e32 v57, v49, v195
	s_waitcnt vmcnt(17) lgkmcnt(0)
	v_mul_f32_e32 v59, v50, v196
	s_waitcnt vmcnt(9)
	v_mov_b32_e32 v22, v67
	v_pk_mul_f32 v[22:23], v[52:53], v[22:23] op_sel_hi:[1,0]
	v_fma_f32 v56, v48, v195, -v5
	v_mul_f32_e32 v5, v51, v196
	ds_read2_b64 v[6:9], v4 offset0:93 offset1:94
	ds_read2_b64 v[10:13], v4 offset0:95 offset1:96
	;; [unrolled: 1-line block ×3, first 2 shown]
	ds_read_b64 v[18:19], v4 offset:792
	s_waitcnt vmcnt(8)
	v_pk_fma_f32 v[24:25], v[52:53], v[66:67], v[22:23] op_sel:[0,0,1] op_sel_hi:[1,1,0] neg_lo:[0,0,1] neg_hi:[0,0,1]
	v_pk_fma_f32 v[22:23], v[52:53], v[66:67], v[22:23] op_sel:[0,0,1] op_sel_hi:[1,0,0]
	v_fmac_f32_e32 v59, v51, v197
	v_fma_f32 v58, v50, v197, -v5
	v_pk_add_f32 v[20:21], v[54:55], v[56:57]
	v_mov_b32_e32 v22, v65
	v_pk_add_f32 v[20:21], v[20:21], v[58:59]
	v_mov_b32_e32 v25, v23
	s_waitcnt lgkmcnt(3)
	v_pk_mul_f32 v[22:23], v[6:7], v[22:23] op_sel_hi:[1,0]
	v_pk_add_f32 v[20:21], v[20:21], v[24:25]
	v_pk_fma_f32 v[24:25], v[6:7], v[64:65], v[22:23] op_sel:[0,0,1] op_sel_hi:[1,1,0] neg_lo:[0,0,1] neg_hi:[0,0,1]
	v_pk_fma_f32 v[6:7], v[6:7], v[64:65], v[22:23] op_sel:[0,0,1] op_sel_hi:[1,0,0]
	v_mov_b32_e32 v25, v7
	v_pk_add_f32 v[6:7], v[20:21], v[24:25]
	v_mov_b32_e32 v20, v63
	v_pk_mul_f32 v[20:21], v[8:9], v[20:21] op_sel_hi:[1,0]
	v_pk_fma_f32 v[22:23], v[8:9], v[62:63], v[20:21] op_sel:[0,0,1] op_sel_hi:[1,1,0] neg_lo:[0,0,1] neg_hi:[0,0,1]
	v_pk_fma_f32 v[8:9], v[8:9], v[62:63], v[20:21] op_sel:[0,0,1] op_sel_hi:[1,0,0]
	v_mov_b32_e32 v8, v61
	v_mov_b32_e32 v23, v9
	s_waitcnt lgkmcnt(2)
	v_pk_mul_f32 v[8:9], v[10:11], v[8:9] op_sel_hi:[1,0]
	v_pk_fma_f32 v[20:21], v[10:11], v[60:61], v[8:9] op_sel:[0,0,1] op_sel_hi:[1,1,0] neg_lo:[0,0,1] neg_hi:[0,0,1]
	v_pk_fma_f32 v[8:9], v[10:11], v[60:61], v[8:9] op_sel:[0,0,1] op_sel_hi:[1,0,0]
	s_waitcnt vmcnt(1)
	v_mov_b32_e32 v8, v75
	v_mov_b32_e32 v21, v9
	v_pk_mul_f32 v[8:9], v[12:13], v[8:9] op_sel_hi:[1,0]
	s_waitcnt vmcnt(0)
	v_pk_fma_f32 v[10:11], v[12:13], v[74:75], v[8:9] op_sel:[0,0,1] op_sel_hi:[1,1,0] neg_lo:[0,0,1] neg_hi:[0,0,1]
	v_pk_fma_f32 v[8:9], v[12:13], v[74:75], v[8:9] op_sel:[0,0,1] op_sel_hi:[1,0,0]
	v_pk_add_f32 v[6:7], v[6:7], v[22:23]
	v_mov_b32_e32 v8, v73
	v_pk_add_f32 v[6:7], v[6:7], v[20:21]
	v_mov_b32_e32 v11, v9
	s_waitcnt lgkmcnt(1)
	v_pk_mul_f32 v[8:9], v[14:15], v[8:9] op_sel_hi:[1,0]
	v_pk_add_f32 v[6:7], v[6:7], v[10:11]
	v_pk_fma_f32 v[10:11], v[14:15], v[72:73], v[8:9] op_sel:[0,0,1] op_sel_hi:[1,1,0] neg_lo:[0,0,1] neg_hi:[0,0,1]
	v_pk_fma_f32 v[8:9], v[14:15], v[72:73], v[8:9] op_sel:[0,0,1] op_sel_hi:[1,0,0]
	v_mov_b32_e32 v8, v71
	v_mov_b32_e32 v11, v9
	v_pk_mul_f32 v[8:9], v[16:17], v[8:9] op_sel_hi:[1,0]
	v_pk_add_f32 v[6:7], v[6:7], v[10:11]
	v_pk_fma_f32 v[10:11], v[16:17], v[70:71], v[8:9] op_sel:[0,0,1] op_sel_hi:[1,1,0] neg_lo:[0,0,1] neg_hi:[0,0,1]
	v_pk_fma_f32 v[8:9], v[16:17], v[70:71], v[8:9] op_sel:[0,0,1] op_sel_hi:[1,0,0]
	v_mov_b32_e32 v8, v69
	v_mov_b32_e32 v11, v9
	s_waitcnt lgkmcnt(0)
	v_pk_mul_f32 v[8:9], v[18:19], v[8:9] op_sel_hi:[1,0]
	v_pk_add_f32 v[6:7], v[6:7], v[10:11]
	v_pk_fma_f32 v[10:11], v[18:19], v[68:69], v[8:9] op_sel:[0,0,1] op_sel_hi:[1,1,0] neg_lo:[0,0,1] neg_hi:[0,0,1]
	v_pk_fma_f32 v[8:9], v[18:19], v[68:69], v[8:9] op_sel:[0,0,1] op_sel_hi:[1,0,0]
	v_mov_b32_e32 v11, v9
	v_pk_add_f32 v[6:7], v[6:7], v[10:11]
	v_pk_add_f32 v[2:3], v[2:3], v[6:7] neg_lo:[0,1] neg_hi:[0,1]
	buffer_store_dword v3, off, s[0:3], 0 offset:148
	buffer_store_dword v2, off, s[0:3], 0 offset:144
	s_and_saveexec_b64 s[4:5], vcc
	s_cbranch_execz .LBB113_279
; %bb.278:
	buffer_load_dword v2, off, s[0:3], 0 offset:136
	buffer_load_dword v3, off, s[0:3], 0 offset:140
	s_waitcnt vmcnt(0)
	ds_write_b64 v111, v[2:3]
	buffer_store_dword v4, off, s[0:3], 0 offset:136
	buffer_store_dword v4, off, s[0:3], 0 offset:140
.LBB113_279:
	s_or_b64 exec, exec, s[4:5]
	s_waitcnt lgkmcnt(0)
	; wave barrier
	s_waitcnt lgkmcnt(0)
	buffer_load_dword v5, off, s[0:3], 0 offset:148
	buffer_load_dword v54, off, s[0:3], 0 offset:156
	;; [unrolled: 1-line block ×48, first 2 shown]
	ds_read_b128 v[6:9], v4 offset:544
	ds_read_b128 v[10:13], v4 offset:560
	ds_read_b128 v[14:17], v4 offset:576
	ds_read_b128 v[18:21], v4 offset:592
	ds_read_b128 v[22:25], v4 offset:608
	ds_read_b128 v[26:29], v4 offset:624
	buffer_load_dword v198, off, s[0:3], 0 offset:328
	buffer_load_dword v199, off, s[0:3], 0 offset:332
	v_cmp_lt_u32_e32 vcc, 16, v0
	s_waitcnt vmcnt(49) lgkmcnt(5)
	v_mul_f32_e32 v30, v6, v5
	s_waitcnt vmcnt(48)
	v_mul_f32_e32 v31, v8, v54
	s_waitcnt vmcnt(47) lgkmcnt(4)
	v_mul_f32_e32 v32, v10, v56
	s_waitcnt vmcnt(46)
	v_mul_f32_e32 v33, v12, v64
	;; [unrolled: 4-line block ×6, first 2 shown]
	s_waitcnt vmcnt(37)
	v_fmac_f32_e32 v30, v7, v84
	s_waitcnt vmcnt(36)
	v_fmac_f32_e32 v31, v9, v85
	v_add_f32_e32 v30, 0, v30
	s_waitcnt vmcnt(35)
	v_fmac_f32_e32 v32, v11, v86
	v_add_f32_e32 v30, v30, v31
	;; [unrolled: 3-line block ×9, first 2 shown]
	v_add_f32_e32 v34, v30, v39
	ds_read_b128 v[30:33], v4 offset:640
	s_waitcnt vmcnt(27)
	v_fmac_f32_e32 v40, v27, v94
	v_add_f32_e32 v34, v34, v40
	s_waitcnt vmcnt(26)
	v_fmac_f32_e32 v41, v29, v95
	v_add_f32_e32 v38, v34, v41
	ds_read_b128 v[34:37], v4 offset:656
	s_waitcnt vmcnt(25) lgkmcnt(1)
	v_mul_f32_e32 v39, v30, v96
	s_waitcnt vmcnt(24)
	v_fmac_f32_e32 v39, v31, v97
	v_add_f32_e32 v38, v38, v39
	s_waitcnt vmcnt(23)
	v_mul_f32_e32 v39, v32, v98
	s_waitcnt vmcnt(22)
	v_fmac_f32_e32 v39, v33, v99
	v_add_f32_e32 v38, v38, v39
	s_waitcnt vmcnt(21) lgkmcnt(0)
	v_mul_f32_e32 v39, v34, v100
	s_waitcnt vmcnt(20)
	v_fmac_f32_e32 v39, v35, v101
	v_add_f32_e32 v42, v38, v39
	ds_read_b128 v[38:41], v4 offset:672
	s_waitcnt vmcnt(19)
	v_mul_f32_e32 v43, v36, v102
	s_waitcnt vmcnt(18)
	v_fmac_f32_e32 v43, v37, v103
	v_add_f32_e32 v46, v42, v43
	ds_read_b128 v[42:45], v4 offset:688
	s_waitcnt vmcnt(17) lgkmcnt(1)
	v_mul_f32_e32 v47, v38, v184
	s_waitcnt vmcnt(16)
	v_fmac_f32_e32 v47, v39, v185
	v_add_f32_e32 v46, v46, v47
	s_waitcnt vmcnt(15)
	v_mul_f32_e32 v47, v40, v186
	s_waitcnt vmcnt(14)
	v_fmac_f32_e32 v47, v41, v187
	v_add_f32_e32 v46, v46, v47
	s_waitcnt vmcnt(13) lgkmcnt(0)
	v_mul_f32_e32 v47, v42, v188
	s_waitcnt vmcnt(12)
	v_fmac_f32_e32 v47, v43, v189
	s_waitcnt vmcnt(11)
	v_mul_f32_e32 v51, v44, v190
	v_add_f32_e32 v50, v46, v47
	s_waitcnt vmcnt(10)
	v_fmac_f32_e32 v51, v45, v191
	ds_read_b128 v[46:49], v4 offset:704
	v_add_f32_e32 v55, v50, v51
	ds_read_b128 v[50:53], v4 offset:720
	buffer_load_dword v59, off, s[0:3], 0 offset:356
	buffer_load_dword v58, off, s[0:3], 0 offset:352
	;; [unrolled: 1-line block ×16, first 2 shown]
	v_mul_f32_e32 v5, v7, v5
	v_fma_f32 v5, v6, v84, -v5
	v_mul_f32_e32 v6, v9, v54
	v_add_f32_e32 v5, 0, v5
	v_fma_f32 v6, v8, v85, -v6
	v_add_f32_e32 v5, v5, v6
	v_mul_f32_e32 v6, v11, v56
	v_fma_f32 v6, v10, v86, -v6
	v_add_f32_e32 v5, v5, v6
	v_mul_f32_e32 v6, v13, v64
	v_fma_f32 v6, v12, v87, -v6
	v_add_f32_e32 v5, v5, v6
	v_mul_f32_e32 v6, v15, v76
	v_fma_f32 v6, v14, v88, -v6
	v_add_f32_e32 v5, v5, v6
	v_mul_f32_e32 v6, v17, v77
	v_fma_f32 v6, v16, v89, -v6
	v_add_f32_e32 v5, v5, v6
	v_mul_f32_e32 v6, v19, v78
	v_fma_f32 v6, v18, v90, -v6
	v_add_f32_e32 v5, v5, v6
	v_mul_f32_e32 v6, v21, v79
	v_fma_f32 v6, v20, v91, -v6
	v_add_f32_e32 v5, v5, v6
	v_mul_f32_e32 v6, v23, v80
	v_fma_f32 v6, v22, v92, -v6
	v_add_f32_e32 v5, v5, v6
	v_mul_f32_e32 v6, v25, v81
	v_fma_f32 v6, v24, v93, -v6
	v_add_f32_e32 v5, v5, v6
	v_mul_f32_e32 v6, v27, v82
	v_fma_f32 v6, v26, v94, -v6
	v_add_f32_e32 v5, v5, v6
	v_mul_f32_e32 v6, v29, v83
	v_fma_f32 v6, v28, v95, -v6
	v_add_f32_e32 v5, v5, v6
	v_mul_f32_e32 v6, v31, v96
	v_fma_f32 v6, v30, v97, -v6
	v_add_f32_e32 v5, v5, v6
	v_mul_f32_e32 v6, v33, v98
	v_fma_f32 v6, v32, v99, -v6
	v_add_f32_e32 v5, v5, v6
	v_mul_f32_e32 v6, v35, v100
	v_fma_f32 v6, v34, v101, -v6
	v_add_f32_e32 v5, v5, v6
	v_mul_f32_e32 v6, v37, v102
	v_fma_f32 v6, v36, v103, -v6
	v_add_f32_e32 v5, v5, v6
	v_mul_f32_e32 v6, v39, v184
	v_fma_f32 v6, v38, v185, -v6
	v_add_f32_e32 v5, v5, v6
	v_mul_f32_e32 v6, v41, v186
	v_fma_f32 v6, v40, v187, -v6
	v_add_f32_e32 v5, v5, v6
	v_mul_f32_e32 v6, v43, v188
	v_fma_f32 v6, v42, v189, -v6
	v_add_f32_e32 v5, v5, v6
	v_mul_f32_e32 v6, v45, v190
	v_fma_f32 v6, v44, v191, -v6
	v_add_f32_e32 v5, v5, v6
	s_waitcnt vmcnt(23) lgkmcnt(1)
	v_mul_f32_e32 v6, v47, v192
	s_waitcnt vmcnt(22)
	v_fma_f32 v6, v46, v193, -v6
	v_add_f32_e32 v5, v5, v6
	s_waitcnt vmcnt(20)
	v_mul_f32_e32 v6, v49, v195
	v_fma_f32 v6, v48, v194, -v6
	v_add_f32_e32 v54, v5, v6
	ds_read_b128 v[6:9], v4 offset:736
	ds_read_b128 v[10:13], v4 offset:752
	;; [unrolled: 1-line block ×4, first 2 shown]
	v_mul_f32_e32 v57, v46, v192
	v_fmac_f32_e32 v57, v47, v193
	v_add_f32_e32 v55, v55, v57
	v_mul_f32_e32 v57, v48, v195
	v_fmac_f32_e32 v57, v49, v194
	v_add_f32_e32 v55, v55, v57
	s_waitcnt vmcnt(18) lgkmcnt(4)
	v_mul_f32_e32 v57, v50, v197
	v_mul_f32_e32 v5, v51, v197
	v_fmac_f32_e32 v57, v51, v196
	s_waitcnt vmcnt(16)
	v_mul_f32_e32 v65, v52, v199
	s_waitcnt vmcnt(11)
	v_mov_b32_e32 v22, v63
	s_waitcnt lgkmcnt(3)
	v_pk_mul_f32 v[22:23], v[6:7], v[22:23] op_sel_hi:[1,0]
	s_waitcnt vmcnt(10)
	v_pk_fma_f32 v[24:25], v[6:7], v[62:63], v[22:23] op_sel:[0,0,1] op_sel_hi:[1,1,0] neg_lo:[0,0,1] neg_hi:[0,0,1]
	v_pk_fma_f32 v[6:7], v[6:7], v[62:63], v[22:23] op_sel:[0,0,1] op_sel_hi:[1,0,0]
	v_mov_b32_e32 v6, v61
	v_mov_b32_e32 v25, v7
	v_pk_mul_f32 v[6:7], v[8:9], v[6:7] op_sel_hi:[1,0]
	v_pk_fma_f32 v[22:23], v[8:9], v[60:61], v[6:7] op_sel:[0,0,1] op_sel_hi:[1,1,0] neg_lo:[0,0,1] neg_hi:[0,0,1]
	v_pk_fma_f32 v[6:7], v[8:9], v[60:61], v[6:7] op_sel:[0,0,1] op_sel_hi:[1,0,0]
	v_fma_f32 v56, v50, v196, -v5
	v_mul_f32_e32 v5, v53, v199
	v_mov_b32_e32 v6, v59
	v_fmac_f32_e32 v65, v53, v198
	v_fma_f32 v64, v52, v198, -v5
	v_pk_add_f32 v[4:5], v[54:55], v[56:57]
	v_mov_b32_e32 v23, v7
	s_waitcnt lgkmcnt(2)
	v_pk_mul_f32 v[6:7], v[10:11], v[6:7] op_sel_hi:[1,0]
	v_pk_add_f32 v[4:5], v[4:5], v[64:65]
	v_pk_fma_f32 v[8:9], v[10:11], v[58:59], v[6:7] op_sel:[0,0,1] op_sel_hi:[1,1,0] neg_lo:[0,0,1] neg_hi:[0,0,1]
	v_pk_fma_f32 v[6:7], v[10:11], v[58:59], v[6:7] op_sel:[0,0,1] op_sel_hi:[1,0,0]
	v_pk_add_f32 v[4:5], v[4:5], v[24:25]
	s_waitcnt vmcnt(3)
	v_mov_b32_e32 v6, v73
	v_pk_add_f32 v[4:5], v[4:5], v[22:23]
	v_mov_b32_e32 v9, v7
	v_pk_mul_f32 v[6:7], v[12:13], v[6:7] op_sel_hi:[1,0]
	v_pk_add_f32 v[4:5], v[4:5], v[8:9]
	s_waitcnt vmcnt(2)
	v_pk_fma_f32 v[8:9], v[12:13], v[72:73], v[6:7] op_sel:[0,0,1] op_sel_hi:[1,1,0] neg_lo:[0,0,1] neg_hi:[0,0,1]
	v_pk_fma_f32 v[6:7], v[12:13], v[72:73], v[6:7] op_sel:[0,0,1] op_sel_hi:[1,0,0]
	v_mov_b32_e32 v6, v71
	v_mov_b32_e32 v9, v7
	s_waitcnt lgkmcnt(1)
	v_pk_mul_f32 v[6:7], v[14:15], v[6:7] op_sel_hi:[1,0]
	v_pk_add_f32 v[4:5], v[4:5], v[8:9]
	v_pk_fma_f32 v[8:9], v[14:15], v[70:71], v[6:7] op_sel:[0,0,1] op_sel_hi:[1,1,0] neg_lo:[0,0,1] neg_hi:[0,0,1]
	v_pk_fma_f32 v[6:7], v[14:15], v[70:71], v[6:7] op_sel:[0,0,1] op_sel_hi:[1,0,0]
	v_mov_b32_e32 v6, v69
	v_mov_b32_e32 v9, v7
	v_pk_mul_f32 v[6:7], v[16:17], v[6:7] op_sel_hi:[1,0]
	v_pk_add_f32 v[4:5], v[4:5], v[8:9]
	v_pk_fma_f32 v[8:9], v[16:17], v[68:69], v[6:7] op_sel:[0,0,1] op_sel_hi:[1,1,0] neg_lo:[0,0,1] neg_hi:[0,0,1]
	v_pk_fma_f32 v[6:7], v[16:17], v[68:69], v[6:7] op_sel:[0,0,1] op_sel_hi:[1,0,0]
	v_mov_b32_e32 v6, v67
	v_mov_b32_e32 v9, v7
	s_waitcnt lgkmcnt(0)
	v_pk_mul_f32 v[6:7], v[18:19], v[6:7] op_sel_hi:[1,0]
	v_pk_add_f32 v[4:5], v[4:5], v[8:9]
	v_pk_fma_f32 v[8:9], v[18:19], v[66:67], v[6:7] op_sel:[0,0,1] op_sel_hi:[1,1,0] neg_lo:[0,0,1] neg_hi:[0,0,1]
	v_pk_fma_f32 v[6:7], v[18:19], v[66:67], v[6:7] op_sel:[0,0,1] op_sel_hi:[1,0,0]
	s_waitcnt vmcnt(1)
	v_mov_b32_e32 v6, v75
	v_mov_b32_e32 v9, v7
	v_pk_mul_f32 v[6:7], v[20:21], v[6:7] op_sel_hi:[1,0]
	v_pk_add_f32 v[4:5], v[4:5], v[8:9]
	s_waitcnt vmcnt(0)
	v_pk_fma_f32 v[8:9], v[20:21], v[74:75], v[6:7] op_sel:[0,0,1] op_sel_hi:[1,1,0] neg_lo:[0,0,1] neg_hi:[0,0,1]
	v_pk_fma_f32 v[6:7], v[20:21], v[74:75], v[6:7] op_sel:[0,0,1] op_sel_hi:[1,0,0]
	v_mov_b32_e32 v9, v7
	v_pk_add_f32 v[4:5], v[4:5], v[8:9]
	v_pk_add_f32 v[2:3], v[2:3], v[4:5] neg_lo:[0,1] neg_hi:[0,1]
	buffer_store_dword v3, off, s[0:3], 0 offset:140
	buffer_store_dword v2, off, s[0:3], 0 offset:136
	s_and_saveexec_b64 s[4:5], vcc
	s_cbranch_execz .LBB113_281
; %bb.280:
	buffer_load_dword v2, off, s[0:3], 0 offset:128
	buffer_load_dword v3, off, s[0:3], 0 offset:132
	v_mov_b32_e32 v4, 0
	buffer_store_dword v4, off, s[0:3], 0 offset:128
	buffer_store_dword v4, off, s[0:3], 0 offset:132
	s_waitcnt vmcnt(2)
	ds_write_b64 v111, v[2:3]
.LBB113_281:
	s_or_b64 exec, exec, s[4:5]
	s_waitcnt lgkmcnt(0)
	; wave barrier
	s_waitcnt lgkmcnt(0)
	buffer_load_dword v5, off, s[0:3], 0 offset:140
	buffer_load_dword v62, off, s[0:3], 0 offset:148
	;; [unrolled: 1-line block ×52, first 2 shown]
	v_mov_b32_e32 v4, 0
	ds_read2_b64 v[6:9], v4 offset0:67 offset1:68
	ds_read2_b64 v[10:13], v4 offset0:69 offset1:70
	;; [unrolled: 1-line block ×6, first 2 shown]
	v_cmp_lt_u32_e32 vcc, 15, v0
	s_waitcnt vmcnt(51) lgkmcnt(5)
	v_mul_f32_e32 v30, v6, v5
	s_waitcnt vmcnt(50)
	v_mul_f32_e32 v31, v8, v62
	s_waitcnt vmcnt(49) lgkmcnt(4)
	v_mul_f32_e32 v32, v10, v68
	s_waitcnt vmcnt(48)
	v_mul_f32_e32 v33, v12, v70
	;; [unrolled: 4-line block ×5, first 2 shown]
	s_waitcnt vmcnt(41) lgkmcnt(0)
	v_mul_f32_e32 v40, v26, v90
	s_waitcnt vmcnt(40)
	v_fmac_f32_e32 v30, v7, v91
	s_waitcnt vmcnt(39)
	v_fmac_f32_e32 v31, v9, v92
	v_add_f32_e32 v30, 0, v30
	s_waitcnt vmcnt(38)
	v_fmac_f32_e32 v32, v11, v93
	v_add_f32_e32 v30, v30, v31
	;; [unrolled: 3-line block ×9, first 2 shown]
	v_add_f32_e32 v30, v30, v39
	s_waitcnt vmcnt(30)
	v_fmac_f32_e32 v40, v27, v101
	v_add_f32_e32 v34, v30, v40
	ds_read2_b64 v[30:33], v4 offset0:79 offset1:80
	s_waitcnt vmcnt(29)
	v_mul_f32_e32 v35, v28, v102
	s_waitcnt vmcnt(28)
	v_fmac_f32_e32 v35, v29, v103
	v_add_f32_e32 v38, v34, v35
	ds_read2_b64 v[34:37], v4 offset0:81 offset1:82
	s_waitcnt vmcnt(27) lgkmcnt(1)
	v_mul_f32_e32 v39, v30, v184
	s_waitcnt vmcnt(26)
	v_fmac_f32_e32 v39, v31, v185
	v_add_f32_e32 v38, v38, v39
	s_waitcnt vmcnt(25)
	v_mul_f32_e32 v39, v32, v186
	s_waitcnt vmcnt(24)
	v_fmac_f32_e32 v39, v33, v187
	v_add_f32_e32 v38, v38, v39
	s_waitcnt vmcnt(23) lgkmcnt(0)
	v_mul_f32_e32 v39, v34, v188
	s_waitcnt vmcnt(22)
	v_fmac_f32_e32 v39, v35, v189
	v_add_f32_e32 v42, v38, v39
	ds_read2_b64 v[38:41], v4 offset0:83 offset1:84
	s_waitcnt vmcnt(21)
	v_mul_f32_e32 v43, v36, v190
	s_waitcnt vmcnt(20)
	v_fmac_f32_e32 v43, v37, v191
	v_add_f32_e32 v46, v42, v43
	ds_read2_b64 v[42:45], v4 offset0:85 offset1:86
	s_waitcnt vmcnt(19) lgkmcnt(1)
	v_mul_f32_e32 v47, v38, v192
	s_waitcnt vmcnt(18)
	v_fmac_f32_e32 v47, v39, v193
	v_add_f32_e32 v46, v46, v47
	s_waitcnt vmcnt(17)
	v_mul_f32_e32 v47, v40, v194
	s_waitcnt vmcnt(16)
	v_fmac_f32_e32 v47, v41, v195
	v_add_f32_e32 v46, v46, v47
	s_waitcnt vmcnt(14) lgkmcnt(0)
	v_mul_f32_e32 v47, v42, v197
	v_fmac_f32_e32 v47, v43, v196
	v_add_f32_e32 v50, v46, v47
	ds_read2_b64 v[46:49], v4 offset0:87 offset1:88
	s_waitcnt vmcnt(10)
	v_mul_f32_e32 v51, v44, v199
	v_fmac_f32_e32 v51, v45, v198
	v_add_f32_e32 v54, v50, v51
	ds_read2_b64 v[50:53], v4 offset0:89 offset1:90
	s_waitcnt vmcnt(8) lgkmcnt(1)
	v_mul_f32_e32 v55, v46, v201
	v_fmac_f32_e32 v55, v47, v200
	v_add_f32_e32 v54, v54, v55
	s_waitcnt vmcnt(6)
	v_mul_f32_e32 v55, v48, v203
	v_fmac_f32_e32 v55, v49, v202
	v_add_f32_e32 v54, v54, v55
	s_waitcnt vmcnt(4) lgkmcnt(0)
	v_mul_f32_e32 v55, v50, v205
	v_fmac_f32_e32 v55, v51, v204
	v_add_f32_e32 v63, v54, v55
	ds_read2_b64 v[54:57], v4 offset0:91 offset1:92
	buffer_load_dword v65, off, s[0:3], 0 offset:348
	buffer_load_dword v64, off, s[0:3], 0 offset:344
	;; [unrolled: 1-line block ×4, first 2 shown]
	ds_read2_b64 v[58:61], v4 offset0:93 offset1:94
	buffer_load_dword v73, off, s[0:3], 0 offset:380
	buffer_load_dword v72, off, s[0:3], 0 offset:376
	buffer_load_dword v75, off, s[0:3], 0 offset:372
	buffer_load_dword v74, off, s[0:3], 0 offset:368
	buffer_load_dword v77, off, s[0:3], 0 offset:364
	buffer_load_dword v76, off, s[0:3], 0 offset:360
	buffer_load_dword v79, off, s[0:3], 0 offset:356
	buffer_load_dword v78, off, s[0:3], 0 offset:352
	buffer_load_dword v81, off, s[0:3], 0 offset:396
	buffer_load_dword v80, off, s[0:3], 0 offset:392
	buffer_load_dword v83, off, s[0:3], 0 offset:388
	buffer_load_dword v82, off, s[0:3], 0 offset:384
	v_mul_f32_e32 v5, v7, v5
	v_fma_f32 v5, v6, v91, -v5
	v_mul_f32_e32 v6, v9, v62
	v_add_f32_e32 v5, 0, v5
	v_fma_f32 v6, v8, v92, -v6
	v_add_f32_e32 v5, v5, v6
	v_mul_f32_e32 v6, v11, v68
	v_fma_f32 v6, v10, v93, -v6
	v_add_f32_e32 v5, v5, v6
	v_mul_f32_e32 v6, v13, v70
	v_fma_f32 v6, v12, v94, -v6
	v_add_f32_e32 v5, v5, v6
	v_mul_f32_e32 v6, v15, v84
	v_fma_f32 v6, v14, v95, -v6
	v_add_f32_e32 v5, v5, v6
	v_mul_f32_e32 v6, v17, v85
	v_fma_f32 v6, v16, v96, -v6
	v_add_f32_e32 v5, v5, v6
	v_mul_f32_e32 v6, v19, v86
	v_fma_f32 v6, v18, v97, -v6
	v_add_f32_e32 v5, v5, v6
	v_mul_f32_e32 v6, v21, v87
	v_fma_f32 v6, v20, v98, -v6
	v_add_f32_e32 v5, v5, v6
	v_mul_f32_e32 v6, v23, v88
	v_fma_f32 v6, v22, v99, -v6
	v_add_f32_e32 v5, v5, v6
	v_mul_f32_e32 v6, v25, v89
	v_fma_f32 v6, v24, v100, -v6
	v_add_f32_e32 v5, v5, v6
	v_mul_f32_e32 v6, v27, v90
	v_fma_f32 v6, v26, v101, -v6
	v_add_f32_e32 v5, v5, v6
	v_mul_f32_e32 v6, v29, v102
	v_fma_f32 v6, v28, v103, -v6
	v_add_f32_e32 v5, v5, v6
	v_mul_f32_e32 v6, v31, v184
	v_fma_f32 v6, v30, v185, -v6
	v_add_f32_e32 v5, v5, v6
	v_mul_f32_e32 v6, v33, v186
	v_fma_f32 v6, v32, v187, -v6
	v_add_f32_e32 v5, v5, v6
	v_mul_f32_e32 v6, v35, v188
	v_fma_f32 v6, v34, v189, -v6
	v_add_f32_e32 v5, v5, v6
	v_mul_f32_e32 v6, v37, v190
	v_fma_f32 v6, v36, v191, -v6
	v_add_f32_e32 v5, v5, v6
	v_mul_f32_e32 v6, v39, v192
	v_fma_f32 v6, v38, v193, -v6
	v_add_f32_e32 v5, v5, v6
	v_mul_f32_e32 v6, v41, v194
	v_fma_f32 v6, v40, v195, -v6
	v_add_f32_e32 v5, v5, v6
	v_mul_f32_e32 v6, v43, v197
	v_fma_f32 v6, v42, v196, -v6
	v_add_f32_e32 v5, v5, v6
	v_mul_f32_e32 v6, v45, v199
	v_fma_f32 v6, v44, v198, -v6
	v_add_f32_e32 v5, v5, v6
	v_mul_f32_e32 v6, v47, v201
	v_fma_f32 v6, v46, v200, -v6
	v_add_f32_e32 v5, v5, v6
	v_mul_f32_e32 v6, v49, v203
	v_fma_f32 v6, v48, v202, -v6
	v_add_f32_e32 v5, v5, v6
	v_mul_f32_e32 v6, v51, v205
	v_fma_f32 v6, v50, v204, -v6
	s_waitcnt vmcnt(18)
	v_mul_f32_e32 v69, v52, v207
	v_add_f32_e32 v62, v5, v6
	v_mul_f32_e32 v5, v53, v207
	v_fmac_f32_e32 v69, v53, v206
	s_waitcnt vmcnt(16) lgkmcnt(1)
	v_mul_f32_e32 v71, v54, v209
	v_fma_f32 v68, v52, v206, -v5
	v_mul_f32_e32 v5, v55, v209
	v_fmac_f32_e32 v71, v55, v208
	s_waitcnt vmcnt(13)
	v_mov_b32_e32 v18, v67
	v_pk_mul_f32 v[18:19], v[56:57], v[18:19] op_sel_hi:[1,0]
	s_waitcnt vmcnt(12)
	v_pk_fma_f32 v[20:21], v[56:57], v[66:67], v[18:19] op_sel:[0,0,1] op_sel_hi:[1,1,0] neg_lo:[0,0,1] neg_hi:[0,0,1]
	v_pk_fma_f32 v[18:19], v[56:57], v[66:67], v[18:19] op_sel:[0,0,1] op_sel_hi:[1,0,0]
	v_fma_f32 v70, v54, v208, -v5
	v_pk_add_f32 v[16:17], v[62:63], v[68:69]
	v_mov_b32_e32 v18, v65
	v_pk_add_f32 v[16:17], v[16:17], v[70:71]
	v_mov_b32_e32 v21, v19
	s_waitcnt lgkmcnt(0)
	v_pk_mul_f32 v[18:19], v[58:59], v[18:19] op_sel_hi:[1,0]
	v_pk_add_f32 v[16:17], v[16:17], v[20:21]
	v_pk_fma_f32 v[20:21], v[58:59], v[64:65], v[18:19] op_sel:[0,0,1] op_sel_hi:[1,1,0] neg_lo:[0,0,1] neg_hi:[0,0,1]
	v_pk_fma_f32 v[18:19], v[58:59], v[64:65], v[18:19] op_sel:[0,0,1] op_sel_hi:[1,0,0]
	s_waitcnt vmcnt(5)
	v_mov_b32_e32 v18, v79
	ds_read2_b64 v[6:9], v4 offset0:95 offset1:96
	ds_read2_b64 v[10:13], v4 offset0:97 offset1:98
	ds_read_b64 v[14:15], v4 offset:792
	v_mov_b32_e32 v21, v19
	v_pk_mul_f32 v[18:19], v[60:61], v[18:19] op_sel_hi:[1,0]
	v_pk_add_f32 v[16:17], v[16:17], v[20:21]
	s_waitcnt vmcnt(4)
	v_pk_fma_f32 v[20:21], v[60:61], v[78:79], v[18:19] op_sel:[0,0,1] op_sel_hi:[1,1,0] neg_lo:[0,0,1] neg_hi:[0,0,1]
	v_pk_fma_f32 v[18:19], v[60:61], v[78:79], v[18:19] op_sel:[0,0,1] op_sel_hi:[1,0,0]
	v_mov_b32_e32 v18, v77
	v_mov_b32_e32 v21, v19
	s_waitcnt lgkmcnt(2)
	v_pk_mul_f32 v[18:19], v[6:7], v[18:19] op_sel_hi:[1,0]
	v_pk_add_f32 v[16:17], v[16:17], v[20:21]
	v_pk_fma_f32 v[20:21], v[6:7], v[76:77], v[18:19] op_sel:[0,0,1] op_sel_hi:[1,1,0] neg_lo:[0,0,1] neg_hi:[0,0,1]
	v_pk_fma_f32 v[6:7], v[6:7], v[76:77], v[18:19] op_sel:[0,0,1] op_sel_hi:[1,0,0]
	v_mov_b32_e32 v21, v7
	v_pk_add_f32 v[6:7], v[16:17], v[20:21]
	v_mov_b32_e32 v16, v75
	v_pk_mul_f32 v[16:17], v[8:9], v[16:17] op_sel_hi:[1,0]
	v_pk_fma_f32 v[18:19], v[8:9], v[74:75], v[16:17] op_sel:[0,0,1] op_sel_hi:[1,1,0] neg_lo:[0,0,1] neg_hi:[0,0,1]
	v_pk_fma_f32 v[8:9], v[8:9], v[74:75], v[16:17] op_sel:[0,0,1] op_sel_hi:[1,0,0]
	v_mov_b32_e32 v8, v73
	v_mov_b32_e32 v19, v9
	s_waitcnt lgkmcnt(1)
	v_pk_mul_f32 v[8:9], v[10:11], v[8:9] op_sel_hi:[1,0]
	v_pk_fma_f32 v[16:17], v[10:11], v[72:73], v[8:9] op_sel:[0,0,1] op_sel_hi:[1,1,0] neg_lo:[0,0,1] neg_hi:[0,0,1]
	v_pk_fma_f32 v[8:9], v[10:11], v[72:73], v[8:9] op_sel:[0,0,1] op_sel_hi:[1,0,0]
	s_waitcnt vmcnt(1)
	v_mov_b32_e32 v8, v83
	v_mov_b32_e32 v17, v9
	v_pk_mul_f32 v[8:9], v[12:13], v[8:9] op_sel_hi:[1,0]
	s_waitcnt vmcnt(0)
	v_pk_fma_f32 v[10:11], v[12:13], v[82:83], v[8:9] op_sel:[0,0,1] op_sel_hi:[1,1,0] neg_lo:[0,0,1] neg_hi:[0,0,1]
	v_pk_fma_f32 v[8:9], v[12:13], v[82:83], v[8:9] op_sel:[0,0,1] op_sel_hi:[1,0,0]
	v_pk_add_f32 v[6:7], v[6:7], v[18:19]
	v_mov_b32_e32 v8, v81
	v_pk_add_f32 v[6:7], v[6:7], v[16:17]
	v_mov_b32_e32 v11, v9
	s_waitcnt lgkmcnt(0)
	v_pk_mul_f32 v[8:9], v[14:15], v[8:9] op_sel_hi:[1,0]
	v_pk_add_f32 v[6:7], v[6:7], v[10:11]
	v_pk_fma_f32 v[10:11], v[14:15], v[80:81], v[8:9] op_sel:[0,0,1] op_sel_hi:[1,1,0] neg_lo:[0,0,1] neg_hi:[0,0,1]
	v_pk_fma_f32 v[8:9], v[14:15], v[80:81], v[8:9] op_sel:[0,0,1] op_sel_hi:[1,0,0]
	v_mov_b32_e32 v11, v9
	v_pk_add_f32 v[6:7], v[6:7], v[10:11]
	v_pk_add_f32 v[2:3], v[2:3], v[6:7] neg_lo:[0,1] neg_hi:[0,1]
	buffer_store_dword v3, off, s[0:3], 0 offset:132
	buffer_store_dword v2, off, s[0:3], 0 offset:128
	s_and_saveexec_b64 s[4:5], vcc
	s_cbranch_execz .LBB113_283
; %bb.282:
	buffer_load_dword v2, off, s[0:3], 0 offset:120
	buffer_load_dword v3, off, s[0:3], 0 offset:124
	s_waitcnt vmcnt(0)
	ds_write_b64 v111, v[2:3]
	buffer_store_dword v4, off, s[0:3], 0 offset:120
	buffer_store_dword v4, off, s[0:3], 0 offset:124
.LBB113_283:
	s_or_b64 exec, exec, s[4:5]
	s_waitcnt lgkmcnt(0)
	; wave barrier
	s_waitcnt lgkmcnt(0)
	buffer_load_dword v5, off, s[0:3], 0 offset:132
	buffer_load_dword v64, off, s[0:3], 0 offset:140
	;; [unrolled: 1-line block ×42, first 2 shown]
	ds_read_b128 v[6:9], v4 offset:528
	ds_read_b128 v[10:13], v4 offset:544
	buffer_load_dword v200, off, s[0:3], 0 offset:288
	buffer_load_dword v201, off, s[0:3], 0 offset:292
	ds_read_b128 v[14:17], v4 offset:560
	ds_read_b128 v[18:21], v4 offset:576
	buffer_load_dword v202, off, s[0:3], 0 offset:296
	buffer_load_dword v203, off, s[0:3], 0 offset:300
	;; [unrolled: 1-line block ×4, first 2 shown]
	ds_read_b128 v[22:25], v4 offset:592
	ds_read_b128 v[26:29], v4 offset:608
	buffer_load_dword v206, off, s[0:3], 0 offset:312
	buffer_load_dword v207, off, s[0:3], 0 offset:316
	;; [unrolled: 1-line block ×6, first 2 shown]
	v_cmp_lt_u32_e32 vcc, 14, v0
	s_waitcnt vmcnt(53) lgkmcnt(5)
	v_mul_f32_e32 v30, v6, v5
	s_waitcnt vmcnt(52)
	v_mul_f32_e32 v31, v8, v64
	s_waitcnt vmcnt(51) lgkmcnt(4)
	v_mul_f32_e32 v32, v10, v66
	s_waitcnt vmcnt(50)
	v_mul_f32_e32 v33, v12, v68
	;; [unrolled: 4-line block ×5, first 2 shown]
	s_waitcnt vmcnt(43)
	v_fmac_f32_e32 v30, v7, v90
	s_waitcnt vmcnt(42)
	v_fmac_f32_e32 v31, v9, v91
	v_add_f32_e32 v30, 0, v30
	s_waitcnt vmcnt(41)
	v_fmac_f32_e32 v32, v11, v92
	v_add_f32_e32 v30, v30, v31
	;; [unrolled: 3-line block ×9, first 2 shown]
	s_waitcnt vmcnt(33) lgkmcnt(0)
	v_mul_f32_e32 v31, v26, v100
	v_add_f32_e32 v30, v30, v39
	s_waitcnt vmcnt(32)
	v_fmac_f32_e32 v31, v27, v101
	v_add_f32_e32 v34, v30, v31
	ds_read_b128 v[30:33], v4 offset:624
	s_waitcnt vmcnt(31)
	v_mul_f32_e32 v35, v28, v102
	s_waitcnt vmcnt(30)
	v_fmac_f32_e32 v35, v29, v103
	v_add_f32_e32 v38, v34, v35
	ds_read_b128 v[34:37], v4 offset:640
	s_waitcnt vmcnt(29) lgkmcnt(1)
	v_mul_f32_e32 v39, v30, v184
	s_waitcnt vmcnt(28)
	v_fmac_f32_e32 v39, v31, v185
	v_add_f32_e32 v38, v38, v39
	s_waitcnt vmcnt(27)
	v_mul_f32_e32 v39, v32, v186
	s_waitcnt vmcnt(26)
	v_fmac_f32_e32 v39, v33, v187
	v_add_f32_e32 v38, v38, v39
	s_waitcnt vmcnt(25) lgkmcnt(0)
	v_mul_f32_e32 v39, v34, v188
	s_waitcnt vmcnt(24)
	v_fmac_f32_e32 v39, v35, v189
	v_add_f32_e32 v42, v38, v39
	ds_read_b128 v[38:41], v4 offset:656
	s_waitcnt vmcnt(23)
	v_mul_f32_e32 v43, v36, v190
	s_waitcnt vmcnt(22)
	v_fmac_f32_e32 v43, v37, v191
	v_add_f32_e32 v46, v42, v43
	ds_read_b128 v[42:45], v4 offset:672
	s_waitcnt vmcnt(21) lgkmcnt(1)
	v_mul_f32_e32 v47, v38, v192
	s_waitcnt vmcnt(20)
	v_fmac_f32_e32 v47, v39, v193
	v_add_f32_e32 v46, v46, v47
	s_waitcnt vmcnt(18)
	v_mul_f32_e32 v47, v40, v195
	v_fmac_f32_e32 v47, v41, v194
	v_add_f32_e32 v46, v46, v47
	s_waitcnt vmcnt(15) lgkmcnt(0)
	v_mul_f32_e32 v47, v42, v196
	s_waitcnt vmcnt(14)
	v_fmac_f32_e32 v47, v43, v197
	v_add_f32_e32 v50, v46, v47
	ds_read_b128 v[46:49], v4 offset:688
	s_waitcnt vmcnt(12)
	v_mul_f32_e32 v51, v44, v199
	v_fmac_f32_e32 v51, v45, v198
	v_add_f32_e32 v54, v50, v51
	ds_read_b128 v[50:53], v4 offset:704
	buffer_load_dword v63, off, s[0:3], 0 offset:340
	buffer_load_dword v62, off, s[0:3], 0 offset:336
	s_waitcnt vmcnt(12) lgkmcnt(1)
	v_mul_f32_e32 v55, v46, v201
	v_fmac_f32_e32 v55, v47, v200
	v_add_f32_e32 v54, v54, v55
	s_waitcnt vmcnt(10)
	v_mul_f32_e32 v55, v48, v203
	v_fmac_f32_e32 v55, v49, v202
	v_add_f32_e32 v54, v54, v55
	s_waitcnt vmcnt(8) lgkmcnt(0)
	v_mul_f32_e32 v55, v50, v205
	v_fmac_f32_e32 v55, v51, v204
	s_waitcnt vmcnt(6)
	v_mul_f32_e32 v59, v52, v207
	v_add_f32_e32 v58, v54, v55
	v_fmac_f32_e32 v59, v53, v206
	ds_read_b128 v[54:57], v4 offset:720
	v_add_f32_e32 v65, v58, v59
	ds_read_b128 v[58:61], v4 offset:736
	buffer_load_dword v71, off, s[0:3], 0 offset:372
	buffer_load_dword v70, off, s[0:3], 0 offset:368
	buffer_load_dword v73, off, s[0:3], 0 offset:364
	buffer_load_dword v72, off, s[0:3], 0 offset:360
	buffer_load_dword v75, off, s[0:3], 0 offset:356
	buffer_load_dword v74, off, s[0:3], 0 offset:352
	buffer_load_dword v77, off, s[0:3], 0 offset:348
	buffer_load_dword v76, off, s[0:3], 0 offset:344
	buffer_load_dword v79, off, s[0:3], 0 offset:396
	buffer_load_dword v78, off, s[0:3], 0 offset:392
	buffer_load_dword v81, off, s[0:3], 0 offset:388
	buffer_load_dword v80, off, s[0:3], 0 offset:384
	buffer_load_dword v83, off, s[0:3], 0 offset:380
	buffer_load_dword v82, off, s[0:3], 0 offset:376
	v_mul_f32_e32 v5, v7, v5
	v_fma_f32 v5, v6, v90, -v5
	v_mul_f32_e32 v6, v9, v64
	v_add_f32_e32 v5, 0, v5
	v_fma_f32 v6, v8, v91, -v6
	v_add_f32_e32 v5, v5, v6
	v_mul_f32_e32 v6, v11, v66
	v_fma_f32 v6, v10, v92, -v6
	v_add_f32_e32 v5, v5, v6
	v_mul_f32_e32 v6, v13, v68
	;; [unrolled: 3-line block ×22, first 2 shown]
	v_fma_f32 v6, v52, v206, -v6
	s_waitcnt vmcnt(15)
	v_mov_b32_e32 v18, v63
	s_waitcnt lgkmcnt(1)
	v_mul_f32_e32 v67, v54, v209
	v_add_f32_e32 v64, v5, v6
	v_mul_f32_e32 v5, v55, v209
	s_waitcnt lgkmcnt(0)
	v_pk_mul_f32 v[18:19], v[58:59], v[18:19] op_sel_hi:[1,0]
	v_fmac_f32_e32 v67, v55, v208
	v_mul_f32_e32 v69, v56, v211
	v_fma_f32 v66, v54, v208, -v5
	v_mul_f32_e32 v5, v57, v211
	s_waitcnt vmcnt(14)
	v_pk_fma_f32 v[20:21], v[58:59], v[62:63], v[18:19] op_sel:[0,0,1] op_sel_hi:[1,1,0] neg_lo:[0,0,1] neg_hi:[0,0,1]
	v_pk_fma_f32 v[18:19], v[58:59], v[62:63], v[18:19] op_sel:[0,0,1] op_sel_hi:[1,0,0]
	v_fmac_f32_e32 v69, v57, v210
	v_fma_f32 v68, v56, v210, -v5
	ds_read_b128 v[6:9], v4 offset:752
	ds_read_b128 v[10:13], v4 offset:768
	;; [unrolled: 1-line block ×3, first 2 shown]
	v_pk_add_f32 v[4:5], v[64:65], v[66:67]
	s_waitcnt vmcnt(7)
	v_mov_b32_e32 v18, v77
	v_pk_add_f32 v[4:5], v[4:5], v[68:69]
	v_mov_b32_e32 v21, v19
	v_pk_mul_f32 v[18:19], v[60:61], v[18:19] op_sel_hi:[1,0]
	v_pk_add_f32 v[4:5], v[4:5], v[20:21]
	s_waitcnt vmcnt(6)
	v_pk_fma_f32 v[20:21], v[60:61], v[76:77], v[18:19] op_sel:[0,0,1] op_sel_hi:[1,1,0] neg_lo:[0,0,1] neg_hi:[0,0,1]
	v_pk_fma_f32 v[18:19], v[60:61], v[76:77], v[18:19] op_sel:[0,0,1] op_sel_hi:[1,0,0]
	v_mov_b32_e32 v18, v75
	v_mov_b32_e32 v21, v19
	s_waitcnt lgkmcnt(2)
	v_pk_mul_f32 v[18:19], v[6:7], v[18:19] op_sel_hi:[1,0]
	v_pk_add_f32 v[4:5], v[4:5], v[20:21]
	v_pk_fma_f32 v[20:21], v[6:7], v[74:75], v[18:19] op_sel:[0,0,1] op_sel_hi:[1,1,0] neg_lo:[0,0,1] neg_hi:[0,0,1]
	v_pk_fma_f32 v[6:7], v[6:7], v[74:75], v[18:19] op_sel:[0,0,1] op_sel_hi:[1,0,0]
	v_mov_b32_e32 v6, v73
	v_mov_b32_e32 v21, v7
	v_pk_mul_f32 v[6:7], v[8:9], v[6:7] op_sel_hi:[1,0]
	v_pk_fma_f32 v[18:19], v[8:9], v[72:73], v[6:7] op_sel:[0,0,1] op_sel_hi:[1,1,0] neg_lo:[0,0,1] neg_hi:[0,0,1]
	v_pk_fma_f32 v[6:7], v[8:9], v[72:73], v[6:7] op_sel:[0,0,1] op_sel_hi:[1,0,0]
	v_mov_b32_e32 v6, v71
	v_mov_b32_e32 v19, v7
	s_waitcnt lgkmcnt(1)
	v_pk_mul_f32 v[6:7], v[10:11], v[6:7] op_sel_hi:[1,0]
	v_pk_fma_f32 v[8:9], v[10:11], v[70:71], v[6:7] op_sel:[0,0,1] op_sel_hi:[1,1,0] neg_lo:[0,0,1] neg_hi:[0,0,1]
	v_pk_fma_f32 v[6:7], v[10:11], v[70:71], v[6:7] op_sel:[0,0,1] op_sel_hi:[1,0,0]
	v_pk_add_f32 v[4:5], v[4:5], v[20:21]
	s_waitcnt vmcnt(1)
	v_mov_b32_e32 v6, v83
	v_pk_add_f32 v[4:5], v[4:5], v[18:19]
	v_mov_b32_e32 v9, v7
	v_pk_mul_f32 v[6:7], v[12:13], v[6:7] op_sel_hi:[1,0]
	v_pk_add_f32 v[4:5], v[4:5], v[8:9]
	s_waitcnt vmcnt(0)
	v_pk_fma_f32 v[8:9], v[12:13], v[82:83], v[6:7] op_sel:[0,0,1] op_sel_hi:[1,1,0] neg_lo:[0,0,1] neg_hi:[0,0,1]
	v_pk_fma_f32 v[6:7], v[12:13], v[82:83], v[6:7] op_sel:[0,0,1] op_sel_hi:[1,0,0]
	v_mov_b32_e32 v6, v81
	v_mov_b32_e32 v9, v7
	s_waitcnt lgkmcnt(0)
	v_pk_mul_f32 v[6:7], v[14:15], v[6:7] op_sel_hi:[1,0]
	v_pk_add_f32 v[4:5], v[4:5], v[8:9]
	v_pk_fma_f32 v[8:9], v[14:15], v[80:81], v[6:7] op_sel:[0,0,1] op_sel_hi:[1,1,0] neg_lo:[0,0,1] neg_hi:[0,0,1]
	v_pk_fma_f32 v[6:7], v[14:15], v[80:81], v[6:7] op_sel:[0,0,1] op_sel_hi:[1,0,0]
	v_mov_b32_e32 v6, v79
	v_mov_b32_e32 v9, v7
	v_pk_mul_f32 v[6:7], v[16:17], v[6:7] op_sel_hi:[1,0]
	v_pk_add_f32 v[4:5], v[4:5], v[8:9]
	v_pk_fma_f32 v[8:9], v[16:17], v[78:79], v[6:7] op_sel:[0,0,1] op_sel_hi:[1,1,0] neg_lo:[0,0,1] neg_hi:[0,0,1]
	v_pk_fma_f32 v[6:7], v[16:17], v[78:79], v[6:7] op_sel:[0,0,1] op_sel_hi:[1,0,0]
	v_mov_b32_e32 v9, v7
	v_pk_add_f32 v[4:5], v[4:5], v[8:9]
	v_pk_add_f32 v[2:3], v[2:3], v[4:5] neg_lo:[0,1] neg_hi:[0,1]
	buffer_store_dword v3, off, s[0:3], 0 offset:124
	buffer_store_dword v2, off, s[0:3], 0 offset:120
	s_and_saveexec_b64 s[4:5], vcc
	s_cbranch_execz .LBB113_285
; %bb.284:
	buffer_load_dword v2, off, s[0:3], 0 offset:112
	buffer_load_dword v3, off, s[0:3], 0 offset:116
	v_mov_b32_e32 v4, 0
	buffer_store_dword v4, off, s[0:3], 0 offset:112
	buffer_store_dword v4, off, s[0:3], 0 offset:116
	s_waitcnt vmcnt(2)
	ds_write_b64 v111, v[2:3]
.LBB113_285:
	s_or_b64 exec, exec, s[4:5]
	s_waitcnt lgkmcnt(0)
	; wave barrier
	s_waitcnt lgkmcnt(0)
	buffer_load_dword v5, off, s[0:3], 0 offset:124
	buffer_load_dword v62, off, s[0:3], 0 offset:132
	;; [unrolled: 1-line block ×56, first 2 shown]
	v_mov_b32_e32 v4, 0
	ds_read2_b64 v[6:9], v4 offset0:65 offset1:66
	ds_read2_b64 v[10:13], v4 offset0:67 offset1:68
	;; [unrolled: 1-line block ×6, first 2 shown]
	v_cmp_lt_u32_e32 vcc, 13, v0
	s_waitcnt vmcnt(55) lgkmcnt(5)
	v_mul_f32_e32 v30, v6, v5
	s_waitcnt vmcnt(54)
	v_mul_f32_e32 v31, v8, v62
	s_waitcnt vmcnt(53) lgkmcnt(4)
	v_mul_f32_e32 v32, v10, v64
	s_waitcnt vmcnt(52)
	v_mul_f32_e32 v33, v12, v66
	;; [unrolled: 4-line block ×4, first 2 shown]
	s_waitcnt vmcnt(47) lgkmcnt(1)
	v_mul_f32_e32 v38, v22, v88
	s_waitcnt vmcnt(46)
	v_fmac_f32_e32 v30, v7, v89
	s_waitcnt vmcnt(45)
	v_fmac_f32_e32 v31, v9, v90
	v_add_f32_e32 v30, 0, v30
	s_waitcnt vmcnt(44)
	v_fmac_f32_e32 v32, v11, v91
	v_add_f32_e32 v30, v30, v31
	;; [unrolled: 3-line block ×7, first 2 shown]
	v_add_f32_e32 v30, v30, v37
	s_waitcnt vmcnt(38)
	v_fmac_f32_e32 v38, v23, v97
	s_waitcnt vmcnt(37)
	v_mul_f32_e32 v31, v24, v98
	v_add_f32_e32 v30, v30, v38
	s_waitcnt vmcnt(36)
	v_fmac_f32_e32 v31, v25, v99
	v_add_f32_e32 v30, v30, v31
	s_waitcnt vmcnt(35) lgkmcnt(0)
	v_mul_f32_e32 v31, v26, v100
	s_waitcnt vmcnt(34)
	v_fmac_f32_e32 v31, v27, v101
	v_add_f32_e32 v34, v30, v31
	ds_read2_b64 v[30:33], v4 offset0:77 offset1:78
	s_waitcnt vmcnt(33)
	v_mul_f32_e32 v35, v28, v102
	s_waitcnt vmcnt(32)
	v_fmac_f32_e32 v35, v29, v103
	v_add_f32_e32 v38, v34, v35
	ds_read2_b64 v[34:37], v4 offset0:79 offset1:80
	s_waitcnt vmcnt(31) lgkmcnt(1)
	v_mul_f32_e32 v39, v30, v184
	s_waitcnt vmcnt(30)
	v_fmac_f32_e32 v39, v31, v185
	v_add_f32_e32 v38, v38, v39
	s_waitcnt vmcnt(29)
	v_mul_f32_e32 v39, v32, v186
	s_waitcnt vmcnt(28)
	v_fmac_f32_e32 v39, v33, v187
	v_add_f32_e32 v38, v38, v39
	s_waitcnt vmcnt(27) lgkmcnt(0)
	v_mul_f32_e32 v39, v34, v188
	s_waitcnt vmcnt(26)
	v_fmac_f32_e32 v39, v35, v189
	v_add_f32_e32 v42, v38, v39
	ds_read2_b64 v[38:41], v4 offset0:81 offset1:82
	s_waitcnt vmcnt(24)
	v_mul_f32_e32 v43, v36, v191
	v_fmac_f32_e32 v43, v37, v190
	v_add_f32_e32 v46, v42, v43
	ds_read2_b64 v[42:45], v4 offset0:83 offset1:84
	s_waitcnt vmcnt(20) lgkmcnt(1)
	v_mul_f32_e32 v47, v38, v193
	v_fmac_f32_e32 v47, v39, v192
	v_add_f32_e32 v46, v46, v47
	s_waitcnt vmcnt(18)
	v_mul_f32_e32 v47, v40, v195
	v_fmac_f32_e32 v47, v41, v194
	v_add_f32_e32 v46, v46, v47
	s_waitcnt vmcnt(16) lgkmcnt(0)
	v_mul_f32_e32 v47, v42, v197
	v_fmac_f32_e32 v47, v43, v196
	v_add_f32_e32 v50, v46, v47
	ds_read2_b64 v[46:49], v4 offset0:85 offset1:86
	s_waitcnt vmcnt(14)
	v_mul_f32_e32 v51, v44, v199
	v_fmac_f32_e32 v51, v45, v198
	v_add_f32_e32 v54, v50, v51
	ds_read2_b64 v[50:53], v4 offset0:87 offset1:88
	s_waitcnt vmcnt(12) lgkmcnt(1)
	v_mul_f32_e32 v55, v46, v201
	v_fmac_f32_e32 v55, v47, v200
	v_add_f32_e32 v54, v54, v55
	s_waitcnt vmcnt(10)
	v_mul_f32_e32 v55, v48, v203
	v_fmac_f32_e32 v55, v49, v202
	v_add_f32_e32 v54, v54, v55
	s_waitcnt vmcnt(8) lgkmcnt(0)
	v_mul_f32_e32 v55, v50, v205
	v_fmac_f32_e32 v55, v51, v204
	s_waitcnt vmcnt(6)
	v_mul_f32_e32 v59, v52, v207
	v_add_f32_e32 v58, v54, v55
	v_fmac_f32_e32 v59, v53, v206
	ds_read2_b64 v[54:57], v4 offset0:89 offset1:90
	v_add_f32_e32 v63, v58, v59
	ds_read2_b64 v[58:61], v4 offset0:91 offset1:92
	buffer_load_dword v69, off, s[0:3], 0 offset:364
	buffer_load_dword v68, off, s[0:3], 0 offset:360
	;; [unrolled: 1-line block ×16, first 2 shown]
	v_mul_f32_e32 v5, v7, v5
	v_fma_f32 v5, v6, v89, -v5
	v_mul_f32_e32 v6, v9, v62
	v_add_f32_e32 v5, 0, v5
	v_fma_f32 v6, v8, v90, -v6
	v_add_f32_e32 v5, v5, v6
	v_mul_f32_e32 v6, v11, v64
	v_fma_f32 v6, v10, v91, -v6
	v_add_f32_e32 v5, v5, v6
	v_mul_f32_e32 v6, v13, v66
	;; [unrolled: 3-line block ×22, first 2 shown]
	v_fma_f32 v6, v52, v206, -v6
	s_waitcnt vmcnt(20) lgkmcnt(1)
	v_mul_f32_e32 v65, v54, v209
	v_add_f32_e32 v5, v5, v6
	v_mul_f32_e32 v6, v55, v209
	v_fmac_f32_e32 v65, v55, v208
	v_fma_f32 v6, v54, v208, -v6
	s_waitcnt vmcnt(9)
	v_mov_b32_e32 v22, v75
	v_add_f32_e32 v63, v63, v65
	v_mul_f32_e32 v65, v56, v211
	v_add_f32_e32 v62, v5, v6
	v_mul_f32_e32 v5, v57, v211
	s_waitcnt lgkmcnt(0)
	v_pk_mul_f32 v[22:23], v[60:61], v[22:23] op_sel_hi:[1,0]
	v_fmac_f32_e32 v65, v57, v210
	v_mul_f32_e32 v67, v58, v213
	v_fma_f32 v64, v56, v210, -v5
	v_mul_f32_e32 v5, v59, v213
	ds_read2_b64 v[6:9], v4 offset0:93 offset1:94
	ds_read2_b64 v[10:13], v4 offset0:95 offset1:96
	;; [unrolled: 1-line block ×3, first 2 shown]
	ds_read_b64 v[18:19], v4 offset:792
	s_waitcnt vmcnt(8)
	v_pk_fma_f32 v[24:25], v[60:61], v[74:75], v[22:23] op_sel:[0,0,1] op_sel_hi:[1,1,0] neg_lo:[0,0,1] neg_hi:[0,0,1]
	v_pk_fma_f32 v[22:23], v[60:61], v[74:75], v[22:23] op_sel:[0,0,1] op_sel_hi:[1,0,0]
	v_fmac_f32_e32 v67, v59, v212
	v_fma_f32 v66, v58, v212, -v5
	v_pk_add_f32 v[20:21], v[62:63], v[64:65]
	v_mov_b32_e32 v22, v73
	v_pk_add_f32 v[20:21], v[20:21], v[66:67]
	v_mov_b32_e32 v25, v23
	s_waitcnt lgkmcnt(3)
	v_pk_mul_f32 v[22:23], v[6:7], v[22:23] op_sel_hi:[1,0]
	v_pk_add_f32 v[20:21], v[20:21], v[24:25]
	v_pk_fma_f32 v[24:25], v[6:7], v[72:73], v[22:23] op_sel:[0,0,1] op_sel_hi:[1,1,0] neg_lo:[0,0,1] neg_hi:[0,0,1]
	v_pk_fma_f32 v[6:7], v[6:7], v[72:73], v[22:23] op_sel:[0,0,1] op_sel_hi:[1,0,0]
	v_mov_b32_e32 v25, v7
	v_pk_add_f32 v[6:7], v[20:21], v[24:25]
	v_mov_b32_e32 v20, v71
	v_pk_mul_f32 v[20:21], v[8:9], v[20:21] op_sel_hi:[1,0]
	v_pk_fma_f32 v[22:23], v[8:9], v[70:71], v[20:21] op_sel:[0,0,1] op_sel_hi:[1,1,0] neg_lo:[0,0,1] neg_hi:[0,0,1]
	v_pk_fma_f32 v[8:9], v[8:9], v[70:71], v[20:21] op_sel:[0,0,1] op_sel_hi:[1,0,0]
	v_mov_b32_e32 v8, v69
	v_mov_b32_e32 v23, v9
	s_waitcnt lgkmcnt(2)
	v_pk_mul_f32 v[8:9], v[10:11], v[8:9] op_sel_hi:[1,0]
	v_pk_fma_f32 v[20:21], v[10:11], v[68:69], v[8:9] op_sel:[0,0,1] op_sel_hi:[1,1,0] neg_lo:[0,0,1] neg_hi:[0,0,1]
	v_pk_fma_f32 v[8:9], v[10:11], v[68:69], v[8:9] op_sel:[0,0,1] op_sel_hi:[1,0,0]
	s_waitcnt vmcnt(1)
	v_mov_b32_e32 v8, v83
	v_mov_b32_e32 v21, v9
	v_pk_mul_f32 v[8:9], v[12:13], v[8:9] op_sel_hi:[1,0]
	s_waitcnt vmcnt(0)
	v_pk_fma_f32 v[10:11], v[12:13], v[82:83], v[8:9] op_sel:[0,0,1] op_sel_hi:[1,1,0] neg_lo:[0,0,1] neg_hi:[0,0,1]
	v_pk_fma_f32 v[8:9], v[12:13], v[82:83], v[8:9] op_sel:[0,0,1] op_sel_hi:[1,0,0]
	v_pk_add_f32 v[6:7], v[6:7], v[22:23]
	v_mov_b32_e32 v8, v81
	v_pk_add_f32 v[6:7], v[6:7], v[20:21]
	v_mov_b32_e32 v11, v9
	s_waitcnt lgkmcnt(1)
	v_pk_mul_f32 v[8:9], v[14:15], v[8:9] op_sel_hi:[1,0]
	v_pk_add_f32 v[6:7], v[6:7], v[10:11]
	v_pk_fma_f32 v[10:11], v[14:15], v[80:81], v[8:9] op_sel:[0,0,1] op_sel_hi:[1,1,0] neg_lo:[0,0,1] neg_hi:[0,0,1]
	v_pk_fma_f32 v[8:9], v[14:15], v[80:81], v[8:9] op_sel:[0,0,1] op_sel_hi:[1,0,0]
	v_mov_b32_e32 v8, v79
	v_mov_b32_e32 v11, v9
	v_pk_mul_f32 v[8:9], v[16:17], v[8:9] op_sel_hi:[1,0]
	v_pk_add_f32 v[6:7], v[6:7], v[10:11]
	v_pk_fma_f32 v[10:11], v[16:17], v[78:79], v[8:9] op_sel:[0,0,1] op_sel_hi:[1,1,0] neg_lo:[0,0,1] neg_hi:[0,0,1]
	v_pk_fma_f32 v[8:9], v[16:17], v[78:79], v[8:9] op_sel:[0,0,1] op_sel_hi:[1,0,0]
	v_mov_b32_e32 v8, v77
	v_mov_b32_e32 v11, v9
	s_waitcnt lgkmcnt(0)
	v_pk_mul_f32 v[8:9], v[18:19], v[8:9] op_sel_hi:[1,0]
	v_pk_add_f32 v[6:7], v[6:7], v[10:11]
	v_pk_fma_f32 v[10:11], v[18:19], v[76:77], v[8:9] op_sel:[0,0,1] op_sel_hi:[1,1,0] neg_lo:[0,0,1] neg_hi:[0,0,1]
	v_pk_fma_f32 v[8:9], v[18:19], v[76:77], v[8:9] op_sel:[0,0,1] op_sel_hi:[1,0,0]
	v_mov_b32_e32 v11, v9
	v_pk_add_f32 v[6:7], v[6:7], v[10:11]
	v_pk_add_f32 v[2:3], v[2:3], v[6:7] neg_lo:[0,1] neg_hi:[0,1]
	buffer_store_dword v3, off, s[0:3], 0 offset:116
	buffer_store_dword v2, off, s[0:3], 0 offset:112
	s_and_saveexec_b64 s[4:5], vcc
	s_cbranch_execz .LBB113_287
; %bb.286:
	buffer_load_dword v2, off, s[0:3], 0 offset:104
	buffer_load_dword v3, off, s[0:3], 0 offset:108
	s_waitcnt vmcnt(0)
	ds_write_b64 v111, v[2:3]
	buffer_store_dword v4, off, s[0:3], 0 offset:104
	buffer_store_dword v4, off, s[0:3], 0 offset:108
.LBB113_287:
	s_or_b64 exec, exec, s[4:5]
	s_waitcnt lgkmcnt(0)
	; wave barrier
	s_waitcnt lgkmcnt(0)
	buffer_load_dword v5, off, s[0:3], 0 offset:116
	buffer_load_dword v62, off, s[0:3], 0 offset:124
	;; [unrolled: 1-line block ×36, first 2 shown]
	ds_read_b128 v[6:9], v4 offset:512
	ds_read_b128 v[10:13], v4 offset:528
	buffer_load_dword v194, off, s[0:3], 0 offset:248
	buffer_load_dword v195, off, s[0:3], 0 offset:252
	;; [unrolled: 1-line block ×4, first 2 shown]
	ds_read_b128 v[14:17], v4 offset:544
	ds_read_b128 v[18:21], v4 offset:560
	buffer_load_dword v198, off, s[0:3], 0 offset:264
	buffer_load_dword v199, off, s[0:3], 0 offset:268
	ds_read_b128 v[22:25], v4 offset:576
	ds_read_b128 v[26:29], v4 offset:592
	buffer_load_dword v200, off, s[0:3], 0 offset:272
	buffer_load_dword v201, off, s[0:3], 0 offset:276
	;; [unrolled: 1-line block ×16, first 2 shown]
	v_cmp_lt_u32_e32 vcc, 12, v0
	s_waitcnt vmcnt(57) lgkmcnt(5)
	v_mul_f32_e32 v30, v6, v5
	s_waitcnt vmcnt(56)
	v_mul_f32_e32 v31, v8, v62
	s_waitcnt vmcnt(55) lgkmcnt(4)
	v_mul_f32_e32 v32, v10, v64
	s_waitcnt vmcnt(54)
	v_mul_f32_e32 v33, v12, v72
	;; [unrolled: 4-line block ×4, first 2 shown]
	s_waitcnt vmcnt(49)
	v_fmac_f32_e32 v30, v7, v88
	s_waitcnt vmcnt(48)
	v_fmac_f32_e32 v31, v9, v89
	v_add_f32_e32 v30, 0, v30
	s_waitcnt vmcnt(47)
	v_fmac_f32_e32 v32, v11, v90
	v_add_f32_e32 v30, v30, v31
	;; [unrolled: 3-line block ×7, first 2 shown]
	s_waitcnt vmcnt(41) lgkmcnt(1)
	v_mul_f32_e32 v31, v22, v96
	v_add_f32_e32 v30, v30, v37
	s_waitcnt vmcnt(40)
	v_fmac_f32_e32 v31, v23, v97
	v_add_f32_e32 v30, v30, v31
	s_waitcnt vmcnt(39)
	v_mul_f32_e32 v31, v24, v98
	s_waitcnt vmcnt(38)
	v_fmac_f32_e32 v31, v25, v99
	v_add_f32_e32 v30, v30, v31
	s_waitcnt vmcnt(37) lgkmcnt(0)
	v_mul_f32_e32 v31, v26, v100
	s_waitcnt vmcnt(36)
	v_fmac_f32_e32 v31, v27, v101
	v_add_f32_e32 v34, v30, v31
	ds_read_b128 v[30:33], v4 offset:608
	s_waitcnt vmcnt(35)
	v_mul_f32_e32 v35, v28, v102
	s_waitcnt vmcnt(34)
	v_fmac_f32_e32 v35, v29, v103
	v_add_f32_e32 v38, v34, v35
	ds_read_b128 v[34:37], v4 offset:624
	s_waitcnt vmcnt(33) lgkmcnt(1)
	v_mul_f32_e32 v39, v30, v184
	s_waitcnt vmcnt(32)
	v_fmac_f32_e32 v39, v31, v185
	v_add_f32_e32 v38, v38, v39
	s_waitcnt vmcnt(31)
	v_mul_f32_e32 v39, v32, v186
	s_waitcnt vmcnt(30)
	v_fmac_f32_e32 v39, v33, v187
	v_add_f32_e32 v38, v38, v39
	s_waitcnt vmcnt(29) lgkmcnt(0)
	v_mul_f32_e32 v39, v34, v188
	s_waitcnt vmcnt(28)
	v_fmac_f32_e32 v39, v35, v189
	v_add_f32_e32 v42, v38, v39
	ds_read_b128 v[38:41], v4 offset:640
	s_waitcnt vmcnt(25)
	v_mul_f32_e32 v43, v36, v190
	s_waitcnt vmcnt(24)
	v_fmac_f32_e32 v43, v37, v191
	v_add_f32_e32 v46, v42, v43
	ds_read_b128 v[42:45], v4 offset:656
	s_waitcnt vmcnt(22) lgkmcnt(1)
	v_mul_f32_e32 v47, v38, v193
	v_fmac_f32_e32 v47, v39, v192
	v_add_f32_e32 v46, v46, v47
	s_waitcnt vmcnt(20)
	v_mul_f32_e32 v47, v40, v195
	v_fmac_f32_e32 v47, v41, v194
	v_add_f32_e32 v46, v46, v47
	s_waitcnt vmcnt(18) lgkmcnt(0)
	v_mul_f32_e32 v47, v42, v197
	v_fmac_f32_e32 v47, v43, v196
	v_add_f32_e32 v50, v46, v47
	ds_read_b128 v[46:49], v4 offset:672
	s_waitcnt vmcnt(16)
	v_mul_f32_e32 v51, v44, v199
	v_fmac_f32_e32 v51, v45, v198
	v_add_f32_e32 v54, v50, v51
	ds_read_b128 v[50:53], v4 offset:688
	s_waitcnt vmcnt(14) lgkmcnt(1)
	v_mul_f32_e32 v55, v46, v201
	v_fmac_f32_e32 v55, v47, v200
	v_add_f32_e32 v54, v54, v55
	s_waitcnt vmcnt(12)
	v_mul_f32_e32 v55, v48, v203
	v_fmac_f32_e32 v55, v49, v202
	v_add_f32_e32 v54, v54, v55
	s_waitcnt vmcnt(10) lgkmcnt(0)
	v_mul_f32_e32 v55, v50, v205
	v_fmac_f32_e32 v55, v51, v204
	s_waitcnt vmcnt(8)
	v_mul_f32_e32 v59, v52, v207
	v_add_f32_e32 v58, v54, v55
	v_fmac_f32_e32 v59, v53, v206
	ds_read_b128 v[54:57], v4 offset:704
	v_add_f32_e32 v63, v58, v59
	ds_read_b128 v[58:61], v4 offset:720
	buffer_load_dword v67, off, s[0:3], 0 offset:356
	buffer_load_dword v66, off, s[0:3], 0 offset:352
	;; [unrolled: 1-line block ×16, first 2 shown]
	v_mul_f32_e32 v5, v7, v5
	v_fma_f32 v5, v6, v88, -v5
	v_mul_f32_e32 v6, v9, v62
	v_add_f32_e32 v5, 0, v5
	v_fma_f32 v6, v8, v89, -v6
	v_add_f32_e32 v5, v5, v6
	v_mul_f32_e32 v6, v11, v64
	v_fma_f32 v6, v10, v90, -v6
	v_add_f32_e32 v5, v5, v6
	v_mul_f32_e32 v6, v13, v72
	;; [unrolled: 3-line block ×22, first 2 shown]
	v_fma_f32 v6, v52, v206, -v6
	v_add_f32_e32 v5, v5, v6
	s_waitcnt vmcnt(22) lgkmcnt(1)
	v_mul_f32_e32 v6, v55, v209
	v_fma_f32 v6, v54, v208, -v6
	v_add_f32_e32 v5, v5, v6
	s_waitcnt vmcnt(20)
	v_mul_f32_e32 v6, v57, v211
	v_fma_f32 v6, v56, v210, -v6
	v_add_f32_e32 v62, v5, v6
	ds_read_b128 v[6:9], v4 offset:736
	ds_read_b128 v[10:13], v4 offset:752
	;; [unrolled: 1-line block ×4, first 2 shown]
	s_waitcnt vmcnt(11)
	v_mov_b32_e32 v22, v71
	v_mul_f32_e32 v65, v54, v209
	s_waitcnt lgkmcnt(3)
	v_pk_mul_f32 v[22:23], v[6:7], v[22:23] op_sel_hi:[1,0]
	v_fmac_f32_e32 v65, v55, v208
	s_waitcnt vmcnt(10)
	v_pk_fma_f32 v[24:25], v[6:7], v[70:71], v[22:23] op_sel:[0,0,1] op_sel_hi:[1,1,0] neg_lo:[0,0,1] neg_hi:[0,0,1]
	v_pk_fma_f32 v[6:7], v[6:7], v[70:71], v[22:23] op_sel:[0,0,1] op_sel_hi:[1,0,0]
	v_add_f32_e32 v63, v63, v65
	v_mul_f32_e32 v65, v56, v211
	v_mov_b32_e32 v6, v69
	v_fmac_f32_e32 v65, v57, v210
	v_mov_b32_e32 v25, v7
	v_pk_mul_f32 v[6:7], v[8:9], v[6:7] op_sel_hi:[1,0]
	v_add_f32_e32 v63, v63, v65
	v_mul_f32_e32 v65, v58, v213
	v_mul_f32_e32 v5, v59, v213
	v_pk_fma_f32 v[22:23], v[8:9], v[68:69], v[6:7] op_sel:[0,0,1] op_sel_hi:[1,1,0] neg_lo:[0,0,1] neg_hi:[0,0,1]
	v_pk_fma_f32 v[6:7], v[8:9], v[68:69], v[6:7] op_sel:[0,0,1] op_sel_hi:[1,0,0]
	v_fmac_f32_e32 v65, v59, v212
	v_mul_f32_e32 v73, v60, v215
	v_fma_f32 v64, v58, v212, -v5
	v_mul_f32_e32 v5, v61, v215
	v_mov_b32_e32 v6, v67
	v_fmac_f32_e32 v73, v61, v214
	v_fma_f32 v72, v60, v214, -v5
	v_pk_add_f32 v[4:5], v[62:63], v[64:65]
	v_mov_b32_e32 v23, v7
	s_waitcnt lgkmcnt(2)
	v_pk_mul_f32 v[6:7], v[10:11], v[6:7] op_sel_hi:[1,0]
	v_pk_add_f32 v[4:5], v[4:5], v[72:73]
	v_pk_fma_f32 v[8:9], v[10:11], v[66:67], v[6:7] op_sel:[0,0,1] op_sel_hi:[1,1,0] neg_lo:[0,0,1] neg_hi:[0,0,1]
	v_pk_fma_f32 v[6:7], v[10:11], v[66:67], v[6:7] op_sel:[0,0,1] op_sel_hi:[1,0,0]
	v_pk_add_f32 v[4:5], v[4:5], v[24:25]
	s_waitcnt vmcnt(3)
	v_mov_b32_e32 v6, v81
	v_pk_add_f32 v[4:5], v[4:5], v[22:23]
	v_mov_b32_e32 v9, v7
	v_pk_mul_f32 v[6:7], v[12:13], v[6:7] op_sel_hi:[1,0]
	v_pk_add_f32 v[4:5], v[4:5], v[8:9]
	s_waitcnt vmcnt(2)
	v_pk_fma_f32 v[8:9], v[12:13], v[80:81], v[6:7] op_sel:[0,0,1] op_sel_hi:[1,1,0] neg_lo:[0,0,1] neg_hi:[0,0,1]
	v_pk_fma_f32 v[6:7], v[12:13], v[80:81], v[6:7] op_sel:[0,0,1] op_sel_hi:[1,0,0]
	v_mov_b32_e32 v6, v79
	v_mov_b32_e32 v9, v7
	s_waitcnt lgkmcnt(1)
	v_pk_mul_f32 v[6:7], v[14:15], v[6:7] op_sel_hi:[1,0]
	v_pk_add_f32 v[4:5], v[4:5], v[8:9]
	v_pk_fma_f32 v[8:9], v[14:15], v[78:79], v[6:7] op_sel:[0,0,1] op_sel_hi:[1,1,0] neg_lo:[0,0,1] neg_hi:[0,0,1]
	v_pk_fma_f32 v[6:7], v[14:15], v[78:79], v[6:7] op_sel:[0,0,1] op_sel_hi:[1,0,0]
	v_mov_b32_e32 v6, v77
	v_mov_b32_e32 v9, v7
	v_pk_mul_f32 v[6:7], v[16:17], v[6:7] op_sel_hi:[1,0]
	v_pk_add_f32 v[4:5], v[4:5], v[8:9]
	v_pk_fma_f32 v[8:9], v[16:17], v[76:77], v[6:7] op_sel:[0,0,1] op_sel_hi:[1,1,0] neg_lo:[0,0,1] neg_hi:[0,0,1]
	v_pk_fma_f32 v[6:7], v[16:17], v[76:77], v[6:7] op_sel:[0,0,1] op_sel_hi:[1,0,0]
	v_mov_b32_e32 v6, v75
	v_mov_b32_e32 v9, v7
	s_waitcnt lgkmcnt(0)
	v_pk_mul_f32 v[6:7], v[18:19], v[6:7] op_sel_hi:[1,0]
	v_pk_add_f32 v[4:5], v[4:5], v[8:9]
	v_pk_fma_f32 v[8:9], v[18:19], v[74:75], v[6:7] op_sel:[0,0,1] op_sel_hi:[1,1,0] neg_lo:[0,0,1] neg_hi:[0,0,1]
	v_pk_fma_f32 v[6:7], v[18:19], v[74:75], v[6:7] op_sel:[0,0,1] op_sel_hi:[1,0,0]
	s_waitcnt vmcnt(1)
	v_mov_b32_e32 v6, v83
	v_mov_b32_e32 v9, v7
	v_pk_mul_f32 v[6:7], v[20:21], v[6:7] op_sel_hi:[1,0]
	v_pk_add_f32 v[4:5], v[4:5], v[8:9]
	s_waitcnt vmcnt(0)
	v_pk_fma_f32 v[8:9], v[20:21], v[82:83], v[6:7] op_sel:[0,0,1] op_sel_hi:[1,1,0] neg_lo:[0,0,1] neg_hi:[0,0,1]
	v_pk_fma_f32 v[6:7], v[20:21], v[82:83], v[6:7] op_sel:[0,0,1] op_sel_hi:[1,0,0]
	v_mov_b32_e32 v9, v7
	v_pk_add_f32 v[4:5], v[4:5], v[8:9]
	v_pk_add_f32 v[2:3], v[2:3], v[4:5] neg_lo:[0,1] neg_hi:[0,1]
	buffer_store_dword v3, off, s[0:3], 0 offset:108
	buffer_store_dword v2, off, s[0:3], 0 offset:104
	s_and_saveexec_b64 s[4:5], vcc
	s_cbranch_execz .LBB113_289
; %bb.288:
	buffer_load_dword v2, off, s[0:3], 0 offset:96
	buffer_load_dword v3, off, s[0:3], 0 offset:100
	v_mov_b32_e32 v4, 0
	buffer_store_dword v4, off, s[0:3], 0 offset:96
	buffer_store_dword v4, off, s[0:3], 0 offset:100
	s_waitcnt vmcnt(2)
	ds_write_b64 v111, v[2:3]
.LBB113_289:
	s_or_b64 exec, exec, s[4:5]
	s_waitcnt lgkmcnt(0)
	; wave barrier
	s_waitcnt lgkmcnt(0)
	buffer_load_dword v17, off, s[0:3], 0 offset:108
	buffer_load_dword v70, off, s[0:3], 0 offset:116
	buffer_load_dword v76, off, s[0:3], 0 offset:124
	buffer_load_dword v78, off, s[0:3], 0 offset:132
	buffer_load_dword v92, off, s[0:3], 0 offset:140
	buffer_load_dword v93, off, s[0:3], 0 offset:148
	buffer_load_dword v94, off, s[0:3], 0 offset:156
	buffer_load_dword v95, off, s[0:3], 0 offset:104
	buffer_load_dword v96, off, s[0:3], 0 offset:112
	buffer_load_dword v97, off, s[0:3], 0 offset:120
	buffer_load_dword v98, off, s[0:3], 0 offset:128
	buffer_load_dword v99, off, s[0:3], 0 offset:136
	buffer_load_dword v100, off, s[0:3], 0 offset:144
	buffer_load_dword v101, off, s[0:3], 0 offset:152
	buffer_load_dword v102, off, s[0:3], 0 offset:164
	buffer_load_dword v103, off, s[0:3], 0 offset:160
	buffer_load_dword v184, off, s[0:3], 0 offset:172
	buffer_load_dword v185, off, s[0:3], 0 offset:168
	buffer_load_dword v186, off, s[0:3], 0 offset:180
	buffer_load_dword v187, off, s[0:3], 0 offset:176
	buffer_load_dword v188, off, s[0:3], 0 offset:188
	buffer_load_dword v189, off, s[0:3], 0 offset:184
	buffer_load_dword v190, off, s[0:3], 0 offset:196
	buffer_load_dword v191, off, s[0:3], 0 offset:192
	buffer_load_dword v192, off, s[0:3], 0 offset:200
	buffer_load_dword v193, off, s[0:3], 0 offset:204
	buffer_load_dword v6, off, s[0:3], 0 offset:96
	buffer_load_dword v7, off, s[0:3], 0 offset:100
	buffer_load_dword v194, off, s[0:3], 0 offset:212
	buffer_load_dword v195, off, s[0:3], 0 offset:208
	buffer_load_dword v196, off, s[0:3], 0 offset:216
	buffer_load_dword v197, off, s[0:3], 0 offset:220
	buffer_load_dword v198, off, s[0:3], 0 offset:224
	buffer_load_dword v199, off, s[0:3], 0 offset:228
	buffer_load_dword v200, off, s[0:3], 0 offset:232
	buffer_load_dword v201, off, s[0:3], 0 offset:236
	buffer_load_dword v202, off, s[0:3], 0 offset:240
	buffer_load_dword v203, off, s[0:3], 0 offset:244
	buffer_load_dword v204, off, s[0:3], 0 offset:248
	buffer_load_dword v205, off, s[0:3], 0 offset:252
	buffer_load_dword v206, off, s[0:3], 0 offset:256
	buffer_load_dword v207, off, s[0:3], 0 offset:260
	buffer_load_dword v208, off, s[0:3], 0 offset:264
	buffer_load_dword v209, off, s[0:3], 0 offset:268
	buffer_load_dword v210, off, s[0:3], 0 offset:272
	buffer_load_dword v211, off, s[0:3], 0 offset:276
	buffer_load_dword v212, off, s[0:3], 0 offset:280
	buffer_load_dword v213, off, s[0:3], 0 offset:284
	buffer_load_dword v214, off, s[0:3], 0 offset:288
	buffer_load_dword v215, off, s[0:3], 0 offset:292
	buffer_load_dword v216, off, s[0:3], 0 offset:296
	buffer_load_dword v217, off, s[0:3], 0 offset:300
	buffer_load_dword v218, off, s[0:3], 0 offset:304
	buffer_load_dword v219, off, s[0:3], 0 offset:308
	buffer_load_dword v220, off, s[0:3], 0 offset:312
	buffer_load_dword v221, off, s[0:3], 0 offset:316
	v_mov_b32_e32 v16, 0
	ds_read2_b64 v[2:5], v16 offset0:63 offset1:64
	buffer_load_dword v222, off, s[0:3], 0 offset:320
	buffer_load_dword v223, off, s[0:3], 0 offset:324
	buffer_load_dword v224, off, s[0:3], 0 offset:328
	buffer_load_dword v225, off, s[0:3], 0 offset:332
	ds_read2_b64 v[8:11], v16 offset0:65 offset1:66
	ds_read2_b64 v[12:15], v16 offset0:67 offset1:68
	;; [unrolled: 1-line block ×3, first 2 shown]
	v_cmp_lt_u32_e32 vcc, 11, v0
	s_waitcnt vmcnt(59) lgkmcnt(3)
	v_mul_f32_e32 v22, v2, v17
	s_waitcnt vmcnt(58)
	v_mul_f32_e32 v23, v4, v70
	s_waitcnt vmcnt(57) lgkmcnt(2)
	v_mul_f32_e32 v24, v8, v76
	s_waitcnt vmcnt(56)
	v_mul_f32_e32 v25, v10, v78
	;; [unrolled: 4-line block ×3, first 2 shown]
	s_waitcnt vmcnt(53) lgkmcnt(0)
	v_mul_f32_e32 v28, v18, v94
	s_waitcnt vmcnt(52)
	v_fmac_f32_e32 v22, v3, v95
	s_waitcnt vmcnt(51)
	v_fmac_f32_e32 v23, v5, v96
	v_add_f32_e32 v22, 0, v22
	s_waitcnt vmcnt(50)
	v_fmac_f32_e32 v24, v9, v97
	v_add_f32_e32 v22, v22, v23
	;; [unrolled: 3-line block ×6, first 2 shown]
	v_add_f32_e32 v26, v22, v28
	ds_read2_b64 v[22:25], v16 offset0:71 offset1:72
	s_waitcnt vmcnt(45)
	v_mul_f32_e32 v27, v20, v102
	s_waitcnt vmcnt(44)
	v_fmac_f32_e32 v27, v21, v103
	v_add_f32_e32 v30, v26, v27
	ds_read2_b64 v[26:29], v16 offset0:73 offset1:74
	s_waitcnt vmcnt(43) lgkmcnt(1)
	v_mul_f32_e32 v31, v22, v184
	s_waitcnt vmcnt(42)
	v_fmac_f32_e32 v31, v23, v185
	v_add_f32_e32 v30, v30, v31
	s_waitcnt vmcnt(41)
	v_mul_f32_e32 v31, v24, v186
	s_waitcnt vmcnt(40)
	v_fmac_f32_e32 v31, v25, v187
	v_add_f32_e32 v30, v30, v31
	s_waitcnt vmcnt(39) lgkmcnt(0)
	v_mul_f32_e32 v31, v26, v188
	s_waitcnt vmcnt(38)
	v_fmac_f32_e32 v31, v27, v189
	v_add_f32_e32 v34, v30, v31
	ds_read2_b64 v[30:33], v16 offset0:75 offset1:76
	s_waitcnt vmcnt(37)
	v_mul_f32_e32 v35, v28, v190
	s_waitcnt vmcnt(36)
	v_fmac_f32_e32 v35, v29, v191
	v_add_f32_e32 v38, v34, v35
	ds_read2_b64 v[34:37], v16 offset0:77 offset1:78
	s_waitcnt vmcnt(34) lgkmcnt(1)
	v_mul_f32_e32 v39, v30, v193
	v_fmac_f32_e32 v39, v31, v192
	v_add_f32_e32 v38, v38, v39
	s_waitcnt vmcnt(31)
	v_mul_f32_e32 v39, v32, v194
	s_waitcnt vmcnt(30)
	v_fmac_f32_e32 v39, v33, v195
	v_add_f32_e32 v38, v38, v39
	s_waitcnt vmcnt(28) lgkmcnt(0)
	v_mul_f32_e32 v39, v34, v197
	v_fmac_f32_e32 v39, v35, v196
	v_add_f32_e32 v42, v38, v39
	ds_read2_b64 v[38:41], v16 offset0:79 offset1:80
	s_waitcnt vmcnt(26)
	v_mul_f32_e32 v43, v36, v199
	v_fmac_f32_e32 v43, v37, v198
	v_add_f32_e32 v46, v42, v43
	ds_read2_b64 v[42:45], v16 offset0:81 offset1:82
	s_waitcnt vmcnt(24) lgkmcnt(1)
	v_mul_f32_e32 v47, v38, v201
	v_fmac_f32_e32 v47, v39, v200
	v_add_f32_e32 v46, v46, v47
	s_waitcnt vmcnt(22)
	v_mul_f32_e32 v47, v40, v203
	v_fmac_f32_e32 v47, v41, v202
	v_add_f32_e32 v46, v46, v47
	s_waitcnt vmcnt(20) lgkmcnt(0)
	v_mul_f32_e32 v47, v42, v205
	v_fmac_f32_e32 v47, v43, v204
	v_add_f32_e32 v50, v46, v47
	ds_read2_b64 v[46:49], v16 offset0:83 offset1:84
	s_waitcnt vmcnt(18)
	v_mul_f32_e32 v51, v44, v207
	v_fmac_f32_e32 v51, v45, v206
	v_add_f32_e32 v54, v50, v51
	ds_read2_b64 v[50:53], v16 offset0:85 offset1:86
	s_waitcnt vmcnt(16) lgkmcnt(1)
	v_mul_f32_e32 v55, v46, v209
	v_fmac_f32_e32 v55, v47, v208
	v_add_f32_e32 v54, v54, v55
	s_waitcnt vmcnt(14)
	v_mul_f32_e32 v55, v48, v211
	;; [unrolled: 18-line block ×3, first 2 shown]
	v_fmac_f32_e32 v63, v57, v218
	v_add_f32_e32 v62, v62, v63
	s_waitcnt vmcnt(4) lgkmcnt(0)
	v_mul_f32_e32 v63, v58, v221
	v_fmac_f32_e32 v63, v59, v220
	v_add_f32_e32 v71, v62, v63
	ds_read2_b64 v[62:65], v16 offset0:91 offset1:92
	buffer_load_dword v73, off, s[0:3], 0 offset:348
	buffer_load_dword v72, off, s[0:3], 0 offset:344
	;; [unrolled: 1-line block ×4, first 2 shown]
	ds_read2_b64 v[66:69], v16 offset0:93 offset1:94
	buffer_load_dword v81, off, s[0:3], 0 offset:380
	buffer_load_dword v80, off, s[0:3], 0 offset:376
	;; [unrolled: 1-line block ×12, first 2 shown]
	v_mul_f32_e32 v3, v3, v17
	v_fma_f32 v2, v2, v95, -v3
	v_mul_f32_e32 v3, v5, v70
	v_add_f32_e32 v2, 0, v2
	v_fma_f32 v3, v4, v96, -v3
	v_add_f32_e32 v2, v2, v3
	v_mul_f32_e32 v3, v9, v76
	v_fma_f32 v3, v8, v97, -v3
	v_add_f32_e32 v2, v2, v3
	v_mul_f32_e32 v3, v11, v78
	;; [unrolled: 3-line block ×25, first 2 shown]
	v_fma_f32 v3, v58, v220, -v3
	s_waitcnt vmcnt(13)
	v_mov_b32_e32 v18, v75
	v_mul_f32_e32 v77, v60, v223
	v_add_f32_e32 v70, v2, v3
	v_mul_f32_e32 v2, v61, v223
	s_waitcnt lgkmcnt(1)
	v_pk_mul_f32 v[18:19], v[64:65], v[18:19] op_sel_hi:[1,0]
	v_fmac_f32_e32 v77, v61, v222
	v_mul_f32_e32 v79, v62, v225
	v_fma_f32 v76, v60, v222, -v2
	v_mul_f32_e32 v2, v63, v225
	s_waitcnt vmcnt(12)
	v_pk_fma_f32 v[20:21], v[64:65], v[74:75], v[18:19] op_sel:[0,0,1] op_sel_hi:[1,1,0] neg_lo:[0,0,1] neg_hi:[0,0,1]
	v_pk_fma_f32 v[18:19], v[64:65], v[74:75], v[18:19] op_sel:[0,0,1] op_sel_hi:[1,0,0]
	v_fmac_f32_e32 v79, v63, v224
	v_fma_f32 v78, v62, v224, -v2
	v_pk_add_f32 v[14:15], v[70:71], v[76:77]
	v_mov_b32_e32 v18, v73
	v_pk_add_f32 v[14:15], v[14:15], v[78:79]
	v_mov_b32_e32 v21, v19
	s_waitcnt lgkmcnt(0)
	v_pk_mul_f32 v[18:19], v[66:67], v[18:19] op_sel_hi:[1,0]
	v_pk_add_f32 v[14:15], v[14:15], v[20:21]
	v_pk_fma_f32 v[20:21], v[66:67], v[72:73], v[18:19] op_sel:[0,0,1] op_sel_hi:[1,1,0] neg_lo:[0,0,1] neg_hi:[0,0,1]
	v_pk_fma_f32 v[18:19], v[66:67], v[72:73], v[18:19] op_sel:[0,0,1] op_sel_hi:[1,0,0]
	s_waitcnt vmcnt(5)
	v_mov_b32_e32 v18, v87
	ds_read2_b64 v[2:5], v16 offset0:95 offset1:96
	ds_read2_b64 v[8:11], v16 offset0:97 offset1:98
	ds_read_b64 v[12:13], v16 offset:792
	v_mov_b32_e32 v21, v19
	v_pk_mul_f32 v[18:19], v[68:69], v[18:19] op_sel_hi:[1,0]
	v_pk_add_f32 v[14:15], v[14:15], v[20:21]
	s_waitcnt vmcnt(4)
	v_pk_fma_f32 v[20:21], v[68:69], v[86:87], v[18:19] op_sel:[0,0,1] op_sel_hi:[1,1,0] neg_lo:[0,0,1] neg_hi:[0,0,1]
	v_pk_fma_f32 v[18:19], v[68:69], v[86:87], v[18:19] op_sel:[0,0,1] op_sel_hi:[1,0,0]
	v_mov_b32_e32 v18, v85
	v_mov_b32_e32 v21, v19
	s_waitcnt lgkmcnt(2)
	v_pk_mul_f32 v[18:19], v[2:3], v[18:19] op_sel_hi:[1,0]
	v_pk_add_f32 v[14:15], v[14:15], v[20:21]
	v_pk_fma_f32 v[20:21], v[2:3], v[84:85], v[18:19] op_sel:[0,0,1] op_sel_hi:[1,1,0] neg_lo:[0,0,1] neg_hi:[0,0,1]
	v_pk_fma_f32 v[2:3], v[2:3], v[84:85], v[18:19] op_sel:[0,0,1] op_sel_hi:[1,0,0]
	v_mov_b32_e32 v21, v3
	v_pk_add_f32 v[2:3], v[14:15], v[20:21]
	v_mov_b32_e32 v14, v83
	v_pk_mul_f32 v[14:15], v[4:5], v[14:15] op_sel_hi:[1,0]
	v_pk_fma_f32 v[18:19], v[4:5], v[82:83], v[14:15] op_sel:[0,0,1] op_sel_hi:[1,1,0] neg_lo:[0,0,1] neg_hi:[0,0,1]
	v_pk_fma_f32 v[4:5], v[4:5], v[82:83], v[14:15] op_sel:[0,0,1] op_sel_hi:[1,0,0]
	v_mov_b32_e32 v4, v81
	v_mov_b32_e32 v19, v5
	s_waitcnt lgkmcnt(1)
	v_pk_mul_f32 v[4:5], v[8:9], v[4:5] op_sel_hi:[1,0]
	v_pk_fma_f32 v[14:15], v[8:9], v[80:81], v[4:5] op_sel:[0,0,1] op_sel_hi:[1,1,0] neg_lo:[0,0,1] neg_hi:[0,0,1]
	v_pk_fma_f32 v[4:5], v[8:9], v[80:81], v[4:5] op_sel:[0,0,1] op_sel_hi:[1,0,0]
	s_waitcnt vmcnt(1)
	v_mov_b32_e32 v4, v91
	v_mov_b32_e32 v15, v5
	v_pk_mul_f32 v[4:5], v[10:11], v[4:5] op_sel_hi:[1,0]
	s_waitcnt vmcnt(0)
	v_pk_fma_f32 v[8:9], v[10:11], v[90:91], v[4:5] op_sel:[0,0,1] op_sel_hi:[1,1,0] neg_lo:[0,0,1] neg_hi:[0,0,1]
	v_pk_fma_f32 v[4:5], v[10:11], v[90:91], v[4:5] op_sel:[0,0,1] op_sel_hi:[1,0,0]
	v_pk_add_f32 v[2:3], v[2:3], v[18:19]
	v_mov_b32_e32 v4, v89
	v_pk_add_f32 v[2:3], v[2:3], v[14:15]
	v_mov_b32_e32 v9, v5
	s_waitcnt lgkmcnt(0)
	v_pk_mul_f32 v[4:5], v[12:13], v[4:5] op_sel_hi:[1,0]
	v_pk_add_f32 v[2:3], v[2:3], v[8:9]
	v_pk_fma_f32 v[8:9], v[12:13], v[88:89], v[4:5] op_sel:[0,0,1] op_sel_hi:[1,1,0] neg_lo:[0,0,1] neg_hi:[0,0,1]
	v_pk_fma_f32 v[4:5], v[12:13], v[88:89], v[4:5] op_sel:[0,0,1] op_sel_hi:[1,0,0]
	v_mov_b32_e32 v9, v5
	v_pk_add_f32 v[2:3], v[2:3], v[8:9]
	v_pk_add_f32 v[2:3], v[6:7], v[2:3] neg_lo:[0,1] neg_hi:[0,1]
	buffer_store_dword v3, off, s[0:3], 0 offset:100
	buffer_store_dword v2, off, s[0:3], 0 offset:96
	s_and_saveexec_b64 s[4:5], vcc
	s_cbranch_execz .LBB113_291
; %bb.290:
	buffer_load_dword v2, off, s[0:3], 0 offset:88
	buffer_load_dword v3, off, s[0:3], 0 offset:92
	s_waitcnt vmcnt(0)
	ds_write_b64 v111, v[2:3]
	buffer_store_dword v16, off, s[0:3], 0 offset:88
	buffer_store_dword v16, off, s[0:3], 0 offset:92
.LBB113_291:
	s_or_b64 exec, exec, s[4:5]
	s_waitcnt lgkmcnt(0)
	; wave barrier
	s_waitcnt lgkmcnt(0)
	buffer_load_dword v17, off, s[0:3], 0 offset:100
	buffer_load_dword v72, off, s[0:3], 0 offset:108
	buffer_load_dword v74, off, s[0:3], 0 offset:116
	buffer_load_dword v76, off, s[0:3], 0 offset:124
	buffer_load_dword v92, off, s[0:3], 0 offset:132
	buffer_load_dword v93, off, s[0:3], 0 offset:140
	buffer_load_dword v94, off, s[0:3], 0 offset:148
	buffer_load_dword v95, off, s[0:3], 0 offset:96
	buffer_load_dword v96, off, s[0:3], 0 offset:104
	buffer_load_dword v97, off, s[0:3], 0 offset:112
	buffer_load_dword v98, off, s[0:3], 0 offset:120
	buffer_load_dword v99, off, s[0:3], 0 offset:128
	buffer_load_dword v100, off, s[0:3], 0 offset:136
	buffer_load_dword v101, off, s[0:3], 0 offset:144
	buffer_load_dword v102, off, s[0:3], 0 offset:156
	buffer_load_dword v103, off, s[0:3], 0 offset:152
	buffer_load_dword v184, off, s[0:3], 0 offset:164
	buffer_load_dword v185, off, s[0:3], 0 offset:160
	buffer_load_dword v186, off, s[0:3], 0 offset:172
	buffer_load_dword v187, off, s[0:3], 0 offset:168
	buffer_load_dword v188, off, s[0:3], 0 offset:180
	buffer_load_dword v189, off, s[0:3], 0 offset:176
	buffer_load_dword v190, off, s[0:3], 0 offset:188
	buffer_load_dword v191, off, s[0:3], 0 offset:184
	buffer_load_dword v14, off, s[0:3], 0 offset:88
	buffer_load_dword v15, off, s[0:3], 0 offset:92
	buffer_load_dword v192, off, s[0:3], 0 offset:196
	buffer_load_dword v193, off, s[0:3], 0 offset:192
	buffer_load_dword v194, off, s[0:3], 0 offset:200
	buffer_load_dword v195, off, s[0:3], 0 offset:204
	buffer_load_dword v196, off, s[0:3], 0 offset:208
	buffer_load_dword v197, off, s[0:3], 0 offset:212
	ds_read_b128 v[18:21], v16 offset:496
	ds_read_b128 v[6:9], v16 offset:512
	buffer_load_dword v198, off, s[0:3], 0 offset:216
	buffer_load_dword v199, off, s[0:3], 0 offset:220
	ds_read_b128 v[10:13], v16 offset:528
	ds_read_b128 v[2:5], v16 offset:544
	buffer_load_dword v200, off, s[0:3], 0 offset:224
	buffer_load_dword v201, off, s[0:3], 0 offset:228
	;; [unrolled: 1-line block ×28, first 2 shown]
	v_cmp_lt_u32_e32 vcc, 10, v0
	s_waitcnt vmcnt(61) lgkmcnt(3)
	v_mul_f32_e32 v22, v18, v17
	s_waitcnt vmcnt(60)
	v_mul_f32_e32 v23, v20, v72
	s_waitcnt vmcnt(59) lgkmcnt(2)
	v_mul_f32_e32 v24, v6, v74
	s_waitcnt vmcnt(58)
	v_mul_f32_e32 v25, v8, v76
	;; [unrolled: 4-line block ×3, first 2 shown]
	s_waitcnt vmcnt(55) lgkmcnt(0)
	v_mul_f32_e32 v28, v2, v94
	s_waitcnt vmcnt(54)
	v_fmac_f32_e32 v22, v19, v95
	s_waitcnt vmcnt(53)
	v_fmac_f32_e32 v23, v21, v96
	v_add_f32_e32 v22, 0, v22
	s_waitcnt vmcnt(52)
	v_fmac_f32_e32 v24, v7, v97
	v_add_f32_e32 v22, v22, v23
	;; [unrolled: 3-line block ×6, first 2 shown]
	v_add_f32_e32 v26, v22, v28
	ds_read_b128 v[22:25], v16 offset:560
	s_waitcnt vmcnt(47)
	v_mul_f32_e32 v27, v4, v102
	s_waitcnt vmcnt(46)
	v_fmac_f32_e32 v27, v5, v103
	v_add_f32_e32 v30, v26, v27
	ds_read_b128 v[26:29], v16 offset:576
	s_waitcnt vmcnt(45) lgkmcnt(1)
	v_mul_f32_e32 v31, v22, v184
	s_waitcnt vmcnt(44)
	v_fmac_f32_e32 v31, v23, v185
	v_add_f32_e32 v30, v30, v31
	s_waitcnt vmcnt(43)
	v_mul_f32_e32 v31, v24, v186
	s_waitcnt vmcnt(42)
	v_fmac_f32_e32 v31, v25, v187
	v_add_f32_e32 v30, v30, v31
	s_waitcnt vmcnt(41) lgkmcnt(0)
	v_mul_f32_e32 v31, v26, v188
	s_waitcnt vmcnt(40)
	v_fmac_f32_e32 v31, v27, v189
	v_add_f32_e32 v34, v30, v31
	ds_read_b128 v[30:33], v16 offset:592
	s_waitcnt vmcnt(39)
	v_mul_f32_e32 v35, v28, v190
	s_waitcnt vmcnt(38)
	v_fmac_f32_e32 v35, v29, v191
	v_add_f32_e32 v38, v34, v35
	ds_read_b128 v[34:37], v16 offset:608
	s_waitcnt vmcnt(35) lgkmcnt(1)
	v_mul_f32_e32 v39, v30, v192
	s_waitcnt vmcnt(34)
	v_fmac_f32_e32 v39, v31, v193
	v_add_f32_e32 v38, v38, v39
	s_waitcnt vmcnt(32)
	v_mul_f32_e32 v39, v32, v195
	v_fmac_f32_e32 v39, v33, v194
	v_add_f32_e32 v38, v38, v39
	s_waitcnt vmcnt(30) lgkmcnt(0)
	v_mul_f32_e32 v39, v34, v197
	v_fmac_f32_e32 v39, v35, v196
	v_add_f32_e32 v42, v38, v39
	ds_read_b128 v[38:41], v16 offset:624
	s_waitcnt vmcnt(28)
	v_mul_f32_e32 v43, v36, v199
	v_fmac_f32_e32 v43, v37, v198
	v_add_f32_e32 v46, v42, v43
	ds_read_b128 v[42:45], v16 offset:640
	s_waitcnt vmcnt(26) lgkmcnt(1)
	v_mul_f32_e32 v47, v38, v201
	v_fmac_f32_e32 v47, v39, v200
	v_add_f32_e32 v46, v46, v47
	s_waitcnt vmcnt(24)
	v_mul_f32_e32 v47, v40, v203
	v_fmac_f32_e32 v47, v41, v202
	v_add_f32_e32 v46, v46, v47
	s_waitcnt vmcnt(22) lgkmcnt(0)
	v_mul_f32_e32 v47, v42, v205
	v_fmac_f32_e32 v47, v43, v204
	v_add_f32_e32 v50, v46, v47
	ds_read_b128 v[46:49], v16 offset:656
	s_waitcnt vmcnt(20)
	v_mul_f32_e32 v51, v44, v207
	v_fmac_f32_e32 v51, v45, v206
	v_add_f32_e32 v54, v50, v51
	ds_read_b128 v[50:53], v16 offset:672
	s_waitcnt vmcnt(18) lgkmcnt(1)
	v_mul_f32_e32 v55, v46, v209
	v_fmac_f32_e32 v55, v47, v208
	v_add_f32_e32 v54, v54, v55
	s_waitcnt vmcnt(16)
	v_mul_f32_e32 v55, v48, v211
	v_fmac_f32_e32 v55, v49, v210
	v_add_f32_e32 v54, v54, v55
	s_waitcnt vmcnt(14) lgkmcnt(0)
	v_mul_f32_e32 v55, v50, v213
	v_fmac_f32_e32 v55, v51, v212
	v_add_f32_e32 v58, v54, v55
	ds_read_b128 v[54:57], v16 offset:688
	s_waitcnt vmcnt(12)
	v_mul_f32_e32 v59, v52, v215
	v_fmac_f32_e32 v59, v53, v214
	v_add_f32_e32 v62, v58, v59
	ds_read_b128 v[58:61], v16 offset:704
	buffer_load_dword v71, off, s[0:3], 0 offset:340
	buffer_load_dword v70, off, s[0:3], 0 offset:336
	s_waitcnt vmcnt(12) lgkmcnt(1)
	v_mul_f32_e32 v63, v54, v217
	v_fmac_f32_e32 v63, v55, v216
	v_add_f32_e32 v62, v62, v63
	s_waitcnt vmcnt(10)
	v_mul_f32_e32 v63, v56, v219
	v_fmac_f32_e32 v63, v57, v218
	v_add_f32_e32 v62, v62, v63
	s_waitcnt vmcnt(8) lgkmcnt(0)
	v_mul_f32_e32 v63, v58, v221
	v_fmac_f32_e32 v63, v59, v220
	s_waitcnt vmcnt(6)
	v_mul_f32_e32 v67, v60, v223
	v_add_f32_e32 v66, v62, v63
	v_fmac_f32_e32 v67, v61, v222
	ds_read_b128 v[62:65], v16 offset:720
	v_add_f32_e32 v73, v66, v67
	ds_read_b128 v[66:69], v16 offset:736
	buffer_load_dword v79, off, s[0:3], 0 offset:372
	buffer_load_dword v78, off, s[0:3], 0 offset:368
	;; [unrolled: 1-line block ×14, first 2 shown]
	v_mul_f32_e32 v17, v19, v17
	v_fma_f32 v17, v18, v95, -v17
	v_mul_f32_e32 v18, v21, v72
	v_add_f32_e32 v17, 0, v17
	v_fma_f32 v18, v20, v96, -v18
	v_mul_f32_e32 v7, v7, v74
	v_add_f32_e32 v17, v17, v18
	;; [unrolled: 3-line block ×3, first 2 shown]
	v_fma_f32 v7, v8, v98, -v7
	v_add_f32_e32 v6, v6, v7
	v_mul_f32_e32 v7, v11, v92
	v_fma_f32 v7, v10, v99, -v7
	v_add_f32_e32 v6, v6, v7
	v_mul_f32_e32 v7, v13, v93
	v_fma_f32 v7, v12, v100, -v7
	v_mul_f32_e32 v3, v3, v94
	v_add_f32_e32 v6, v6, v7
	v_fma_f32 v2, v2, v101, -v3
	v_mul_f32_e32 v3, v5, v102
	v_add_f32_e32 v2, v6, v2
	v_fma_f32 v3, v4, v103, -v3
	v_add_f32_e32 v2, v2, v3
	v_mul_f32_e32 v3, v23, v184
	v_fma_f32 v3, v22, v185, -v3
	v_add_f32_e32 v2, v2, v3
	v_mul_f32_e32 v3, v25, v186
	;; [unrolled: 3-line block ×20, first 2 shown]
	v_fma_f32 v3, v60, v222, -v3
	s_waitcnt vmcnt(15)
	v_mov_b32_e32 v18, v71
	s_waitcnt lgkmcnt(1)
	v_mul_f32_e32 v75, v62, v225
	v_add_f32_e32 v72, v2, v3
	v_mul_f32_e32 v2, v63, v225
	s_waitcnt lgkmcnt(0)
	v_pk_mul_f32 v[18:19], v[66:67], v[18:19] op_sel_hi:[1,0]
	v_fmac_f32_e32 v75, v63, v224
	v_mul_f32_e32 v77, v64, v227
	v_fma_f32 v74, v62, v224, -v2
	v_mul_f32_e32 v2, v65, v227
	s_waitcnt vmcnt(14)
	v_pk_fma_f32 v[20:21], v[66:67], v[70:71], v[18:19] op_sel:[0,0,1] op_sel_hi:[1,1,0] neg_lo:[0,0,1] neg_hi:[0,0,1]
	v_pk_fma_f32 v[18:19], v[66:67], v[70:71], v[18:19] op_sel:[0,0,1] op_sel_hi:[1,0,0]
	v_fmac_f32_e32 v77, v65, v226
	v_fma_f32 v76, v64, v226, -v2
	ds_read_b128 v[2:5], v16 offset:752
	ds_read_b128 v[6:9], v16 offset:768
	;; [unrolled: 1-line block ×3, first 2 shown]
	v_pk_add_f32 v[16:17], v[72:73], v[74:75]
	s_waitcnt vmcnt(7)
	v_mov_b32_e32 v18, v85
	v_pk_add_f32 v[16:17], v[16:17], v[76:77]
	v_mov_b32_e32 v21, v19
	v_pk_mul_f32 v[18:19], v[68:69], v[18:19] op_sel_hi:[1,0]
	v_pk_add_f32 v[16:17], v[16:17], v[20:21]
	s_waitcnt vmcnt(6)
	v_pk_fma_f32 v[20:21], v[68:69], v[84:85], v[18:19] op_sel:[0,0,1] op_sel_hi:[1,1,0] neg_lo:[0,0,1] neg_hi:[0,0,1]
	v_pk_fma_f32 v[18:19], v[68:69], v[84:85], v[18:19] op_sel:[0,0,1] op_sel_hi:[1,0,0]
	v_mov_b32_e32 v18, v83
	v_mov_b32_e32 v21, v19
	s_waitcnt lgkmcnt(2)
	v_pk_mul_f32 v[18:19], v[2:3], v[18:19] op_sel_hi:[1,0]
	v_pk_add_f32 v[16:17], v[16:17], v[20:21]
	v_pk_fma_f32 v[20:21], v[2:3], v[82:83], v[18:19] op_sel:[0,0,1] op_sel_hi:[1,1,0] neg_lo:[0,0,1] neg_hi:[0,0,1]
	v_pk_fma_f32 v[2:3], v[2:3], v[82:83], v[18:19] op_sel:[0,0,1] op_sel_hi:[1,0,0]
	v_mov_b32_e32 v21, v3
	v_pk_add_f32 v[2:3], v[16:17], v[20:21]
	v_mov_b32_e32 v16, v81
	v_pk_mul_f32 v[16:17], v[4:5], v[16:17] op_sel_hi:[1,0]
	v_pk_fma_f32 v[18:19], v[4:5], v[80:81], v[16:17] op_sel:[0,0,1] op_sel_hi:[1,1,0] neg_lo:[0,0,1] neg_hi:[0,0,1]
	v_pk_fma_f32 v[4:5], v[4:5], v[80:81], v[16:17] op_sel:[0,0,1] op_sel_hi:[1,0,0]
	v_mov_b32_e32 v4, v79
	v_mov_b32_e32 v19, v5
	s_waitcnt lgkmcnt(1)
	v_pk_mul_f32 v[4:5], v[6:7], v[4:5] op_sel_hi:[1,0]
	v_pk_fma_f32 v[16:17], v[6:7], v[78:79], v[4:5] op_sel:[0,0,1] op_sel_hi:[1,1,0] neg_lo:[0,0,1] neg_hi:[0,0,1]
	v_pk_fma_f32 v[4:5], v[6:7], v[78:79], v[4:5] op_sel:[0,0,1] op_sel_hi:[1,0,0]
	s_waitcnt vmcnt(1)
	v_mov_b32_e32 v4, v91
	v_mov_b32_e32 v17, v5
	v_pk_mul_f32 v[4:5], v[8:9], v[4:5] op_sel_hi:[1,0]
	s_waitcnt vmcnt(0)
	v_pk_fma_f32 v[6:7], v[8:9], v[90:91], v[4:5] op_sel:[0,0,1] op_sel_hi:[1,1,0] neg_lo:[0,0,1] neg_hi:[0,0,1]
	v_pk_fma_f32 v[4:5], v[8:9], v[90:91], v[4:5] op_sel:[0,0,1] op_sel_hi:[1,0,0]
	v_pk_add_f32 v[2:3], v[2:3], v[18:19]
	v_mov_b32_e32 v4, v89
	v_pk_add_f32 v[2:3], v[2:3], v[16:17]
	v_mov_b32_e32 v7, v5
	s_waitcnt lgkmcnt(0)
	v_pk_mul_f32 v[4:5], v[10:11], v[4:5] op_sel_hi:[1,0]
	v_pk_add_f32 v[2:3], v[2:3], v[6:7]
	v_pk_fma_f32 v[6:7], v[10:11], v[88:89], v[4:5] op_sel:[0,0,1] op_sel_hi:[1,1,0] neg_lo:[0,0,1] neg_hi:[0,0,1]
	v_pk_fma_f32 v[4:5], v[10:11], v[88:89], v[4:5] op_sel:[0,0,1] op_sel_hi:[1,0,0]
	v_mov_b32_e32 v4, v87
	v_mov_b32_e32 v7, v5
	v_pk_mul_f32 v[4:5], v[12:13], v[4:5] op_sel_hi:[1,0]
	v_pk_add_f32 v[2:3], v[2:3], v[6:7]
	v_pk_fma_f32 v[6:7], v[12:13], v[86:87], v[4:5] op_sel:[0,0,1] op_sel_hi:[1,1,0] neg_lo:[0,0,1] neg_hi:[0,0,1]
	v_pk_fma_f32 v[4:5], v[12:13], v[86:87], v[4:5] op_sel:[0,0,1] op_sel_hi:[1,0,0]
	v_mov_b32_e32 v7, v5
	v_pk_add_f32 v[2:3], v[2:3], v[6:7]
	v_pk_add_f32 v[2:3], v[14:15], v[2:3] neg_lo:[0,1] neg_hi:[0,1]
	buffer_store_dword v3, off, s[0:3], 0 offset:92
	buffer_store_dword v2, off, s[0:3], 0 offset:88
	s_and_saveexec_b64 s[4:5], vcc
	s_cbranch_execz .LBB113_293
; %bb.292:
	buffer_load_dword v2, off, s[0:3], 0 offset:80
	buffer_load_dword v3, off, s[0:3], 0 offset:84
	v_mov_b32_e32 v4, 0
	buffer_store_dword v4, off, s[0:3], 0 offset:80
	buffer_store_dword v4, off, s[0:3], 0 offset:84
	s_waitcnt vmcnt(2)
	ds_write_b64 v111, v[2:3]
.LBB113_293:
	s_or_b64 exec, exec, s[4:5]
	s_waitcnt lgkmcnt(0)
	; wave barrier
	s_waitcnt lgkmcnt(0)
	buffer_load_dword v21, off, s[0:3], 0 offset:92
	buffer_load_dword v70, off, s[0:3], 0 offset:100
	;; [unrolled: 1-line block ×48, first 2 shown]
	v_mov_b32_e32 v20, 0
	ds_read2_b64 v[4:7], v20 offset0:61 offset1:62
	buffer_load_dword v214, off, s[0:3], 0 offset:272
	buffer_load_dword v215, off, s[0:3], 0 offset:276
	;; [unrolled: 1-line block ×8, first 2 shown]
	ds_read2_b64 v[8:11], v20 offset0:63 offset1:64
	ds_read2_b64 v[12:15], v20 offset0:65 offset1:66
	;; [unrolled: 1-line block ×3, first 2 shown]
	buffer_load_dword v222, off, s[0:3], 0 offset:304
	buffer_load_dword v223, off, s[0:3], 0 offset:308
	buffer_load_dword v224, off, s[0:3], 0 offset:312
	buffer_load_dword v225, off, s[0:3], 0 offset:316
	buffer_load_dword v226, off, s[0:3], 0 offset:320
	buffer_load_dword v227, off, s[0:3], 0 offset:324
	buffer_load_dword v228, off, s[0:3], 0 offset:328
	buffer_load_dword v229, off, s[0:3], 0 offset:332
	v_cmp_lt_u32_e32 vcc, 9, v0
	s_waitcnt vmcnt(62) lgkmcnt(3)
	v_mul_f32_e32 v22, v4, v21
	v_mul_f32_e32 v23, v6, v70
	s_waitcnt vmcnt(61) lgkmcnt(2)
	v_mul_f32_e32 v24, v8, v72
	s_waitcnt vmcnt(60)
	v_mul_f32_e32 v25, v10, v74
	s_waitcnt vmcnt(59) lgkmcnt(1)
	v_mul_f32_e32 v26, v12, v92
	s_waitcnt vmcnt(58)
	;; [unrolled: 4-line block ×3, first 2 shown]
	v_fmac_f32_e32 v22, v5, v95
	s_waitcnt vmcnt(55)
	v_fmac_f32_e32 v23, v7, v96
	v_add_f32_e32 v22, 0, v22
	s_waitcnt vmcnt(54)
	v_fmac_f32_e32 v24, v9, v97
	v_add_f32_e32 v22, v22, v23
	;; [unrolled: 3-line block ×6, first 2 shown]
	v_add_f32_e32 v26, v22, v28
	ds_read2_b64 v[22:25], v20 offset0:69 offset1:70
	s_waitcnt vmcnt(49)
	v_mul_f32_e32 v27, v18, v102
	s_waitcnt vmcnt(48)
	v_fmac_f32_e32 v27, v19, v103
	v_add_f32_e32 v30, v26, v27
	ds_read2_b64 v[26:29], v20 offset0:71 offset1:72
	s_waitcnt vmcnt(47) lgkmcnt(1)
	v_mul_f32_e32 v31, v22, v184
	s_waitcnt vmcnt(46)
	v_fmac_f32_e32 v31, v23, v185
	v_add_f32_e32 v30, v30, v31
	s_waitcnt vmcnt(45)
	v_mul_f32_e32 v31, v24, v186
	s_waitcnt vmcnt(44)
	v_fmac_f32_e32 v31, v25, v187
	v_add_f32_e32 v30, v30, v31
	s_waitcnt vmcnt(42) lgkmcnt(0)
	v_mul_f32_e32 v31, v26, v189
	v_fmac_f32_e32 v31, v27, v188
	v_add_f32_e32 v34, v30, v31
	ds_read2_b64 v[30:33], v20 offset0:73 offset1:74
	s_waitcnt vmcnt(38)
	v_mul_f32_e32 v35, v28, v191
	v_fmac_f32_e32 v35, v29, v190
	v_add_f32_e32 v38, v34, v35
	ds_read2_b64 v[34:37], v20 offset0:75 offset1:76
	s_waitcnt vmcnt(36) lgkmcnt(1)
	v_mul_f32_e32 v39, v30, v193
	v_fmac_f32_e32 v39, v31, v192
	v_add_f32_e32 v38, v38, v39
	s_waitcnt vmcnt(34)
	v_mul_f32_e32 v39, v32, v195
	v_fmac_f32_e32 v39, v33, v194
	v_add_f32_e32 v38, v38, v39
	s_waitcnt vmcnt(32) lgkmcnt(0)
	v_mul_f32_e32 v39, v34, v197
	v_fmac_f32_e32 v39, v35, v196
	v_add_f32_e32 v42, v38, v39
	ds_read2_b64 v[38:41], v20 offset0:77 offset1:78
	s_waitcnt vmcnt(30)
	v_mul_f32_e32 v43, v36, v199
	v_fmac_f32_e32 v43, v37, v198
	v_add_f32_e32 v46, v42, v43
	ds_read2_b64 v[42:45], v20 offset0:79 offset1:80
	s_waitcnt vmcnt(28) lgkmcnt(1)
	v_mul_f32_e32 v47, v38, v201
	v_fmac_f32_e32 v47, v39, v200
	v_add_f32_e32 v46, v46, v47
	s_waitcnt vmcnt(26)
	v_mul_f32_e32 v47, v40, v203
	v_fmac_f32_e32 v47, v41, v202
	v_add_f32_e32 v46, v46, v47
	s_waitcnt vmcnt(24) lgkmcnt(0)
	v_mul_f32_e32 v47, v42, v205
	v_fmac_f32_e32 v47, v43, v204
	v_add_f32_e32 v50, v46, v47
	ds_read2_b64 v[46:49], v20 offset0:81 offset1:82
	s_waitcnt vmcnt(22)
	v_mul_f32_e32 v51, v44, v207
	v_fmac_f32_e32 v51, v45, v206
	v_add_f32_e32 v54, v50, v51
	ds_read2_b64 v[50:53], v20 offset0:83 offset1:84
	s_waitcnt vmcnt(20) lgkmcnt(1)
	v_mul_f32_e32 v55, v46, v209
	v_fmac_f32_e32 v55, v47, v208
	v_add_f32_e32 v54, v54, v55
	s_waitcnt vmcnt(18)
	v_mul_f32_e32 v55, v48, v211
	v_fmac_f32_e32 v55, v49, v210
	v_add_f32_e32 v54, v54, v55
	s_waitcnt vmcnt(16) lgkmcnt(0)
	v_mul_f32_e32 v55, v50, v213
	v_fmac_f32_e32 v55, v51, v212
	v_add_f32_e32 v58, v54, v55
	ds_read2_b64 v[54:57], v20 offset0:85 offset1:86
	s_waitcnt vmcnt(14)
	v_mul_f32_e32 v59, v52, v215
	v_fmac_f32_e32 v59, v53, v214
	v_add_f32_e32 v62, v58, v59
	ds_read2_b64 v[58:61], v20 offset0:87 offset1:88
	s_waitcnt vmcnt(12) lgkmcnt(1)
	v_mul_f32_e32 v63, v54, v217
	v_fmac_f32_e32 v63, v55, v216
	v_add_f32_e32 v62, v62, v63
	s_waitcnt vmcnt(10)
	v_mul_f32_e32 v63, v56, v219
	v_fmac_f32_e32 v63, v57, v218
	v_add_f32_e32 v62, v62, v63
	s_waitcnt vmcnt(8) lgkmcnt(0)
	v_mul_f32_e32 v63, v58, v221
	v_fmac_f32_e32 v63, v59, v220
	s_waitcnt vmcnt(6)
	v_mul_f32_e32 v67, v60, v223
	v_add_f32_e32 v66, v62, v63
	v_fmac_f32_e32 v67, v61, v222
	ds_read2_b64 v[62:65], v20 offset0:89 offset1:90
	v_add_f32_e32 v71, v66, v67
	ds_read2_b64 v[66:69], v20 offset0:91 offset1:92
	buffer_load_dword v77, off, s[0:3], 0 offset:364
	buffer_load_dword v76, off, s[0:3], 0 offset:360
	;; [unrolled: 1-line block ×16, first 2 shown]
	v_mul_f32_e32 v5, v5, v21
	v_fma_f32 v4, v4, v95, -v5
	v_mul_f32_e32 v5, v7, v70
	v_add_f32_e32 v4, 0, v4
	v_fma_f32 v5, v6, v96, -v5
	v_add_f32_e32 v4, v4, v5
	v_mul_f32_e32 v5, v9, v72
	v_fma_f32 v5, v8, v97, -v5
	v_add_f32_e32 v4, v4, v5
	v_mul_f32_e32 v5, v11, v74
	;; [unrolled: 3-line block ×26, first 2 shown]
	v_fma_f32 v5, v60, v222, -v5
	v_add_f32_e32 v4, v4, v5
	s_waitcnt vmcnt(20) lgkmcnt(1)
	v_mul_f32_e32 v5, v63, v225
	v_mul_f32_e32 v73, v62, v225
	v_fma_f32 v5, v62, v224, -v5
	v_fmac_f32_e32 v73, v63, v224
	v_add_f32_e32 v70, v4, v5
	s_waitcnt vmcnt(18)
	v_mul_f32_e32 v4, v65, v227
	s_waitcnt vmcnt(9)
	v_mov_b32_e32 v22, v83
	v_add_f32_e32 v71, v71, v73
	v_mul_f32_e32 v73, v64, v227
	v_fma_f32 v72, v64, v226, -v4
	s_waitcnt lgkmcnt(0)
	v_mul_f32_e32 v4, v67, v229
	v_pk_mul_f32 v[22:23], v[68:69], v[22:23] op_sel_hi:[1,0]
	v_fmac_f32_e32 v73, v65, v226
	v_mul_f32_e32 v75, v66, v229
	v_fma_f32 v74, v66, v228, -v4
	ds_read2_b64 v[4:7], v20 offset0:93 offset1:94
	ds_read2_b64 v[8:11], v20 offset0:95 offset1:96
	;; [unrolled: 1-line block ×3, first 2 shown]
	ds_read_b64 v[16:17], v20 offset:792
	s_waitcnt vmcnt(8)
	v_pk_fma_f32 v[24:25], v[68:69], v[82:83], v[22:23] op_sel:[0,0,1] op_sel_hi:[1,1,0] neg_lo:[0,0,1] neg_hi:[0,0,1]
	v_pk_fma_f32 v[22:23], v[68:69], v[82:83], v[22:23] op_sel:[0,0,1] op_sel_hi:[1,0,0]
	v_fmac_f32_e32 v75, v67, v228
	v_pk_add_f32 v[18:19], v[70:71], v[72:73]
	v_mov_b32_e32 v22, v81
	v_pk_add_f32 v[18:19], v[18:19], v[74:75]
	v_mov_b32_e32 v25, v23
	s_waitcnt lgkmcnt(3)
	v_pk_mul_f32 v[22:23], v[4:5], v[22:23] op_sel_hi:[1,0]
	v_pk_add_f32 v[18:19], v[18:19], v[24:25]
	v_pk_fma_f32 v[24:25], v[4:5], v[80:81], v[22:23] op_sel:[0,0,1] op_sel_hi:[1,1,0] neg_lo:[0,0,1] neg_hi:[0,0,1]
	v_pk_fma_f32 v[4:5], v[4:5], v[80:81], v[22:23] op_sel:[0,0,1] op_sel_hi:[1,0,0]
	v_mov_b32_e32 v25, v5
	v_pk_add_f32 v[4:5], v[18:19], v[24:25]
	v_mov_b32_e32 v18, v79
	v_pk_mul_f32 v[18:19], v[6:7], v[18:19] op_sel_hi:[1,0]
	v_pk_fma_f32 v[22:23], v[6:7], v[78:79], v[18:19] op_sel:[0,0,1] op_sel_hi:[1,1,0] neg_lo:[0,0,1] neg_hi:[0,0,1]
	v_pk_fma_f32 v[6:7], v[6:7], v[78:79], v[18:19] op_sel:[0,0,1] op_sel_hi:[1,0,0]
	v_mov_b32_e32 v6, v77
	v_mov_b32_e32 v23, v7
	s_waitcnt lgkmcnt(2)
	v_pk_mul_f32 v[6:7], v[8:9], v[6:7] op_sel_hi:[1,0]
	v_pk_fma_f32 v[18:19], v[8:9], v[76:77], v[6:7] op_sel:[0,0,1] op_sel_hi:[1,1,0] neg_lo:[0,0,1] neg_hi:[0,0,1]
	v_pk_fma_f32 v[6:7], v[8:9], v[76:77], v[6:7] op_sel:[0,0,1] op_sel_hi:[1,0,0]
	s_waitcnt vmcnt(1)
	v_mov_b32_e32 v6, v91
	v_mov_b32_e32 v19, v7
	v_pk_mul_f32 v[6:7], v[10:11], v[6:7] op_sel_hi:[1,0]
	s_waitcnt vmcnt(0)
	v_pk_fma_f32 v[8:9], v[10:11], v[90:91], v[6:7] op_sel:[0,0,1] op_sel_hi:[1,1,0] neg_lo:[0,0,1] neg_hi:[0,0,1]
	v_pk_fma_f32 v[6:7], v[10:11], v[90:91], v[6:7] op_sel:[0,0,1] op_sel_hi:[1,0,0]
	v_pk_add_f32 v[4:5], v[4:5], v[22:23]
	v_mov_b32_e32 v6, v89
	v_pk_add_f32 v[4:5], v[4:5], v[18:19]
	v_mov_b32_e32 v9, v7
	s_waitcnt lgkmcnt(1)
	v_pk_mul_f32 v[6:7], v[12:13], v[6:7] op_sel_hi:[1,0]
	v_pk_add_f32 v[4:5], v[4:5], v[8:9]
	v_pk_fma_f32 v[8:9], v[12:13], v[88:89], v[6:7] op_sel:[0,0,1] op_sel_hi:[1,1,0] neg_lo:[0,0,1] neg_hi:[0,0,1]
	v_pk_fma_f32 v[6:7], v[12:13], v[88:89], v[6:7] op_sel:[0,0,1] op_sel_hi:[1,0,0]
	v_mov_b32_e32 v6, v87
	v_mov_b32_e32 v9, v7
	v_pk_mul_f32 v[6:7], v[14:15], v[6:7] op_sel_hi:[1,0]
	v_pk_add_f32 v[4:5], v[4:5], v[8:9]
	v_pk_fma_f32 v[8:9], v[14:15], v[86:87], v[6:7] op_sel:[0,0,1] op_sel_hi:[1,1,0] neg_lo:[0,0,1] neg_hi:[0,0,1]
	v_pk_fma_f32 v[6:7], v[14:15], v[86:87], v[6:7] op_sel:[0,0,1] op_sel_hi:[1,0,0]
	v_mov_b32_e32 v6, v85
	v_mov_b32_e32 v9, v7
	s_waitcnt lgkmcnt(0)
	v_pk_mul_f32 v[6:7], v[16:17], v[6:7] op_sel_hi:[1,0]
	v_pk_add_f32 v[4:5], v[4:5], v[8:9]
	v_pk_fma_f32 v[8:9], v[16:17], v[84:85], v[6:7] op_sel:[0,0,1] op_sel_hi:[1,1,0] neg_lo:[0,0,1] neg_hi:[0,0,1]
	v_pk_fma_f32 v[6:7], v[16:17], v[84:85], v[6:7] op_sel:[0,0,1] op_sel_hi:[1,0,0]
	v_mov_b32_e32 v9, v7
	v_pk_add_f32 v[4:5], v[4:5], v[8:9]
	v_pk_add_f32 v[2:3], v[2:3], v[4:5] neg_lo:[0,1] neg_hi:[0,1]
	buffer_store_dword v3, off, s[0:3], 0 offset:84
	buffer_store_dword v2, off, s[0:3], 0 offset:80
	s_and_saveexec_b64 s[4:5], vcc
	s_cbranch_execz .LBB113_295
; %bb.294:
	buffer_load_dword v2, off, s[0:3], 0 offset:72
	buffer_load_dword v3, off, s[0:3], 0 offset:76
	s_waitcnt vmcnt(0)
	ds_write_b64 v111, v[2:3]
	buffer_store_dword v20, off, s[0:3], 0 offset:72
	buffer_store_dword v20, off, s[0:3], 0 offset:76
.LBB113_295:
	s_or_b64 exec, exec, s[4:5]
	s_waitcnt lgkmcnt(0)
	; wave barrier
	s_waitcnt lgkmcnt(0)
	buffer_load_dword v21, off, s[0:3], 0 offset:84
	buffer_load_dword v70, off, s[0:3], 0 offset:92
	;; [unrolled: 1-line block ×26, first 2 shown]
	ds_read_b128 v[14:17], v20 offset:480
	ds_read_b128 v[6:9], v20 offset:496
	buffer_load_dword v192, off, s[0:3], 0 offset:176
	buffer_load_dword v193, off, s[0:3], 0 offset:180
	ds_read_b128 v[10:13], v20 offset:512
	ds_read_b128 v[2:5], v20 offset:528
	buffer_load_dword v194, off, s[0:3], 0 offset:184
	buffer_load_dword v195, off, s[0:3], 0 offset:188
	;; [unrolled: 1-line block ×32, first 2 shown]
	v_cmp_lt_u32_e32 vcc, 8, v0
	s_waitcnt vmcnt(59) lgkmcnt(3)
	v_mul_f32_e32 v22, v14, v21
	s_waitcnt vmcnt(58)
	v_mul_f32_e32 v23, v16, v70
	s_waitcnt vmcnt(57) lgkmcnt(2)
	v_mul_f32_e32 v24, v6, v72
	s_waitcnt vmcnt(56)
	v_mul_f32_e32 v25, v8, v80
	s_waitcnt vmcnt(55) lgkmcnt(1)
	v_mul_f32_e32 v26, v10, v92
	s_waitcnt vmcnt(54)
	v_mul_f32_e32 v27, v12, v93
	s_waitcnt vmcnt(53) lgkmcnt(0)
	v_mul_f32_e32 v28, v2, v94
	s_waitcnt vmcnt(52)
	v_mul_f32_e32 v29, v4, v95
	s_waitcnt vmcnt(51)
	v_fmac_f32_e32 v22, v15, v96
	s_waitcnt vmcnt(50)
	v_fmac_f32_e32 v23, v17, v97
	v_add_f32_e32 v22, 0, v22
	s_waitcnt vmcnt(49)
	v_fmac_f32_e32 v24, v7, v98
	v_add_f32_e32 v22, v22, v23
	;; [unrolled: 3-line block ×6, first 2 shown]
	v_add_f32_e32 v26, v22, v28
	ds_read_b128 v[22:25], v20 offset:544
	s_waitcnt vmcnt(44)
	v_fmac_f32_e32 v29, v5, v103
	buffer_load_dword v226, off, s[0:3], 0 offset:312
	buffer_load_dword v227, off, s[0:3], 0 offset:316
	v_add_f32_e32 v30, v26, v29
	buffer_load_dword v228, off, s[0:3], 0 offset:320
	buffer_load_dword v229, off, s[0:3], 0 offset:324
	ds_read_b128 v[26:29], v20 offset:560
	s_waitcnt vmcnt(47) lgkmcnt(1)
	v_mul_f32_e32 v31, v22, v184
	s_waitcnt vmcnt(46)
	v_fmac_f32_e32 v31, v23, v185
	v_add_f32_e32 v30, v30, v31
	s_waitcnt vmcnt(45)
	v_mul_f32_e32 v31, v24, v186
	s_waitcnt vmcnt(44)
	v_fmac_f32_e32 v31, v25, v187
	v_add_f32_e32 v30, v30, v31
	s_waitcnt vmcnt(41) lgkmcnt(0)
	v_mul_f32_e32 v31, v26, v188
	s_waitcnt vmcnt(40)
	v_fmac_f32_e32 v31, v27, v189
	buffer_load_dword v230, off, s[0:3], 0 offset:328
	buffer_load_dword v231, off, s[0:3], 0 offset:332
	v_add_f32_e32 v34, v30, v31
	ds_read_b128 v[30:33], v20 offset:576
	s_waitcnt vmcnt(40)
	v_mul_f32_e32 v35, v28, v191
	v_fmac_f32_e32 v35, v29, v190
	v_add_f32_e32 v38, v34, v35
	ds_read_b128 v[34:37], v20 offset:592
	s_waitcnt vmcnt(38) lgkmcnt(1)
	v_mul_f32_e32 v39, v30, v193
	v_fmac_f32_e32 v39, v31, v192
	v_add_f32_e32 v38, v38, v39
	s_waitcnt vmcnt(36)
	v_mul_f32_e32 v39, v32, v195
	v_fmac_f32_e32 v39, v33, v194
	v_add_f32_e32 v38, v38, v39
	s_waitcnt vmcnt(34) lgkmcnt(0)
	v_mul_f32_e32 v39, v34, v197
	v_fmac_f32_e32 v39, v35, v196
	v_add_f32_e32 v42, v38, v39
	ds_read_b128 v[38:41], v20 offset:608
	s_waitcnt vmcnt(32)
	v_mul_f32_e32 v43, v36, v199
	v_fmac_f32_e32 v43, v37, v198
	v_add_f32_e32 v46, v42, v43
	ds_read_b128 v[42:45], v20 offset:624
	s_waitcnt vmcnt(30) lgkmcnt(1)
	v_mul_f32_e32 v47, v38, v201
	v_fmac_f32_e32 v47, v39, v200
	v_add_f32_e32 v46, v46, v47
	s_waitcnt vmcnt(28)
	v_mul_f32_e32 v47, v40, v203
	v_fmac_f32_e32 v47, v41, v202
	v_add_f32_e32 v46, v46, v47
	s_waitcnt vmcnt(26) lgkmcnt(0)
	v_mul_f32_e32 v47, v42, v205
	v_fmac_f32_e32 v47, v43, v204
	;; [unrolled: 18-line block ×4, first 2 shown]
	s_waitcnt vmcnt(8)
	v_mul_f32_e32 v67, v60, v223
	v_add_f32_e32 v66, v62, v63
	v_fmac_f32_e32 v67, v61, v222
	ds_read_b128 v[62:65], v20 offset:704
	v_add_f32_e32 v71, v66, v67
	ds_read_b128 v[66:69], v20 offset:720
	buffer_load_dword v75, off, s[0:3], 0 offset:356
	buffer_load_dword v74, off, s[0:3], 0 offset:352
	;; [unrolled: 1-line block ×16, first 2 shown]
	v_mul_f32_e32 v15, v15, v21
	v_fma_f32 v14, v14, v96, -v15
	v_mul_f32_e32 v15, v17, v70
	v_add_f32_e32 v14, 0, v14
	v_fma_f32 v15, v16, v97, -v15
	v_mul_f32_e32 v7, v7, v72
	v_add_f32_e32 v14, v14, v15
	;; [unrolled: 3-line block ×3, first 2 shown]
	v_fma_f32 v7, v8, v99, -v7
	v_add_f32_e32 v6, v6, v7
	v_mul_f32_e32 v7, v11, v92
	v_fma_f32 v7, v10, v100, -v7
	v_add_f32_e32 v6, v6, v7
	v_mul_f32_e32 v7, v13, v93
	v_fma_f32 v7, v12, v101, -v7
	v_mul_f32_e32 v3, v3, v94
	v_add_f32_e32 v6, v6, v7
	v_fma_f32 v2, v2, v102, -v3
	v_mul_f32_e32 v3, v5, v95
	v_add_f32_e32 v2, v6, v2
	v_fma_f32 v3, v4, v103, -v3
	v_add_f32_e32 v2, v2, v3
	v_mul_f32_e32 v3, v23, v184
	v_fma_f32 v3, v22, v185, -v3
	v_add_f32_e32 v2, v2, v3
	v_mul_f32_e32 v3, v25, v186
	;; [unrolled: 3-line block ×20, first 2 shown]
	v_fma_f32 v3, v60, v222, -v3
	v_add_f32_e32 v2, v2, v3
	s_waitcnt vmcnt(22) lgkmcnt(1)
	v_mul_f32_e32 v3, v63, v225
	v_fma_f32 v3, v62, v224, -v3
	v_add_f32_e32 v2, v2, v3
	s_waitcnt vmcnt(20)
	v_mul_f32_e32 v3, v65, v227
	v_mul_f32_e32 v73, v62, v225
	v_fma_f32 v3, v64, v226, -v3
	v_fmac_f32_e32 v73, v63, v224
	v_add_f32_e32 v70, v2, v3
	s_waitcnt vmcnt(18) lgkmcnt(0)
	v_mul_f32_e32 v2, v67, v229
	v_add_f32_e32 v71, v71, v73
	v_mul_f32_e32 v73, v64, v227
	v_fma_f32 v72, v66, v228, -v2
	s_waitcnt vmcnt(16)
	v_mul_f32_e32 v2, v69, v231
	v_fmac_f32_e32 v73, v65, v226
	v_fma_f32 v80, v68, v230, -v2
	ds_read_b128 v[2:5], v20 offset:736
	ds_read_b128 v[6:9], v20 offset:752
	;; [unrolled: 1-line block ×4, first 2 shown]
	v_add_f32_e32 v71, v71, v73
	v_mul_f32_e32 v73, v66, v229
	s_waitcnt vmcnt(11)
	v_mov_b32_e32 v22, v79
	v_fmac_f32_e32 v73, v67, v228
	v_mul_f32_e32 v81, v68, v231
	s_waitcnt lgkmcnt(3)
	v_pk_mul_f32 v[22:23], v[2:3], v[22:23] op_sel_hi:[1,0]
	v_fmac_f32_e32 v81, v69, v230
	v_pk_add_f32 v[20:21], v[70:71], v[72:73]
	s_waitcnt vmcnt(10)
	v_pk_fma_f32 v[24:25], v[2:3], v[78:79], v[22:23] op_sel:[0,0,1] op_sel_hi:[1,1,0] neg_lo:[0,0,1] neg_hi:[0,0,1]
	v_pk_fma_f32 v[2:3], v[2:3], v[78:79], v[22:23] op_sel:[0,0,1] op_sel_hi:[1,0,0]
	v_pk_add_f32 v[20:21], v[20:21], v[80:81]
	v_mov_b32_e32 v25, v3
	v_pk_add_f32 v[2:3], v[20:21], v[24:25]
	v_mov_b32_e32 v20, v77
	v_pk_mul_f32 v[20:21], v[4:5], v[20:21] op_sel_hi:[1,0]
	v_pk_fma_f32 v[22:23], v[4:5], v[76:77], v[20:21] op_sel:[0,0,1] op_sel_hi:[1,1,0] neg_lo:[0,0,1] neg_hi:[0,0,1]
	v_pk_fma_f32 v[4:5], v[4:5], v[76:77], v[20:21] op_sel:[0,0,1] op_sel_hi:[1,0,0]
	v_mov_b32_e32 v4, v75
	v_mov_b32_e32 v23, v5
	s_waitcnt lgkmcnt(2)
	v_pk_mul_f32 v[4:5], v[6:7], v[4:5] op_sel_hi:[1,0]
	v_pk_fma_f32 v[20:21], v[6:7], v[74:75], v[4:5] op_sel:[0,0,1] op_sel_hi:[1,1,0] neg_lo:[0,0,1] neg_hi:[0,0,1]
	v_pk_fma_f32 v[4:5], v[6:7], v[74:75], v[4:5] op_sel:[0,0,1] op_sel_hi:[1,0,0]
	s_waitcnt vmcnt(3)
	v_mov_b32_e32 v4, v89
	v_mov_b32_e32 v21, v5
	v_pk_mul_f32 v[4:5], v[8:9], v[4:5] op_sel_hi:[1,0]
	s_waitcnt vmcnt(2)
	v_pk_fma_f32 v[6:7], v[8:9], v[88:89], v[4:5] op_sel:[0,0,1] op_sel_hi:[1,1,0] neg_lo:[0,0,1] neg_hi:[0,0,1]
	v_pk_fma_f32 v[4:5], v[8:9], v[88:89], v[4:5] op_sel:[0,0,1] op_sel_hi:[1,0,0]
	v_pk_add_f32 v[2:3], v[2:3], v[22:23]
	v_mov_b32_e32 v4, v87
	v_pk_add_f32 v[2:3], v[2:3], v[20:21]
	v_mov_b32_e32 v7, v5
	s_waitcnt lgkmcnt(1)
	v_pk_mul_f32 v[4:5], v[10:11], v[4:5] op_sel_hi:[1,0]
	v_pk_add_f32 v[2:3], v[2:3], v[6:7]
	v_pk_fma_f32 v[6:7], v[10:11], v[86:87], v[4:5] op_sel:[0,0,1] op_sel_hi:[1,1,0] neg_lo:[0,0,1] neg_hi:[0,0,1]
	v_pk_fma_f32 v[4:5], v[10:11], v[86:87], v[4:5] op_sel:[0,0,1] op_sel_hi:[1,0,0]
	v_mov_b32_e32 v4, v85
	v_mov_b32_e32 v7, v5
	v_pk_mul_f32 v[4:5], v[12:13], v[4:5] op_sel_hi:[1,0]
	v_pk_add_f32 v[2:3], v[2:3], v[6:7]
	v_pk_fma_f32 v[6:7], v[12:13], v[84:85], v[4:5] op_sel:[0,0,1] op_sel_hi:[1,1,0] neg_lo:[0,0,1] neg_hi:[0,0,1]
	v_pk_fma_f32 v[4:5], v[12:13], v[84:85], v[4:5] op_sel:[0,0,1] op_sel_hi:[1,0,0]
	v_mov_b32_e32 v4, v83
	v_mov_b32_e32 v7, v5
	s_waitcnt lgkmcnt(0)
	v_pk_mul_f32 v[4:5], v[14:15], v[4:5] op_sel_hi:[1,0]
	v_pk_add_f32 v[2:3], v[2:3], v[6:7]
	v_pk_fma_f32 v[6:7], v[14:15], v[82:83], v[4:5] op_sel:[0,0,1] op_sel_hi:[1,1,0] neg_lo:[0,0,1] neg_hi:[0,0,1]
	v_pk_fma_f32 v[4:5], v[14:15], v[82:83], v[4:5] op_sel:[0,0,1] op_sel_hi:[1,0,0]
	s_waitcnt vmcnt(1)
	v_mov_b32_e32 v4, v91
	v_mov_b32_e32 v7, v5
	v_pk_mul_f32 v[4:5], v[16:17], v[4:5] op_sel_hi:[1,0]
	v_pk_add_f32 v[2:3], v[2:3], v[6:7]
	s_waitcnt vmcnt(0)
	v_pk_fma_f32 v[6:7], v[16:17], v[90:91], v[4:5] op_sel:[0,0,1] op_sel_hi:[1,1,0] neg_lo:[0,0,1] neg_hi:[0,0,1]
	v_pk_fma_f32 v[4:5], v[16:17], v[90:91], v[4:5] op_sel:[0,0,1] op_sel_hi:[1,0,0]
	v_mov_b32_e32 v7, v5
	v_pk_add_f32 v[2:3], v[2:3], v[6:7]
	v_pk_add_f32 v[2:3], v[18:19], v[2:3] neg_lo:[0,1] neg_hi:[0,1]
	buffer_store_dword v3, off, s[0:3], 0 offset:76
	buffer_store_dword v2, off, s[0:3], 0 offset:72
	s_and_saveexec_b64 s[4:5], vcc
	s_cbranch_execz .LBB113_297
; %bb.296:
	buffer_load_dword v2, off, s[0:3], 0 offset:64
	buffer_load_dword v3, off, s[0:3], 0 offset:68
	v_mov_b32_e32 v4, 0
	buffer_store_dword v4, off, s[0:3], 0 offset:64
	buffer_store_dword v4, off, s[0:3], 0 offset:68
	s_waitcnt vmcnt(2)
	ds_write_b64 v111, v[2:3]
.LBB113_297:
	s_or_b64 exec, exec, s[4:5]
	v_mov_b32_e32 v194, 0
	s_waitcnt lgkmcnt(0)
	; wave barrier
	s_waitcnt lgkmcnt(0)
	ds_read2_b64 v[2:5], v194 offset0:59 offset1:60
	buffer_load_dword v70, off, s[0:3], 0 offset:64
	buffer_load_dword v71, off, s[0:3], 0 offset:68
	;; [unrolled: 1-line block ×16, first 2 shown]
	v_cmp_lt_u32_e32 vcc, 7, v0
	s_waitcnt vmcnt(12) lgkmcnt(0)
	v_mul_f32_e32 v6, v2, v195
	v_fmac_f32_e32 v6, v3, v72
	s_waitcnt vmcnt(10)
	v_mul_f32_e32 v7, v4, v197
	v_add_f32_e32 v6, 0, v6
	v_fmac_f32_e32 v7, v5, v74
	v_add_f32_e32 v10, v6, v7
	ds_read2_b64 v[6:9], v194 offset0:61 offset1:62
	v_mul_f32_e32 v3, v3, v195
	v_fma_f32 v2, v2, v72, -v3
	v_mul_f32_e32 v3, v5, v197
	v_add_f32_e32 v2, 0, v2
	s_waitcnt vmcnt(8) lgkmcnt(0)
	v_mul_f32_e32 v11, v6, v199
	v_fmac_f32_e32 v11, v7, v78
	v_add_f32_e32 v10, v10, v11
	s_waitcnt vmcnt(6)
	v_mul_f32_e32 v11, v8, v201
	v_fmac_f32_e32 v11, v9, v196
	v_add_f32_e32 v14, v10, v11
	ds_read2_b64 v[10:13], v194 offset0:63 offset1:64
	v_fma_f32 v3, v4, v74, -v3
	v_add_f32_e32 v2, v2, v3
	v_mul_f32_e32 v3, v7, v199
	v_fma_f32 v3, v6, v78, -v3
	s_waitcnt vmcnt(4) lgkmcnt(0)
	v_mul_f32_e32 v15, v10, v203
	v_fmac_f32_e32 v15, v11, v198
	v_add_f32_e32 v14, v14, v15
	s_waitcnt vmcnt(2)
	v_mul_f32_e32 v15, v12, v204
	v_fmac_f32_e32 v15, v13, v200
	v_add_f32_e32 v18, v14, v15
	ds_read2_b64 v[14:17], v194 offset0:65 offset1:66
	buffer_load_dword v206, off, s[0:3], 0 offset:128
	buffer_load_dword v207, off, s[0:3], 0 offset:132
	v_add_f32_e32 v2, v2, v3
	v_mul_f32_e32 v3, v9, v201
	v_fma_f32 v3, v8, v196, -v3
	s_waitcnt vmcnt(2) lgkmcnt(0)
	v_mul_f32_e32 v19, v14, v205
	v_fmac_f32_e32 v19, v15, v202
	v_add_f32_e32 v18, v18, v19
	v_add_f32_e32 v2, v2, v3
	v_mul_f32_e32 v3, v11, v203
	v_fma_f32 v3, v10, v198, -v3
	v_add_f32_e32 v2, v2, v3
	v_mul_f32_e32 v3, v13, v204
	v_fma_f32 v3, v12, v200, -v3
	;; [unrolled: 3-line block ×3, first 2 shown]
	v_add_f32_e32 v2, v2, v3
	s_waitcnt vmcnt(0)
	v_mul_f32_e32 v19, v16, v207
	v_fmac_f32_e32 v19, v17, v206
	v_add_f32_e32 v22, v18, v19
	ds_read2_b64 v[18:21], v194 offset0:67 offset1:68
	buffer_load_dword v208, off, s[0:3], 0 offset:136
	buffer_load_dword v209, off, s[0:3], 0 offset:140
	buffer_load_dword v210, off, s[0:3], 0 offset:144
	buffer_load_dword v211, off, s[0:3], 0 offset:148
	ds_read2_b64 v[26:29], v194 offset0:69 offset1:70
	buffer_load_dword v212, off, s[0:3], 0 offset:152
	buffer_load_dword v213, off, s[0:3], 0 offset:156
	buffer_load_dword v214, off, s[0:3], 0 offset:160
	buffer_load_dword v215, off, s[0:3], 0 offset:164
	;; [unrolled: 5-line block ×12, first 2 shown]
	v_mul_f32_e32 v3, v17, v207
	v_fma_f32 v3, v16, v206, -v3
	v_add_f32_e32 v2, v2, v3
	s_waitcnt vmcnt(46) lgkmcnt(11)
	v_mul_f32_e32 v23, v18, v209
	v_fmac_f32_e32 v23, v19, v208
	v_add_f32_e32 v22, v22, v23
	s_waitcnt vmcnt(44)
	v_mul_f32_e32 v23, v20, v211
	v_fmac_f32_e32 v23, v21, v210
	v_add_f32_e32 v22, v22, v23
	s_waitcnt vmcnt(42) lgkmcnt(10)
	v_mul_f32_e32 v23, v26, v213
	v_fmac_f32_e32 v23, v27, v212
	v_add_f32_e32 v22, v22, v23
	s_waitcnt vmcnt(40)
	v_mul_f32_e32 v23, v28, v215
	v_fmac_f32_e32 v23, v29, v214
	;; [unrolled: 8-line block ×11, first 2 shown]
	v_add_f32_e32 v22, v22, v23
	s_waitcnt vmcnt(2) lgkmcnt(0)
	v_mul_f32_e32 v23, v66, v233
	v_fmac_f32_e32 v23, v67, v232
	v_add_f32_e32 v73, v22, v23
	ds_read2_b64 v[22:25], v194 offset0:91 offset1:92
	buffer_load_dword v236, off, s[0:3], 0 offset:328
	buffer_load_dword v237, off, s[0:3], 0 offset:332
	;; [unrolled: 1-line block ×18, first 2 shown]
	v_mul_f32_e32 v3, v19, v209
	v_fma_f32 v3, v18, v208, -v3
	v_add_f32_e32 v2, v2, v3
	v_mul_f32_e32 v3, v21, v211
	v_fma_f32 v3, v20, v210, -v3
	v_add_f32_e32 v2, v2, v3
	;; [unrolled: 3-line block ×23, first 2 shown]
	s_waitcnt vmcnt(18)
	v_mul_f32_e32 v2, v69, v235
	s_waitcnt vmcnt(15)
	v_mov_b32_e32 v18, v77
	v_mul_f32_e32 v75, v68, v235
	v_fma_f32 v74, v68, v234, -v2
	s_waitcnt lgkmcnt(0)
	v_pk_mul_f32 v[18:19], v[24:25], v[18:19] op_sel_hi:[1,0]
	v_fmac_f32_e32 v75, v69, v234
	s_waitcnt vmcnt(14)
	v_pk_fma_f32 v[20:21], v[24:25], v[76:77], v[18:19] op_sel:[0,0,1] op_sel_hi:[1,1,0] neg_lo:[0,0,1] neg_hi:[0,0,1]
	v_pk_fma_f32 v[18:19], v[24:25], v[76:77], v[18:19] op_sel:[0,0,1] op_sel_hi:[1,0,0]
	v_pk_add_f32 v[16:17], v[72:73], v[74:75]
	v_mul_f32_e32 v2, v23, v237
	v_mul_f32_e32 v79, v22, v237
	v_fma_f32 v78, v22, v236, -v2
	ds_read2_b64 v[2:5], v194 offset0:93 offset1:94
	ds_read2_b64 v[6:9], v194 offset0:95 offset1:96
	;; [unrolled: 1-line block ×3, first 2 shown]
	ds_read_b64 v[14:15], v194 offset:792
	v_fmac_f32_e32 v79, v23, v236
	s_waitcnt vmcnt(13)
	v_mov_b32_e32 v18, v193
	v_pk_add_f32 v[16:17], v[16:17], v[78:79]
	v_mov_b32_e32 v21, v19
	s_waitcnt lgkmcnt(3)
	v_pk_mul_f32 v[18:19], v[2:3], v[18:19] op_sel_hi:[1,0]
	v_pk_add_f32 v[16:17], v[16:17], v[20:21]
	s_waitcnt vmcnt(12)
	v_pk_fma_f32 v[20:21], v[2:3], v[192:193], v[18:19] op_sel:[0,0,1] op_sel_hi:[1,1,0] neg_lo:[0,0,1] neg_hi:[0,0,1]
	v_pk_fma_f32 v[2:3], v[2:3], v[192:193], v[18:19] op_sel:[0,0,1] op_sel_hi:[1,0,0]
	v_mov_b32_e32 v21, v3
	v_pk_add_f32 v[2:3], v[16:17], v[20:21]
	s_waitcnt vmcnt(11)
	v_mov_b32_e32 v16, v191
	v_pk_mul_f32 v[16:17], v[4:5], v[16:17] op_sel_hi:[1,0]
	s_waitcnt vmcnt(10)
	v_pk_fma_f32 v[18:19], v[4:5], v[190:191], v[16:17] op_sel:[0,0,1] op_sel_hi:[1,1,0] neg_lo:[0,0,1] neg_hi:[0,0,1]
	v_pk_fma_f32 v[4:5], v[4:5], v[190:191], v[16:17] op_sel:[0,0,1] op_sel_hi:[1,0,0]
	s_waitcnt vmcnt(9)
	v_mov_b32_e32 v4, v189
	v_mov_b32_e32 v19, v5
	s_waitcnt lgkmcnt(2)
	v_pk_mul_f32 v[4:5], v[6:7], v[4:5] op_sel_hi:[1,0]
	s_waitcnt vmcnt(8)
	v_pk_fma_f32 v[16:17], v[6:7], v[188:189], v[4:5] op_sel:[0,0,1] op_sel_hi:[1,1,0] neg_lo:[0,0,1] neg_hi:[0,0,1]
	v_pk_fma_f32 v[4:5], v[6:7], v[188:189], v[4:5] op_sel:[0,0,1] op_sel_hi:[1,0,0]
	s_waitcnt vmcnt(7)
	v_mov_b32_e32 v4, v187
	v_mov_b32_e32 v17, v5
	v_pk_mul_f32 v[4:5], v[8:9], v[4:5] op_sel_hi:[1,0]
	s_waitcnt vmcnt(6)
	v_pk_fma_f32 v[6:7], v[8:9], v[186:187], v[4:5] op_sel:[0,0,1] op_sel_hi:[1,1,0] neg_lo:[0,0,1] neg_hi:[0,0,1]
	v_pk_fma_f32 v[4:5], v[8:9], v[186:187], v[4:5] op_sel:[0,0,1] op_sel_hi:[1,0,0]
	v_pk_add_f32 v[2:3], v[2:3], v[18:19]
	s_waitcnt vmcnt(5)
	v_mov_b32_e32 v4, v185
	v_pk_add_f32 v[2:3], v[2:3], v[16:17]
	v_mov_b32_e32 v7, v5
	s_waitcnt lgkmcnt(1)
	v_pk_mul_f32 v[4:5], v[10:11], v[4:5] op_sel_hi:[1,0]
	v_pk_add_f32 v[2:3], v[2:3], v[6:7]
	s_waitcnt vmcnt(4)
	v_pk_fma_f32 v[6:7], v[10:11], v[184:185], v[4:5] op_sel:[0,0,1] op_sel_hi:[1,1,0] neg_lo:[0,0,1] neg_hi:[0,0,1]
	v_pk_fma_f32 v[4:5], v[10:11], v[184:185], v[4:5] op_sel:[0,0,1] op_sel_hi:[1,0,0]
	s_waitcnt vmcnt(3)
	v_mov_b32_e32 v4, v83
	v_mov_b32_e32 v7, v5
	v_pk_mul_f32 v[4:5], v[12:13], v[4:5] op_sel_hi:[1,0]
	v_pk_add_f32 v[2:3], v[2:3], v[6:7]
	s_waitcnt vmcnt(2)
	v_pk_fma_f32 v[6:7], v[12:13], v[82:83], v[4:5] op_sel:[0,0,1] op_sel_hi:[1,1,0] neg_lo:[0,0,1] neg_hi:[0,0,1]
	v_pk_fma_f32 v[4:5], v[12:13], v[82:83], v[4:5] op_sel:[0,0,1] op_sel_hi:[1,0,0]
	s_waitcnt vmcnt(1)
	v_mov_b32_e32 v4, v81
	v_mov_b32_e32 v7, v5
	s_waitcnt lgkmcnt(0)
	v_pk_mul_f32 v[4:5], v[14:15], v[4:5] op_sel_hi:[1,0]
	v_pk_add_f32 v[2:3], v[2:3], v[6:7]
	s_waitcnt vmcnt(0)
	v_pk_fma_f32 v[6:7], v[14:15], v[80:81], v[4:5] op_sel:[0,0,1] op_sel_hi:[1,1,0] neg_lo:[0,0,1] neg_hi:[0,0,1]
	v_pk_fma_f32 v[4:5], v[14:15], v[80:81], v[4:5] op_sel:[0,0,1] op_sel_hi:[1,0,0]
	v_mov_b32_e32 v7, v5
	v_pk_add_f32 v[2:3], v[2:3], v[6:7]
	v_pk_add_f32 v[2:3], v[70:71], v[2:3] neg_lo:[0,1] neg_hi:[0,1]
	buffer_store_dword v3, off, s[0:3], 0 offset:68
	buffer_store_dword v2, off, s[0:3], 0 offset:64
	s_and_saveexec_b64 s[4:5], vcc
	s_cbranch_execz .LBB113_299
; %bb.298:
	buffer_load_dword v2, off, s[0:3], 0 offset:56
	buffer_load_dword v3, off, s[0:3], 0 offset:60
	s_waitcnt vmcnt(0)
	ds_write_b64 v111, v[2:3]
	buffer_store_dword v194, off, s[0:3], 0 offset:56
	buffer_store_dword v194, off, s[0:3], 0 offset:60
.LBB113_299:
	s_or_b64 exec, exec, s[4:5]
	s_waitcnt lgkmcnt(0)
	; wave barrier
	s_waitcnt lgkmcnt(0)
	buffer_load_dword v78, off, s[0:3], 0 offset:68
	buffer_load_dword v80, off, s[0:3], 0 offset:76
	;; [unrolled: 1-line block ×24, first 2 shown]
	ds_read_b128 v[22:25], v194 offset:464
	ds_read_b128 v[18:21], v194 offset:480
	;; [unrolled: 1-line block ×4, first 2 shown]
	buffer_load_dword v198, off, s[0:3], 0 offset:152
	buffer_load_dword v199, off, s[0:3], 0 offset:156
	ds_read_b128 v[10:13], v194 offset:528
	ds_read_b128 v[2:5], v194 offset:544
	buffer_load_dword v200, off, s[0:3], 0 offset:160
	buffer_load_dword v201, off, s[0:3], 0 offset:164
	;; [unrolled: 1-line block ×44, first 2 shown]
	v_cmp_lt_u32_e32 vcc, 6, v0
	s_waitcnt vmcnt(62) lgkmcnt(5)
	v_mul_f32_e32 v28, v22, v78
	v_mul_f32_e32 v29, v24, v80
	s_waitcnt lgkmcnt(4)
	v_mul_f32_e32 v31, v20, v82
	s_waitcnt lgkmcnt(3)
	v_mul_f32_e32 v32, v14, v98
	v_mul_f32_e32 v33, v16, v99
	;; [unrolled: 1-line block ×3, first 2 shown]
	s_waitcnt lgkmcnt(2)
	v_mul_f32_e32 v34, v6, v101
	v_mul_f32_e32 v35, v8, v102
	s_waitcnt vmcnt(61)
	v_fmac_f32_e32 v30, v19, v103
	s_waitcnt vmcnt(60)
	v_fmac_f32_e32 v29, v25, v184
	;; [unrolled: 2-line block ×3, first 2 shown]
	v_add_f32_e32 v28, 0, v28
	v_add_f32_e32 v28, v28, v29
	;; [unrolled: 1-line block ×3, first 2 shown]
	s_waitcnt vmcnt(55)
	v_fmac_f32_e32 v31, v21, v189
	v_fmac_f32_e32 v32, v15, v188
	v_add_f32_e32 v28, v28, v31
	v_fmac_f32_e32 v33, v17, v187
	v_add_f32_e32 v28, v28, v32
	;; [unrolled: 2-line block ×3, first 2 shown]
	s_waitcnt vmcnt(51)
	v_fmac_f32_e32 v35, v9, v193
	v_add_f32_e32 v28, v28, v34
	s_waitcnt vmcnt(50) lgkmcnt(1)
	v_mul_f32_e32 v29, v10, v195
	v_add_f32_e32 v28, v28, v35
	v_fmac_f32_e32 v29, v11, v192
	v_add_f32_e32 v28, v28, v29
	s_waitcnt vmcnt(49)
	v_mul_f32_e32 v29, v12, v196
	v_fmac_f32_e32 v29, v13, v191
	v_add_f32_e32 v28, v28, v29
	s_waitcnt vmcnt(48) lgkmcnt(0)
	v_mul_f32_e32 v29, v2, v197
	v_fmac_f32_e32 v29, v3, v190
	v_add_f32_e32 v32, v28, v29
	ds_read_b128 v[28:31], v194 offset:560
	s_waitcnt vmcnt(44)
	v_mul_f32_e32 v33, v4, v199
	v_fmac_f32_e32 v33, v5, v198
	v_add_f32_e32 v36, v32, v33
	ds_read_b128 v[32:35], v194 offset:576
	s_waitcnt vmcnt(42) lgkmcnt(1)
	v_mul_f32_e32 v37, v28, v201
	v_fmac_f32_e32 v37, v29, v200
	v_add_f32_e32 v36, v36, v37
	s_waitcnt vmcnt(40)
	v_mul_f32_e32 v37, v30, v203
	v_fmac_f32_e32 v37, v31, v202
	v_add_f32_e32 v36, v36, v37
	s_waitcnt vmcnt(38) lgkmcnt(0)
	v_mul_f32_e32 v37, v32, v205
	v_fmac_f32_e32 v37, v33, v204
	v_add_f32_e32 v40, v36, v37
	ds_read_b128 v[36:39], v194 offset:592
	s_waitcnt vmcnt(36)
	v_mul_f32_e32 v41, v34, v207
	v_fmac_f32_e32 v41, v35, v206
	v_add_f32_e32 v44, v40, v41
	ds_read_b128 v[40:43], v194 offset:608
	s_waitcnt vmcnt(34) lgkmcnt(1)
	v_mul_f32_e32 v45, v36, v209
	;; [unrolled: 18-line block ×4, first 2 shown]
	v_fmac_f32_e32 v61, v53, v224
	v_add_f32_e32 v60, v60, v61
	s_waitcnt vmcnt(16)
	v_mul_f32_e32 v61, v54, v227
	v_fmac_f32_e32 v61, v55, v226
	v_add_f32_e32 v60, v60, v61
	s_waitcnt vmcnt(14) lgkmcnt(0)
	v_mul_f32_e32 v61, v56, v229
	v_fmac_f32_e32 v61, v57, v228
	v_add_f32_e32 v64, v60, v61
	ds_read_b128 v[60:63], v194 offset:688
	s_waitcnt vmcnt(12)
	v_mul_f32_e32 v65, v58, v231
	v_fmac_f32_e32 v65, v59, v230
	v_add_f32_e32 v68, v64, v65
	ds_read_b128 v[64:67], v194 offset:704
	buffer_load_dword v77, off, s[0:3], 0 offset:340
	buffer_load_dword v76, off, s[0:3], 0 offset:336
	s_waitcnt vmcnt(12) lgkmcnt(1)
	v_mul_f32_e32 v69, v60, v233
	v_fmac_f32_e32 v69, v61, v232
	v_add_f32_e32 v68, v68, v69
	s_waitcnt vmcnt(10)
	v_mul_f32_e32 v69, v62, v235
	v_fmac_f32_e32 v69, v63, v234
	v_add_f32_e32 v68, v68, v69
	s_waitcnt vmcnt(8) lgkmcnt(0)
	v_mul_f32_e32 v69, v64, v237
	v_fmac_f32_e32 v69, v65, v236
	s_waitcnt vmcnt(6)
	v_mul_f32_e32 v73, v66, v239
	v_add_f32_e32 v72, v68, v69
	v_fmac_f32_e32 v73, v67, v238
	ds_read_b128 v[68:71], v194 offset:720
	v_add_f32_e32 v79, v72, v73
	ds_read_b128 v[72:75], v194 offset:736
	buffer_load_dword v85, off, s[0:3], 0 offset:372
	buffer_load_dword v84, off, s[0:3], 0 offset:368
	;; [unrolled: 1-line block ×14, first 2 shown]
	v_mul_f32_e32 v23, v23, v78
	v_fma_f32 v22, v22, v185, -v23
	v_mul_f32_e32 v23, v25, v80
	v_add_f32_e32 v22, 0, v22
	v_fma_f32 v23, v24, v184, -v23
	v_mul_f32_e32 v19, v19, v100
	v_add_f32_e32 v22, v22, v23
	;; [unrolled: 3-line block ×7, first 2 shown]
	v_fma_f32 v7, v8, v193, -v7
	v_add_f32_e32 v6, v6, v7
	v_mul_f32_e32 v7, v11, v195
	v_fma_f32 v7, v10, v192, -v7
	v_add_f32_e32 v6, v6, v7
	v_mul_f32_e32 v7, v13, v196
	v_fma_f32 v7, v12, v191, -v7
	v_mul_f32_e32 v3, v3, v197
	v_add_f32_e32 v6, v6, v7
	v_fma_f32 v2, v2, v190, -v3
	v_mul_f32_e32 v3, v5, v199
	v_add_f32_e32 v2, v6, v2
	v_fma_f32 v3, v4, v198, -v3
	v_add_f32_e32 v2, v2, v3
	v_mul_f32_e32 v3, v29, v201
	v_fma_f32 v3, v28, v200, -v3
	v_add_f32_e32 v2, v2, v3
	v_mul_f32_e32 v3, v31, v203
	;; [unrolled: 3-line block ×20, first 2 shown]
	v_fma_f32 v3, v66, v238, -v3
	s_waitcnt vmcnt(15)
	v_mov_b32_e32 v16, v77
	s_waitcnt lgkmcnt(1)
	v_mul_f32_e32 v81, v68, v241
	v_add_f32_e32 v78, v2, v3
	v_mul_f32_e32 v2, v69, v241
	s_waitcnt lgkmcnt(0)
	v_pk_mul_f32 v[16:17], v[72:73], v[16:17] op_sel_hi:[1,0]
	v_fmac_f32_e32 v81, v69, v240
	v_mul_f32_e32 v83, v70, v243
	v_fma_f32 v80, v68, v240, -v2
	v_mul_f32_e32 v2, v71, v243
	s_waitcnt vmcnt(14)
	v_pk_fma_f32 v[18:19], v[72:73], v[76:77], v[16:17] op_sel:[0,0,1] op_sel_hi:[1,1,0] neg_lo:[0,0,1] neg_hi:[0,0,1]
	v_pk_fma_f32 v[16:17], v[72:73], v[76:77], v[16:17] op_sel:[0,0,1] op_sel_hi:[1,0,0]
	v_fmac_f32_e32 v83, v71, v242
	v_fma_f32 v82, v70, v242, -v2
	v_pk_add_f32 v[14:15], v[78:79], v[80:81]
	s_waitcnt vmcnt(7)
	v_mov_b32_e32 v16, v91
	ds_read_b128 v[2:5], v194 offset:752
	ds_read_b128 v[6:9], v194 offset:768
	;; [unrolled: 1-line block ×3, first 2 shown]
	v_pk_add_f32 v[14:15], v[14:15], v[82:83]
	v_mov_b32_e32 v19, v17
	v_pk_mul_f32 v[16:17], v[74:75], v[16:17] op_sel_hi:[1,0]
	v_pk_add_f32 v[14:15], v[14:15], v[18:19]
	s_waitcnt vmcnt(6)
	v_pk_fma_f32 v[18:19], v[74:75], v[90:91], v[16:17] op_sel:[0,0,1] op_sel_hi:[1,1,0] neg_lo:[0,0,1] neg_hi:[0,0,1]
	v_pk_fma_f32 v[16:17], v[74:75], v[90:91], v[16:17] op_sel:[0,0,1] op_sel_hi:[1,0,0]
	v_mov_b32_e32 v16, v89
	v_mov_b32_e32 v19, v17
	s_waitcnt lgkmcnt(2)
	v_pk_mul_f32 v[16:17], v[2:3], v[16:17] op_sel_hi:[1,0]
	v_pk_add_f32 v[14:15], v[14:15], v[18:19]
	v_pk_fma_f32 v[18:19], v[2:3], v[88:89], v[16:17] op_sel:[0,0,1] op_sel_hi:[1,1,0] neg_lo:[0,0,1] neg_hi:[0,0,1]
	v_pk_fma_f32 v[2:3], v[2:3], v[88:89], v[16:17] op_sel:[0,0,1] op_sel_hi:[1,0,0]
	v_mov_b32_e32 v19, v3
	v_pk_add_f32 v[2:3], v[14:15], v[18:19]
	v_mov_b32_e32 v14, v87
	v_pk_mul_f32 v[14:15], v[4:5], v[14:15] op_sel_hi:[1,0]
	v_pk_fma_f32 v[16:17], v[4:5], v[86:87], v[14:15] op_sel:[0,0,1] op_sel_hi:[1,1,0] neg_lo:[0,0,1] neg_hi:[0,0,1]
	v_pk_fma_f32 v[4:5], v[4:5], v[86:87], v[14:15] op_sel:[0,0,1] op_sel_hi:[1,0,0]
	v_mov_b32_e32 v4, v85
	v_mov_b32_e32 v17, v5
	s_waitcnt lgkmcnt(1)
	v_pk_mul_f32 v[4:5], v[6:7], v[4:5] op_sel_hi:[1,0]
	v_pk_fma_f32 v[14:15], v[6:7], v[84:85], v[4:5] op_sel:[0,0,1] op_sel_hi:[1,1,0] neg_lo:[0,0,1] neg_hi:[0,0,1]
	v_pk_fma_f32 v[4:5], v[6:7], v[84:85], v[4:5] op_sel:[0,0,1] op_sel_hi:[1,0,0]
	s_waitcnt vmcnt(1)
	v_mov_b32_e32 v4, v97
	v_mov_b32_e32 v15, v5
	v_pk_mul_f32 v[4:5], v[8:9], v[4:5] op_sel_hi:[1,0]
	s_waitcnt vmcnt(0)
	v_pk_fma_f32 v[6:7], v[8:9], v[96:97], v[4:5] op_sel:[0,0,1] op_sel_hi:[1,1,0] neg_lo:[0,0,1] neg_hi:[0,0,1]
	v_pk_fma_f32 v[4:5], v[8:9], v[96:97], v[4:5] op_sel:[0,0,1] op_sel_hi:[1,0,0]
	v_pk_add_f32 v[2:3], v[2:3], v[16:17]
	v_mov_b32_e32 v4, v95
	v_pk_add_f32 v[2:3], v[2:3], v[14:15]
	v_mov_b32_e32 v7, v5
	s_waitcnt lgkmcnt(0)
	v_pk_mul_f32 v[4:5], v[10:11], v[4:5] op_sel_hi:[1,0]
	v_pk_add_f32 v[2:3], v[2:3], v[6:7]
	v_pk_fma_f32 v[6:7], v[10:11], v[94:95], v[4:5] op_sel:[0,0,1] op_sel_hi:[1,1,0] neg_lo:[0,0,1] neg_hi:[0,0,1]
	v_pk_fma_f32 v[4:5], v[10:11], v[94:95], v[4:5] op_sel:[0,0,1] op_sel_hi:[1,0,0]
	v_mov_b32_e32 v4, v93
	v_mov_b32_e32 v7, v5
	v_pk_mul_f32 v[4:5], v[12:13], v[4:5] op_sel_hi:[1,0]
	v_pk_add_f32 v[2:3], v[2:3], v[6:7]
	v_pk_fma_f32 v[6:7], v[12:13], v[92:93], v[4:5] op_sel:[0,0,1] op_sel_hi:[1,1,0] neg_lo:[0,0,1] neg_hi:[0,0,1]
	v_pk_fma_f32 v[4:5], v[12:13], v[92:93], v[4:5] op_sel:[0,0,1] op_sel_hi:[1,0,0]
	v_mov_b32_e32 v7, v5
	v_pk_add_f32 v[2:3], v[2:3], v[6:7]
	v_pk_add_f32 v[2:3], v[26:27], v[2:3] neg_lo:[0,1] neg_hi:[0,1]
	buffer_store_dword v3, off, s[0:3], 0 offset:60
	buffer_store_dword v2, off, s[0:3], 0 offset:56
	s_and_saveexec_b64 s[4:5], vcc
	s_cbranch_execz .LBB113_301
; %bb.300:
	buffer_load_dword v2, off, s[0:3], 0 offset:48
	buffer_load_dword v3, off, s[0:3], 0 offset:52
	v_mov_b32_e32 v4, 0
	buffer_store_dword v4, off, s[0:3], 0 offset:48
	buffer_store_dword v4, off, s[0:3], 0 offset:52
	s_waitcnt vmcnt(2)
	ds_write_b64 v111, v[2:3]
.LBB113_301:
	s_or_b64 exec, exec, s[4:5]
	s_waitcnt lgkmcnt(0)
	; wave barrier
	s_waitcnt lgkmcnt(0)
	buffer_load_dword v29, off, s[0:3], 0 offset:60
	buffer_load_dword v78, off, s[0:3], 0 offset:68
	;; [unrolled: 1-line block ×56, first 2 shown]
	v_mov_b32_e32 v28, 0
	ds_read2_b64 v[4:7], v28 offset0:57 offset1:58
	ds_read2_b64 v[8:11], v28 offset0:59 offset1:60
	;; [unrolled: 1-line block ×6, first 2 shown]
	buffer_load_dword v230, off, s[0:3], 0 offset:272
	buffer_load_dword v231, off, s[0:3], 0 offset:276
	;; [unrolled: 1-line block ×16, first 2 shown]
	v_cmp_lt_u32_e32 vcc, 5, v0
	s_waitcnt vmcnt(62) lgkmcnt(5)
	v_mul_f32_e32 v30, v4, v29
	v_mul_f32_e32 v31, v6, v78
	s_waitcnt lgkmcnt(4)
	v_mul_f32_e32 v33, v10, v80
	s_waitcnt lgkmcnt(3)
	v_mul_f32_e32 v34, v12, v82
	v_mul_f32_e32 v35, v14, v100
	;; [unrolled: 1-line block ×3, first 2 shown]
	s_waitcnt lgkmcnt(2)
	v_mul_f32_e32 v36, v16, v102
	v_mul_f32_e32 v37, v18, v103
	s_waitcnt lgkmcnt(1)
	v_mul_f32_e32 v38, v20, v184
	v_fmac_f32_e32 v32, v9, v185
	s_waitcnt vmcnt(61)
	v_fmac_f32_e32 v31, v7, v186
	s_waitcnt vmcnt(60)
	v_fmac_f32_e32 v30, v5, v187
	v_add_f32_e32 v30, 0, v30
	v_add_f32_e32 v30, v30, v31
	;; [unrolled: 1-line block ×3, first 2 shown]
	s_waitcnt vmcnt(56)
	v_fmac_f32_e32 v33, v11, v191
	v_fmac_f32_e32 v34, v13, v190
	v_add_f32_e32 v30, v30, v33
	v_fmac_f32_e32 v35, v15, v189
	v_add_f32_e32 v30, v30, v34
	v_fmac_f32_e32 v36, v17, v188
	v_add_f32_e32 v30, v30, v35
	s_waitcnt vmcnt(52)
	v_fmac_f32_e32 v37, v19, v195
	v_add_f32_e32 v30, v30, v36
	v_add_f32_e32 v30, v30, v37
	v_fmac_f32_e32 v38, v21, v194
	s_waitcnt vmcnt(51)
	v_mul_f32_e32 v31, v22, v196
	v_add_f32_e32 v30, v30, v38
	v_fmac_f32_e32 v31, v23, v193
	v_add_f32_e32 v30, v30, v31
	s_waitcnt vmcnt(50) lgkmcnt(0)
	v_mul_f32_e32 v31, v24, v197
	v_fmac_f32_e32 v31, v25, v192
	v_add_f32_e32 v34, v30, v31
	ds_read2_b64 v[30:33], v28 offset0:69 offset1:70
	s_waitcnt vmcnt(46)
	v_mul_f32_e32 v35, v26, v199
	v_fmac_f32_e32 v35, v27, v198
	v_add_f32_e32 v38, v34, v35
	ds_read2_b64 v[34:37], v28 offset0:71 offset1:72
	s_waitcnt vmcnt(44) lgkmcnt(1)
	v_mul_f32_e32 v39, v30, v201
	v_fmac_f32_e32 v39, v31, v200
	v_add_f32_e32 v38, v38, v39
	s_waitcnt vmcnt(42)
	v_mul_f32_e32 v39, v32, v203
	v_fmac_f32_e32 v39, v33, v202
	v_add_f32_e32 v38, v38, v39
	s_waitcnt vmcnt(40) lgkmcnt(0)
	v_mul_f32_e32 v39, v34, v205
	v_fmac_f32_e32 v39, v35, v204
	v_add_f32_e32 v42, v38, v39
	ds_read2_b64 v[38:41], v28 offset0:73 offset1:74
	s_waitcnt vmcnt(38)
	v_mul_f32_e32 v43, v36, v207
	v_fmac_f32_e32 v43, v37, v206
	v_add_f32_e32 v46, v42, v43
	ds_read2_b64 v[42:45], v28 offset0:75 offset1:76
	s_waitcnt vmcnt(36) lgkmcnt(1)
	v_mul_f32_e32 v47, v38, v209
	v_fmac_f32_e32 v47, v39, v208
	v_add_f32_e32 v46, v46, v47
	s_waitcnt vmcnt(34)
	v_mul_f32_e32 v47, v40, v211
	;; [unrolled: 18-line block ×5, first 2 shown]
	v_fmac_f32_e32 v71, v65, v234
	v_add_f32_e32 v70, v70, v71
	s_waitcnt vmcnt(8) lgkmcnt(0)
	v_mul_f32_e32 v71, v66, v237
	v_fmac_f32_e32 v71, v67, v236
	s_waitcnt vmcnt(6)
	v_mul_f32_e32 v75, v68, v239
	v_add_f32_e32 v74, v70, v71
	v_fmac_f32_e32 v75, v69, v238
	ds_read2_b64 v[70:73], v28 offset0:89 offset1:90
	v_add_f32_e32 v79, v74, v75
	ds_read2_b64 v[74:77], v28 offset0:91 offset1:92
	buffer_load_dword v85, off, s[0:3], 0 offset:364
	buffer_load_dword v84, off, s[0:3], 0 offset:360
	;; [unrolled: 1-line block ×16, first 2 shown]
	v_mul_f32_e32 v5, v5, v29
	v_fma_f32 v4, v4, v187, -v5
	v_mul_f32_e32 v5, v7, v78
	v_add_f32_e32 v4, 0, v4
	v_fma_f32 v5, v6, v186, -v5
	v_add_f32_e32 v4, v4, v5
	v_mul_f32_e32 v5, v9, v101
	v_fma_f32 v5, v8, v185, -v5
	v_add_f32_e32 v4, v4, v5
	v_mul_f32_e32 v5, v11, v80
	;; [unrolled: 3-line block ×30, first 2 shown]
	v_fma_f32 v5, v68, v238, -v5
	v_add_f32_e32 v4, v4, v5
	s_waitcnt vmcnt(20) lgkmcnt(1)
	v_mul_f32_e32 v5, v71, v241
	v_mul_f32_e32 v81, v70, v241
	v_fma_f32 v5, v70, v240, -v5
	v_fmac_f32_e32 v81, v71, v240
	v_add_f32_e32 v78, v4, v5
	s_waitcnt vmcnt(18)
	v_mul_f32_e32 v4, v73, v243
	s_waitcnt vmcnt(9)
	v_mov_b32_e32 v20, v91
	v_add_f32_e32 v79, v79, v81
	v_mul_f32_e32 v81, v72, v243
	v_fma_f32 v80, v72, v242, -v4
	s_waitcnt lgkmcnt(0)
	v_mul_f32_e32 v4, v75, v245
	v_pk_mul_f32 v[20:21], v[76:77], v[20:21] op_sel_hi:[1,0]
	v_fmac_f32_e32 v81, v73, v242
	v_mul_f32_e32 v83, v74, v245
	v_fma_f32 v82, v74, v244, -v4
	ds_read2_b64 v[4:7], v28 offset0:93 offset1:94
	ds_read2_b64 v[8:11], v28 offset0:95 offset1:96
	;; [unrolled: 1-line block ×3, first 2 shown]
	ds_read_b64 v[16:17], v28 offset:792
	s_waitcnt vmcnt(8)
	v_pk_fma_f32 v[22:23], v[76:77], v[90:91], v[20:21] op_sel:[0,0,1] op_sel_hi:[1,1,0] neg_lo:[0,0,1] neg_hi:[0,0,1]
	v_pk_fma_f32 v[20:21], v[76:77], v[90:91], v[20:21] op_sel:[0,0,1] op_sel_hi:[1,0,0]
	v_fmac_f32_e32 v83, v75, v244
	v_pk_add_f32 v[18:19], v[78:79], v[80:81]
	v_mov_b32_e32 v20, v89
	v_pk_add_f32 v[18:19], v[18:19], v[82:83]
	v_mov_b32_e32 v23, v21
	s_waitcnt lgkmcnt(3)
	v_pk_mul_f32 v[20:21], v[4:5], v[20:21] op_sel_hi:[1,0]
	v_pk_add_f32 v[18:19], v[18:19], v[22:23]
	v_pk_fma_f32 v[22:23], v[4:5], v[88:89], v[20:21] op_sel:[0,0,1] op_sel_hi:[1,1,0] neg_lo:[0,0,1] neg_hi:[0,0,1]
	v_pk_fma_f32 v[4:5], v[4:5], v[88:89], v[20:21] op_sel:[0,0,1] op_sel_hi:[1,0,0]
	v_mov_b32_e32 v23, v5
	v_pk_add_f32 v[4:5], v[18:19], v[22:23]
	v_mov_b32_e32 v18, v87
	v_pk_mul_f32 v[18:19], v[6:7], v[18:19] op_sel_hi:[1,0]
	v_pk_fma_f32 v[20:21], v[6:7], v[86:87], v[18:19] op_sel:[0,0,1] op_sel_hi:[1,1,0] neg_lo:[0,0,1] neg_hi:[0,0,1]
	v_pk_fma_f32 v[6:7], v[6:7], v[86:87], v[18:19] op_sel:[0,0,1] op_sel_hi:[1,0,0]
	v_mov_b32_e32 v6, v85
	v_mov_b32_e32 v21, v7
	s_waitcnt lgkmcnt(2)
	v_pk_mul_f32 v[6:7], v[8:9], v[6:7] op_sel_hi:[1,0]
	v_pk_fma_f32 v[18:19], v[8:9], v[84:85], v[6:7] op_sel:[0,0,1] op_sel_hi:[1,1,0] neg_lo:[0,0,1] neg_hi:[0,0,1]
	v_pk_fma_f32 v[6:7], v[8:9], v[84:85], v[6:7] op_sel:[0,0,1] op_sel_hi:[1,0,0]
	s_waitcnt vmcnt(1)
	v_mov_b32_e32 v6, v99
	v_mov_b32_e32 v19, v7
	v_pk_mul_f32 v[6:7], v[10:11], v[6:7] op_sel_hi:[1,0]
	s_waitcnt vmcnt(0)
	v_pk_fma_f32 v[8:9], v[10:11], v[98:99], v[6:7] op_sel:[0,0,1] op_sel_hi:[1,1,0] neg_lo:[0,0,1] neg_hi:[0,0,1]
	v_pk_fma_f32 v[6:7], v[10:11], v[98:99], v[6:7] op_sel:[0,0,1] op_sel_hi:[1,0,0]
	v_pk_add_f32 v[4:5], v[4:5], v[20:21]
	v_mov_b32_e32 v6, v97
	v_pk_add_f32 v[4:5], v[4:5], v[18:19]
	v_mov_b32_e32 v9, v7
	s_waitcnt lgkmcnt(1)
	v_pk_mul_f32 v[6:7], v[12:13], v[6:7] op_sel_hi:[1,0]
	v_pk_add_f32 v[4:5], v[4:5], v[8:9]
	v_pk_fma_f32 v[8:9], v[12:13], v[96:97], v[6:7] op_sel:[0,0,1] op_sel_hi:[1,1,0] neg_lo:[0,0,1] neg_hi:[0,0,1]
	v_pk_fma_f32 v[6:7], v[12:13], v[96:97], v[6:7] op_sel:[0,0,1] op_sel_hi:[1,0,0]
	v_mov_b32_e32 v6, v95
	v_mov_b32_e32 v9, v7
	v_pk_mul_f32 v[6:7], v[14:15], v[6:7] op_sel_hi:[1,0]
	v_pk_add_f32 v[4:5], v[4:5], v[8:9]
	v_pk_fma_f32 v[8:9], v[14:15], v[94:95], v[6:7] op_sel:[0,0,1] op_sel_hi:[1,1,0] neg_lo:[0,0,1] neg_hi:[0,0,1]
	v_pk_fma_f32 v[6:7], v[14:15], v[94:95], v[6:7] op_sel:[0,0,1] op_sel_hi:[1,0,0]
	v_mov_b32_e32 v6, v93
	v_mov_b32_e32 v9, v7
	s_waitcnt lgkmcnt(0)
	v_pk_mul_f32 v[6:7], v[16:17], v[6:7] op_sel_hi:[1,0]
	v_pk_add_f32 v[4:5], v[4:5], v[8:9]
	v_pk_fma_f32 v[8:9], v[16:17], v[92:93], v[6:7] op_sel:[0,0,1] op_sel_hi:[1,1,0] neg_lo:[0,0,1] neg_hi:[0,0,1]
	v_pk_fma_f32 v[6:7], v[16:17], v[92:93], v[6:7] op_sel:[0,0,1] op_sel_hi:[1,0,0]
	v_mov_b32_e32 v9, v7
	v_pk_add_f32 v[4:5], v[4:5], v[8:9]
	v_pk_add_f32 v[2:3], v[2:3], v[4:5] neg_lo:[0,1] neg_hi:[0,1]
	buffer_store_dword v3, off, s[0:3], 0 offset:52
	buffer_store_dword v2, off, s[0:3], 0 offset:48
	s_and_saveexec_b64 s[4:5], vcc
	s_cbranch_execz .LBB113_303
; %bb.302:
	buffer_load_dword v2, off, s[0:3], 0 offset:40
	buffer_load_dword v3, off, s[0:3], 0 offset:44
	s_waitcnt vmcnt(0)
	ds_write_b64 v111, v[2:3]
	buffer_store_dword v28, off, s[0:3], 0 offset:40
	buffer_store_dword v28, off, s[0:3], 0 offset:44
.LBB113_303:
	s_or_b64 exec, exec, s[4:5]
	s_waitcnt lgkmcnt(0)
	; wave barrier
	s_waitcnt lgkmcnt(0)
	buffer_load_dword v29, off, s[0:3], 0 offset:52
	buffer_load_dword v78, off, s[0:3], 0 offset:60
	;; [unrolled: 1-line block ×26, first 2 shown]
	ds_read_b128 v[22:25], v28 offset:448
	ds_read_b128 v[18:21], v28 offset:464
	;; [unrolled: 1-line block ×6, first 2 shown]
	buffer_load_dword v200, off, s[0:3], 0 offset:144
	buffer_load_dword v201, off, s[0:3], 0 offset:148
	;; [unrolled: 1-line block ×42, first 2 shown]
	v_cmp_lt_u32_e32 vcc, 4, v0
	s_waitcnt vmcnt(62) lgkmcnt(5)
	v_mul_f32_e32 v30, v22, v29
	v_mul_f32_e32 v31, v24, v78
	s_waitcnt lgkmcnt(4)
	v_mul_f32_e32 v33, v20, v80
	s_waitcnt lgkmcnt(3)
	v_mul_f32_e32 v34, v14, v88
	v_mul_f32_e32 v35, v16, v100
	;; [unrolled: 1-line block ×3, first 2 shown]
	s_waitcnt vmcnt(61) lgkmcnt(2)
	v_mul_f32_e32 v36, v10, v102
	s_waitcnt vmcnt(60)
	v_mul_f32_e32 v37, v12, v103
	s_waitcnt vmcnt(59) lgkmcnt(1)
	v_mul_f32_e32 v38, v6, v184
	s_waitcnt vmcnt(58)
	v_fmac_f32_e32 v32, v19, v185
	s_waitcnt vmcnt(57)
	v_fmac_f32_e32 v31, v25, v186
	;; [unrolled: 2-line block ×3, first 2 shown]
	v_add_f32_e32 v30, 0, v30
	v_add_f32_e32 v30, v30, v31
	;; [unrolled: 1-line block ×3, first 2 shown]
	s_waitcnt vmcnt(52)
	v_fmac_f32_e32 v33, v21, v191
	v_fmac_f32_e32 v34, v15, v190
	v_add_f32_e32 v30, v30, v33
	v_fmac_f32_e32 v35, v17, v189
	v_add_f32_e32 v30, v30, v34
	;; [unrolled: 2-line block ×3, first 2 shown]
	s_waitcnt vmcnt(48)
	v_fmac_f32_e32 v37, v13, v195
	v_add_f32_e32 v30, v30, v36
	v_fmac_f32_e32 v38, v7, v194
	v_add_f32_e32 v30, v30, v37
	s_waitcnt vmcnt(47)
	v_mul_f32_e32 v31, v8, v196
	v_add_f32_e32 v30, v30, v38
	v_fmac_f32_e32 v31, v9, v193
	v_add_f32_e32 v30, v30, v31
	s_waitcnt vmcnt(46) lgkmcnt(0)
	v_mul_f32_e32 v31, v2, v197
	v_fmac_f32_e32 v31, v3, v192
	v_add_f32_e32 v34, v30, v31
	ds_read_b128 v[30:33], v28 offset:544
	s_waitcnt vmcnt(42)
	v_mul_f32_e32 v35, v4, v199
	v_fmac_f32_e32 v35, v5, v198
	buffer_load_dword v242, off, s[0:3], 0 offset:312
	buffer_load_dword v243, off, s[0:3], 0 offset:316
	v_add_f32_e32 v38, v34, v35
	buffer_load_dword v244, off, s[0:3], 0 offset:320
	buffer_load_dword v245, off, s[0:3], 0 offset:324
	ds_read_b128 v[34:37], v28 offset:560
	s_waitcnt vmcnt(44) lgkmcnt(1)
	v_mul_f32_e32 v39, v30, v201
	v_fmac_f32_e32 v39, v31, v200
	v_add_f32_e32 v38, v38, v39
	s_waitcnt vmcnt(42)
	v_mul_f32_e32 v39, v32, v203
	v_fmac_f32_e32 v39, v33, v202
	v_add_f32_e32 v38, v38, v39
	s_waitcnt vmcnt(40) lgkmcnt(0)
	v_mul_f32_e32 v39, v34, v205
	v_fmac_f32_e32 v39, v35, v204
	buffer_load_dword v246, off, s[0:3], 0 offset:328
	buffer_load_dword v247, off, s[0:3], 0 offset:332
	v_add_f32_e32 v42, v38, v39
	ds_read_b128 v[38:41], v28 offset:576
	s_waitcnt vmcnt(40)
	v_mul_f32_e32 v43, v36, v207
	v_fmac_f32_e32 v43, v37, v206
	v_add_f32_e32 v46, v42, v43
	ds_read_b128 v[42:45], v28 offset:592
	s_waitcnt vmcnt(38) lgkmcnt(1)
	v_mul_f32_e32 v47, v38, v209
	v_fmac_f32_e32 v47, v39, v208
	v_add_f32_e32 v46, v46, v47
	s_waitcnt vmcnt(36)
	v_mul_f32_e32 v47, v40, v211
	v_fmac_f32_e32 v47, v41, v210
	v_add_f32_e32 v46, v46, v47
	s_waitcnt vmcnt(34) lgkmcnt(0)
	v_mul_f32_e32 v47, v42, v213
	v_fmac_f32_e32 v47, v43, v212
	v_add_f32_e32 v50, v46, v47
	ds_read_b128 v[46:49], v28 offset:608
	s_waitcnt vmcnt(32)
	v_mul_f32_e32 v51, v44, v215
	v_fmac_f32_e32 v51, v45, v214
	v_add_f32_e32 v54, v50, v51
	ds_read_b128 v[50:53], v28 offset:624
	s_waitcnt vmcnt(30) lgkmcnt(1)
	v_mul_f32_e32 v55, v46, v217
	v_fmac_f32_e32 v55, v47, v216
	v_add_f32_e32 v54, v54, v55
	s_waitcnt vmcnt(28)
	v_mul_f32_e32 v55, v48, v219
	v_fmac_f32_e32 v55, v49, v218
	v_add_f32_e32 v54, v54, v55
	s_waitcnt vmcnt(26) lgkmcnt(0)
	v_mul_f32_e32 v55, v50, v221
	v_fmac_f32_e32 v55, v51, v220
	;; [unrolled: 18-line block ×4, first 2 shown]
	s_waitcnt vmcnt(8)
	v_mul_f32_e32 v75, v68, v239
	v_add_f32_e32 v74, v70, v71
	v_fmac_f32_e32 v75, v69, v238
	ds_read_b128 v[70:73], v28 offset:704
	v_add_f32_e32 v79, v74, v75
	ds_read_b128 v[74:77], v28 offset:720
	buffer_load_dword v83, off, s[0:3], 0 offset:356
	buffer_load_dword v82, off, s[0:3], 0 offset:352
	;; [unrolled: 1-line block ×16, first 2 shown]
	v_mul_f32_e32 v23, v23, v29
	v_fma_f32 v22, v22, v187, -v23
	v_mul_f32_e32 v23, v25, v78
	v_add_f32_e32 v22, 0, v22
	v_fma_f32 v23, v24, v186, -v23
	v_mul_f32_e32 v19, v19, v101
	v_add_f32_e32 v22, v22, v23
	;; [unrolled: 3-line block ×11, first 2 shown]
	v_fma_f32 v3, v4, v198, -v3
	v_add_f32_e32 v2, v2, v3
	v_mul_f32_e32 v3, v31, v201
	v_fma_f32 v3, v30, v200, -v3
	v_add_f32_e32 v2, v2, v3
	v_mul_f32_e32 v3, v33, v203
	;; [unrolled: 3-line block ×20, first 2 shown]
	v_fma_f32 v3, v68, v238, -v3
	v_add_f32_e32 v2, v2, v3
	s_waitcnt vmcnt(22) lgkmcnt(1)
	v_mul_f32_e32 v3, v71, v241
	v_fma_f32 v3, v70, v240, -v3
	v_add_f32_e32 v2, v2, v3
	s_waitcnt vmcnt(20)
	v_mul_f32_e32 v3, v73, v243
	v_mul_f32_e32 v81, v70, v241
	v_fma_f32 v3, v72, v242, -v3
	v_fmac_f32_e32 v81, v71, v240
	v_add_f32_e32 v78, v2, v3
	s_waitcnt vmcnt(18) lgkmcnt(0)
	v_mul_f32_e32 v2, v75, v245
	v_add_f32_e32 v79, v79, v81
	v_mul_f32_e32 v81, v72, v243
	v_fma_f32 v80, v74, v244, -v2
	s_waitcnt vmcnt(16)
	v_mul_f32_e32 v2, v77, v247
	v_fmac_f32_e32 v81, v73, v242
	v_fma_f32 v88, v76, v246, -v2
	ds_read_b128 v[2:5], v28 offset:736
	ds_read_b128 v[6:9], v28 offset:752
	;; [unrolled: 1-line block ×4, first 2 shown]
	v_add_f32_e32 v79, v79, v81
	v_mul_f32_e32 v81, v74, v245
	s_waitcnt vmcnt(11)
	v_mov_b32_e32 v20, v87
	v_fmac_f32_e32 v81, v75, v244
	v_mul_f32_e32 v89, v76, v247
	s_waitcnt lgkmcnt(3)
	v_pk_mul_f32 v[20:21], v[2:3], v[20:21] op_sel_hi:[1,0]
	v_fmac_f32_e32 v89, v77, v246
	v_pk_add_f32 v[18:19], v[78:79], v[80:81]
	s_waitcnt vmcnt(10)
	v_pk_fma_f32 v[22:23], v[2:3], v[86:87], v[20:21] op_sel:[0,0,1] op_sel_hi:[1,1,0] neg_lo:[0,0,1] neg_hi:[0,0,1]
	v_pk_fma_f32 v[2:3], v[2:3], v[86:87], v[20:21] op_sel:[0,0,1] op_sel_hi:[1,0,0]
	v_pk_add_f32 v[18:19], v[18:19], v[88:89]
	v_mov_b32_e32 v23, v3
	v_pk_add_f32 v[2:3], v[18:19], v[22:23]
	v_mov_b32_e32 v18, v85
	v_pk_mul_f32 v[18:19], v[4:5], v[18:19] op_sel_hi:[1,0]
	v_pk_fma_f32 v[20:21], v[4:5], v[84:85], v[18:19] op_sel:[0,0,1] op_sel_hi:[1,1,0] neg_lo:[0,0,1] neg_hi:[0,0,1]
	v_pk_fma_f32 v[4:5], v[4:5], v[84:85], v[18:19] op_sel:[0,0,1] op_sel_hi:[1,0,0]
	v_mov_b32_e32 v4, v83
	v_mov_b32_e32 v21, v5
	s_waitcnt lgkmcnt(2)
	v_pk_mul_f32 v[4:5], v[6:7], v[4:5] op_sel_hi:[1,0]
	v_pk_fma_f32 v[18:19], v[6:7], v[82:83], v[4:5] op_sel:[0,0,1] op_sel_hi:[1,1,0] neg_lo:[0,0,1] neg_hi:[0,0,1]
	v_pk_fma_f32 v[4:5], v[6:7], v[82:83], v[4:5] op_sel:[0,0,1] op_sel_hi:[1,0,0]
	s_waitcnt vmcnt(3)
	v_mov_b32_e32 v4, v97
	v_mov_b32_e32 v19, v5
	v_pk_mul_f32 v[4:5], v[8:9], v[4:5] op_sel_hi:[1,0]
	s_waitcnt vmcnt(2)
	v_pk_fma_f32 v[6:7], v[8:9], v[96:97], v[4:5] op_sel:[0,0,1] op_sel_hi:[1,1,0] neg_lo:[0,0,1] neg_hi:[0,0,1]
	v_pk_fma_f32 v[4:5], v[8:9], v[96:97], v[4:5] op_sel:[0,0,1] op_sel_hi:[1,0,0]
	v_pk_add_f32 v[2:3], v[2:3], v[20:21]
	v_mov_b32_e32 v4, v95
	v_pk_add_f32 v[2:3], v[2:3], v[18:19]
	v_mov_b32_e32 v7, v5
	s_waitcnt lgkmcnt(1)
	v_pk_mul_f32 v[4:5], v[10:11], v[4:5] op_sel_hi:[1,0]
	v_pk_add_f32 v[2:3], v[2:3], v[6:7]
	v_pk_fma_f32 v[6:7], v[10:11], v[94:95], v[4:5] op_sel:[0,0,1] op_sel_hi:[1,1,0] neg_lo:[0,0,1] neg_hi:[0,0,1]
	v_pk_fma_f32 v[4:5], v[10:11], v[94:95], v[4:5] op_sel:[0,0,1] op_sel_hi:[1,0,0]
	v_mov_b32_e32 v4, v93
	v_mov_b32_e32 v7, v5
	v_pk_mul_f32 v[4:5], v[12:13], v[4:5] op_sel_hi:[1,0]
	v_pk_add_f32 v[2:3], v[2:3], v[6:7]
	v_pk_fma_f32 v[6:7], v[12:13], v[92:93], v[4:5] op_sel:[0,0,1] op_sel_hi:[1,1,0] neg_lo:[0,0,1] neg_hi:[0,0,1]
	v_pk_fma_f32 v[4:5], v[12:13], v[92:93], v[4:5] op_sel:[0,0,1] op_sel_hi:[1,0,0]
	v_mov_b32_e32 v4, v91
	v_mov_b32_e32 v7, v5
	s_waitcnt lgkmcnt(0)
	v_pk_mul_f32 v[4:5], v[14:15], v[4:5] op_sel_hi:[1,0]
	v_pk_add_f32 v[2:3], v[2:3], v[6:7]
	v_pk_fma_f32 v[6:7], v[14:15], v[90:91], v[4:5] op_sel:[0,0,1] op_sel_hi:[1,1,0] neg_lo:[0,0,1] neg_hi:[0,0,1]
	v_pk_fma_f32 v[4:5], v[14:15], v[90:91], v[4:5] op_sel:[0,0,1] op_sel_hi:[1,0,0]
	s_waitcnt vmcnt(1)
	v_mov_b32_e32 v4, v99
	v_mov_b32_e32 v7, v5
	v_pk_mul_f32 v[4:5], v[16:17], v[4:5] op_sel_hi:[1,0]
	v_pk_add_f32 v[2:3], v[2:3], v[6:7]
	s_waitcnt vmcnt(0)
	v_pk_fma_f32 v[6:7], v[16:17], v[98:99], v[4:5] op_sel:[0,0,1] op_sel_hi:[1,1,0] neg_lo:[0,0,1] neg_hi:[0,0,1]
	v_pk_fma_f32 v[4:5], v[16:17], v[98:99], v[4:5] op_sel:[0,0,1] op_sel_hi:[1,0,0]
	v_mov_b32_e32 v7, v5
	v_pk_add_f32 v[2:3], v[2:3], v[6:7]
	v_pk_add_f32 v[2:3], v[26:27], v[2:3] neg_lo:[0,1] neg_hi:[0,1]
	buffer_store_dword v3, off, s[0:3], 0 offset:44
	buffer_store_dword v2, off, s[0:3], 0 offset:40
	s_and_saveexec_b64 s[4:5], vcc
	s_cbranch_execz .LBB113_305
; %bb.304:
	buffer_load_dword v2, off, s[0:3], 0 offset:32
	buffer_load_dword v3, off, s[0:3], 0 offset:36
	v_mov_b32_e32 v4, 0
	buffer_store_dword v4, off, s[0:3], 0 offset:32
	buffer_store_dword v4, off, s[0:3], 0 offset:36
	s_waitcnt vmcnt(2)
	ds_write_b64 v111, v[2:3]
.LBB113_305:
	s_or_b64 exec, exec, s[4:5]
	v_mov_b32_e32 v202, 0
	s_waitcnt lgkmcnt(0)
	; wave barrier
	s_waitcnt lgkmcnt(0)
	ds_read2_b64 v[2:5], v202 offset0:55 offset1:56
	buffer_load_dword v78, off, s[0:3], 0 offset:32
	buffer_load_dword v79, off, s[0:3], 0 offset:36
	;; [unrolled: 1-line block ×16, first 2 shown]
	v_cmp_lt_u32_e32 vcc, 3, v0
	s_waitcnt vmcnt(12) lgkmcnt(0)
	v_mul_f32_e32 v6, v2, v203
	v_fmac_f32_e32 v6, v3, v80
	s_waitcnt vmcnt(10)
	v_mul_f32_e32 v7, v4, v205
	v_add_f32_e32 v6, 0, v6
	v_fmac_f32_e32 v7, v5, v82
	v_add_f32_e32 v10, v6, v7
	ds_read2_b64 v[6:9], v202 offset0:57 offset1:58
	v_mul_f32_e32 v3, v3, v203
	v_fma_f32 v2, v2, v80, -v3
	v_mul_f32_e32 v3, v5, v205
	v_add_f32_e32 v2, 0, v2
	s_waitcnt vmcnt(8) lgkmcnt(0)
	v_mul_f32_e32 v11, v6, v207
	v_fmac_f32_e32 v11, v7, v186
	v_add_f32_e32 v10, v10, v11
	s_waitcnt vmcnt(6)
	v_mul_f32_e32 v11, v8, v209
	v_fmac_f32_e32 v11, v9, v204
	v_add_f32_e32 v14, v10, v11
	ds_read2_b64 v[10:13], v202 offset0:59 offset1:60
	v_fma_f32 v3, v4, v82, -v3
	v_add_f32_e32 v2, v2, v3
	v_mul_f32_e32 v3, v7, v207
	v_fma_f32 v3, v6, v186, -v3
	s_waitcnt vmcnt(4) lgkmcnt(0)
	v_mul_f32_e32 v15, v10, v211
	v_fmac_f32_e32 v15, v11, v206
	v_add_f32_e32 v14, v14, v15
	s_waitcnt vmcnt(2)
	v_mul_f32_e32 v15, v12, v212
	v_fmac_f32_e32 v15, v13, v208
	v_add_f32_e32 v18, v14, v15
	ds_read2_b64 v[14:17], v202 offset0:61 offset1:62
	buffer_load_dword v214, off, s[0:3], 0 offset:96
	buffer_load_dword v215, off, s[0:3], 0 offset:100
	v_add_f32_e32 v2, v2, v3
	v_mul_f32_e32 v3, v9, v209
	v_fma_f32 v3, v8, v204, -v3
	s_waitcnt vmcnt(2) lgkmcnt(0)
	v_mul_f32_e32 v19, v14, v213
	v_fmac_f32_e32 v19, v15, v210
	v_add_f32_e32 v18, v18, v19
	v_add_f32_e32 v2, v2, v3
	v_mul_f32_e32 v3, v11, v211
	v_fma_f32 v3, v10, v206, -v3
	v_add_f32_e32 v2, v2, v3
	v_mul_f32_e32 v3, v13, v212
	v_fma_f32 v3, v12, v208, -v3
	v_add_f32_e32 v2, v2, v3
	v_mul_f32_e32 v3, v15, v213
	v_fma_f32 v3, v14, v210, -v3
	v_add_f32_e32 v2, v2, v3
	s_waitcnt vmcnt(0)
	v_mul_f32_e32 v19, v16, v215
	v_fmac_f32_e32 v19, v17, v214
	v_add_f32_e32 v22, v18, v19
	ds_read2_b64 v[18:21], v202 offset0:63 offset1:64
	buffer_load_dword v216, off, s[0:3], 0 offset:104
	buffer_load_dword v217, off, s[0:3], 0 offset:108
	;; [unrolled: 1-line block ×4, first 2 shown]
	v_mul_f32_e32 v3, v17, v215
	v_fma_f32 v3, v16, v214, -v3
	v_add_f32_e32 v2, v2, v3
	s_waitcnt vmcnt(2) lgkmcnt(0)
	v_mul_f32_e32 v23, v18, v217
	v_fmac_f32_e32 v23, v19, v216
	v_add_f32_e32 v22, v22, v23
	s_waitcnt vmcnt(0)
	v_mul_f32_e32 v23, v20, v219
	v_fmac_f32_e32 v23, v21, v218
	v_add_f32_e32 v26, v22, v23
	ds_read2_b64 v[22:25], v202 offset0:65 offset1:66
	buffer_load_dword v220, off, s[0:3], 0 offset:120
	buffer_load_dword v221, off, s[0:3], 0 offset:124
	buffer_load_dword v222, off, s[0:3], 0 offset:128
	buffer_load_dword v223, off, s[0:3], 0 offset:132
	ds_read2_b64 v[30:33], v202 offset0:67 offset1:68
	buffer_load_dword v224, off, s[0:3], 0 offset:136
	buffer_load_dword v225, off, s[0:3], 0 offset:140
	buffer_load_dword v226, off, s[0:3], 0 offset:144
	buffer_load_dword v227, off, s[0:3], 0 offset:148
	;; [unrolled: 5-line block ×13, first 2 shown]
	v_mul_f32_e32 v3, v19, v217
	v_fma_f32 v3, v18, v216, -v3
	v_add_f32_e32 v2, v2, v3
	v_mul_f32_e32 v3, v21, v219
	v_fma_f32 v3, v20, v218, -v3
	v_add_f32_e32 v2, v2, v3
	s_waitcnt vmcnt(50) lgkmcnt(12)
	v_mul_f32_e32 v27, v22, v221
	v_fmac_f32_e32 v27, v23, v220
	v_add_f32_e32 v26, v26, v27
	s_waitcnt vmcnt(48)
	v_mul_f32_e32 v27, v24, v223
	v_fmac_f32_e32 v27, v25, v222
	v_add_f32_e32 v26, v26, v27
	s_waitcnt vmcnt(46) lgkmcnt(11)
	v_mul_f32_e32 v27, v30, v225
	v_fmac_f32_e32 v27, v31, v224
	v_add_f32_e32 v26, v26, v27
	s_waitcnt vmcnt(44)
	v_mul_f32_e32 v27, v32, v227
	v_fmac_f32_e32 v27, v33, v226
	;; [unrolled: 8-line block ×12, first 2 shown]
	v_add_f32_e32 v26, v26, v27
	s_waitcnt vmcnt(2) lgkmcnt(0)
	v_mul_f32_e32 v27, v74, v249
	v_fmac_f32_e32 v27, v75, v248
	v_add_f32_e32 v81, v26, v27
	ds_read2_b64 v[26:29], v202 offset0:91 offset1:92
	buffer_load_dword v252, off, s[0:3], 0 offset:328
	buffer_load_dword v253, off, s[0:3], 0 offset:332
	;; [unrolled: 1-line block ×18, first 2 shown]
	v_mul_f32_e32 v3, v23, v221
	v_fma_f32 v3, v22, v220, -v3
	v_add_f32_e32 v2, v2, v3
	v_mul_f32_e32 v3, v25, v223
	v_fma_f32 v3, v24, v222, -v3
	v_add_f32_e32 v2, v2, v3
	;; [unrolled: 3-line block ×25, first 2 shown]
	s_waitcnt vmcnt(18)
	v_mul_f32_e32 v2, v77, v251
	s_waitcnt vmcnt(15)
	v_mov_b32_e32 v18, v185
	v_mul_f32_e32 v83, v76, v251
	v_fma_f32 v82, v76, v250, -v2
	s_waitcnt lgkmcnt(0)
	v_mul_f32_e32 v2, v27, v253
	v_pk_mul_f32 v[18:19], v[28:29], v[18:19] op_sel_hi:[1,0]
	v_fmac_f32_e32 v83, v77, v250
	v_mul_f32_e32 v187, v26, v253
	v_fma_f32 v186, v26, v252, -v2
	ds_read2_b64 v[2:5], v202 offset0:93 offset1:94
	ds_read2_b64 v[6:9], v202 offset0:95 offset1:96
	;; [unrolled: 1-line block ×3, first 2 shown]
	ds_read_b64 v[14:15], v202 offset:792
	s_waitcnt vmcnt(14)
	v_pk_fma_f32 v[20:21], v[28:29], v[184:185], v[18:19] op_sel:[0,0,1] op_sel_hi:[1,1,0] neg_lo:[0,0,1] neg_hi:[0,0,1]
	v_pk_fma_f32 v[18:19], v[28:29], v[184:185], v[18:19] op_sel:[0,0,1] op_sel_hi:[1,0,0]
	v_fmac_f32_e32 v187, v27, v252
	v_pk_add_f32 v[16:17], v[80:81], v[82:83]
	s_waitcnt vmcnt(13)
	v_mov_b32_e32 v18, v201
	v_pk_add_f32 v[16:17], v[16:17], v[186:187]
	v_mov_b32_e32 v21, v19
	s_waitcnt lgkmcnt(3)
	v_pk_mul_f32 v[18:19], v[2:3], v[18:19] op_sel_hi:[1,0]
	v_pk_add_f32 v[16:17], v[16:17], v[20:21]
	s_waitcnt vmcnt(12)
	v_pk_fma_f32 v[20:21], v[2:3], v[200:201], v[18:19] op_sel:[0,0,1] op_sel_hi:[1,1,0] neg_lo:[0,0,1] neg_hi:[0,0,1]
	v_pk_fma_f32 v[2:3], v[2:3], v[200:201], v[18:19] op_sel:[0,0,1] op_sel_hi:[1,0,0]
	v_mov_b32_e32 v21, v3
	v_pk_add_f32 v[2:3], v[16:17], v[20:21]
	s_waitcnt vmcnt(11)
	v_mov_b32_e32 v16, v199
	v_pk_mul_f32 v[16:17], v[4:5], v[16:17] op_sel_hi:[1,0]
	s_waitcnt vmcnt(10)
	v_pk_fma_f32 v[18:19], v[4:5], v[198:199], v[16:17] op_sel:[0,0,1] op_sel_hi:[1,1,0] neg_lo:[0,0,1] neg_hi:[0,0,1]
	v_pk_fma_f32 v[4:5], v[4:5], v[198:199], v[16:17] op_sel:[0,0,1] op_sel_hi:[1,0,0]
	s_waitcnt vmcnt(9)
	v_mov_b32_e32 v4, v197
	v_mov_b32_e32 v19, v5
	s_waitcnt lgkmcnt(2)
	v_pk_mul_f32 v[4:5], v[6:7], v[4:5] op_sel_hi:[1,0]
	s_waitcnt vmcnt(8)
	v_pk_fma_f32 v[16:17], v[6:7], v[196:197], v[4:5] op_sel:[0,0,1] op_sel_hi:[1,1,0] neg_lo:[0,0,1] neg_hi:[0,0,1]
	v_pk_fma_f32 v[4:5], v[6:7], v[196:197], v[4:5] op_sel:[0,0,1] op_sel_hi:[1,0,0]
	s_waitcnt vmcnt(7)
	v_mov_b32_e32 v4, v195
	v_mov_b32_e32 v17, v5
	v_pk_mul_f32 v[4:5], v[8:9], v[4:5] op_sel_hi:[1,0]
	s_waitcnt vmcnt(6)
	v_pk_fma_f32 v[6:7], v[8:9], v[194:195], v[4:5] op_sel:[0,0,1] op_sel_hi:[1,1,0] neg_lo:[0,0,1] neg_hi:[0,0,1]
	v_pk_fma_f32 v[4:5], v[8:9], v[194:195], v[4:5] op_sel:[0,0,1] op_sel_hi:[1,0,0]
	v_pk_add_f32 v[2:3], v[2:3], v[18:19]
	s_waitcnt vmcnt(5)
	v_mov_b32_e32 v4, v193
	v_pk_add_f32 v[2:3], v[2:3], v[16:17]
	v_mov_b32_e32 v7, v5
	s_waitcnt lgkmcnt(1)
	v_pk_mul_f32 v[4:5], v[10:11], v[4:5] op_sel_hi:[1,0]
	v_pk_add_f32 v[2:3], v[2:3], v[6:7]
	s_waitcnt vmcnt(4)
	v_pk_fma_f32 v[6:7], v[10:11], v[192:193], v[4:5] op_sel:[0,0,1] op_sel_hi:[1,1,0] neg_lo:[0,0,1] neg_hi:[0,0,1]
	v_pk_fma_f32 v[4:5], v[10:11], v[192:193], v[4:5] op_sel:[0,0,1] op_sel_hi:[1,0,0]
	s_waitcnt vmcnt(3)
	v_mov_b32_e32 v4, v191
	v_mov_b32_e32 v7, v5
	v_pk_mul_f32 v[4:5], v[12:13], v[4:5] op_sel_hi:[1,0]
	v_pk_add_f32 v[2:3], v[2:3], v[6:7]
	s_waitcnt vmcnt(2)
	v_pk_fma_f32 v[6:7], v[12:13], v[190:191], v[4:5] op_sel:[0,0,1] op_sel_hi:[1,1,0] neg_lo:[0,0,1] neg_hi:[0,0,1]
	v_pk_fma_f32 v[4:5], v[12:13], v[190:191], v[4:5] op_sel:[0,0,1] op_sel_hi:[1,0,0]
	s_waitcnt vmcnt(1)
	v_mov_b32_e32 v4, v189
	v_mov_b32_e32 v7, v5
	s_waitcnt lgkmcnt(0)
	v_pk_mul_f32 v[4:5], v[14:15], v[4:5] op_sel_hi:[1,0]
	v_pk_add_f32 v[2:3], v[2:3], v[6:7]
	s_waitcnt vmcnt(0)
	v_pk_fma_f32 v[6:7], v[14:15], v[188:189], v[4:5] op_sel:[0,0,1] op_sel_hi:[1,1,0] neg_lo:[0,0,1] neg_hi:[0,0,1]
	v_pk_fma_f32 v[4:5], v[14:15], v[188:189], v[4:5] op_sel:[0,0,1] op_sel_hi:[1,0,0]
	v_mov_b32_e32 v7, v5
	v_pk_add_f32 v[2:3], v[2:3], v[6:7]
	v_pk_add_f32 v[2:3], v[78:79], v[2:3] neg_lo:[0,1] neg_hi:[0,1]
	buffer_store_dword v3, off, s[0:3], 0 offset:36
	buffer_store_dword v2, off, s[0:3], 0 offset:32
	s_and_saveexec_b64 s[4:5], vcc
	s_cbranch_execz .LBB113_307
; %bb.306:
	buffer_load_dword v2, off, s[0:3], 0 offset:24
	buffer_load_dword v3, off, s[0:3], 0 offset:28
	s_waitcnt vmcnt(0)
	ds_write_b64 v111, v[2:3]
	buffer_store_dword v202, off, s[0:3], 0 offset:24
	buffer_store_dword v202, off, s[0:3], 0 offset:28
.LBB113_307:
	s_or_b64 exec, exec, s[4:5]
	s_waitcnt lgkmcnt(0)
	; wave barrier
	s_waitcnt lgkmcnt(0)
	buffer_load_dword v86, off, s[0:3], 0 offset:36
	buffer_load_dword v88, off, s[0:3], 0 offset:44
	;; [unrolled: 1-line block ×32, first 2 shown]
	ds_read_b128 v[22:25], v202 offset:432
	ds_read_b128 v[18:21], v202 offset:448
	;; [unrolled: 1-line block ×6, first 2 shown]
	buffer_load_dword v214, off, s[0:3], 0 offset:152
	buffer_load_dword v215, off, s[0:3], 0 offset:156
	;; [unrolled: 1-line block ×32, first 2 shown]
	v_cmp_lt_u32_e32 vcc, 2, v0
	s_waitcnt vmcnt(62) lgkmcnt(5)
	v_mul_f32_e32 v28, v22, v86
	v_mul_f32_e32 v29, v24, v88
	s_waitcnt vmcnt(61) lgkmcnt(4)
	v_mul_f32_e32 v31, v20, v90
	s_waitcnt vmcnt(60) lgkmcnt(3)
	v_mul_f32_e32 v32, v14, v186
	s_waitcnt vmcnt(59)
	v_mul_f32_e32 v33, v16, v187
	s_waitcnt vmcnt(58)
	v_mul_f32_e32 v30, v18, v188
	s_waitcnt vmcnt(57) lgkmcnt(2)
	v_mul_f32_e32 v34, v10, v189
	s_waitcnt vmcnt(56)
	v_mul_f32_e32 v35, v12, v190
	s_waitcnt vmcnt(55) lgkmcnt(1)
	v_mul_f32_e32 v36, v6, v191
	s_waitcnt vmcnt(54)
	v_mul_f32_e32 v37, v8, v192
	s_waitcnt vmcnt(53)
	v_fmac_f32_e32 v30, v19, v193
	s_waitcnt vmcnt(52)
	v_fmac_f32_e32 v29, v25, v194
	;; [unrolled: 2-line block ×3, first 2 shown]
	v_add_f32_e32 v28, 0, v28
	v_add_f32_e32 v28, v28, v29
	;; [unrolled: 1-line block ×3, first 2 shown]
	s_waitcnt vmcnt(47)
	v_fmac_f32_e32 v31, v21, v199
	v_fmac_f32_e32 v32, v15, v198
	v_add_f32_e32 v28, v28, v31
	v_fmac_f32_e32 v33, v17, v197
	v_add_f32_e32 v28, v28, v32
	;; [unrolled: 2-line block ×3, first 2 shown]
	s_waitcnt vmcnt(43)
	v_fmac_f32_e32 v35, v13, v204
	v_add_f32_e32 v28, v28, v34
	v_fmac_f32_e32 v36, v7, v203
	v_add_f32_e32 v28, v28, v35
	;; [unrolled: 2-line block ×3, first 2 shown]
	s_waitcnt vmcnt(42) lgkmcnt(0)
	v_mul_f32_e32 v29, v2, v205
	v_add_f32_e32 v28, v28, v37
	v_fmac_f32_e32 v29, v3, v200
	v_add_f32_e32 v32, v28, v29
	ds_read_b128 v[28:31], v202 offset:528
	buffer_load_dword v246, off, s[0:3], 0 offset:280
	buffer_load_dword v247, off, s[0:3], 0 offset:284
	s_waitcnt vmcnt(43)
	v_mul_f32_e32 v33, v4, v206
	s_waitcnt vmcnt(36)
	v_fmac_f32_e32 v33, v5, v213
	v_add_f32_e32 v36, v32, v33
	ds_read_b128 v[32:35], v202 offset:544
	buffer_load_dword v248, off, s[0:3], 0 offset:288
	buffer_load_dword v249, off, s[0:3], 0 offset:292
	;; [unrolled: 1-line block ×8, first 2 shown]
	s_waitcnt lgkmcnt(1)
	v_mul_f32_e32 v37, v28, v208
	v_fmac_f32_e32 v37, v29, v207
	v_add_f32_e32 v36, v36, v37
	v_mul_f32_e32 v37, v30, v210
	v_fmac_f32_e32 v37, v31, v209
	v_add_f32_e32 v36, v36, v37
	s_waitcnt lgkmcnt(0)
	v_mul_f32_e32 v37, v32, v212
	v_fmac_f32_e32 v37, v33, v211
	v_add_f32_e32 v40, v36, v37
	buffer_load_dword v1, off, s[0:3], 0 offset:320
	buffer_load_dword v104, off, s[0:3], 0 offset:324
	;; [unrolled: 1-line block ×4, first 2 shown]
	ds_read_b128 v[36:39], v202 offset:560
	s_waitcnt vmcnt(44)
	v_mul_f32_e32 v41, v34, v215
	v_fmac_f32_e32 v41, v35, v214
	v_add_f32_e32 v44, v40, v41
	ds_read_b128 v[40:43], v202 offset:576
	s_waitcnt vmcnt(42) lgkmcnt(1)
	v_mul_f32_e32 v45, v36, v217
	v_fmac_f32_e32 v45, v37, v216
	v_add_f32_e32 v44, v44, v45
	s_waitcnt vmcnt(40)
	v_mul_f32_e32 v45, v38, v219
	v_fmac_f32_e32 v45, v39, v218
	v_add_f32_e32 v44, v44, v45
	s_waitcnt vmcnt(38) lgkmcnt(0)
	v_mul_f32_e32 v45, v40, v221
	v_fmac_f32_e32 v45, v41, v220
	v_add_f32_e32 v48, v44, v45
	ds_read_b128 v[44:47], v202 offset:592
	s_waitcnt vmcnt(36)
	v_mul_f32_e32 v49, v42, v223
	v_fmac_f32_e32 v49, v43, v222
	v_add_f32_e32 v52, v48, v49
	ds_read_b128 v[48:51], v202 offset:608
	s_waitcnt vmcnt(34) lgkmcnt(1)
	v_mul_f32_e32 v53, v44, v225
	v_fmac_f32_e32 v53, v45, v224
	v_add_f32_e32 v52, v52, v53
	s_waitcnt vmcnt(32)
	v_mul_f32_e32 v53, v46, v227
	v_fmac_f32_e32 v53, v47, v226
	v_add_f32_e32 v52, v52, v53
	s_waitcnt vmcnt(30) lgkmcnt(0)
	v_mul_f32_e32 v53, v48, v229
	v_fmac_f32_e32 v53, v49, v228
	v_add_f32_e32 v56, v52, v53
	;; [unrolled: 18-line block ×4, first 2 shown]
	ds_read_b128 v[68:71], v202 offset:688
	v_mul_f32_e32 v23, v23, v86
	v_fma_f32 v22, v22, v195, -v23
	v_mul_f32_e32 v23, v25, v88
	v_add_f32_e32 v22, 0, v22
	s_waitcnt vmcnt(12)
	v_mul_f32_e32 v73, v66, v247
	v_fmac_f32_e32 v73, v67, v246
	v_add_f32_e32 v76, v72, v73
	ds_read_b128 v[72:75], v202 offset:704
	buffer_load_dword v85, off, s[0:3], 0 offset:340
	buffer_load_dword v84, off, s[0:3], 0 offset:336
	s_waitcnt vmcnt(12) lgkmcnt(1)
	v_mul_f32_e32 v77, v68, v249
	v_fmac_f32_e32 v77, v69, v248
	v_add_f32_e32 v76, v76, v77
	s_waitcnt vmcnt(10)
	v_mul_f32_e32 v77, v70, v251
	v_fmac_f32_e32 v77, v71, v250
	v_add_f32_e32 v76, v76, v77
	s_waitcnt vmcnt(8) lgkmcnt(0)
	v_mul_f32_e32 v77, v72, v253
	v_fmac_f32_e32 v77, v73, v252
	s_waitcnt vmcnt(6)
	v_mul_f32_e32 v81, v74, v255
	v_add_f32_e32 v80, v76, v77
	v_fmac_f32_e32 v81, v75, v254
	ds_read_b128 v[76:79], v202 offset:720
	v_add_f32_e32 v87, v80, v81
	ds_read_b128 v[80:83], v202 offset:736
	buffer_load_dword v93, off, s[0:3], 0 offset:372
	buffer_load_dword v92, off, s[0:3], 0 offset:368
	;; [unrolled: 1-line block ×14, first 2 shown]
	v_fma_f32 v23, v24, v194, -v23
	v_mul_f32_e32 v19, v19, v188
	v_add_f32_e32 v22, v22, v23
	v_fma_f32 v18, v18, v193, -v19
	v_mul_f32_e32 v19, v21, v90
	v_add_f32_e32 v18, v22, v18
	;; [unrolled: 3-line block ×10, first 2 shown]
	v_fma_f32 v3, v4, v213, -v3
	v_add_f32_e32 v2, v2, v3
	v_mul_f32_e32 v3, v29, v208
	v_fma_f32 v3, v28, v207, -v3
	v_add_f32_e32 v2, v2, v3
	v_mul_f32_e32 v3, v31, v210
	;; [unrolled: 3-line block ×24, first 2 shown]
	v_fma_f32 v3, v74, v254, -v3
	s_waitcnt vmcnt(15)
	v_mov_b32_e32 v16, v85
	s_waitcnt lgkmcnt(1)
	v_mul_f32_e32 v89, v76, v104
	v_add_f32_e32 v86, v2, v3
	v_mul_f32_e32 v2, v77, v104
	s_waitcnt lgkmcnt(0)
	v_pk_mul_f32 v[16:17], v[80:81], v[16:17] op_sel_hi:[1,0]
	v_fmac_f32_e32 v89, v77, v1
	v_mul_f32_e32 v91, v78, v106
	v_fma_f32 v88, v76, v1, -v2
	v_mul_f32_e32 v1, v79, v106
	s_waitcnt vmcnt(14)
	v_pk_fma_f32 v[18:19], v[80:81], v[84:85], v[16:17] op_sel:[0,0,1] op_sel_hi:[1,1,0] neg_lo:[0,0,1] neg_hi:[0,0,1]
	v_pk_fma_f32 v[16:17], v[80:81], v[84:85], v[16:17] op_sel:[0,0,1] op_sel_hi:[1,0,0]
	v_fmac_f32_e32 v91, v79, v105
	v_fma_f32 v90, v78, v105, -v1
	v_pk_add_f32 v[14:15], v[86:87], v[88:89]
	s_waitcnt vmcnt(7)
	v_mov_b32_e32 v16, v99
	ds_read_b128 v[2:5], v202 offset:752
	ds_read_b128 v[6:9], v202 offset:768
	;; [unrolled: 1-line block ×3, first 2 shown]
	v_pk_add_f32 v[14:15], v[14:15], v[90:91]
	v_mov_b32_e32 v19, v17
	v_pk_mul_f32 v[16:17], v[82:83], v[16:17] op_sel_hi:[1,0]
	v_pk_add_f32 v[14:15], v[14:15], v[18:19]
	s_waitcnt vmcnt(6)
	v_pk_fma_f32 v[18:19], v[82:83], v[98:99], v[16:17] op_sel:[0,0,1] op_sel_hi:[1,1,0] neg_lo:[0,0,1] neg_hi:[0,0,1]
	v_pk_fma_f32 v[16:17], v[82:83], v[98:99], v[16:17] op_sel:[0,0,1] op_sel_hi:[1,0,0]
	v_mov_b32_e32 v16, v97
	v_mov_b32_e32 v19, v17
	s_waitcnt lgkmcnt(2)
	v_pk_mul_f32 v[16:17], v[2:3], v[16:17] op_sel_hi:[1,0]
	v_pk_add_f32 v[14:15], v[14:15], v[18:19]
	v_pk_fma_f32 v[18:19], v[2:3], v[96:97], v[16:17] op_sel:[0,0,1] op_sel_hi:[1,1,0] neg_lo:[0,0,1] neg_hi:[0,0,1]
	v_pk_fma_f32 v[2:3], v[2:3], v[96:97], v[16:17] op_sel:[0,0,1] op_sel_hi:[1,0,0]
	v_mov_b32_e32 v19, v3
	v_pk_add_f32 v[2:3], v[14:15], v[18:19]
	v_mov_b32_e32 v14, v95
	v_pk_mul_f32 v[14:15], v[4:5], v[14:15] op_sel_hi:[1,0]
	v_pk_fma_f32 v[16:17], v[4:5], v[94:95], v[14:15] op_sel:[0,0,1] op_sel_hi:[1,1,0] neg_lo:[0,0,1] neg_hi:[0,0,1]
	v_pk_fma_f32 v[4:5], v[4:5], v[94:95], v[14:15] op_sel:[0,0,1] op_sel_hi:[1,0,0]
	v_mov_b32_e32 v4, v93
	v_mov_b32_e32 v17, v5
	s_waitcnt lgkmcnt(1)
	v_pk_mul_f32 v[4:5], v[6:7], v[4:5] op_sel_hi:[1,0]
	v_pk_fma_f32 v[14:15], v[6:7], v[92:93], v[4:5] op_sel:[0,0,1] op_sel_hi:[1,1,0] neg_lo:[0,0,1] neg_hi:[0,0,1]
	v_pk_fma_f32 v[4:5], v[6:7], v[92:93], v[4:5] op_sel:[0,0,1] op_sel_hi:[1,0,0]
	s_waitcnt vmcnt(1)
	v_mov_b32_e32 v4, v185
	v_mov_b32_e32 v15, v5
	v_pk_mul_f32 v[4:5], v[8:9], v[4:5] op_sel_hi:[1,0]
	s_waitcnt vmcnt(0)
	v_pk_fma_f32 v[6:7], v[8:9], v[184:185], v[4:5] op_sel:[0,0,1] op_sel_hi:[1,1,0] neg_lo:[0,0,1] neg_hi:[0,0,1]
	v_pk_fma_f32 v[4:5], v[8:9], v[184:185], v[4:5] op_sel:[0,0,1] op_sel_hi:[1,0,0]
	v_pk_add_f32 v[2:3], v[2:3], v[16:17]
	v_mov_b32_e32 v4, v103
	v_pk_add_f32 v[2:3], v[2:3], v[14:15]
	v_mov_b32_e32 v7, v5
	s_waitcnt lgkmcnt(0)
	v_pk_mul_f32 v[4:5], v[10:11], v[4:5] op_sel_hi:[1,0]
	v_pk_add_f32 v[2:3], v[2:3], v[6:7]
	v_pk_fma_f32 v[6:7], v[10:11], v[102:103], v[4:5] op_sel:[0,0,1] op_sel_hi:[1,1,0] neg_lo:[0,0,1] neg_hi:[0,0,1]
	v_pk_fma_f32 v[4:5], v[10:11], v[102:103], v[4:5] op_sel:[0,0,1] op_sel_hi:[1,0,0]
	v_mov_b32_e32 v4, v101
	v_mov_b32_e32 v7, v5
	v_pk_mul_f32 v[4:5], v[12:13], v[4:5] op_sel_hi:[1,0]
	v_pk_add_f32 v[2:3], v[2:3], v[6:7]
	v_pk_fma_f32 v[6:7], v[12:13], v[100:101], v[4:5] op_sel:[0,0,1] op_sel_hi:[1,1,0] neg_lo:[0,0,1] neg_hi:[0,0,1]
	v_pk_fma_f32 v[4:5], v[12:13], v[100:101], v[4:5] op_sel:[0,0,1] op_sel_hi:[1,0,0]
	v_mov_b32_e32 v7, v5
	v_pk_add_f32 v[2:3], v[2:3], v[6:7]
	v_pk_add_f32 v[2:3], v[26:27], v[2:3] neg_lo:[0,1] neg_hi:[0,1]
	buffer_store_dword v3, off, s[0:3], 0 offset:28
	buffer_store_dword v2, off, s[0:3], 0 offset:24
	s_and_saveexec_b64 s[4:5], vcc
	s_cbranch_execz .LBB113_309
; %bb.308:
	buffer_load_dword v2, off, s[0:3], 0 offset:16
	buffer_load_dword v3, off, s[0:3], 0 offset:20
	v_mov_b32_e32 v1, 0
	buffer_store_dword v1, off, s[0:3], 0 offset:16
	buffer_store_dword v1, off, s[0:3], 0 offset:20
	s_waitcnt vmcnt(2)
	ds_write_b64 v111, v[2:3]
.LBB113_309:
	s_or_b64 exec, exec, s[4:5]
	s_waitcnt lgkmcnt(0)
	; wave barrier
	s_waitcnt lgkmcnt(0)
	buffer_load_dword v33, off, s[0:3], 0 offset:28
	buffer_load_dword v32, off, s[0:3], 0 offset:36
	;; [unrolled: 1-line block ×48, first 2 shown]
	v_mov_b32_e32 v36, 0
	ds_read2_b64 v[22:25], v36 offset0:53 offset1:54
	ds_read2_b64 v[18:21], v36 offset0:55 offset1:56
	;; [unrolled: 1-line block ×6, first 2 shown]
	buffer_load_dword v225, off, s[0:3], 0 offset:208
	buffer_load_dword v226, off, s[0:3], 0 offset:212
	;; [unrolled: 1-line block ×12, first 2 shown]
	v_cmp_lt_u32_e32 vcc, 1, v0
	s_waitcnt vmcnt(59) lgkmcnt(5)
	v_mul_f32_e32 v35, v22, v33
	s_waitcnt vmcnt(58)
	v_mul_f32_e32 v38, v24, v32
	s_waitcnt vmcnt(57) lgkmcnt(4)
	v_mul_f32_e32 v40, v20, v31
	s_waitcnt vmcnt(56) lgkmcnt(3)
	v_mul_f32_e32 v41, v14, v30
	s_waitcnt vmcnt(55)
	v_mul_f32_e32 v42, v16, v28
	s_waitcnt vmcnt(54)
	v_mul_f32_e32 v39, v18, v34
	s_waitcnt vmcnt(53) lgkmcnt(2)
	v_mul_f32_e32 v43, v10, v29
	s_waitcnt vmcnt(52)
	v_mul_f32_e32 v44, v12, v1
	s_waitcnt vmcnt(51) lgkmcnt(1)
	v_mul_f32_e32 v45, v6, v37
	s_waitcnt vmcnt(50)
	v_mul_f32_e32 v46, v8, v94
	s_waitcnt vmcnt(49)
	v_fmac_f32_e32 v39, v19, v96
	s_waitcnt vmcnt(48)
	v_fmac_f32_e32 v38, v25, v104
	;; [unrolled: 2-line block ×3, first 2 shown]
	v_add_f32_e32 v35, 0, v35
	v_add_f32_e32 v35, v35, v38
	;; [unrolled: 1-line block ×3, first 2 shown]
	s_waitcnt vmcnt(43)
	v_fmac_f32_e32 v40, v21, v195
	v_fmac_f32_e32 v41, v15, v194
	v_add_f32_e32 v35, v35, v40
	v_fmac_f32_e32 v42, v17, v107
	v_add_f32_e32 v35, v35, v41
	;; [unrolled: 2-line block ×3, first 2 shown]
	s_waitcnt vmcnt(39)
	v_fmac_f32_e32 v44, v13, v199
	v_add_f32_e32 v35, v35, v43
	v_fmac_f32_e32 v45, v7, v198
	v_add_f32_e32 v35, v35, v44
	;; [unrolled: 2-line block ×3, first 2 shown]
	s_waitcnt vmcnt(38) lgkmcnt(0)
	v_mul_f32_e32 v38, v2, v200
	v_add_f32_e32 v35, v35, v46
	v_fmac_f32_e32 v38, v3, v196
	v_add_f32_e32 v35, v35, v38
	ds_read2_b64 v[38:41], v36 offset0:65 offset1:66
	buffer_load_dword v237, off, s[0:3], 0 offset:256
	buffer_load_dword v238, off, s[0:3], 0 offset:260
	;; [unrolled: 1-line block ×4, first 2 shown]
	s_waitcnt vmcnt(35)
	v_mul_f32_e32 v42, v4, v207
	s_waitcnt vmcnt(34)
	v_fmac_f32_e32 v42, v5, v208
	v_add_f32_e32 v35, v35, v42
	ds_read2_b64 v[42:45], v36 offset0:67 offset1:68
	buffer_load_dword v241, off, s[0:3], 0 offset:272
	buffer_load_dword v242, off, s[0:3], 0 offset:276
	;; [unrolled: 1-line block ×10, first 2 shown]
	s_waitcnt lgkmcnt(1)
	v_mul_f32_e32 v46, v38, v202
	v_fmac_f32_e32 v46, v39, v201
	v_add_f32_e32 v35, v35, v46
	v_mul_f32_e32 v46, v40, v204
	v_fmac_f32_e32 v46, v41, v203
	v_add_f32_e32 v35, v35, v46
	s_waitcnt lgkmcnt(0)
	v_mul_f32_e32 v46, v42, v206
	v_fmac_f32_e32 v46, v43, v205
	v_add_f32_e32 v35, v35, v46
	buffer_load_dword v251, off, s[0:3], 0 offset:312
	buffer_load_dword v252, off, s[0:3], 0 offset:316
	;; [unrolled: 1-line block ×6, first 2 shown]
	ds_read2_b64 v[46:49], v36 offset0:69 offset1:70
	s_waitcnt vmcnt(46)
	v_mul_f32_e32 v50, v44, v210
	v_fmac_f32_e32 v50, v45, v209
	v_add_f32_e32 v35, v35, v50
	ds_read2_b64 v[50:53], v36 offset0:71 offset1:72
	s_waitcnt vmcnt(44) lgkmcnt(1)
	v_mul_f32_e32 v54, v46, v212
	v_fmac_f32_e32 v54, v47, v211
	v_add_f32_e32 v35, v35, v54
	s_waitcnt vmcnt(42)
	v_mul_f32_e32 v54, v48, v214
	v_fmac_f32_e32 v54, v49, v213
	v_add_f32_e32 v35, v35, v54
	s_waitcnt vmcnt(40) lgkmcnt(0)
	v_mul_f32_e32 v54, v50, v216
	v_fmac_f32_e32 v54, v51, v215
	v_add_f32_e32 v35, v35, v54
	ds_read2_b64 v[54:57], v36 offset0:73 offset1:74
	s_waitcnt vmcnt(38)
	v_mul_f32_e32 v58, v52, v218
	v_fmac_f32_e32 v58, v53, v217
	v_add_f32_e32 v35, v35, v58
	ds_read2_b64 v[58:61], v36 offset0:75 offset1:76
	s_waitcnt vmcnt(36) lgkmcnt(1)
	v_mul_f32_e32 v62, v54, v220
	v_fmac_f32_e32 v62, v55, v219
	v_add_f32_e32 v35, v35, v62
	s_waitcnt vmcnt(34)
	v_mul_f32_e32 v62, v56, v222
	v_fmac_f32_e32 v62, v57, v221
	v_add_f32_e32 v35, v35, v62
	s_waitcnt vmcnt(32) lgkmcnt(0)
	v_mul_f32_e32 v62, v58, v224
	v_fmac_f32_e32 v62, v59, v223
	v_add_f32_e32 v35, v35, v62
	;; [unrolled: 18-line block ×3, first 2 shown]
	ds_read2_b64 v[70:73], v36 offset0:81 offset1:82
	s_waitcnt vmcnt(22)
	v_mul_f32_e32 v74, v68, v234
	v_fmac_f32_e32 v74, v69, v233
	v_add_f32_e32 v35, v35, v74
	ds_read2_b64 v[74:77], v36 offset0:83 offset1:84
	s_waitcnt vmcnt(20) lgkmcnt(1)
	v_mul_f32_e32 v78, v70, v236
	v_fmac_f32_e32 v78, v71, v235
	v_add_f32_e32 v35, v35, v78
	v_mul_f32_e32 v23, v23, v33
	v_fma_f32 v22, v22, v105, -v23
	v_mul_f32_e32 v23, v25, v32
	v_add_f32_e32 v22, 0, v22
	v_fma_f32 v23, v24, v104, -v23
	v_mul_f32_e32 v19, v19, v34
	v_add_f32_e32 v22, v22, v23
	v_fma_f32 v18, v18, v96, -v19
	v_mul_f32_e32 v19, v21, v31
	s_waitcnt vmcnt(18)
	v_mul_f32_e32 v78, v72, v238
	v_fmac_f32_e32 v78, v73, v237
	v_add_f32_e32 v35, v35, v78
	s_waitcnt vmcnt(16) lgkmcnt(0)
	v_mul_f32_e32 v78, v74, v240
	v_fmac_f32_e32 v78, v75, v239
	v_add_f32_e32 v35, v35, v78
	ds_read2_b64 v[78:81], v36 offset0:85 offset1:86
	s_waitcnt vmcnt(14)
	v_mul_f32_e32 v82, v76, v242
	v_fmac_f32_e32 v82, v77, v241
	v_add_f32_e32 v35, v35, v82
	ds_read2_b64 v[82:85], v36 offset0:87 offset1:88
	s_waitcnt vmcnt(12) lgkmcnt(1)
	v_mul_f32_e32 v86, v78, v244
	v_fmac_f32_e32 v86, v79, v243
	v_add_f32_e32 v35, v35, v86
	s_waitcnt vmcnt(10)
	v_mul_f32_e32 v86, v80, v246
	v_fmac_f32_e32 v86, v81, v245
	v_add_f32_e32 v35, v35, v86
	s_waitcnt vmcnt(8) lgkmcnt(0)
	v_mul_f32_e32 v86, v82, v248
	v_fmac_f32_e32 v86, v83, v247
	s_waitcnt vmcnt(6)
	v_mul_f32_e32 v90, v84, v250
	v_add_f32_e32 v35, v35, v86
	v_fmac_f32_e32 v90, v85, v249
	ds_read2_b64 v[86:89], v36 offset0:89 offset1:90
	v_add_f32_e32 v35, v35, v90
	ds_read2_b64 v[90:93], v36 offset0:91 offset1:92
	buffer_load_dword v99, off, s[0:3], 0 offset:364
	buffer_load_dword v98, off, s[0:3], 0 offset:360
	buffer_load_dword v101, off, s[0:3], 0 offset:356
	buffer_load_dword v100, off, s[0:3], 0 offset:352
	buffer_load_dword v103, off, s[0:3], 0 offset:348
	buffer_load_dword v102, off, s[0:3], 0 offset:344
	buffer_load_dword v185, off, s[0:3], 0 offset:340
	buffer_load_dword v184, off, s[0:3], 0 offset:336
	buffer_load_dword v187, off, s[0:3], 0 offset:396
	buffer_load_dword v186, off, s[0:3], 0 offset:392
	buffer_load_dword v189, off, s[0:3], 0 offset:388
	buffer_load_dword v188, off, s[0:3], 0 offset:384
	buffer_load_dword v191, off, s[0:3], 0 offset:380
	buffer_load_dword v190, off, s[0:3], 0 offset:376
	buffer_load_dword v193, off, s[0:3], 0 offset:372
	buffer_load_dword v192, off, s[0:3], 0 offset:368
	v_add_f32_e32 v18, v22, v18
	v_fma_f32 v19, v20, v195, -v19
	v_mul_f32_e32 v15, v15, v30
	v_add_f32_e32 v18, v18, v19
	v_fma_f32 v14, v14, v194, -v15
	v_mul_f32_e32 v15, v17, v28
	;; [unrolled: 3-line block ×5, first 2 shown]
	v_add_f32_e32 v1, v10, v1
	v_fma_f32 v6, v6, v198, -v7
	v_add_f32_e32 v1, v1, v6
	v_mul_f32_e32 v6, v9, v94
	v_fma_f32 v6, v8, v197, -v6
	v_mul_f32_e32 v3, v3, v200
	v_add_f32_e32 v1, v1, v6
	v_fma_f32 v2, v2, v196, -v3
	v_add_f32_e32 v1, v1, v2
	v_mul_f32_e32 v2, v5, v207
	v_fma_f32 v2, v4, v208, -v2
	v_add_f32_e32 v1, v1, v2
	v_mul_f32_e32 v2, v39, v202
	;; [unrolled: 3-line block ×25, first 2 shown]
	v_fma_f32 v2, v84, v249, -v2
	s_waitcnt vmcnt(20) lgkmcnt(1)
	v_mul_f32_e32 v95, v86, v252
	v_add_f32_e32 v1, v1, v2
	v_mul_f32_e32 v2, v87, v252
	v_fmac_f32_e32 v95, v87, v251
	v_fma_f32 v2, v86, v251, -v2
	s_waitcnt vmcnt(9)
	v_mov_b32_e32 v18, v185
	v_add_f32_e32 v35, v35, v95
	v_mul_f32_e32 v95, v88, v254
	v_add_f32_e32 v34, v1, v2
	v_mul_f32_e32 v1, v89, v254
	s_waitcnt lgkmcnt(0)
	v_pk_mul_f32 v[18:19], v[92:93], v[18:19] op_sel_hi:[1,0]
	v_fmac_f32_e32 v95, v89, v253
	v_mul_f32_e32 v97, v90, v108
	v_fma_f32 v94, v88, v253, -v1
	v_mul_f32_e32 v1, v91, v108
	ds_read2_b64 v[2:5], v36 offset0:93 offset1:94
	ds_read2_b64 v[6:9], v36 offset0:95 offset1:96
	;; [unrolled: 1-line block ×3, first 2 shown]
	ds_read_b64 v[14:15], v36 offset:792
	s_waitcnt vmcnt(8)
	v_pk_fma_f32 v[20:21], v[92:93], v[184:185], v[18:19] op_sel:[0,0,1] op_sel_hi:[1,1,0] neg_lo:[0,0,1] neg_hi:[0,0,1]
	v_pk_fma_f32 v[18:19], v[92:93], v[184:185], v[18:19] op_sel:[0,0,1] op_sel_hi:[1,0,0]
	v_fmac_f32_e32 v97, v91, v255
	v_fma_f32 v96, v90, v255, -v1
	v_pk_add_f32 v[16:17], v[34:35], v[94:95]
	v_mov_b32_e32 v18, v103
	v_pk_add_f32 v[16:17], v[16:17], v[96:97]
	v_mov_b32_e32 v21, v19
	s_waitcnt lgkmcnt(3)
	v_pk_mul_f32 v[18:19], v[2:3], v[18:19] op_sel_hi:[1,0]
	v_pk_add_f32 v[16:17], v[16:17], v[20:21]
	v_pk_fma_f32 v[20:21], v[2:3], v[102:103], v[18:19] op_sel:[0,0,1] op_sel_hi:[1,1,0] neg_lo:[0,0,1] neg_hi:[0,0,1]
	v_pk_fma_f32 v[2:3], v[2:3], v[102:103], v[18:19] op_sel:[0,0,1] op_sel_hi:[1,0,0]
	v_mov_b32_e32 v21, v3
	v_pk_add_f32 v[2:3], v[16:17], v[20:21]
	v_mov_b32_e32 v16, v101
	v_pk_mul_f32 v[16:17], v[4:5], v[16:17] op_sel_hi:[1,0]
	v_pk_fma_f32 v[18:19], v[4:5], v[100:101], v[16:17] op_sel:[0,0,1] op_sel_hi:[1,1,0] neg_lo:[0,0,1] neg_hi:[0,0,1]
	v_pk_fma_f32 v[4:5], v[4:5], v[100:101], v[16:17] op_sel:[0,0,1] op_sel_hi:[1,0,0]
	v_mov_b32_e32 v4, v99
	v_mov_b32_e32 v19, v5
	s_waitcnt lgkmcnt(2)
	v_pk_mul_f32 v[4:5], v[6:7], v[4:5] op_sel_hi:[1,0]
	v_pk_fma_f32 v[16:17], v[6:7], v[98:99], v[4:5] op_sel:[0,0,1] op_sel_hi:[1,1,0] neg_lo:[0,0,1] neg_hi:[0,0,1]
	v_pk_fma_f32 v[4:5], v[6:7], v[98:99], v[4:5] op_sel:[0,0,1] op_sel_hi:[1,0,0]
	s_waitcnt vmcnt(1)
	v_mov_b32_e32 v4, v193
	v_mov_b32_e32 v17, v5
	v_pk_mul_f32 v[4:5], v[8:9], v[4:5] op_sel_hi:[1,0]
	s_waitcnt vmcnt(0)
	v_pk_fma_f32 v[6:7], v[8:9], v[192:193], v[4:5] op_sel:[0,0,1] op_sel_hi:[1,1,0] neg_lo:[0,0,1] neg_hi:[0,0,1]
	v_pk_fma_f32 v[4:5], v[8:9], v[192:193], v[4:5] op_sel:[0,0,1] op_sel_hi:[1,0,0]
	v_pk_add_f32 v[2:3], v[2:3], v[18:19]
	v_mov_b32_e32 v4, v191
	v_pk_add_f32 v[2:3], v[2:3], v[16:17]
	v_mov_b32_e32 v7, v5
	s_waitcnt lgkmcnt(1)
	v_pk_mul_f32 v[4:5], v[10:11], v[4:5] op_sel_hi:[1,0]
	v_pk_add_f32 v[2:3], v[2:3], v[6:7]
	v_pk_fma_f32 v[6:7], v[10:11], v[190:191], v[4:5] op_sel:[0,0,1] op_sel_hi:[1,1,0] neg_lo:[0,0,1] neg_hi:[0,0,1]
	v_pk_fma_f32 v[4:5], v[10:11], v[190:191], v[4:5] op_sel:[0,0,1] op_sel_hi:[1,0,0]
	v_mov_b32_e32 v4, v189
	v_mov_b32_e32 v7, v5
	v_pk_mul_f32 v[4:5], v[12:13], v[4:5] op_sel_hi:[1,0]
	v_pk_add_f32 v[2:3], v[2:3], v[6:7]
	v_pk_fma_f32 v[6:7], v[12:13], v[188:189], v[4:5] op_sel:[0,0,1] op_sel_hi:[1,1,0] neg_lo:[0,0,1] neg_hi:[0,0,1]
	v_pk_fma_f32 v[4:5], v[12:13], v[188:189], v[4:5] op_sel:[0,0,1] op_sel_hi:[1,0,0]
	v_mov_b32_e32 v4, v187
	v_mov_b32_e32 v7, v5
	s_waitcnt lgkmcnt(0)
	v_pk_mul_f32 v[4:5], v[14:15], v[4:5] op_sel_hi:[1,0]
	v_pk_add_f32 v[2:3], v[2:3], v[6:7]
	v_pk_fma_f32 v[6:7], v[14:15], v[186:187], v[4:5] op_sel:[0,0,1] op_sel_hi:[1,1,0] neg_lo:[0,0,1] neg_hi:[0,0,1]
	v_pk_fma_f32 v[4:5], v[14:15], v[186:187], v[4:5] op_sel:[0,0,1] op_sel_hi:[1,0,0]
	v_mov_b32_e32 v7, v5
	v_pk_add_f32 v[2:3], v[2:3], v[6:7]
	v_pk_add_f32 v[2:3], v[26:27], v[2:3] neg_lo:[0,1] neg_hi:[0,1]
	buffer_store_dword v3, off, s[0:3], 0 offset:20
	buffer_store_dword v2, off, s[0:3], 0 offset:16
	s_and_saveexec_b64 s[4:5], vcc
	s_cbranch_execz .LBB113_311
; %bb.310:
	buffer_load_dword v2, off, s[0:3], 0 offset:8
	buffer_load_dword v3, off, s[0:3], 0 offset:12
	s_waitcnt vmcnt(0)
	ds_write_b64 v111, v[2:3]
	buffer_store_dword v36, off, s[0:3], 0 offset:8
	buffer_store_dword v36, off, s[0:3], 0 offset:12
.LBB113_311:
	s_or_b64 exec, exec, s[4:5]
	s_waitcnt lgkmcnt(0)
	; wave barrier
	s_waitcnt lgkmcnt(0)
	buffer_load_dword v42, off, s[0:3], 0 offset:20
	buffer_load_dword v41, off, s[0:3], 0 offset:28
	;; [unrolled: 1-line block ×32, first 2 shown]
	ds_read_b128 v[22:25], v36 offset:416
	ds_read_b128 v[18:21], v36 offset:432
	;; [unrolled: 1-line block ×6, first 2 shown]
	buffer_load_dword v207, off, s[0:3], 0 offset:136
	buffer_load_dword v208, off, s[0:3], 0 offset:140
	;; [unrolled: 1-line block ×26, first 2 shown]
	v_cmp_ne_u32_e32 vcc, 0, v0
	s_waitcnt vmcnt(57) lgkmcnt(5)
	v_mul_f32_e32 v26, v22, v42
	s_waitcnt vmcnt(56)
	v_mul_f32_e32 v27, v24, v41
	s_waitcnt vmcnt(55) lgkmcnt(4)
	v_mul_f32_e32 v29, v20, v40
	s_waitcnt vmcnt(54) lgkmcnt(3)
	v_mul_f32_e32 v30, v14, v39
	s_waitcnt vmcnt(53)
	v_mul_f32_e32 v31, v16, v37
	s_waitcnt vmcnt(52)
	v_mul_f32_e32 v28, v18, v43
	s_waitcnt vmcnt(51) lgkmcnt(2)
	v_mul_f32_e32 v32, v10, v38
	s_waitcnt vmcnt(50)
	v_mul_f32_e32 v33, v12, v44
	s_waitcnt vmcnt(49) lgkmcnt(1)
	;; [unrolled: 4-line block ×3, first 2 shown]
	v_mul_f32_e32 v47, v2, v102
	s_waitcnt vmcnt(46)
	v_fmac_f32_e32 v28, v19, v104
	s_waitcnt vmcnt(45)
	v_fmac_f32_e32 v27, v25, v105
	;; [unrolled: 2-line block ×3, first 2 shown]
	v_add_f32_e32 v26, 0, v26
	v_add_f32_e32 v26, v26, v27
	;; [unrolled: 1-line block ×3, first 2 shown]
	s_waitcnt vmcnt(40)
	v_fmac_f32_e32 v29, v21, v194
	v_fmac_f32_e32 v30, v15, v109
	v_add_f32_e32 v26, v26, v29
	v_fmac_f32_e32 v31, v17, v108
	v_add_f32_e32 v26, v26, v30
	;; [unrolled: 2-line block ×3, first 2 shown]
	s_waitcnt vmcnt(36)
	v_fmac_f32_e32 v33, v13, v198
	v_add_f32_e32 v26, v26, v32
	v_fmac_f32_e32 v45, v7, v197
	v_add_f32_e32 v26, v26, v33
	;; [unrolled: 2-line block ×4, first 2 shown]
	s_waitcnt vmcnt(30)
	v_mul_f32_e32 v27, v4, v204
	v_add_f32_e32 v26, v26, v47
	s_waitcnt vmcnt(29)
	v_fmac_f32_e32 v27, v5, v205
	v_add_f32_e32 v45, v26, v27
	ds_read_b128 v[26:29], v36 offset:512
	buffer_load_dword v233, off, s[0:3], 0 offset:240
	buffer_load_dword v234, off, s[0:3], 0 offset:244
	ds_read_b128 v[30:33], v36 offset:528
	buffer_load_dword v235, off, s[0:3], 0 offset:248
	buffer_load_dword v236, off, s[0:3], 0 offset:252
	;; [unrolled: 1-line block ×14, first 2 shown]
	s_waitcnt vmcnt(44) lgkmcnt(1)
	v_mul_f32_e32 v46, v26, v206
	v_fmac_f32_e32 v46, v27, v203
	v_add_f32_e32 v45, v45, v46
	v_mul_f32_e32 v46, v28, v200
	v_fmac_f32_e32 v46, v29, v199
	v_add_f32_e32 v45, v45, v46
	s_waitcnt lgkmcnt(0)
	v_mul_f32_e32 v46, v30, v202
	v_fmac_f32_e32 v46, v31, v201
	v_add_f32_e32 v45, v45, v46
	buffer_load_dword v249, off, s[0:3], 0 offset:304
	buffer_load_dword v250, off, s[0:3], 0 offset:308
	ds_read_b128 v[46:49], v36 offset:544
	s_waitcnt vmcnt(42)
	v_mul_f32_e32 v50, v32, v208
	v_fmac_f32_e32 v50, v33, v207
	buffer_load_dword v251, off, s[0:3], 0 offset:312
	buffer_load_dword v252, off, s[0:3], 0 offset:316
	v_add_f32_e32 v45, v45, v50
	buffer_load_dword v253, off, s[0:3], 0 offset:320
	buffer_load_dword v254, off, s[0:3], 0 offset:324
	ds_read_b128 v[50:53], v36 offset:560
	s_waitcnt vmcnt(44) lgkmcnt(1)
	v_mul_f32_e32 v54, v46, v210
	v_fmac_f32_e32 v54, v47, v209
	v_add_f32_e32 v45, v45, v54
	s_waitcnt vmcnt(42)
	v_mul_f32_e32 v54, v48, v212
	v_fmac_f32_e32 v54, v49, v211
	v_add_f32_e32 v45, v45, v54
	s_waitcnt vmcnt(40) lgkmcnt(0)
	v_mul_f32_e32 v54, v50, v214
	v_fmac_f32_e32 v54, v51, v213
	buffer_load_dword v255, off, s[0:3], 0 offset:328
	buffer_load_dword v110, off, s[0:3], 0 offset:332
	v_add_f32_e32 v45, v45, v54
	ds_read_b128 v[54:57], v36 offset:576
	s_waitcnt vmcnt(40)
	v_mul_f32_e32 v58, v52, v216
	v_fmac_f32_e32 v58, v53, v215
	v_add_f32_e32 v45, v45, v58
	ds_read_b128 v[58:61], v36 offset:592
	s_waitcnt vmcnt(38) lgkmcnt(1)
	v_mul_f32_e32 v62, v54, v218
	v_fmac_f32_e32 v62, v55, v217
	v_add_f32_e32 v45, v45, v62
	s_waitcnt vmcnt(36)
	v_mul_f32_e32 v62, v56, v220
	v_fmac_f32_e32 v62, v57, v219
	v_add_f32_e32 v45, v45, v62
	s_waitcnt vmcnt(34) lgkmcnt(0)
	v_mul_f32_e32 v62, v58, v222
	v_fmac_f32_e32 v62, v59, v221
	v_add_f32_e32 v45, v45, v62
	ds_read_b128 v[62:65], v36 offset:608
	s_waitcnt vmcnt(32)
	v_mul_f32_e32 v66, v60, v224
	v_fmac_f32_e32 v66, v61, v223
	v_add_f32_e32 v45, v45, v66
	ds_read_b128 v[66:69], v36 offset:624
	s_waitcnt vmcnt(30) lgkmcnt(1)
	v_mul_f32_e32 v70, v62, v226
	v_fmac_f32_e32 v70, v63, v225
	v_add_f32_e32 v45, v45, v70
	s_waitcnt vmcnt(28)
	v_mul_f32_e32 v70, v64, v228
	v_fmac_f32_e32 v70, v65, v227
	v_add_f32_e32 v45, v45, v70
	s_waitcnt vmcnt(26) lgkmcnt(0)
	v_mul_f32_e32 v70, v66, v230
	v_fmac_f32_e32 v70, v67, v229
	v_add_f32_e32 v45, v45, v70
	ds_read_b128 v[70:73], v36 offset:640
	s_waitcnt vmcnt(24)
	v_mul_f32_e32 v74, v68, v232
	v_fmac_f32_e32 v74, v69, v231
	v_add_f32_e32 v45, v45, v74
	ds_read_b128 v[74:77], v36 offset:656
	v_mul_f32_e32 v23, v23, v42
	v_fma_f32 v22, v22, v106, -v23
	v_mul_f32_e32 v23, v25, v41
	v_add_f32_e32 v22, 0, v22
	v_fma_f32 v23, v24, v105, -v23
	v_mul_f32_e32 v19, v19, v43
	v_add_f32_e32 v22, v22, v23
	;; [unrolled: 3-line block ×3, first 2 shown]
	v_fma_f32 v19, v20, v194, -v19
	s_waitcnt vmcnt(22) lgkmcnt(1)
	v_mul_f32_e32 v78, v70, v234
	v_fmac_f32_e32 v78, v71, v233
	v_add_f32_e32 v45, v45, v78
	s_waitcnt vmcnt(20)
	v_mul_f32_e32 v78, v72, v236
	v_fmac_f32_e32 v78, v73, v235
	v_add_f32_e32 v45, v45, v78
	s_waitcnt vmcnt(18) lgkmcnt(0)
	v_mul_f32_e32 v78, v74, v238
	v_fmac_f32_e32 v78, v75, v237
	v_add_f32_e32 v45, v45, v78
	ds_read_b128 v[78:81], v36 offset:672
	s_waitcnt vmcnt(16)
	v_mul_f32_e32 v82, v76, v240
	v_fmac_f32_e32 v82, v77, v239
	v_add_f32_e32 v45, v45, v82
	ds_read_b128 v[82:85], v36 offset:688
	s_waitcnt vmcnt(14) lgkmcnt(1)
	v_mul_f32_e32 v86, v78, v242
	v_fmac_f32_e32 v86, v79, v241
	v_add_f32_e32 v45, v45, v86
	s_waitcnt vmcnt(12)
	v_mul_f32_e32 v86, v80, v244
	v_fmac_f32_e32 v86, v81, v243
	v_add_f32_e32 v45, v45, v86
	s_waitcnt vmcnt(10) lgkmcnt(0)
	v_mul_f32_e32 v86, v82, v246
	v_fmac_f32_e32 v86, v83, v245
	s_waitcnt vmcnt(8)
	v_mul_f32_e32 v90, v84, v248
	v_add_f32_e32 v45, v45, v86
	v_fmac_f32_e32 v90, v85, v247
	ds_read_b128 v[86:89], v36 offset:704
	v_add_f32_e32 v45, v45, v90
	ds_read_b128 v[90:93], v36 offset:720
	buffer_load_dword v97, off, s[0:3], 0 offset:356
	buffer_load_dword v96, off, s[0:3], 0 offset:352
	;; [unrolled: 1-line block ×16, first 2 shown]
	v_mul_f32_e32 v15, v15, v39
	v_add_f32_e32 v18, v18, v19
	v_fma_f32 v14, v14, v109, -v15
	v_mul_f32_e32 v15, v17, v37
	v_add_f32_e32 v14, v18, v14
	v_fma_f32 v15, v16, v108, -v15
	;; [unrolled: 3-line block ×7, first 2 shown]
	v_add_f32_e32 v1, v1, v2
	v_mul_f32_e32 v2, v5, v204
	v_fma_f32 v2, v4, v205, -v2
	v_add_f32_e32 v1, v1, v2
	v_mul_f32_e32 v2, v27, v206
	v_fma_f32 v2, v26, v203, -v2
	v_add_f32_e32 v1, v1, v2
	v_mul_f32_e32 v2, v29, v200
	v_fma_f32 v2, v28, v199, -v2
	v_add_f32_e32 v1, v1, v2
	v_mul_f32_e32 v2, v31, v202
	v_fma_f32 v2, v30, v201, -v2
	v_add_f32_e32 v1, v1, v2
	v_mul_f32_e32 v2, v33, v208
	v_fma_f32 v2, v32, v207, -v2
	v_add_f32_e32 v1, v1, v2
	v_mul_f32_e32 v2, v47, v210
	v_fma_f32 v2, v46, v209, -v2
	v_add_f32_e32 v1, v1, v2
	v_mul_f32_e32 v2, v49, v212
	v_fma_f32 v2, v48, v211, -v2
	v_add_f32_e32 v1, v1, v2
	v_mul_f32_e32 v2, v51, v214
	v_fma_f32 v2, v50, v213, -v2
	v_add_f32_e32 v1, v1, v2
	v_mul_f32_e32 v2, v53, v216
	v_fma_f32 v2, v52, v215, -v2
	v_add_f32_e32 v1, v1, v2
	v_mul_f32_e32 v2, v55, v218
	v_fma_f32 v2, v54, v217, -v2
	v_add_f32_e32 v1, v1, v2
	v_mul_f32_e32 v2, v57, v220
	v_fma_f32 v2, v56, v219, -v2
	v_add_f32_e32 v1, v1, v2
	v_mul_f32_e32 v2, v59, v222
	v_fma_f32 v2, v58, v221, -v2
	v_add_f32_e32 v1, v1, v2
	v_mul_f32_e32 v2, v61, v224
	v_fma_f32 v2, v60, v223, -v2
	v_add_f32_e32 v1, v1, v2
	v_mul_f32_e32 v2, v63, v226
	v_fma_f32 v2, v62, v225, -v2
	v_add_f32_e32 v1, v1, v2
	v_mul_f32_e32 v2, v65, v228
	v_fma_f32 v2, v64, v227, -v2
	v_add_f32_e32 v1, v1, v2
	v_mul_f32_e32 v2, v67, v230
	v_fma_f32 v2, v66, v229, -v2
	v_add_f32_e32 v1, v1, v2
	v_mul_f32_e32 v2, v69, v232
	v_fma_f32 v2, v68, v231, -v2
	v_add_f32_e32 v1, v1, v2
	v_mul_f32_e32 v2, v71, v234
	v_fma_f32 v2, v70, v233, -v2
	v_add_f32_e32 v1, v1, v2
	v_mul_f32_e32 v2, v73, v236
	v_fma_f32 v2, v72, v235, -v2
	v_add_f32_e32 v1, v1, v2
	v_mul_f32_e32 v2, v75, v238
	v_fma_f32 v2, v74, v237, -v2
	v_add_f32_e32 v1, v1, v2
	v_mul_f32_e32 v2, v77, v240
	v_fma_f32 v2, v76, v239, -v2
	v_add_f32_e32 v1, v1, v2
	v_mul_f32_e32 v2, v79, v242
	v_fma_f32 v2, v78, v241, -v2
	v_add_f32_e32 v1, v1, v2
	v_mul_f32_e32 v2, v81, v244
	v_fma_f32 v2, v80, v243, -v2
	v_add_f32_e32 v1, v1, v2
	v_mul_f32_e32 v2, v83, v246
	v_fma_f32 v2, v82, v245, -v2
	v_add_f32_e32 v1, v1, v2
	v_mul_f32_e32 v2, v85, v248
	v_fma_f32 v2, v84, v247, -v2
	v_add_f32_e32 v1, v1, v2
	s_waitcnt vmcnt(22) lgkmcnt(1)
	v_mul_f32_e32 v2, v87, v250
	v_mul_f32_e32 v95, v86, v250
	v_fma_f32 v2, v86, v249, -v2
	v_fmac_f32_e32 v95, v87, v249
	v_add_f32_e32 v1, v1, v2
	s_waitcnt vmcnt(20)
	v_mul_f32_e32 v2, v89, v252
	v_add_f32_e32 v45, v45, v95
	v_mul_f32_e32 v95, v88, v252
	v_fma_f32 v2, v88, v251, -v2
	v_fmac_f32_e32 v95, v89, v251
	v_add_f32_e32 v44, v1, v2
	ds_read_b128 v[2:5], v36 offset:736
	ds_read_b128 v[6:9], v36 offset:752
	;; [unrolled: 1-line block ×4, first 2 shown]
	v_add_f32_e32 v45, v45, v95
	s_waitcnt vmcnt(18) lgkmcnt(4)
	v_mul_f32_e32 v95, v90, v254
	v_mul_f32_e32 v1, v91, v254
	s_waitcnt vmcnt(11)
	v_mov_b32_e32 v20, v101
	v_fmac_f32_e32 v95, v91, v253
	v_mul_f32_e32 v103, v92, v110
	v_fma_f32 v94, v90, v253, -v1
	v_mul_f32_e32 v1, v93, v110
	s_waitcnt lgkmcnt(3)
	v_pk_mul_f32 v[20:21], v[2:3], v[20:21] op_sel_hi:[1,0]
	v_fmac_f32_e32 v103, v93, v255
	v_fma_f32 v102, v92, v255, -v1
	v_pk_add_f32 v[18:19], v[44:45], v[94:95]
	s_waitcnt vmcnt(10)
	v_pk_fma_f32 v[22:23], v[2:3], v[100:101], v[20:21] op_sel:[0,0,1] op_sel_hi:[1,1,0] neg_lo:[0,0,1] neg_hi:[0,0,1]
	v_pk_fma_f32 v[2:3], v[2:3], v[100:101], v[20:21] op_sel:[0,0,1] op_sel_hi:[1,0,0]
	v_pk_add_f32 v[18:19], v[18:19], v[102:103]
	v_mov_b32_e32 v23, v3
	v_pk_add_f32 v[2:3], v[18:19], v[22:23]
	v_mov_b32_e32 v18, v99
	v_pk_mul_f32 v[18:19], v[4:5], v[18:19] op_sel_hi:[1,0]
	v_pk_fma_f32 v[20:21], v[4:5], v[98:99], v[18:19] op_sel:[0,0,1] op_sel_hi:[1,1,0] neg_lo:[0,0,1] neg_hi:[0,0,1]
	v_pk_fma_f32 v[4:5], v[4:5], v[98:99], v[18:19] op_sel:[0,0,1] op_sel_hi:[1,0,0]
	v_mov_b32_e32 v4, v97
	v_mov_b32_e32 v21, v5
	s_waitcnt lgkmcnt(2)
	v_pk_mul_f32 v[4:5], v[6:7], v[4:5] op_sel_hi:[1,0]
	v_pk_fma_f32 v[18:19], v[6:7], v[96:97], v[4:5] op_sel:[0,0,1] op_sel_hi:[1,1,0] neg_lo:[0,0,1] neg_hi:[0,0,1]
	v_pk_fma_f32 v[4:5], v[6:7], v[96:97], v[4:5] op_sel:[0,0,1] op_sel_hi:[1,0,0]
	s_waitcnt vmcnt(3)
	v_mov_b32_e32 v4, v191
	v_mov_b32_e32 v19, v5
	v_pk_mul_f32 v[4:5], v[8:9], v[4:5] op_sel_hi:[1,0]
	s_waitcnt vmcnt(2)
	v_pk_fma_f32 v[6:7], v[8:9], v[190:191], v[4:5] op_sel:[0,0,1] op_sel_hi:[1,1,0] neg_lo:[0,0,1] neg_hi:[0,0,1]
	v_pk_fma_f32 v[4:5], v[8:9], v[190:191], v[4:5] op_sel:[0,0,1] op_sel_hi:[1,0,0]
	v_pk_add_f32 v[2:3], v[2:3], v[20:21]
	v_mov_b32_e32 v4, v189
	v_pk_add_f32 v[2:3], v[2:3], v[18:19]
	v_mov_b32_e32 v7, v5
	s_waitcnt lgkmcnt(1)
	v_pk_mul_f32 v[4:5], v[10:11], v[4:5] op_sel_hi:[1,0]
	v_pk_add_f32 v[2:3], v[2:3], v[6:7]
	v_pk_fma_f32 v[6:7], v[10:11], v[188:189], v[4:5] op_sel:[0,0,1] op_sel_hi:[1,1,0] neg_lo:[0,0,1] neg_hi:[0,0,1]
	v_pk_fma_f32 v[4:5], v[10:11], v[188:189], v[4:5] op_sel:[0,0,1] op_sel_hi:[1,0,0]
	v_mov_b32_e32 v4, v187
	v_mov_b32_e32 v7, v5
	v_pk_mul_f32 v[4:5], v[12:13], v[4:5] op_sel_hi:[1,0]
	v_pk_add_f32 v[2:3], v[2:3], v[6:7]
	v_pk_fma_f32 v[6:7], v[12:13], v[186:187], v[4:5] op_sel:[0,0,1] op_sel_hi:[1,1,0] neg_lo:[0,0,1] neg_hi:[0,0,1]
	v_pk_fma_f32 v[4:5], v[12:13], v[186:187], v[4:5] op_sel:[0,0,1] op_sel_hi:[1,0,0]
	v_mov_b32_e32 v4, v185
	v_mov_b32_e32 v7, v5
	s_waitcnt lgkmcnt(0)
	v_pk_mul_f32 v[4:5], v[14:15], v[4:5] op_sel_hi:[1,0]
	v_pk_add_f32 v[2:3], v[2:3], v[6:7]
	v_pk_fma_f32 v[6:7], v[14:15], v[184:185], v[4:5] op_sel:[0,0,1] op_sel_hi:[1,1,0] neg_lo:[0,0,1] neg_hi:[0,0,1]
	v_pk_fma_f32 v[4:5], v[14:15], v[184:185], v[4:5] op_sel:[0,0,1] op_sel_hi:[1,0,0]
	s_waitcnt vmcnt(1)
	v_mov_b32_e32 v4, v193
	v_mov_b32_e32 v7, v5
	v_pk_mul_f32 v[4:5], v[16:17], v[4:5] op_sel_hi:[1,0]
	v_pk_add_f32 v[2:3], v[2:3], v[6:7]
	s_waitcnt vmcnt(0)
	v_pk_fma_f32 v[6:7], v[16:17], v[192:193], v[4:5] op_sel:[0,0,1] op_sel_hi:[1,1,0] neg_lo:[0,0,1] neg_hi:[0,0,1]
	v_pk_fma_f32 v[4:5], v[16:17], v[192:193], v[4:5] op_sel:[0,0,1] op_sel_hi:[1,0,0]
	v_mov_b32_e32 v7, v5
	v_pk_add_f32 v[2:3], v[2:3], v[6:7]
	v_pk_add_f32 v[2:3], v[34:35], v[2:3] neg_lo:[0,1] neg_hi:[0,1]
	buffer_store_dword v3, off, s[0:3], 0 offset:12
	buffer_store_dword v2, off, s[0:3], 0 offset:8
	s_and_saveexec_b64 s[4:5], vcc
	s_cbranch_execz .LBB113_313
; %bb.312:
	buffer_load_dword v2, off, s[0:3], 0
	buffer_load_dword v3, off, s[0:3], 0 offset:4
	v_mov_b32_e32 v0, 0
	buffer_store_dword v0, off, s[0:3], 0
	buffer_store_dword v0, off, s[0:3], 0 offset:4
	s_waitcnt vmcnt(2)
	ds_write_b64 v111, v[2:3]
.LBB113_313:
	s_or_b64 exec, exec, s[4:5]
	v_mov_b32_e32 v208, 0
	s_waitcnt lgkmcnt(0)
	; wave barrier
	s_waitcnt lgkmcnt(0)
	ds_read2_b64 v[0:3], v208 offset0:51 offset1:52
	buffer_load_dword v184, off, s[0:3], 0
	buffer_load_dword v185, off, s[0:3], 0 offset:4
	buffer_load_dword v186, off, s[0:3], 0 offset:8
	;; [unrolled: 1-line block ×15, first 2 shown]
	s_and_b64 vcc, exec, s[16:17]
	s_waitcnt vmcnt(12) lgkmcnt(0)
	v_mul_f32_e32 v4, v0, v209
	v_fmac_f32_e32 v4, v1, v186
	s_waitcnt vmcnt(10)
	v_mul_f32_e32 v5, v2, v211
	v_add_f32_e32 v4, 0, v4
	v_fmac_f32_e32 v5, v3, v188
	v_add_f32_e32 v8, v4, v5
	ds_read2_b64 v[4:7], v208 offset0:53 offset1:54
	v_mul_f32_e32 v1, v1, v209
	v_fma_f32 v0, v0, v186, -v1
	v_mul_f32_e32 v1, v3, v211
	v_add_f32_e32 v0, 0, v0
	s_waitcnt vmcnt(8) lgkmcnt(0)
	v_mul_f32_e32 v9, v4, v213
	v_fmac_f32_e32 v9, v5, v192
	v_add_f32_e32 v8, v8, v9
	s_waitcnt vmcnt(6)
	v_mul_f32_e32 v9, v6, v215
	v_fmac_f32_e32 v9, v7, v210
	v_add_f32_e32 v12, v8, v9
	ds_read2_b64 v[8:11], v208 offset0:55 offset1:56
	v_fma_f32 v1, v2, v188, -v1
	v_add_f32_e32 v0, v0, v1
	v_mul_f32_e32 v1, v5, v213
	v_fma_f32 v1, v4, v192, -v1
	s_waitcnt vmcnt(4) lgkmcnt(0)
	v_mul_f32_e32 v13, v8, v217
	v_fmac_f32_e32 v13, v9, v212
	v_add_f32_e32 v12, v12, v13
	s_waitcnt vmcnt(2)
	v_mul_f32_e32 v13, v10, v218
	v_fmac_f32_e32 v13, v11, v214
	v_add_f32_e32 v16, v12, v13
	ds_read2_b64 v[12:15], v208 offset0:57 offset1:58
	buffer_load_dword v220, off, s[0:3], 0 offset:64
	buffer_load_dword v221, off, s[0:3], 0 offset:68
	v_add_f32_e32 v0, v0, v1
	v_mul_f32_e32 v1, v7, v215
	v_fma_f32 v1, v6, v210, -v1
	s_waitcnt vmcnt(2) lgkmcnt(0)
	v_mul_f32_e32 v17, v12, v219
	v_fmac_f32_e32 v17, v13, v216
	v_add_f32_e32 v16, v16, v17
	v_add_f32_e32 v0, v0, v1
	v_mul_f32_e32 v1, v9, v217
	v_fma_f32 v1, v8, v212, -v1
	v_add_f32_e32 v0, v0, v1
	v_mul_f32_e32 v1, v11, v218
	v_fma_f32 v1, v10, v214, -v1
	;; [unrolled: 3-line block ×3, first 2 shown]
	v_add_f32_e32 v0, v0, v1
	s_waitcnt vmcnt(0)
	v_mul_f32_e32 v17, v14, v221
	v_fmac_f32_e32 v17, v15, v220
	v_add_f32_e32 v20, v16, v17
	ds_read2_b64 v[16:19], v208 offset0:59 offset1:60
	buffer_load_dword v222, off, s[0:3], 0 offset:72
	buffer_load_dword v223, off, s[0:3], 0 offset:76
	;; [unrolled: 1-line block ×4, first 2 shown]
	v_mul_f32_e32 v1, v15, v221
	v_fma_f32 v1, v14, v220, -v1
	v_add_f32_e32 v0, v0, v1
	s_waitcnt vmcnt(2) lgkmcnt(0)
	v_mul_f32_e32 v21, v16, v223
	v_fmac_f32_e32 v21, v17, v222
	v_add_f32_e32 v20, v20, v21
	s_waitcnt vmcnt(0)
	v_mul_f32_e32 v21, v18, v225
	v_fmac_f32_e32 v21, v19, v224
	v_add_f32_e32 v24, v20, v21
	ds_read2_b64 v[20:23], v208 offset0:61 offset1:62
	buffer_load_dword v226, off, s[0:3], 0 offset:88
	buffer_load_dword v227, off, s[0:3], 0 offset:92
	;; [unrolled: 1-line block ×4, first 2 shown]
	v_mul_f32_e32 v1, v17, v223
	v_fma_f32 v1, v16, v222, -v1
	v_add_f32_e32 v0, v0, v1
	v_mul_f32_e32 v1, v19, v225
	v_fma_f32 v1, v18, v224, -v1
	v_add_f32_e32 v0, v0, v1
	s_waitcnt vmcnt(2) lgkmcnt(0)
	v_mul_f32_e32 v25, v20, v227
	v_fmac_f32_e32 v25, v21, v226
	v_add_f32_e32 v24, v24, v25
	s_waitcnt vmcnt(0)
	v_mul_f32_e32 v25, v22, v229
	v_fmac_f32_e32 v25, v23, v228
	v_add_f32_e32 v28, v24, v25
	ds_read2_b64 v[24:27], v208 offset0:63 offset1:64
	buffer_load_dword v230, off, s[0:3], 0 offset:104
	buffer_load_dword v231, off, s[0:3], 0 offset:108
	;; [unrolled: 1-line block ×4, first 2 shown]
	v_mul_f32_e32 v1, v21, v227
	v_fma_f32 v1, v20, v226, -v1
	v_add_f32_e32 v0, v0, v1
	v_mul_f32_e32 v1, v23, v229
	v_fma_f32 v1, v22, v228, -v1
	v_add_f32_e32 v0, v0, v1
	s_waitcnt vmcnt(2) lgkmcnt(0)
	v_mul_f32_e32 v29, v24, v231
	v_fmac_f32_e32 v29, v25, v230
	v_add_f32_e32 v28, v28, v29
	s_waitcnt vmcnt(0)
	v_mul_f32_e32 v29, v26, v233
	v_fmac_f32_e32 v29, v27, v232
	v_add_f32_e32 v32, v28, v29
	ds_read2_b64 v[28:31], v208 offset0:65 offset1:66
	buffer_load_dword v234, off, s[0:3], 0 offset:120
	buffer_load_dword v235, off, s[0:3], 0 offset:124
	buffer_load_dword v236, off, s[0:3], 0 offset:128
	buffer_load_dword v237, off, s[0:3], 0 offset:132
	ds_read2_b64 v[36:39], v208 offset0:67 offset1:68
	buffer_load_dword v238, off, s[0:3], 0 offset:136
	buffer_load_dword v239, off, s[0:3], 0 offset:140
	buffer_load_dword v240, off, s[0:3], 0 offset:144
	buffer_load_dword v241, off, s[0:3], 0 offset:148
	;; [unrolled: 5-line block ×13, first 2 shown]
	v_mul_f32_e32 v1, v25, v231
	v_fma_f32 v1, v24, v230, -v1
	v_add_f32_e32 v0, v0, v1
	v_mul_f32_e32 v1, v27, v233
	v_fma_f32 v1, v26, v232, -v1
	v_add_f32_e32 v0, v0, v1
	s_waitcnt vmcnt(50) lgkmcnt(12)
	v_mul_f32_e32 v33, v28, v235
	v_fmac_f32_e32 v33, v29, v234
	v_add_f32_e32 v32, v32, v33
	s_waitcnt vmcnt(48)
	v_mul_f32_e32 v33, v30, v237
	v_fmac_f32_e32 v33, v31, v236
	v_add_f32_e32 v32, v32, v33
	s_waitcnt vmcnt(46) lgkmcnt(11)
	v_mul_f32_e32 v33, v36, v239
	v_fmac_f32_e32 v33, v37, v238
	v_add_f32_e32 v32, v32, v33
	s_waitcnt vmcnt(44)
	v_mul_f32_e32 v33, v38, v241
	v_fmac_f32_e32 v33, v39, v240
	;; [unrolled: 8-line block ×12, first 2 shown]
	v_add_f32_e32 v32, v32, v33
	s_waitcnt vmcnt(2) lgkmcnt(0)
	v_mul_f32_e32 v33, v80, v111
	v_fmac_f32_e32 v33, v81, v110
	v_add_f32_e32 v187, v32, v33
	ds_read2_b64 v[32:35], v208 offset0:91 offset1:92
	buffer_load_dword v114, off, s[0:3], 0 offset:328
	buffer_load_dword v115, off, s[0:3], 0 offset:332
	;; [unrolled: 1-line block ×18, first 2 shown]
	v_mul_f32_e32 v1, v29, v235
	v_fma_f32 v1, v28, v234, -v1
	v_add_f32_e32 v0, v0, v1
	v_mul_f32_e32 v1, v31, v237
	v_fma_f32 v1, v30, v236, -v1
	v_add_f32_e32 v0, v0, v1
	;; [unrolled: 3-line block ×25, first 2 shown]
	s_waitcnt vmcnt(18)
	v_mul_f32_e32 v0, v83, v113
	s_waitcnt vmcnt(15)
	v_mov_b32_e32 v16, v191
	v_mul_f32_e32 v189, v82, v113
	v_fma_f32 v188, v82, v112, -v0
	s_waitcnt lgkmcnt(0)
	v_mul_f32_e32 v0, v33, v115
	v_pk_mul_f32 v[16:17], v[34:35], v[16:17] op_sel_hi:[1,0]
	v_fmac_f32_e32 v189, v83, v112
	v_mul_f32_e32 v193, v32, v115
	v_fma_f32 v192, v32, v114, -v0
	ds_read2_b64 v[0:3], v208 offset0:93 offset1:94
	ds_read2_b64 v[4:7], v208 offset0:95 offset1:96
	;; [unrolled: 1-line block ×3, first 2 shown]
	ds_read_b64 v[12:13], v208 offset:792
	s_waitcnt vmcnt(14)
	v_pk_fma_f32 v[18:19], v[34:35], v[190:191], v[16:17] op_sel:[0,0,1] op_sel_hi:[1,1,0] neg_lo:[0,0,1] neg_hi:[0,0,1]
	v_pk_fma_f32 v[16:17], v[34:35], v[190:191], v[16:17] op_sel:[0,0,1] op_sel_hi:[1,0,0]
	v_fmac_f32_e32 v193, v33, v114
	v_pk_add_f32 v[14:15], v[186:187], v[188:189]
	s_waitcnt vmcnt(13)
	v_mov_b32_e32 v16, v207
	v_pk_add_f32 v[14:15], v[14:15], v[192:193]
	v_mov_b32_e32 v19, v17
	s_waitcnt lgkmcnt(3)
	v_pk_mul_f32 v[16:17], v[0:1], v[16:17] op_sel_hi:[1,0]
	v_pk_add_f32 v[14:15], v[14:15], v[18:19]
	s_waitcnt vmcnt(12)
	v_pk_fma_f32 v[18:19], v[0:1], v[206:207], v[16:17] op_sel:[0,0,1] op_sel_hi:[1,1,0] neg_lo:[0,0,1] neg_hi:[0,0,1]
	v_pk_fma_f32 v[0:1], v[0:1], v[206:207], v[16:17] op_sel:[0,0,1] op_sel_hi:[1,0,0]
	v_mov_b32_e32 v19, v1
	v_pk_add_f32 v[0:1], v[14:15], v[18:19]
	s_waitcnt vmcnt(11)
	v_mov_b32_e32 v14, v205
	v_pk_mul_f32 v[14:15], v[2:3], v[14:15] op_sel_hi:[1,0]
	s_waitcnt vmcnt(10)
	v_pk_fma_f32 v[16:17], v[2:3], v[204:205], v[14:15] op_sel:[0,0,1] op_sel_hi:[1,1,0] neg_lo:[0,0,1] neg_hi:[0,0,1]
	v_pk_fma_f32 v[2:3], v[2:3], v[204:205], v[14:15] op_sel:[0,0,1] op_sel_hi:[1,0,0]
	s_waitcnt vmcnt(9)
	v_mov_b32_e32 v2, v203
	v_mov_b32_e32 v17, v3
	s_waitcnt lgkmcnt(2)
	v_pk_mul_f32 v[2:3], v[4:5], v[2:3] op_sel_hi:[1,0]
	s_waitcnt vmcnt(8)
	v_pk_fma_f32 v[14:15], v[4:5], v[202:203], v[2:3] op_sel:[0,0,1] op_sel_hi:[1,1,0] neg_lo:[0,0,1] neg_hi:[0,0,1]
	v_pk_fma_f32 v[2:3], v[4:5], v[202:203], v[2:3] op_sel:[0,0,1] op_sel_hi:[1,0,0]
	s_waitcnt vmcnt(7)
	v_mov_b32_e32 v2, v201
	v_mov_b32_e32 v15, v3
	v_pk_mul_f32 v[2:3], v[6:7], v[2:3] op_sel_hi:[1,0]
	s_waitcnt vmcnt(6)
	v_pk_fma_f32 v[4:5], v[6:7], v[200:201], v[2:3] op_sel:[0,0,1] op_sel_hi:[1,1,0] neg_lo:[0,0,1] neg_hi:[0,0,1]
	v_pk_fma_f32 v[2:3], v[6:7], v[200:201], v[2:3] op_sel:[0,0,1] op_sel_hi:[1,0,0]
	v_pk_add_f32 v[0:1], v[0:1], v[16:17]
	s_waitcnt vmcnt(5)
	v_mov_b32_e32 v2, v199
	v_pk_add_f32 v[0:1], v[0:1], v[14:15]
	v_mov_b32_e32 v5, v3
	s_waitcnt lgkmcnt(1)
	v_pk_mul_f32 v[2:3], v[8:9], v[2:3] op_sel_hi:[1,0]
	v_pk_add_f32 v[0:1], v[0:1], v[4:5]
	s_waitcnt vmcnt(4)
	v_pk_fma_f32 v[4:5], v[8:9], v[198:199], v[2:3] op_sel:[0,0,1] op_sel_hi:[1,1,0] neg_lo:[0,0,1] neg_hi:[0,0,1]
	v_pk_fma_f32 v[2:3], v[8:9], v[198:199], v[2:3] op_sel:[0,0,1] op_sel_hi:[1,0,0]
	s_waitcnt vmcnt(3)
	v_mov_b32_e32 v2, v197
	v_mov_b32_e32 v5, v3
	v_pk_mul_f32 v[2:3], v[10:11], v[2:3] op_sel_hi:[1,0]
	v_pk_add_f32 v[0:1], v[0:1], v[4:5]
	s_waitcnt vmcnt(2)
	v_pk_fma_f32 v[4:5], v[10:11], v[196:197], v[2:3] op_sel:[0,0,1] op_sel_hi:[1,1,0] neg_lo:[0,0,1] neg_hi:[0,0,1]
	v_pk_fma_f32 v[2:3], v[10:11], v[196:197], v[2:3] op_sel:[0,0,1] op_sel_hi:[1,0,0]
	s_waitcnt vmcnt(1)
	v_mov_b32_e32 v2, v195
	v_mov_b32_e32 v5, v3
	s_waitcnt lgkmcnt(0)
	v_pk_mul_f32 v[2:3], v[12:13], v[2:3] op_sel_hi:[1,0]
	v_pk_add_f32 v[0:1], v[0:1], v[4:5]
	s_waitcnt vmcnt(0)
	v_pk_fma_f32 v[4:5], v[12:13], v[194:195], v[2:3] op_sel:[0,0,1] op_sel_hi:[1,1,0] neg_lo:[0,0,1] neg_hi:[0,0,1]
	v_pk_fma_f32 v[2:3], v[12:13], v[194:195], v[2:3] op_sel:[0,0,1] op_sel_hi:[1,0,0]
	v_mov_b32_e32 v5, v3
	v_pk_add_f32 v[0:1], v[0:1], v[4:5]
	v_pk_add_f32 v[0:1], v[184:185], v[0:1] neg_lo:[0,1] neg_hi:[0,1]
	buffer_store_dword v1, off, s[0:3], 0 offset:4
	buffer_store_dword v0, off, s[0:3], 0
	s_cbranch_vccz .LBB113_413
; %bb.314:
	v_pk_mov_b32 v[0:1], s[10:11], s[10:11] op_sel:[0,1]
	flat_load_dword v0, v[0:1] offset:192
	s_waitcnt vmcnt(0) lgkmcnt(0)
	v_add_u32_e32 v0, -1, v0
	v_cmp_ne_u32_e32 vcc, 48, v0
	s_and_saveexec_b64 s[4:5], vcc
	s_cbranch_execz .LBB113_316
; %bb.315:
	v_mov_b32_e32 v1, 0
	v_lshl_add_u32 v0, v0, 3, v1
	buffer_load_dword v1, v0, s[0:3], 0 offen
	buffer_load_dword v2, v0, s[0:3], 0 offen offset:4
	buffer_load_dword v3, off, s[0:3], 0 offset:388
	buffer_load_dword v4, off, s[0:3], 0 offset:384
	s_waitcnt vmcnt(3)
	buffer_store_dword v1, off, s[0:3], 0 offset:384
	s_waitcnt vmcnt(3)
	buffer_store_dword v2, off, s[0:3], 0 offset:388
	s_waitcnt vmcnt(3)
	buffer_store_dword v3, v0, s[0:3], 0 offen offset:4
	s_waitcnt vmcnt(3)
	buffer_store_dword v4, v0, s[0:3], 0 offen
.LBB113_316:
	s_or_b64 exec, exec, s[4:5]
	v_pk_mov_b32 v[0:1], s[10:11], s[10:11] op_sel:[0,1]
	flat_load_dword v0, v[0:1] offset:188
	s_waitcnt vmcnt(0) lgkmcnt(0)
	v_add_u32_e32 v0, -1, v0
	v_cmp_ne_u32_e32 vcc, 47, v0
	s_and_saveexec_b64 s[4:5], vcc
	s_cbranch_execz .LBB113_318
; %bb.317:
	v_mov_b32_e32 v1, 0
	v_lshl_add_u32 v0, v0, 3, v1
	buffer_load_dword v1, v0, s[0:3], 0 offen
	buffer_load_dword v2, v0, s[0:3], 0 offen offset:4
	buffer_load_dword v3, off, s[0:3], 0 offset:376
	buffer_load_dword v4, off, s[0:3], 0 offset:380
	s_waitcnt vmcnt(3)
	buffer_store_dword v1, off, s[0:3], 0 offset:376
	s_waitcnt vmcnt(3)
	buffer_store_dword v2, off, s[0:3], 0 offset:380
	s_waitcnt vmcnt(3)
	buffer_store_dword v3, v0, s[0:3], 0 offen
	s_waitcnt vmcnt(3)
	buffer_store_dword v4, v0, s[0:3], 0 offen offset:4
.LBB113_318:
	s_or_b64 exec, exec, s[4:5]
	v_pk_mov_b32 v[0:1], s[10:11], s[10:11] op_sel:[0,1]
	flat_load_dword v0, v[0:1] offset:184
	s_waitcnt vmcnt(0) lgkmcnt(0)
	v_add_u32_e32 v0, -1, v0
	v_cmp_ne_u32_e32 vcc, 46, v0
	s_and_saveexec_b64 s[4:5], vcc
	s_cbranch_execz .LBB113_320
; %bb.319:
	v_mov_b32_e32 v1, 0
	v_lshl_add_u32 v0, v0, 3, v1
	buffer_load_dword v1, v0, s[0:3], 0 offen
	buffer_load_dword v2, v0, s[0:3], 0 offen offset:4
	buffer_load_dword v3, off, s[0:3], 0 offset:372
	buffer_load_dword v4, off, s[0:3], 0 offset:368
	s_waitcnt vmcnt(3)
	buffer_store_dword v1, off, s[0:3], 0 offset:368
	s_waitcnt vmcnt(3)
	buffer_store_dword v2, off, s[0:3], 0 offset:372
	s_waitcnt vmcnt(3)
	buffer_store_dword v3, v0, s[0:3], 0 offen offset:4
	s_waitcnt vmcnt(3)
	buffer_store_dword v4, v0, s[0:3], 0 offen
.LBB113_320:
	s_or_b64 exec, exec, s[4:5]
	v_pk_mov_b32 v[0:1], s[10:11], s[10:11] op_sel:[0,1]
	flat_load_dword v0, v[0:1] offset:180
	s_waitcnt vmcnt(0) lgkmcnt(0)
	v_add_u32_e32 v0, -1, v0
	v_cmp_ne_u32_e32 vcc, 45, v0
	s_and_saveexec_b64 s[4:5], vcc
	s_cbranch_execz .LBB113_322
; %bb.321:
	v_mov_b32_e32 v1, 0
	v_lshl_add_u32 v0, v0, 3, v1
	buffer_load_dword v1, v0, s[0:3], 0 offen
	buffer_load_dword v2, v0, s[0:3], 0 offen offset:4
	buffer_load_dword v3, off, s[0:3], 0 offset:360
	buffer_load_dword v4, off, s[0:3], 0 offset:364
	s_waitcnt vmcnt(3)
	buffer_store_dword v1, off, s[0:3], 0 offset:360
	s_waitcnt vmcnt(3)
	buffer_store_dword v2, off, s[0:3], 0 offset:364
	s_waitcnt vmcnt(3)
	buffer_store_dword v3, v0, s[0:3], 0 offen
	s_waitcnt vmcnt(3)
	buffer_store_dword v4, v0, s[0:3], 0 offen offset:4
.LBB113_322:
	s_or_b64 exec, exec, s[4:5]
	;; [unrolled: 48-line block ×24, first 2 shown]
	v_pk_mov_b32 v[0:1], s[10:11], s[10:11] op_sel:[0,1]
	flat_load_dword v2, v[0:1]
	s_nop 0
	buffer_load_dword v0, off, s[0:3], 0
	buffer_load_dword v1, off, s[0:3], 0 offset:4
	s_waitcnt vmcnt(0) lgkmcnt(0)
	v_add_u32_e32 v2, -1, v2
	v_cmp_ne_u32_e32 vcc, 0, v2
	s_and_saveexec_b64 s[4:5], vcc
	s_cbranch_execz .LBB113_412
; %bb.411:
	v_mov_b32_e32 v3, 0
	v_lshl_add_u32 v2, v2, 3, v3
	buffer_load_dword v3, v2, s[0:3], 0 offen offset:4
	buffer_load_dword v4, v2, s[0:3], 0 offen
	s_waitcnt vmcnt(1)
	buffer_store_dword v3, off, s[0:3], 0 offset:4
	s_waitcnt vmcnt(1)
	buffer_store_dword v4, off, s[0:3], 0
	buffer_store_dword v1, v2, s[0:3], 0 offen offset:4
	buffer_store_dword v0, v2, s[0:3], 0 offen
	buffer_load_dword v0, off, s[0:3], 0
	s_nop 0
	buffer_load_dword v1, off, s[0:3], 0 offset:4
.LBB113_412:
	s_or_b64 exec, exec, s[4:5]
.LBB113_413:
	buffer_load_dword v2, off, s[0:3], 0 offset:8
	buffer_load_dword v3, off, s[0:3], 0 offset:12
	;; [unrolled: 1-line block ×98, first 2 shown]
	s_waitcnt vmcnt(62)
	global_store_dwordx2 v[174:175], v[0:1], off
	global_store_dwordx2 v[176:177], v[2:3], off
	v_accvgpr_read_b32 v0, a0
	v_accvgpr_read_b32 v1, a1
	global_store_dwordx2 v[0:1], v[4:5], off
	v_accvgpr_read_b32 v0, a2
	v_accvgpr_read_b32 v1, a3
	;; [unrolled: 3-line block ×16, first 2 shown]
	global_store_dwordx2 v[0:1], v[34:35], off
	global_store_dwordx2 v[116:117], v[36:37], off
	s_waitcnt vmcnt(62)
	global_store_dwordx2 v[118:119], v[38:39], off
	global_store_dwordx2 v[120:121], v[40:41], off
	;; [unrolled: 1-line block ×9, first 2 shown]
	s_waitcnt vmcnt(62)
	global_store_dwordx2 v[136:137], v[56:57], off
	global_store_dwordx2 v[138:139], v[58:59], off
	;; [unrolled: 1-line block ×5, first 2 shown]
	s_waitcnt vmcnt(62)
	global_store_dwordx2 v[146:147], v[66:67], off
	global_store_dwordx2 v[148:149], v[68:69], off
	s_waitcnt vmcnt(62)
	global_store_dwordx2 v[150:151], v[70:71], off
	s_waitcnt vmcnt(62)
	;; [unrolled: 2-line block ×15, first 2 shown]
	global_store_dwordx2 v[182:183], v[98:99], off
	s_endpgm
	.section	.rodata,"a",@progbits
	.p2align	6, 0x0
	.amdhsa_kernel _ZN9rocsolver6v33100L18getri_kernel_smallILi50E19rocblas_complex_numIfEPKPS3_EEvT1_iilPiilS8_bb
		.amdhsa_group_segment_fixed_size 804
		.amdhsa_private_segment_fixed_size 416
		.amdhsa_kernarg_size 60
		.amdhsa_user_sgpr_count 8
		.amdhsa_user_sgpr_private_segment_buffer 1
		.amdhsa_user_sgpr_dispatch_ptr 0
		.amdhsa_user_sgpr_queue_ptr 0
		.amdhsa_user_sgpr_kernarg_segment_ptr 1
		.amdhsa_user_sgpr_dispatch_id 0
		.amdhsa_user_sgpr_flat_scratch_init 1
		.amdhsa_user_sgpr_kernarg_preload_length 0
		.amdhsa_user_sgpr_kernarg_preload_offset 0
		.amdhsa_user_sgpr_private_segment_size 0
		.amdhsa_uses_dynamic_stack 0
		.amdhsa_system_sgpr_private_segment_wavefront_offset 1
		.amdhsa_system_sgpr_workgroup_id_x 1
		.amdhsa_system_sgpr_workgroup_id_y 0
		.amdhsa_system_sgpr_workgroup_id_z 0
		.amdhsa_system_sgpr_workgroup_info 0
		.amdhsa_system_vgpr_workitem_id 0
		.amdhsa_next_free_vgpr 288
		.amdhsa_next_free_sgpr 22
		.amdhsa_accum_offset 256
		.amdhsa_reserve_vcc 1
		.amdhsa_reserve_flat_scratch 1
		.amdhsa_float_round_mode_32 0
		.amdhsa_float_round_mode_16_64 0
		.amdhsa_float_denorm_mode_32 3
		.amdhsa_float_denorm_mode_16_64 3
		.amdhsa_dx10_clamp 1
		.amdhsa_ieee_mode 1
		.amdhsa_fp16_overflow 0
		.amdhsa_tg_split 0
		.amdhsa_exception_fp_ieee_invalid_op 0
		.amdhsa_exception_fp_denorm_src 0
		.amdhsa_exception_fp_ieee_div_zero 0
		.amdhsa_exception_fp_ieee_overflow 0
		.amdhsa_exception_fp_ieee_underflow 0
		.amdhsa_exception_fp_ieee_inexact 0
		.amdhsa_exception_int_div_zero 0
	.end_amdhsa_kernel
	.section	.text._ZN9rocsolver6v33100L18getri_kernel_smallILi50E19rocblas_complex_numIfEPKPS3_EEvT1_iilPiilS8_bb,"axG",@progbits,_ZN9rocsolver6v33100L18getri_kernel_smallILi50E19rocblas_complex_numIfEPKPS3_EEvT1_iilPiilS8_bb,comdat
.Lfunc_end113:
	.size	_ZN9rocsolver6v33100L18getri_kernel_smallILi50E19rocblas_complex_numIfEPKPS3_EEvT1_iilPiilS8_bb, .Lfunc_end113-_ZN9rocsolver6v33100L18getri_kernel_smallILi50E19rocblas_complex_numIfEPKPS3_EEvT1_iilPiilS8_bb
                                        ; -- End function
	.section	.AMDGPU.csdata,"",@progbits
; Kernel info:
; codeLenInByte = 98764
; NumSgprs: 28
; NumVgprs: 256
; NumAgprs: 32
; TotalNumVgprs: 288
; ScratchSize: 416
; MemoryBound: 0
; FloatMode: 240
; IeeeMode: 1
; LDSByteSize: 804 bytes/workgroup (compile time only)
; SGPRBlocks: 3
; VGPRBlocks: 35
; NumSGPRsForWavesPerEU: 28
; NumVGPRsForWavesPerEU: 288
; AccumOffset: 256
; Occupancy: 1
; WaveLimiterHint : 1
; COMPUTE_PGM_RSRC2:SCRATCH_EN: 1
; COMPUTE_PGM_RSRC2:USER_SGPR: 8
; COMPUTE_PGM_RSRC2:TRAP_HANDLER: 0
; COMPUTE_PGM_RSRC2:TGID_X_EN: 1
; COMPUTE_PGM_RSRC2:TGID_Y_EN: 0
; COMPUTE_PGM_RSRC2:TGID_Z_EN: 0
; COMPUTE_PGM_RSRC2:TIDIG_COMP_CNT: 0
; COMPUTE_PGM_RSRC3_GFX90A:ACCUM_OFFSET: 63
; COMPUTE_PGM_RSRC3_GFX90A:TG_SPLIT: 0
	.section	.text._ZN9rocsolver6v33100L18getri_kernel_smallILi51E19rocblas_complex_numIfEPKPS3_EEvT1_iilPiilS8_bb,"axG",@progbits,_ZN9rocsolver6v33100L18getri_kernel_smallILi51E19rocblas_complex_numIfEPKPS3_EEvT1_iilPiilS8_bb,comdat
	.globl	_ZN9rocsolver6v33100L18getri_kernel_smallILi51E19rocblas_complex_numIfEPKPS3_EEvT1_iilPiilS8_bb ; -- Begin function _ZN9rocsolver6v33100L18getri_kernel_smallILi51E19rocblas_complex_numIfEPKPS3_EEvT1_iilPiilS8_bb
	.p2align	8
	.type	_ZN9rocsolver6v33100L18getri_kernel_smallILi51E19rocblas_complex_numIfEPKPS3_EEvT1_iilPiilS8_bb,@function
_ZN9rocsolver6v33100L18getri_kernel_smallILi51E19rocblas_complex_numIfEPKPS3_EEvT1_iilPiilS8_bb: ; @_ZN9rocsolver6v33100L18getri_kernel_smallILi51E19rocblas_complex_numIfEPKPS3_EEvT1_iilPiilS8_bb
; %bb.0:
	s_add_u32 flat_scratch_lo, s6, s9
	s_addc_u32 flat_scratch_hi, s7, 0
	s_add_u32 s0, s0, s9
	s_addc_u32 s1, s1, 0
	v_cmp_gt_u32_e32 vcc, 51, v0
	s_and_saveexec_b64 s[6:7], vcc
	s_cbranch_execz .LBB114_218
; %bb.1:
	s_load_dword s20, s[4:5], 0x38
	s_load_dwordx2 s[6:7], s[4:5], 0x0
	s_load_dwordx4 s[12:15], s[4:5], 0x28
	s_waitcnt lgkmcnt(0)
	s_bitcmp1_b32 s20, 8
	s_cselect_b64 s[16:17], -1, 0
	s_ashr_i32 s9, s8, 31
	s_lshl_b64 s[10:11], s[8:9], 3
	s_add_u32 s6, s6, s10
	s_addc_u32 s7, s7, s11
	s_load_dwordx2 s[18:19], s[6:7], 0x0
	s_bfe_u32 s6, s20, 0x10008
	s_cmp_eq_u32 s6, 0
                                        ; implicit-def: $sgpr10_sgpr11
	s_cbranch_scc1 .LBB114_3
; %bb.2:
	s_load_dword s6, s[4:5], 0x20
	s_load_dwordx2 s[10:11], s[4:5], 0x18
	s_mul_i32 s7, s8, s13
	s_mul_hi_u32 s13, s8, s12
	s_add_i32 s13, s13, s7
	s_mul_i32 s21, s9, s12
	s_add_i32 s13, s13, s21
	s_mul_i32 s12, s8, s12
	s_waitcnt lgkmcnt(0)
	s_ashr_i32 s7, s6, 31
	s_lshl_b64 s[12:13], s[12:13], 2
	s_add_u32 s10, s10, s12
	s_addc_u32 s11, s11, s13
	s_lshl_b64 s[6:7], s[6:7], 2
	s_add_u32 s10, s10, s6
	s_addc_u32 s11, s11, s7
.LBB114_3:
	s_load_dwordx2 s[6:7], s[4:5], 0x8
	v_lshlrev_b32_e32 v6, 3, v0
	s_waitcnt lgkmcnt(0)
	s_ashr_i32 s5, s6, 31
	s_mov_b32 s4, s6
	s_lshl_b64 s[4:5], s[4:5], 3
	s_add_u32 s4, s18, s4
	s_addc_u32 s5, s19, s5
	s_add_i32 s6, s7, s7
	v_add_u32_e32 v2, s6, v0
	v_ashrrev_i32_e32 v3, 31, v2
	v_lshlrev_b64 v[4:5], 3, v[2:3]
	v_add_u32_e32 v2, s7, v2
	v_mov_b32_e32 v1, s5
	v_add_co_u32_e32 v12, vcc, s4, v4
	v_ashrrev_i32_e32 v3, 31, v2
	v_addc_co_u32_e32 v13, vcc, v1, v5, vcc
	v_lshlrev_b64 v[4:5], 3, v[2:3]
	v_add_u32_e32 v2, s7, v2
	v_add_co_u32_e32 v14, vcc, s4, v4
	v_ashrrev_i32_e32 v3, 31, v2
	v_addc_co_u32_e32 v15, vcc, v1, v5, vcc
	v_lshlrev_b64 v[4:5], 3, v[2:3]
	v_add_u32_e32 v2, s7, v2
	v_add_co_u32_e32 v16, vcc, s4, v4
	v_ashrrev_i32_e32 v3, 31, v2
	v_addc_co_u32_e32 v17, vcc, v1, v5, vcc
	v_lshlrev_b64 v[4:5], 3, v[2:3]
	v_add_u32_e32 v2, s7, v2
	v_add_co_u32_e32 v18, vcc, s4, v4
	v_ashrrev_i32_e32 v3, 31, v2
	v_addc_co_u32_e32 v19, vcc, v1, v5, vcc
	v_lshlrev_b64 v[4:5], 3, v[2:3]
	v_add_u32_e32 v2, s7, v2
	v_add_co_u32_e32 v20, vcc, s4, v4
	v_ashrrev_i32_e32 v3, 31, v2
	v_addc_co_u32_e32 v21, vcc, v1, v5, vcc
	v_lshlrev_b64 v[4:5], 3, v[2:3]
	v_add_u32_e32 v2, s7, v2
	v_add_co_u32_e32 v22, vcc, s4, v4
	v_ashrrev_i32_e32 v3, 31, v2
	v_addc_co_u32_e32 v23, vcc, v1, v5, vcc
	v_lshlrev_b64 v[4:5], 3, v[2:3]
	v_add_u32_e32 v2, s7, v2
	v_add_co_u32_e32 v24, vcc, s4, v4
	v_ashrrev_i32_e32 v3, 31, v2
	v_addc_co_u32_e32 v25, vcc, v1, v5, vcc
	v_lshlrev_b64 v[4:5], 3, v[2:3]
	v_add_u32_e32 v2, s7, v2
	v_add_co_u32_e32 v26, vcc, s4, v4
	v_ashrrev_i32_e32 v3, 31, v2
	v_addc_co_u32_e32 v27, vcc, v1, v5, vcc
	v_lshlrev_b64 v[4:5], 3, v[2:3]
	v_add_u32_e32 v2, s7, v2
	v_add_co_u32_e32 v28, vcc, s4, v4
	v_ashrrev_i32_e32 v3, 31, v2
	v_addc_co_u32_e32 v29, vcc, v1, v5, vcc
	v_lshlrev_b64 v[4:5], 3, v[2:3]
	v_add_u32_e32 v2, s7, v2
	v_add_co_u32_e32 v30, vcc, s4, v4
	v_ashrrev_i32_e32 v3, 31, v2
	v_addc_co_u32_e32 v31, vcc, v1, v5, vcc
	v_lshlrev_b64 v[4:5], 3, v[2:3]
	v_add_u32_e32 v2, s7, v2
	v_add_co_u32_e32 v32, vcc, s4, v4
	v_ashrrev_i32_e32 v3, 31, v2
	v_addc_co_u32_e32 v33, vcc, v1, v5, vcc
	v_lshlrev_b64 v[4:5], 3, v[2:3]
	v_add_u32_e32 v2, s7, v2
	v_add_co_u32_e32 v34, vcc, s4, v4
	v_ashrrev_i32_e32 v3, 31, v2
	v_addc_co_u32_e32 v35, vcc, v1, v5, vcc
	v_lshlrev_b64 v[4:5], 3, v[2:3]
	v_add_u32_e32 v2, s7, v2
	v_add_co_u32_e32 v36, vcc, s4, v4
	v_ashrrev_i32_e32 v3, 31, v2
	v_addc_co_u32_e32 v37, vcc, v1, v5, vcc
	v_lshlrev_b64 v[4:5], 3, v[2:3]
	v_add_u32_e32 v2, s7, v2
	v_add_co_u32_e32 v38, vcc, s4, v4
	v_ashrrev_i32_e32 v3, 31, v2
	v_addc_co_u32_e32 v39, vcc, v1, v5, vcc
	v_lshlrev_b64 v[4:5], 3, v[2:3]
	v_add_u32_e32 v2, s7, v2
	v_add_co_u32_e32 v40, vcc, s4, v4
	v_ashrrev_i32_e32 v3, 31, v2
	v_addc_co_u32_e32 v41, vcc, v1, v5, vcc
	v_lshlrev_b64 v[4:5], 3, v[2:3]
	v_add_u32_e32 v2, s7, v2
	v_add_co_u32_e32 v42, vcc, s4, v4
	v_ashrrev_i32_e32 v3, 31, v2
	v_addc_co_u32_e32 v43, vcc, v1, v5, vcc
	v_lshlrev_b64 v[4:5], 3, v[2:3]
	v_add_u32_e32 v2, s7, v2
	v_add_co_u32_e32 v44, vcc, s4, v4
	v_ashrrev_i32_e32 v3, 31, v2
	v_addc_co_u32_e32 v45, vcc, v1, v5, vcc
	v_lshlrev_b64 v[4:5], 3, v[2:3]
	v_add_u32_e32 v2, s7, v2
	v_add_co_u32_e32 v46, vcc, s4, v4
	v_ashrrev_i32_e32 v3, 31, v2
	v_addc_co_u32_e32 v47, vcc, v1, v5, vcc
	v_lshlrev_b64 v[4:5], 3, v[2:3]
	v_add_u32_e32 v2, s7, v2
	v_add_co_u32_e32 v48, vcc, s4, v4
	v_ashrrev_i32_e32 v3, 31, v2
	v_addc_co_u32_e32 v49, vcc, v1, v5, vcc
	v_lshlrev_b64 v[4:5], 3, v[2:3]
	v_add_u32_e32 v2, s7, v2
	v_add_co_u32_e32 v50, vcc, s4, v4
	v_ashrrev_i32_e32 v3, 31, v2
	v_addc_co_u32_e32 v51, vcc, v1, v5, vcc
	v_lshlrev_b64 v[4:5], 3, v[2:3]
	v_add_u32_e32 v2, s7, v2
	v_add_co_u32_e32 v126, vcc, s4, v4
	v_ashrrev_i32_e32 v3, 31, v2
	v_addc_co_u32_e32 v127, vcc, v1, v5, vcc
	v_lshlrev_b64 v[4:5], 3, v[2:3]
	v_add_u32_e32 v2, s7, v2
	v_add_co_u32_e32 v128, vcc, s4, v4
	v_ashrrev_i32_e32 v3, 31, v2
	v_addc_co_u32_e32 v129, vcc, v1, v5, vcc
	v_lshlrev_b64 v[4:5], 3, v[2:3]
	v_add_u32_e32 v2, s7, v2
	v_add_co_u32_e32 v130, vcc, s4, v4
	v_ashrrev_i32_e32 v3, 31, v2
	v_addc_co_u32_e32 v131, vcc, v1, v5, vcc
	v_lshlrev_b64 v[4:5], 3, v[2:3]
	v_add_u32_e32 v2, s7, v2
	v_add_co_u32_e32 v132, vcc, s4, v4
	v_ashrrev_i32_e32 v3, 31, v2
	v_addc_co_u32_e32 v133, vcc, v1, v5, vcc
	v_lshlrev_b64 v[4:5], 3, v[2:3]
	v_add_u32_e32 v2, s7, v2
	v_add_co_u32_e32 v134, vcc, s4, v4
	v_ashrrev_i32_e32 v3, 31, v2
	v_addc_co_u32_e32 v135, vcc, v1, v5, vcc
	v_lshlrev_b64 v[4:5], 3, v[2:3]
	v_add_u32_e32 v2, s7, v2
	v_add_co_u32_e32 v136, vcc, s4, v4
	v_ashrrev_i32_e32 v3, 31, v2
	v_addc_co_u32_e32 v137, vcc, v1, v5, vcc
	v_lshlrev_b64 v[4:5], 3, v[2:3]
	v_add_u32_e32 v2, s7, v2
	v_add_co_u32_e32 v138, vcc, s4, v4
	v_ashrrev_i32_e32 v3, 31, v2
	v_addc_co_u32_e32 v139, vcc, v1, v5, vcc
	v_lshlrev_b64 v[4:5], 3, v[2:3]
	v_add_u32_e32 v2, s7, v2
	v_add_co_u32_e32 v140, vcc, s4, v4
	v_ashrrev_i32_e32 v3, 31, v2
	v_addc_co_u32_e32 v141, vcc, v1, v5, vcc
	v_lshlrev_b64 v[4:5], 3, v[2:3]
	v_add_u32_e32 v2, s7, v2
	v_add_co_u32_e32 v142, vcc, s4, v4
	v_ashrrev_i32_e32 v3, 31, v2
	v_addc_co_u32_e32 v143, vcc, v1, v5, vcc
	v_lshlrev_b64 v[4:5], 3, v[2:3]
	v_add_u32_e32 v2, s7, v2
	v_add_co_u32_e32 v144, vcc, s4, v4
	v_ashrrev_i32_e32 v3, 31, v2
	v_addc_co_u32_e32 v145, vcc, v1, v5, vcc
	v_lshlrev_b64 v[4:5], 3, v[2:3]
	v_add_u32_e32 v2, s7, v2
	v_add_co_u32_e32 v146, vcc, s4, v4
	v_ashrrev_i32_e32 v3, 31, v2
	v_addc_co_u32_e32 v147, vcc, v1, v5, vcc
	v_lshlrev_b64 v[4:5], 3, v[2:3]
	v_add_u32_e32 v2, s7, v2
	v_add_co_u32_e32 v148, vcc, s4, v4
	v_ashrrev_i32_e32 v3, 31, v2
	v_addc_co_u32_e32 v149, vcc, v1, v5, vcc
	v_lshlrev_b64 v[4:5], 3, v[2:3]
	v_add_u32_e32 v2, s7, v2
	v_add_co_u32_e32 v150, vcc, s4, v4
	v_ashrrev_i32_e32 v3, 31, v2
	v_addc_co_u32_e32 v151, vcc, v1, v5, vcc
	v_lshlrev_b64 v[4:5], 3, v[2:3]
	v_add_u32_e32 v2, s7, v2
	v_add_co_u32_e32 v152, vcc, s4, v4
	v_ashrrev_i32_e32 v3, 31, v2
	v_addc_co_u32_e32 v153, vcc, v1, v5, vcc
	v_lshlrev_b64 v[4:5], 3, v[2:3]
	v_add_u32_e32 v2, s7, v2
	v_add_co_u32_e32 v154, vcc, s4, v4
	v_ashrrev_i32_e32 v3, 31, v2
	v_addc_co_u32_e32 v155, vcc, v1, v5, vcc
	v_lshlrev_b64 v[4:5], 3, v[2:3]
	v_add_u32_e32 v2, s7, v2
	v_add_co_u32_e32 v156, vcc, s4, v4
	v_ashrrev_i32_e32 v3, 31, v2
	v_addc_co_u32_e32 v157, vcc, v1, v5, vcc
	v_lshlrev_b64 v[4:5], 3, v[2:3]
	v_add_u32_e32 v2, s7, v2
	v_add_co_u32_e32 v158, vcc, s4, v4
	v_ashrrev_i32_e32 v3, 31, v2
	v_addc_co_u32_e32 v159, vcc, v1, v5, vcc
	v_lshlrev_b64 v[4:5], 3, v[2:3]
	v_add_u32_e32 v2, s7, v2
	v_add_co_u32_e32 v160, vcc, s4, v4
	v_ashrrev_i32_e32 v3, 31, v2
	v_addc_co_u32_e32 v161, vcc, v1, v5, vcc
	v_lshlrev_b64 v[4:5], 3, v[2:3]
	v_add_u32_e32 v2, s7, v2
	v_add_co_u32_e32 v162, vcc, s4, v4
	v_ashrrev_i32_e32 v3, 31, v2
	v_addc_co_u32_e32 v163, vcc, v1, v5, vcc
	v_lshlrev_b64 v[4:5], 3, v[2:3]
	v_add_u32_e32 v2, s7, v2
	v_add_co_u32_e32 v164, vcc, s4, v4
	v_ashrrev_i32_e32 v3, 31, v2
	v_addc_co_u32_e32 v165, vcc, v1, v5, vcc
	v_lshlrev_b64 v[4:5], 3, v[2:3]
	v_add_u32_e32 v2, s7, v2
	v_add_co_u32_e32 v166, vcc, s4, v4
	v_ashrrev_i32_e32 v3, 31, v2
	v_addc_co_u32_e32 v167, vcc, v1, v5, vcc
	v_lshlrev_b64 v[4:5], 3, v[2:3]
	v_add_u32_e32 v2, s7, v2
	v_add_co_u32_e32 v168, vcc, s4, v4
	v_ashrrev_i32_e32 v3, 31, v2
	v_addc_co_u32_e32 v169, vcc, v1, v5, vcc
	v_lshlrev_b64 v[4:5], 3, v[2:3]
	v_add_co_u32_e32 v170, vcc, s4, v4
	v_addc_co_u32_e32 v171, vcc, v1, v5, vcc
	global_load_dwordx2 v[4:5], v6, s[4:5]
	v_mov_b32_e32 v7, s5
	v_add_co_u32_e32 v178, vcc, s4, v6
	s_ashr_i32 s13, s7, 31
	s_mov_b32 s12, s7
	v_addc_co_u32_e32 v179, vcc, 0, v7, vcc
	s_lshl_b64 s[12:13], s[12:13], 3
	v_mov_b32_e32 v7, s13
	v_add_co_u32_e32 v180, vcc, s12, v178
	v_addc_co_u32_e32 v181, vcc, v179, v7, vcc
	global_load_dwordx2 v[8:9], v[180:181], off
	v_accvgpr_write_b32 a0, v12
	v_add_u32_e32 v2, s7, v2
	v_accvgpr_write_b32 a1, v13
	global_load_dwordx2 v[12:13], v[12:13], off
	v_ashrrev_i32_e32 v3, 31, v2
	v_lshlrev_b64 v[10:11], 3, v[2:3]
	v_add_co_u32_e32 v172, vcc, s4, v10
	v_addc_co_u32_e32 v173, vcc, v1, v11, vcc
	global_load_dwordx2 v[10:11], v[14:15], off
	v_accvgpr_write_b32 a4, v16
	v_accvgpr_write_b32 a5, v17
	global_load_dwordx2 v[16:17], v[16:17], off
	v_accvgpr_write_b32 a6, v18
	v_add_u32_e32 v2, s7, v2
	v_accvgpr_write_b32 a7, v19
	global_load_dwordx2 v[18:19], v[18:19], off
	v_accvgpr_write_b32 a2, v14
	v_ashrrev_i32_e32 v3, 31, v2
	v_accvgpr_write_b32 a3, v15
	v_lshlrev_b64 v[14:15], 3, v[2:3]
	v_add_co_u32_e32 v174, vcc, s4, v14
	v_addc_co_u32_e32 v175, vcc, v1, v15, vcc
	global_load_dwordx2 v[14:15], v[20:21], off
	v_add_u32_e32 v2, s7, v2
	v_ashrrev_i32_e32 v3, 31, v2
	v_accvgpr_write_b32 a8, v20
	v_accvgpr_write_b32 a10, v22
	;; [unrolled: 1-line block ×5, first 2 shown]
	global_load_dwordx2 v[22:23], v[22:23], off
	v_accvgpr_write_b32 a17, v29
	global_load_dwordx2 v[28:29], v[28:29], off
	v_lshlrev_b64 v[20:21], 3, v[2:3]
	v_add_u32_e32 v2, s7, v2
	v_add_co_u32_e32 v176, vcc, s4, v20
	v_accvgpr_write_b32 a12, v24
	v_ashrrev_i32_e32 v3, 31, v2
	v_accvgpr_write_b32 a14, v26
	v_accvgpr_write_b32 a18, v30
	;; [unrolled: 1-line block ×5, first 2 shown]
	v_addc_co_u32_e32 v177, vcc, v1, v21, vcc
	v_accvgpr_write_b32 a13, v25
	global_load_dwordx2 v[20:21], v[24:25], off
	v_accvgpr_write_b32 a15, v27
	v_accvgpr_write_b32 a19, v31
	global_load_dwordx2 v[30:31], v[30:31], off
	v_accvgpr_write_b32 a21, v33
	global_load_dwordx2 v[32:33], v[32:33], off
	;; [unrolled: 2-line block ×5, first 2 shown]
	v_lshlrev_b64 v[26:27], 3, v[2:3]
	v_add_u32_e32 v2, s7, v2
	v_add_co_u32_e32 v182, vcc, s4, v26
	v_accvgpr_write_b32 a24, v36
	v_ashrrev_i32_e32 v3, 31, v2
	v_accvgpr_write_b32 a26, v38
	v_accvgpr_write_b32 a28, v40
	;; [unrolled: 1-line block ×4, first 2 shown]
	v_addc_co_u32_e32 v183, vcc, v1, v27, vcc
	v_accvgpr_write_b32 a23, v35
	global_load_dwordx2 v[26:27], v[34:35], off
	v_accvgpr_write_b32 a25, v37
	v_accvgpr_write_b32 a27, v39
	;; [unrolled: 1-line block ×4, first 2 shown]
	global_load_dwordx2 v[46:47], v[46:47], off
	v_accvgpr_write_b32 a37, v49
	global_load_dwordx2 v[34:35], v[36:37], off
	global_load_dwordx2 v[52:53], v[128:129], off
	v_accvgpr_write_b32 a38, v50
	global_load_dwordx2 v[48:49], v[48:49], off
	v_accvgpr_write_b32 a39, v51
	global_load_dwordx2 v[36:37], v[38:39], off
	s_bitcmp0_b32 s20, 0
	global_load_dwordx2 v[38:39], v[40:41], off
	v_lshlrev_b64 v[40:41], 3, v[2:3]
	v_add_u32_e32 v2, s7, v2
	v_add_co_u32_e32 v184, vcc, s4, v40
	v_ashrrev_i32_e32 v3, 31, v2
	v_addc_co_u32_e32 v185, vcc, v1, v41, vcc
	v_lshlrev_b64 v[2:3], 3, v[2:3]
	v_add_co_u32_e32 v186, vcc, s4, v2
	global_load_dwordx2 v[40:41], v[50:51], off
	v_addc_co_u32_e32 v187, vcc, v1, v3, vcc
	global_load_dwordx2 v[50:51], v[126:127], off
	global_load_dwordx2 v[54:55], v[130:131], off
	;; [unrolled: 1-line block ×19, first 2 shown]
	s_mov_b64 s[6:7], -1
	s_waitcnt vmcnt(41)
	buffer_store_dword v5, off, s[0:3], 0 offset:4
	buffer_store_dword v4, off, s[0:3], 0
	global_load_dwordx2 v[4:5], v[146:147], off
	s_waitcnt vmcnt(43)
	buffer_store_dword v9, off, s[0:3], 0 offset:12
	buffer_store_dword v8, off, s[0:3], 0 offset:8
	global_load_dwordx2 v[8:9], v[150:151], off
	s_waitcnt vmcnt(45)
	buffer_store_dword v13, off, s[0:3], 0 offset:20
	buffer_store_dword v12, off, s[0:3], 0 offset:16
	global_load_dwordx2 v[12:13], v[154:155], off
	s_waitcnt vmcnt(47)
	buffer_store_dword v11, off, s[0:3], 0 offset:28
	buffer_store_dword v10, off, s[0:3], 0 offset:24
	global_load_dwordx2 v[10:11], v[158:159], off
	s_waitcnt vmcnt(49)
	buffer_store_dword v17, off, s[0:3], 0 offset:36
	buffer_store_dword v16, off, s[0:3], 0 offset:32
	global_load_dwordx2 v[16:17], v[162:163], off
	s_waitcnt vmcnt(51)
	buffer_store_dword v19, off, s[0:3], 0 offset:44
	buffer_store_dword v18, off, s[0:3], 0 offset:40
	global_load_dwordx2 v[18:19], v[166:167], off
	s_waitcnt vmcnt(53)
	buffer_store_dword v15, off, s[0:3], 0 offset:52
	buffer_store_dword v14, off, s[0:3], 0 offset:48
	global_load_dwordx2 v[14:15], v[170:171], off
	s_waitcnt vmcnt(55)
	buffer_store_dword v23, off, s[0:3], 0 offset:60
	buffer_store_dword v22, off, s[0:3], 0 offset:56
	global_load_dwordx2 v[22:23], v[174:175], off
	s_waitcnt vmcnt(56)
	buffer_store_dword v21, off, s[0:3], 0 offset:68
	buffer_store_dword v20, off, s[0:3], 0 offset:64
	global_load_dwordx2 v[20:21], v[182:183], off
	s_waitcnt vmcnt(54)
	buffer_store_dword v24, off, s[0:3], 0 offset:72
	buffer_store_dword v25, off, s[0:3], 0 offset:76
	buffer_store_dword v28, off, s[0:3], 0 offset:80
	buffer_store_dword v29, off, s[0:3], 0 offset:84
	;; [unrolled: 1-line block ×6, first 2 shown]
	s_waitcnt vmcnt(61)
	buffer_store_dword v26, off, s[0:3], 0 offset:104
	buffer_store_dword v27, off, s[0:3], 0 offset:108
	s_waitcnt vmcnt(61)
	buffer_store_dword v35, off, s[0:3], 0 offset:116
	buffer_store_dword v34, off, s[0:3], 0 offset:112
	;; [unrolled: 3-line block ×4, first 2 shown]
	buffer_store_dword v42, off, s[0:3], 0 offset:136
	buffer_store_dword v43, off, s[0:3], 0 offset:140
	;; [unrolled: 1-line block ×8, first 2 shown]
	s_waitcnt vmcnt(62)
	buffer_store_dword v40, off, s[0:3], 0 offset:168
	buffer_store_dword v41, off, s[0:3], 0 offset:172
	;; [unrolled: 1-line block ×18, first 2 shown]
	s_waitcnt vmcnt(62)
	buffer_store_dword v66, off, s[0:3], 0 offset:240
	buffer_store_dword v67, off, s[0:3], 0 offset:244
	buffer_store_dword v69, off, s[0:3], 0 offset:252
	buffer_store_dword v68, off, s[0:3], 0 offset:248
	buffer_store_dword v5, off, s[0:3], 0 offset:260
	buffer_store_dword v4, off, s[0:3], 0 offset:256
	buffer_store_dword v70, off, s[0:3], 0 offset:264
	buffer_store_dword v71, off, s[0:3], 0 offset:268
	buffer_store_dword v8, off, s[0:3], 0 offset:272
	buffer_store_dword v9, off, s[0:3], 0 offset:276
	buffer_store_dword v72, off, s[0:3], 0 offset:280
	buffer_store_dword v73, off, s[0:3], 0 offset:284
	s_waitcnt vmcnt(62)
	buffer_store_dword v12, off, s[0:3], 0 offset:288
	buffer_store_dword v13, off, s[0:3], 0 offset:292
	;; [unrolled: 1-line block ×16, first 2 shown]
	s_waitcnt vmcnt(62)
	buffer_store_dword v15, off, s[0:3], 0 offset:356
	buffer_store_dword v14, off, s[0:3], 0 offset:352
	;; [unrolled: 1-line block ×14, first 2 shown]
	s_cbranch_scc1 .LBB114_216
; %bb.4:
	v_cmp_eq_u32_e64 s[4:5], 0, v0
	s_and_saveexec_b64 s[6:7], s[4:5]
	s_cbranch_execz .LBB114_6
; %bb.5:
	v_mov_b32_e32 v1, 0
	ds_write_b32 v1, v1 offset:408
.LBB114_6:
	s_or_b64 exec, exec, s[6:7]
	v_mov_b32_e32 v1, 0
	v_lshl_add_u32 v7, v0, 3, v1
	s_waitcnt lgkmcnt(0)
	; wave barrier
	s_waitcnt lgkmcnt(0)
	buffer_load_dword v1, v7, s[0:3], 0 offen
	buffer_load_dword v2, v7, s[0:3], 0 offen offset:4
	s_waitcnt vmcnt(1)
	v_cmp_eq_f32_e32 vcc, 0, v1
	s_waitcnt vmcnt(0)
	v_cmp_eq_f32_e64 s[6:7], 0, v2
	s_and_b64 s[6:7], vcc, s[6:7]
	s_and_saveexec_b64 s[12:13], s[6:7]
	s_cbranch_execz .LBB114_10
; %bb.7:
	v_mov_b32_e32 v1, 0
	ds_read_b32 v3, v1 offset:408
	v_add_u32_e32 v2, 1, v0
	s_waitcnt lgkmcnt(0)
	v_readfirstlane_b32 s6, v3
	s_cmp_eq_u32 s6, 0
	s_cselect_b64 s[18:19], -1, 0
	v_cmp_gt_i32_e32 vcc, s6, v2
	s_or_b64 s[18:19], s[18:19], vcc
	s_and_b64 exec, exec, s[18:19]
	s_cbranch_execz .LBB114_10
; %bb.8:
	s_mov_b64 s[18:19], 0
	v_mov_b32_e32 v3, s6
.LBB114_9:                              ; =>This Inner Loop Header: Depth=1
	ds_cmpst_rtn_b32 v3, v1, v3, v2 offset:408
	s_waitcnt lgkmcnt(0)
	v_cmp_ne_u32_e32 vcc, 0, v3
	v_cmp_le_i32_e64 s[6:7], v3, v2
	s_and_b64 s[6:7], vcc, s[6:7]
	s_and_b64 s[6:7], exec, s[6:7]
	s_or_b64 s[18:19], s[6:7], s[18:19]
	s_andn2_b64 exec, exec, s[18:19]
	s_cbranch_execnz .LBB114_9
.LBB114_10:
	s_or_b64 exec, exec, s[12:13]
	v_mov_b32_e32 v2, 0
	s_waitcnt lgkmcnt(0)
	; wave barrier
	ds_read_b32 v1, v2 offset:408
	s_and_saveexec_b64 s[6:7], s[4:5]
	s_cbranch_execz .LBB114_12
; %bb.11:
	s_lshl_b64 s[12:13], s[8:9], 2
	s_add_u32 s12, s14, s12
	s_addc_u32 s13, s15, s13
	s_waitcnt lgkmcnt(0)
	global_store_dword v2, v1, s[12:13]
.LBB114_12:
	s_or_b64 exec, exec, s[6:7]
	s_waitcnt lgkmcnt(0)
	v_cmp_ne_u32_e32 vcc, 0, v1
	s_mov_b64 s[6:7], 0
	s_cbranch_vccnz .LBB114_216
; %bb.13:
	buffer_load_dword v8, v7, s[0:3], 0 offen offset:4
	buffer_load_dword v3, v7, s[0:3], 0 offen
	s_waitcnt vmcnt(1)
	v_cmp_gt_f32_e32 vcc, 0, v8
	v_cndmask_b32_e64 v1, v8, -v8, vcc
	s_waitcnt vmcnt(0)
	v_cmp_gt_f32_e32 vcc, 0, v3
	v_cndmask_b32_e64 v2, v3, -v3, vcc
	v_cmp_ngt_f32_e32 vcc, v2, v1
                                        ; implicit-def: $vgpr1
                                        ; implicit-def: $vgpr2
	s_and_saveexec_b64 s[6:7], vcc
	s_xor_b64 s[6:7], exec, s[6:7]
                                        ; implicit-def: $vgpr4_vgpr5
	s_cbranch_execz .LBB114_15
; %bb.14:
	v_div_scale_f32 v1, s[12:13], v8, v8, v3
	v_rcp_f32_e32 v2, v1
	v_div_scale_f32 v4, vcc, v3, v8, v3
	v_fma_f32 v5, -v1, v2, 1.0
	v_fmac_f32_e32 v2, v5, v2
	v_mul_f32_e32 v5, v4, v2
	v_fma_f32 v9, -v1, v5, v4
	v_fmac_f32_e32 v5, v9, v2
	v_fma_f32 v1, -v1, v5, v4
	v_div_fmas_f32 v1, v1, v2, v5
	v_div_fixup_f32 v2, v1, v8, v3
	v_fmac_f32_e32 v8, v3, v2
	v_div_scale_f32 v1, s[12:13], v8, v8, -1.0
	v_rcp_f32_e32 v3, v1
	v_fma_f32 v4, -v1, v3, 1.0
	v_fmac_f32_e32 v3, v4, v3
	v_div_scale_f32 v4, vcc, -1.0, v8, -1.0
	v_mul_f32_e32 v5, v4, v3
	v_fma_f32 v9, -v1, v5, v4
	v_fmac_f32_e32 v5, v9, v3
	v_fma_f32 v1, -v1, v5, v4
	v_div_fmas_f32 v1, v1, v3, v5
	v_div_fixup_f32 v1, v1, v8, -1.0
	v_mul_f32_e32 v2, v2, v1
	v_xor_b32_e32 v4, 0x80000000, v2
                                        ; implicit-def: $vgpr3
                                        ; implicit-def: $vgpr8
.LBB114_15:
	s_andn2_saveexec_b64 s[6:7], s[6:7]
	s_cbranch_execz .LBB114_17
; %bb.16:
	v_div_scale_f32 v1, s[12:13], v3, v3, v8
	v_rcp_f32_e32 v2, v1
	v_div_scale_f32 v4, vcc, v8, v3, v8
	v_fma_f32 v5, -v1, v2, 1.0
	v_fmac_f32_e32 v2, v5, v2
	v_mul_f32_e32 v5, v4, v2
	v_fma_f32 v9, -v1, v5, v4
	v_fmac_f32_e32 v5, v9, v2
	v_fma_f32 v1, -v1, v5, v4
	v_div_fmas_f32 v1, v1, v2, v5
	v_div_fixup_f32 v1, v1, v3, v8
	v_fmac_f32_e32 v3, v8, v1
	v_div_scale_f32 v2, s[12:13], v3, v3, 1.0
	v_rcp_f32_e32 v4, v2
	v_fma_f32 v5, -v2, v4, 1.0
	v_fmac_f32_e32 v4, v5, v4
	v_div_scale_f32 v5, vcc, 1.0, v3, 1.0
	v_mul_f32_e32 v8, v5, v4
	v_fma_f32 v9, -v2, v8, v5
	v_fmac_f32_e32 v8, v9, v4
	v_fma_f32 v2, -v2, v8, v5
	v_div_fmas_f32 v2, v2, v4, v8
	v_div_fixup_f32 v4, v2, v3, 1.0
	v_xor_b32_e32 v2, 0x80000000, v4
	v_mul_f32_e64 v1, v1, -v4
.LBB114_17:
	s_or_b64 exec, exec, s[6:7]
	buffer_store_dword v1, v7, s[0:3], 0 offen offset:4
	buffer_store_dword v4, v7, s[0:3], 0 offen
	buffer_load_dword v5, off, s[0:3], 0 offset:12
	s_nop 0
	buffer_load_dword v4, off, s[0:3], 0 offset:8
	v_xor_b32_e32 v3, 0x80000000, v1
	v_add_u32_e32 v1, 0x1a0, v6
	s_waitcnt vmcnt(0)
	ds_write2_b64 v6, v[2:3], v[4:5] offset1:52
	s_waitcnt lgkmcnt(0)
	; wave barrier
	s_waitcnt lgkmcnt(0)
	s_and_saveexec_b64 s[6:7], s[4:5]
	s_cbranch_execz .LBB114_19
; %bb.18:
	buffer_load_dword v8, v7, s[0:3], 0 offen offset:4
	buffer_load_dword v9, v7, s[0:3], 0 offen
	ds_read_b64 v[2:3], v1
	v_mov_b32_e32 v4, 0
	ds_read_b64 v[4:5], v4 offset:8
	s_waitcnt vmcnt(1) lgkmcnt(1)
	v_mul_f32_e32 v10, v3, v8
	v_mul_f32_e32 v8, v2, v8
	s_waitcnt vmcnt(0)
	v_fmac_f32_e32 v8, v3, v9
	v_fma_f32 v2, v2, v9, -v10
	v_add_f32_e32 v3, 0, v8
	v_add_f32_e32 v2, 0, v2
	s_waitcnt lgkmcnt(0)
	v_mul_f32_e32 v8, v3, v5
	v_mul_f32_e32 v5, v2, v5
	v_fma_f32 v2, v2, v4, -v8
	v_fmac_f32_e32 v5, v3, v4
	buffer_store_dword v2, off, s[0:3], 0 offset:8
	buffer_store_dword v5, off, s[0:3], 0 offset:12
.LBB114_19:
	s_or_b64 exec, exec, s[6:7]
	s_waitcnt lgkmcnt(0)
	; wave barrier
	buffer_load_dword v2, off, s[0:3], 0 offset:16
	buffer_load_dword v3, off, s[0:3], 0 offset:20
	v_cmp_gt_u32_e32 vcc, 2, v0
	s_waitcnt vmcnt(0)
	ds_write_b64 v1, v[2:3]
	s_waitcnt lgkmcnt(0)
	; wave barrier
	s_waitcnt lgkmcnt(0)
	s_and_saveexec_b64 s[6:7], vcc
	s_cbranch_execz .LBB114_23
; %bb.20:
	buffer_load_dword v4, v7, s[0:3], 0 offen offset:4
	buffer_load_dword v5, v7, s[0:3], 0 offen
	ds_read_b64 v[2:3], v1
	s_waitcnt vmcnt(1) lgkmcnt(0)
	v_mul_f32_e32 v7, v3, v4
	v_mul_f32_e32 v4, v2, v4
	s_waitcnt vmcnt(0)
	v_fma_f32 v2, v2, v5, -v7
	v_fmac_f32_e32 v4, v3, v5
	v_add_f32_e32 v3, 0, v2
	v_add_f32_e32 v2, 0, v4
	s_and_saveexec_b64 s[12:13], s[4:5]
	s_cbranch_execz .LBB114_22
; %bb.21:
	buffer_load_dword v7, off, s[0:3], 0 offset:12
	buffer_load_dword v8, off, s[0:3], 0 offset:8
	v_mov_b32_e32 v4, 0
	ds_read_b64 v[4:5], v4 offset:424
	s_waitcnt vmcnt(1) lgkmcnt(0)
	v_mul_f32_e32 v9, v4, v7
	v_mul_f32_e32 v7, v5, v7
	s_waitcnt vmcnt(0)
	v_fmac_f32_e32 v9, v5, v8
	v_fma_f32 v4, v4, v8, -v7
	v_add_f32_e32 v2, v2, v9
	v_add_f32_e32 v3, v3, v4
.LBB114_22:
	s_or_b64 exec, exec, s[12:13]
	v_mov_b32_e32 v4, 0
	ds_read_b64 v[4:5], v4 offset:16
	s_waitcnt lgkmcnt(0)
	v_mul_f32_e32 v7, v2, v5
	v_mul_f32_e32 v5, v3, v5
	v_fma_f32 v3, v3, v4, -v7
	v_fmac_f32_e32 v5, v2, v4
	buffer_store_dword v3, off, s[0:3], 0 offset:16
	buffer_store_dword v5, off, s[0:3], 0 offset:20
.LBB114_23:
	s_or_b64 exec, exec, s[6:7]
	s_waitcnt lgkmcnt(0)
	; wave barrier
	buffer_load_dword v2, off, s[0:3], 0 offset:24
	buffer_load_dword v3, off, s[0:3], 0 offset:28
	v_cmp_gt_u32_e32 vcc, 3, v0
	s_waitcnt vmcnt(0)
	ds_write_b64 v1, v[2:3]
	v_add_u32_e32 v2, -1, v0
	s_waitcnt lgkmcnt(0)
	; wave barrier
	s_waitcnt lgkmcnt(0)
	s_and_saveexec_b64 s[4:5], vcc
	s_cbranch_execz .LBB114_27
; %bb.24:
	v_add_u32_e32 v4, -1, v0
	v_add_u32_e32 v5, 0x1a0, v6
	v_add_u32_e32 v7, 0, v6
	s_mov_b64 s[6:7], 0
	v_mov_b32_e32 v3, 0
	v_mov_b32_e32 v8, 0
.LBB114_25:                             ; =>This Inner Loop Header: Depth=1
	buffer_load_dword v9, v7, s[0:3], 0 offen offset:4
	buffer_load_dword v12, v7, s[0:3], 0 offen
	ds_read_b64 v[10:11], v5
	v_add_u32_e32 v4, 1, v4
	v_cmp_lt_u32_e32 vcc, 1, v4
	v_add_u32_e32 v5, 8, v5
	v_add_u32_e32 v7, 8, v7
	s_or_b64 s[6:7], vcc, s[6:7]
	s_waitcnt vmcnt(1) lgkmcnt(0)
	v_mul_f32_e32 v13, v11, v9
	v_mul_f32_e32 v9, v10, v9
	s_waitcnt vmcnt(0)
	v_fma_f32 v10, v10, v12, -v13
	v_fmac_f32_e32 v9, v11, v12
	v_add_f32_e32 v8, v8, v10
	v_add_f32_e32 v3, v3, v9
	s_andn2_b64 exec, exec, s[6:7]
	s_cbranch_execnz .LBB114_25
; %bb.26:
	s_or_b64 exec, exec, s[6:7]
	v_mov_b32_e32 v4, 0
	ds_read_b64 v[4:5], v4 offset:24
	s_waitcnt lgkmcnt(0)
	v_mul_f32_e32 v7, v3, v5
	v_mul_f32_e32 v5, v8, v5
	v_fma_f32 v7, v8, v4, -v7
	v_fmac_f32_e32 v5, v3, v4
	buffer_store_dword v7, off, s[0:3], 0 offset:24
	buffer_store_dword v5, off, s[0:3], 0 offset:28
.LBB114_27:
	s_or_b64 exec, exec, s[4:5]
	s_waitcnt lgkmcnt(0)
	; wave barrier
	buffer_load_dword v4, off, s[0:3], 0 offset:32
	buffer_load_dword v5, off, s[0:3], 0 offset:36
	v_cmp_gt_u32_e32 vcc, 4, v0
	s_waitcnt vmcnt(0)
	ds_write_b64 v1, v[4:5]
	s_waitcnt lgkmcnt(0)
	; wave barrier
	s_waitcnt lgkmcnt(0)
	s_and_saveexec_b64 s[4:5], vcc
	s_cbranch_execz .LBB114_31
; %bb.28:
	v_add_u32_e32 v4, -1, v0
	v_add_u32_e32 v5, 0x1a0, v6
	v_add_u32_e32 v7, 0, v6
	s_mov_b64 s[6:7], 0
	v_mov_b32_e32 v3, 0
	v_mov_b32_e32 v8, 0
.LBB114_29:                             ; =>This Inner Loop Header: Depth=1
	buffer_load_dword v9, v7, s[0:3], 0 offen offset:4
	buffer_load_dword v12, v7, s[0:3], 0 offen
	ds_read_b64 v[10:11], v5
	v_add_u32_e32 v4, 1, v4
	v_cmp_lt_u32_e32 vcc, 2, v4
	v_add_u32_e32 v5, 8, v5
	v_add_u32_e32 v7, 8, v7
	s_or_b64 s[6:7], vcc, s[6:7]
	s_waitcnt vmcnt(1) lgkmcnt(0)
	v_mul_f32_e32 v13, v11, v9
	v_mul_f32_e32 v9, v10, v9
	s_waitcnt vmcnt(0)
	v_fma_f32 v10, v10, v12, -v13
	v_fmac_f32_e32 v9, v11, v12
	v_add_f32_e32 v8, v8, v10
	v_add_f32_e32 v3, v3, v9
	s_andn2_b64 exec, exec, s[6:7]
	s_cbranch_execnz .LBB114_29
; %bb.30:
	s_or_b64 exec, exec, s[6:7]
	v_mov_b32_e32 v4, 0
	ds_read_b64 v[4:5], v4 offset:32
	s_waitcnt lgkmcnt(0)
	v_mul_f32_e32 v7, v3, v5
	v_mul_f32_e32 v5, v8, v5
	v_fma_f32 v7, v8, v4, -v7
	v_fmac_f32_e32 v5, v3, v4
	buffer_store_dword v7, off, s[0:3], 0 offset:32
	buffer_store_dword v5, off, s[0:3], 0 offset:36
.LBB114_31:
	s_or_b64 exec, exec, s[4:5]
	s_waitcnt lgkmcnt(0)
	; wave barrier
	buffer_load_dword v4, off, s[0:3], 0 offset:40
	buffer_load_dword v5, off, s[0:3], 0 offset:44
	v_cmp_gt_u32_e32 vcc, 5, v0
	s_waitcnt vmcnt(0)
	ds_write_b64 v1, v[4:5]
	;; [unrolled: 51-line block ×19, first 2 shown]
	s_waitcnt lgkmcnt(0)
	; wave barrier
	s_waitcnt lgkmcnt(0)
	s_and_saveexec_b64 s[4:5], vcc
	s_cbranch_execz .LBB114_103
; %bb.100:
	v_add_u32_e32 v4, -1, v0
	v_add_u32_e32 v5, 0x1a0, v6
	v_add_u32_e32 v7, 0, v6
	s_mov_b64 s[6:7], 0
	v_mov_b32_e32 v3, 0
	v_mov_b32_e32 v8, 0
.LBB114_101:                            ; =>This Inner Loop Header: Depth=1
	buffer_load_dword v9, v7, s[0:3], 0 offen offset:4
	buffer_load_dword v12, v7, s[0:3], 0 offen
	ds_read_b64 v[10:11], v5
	v_add_u32_e32 v4, 1, v4
	v_cmp_lt_u32_e32 vcc, 20, v4
	v_add_u32_e32 v5, 8, v5
	v_add_u32_e32 v7, 8, v7
	s_or_b64 s[6:7], vcc, s[6:7]
	s_waitcnt vmcnt(1) lgkmcnt(0)
	v_mul_f32_e32 v13, v11, v9
	v_mul_f32_e32 v9, v10, v9
	s_waitcnt vmcnt(0)
	v_fma_f32 v10, v10, v12, -v13
	v_fmac_f32_e32 v9, v11, v12
	v_add_f32_e32 v8, v8, v10
	v_add_f32_e32 v3, v3, v9
	s_andn2_b64 exec, exec, s[6:7]
	s_cbranch_execnz .LBB114_101
; %bb.102:
	s_or_b64 exec, exec, s[6:7]
	v_mov_b32_e32 v4, 0
	ds_read_b64 v[4:5], v4 offset:176
	s_waitcnt lgkmcnt(0)
	v_mul_f32_e32 v7, v3, v5
	v_mul_f32_e32 v5, v8, v5
	v_fma_f32 v7, v8, v4, -v7
	v_fmac_f32_e32 v5, v3, v4
	buffer_store_dword v7, off, s[0:3], 0 offset:176
	buffer_store_dword v5, off, s[0:3], 0 offset:180
.LBB114_103:
	s_or_b64 exec, exec, s[4:5]
	s_waitcnt lgkmcnt(0)
	; wave barrier
	buffer_load_dword v4, off, s[0:3], 0 offset:184
	buffer_load_dword v5, off, s[0:3], 0 offset:188
	v_cmp_gt_u32_e32 vcc, 23, v0
	s_waitcnt vmcnt(0)
	ds_write_b64 v1, v[4:5]
	s_waitcnt lgkmcnt(0)
	; wave barrier
	s_waitcnt lgkmcnt(0)
	s_and_saveexec_b64 s[4:5], vcc
	s_cbranch_execz .LBB114_107
; %bb.104:
	v_add_u32_e32 v4, -1, v0
	v_add_u32_e32 v5, 0x1a0, v6
	v_add_u32_e32 v7, 0, v6
	s_mov_b64 s[6:7], 0
	v_mov_b32_e32 v3, 0
	v_mov_b32_e32 v8, 0
.LBB114_105:                            ; =>This Inner Loop Header: Depth=1
	buffer_load_dword v9, v7, s[0:3], 0 offen offset:4
	buffer_load_dword v12, v7, s[0:3], 0 offen
	ds_read_b64 v[10:11], v5
	v_add_u32_e32 v4, 1, v4
	v_cmp_lt_u32_e32 vcc, 21, v4
	v_add_u32_e32 v5, 8, v5
	v_add_u32_e32 v7, 8, v7
	s_or_b64 s[6:7], vcc, s[6:7]
	s_waitcnt vmcnt(1) lgkmcnt(0)
	v_mul_f32_e32 v13, v11, v9
	v_mul_f32_e32 v9, v10, v9
	s_waitcnt vmcnt(0)
	v_fma_f32 v10, v10, v12, -v13
	v_fmac_f32_e32 v9, v11, v12
	v_add_f32_e32 v8, v8, v10
	v_add_f32_e32 v3, v3, v9
	s_andn2_b64 exec, exec, s[6:7]
	s_cbranch_execnz .LBB114_105
; %bb.106:
	s_or_b64 exec, exec, s[6:7]
	v_mov_b32_e32 v4, 0
	ds_read_b64 v[4:5], v4 offset:184
	s_waitcnt lgkmcnt(0)
	v_mul_f32_e32 v7, v3, v5
	v_mul_f32_e32 v5, v8, v5
	v_fma_f32 v7, v8, v4, -v7
	v_fmac_f32_e32 v5, v3, v4
	buffer_store_dword v7, off, s[0:3], 0 offset:184
	buffer_store_dword v5, off, s[0:3], 0 offset:188
.LBB114_107:
	s_or_b64 exec, exec, s[4:5]
	s_waitcnt lgkmcnt(0)
	; wave barrier
	buffer_load_dword v4, off, s[0:3], 0 offset:192
	buffer_load_dword v5, off, s[0:3], 0 offset:196
	v_cmp_gt_u32_e32 vcc, 24, v0
	s_waitcnt vmcnt(0)
	ds_write_b64 v1, v[4:5]
	;; [unrolled: 51-line block ×27, first 2 shown]
	s_waitcnt lgkmcnt(0)
	; wave barrier
	s_waitcnt lgkmcnt(0)
	s_and_saveexec_b64 s[4:5], vcc
	s_cbranch_execz .LBB114_211
; %bb.208:
	v_add_u32_e32 v4, -1, v0
	v_add_u32_e32 v5, 0x1a0, v6
	v_add_u32_e32 v7, 0, v6
	s_mov_b64 s[6:7], 0
	v_mov_b32_e32 v3, 0
	v_mov_b32_e32 v8, 0
.LBB114_209:                            ; =>This Inner Loop Header: Depth=1
	buffer_load_dword v9, v7, s[0:3], 0 offen offset:4
	buffer_load_dword v12, v7, s[0:3], 0 offen
	ds_read_b64 v[10:11], v5
	v_add_u32_e32 v4, 1, v4
	v_cmp_lt_u32_e32 vcc, 47, v4
	v_add_u32_e32 v5, 8, v5
	v_add_u32_e32 v7, 8, v7
	s_or_b64 s[6:7], vcc, s[6:7]
	s_waitcnt vmcnt(1) lgkmcnt(0)
	v_mul_f32_e32 v13, v11, v9
	v_mul_f32_e32 v9, v10, v9
	s_waitcnt vmcnt(0)
	v_fma_f32 v10, v10, v12, -v13
	v_fmac_f32_e32 v9, v11, v12
	v_add_f32_e32 v8, v8, v10
	v_add_f32_e32 v3, v3, v9
	s_andn2_b64 exec, exec, s[6:7]
	s_cbranch_execnz .LBB114_209
; %bb.210:
	s_or_b64 exec, exec, s[6:7]
	v_mov_b32_e32 v4, 0
	ds_read_b64 v[4:5], v4 offset:392
	s_waitcnt lgkmcnt(0)
	v_mul_f32_e32 v7, v3, v5
	v_mul_f32_e32 v5, v8, v5
	v_fma_f32 v7, v8, v4, -v7
	v_fmac_f32_e32 v5, v3, v4
	buffer_store_dword v7, off, s[0:3], 0 offset:392
	buffer_store_dword v5, off, s[0:3], 0 offset:396
.LBB114_211:
	s_or_b64 exec, exec, s[4:5]
	s_waitcnt lgkmcnt(0)
	; wave barrier
	buffer_load_dword v4, off, s[0:3], 0 offset:400
	buffer_load_dword v5, off, s[0:3], 0 offset:404
	v_cmp_ne_u32_e32 vcc, 50, v0
	s_waitcnt vmcnt(0)
	ds_write_b64 v1, v[4:5]
	s_waitcnt lgkmcnt(0)
	; wave barrier
	s_waitcnt lgkmcnt(0)
	s_and_saveexec_b64 s[4:5], vcc
	s_cbranch_execz .LBB114_215
; %bb.212:
	v_add_u32_e32 v3, 0x1a0, v6
	v_add_u32_e32 v4, 0, v6
	s_mov_b64 s[6:7], 0
	v_mov_b32_e32 v1, 0
	v_mov_b32_e32 v5, 0
.LBB114_213:                            ; =>This Inner Loop Header: Depth=1
	buffer_load_dword v8, v4, s[0:3], 0 offen offset:4
	buffer_load_dword v9, v4, s[0:3], 0 offen
	ds_read_b64 v[6:7], v3
	v_add_u32_e32 v2, 1, v2
	v_cmp_lt_u32_e32 vcc, 48, v2
	v_add_u32_e32 v3, 8, v3
	v_add_u32_e32 v4, 8, v4
	s_or_b64 s[6:7], vcc, s[6:7]
	s_waitcnt vmcnt(1) lgkmcnt(0)
	v_mul_f32_e32 v10, v7, v8
	v_mul_f32_e32 v8, v6, v8
	s_waitcnt vmcnt(0)
	v_fma_f32 v6, v6, v9, -v10
	v_fmac_f32_e32 v8, v7, v9
	v_add_f32_e32 v5, v5, v6
	v_add_f32_e32 v1, v1, v8
	s_andn2_b64 exec, exec, s[6:7]
	s_cbranch_execnz .LBB114_213
; %bb.214:
	s_or_b64 exec, exec, s[6:7]
	v_mov_b32_e32 v2, 0
	ds_read_b64 v[2:3], v2 offset:400
	s_waitcnt lgkmcnt(0)
	v_mul_f32_e32 v4, v1, v3
	v_mul_f32_e32 v3, v5, v3
	v_fma_f32 v4, v5, v2, -v4
	v_fmac_f32_e32 v3, v1, v2
	buffer_store_dword v4, off, s[0:3], 0 offset:400
	buffer_store_dword v3, off, s[0:3], 0 offset:404
.LBB114_215:
	s_or_b64 exec, exec, s[4:5]
	s_mov_b64 s[6:7], -1
	s_waitcnt lgkmcnt(0)
	; wave barrier
.LBB114_216:
	s_and_b64 vcc, exec, s[6:7]
	s_cbranch_vccz .LBB114_218
; %bb.217:
	s_lshl_b64 s[4:5], s[8:9], 2
	s_add_u32 s4, s14, s4
	s_addc_u32 s5, s15, s5
	v_mov_b32_e32 v1, 0
	global_load_dword v1, v1, s[4:5]
	s_waitcnt vmcnt(0)
	v_cmp_ne_u32_e32 vcc, 0, v1
	s_cbranch_vccz .LBB114_219
.LBB114_218:
	s_endpgm
.LBB114_219:
	v_mov_b32_e32 v1, 0x1a0
	v_lshl_add_u32 v121, v0, 3, v1
	v_cmp_eq_u32_e32 vcc, 50, v0
	s_and_saveexec_b64 s[4:5], vcc
	s_cbranch_execz .LBB114_221
; %bb.220:
	buffer_load_dword v2, off, s[0:3], 0 offset:392
	buffer_load_dword v3, off, s[0:3], 0 offset:396
	v_mov_b32_e32 v1, 0
	buffer_store_dword v1, off, s[0:3], 0 offset:392
	buffer_store_dword v1, off, s[0:3], 0 offset:396
	s_waitcnt vmcnt(2)
	ds_write_b64 v121, v[2:3]
.LBB114_221:
	s_or_b64 exec, exec, s[4:5]
	s_waitcnt lgkmcnt(0)
	; wave barrier
	s_waitcnt lgkmcnt(0)
	buffer_load_dword v3, off, s[0:3], 0 offset:404
	buffer_load_dword v2, off, s[0:3], 0 offset:400
	;; [unrolled: 1-line block ×4, first 2 shown]
	v_mov_b32_e32 v1, 0
	ds_read_b64 v[6:7], v1 offset:816
	v_cmp_lt_u32_e32 vcc, 48, v0
	s_waitcnt vmcnt(3)
	v_mov_b32_e32 v8, v3
	s_waitcnt lgkmcnt(0)
	v_pk_mul_f32 v[8:9], v[6:7], v[8:9] op_sel_hi:[1,0]
	s_waitcnt vmcnt(2)
	v_pk_fma_f32 v[10:11], v[6:7], v[2:3], v[8:9] op_sel:[0,0,1] op_sel_hi:[1,1,0] neg_lo:[0,0,1] neg_hi:[0,0,1]
	v_pk_fma_f32 v[2:3], v[6:7], v[2:3], v[8:9] op_sel:[0,0,1] op_sel_hi:[1,0,0]
	v_mov_b32_e32 v11, v3
	v_pk_add_f32 v[2:3], v[10:11], 0 op_sel_hi:[1,0]
	s_waitcnt vmcnt(0)
	v_pk_add_f32 v[2:3], v[4:5], v[2:3] neg_lo:[0,1] neg_hi:[0,1]
	buffer_store_dword v2, off, s[0:3], 0 offset:392
	buffer_store_dword v3, off, s[0:3], 0 offset:396
	s_and_saveexec_b64 s[4:5], vcc
	s_cbranch_execz .LBB114_223
; %bb.222:
	buffer_load_dword v2, off, s[0:3], 0 offset:384
	buffer_load_dword v3, off, s[0:3], 0 offset:388
	s_waitcnt vmcnt(0)
	ds_write_b64 v121, v[2:3]
	buffer_store_dword v1, off, s[0:3], 0 offset:384
	buffer_store_dword v1, off, s[0:3], 0 offset:388
.LBB114_223:
	s_or_b64 exec, exec, s[4:5]
	s_waitcnt lgkmcnt(0)
	; wave barrier
	s_waitcnt lgkmcnt(0)
	buffer_load_dword v7, off, s[0:3], 0 offset:396
	buffer_load_dword v9, off, s[0:3], 0 offset:404
	;; [unrolled: 1-line block ×6, first 2 shown]
	ds_read2_b64 v[2:5], v1 offset0:101 offset1:102
	v_cmp_lt_u32_e32 vcc, 47, v0
	s_waitcnt vmcnt(5)
	v_mov_b32_e32 v12, v7
	s_waitcnt vmcnt(4)
	v_mov_b32_e32 v14, v9
	s_waitcnt lgkmcnt(0)
	v_pk_mul_f32 v[12:13], v[2:3], v[12:13] op_sel_hi:[1,0]
	v_pk_mul_f32 v[14:15], v[4:5], v[14:15] op_sel_hi:[1,0]
	s_waitcnt vmcnt(3)
	v_pk_fma_f32 v[16:17], v[2:3], v[6:7], v[12:13] op_sel:[0,0,1] op_sel_hi:[1,1,0] neg_lo:[0,0,1] neg_hi:[0,0,1]
	v_pk_fma_f32 v[2:3], v[2:3], v[6:7], v[12:13] op_sel:[0,0,1] op_sel_hi:[1,0,0]
	s_waitcnt vmcnt(2)
	v_pk_fma_f32 v[6:7], v[4:5], v[8:9], v[14:15] op_sel:[0,0,1] op_sel_hi:[1,1,0] neg_lo:[0,0,1] neg_hi:[0,0,1]
	v_pk_fma_f32 v[4:5], v[4:5], v[8:9], v[14:15] op_sel:[0,0,1] op_sel_hi:[1,0,0]
	v_mov_b32_e32 v17, v3
	v_mov_b32_e32 v7, v5
	v_pk_add_f32 v[2:3], v[16:17], 0 op_sel_hi:[1,0]
	v_pk_add_f32 v[2:3], v[2:3], v[6:7]
	s_waitcnt vmcnt(0)
	v_pk_add_f32 v[2:3], v[10:11], v[2:3] neg_lo:[0,1] neg_hi:[0,1]
	buffer_store_dword v2, off, s[0:3], 0 offset:384
	buffer_store_dword v3, off, s[0:3], 0 offset:388
	s_and_saveexec_b64 s[4:5], vcc
	s_cbranch_execz .LBB114_225
; %bb.224:
	buffer_load_dword v2, off, s[0:3], 0 offset:376
	buffer_load_dword v3, off, s[0:3], 0 offset:380
	v_mov_b32_e32 v1, 0
	buffer_store_dword v1, off, s[0:3], 0 offset:376
	buffer_store_dword v1, off, s[0:3], 0 offset:380
	s_waitcnt vmcnt(2)
	ds_write_b64 v121, v[2:3]
.LBB114_225:
	s_or_b64 exec, exec, s[4:5]
	s_waitcnt lgkmcnt(0)
	; wave barrier
	s_waitcnt lgkmcnt(0)
	buffer_load_dword v7, off, s[0:3], 0 offset:388
	buffer_load_dword v9, off, s[0:3], 0 offset:396
	;; [unrolled: 1-line block ×8, first 2 shown]
	v_mov_b32_e32 v1, 0
	ds_read_b128 v[2:5], v1 offset:800
	ds_read_b64 v[14:15], v1 offset:816
	v_cmp_lt_u32_e32 vcc, 46, v0
	s_waitcnt vmcnt(7)
	v_mov_b32_e32 v16, v7
	s_waitcnt vmcnt(6)
	v_mov_b32_e32 v18, v9
	s_waitcnt lgkmcnt(1)
	v_pk_mul_f32 v[16:17], v[2:3], v[16:17] op_sel_hi:[1,0]
	s_waitcnt vmcnt(5)
	v_mov_b32_e32 v20, v11
	v_pk_mul_f32 v[18:19], v[4:5], v[18:19] op_sel_hi:[1,0]
	s_waitcnt vmcnt(4)
	v_pk_fma_f32 v[22:23], v[2:3], v[6:7], v[16:17] op_sel:[0,0,1] op_sel_hi:[1,1,0] neg_lo:[0,0,1] neg_hi:[0,0,1]
	v_pk_fma_f32 v[2:3], v[2:3], v[6:7], v[16:17] op_sel:[0,0,1] op_sel_hi:[1,0,0]
	s_waitcnt lgkmcnt(0)
	v_pk_mul_f32 v[20:21], v[14:15], v[20:21] op_sel_hi:[1,0]
	s_waitcnt vmcnt(3)
	v_pk_fma_f32 v[6:7], v[4:5], v[8:9], v[18:19] op_sel:[0,0,1] op_sel_hi:[1,1,0] neg_lo:[0,0,1] neg_hi:[0,0,1]
	v_pk_fma_f32 v[4:5], v[4:5], v[8:9], v[18:19] op_sel:[0,0,1] op_sel_hi:[1,0,0]
	v_mov_b32_e32 v23, v3
	s_waitcnt vmcnt(2)
	v_pk_fma_f32 v[8:9], v[14:15], v[10:11], v[20:21] op_sel:[0,0,1] op_sel_hi:[1,1,0] neg_lo:[0,0,1] neg_hi:[0,0,1]
	v_pk_fma_f32 v[10:11], v[14:15], v[10:11], v[20:21] op_sel:[0,0,1] op_sel_hi:[1,0,0]
	v_mov_b32_e32 v7, v5
	v_pk_add_f32 v[2:3], v[22:23], 0 op_sel_hi:[1,0]
	v_mov_b32_e32 v9, v11
	v_pk_add_f32 v[2:3], v[2:3], v[6:7]
	v_pk_add_f32 v[2:3], v[2:3], v[8:9]
	s_waitcnt vmcnt(0)
	v_pk_add_f32 v[2:3], v[12:13], v[2:3] neg_lo:[0,1] neg_hi:[0,1]
	buffer_store_dword v2, off, s[0:3], 0 offset:376
	buffer_store_dword v3, off, s[0:3], 0 offset:380
	s_and_saveexec_b64 s[4:5], vcc
	s_cbranch_execz .LBB114_227
; %bb.226:
	buffer_load_dword v2, off, s[0:3], 0 offset:368
	buffer_load_dword v3, off, s[0:3], 0 offset:372
	s_waitcnt vmcnt(0)
	ds_write_b64 v121, v[2:3]
	buffer_store_dword v1, off, s[0:3], 0 offset:368
	buffer_store_dword v1, off, s[0:3], 0 offset:372
.LBB114_227:
	s_or_b64 exec, exec, s[4:5]
	s_waitcnt lgkmcnt(0)
	; wave barrier
	s_waitcnt lgkmcnt(0)
	buffer_load_dword v10, off, s[0:3], 0 offset:368
	buffer_load_dword v11, off, s[0:3], 0 offset:372
	buffer_load_dword v12, off, s[0:3], 0 offset:376
	buffer_load_dword v13, off, s[0:3], 0 offset:380
	buffer_load_dword v14, off, s[0:3], 0 offset:384
	buffer_load_dword v15, off, s[0:3], 0 offset:388
	buffer_load_dword v16, off, s[0:3], 0 offset:392
	buffer_load_dword v17, off, s[0:3], 0 offset:396
	buffer_load_dword v18, off, s[0:3], 0 offset:400
	buffer_load_dword v19, off, s[0:3], 0 offset:404
	ds_read2_b64 v[2:5], v1 offset0:99 offset1:100
	ds_read2_b64 v[6:9], v1 offset0:101 offset1:102
	v_cmp_lt_u32_e32 vcc, 45, v0
	s_waitcnt vmcnt(6)
	v_mov_b32_e32 v20, v13
	s_waitcnt lgkmcnt(1)
	v_pk_mul_f32 v[20:21], v[2:3], v[20:21] op_sel_hi:[1,0]
	v_pk_fma_f32 v[22:23], v[2:3], v[12:13], v[20:21] op_sel:[0,0,1] op_sel_hi:[1,1,0] neg_lo:[0,0,1] neg_hi:[0,0,1]
	v_pk_fma_f32 v[2:3], v[2:3], v[12:13], v[20:21] op_sel:[0,0,1] op_sel_hi:[1,0,0]
	s_waitcnt vmcnt(4)
	v_mov_b32_e32 v12, v15
	v_pk_mul_f32 v[12:13], v[4:5], v[12:13] op_sel_hi:[1,0]
	v_pk_fma_f32 v[20:21], v[4:5], v[14:15], v[12:13] op_sel:[0,0,1] op_sel_hi:[1,1,0] neg_lo:[0,0,1] neg_hi:[0,0,1]
	v_pk_fma_f32 v[4:5], v[4:5], v[14:15], v[12:13] op_sel:[0,0,1] op_sel_hi:[1,0,0]
	s_waitcnt vmcnt(2)
	v_mov_b32_e32 v4, v17
	v_mov_b32_e32 v21, v5
	s_waitcnt lgkmcnt(0)
	v_pk_mul_f32 v[4:5], v[6:7], v[4:5] op_sel_hi:[1,0]
	v_pk_fma_f32 v[12:13], v[6:7], v[16:17], v[4:5] op_sel:[0,0,1] op_sel_hi:[1,1,0] neg_lo:[0,0,1] neg_hi:[0,0,1]
	v_pk_fma_f32 v[4:5], v[6:7], v[16:17], v[4:5] op_sel:[0,0,1] op_sel_hi:[1,0,0]
	v_mov_b32_e32 v23, v3
	s_waitcnt vmcnt(0)
	v_mov_b32_e32 v4, v19
	v_pk_add_f32 v[2:3], v[22:23], 0 op_sel_hi:[1,0]
	v_mov_b32_e32 v13, v5
	v_pk_mul_f32 v[4:5], v[8:9], v[4:5] op_sel_hi:[1,0]
	v_pk_add_f32 v[2:3], v[2:3], v[20:21]
	v_pk_fma_f32 v[6:7], v[8:9], v[18:19], v[4:5] op_sel:[0,0,1] op_sel_hi:[1,1,0] neg_lo:[0,0,1] neg_hi:[0,0,1]
	v_pk_fma_f32 v[4:5], v[8:9], v[18:19], v[4:5] op_sel:[0,0,1] op_sel_hi:[1,0,0]
	v_pk_add_f32 v[2:3], v[2:3], v[12:13]
	v_mov_b32_e32 v7, v5
	v_pk_add_f32 v[2:3], v[2:3], v[6:7]
	v_pk_add_f32 v[2:3], v[10:11], v[2:3] neg_lo:[0,1] neg_hi:[0,1]
	buffer_store_dword v2, off, s[0:3], 0 offset:368
	buffer_store_dword v3, off, s[0:3], 0 offset:372
	s_and_saveexec_b64 s[4:5], vcc
	s_cbranch_execz .LBB114_229
; %bb.228:
	buffer_load_dword v2, off, s[0:3], 0 offset:360
	buffer_load_dword v3, off, s[0:3], 0 offset:364
	v_mov_b32_e32 v1, 0
	buffer_store_dword v1, off, s[0:3], 0 offset:360
	buffer_store_dword v1, off, s[0:3], 0 offset:364
	s_waitcnt vmcnt(2)
	ds_write_b64 v121, v[2:3]
.LBB114_229:
	s_or_b64 exec, exec, s[4:5]
	s_waitcnt lgkmcnt(0)
	; wave barrier
	s_waitcnt lgkmcnt(0)
	buffer_load_dword v11, off, s[0:3], 0 offset:372
	buffer_load_dword v13, off, s[0:3], 0 offset:380
	;; [unrolled: 1-line block ×12, first 2 shown]
	v_mov_b32_e32 v1, 0
	ds_read_b128 v[2:5], v1 offset:784
	ds_read_b128 v[6:9], v1 offset:800
	ds_read_b64 v[22:23], v1 offset:816
	v_cmp_lt_u32_e32 vcc, 44, v0
	s_waitcnt vmcnt(11)
	v_mov_b32_e32 v24, v11
	s_waitcnt vmcnt(10)
	v_mov_b32_e32 v26, v13
	s_waitcnt lgkmcnt(2)
	v_pk_mul_f32 v[24:25], v[2:3], v[24:25] op_sel_hi:[1,0]
	s_waitcnt vmcnt(9)
	v_mov_b32_e32 v28, v15
	v_pk_mul_f32 v[26:27], v[4:5], v[26:27] op_sel_hi:[1,0]
	s_waitcnt vmcnt(6)
	v_pk_fma_f32 v[34:35], v[2:3], v[10:11], v[24:25] op_sel:[0,0,1] op_sel_hi:[1,1,0] neg_lo:[0,0,1] neg_hi:[0,0,1]
	v_pk_fma_f32 v[2:3], v[2:3], v[10:11], v[24:25] op_sel:[0,0,1] op_sel_hi:[1,0,0]
	v_mov_b32_e32 v30, v17
	s_waitcnt lgkmcnt(1)
	v_pk_mul_f32 v[28:29], v[6:7], v[28:29] op_sel_hi:[1,0]
	s_waitcnt vmcnt(5)
	v_pk_fma_f32 v[10:11], v[4:5], v[12:13], v[26:27] op_sel:[0,0,1] op_sel_hi:[1,1,0] neg_lo:[0,0,1] neg_hi:[0,0,1]
	v_pk_fma_f32 v[4:5], v[4:5], v[12:13], v[26:27] op_sel:[0,0,1] op_sel_hi:[1,0,0]
	v_mov_b32_e32 v35, v3
	v_mov_b32_e32 v32, v19
	v_pk_mul_f32 v[30:31], v[8:9], v[30:31] op_sel_hi:[1,0]
	s_waitcnt vmcnt(4)
	v_pk_fma_f32 v[12:13], v[6:7], v[14:15], v[28:29] op_sel:[0,0,1] op_sel_hi:[1,1,0] neg_lo:[0,0,1] neg_hi:[0,0,1]
	v_pk_fma_f32 v[6:7], v[6:7], v[14:15], v[28:29] op_sel:[0,0,1] op_sel_hi:[1,0,0]
	v_mov_b32_e32 v11, v5
	v_pk_add_f32 v[2:3], v[34:35], 0 op_sel_hi:[1,0]
	s_waitcnt lgkmcnt(0)
	v_pk_mul_f32 v[32:33], v[22:23], v[32:33] op_sel_hi:[1,0]
	s_waitcnt vmcnt(3)
	v_pk_fma_f32 v[14:15], v[8:9], v[16:17], v[30:31] op_sel:[0,0,1] op_sel_hi:[1,1,0] neg_lo:[0,0,1] neg_hi:[0,0,1]
	v_pk_fma_f32 v[8:9], v[8:9], v[16:17], v[30:31] op_sel:[0,0,1] op_sel_hi:[1,0,0]
	v_mov_b32_e32 v13, v7
	v_pk_add_f32 v[2:3], v[2:3], v[10:11]
	s_waitcnt vmcnt(2)
	v_pk_fma_f32 v[16:17], v[22:23], v[18:19], v[32:33] op_sel:[0,0,1] op_sel_hi:[1,1,0] neg_lo:[0,0,1] neg_hi:[0,0,1]
	v_pk_fma_f32 v[18:19], v[22:23], v[18:19], v[32:33] op_sel:[0,0,1] op_sel_hi:[1,0,0]
	v_mov_b32_e32 v15, v9
	v_pk_add_f32 v[2:3], v[2:3], v[12:13]
	v_mov_b32_e32 v17, v19
	v_pk_add_f32 v[2:3], v[2:3], v[14:15]
	v_pk_add_f32 v[2:3], v[2:3], v[16:17]
	s_waitcnt vmcnt(0)
	v_pk_add_f32 v[2:3], v[20:21], v[2:3] neg_lo:[0,1] neg_hi:[0,1]
	buffer_store_dword v2, off, s[0:3], 0 offset:360
	buffer_store_dword v3, off, s[0:3], 0 offset:364
	s_and_saveexec_b64 s[4:5], vcc
	s_cbranch_execz .LBB114_231
; %bb.230:
	buffer_load_dword v2, off, s[0:3], 0 offset:352
	buffer_load_dword v3, off, s[0:3], 0 offset:356
	s_waitcnt vmcnt(0)
	ds_write_b64 v121, v[2:3]
	buffer_store_dword v1, off, s[0:3], 0 offset:352
	buffer_store_dword v1, off, s[0:3], 0 offset:356
.LBB114_231:
	s_or_b64 exec, exec, s[4:5]
	s_waitcnt lgkmcnt(0)
	; wave barrier
	s_waitcnt lgkmcnt(0)
	buffer_load_dword v15, off, s[0:3], 0 offset:364
	buffer_load_dword v17, off, s[0:3], 0 offset:372
	;; [unrolled: 1-line block ×14, first 2 shown]
	ds_read2_b64 v[2:5], v1 offset0:97 offset1:98
	ds_read2_b64 v[6:9], v1 offset0:99 offset1:100
	;; [unrolled: 1-line block ×3, first 2 shown]
	v_cmp_lt_u32_e32 vcc, 43, v0
	s_waitcnt vmcnt(13)
	v_mov_b32_e32 v28, v15
	s_waitcnt vmcnt(12)
	v_mov_b32_e32 v30, v17
	s_waitcnt lgkmcnt(2)
	v_pk_mul_f32 v[28:29], v[2:3], v[28:29] op_sel_hi:[1,0]
	s_waitcnt vmcnt(11)
	v_mov_b32_e32 v32, v19
	v_pk_mul_f32 v[30:31], v[4:5], v[30:31] op_sel_hi:[1,0]
	s_waitcnt vmcnt(10)
	v_mov_b32_e32 v34, v21
	s_waitcnt vmcnt(7)
	v_pk_fma_f32 v[40:41], v[2:3], v[14:15], v[28:29] op_sel:[0,0,1] op_sel_hi:[1,1,0] neg_lo:[0,0,1] neg_hi:[0,0,1]
	v_pk_fma_f32 v[2:3], v[2:3], v[14:15], v[28:29] op_sel:[0,0,1] op_sel_hi:[1,0,0]
	s_waitcnt lgkmcnt(1)
	v_pk_mul_f32 v[32:33], v[6:7], v[32:33] op_sel_hi:[1,0]
	s_waitcnt vmcnt(6)
	v_pk_fma_f32 v[14:15], v[4:5], v[16:17], v[30:31] op_sel:[0,0,1] op_sel_hi:[1,1,0] neg_lo:[0,0,1] neg_hi:[0,0,1]
	v_pk_fma_f32 v[4:5], v[4:5], v[16:17], v[30:31] op_sel:[0,0,1] op_sel_hi:[1,0,0]
	v_mov_b32_e32 v41, v3
	v_mov_b32_e32 v36, v23
	v_pk_mul_f32 v[34:35], v[8:9], v[34:35] op_sel_hi:[1,0]
	s_waitcnt vmcnt(5)
	v_pk_fma_f32 v[16:17], v[6:7], v[18:19], v[32:33] op_sel:[0,0,1] op_sel_hi:[1,1,0] neg_lo:[0,0,1] neg_hi:[0,0,1]
	v_pk_fma_f32 v[6:7], v[6:7], v[18:19], v[32:33] op_sel:[0,0,1] op_sel_hi:[1,0,0]
	v_mov_b32_e32 v15, v5
	v_pk_add_f32 v[2:3], v[40:41], 0 op_sel_hi:[1,0]
	v_mov_b32_e32 v38, v25
	s_waitcnt lgkmcnt(0)
	v_pk_mul_f32 v[36:37], v[10:11], v[36:37] op_sel_hi:[1,0]
	s_waitcnt vmcnt(4)
	v_pk_fma_f32 v[18:19], v[8:9], v[20:21], v[34:35] op_sel:[0,0,1] op_sel_hi:[1,1,0] neg_lo:[0,0,1] neg_hi:[0,0,1]
	v_pk_fma_f32 v[8:9], v[8:9], v[20:21], v[34:35] op_sel:[0,0,1] op_sel_hi:[1,0,0]
	v_mov_b32_e32 v17, v7
	v_pk_add_f32 v[2:3], v[2:3], v[14:15]
	v_pk_mul_f32 v[38:39], v[12:13], v[38:39] op_sel_hi:[1,0]
	s_waitcnt vmcnt(3)
	v_pk_fma_f32 v[20:21], v[10:11], v[22:23], v[36:37] op_sel:[0,0,1] op_sel_hi:[1,1,0] neg_lo:[0,0,1] neg_hi:[0,0,1]
	v_pk_fma_f32 v[10:11], v[10:11], v[22:23], v[36:37] op_sel:[0,0,1] op_sel_hi:[1,0,0]
	v_mov_b32_e32 v19, v9
	v_pk_add_f32 v[2:3], v[2:3], v[16:17]
	s_waitcnt vmcnt(2)
	v_pk_fma_f32 v[22:23], v[12:13], v[24:25], v[38:39] op_sel:[0,0,1] op_sel_hi:[1,1,0] neg_lo:[0,0,1] neg_hi:[0,0,1]
	v_pk_fma_f32 v[12:13], v[12:13], v[24:25], v[38:39] op_sel:[0,0,1] op_sel_hi:[1,0,0]
	v_mov_b32_e32 v21, v11
	v_pk_add_f32 v[2:3], v[2:3], v[18:19]
	v_mov_b32_e32 v23, v13
	v_pk_add_f32 v[2:3], v[2:3], v[20:21]
	v_pk_add_f32 v[2:3], v[2:3], v[22:23]
	s_waitcnt vmcnt(0)
	v_pk_add_f32 v[2:3], v[26:27], v[2:3] neg_lo:[0,1] neg_hi:[0,1]
	buffer_store_dword v2, off, s[0:3], 0 offset:352
	buffer_store_dword v3, off, s[0:3], 0 offset:356
	s_and_saveexec_b64 s[4:5], vcc
	s_cbranch_execz .LBB114_233
; %bb.232:
	buffer_load_dword v2, off, s[0:3], 0 offset:344
	buffer_load_dword v3, off, s[0:3], 0 offset:348
	v_mov_b32_e32 v1, 0
	buffer_store_dword v1, off, s[0:3], 0 offset:344
	buffer_store_dword v1, off, s[0:3], 0 offset:348
	s_waitcnt vmcnt(2)
	ds_write_b64 v121, v[2:3]
.LBB114_233:
	s_or_b64 exec, exec, s[4:5]
	s_waitcnt lgkmcnt(0)
	; wave barrier
	s_waitcnt lgkmcnt(0)
	buffer_load_dword v15, off, s[0:3], 0 offset:356
	buffer_load_dword v17, off, s[0:3], 0 offset:364
	;; [unrolled: 1-line block ×16, first 2 shown]
	v_mov_b32_e32 v1, 0
	ds_read_b128 v[2:5], v1 offset:768
	ds_read_b128 v[6:9], v1 offset:784
	;; [unrolled: 1-line block ×3, first 2 shown]
	ds_read_b64 v[30:31], v1 offset:816
	v_cmp_lt_u32_e32 vcc, 42, v0
	s_waitcnt vmcnt(15)
	v_mov_b32_e32 v32, v15
	s_waitcnt vmcnt(14)
	v_mov_b32_e32 v34, v17
	s_waitcnt lgkmcnt(3)
	v_pk_mul_f32 v[32:33], v[2:3], v[32:33] op_sel_hi:[1,0]
	s_waitcnt vmcnt(13)
	v_mov_b32_e32 v36, v19
	v_pk_mul_f32 v[34:35], v[4:5], v[34:35] op_sel_hi:[1,0]
	s_waitcnt vmcnt(12)
	v_mov_b32_e32 v38, v21
	s_waitcnt lgkmcnt(2)
	v_pk_mul_f32 v[36:37], v[6:7], v[36:37] op_sel_hi:[1,0]
	s_waitcnt vmcnt(8)
	v_pk_fma_f32 v[46:47], v[2:3], v[14:15], v[32:33] op_sel:[0,0,1] op_sel_hi:[1,1,0] neg_lo:[0,0,1] neg_hi:[0,0,1]
	v_pk_fma_f32 v[2:3], v[2:3], v[14:15], v[32:33] op_sel:[0,0,1] op_sel_hi:[1,0,0]
	s_waitcnt vmcnt(7)
	v_pk_fma_f32 v[14:15], v[4:5], v[16:17], v[34:35] op_sel:[0,0,1] op_sel_hi:[1,1,0] neg_lo:[0,0,1] neg_hi:[0,0,1]
	v_pk_fma_f32 v[4:5], v[4:5], v[16:17], v[34:35] op_sel:[0,0,1] op_sel_hi:[1,0,0]
	v_mov_b32_e32 v47, v3
	v_mov_b32_e32 v40, v23
	v_pk_mul_f32 v[38:39], v[8:9], v[38:39] op_sel_hi:[1,0]
	s_waitcnt vmcnt(6)
	v_pk_fma_f32 v[16:17], v[6:7], v[18:19], v[36:37] op_sel:[0,0,1] op_sel_hi:[1,1,0] neg_lo:[0,0,1] neg_hi:[0,0,1]
	v_pk_fma_f32 v[6:7], v[6:7], v[18:19], v[36:37] op_sel:[0,0,1] op_sel_hi:[1,0,0]
	v_mov_b32_e32 v15, v5
	v_pk_add_f32 v[2:3], v[46:47], 0 op_sel_hi:[1,0]
	v_mov_b32_e32 v42, v25
	s_waitcnt lgkmcnt(1)
	v_pk_mul_f32 v[40:41], v[10:11], v[40:41] op_sel_hi:[1,0]
	s_waitcnt vmcnt(5)
	v_pk_fma_f32 v[18:19], v[8:9], v[20:21], v[38:39] op_sel:[0,0,1] op_sel_hi:[1,1,0] neg_lo:[0,0,1] neg_hi:[0,0,1]
	v_pk_fma_f32 v[8:9], v[8:9], v[20:21], v[38:39] op_sel:[0,0,1] op_sel_hi:[1,0,0]
	v_mov_b32_e32 v17, v7
	v_pk_add_f32 v[2:3], v[2:3], v[14:15]
	v_mov_b32_e32 v44, v27
	v_pk_mul_f32 v[42:43], v[12:13], v[42:43] op_sel_hi:[1,0]
	s_waitcnt vmcnt(4)
	v_pk_fma_f32 v[20:21], v[10:11], v[22:23], v[40:41] op_sel:[0,0,1] op_sel_hi:[1,1,0] neg_lo:[0,0,1] neg_hi:[0,0,1]
	v_pk_fma_f32 v[10:11], v[10:11], v[22:23], v[40:41] op_sel:[0,0,1] op_sel_hi:[1,0,0]
	v_mov_b32_e32 v19, v9
	v_pk_add_f32 v[2:3], v[2:3], v[16:17]
	s_waitcnt lgkmcnt(0)
	v_pk_mul_f32 v[44:45], v[30:31], v[44:45] op_sel_hi:[1,0]
	s_waitcnt vmcnt(3)
	v_pk_fma_f32 v[22:23], v[12:13], v[24:25], v[42:43] op_sel:[0,0,1] op_sel_hi:[1,1,0] neg_lo:[0,0,1] neg_hi:[0,0,1]
	v_pk_fma_f32 v[12:13], v[12:13], v[24:25], v[42:43] op_sel:[0,0,1] op_sel_hi:[1,0,0]
	v_mov_b32_e32 v21, v11
	v_pk_add_f32 v[2:3], v[2:3], v[18:19]
	s_waitcnt vmcnt(2)
	v_pk_fma_f32 v[24:25], v[30:31], v[26:27], v[44:45] op_sel:[0,0,1] op_sel_hi:[1,1,0] neg_lo:[0,0,1] neg_hi:[0,0,1]
	v_pk_fma_f32 v[26:27], v[30:31], v[26:27], v[44:45] op_sel:[0,0,1] op_sel_hi:[1,0,0]
	v_mov_b32_e32 v23, v13
	v_pk_add_f32 v[2:3], v[2:3], v[20:21]
	v_mov_b32_e32 v25, v27
	v_pk_add_f32 v[2:3], v[2:3], v[22:23]
	v_pk_add_f32 v[2:3], v[2:3], v[24:25]
	s_waitcnt vmcnt(0)
	v_pk_add_f32 v[2:3], v[28:29], v[2:3] neg_lo:[0,1] neg_hi:[0,1]
	buffer_store_dword v2, off, s[0:3], 0 offset:344
	buffer_store_dword v3, off, s[0:3], 0 offset:348
	s_and_saveexec_b64 s[4:5], vcc
	s_cbranch_execz .LBB114_235
; %bb.234:
	buffer_load_dword v2, off, s[0:3], 0 offset:336
	buffer_load_dword v3, off, s[0:3], 0 offset:340
	s_waitcnt vmcnt(0)
	ds_write_b64 v121, v[2:3]
	buffer_store_dword v1, off, s[0:3], 0 offset:336
	buffer_store_dword v1, off, s[0:3], 0 offset:340
.LBB114_235:
	s_or_b64 exec, exec, s[4:5]
	s_waitcnt lgkmcnt(0)
	; wave barrier
	s_waitcnt lgkmcnt(0)
	buffer_load_dword v19, off, s[0:3], 0 offset:348
	buffer_load_dword v21, off, s[0:3], 0 offset:356
	;; [unrolled: 1-line block ×18, first 2 shown]
	ds_read2_b64 v[2:5], v1 offset0:95 offset1:96
	ds_read2_b64 v[6:9], v1 offset0:97 offset1:98
	;; [unrolled: 1-line block ×4, first 2 shown]
	v_cmp_lt_u32_e32 vcc, 41, v0
	s_waitcnt vmcnt(17)
	v_mov_b32_e32 v36, v19
	s_waitcnt vmcnt(16)
	v_mov_b32_e32 v38, v21
	s_waitcnt lgkmcnt(3)
	v_pk_mul_f32 v[36:37], v[2:3], v[36:37] op_sel_hi:[1,0]
	s_waitcnt vmcnt(15)
	v_mov_b32_e32 v40, v23
	v_pk_mul_f32 v[38:39], v[4:5], v[38:39] op_sel_hi:[1,0]
	s_waitcnt vmcnt(14)
	v_mov_b32_e32 v42, v25
	s_waitcnt lgkmcnt(2)
	v_pk_mul_f32 v[40:41], v[6:7], v[40:41] op_sel_hi:[1,0]
	s_waitcnt vmcnt(13)
	v_mov_b32_e32 v44, v27
	s_waitcnt vmcnt(9)
	v_pk_fma_f32 v[52:53], v[2:3], v[18:19], v[36:37] op_sel:[0,0,1] op_sel_hi:[1,1,0] neg_lo:[0,0,1] neg_hi:[0,0,1]
	v_pk_fma_f32 v[2:3], v[2:3], v[18:19], v[36:37] op_sel:[0,0,1] op_sel_hi:[1,0,0]
	s_waitcnt vmcnt(8)
	v_pk_fma_f32 v[18:19], v[4:5], v[20:21], v[38:39] op_sel:[0,0,1] op_sel_hi:[1,1,0] neg_lo:[0,0,1] neg_hi:[0,0,1]
	v_pk_fma_f32 v[4:5], v[4:5], v[20:21], v[38:39] op_sel:[0,0,1] op_sel_hi:[1,0,0]
	v_mov_b32_e32 v53, v3
	v_pk_mul_f32 v[42:43], v[8:9], v[42:43] op_sel_hi:[1,0]
	s_waitcnt vmcnt(7)
	v_pk_fma_f32 v[20:21], v[6:7], v[22:23], v[40:41] op_sel:[0,0,1] op_sel_hi:[1,1,0] neg_lo:[0,0,1] neg_hi:[0,0,1]
	v_pk_fma_f32 v[6:7], v[6:7], v[22:23], v[40:41] op_sel:[0,0,1] op_sel_hi:[1,0,0]
	v_mov_b32_e32 v19, v5
	v_pk_add_f32 v[2:3], v[52:53], 0 op_sel_hi:[1,0]
	v_mov_b32_e32 v46, v29
	s_waitcnt lgkmcnt(1)
	v_pk_mul_f32 v[44:45], v[10:11], v[44:45] op_sel_hi:[1,0]
	s_waitcnt vmcnt(6)
	v_pk_fma_f32 v[22:23], v[8:9], v[24:25], v[42:43] op_sel:[0,0,1] op_sel_hi:[1,1,0] neg_lo:[0,0,1] neg_hi:[0,0,1]
	v_pk_fma_f32 v[8:9], v[8:9], v[24:25], v[42:43] op_sel:[0,0,1] op_sel_hi:[1,0,0]
	v_mov_b32_e32 v21, v7
	v_pk_add_f32 v[2:3], v[2:3], v[18:19]
	v_mov_b32_e32 v48, v31
	v_pk_mul_f32 v[46:47], v[12:13], v[46:47] op_sel_hi:[1,0]
	s_waitcnt vmcnt(5)
	v_pk_fma_f32 v[24:25], v[10:11], v[26:27], v[44:45] op_sel:[0,0,1] op_sel_hi:[1,1,0] neg_lo:[0,0,1] neg_hi:[0,0,1]
	v_pk_fma_f32 v[10:11], v[10:11], v[26:27], v[44:45] op_sel:[0,0,1] op_sel_hi:[1,0,0]
	v_mov_b32_e32 v23, v9
	v_pk_add_f32 v[2:3], v[2:3], v[20:21]
	v_mov_b32_e32 v50, v33
	s_waitcnt lgkmcnt(0)
	v_pk_mul_f32 v[48:49], v[14:15], v[48:49] op_sel_hi:[1,0]
	s_waitcnt vmcnt(4)
	v_pk_fma_f32 v[26:27], v[12:13], v[28:29], v[46:47] op_sel:[0,0,1] op_sel_hi:[1,1,0] neg_lo:[0,0,1] neg_hi:[0,0,1]
	v_pk_fma_f32 v[12:13], v[12:13], v[28:29], v[46:47] op_sel:[0,0,1] op_sel_hi:[1,0,0]
	v_mov_b32_e32 v25, v11
	v_pk_add_f32 v[2:3], v[2:3], v[22:23]
	v_pk_mul_f32 v[50:51], v[16:17], v[50:51] op_sel_hi:[1,0]
	s_waitcnt vmcnt(3)
	v_pk_fma_f32 v[28:29], v[14:15], v[30:31], v[48:49] op_sel:[0,0,1] op_sel_hi:[1,1,0] neg_lo:[0,0,1] neg_hi:[0,0,1]
	v_pk_fma_f32 v[14:15], v[14:15], v[30:31], v[48:49] op_sel:[0,0,1] op_sel_hi:[1,0,0]
	v_mov_b32_e32 v27, v13
	v_pk_add_f32 v[2:3], v[2:3], v[24:25]
	s_waitcnt vmcnt(2)
	v_pk_fma_f32 v[30:31], v[16:17], v[32:33], v[50:51] op_sel:[0,0,1] op_sel_hi:[1,1,0] neg_lo:[0,0,1] neg_hi:[0,0,1]
	v_pk_fma_f32 v[16:17], v[16:17], v[32:33], v[50:51] op_sel:[0,0,1] op_sel_hi:[1,0,0]
	v_mov_b32_e32 v29, v15
	v_pk_add_f32 v[2:3], v[2:3], v[26:27]
	v_mov_b32_e32 v31, v17
	v_pk_add_f32 v[2:3], v[2:3], v[28:29]
	v_pk_add_f32 v[2:3], v[2:3], v[30:31]
	s_waitcnt vmcnt(0)
	v_pk_add_f32 v[2:3], v[34:35], v[2:3] neg_lo:[0,1] neg_hi:[0,1]
	buffer_store_dword v2, off, s[0:3], 0 offset:336
	buffer_store_dword v3, off, s[0:3], 0 offset:340
	s_and_saveexec_b64 s[4:5], vcc
	s_cbranch_execz .LBB114_237
; %bb.236:
	buffer_load_dword v2, off, s[0:3], 0 offset:328
	buffer_load_dword v3, off, s[0:3], 0 offset:332
	v_mov_b32_e32 v1, 0
	buffer_store_dword v1, off, s[0:3], 0 offset:328
	buffer_store_dword v1, off, s[0:3], 0 offset:332
	s_waitcnt vmcnt(2)
	ds_write_b64 v121, v[2:3]
.LBB114_237:
	s_or_b64 exec, exec, s[4:5]
	s_waitcnt lgkmcnt(0)
	; wave barrier
	s_waitcnt lgkmcnt(0)
	buffer_load_dword v38, off, s[0:3], 0 offset:340
	buffer_load_dword v19, off, s[0:3], 0 offset:348
	;; [unrolled: 1-line block ×20, first 2 shown]
	v_mov_b32_e32 v1, 0
	ds_read_b128 v[2:5], v1 offset:752
	ds_read_b128 v[6:9], v1 offset:768
	ds_read_b128 v[10:13], v1 offset:784
	ds_read_b128 v[14:17], v1 offset:800
	ds_read_b64 v[36:37], v1 offset:816
	v_cmp_lt_u32_e32 vcc, 40, v0
	s_waitcnt vmcnt(19) lgkmcnt(4)
	v_mul_f32_e32 v39, v2, v38
	v_mul_f32_e32 v38, v3, v38
	s_waitcnt vmcnt(18)
	v_mov_b32_e32 v40, v19
	s_waitcnt vmcnt(17)
	v_mov_b32_e32 v42, v21
	;; [unrolled: 2-line block ×8, first 2 shown]
	s_waitcnt vmcnt(10)
	v_fmac_f32_e32 v39, v3, v41
	v_fma_f32 v38, v2, v41, -v38
	v_pk_mul_f32 v[2:3], v[4:5], v[40:41] op_sel_hi:[1,0]
	s_waitcnt lgkmcnt(3)
	v_pk_mul_f32 v[40:41], v[6:7], v[42:43] op_sel_hi:[1,0]
	v_pk_mul_f32 v[42:43], v[8:9], v[44:45] op_sel_hi:[1,0]
	s_waitcnt lgkmcnt(2)
	v_pk_mul_f32 v[44:45], v[10:11], v[46:47] op_sel_hi:[1,0]
	;; [unrolled: 3-line block ×4, first 2 shown]
	s_waitcnt vmcnt(9)
	v_pk_fma_f32 v[54:55], v[4:5], v[18:19], v[2:3] op_sel:[0,0,1] op_sel_hi:[1,1,0] neg_lo:[0,0,1] neg_hi:[0,0,1]
	v_pk_fma_f32 v[2:3], v[4:5], v[18:19], v[2:3] op_sel:[0,0,1] op_sel_hi:[1,0,0]
	v_pk_add_f32 v[38:39], v[38:39], 0 op_sel_hi:[1,0]
	s_waitcnt vmcnt(8)
	v_pk_fma_f32 v[4:5], v[6:7], v[20:21], v[40:41] op_sel:[0,0,1] op_sel_hi:[1,1,0] neg_lo:[0,0,1] neg_hi:[0,0,1]
	v_pk_fma_f32 v[6:7], v[6:7], v[20:21], v[40:41] op_sel:[0,0,1] op_sel_hi:[1,0,0]
	v_mov_b32_e32 v55, v3
	s_waitcnt vmcnt(7)
	v_pk_fma_f32 v[18:19], v[8:9], v[22:23], v[42:43] op_sel:[0,0,1] op_sel_hi:[1,1,0] neg_lo:[0,0,1] neg_hi:[0,0,1]
	v_pk_fma_f32 v[8:9], v[8:9], v[22:23], v[42:43] op_sel:[0,0,1] op_sel_hi:[1,0,0]
	v_mov_b32_e32 v5, v7
	v_pk_add_f32 v[2:3], v[38:39], v[54:55]
	s_waitcnt vmcnt(6)
	v_pk_fma_f32 v[20:21], v[10:11], v[24:25], v[44:45] op_sel:[0,0,1] op_sel_hi:[1,1,0] neg_lo:[0,0,1] neg_hi:[0,0,1]
	v_pk_fma_f32 v[10:11], v[10:11], v[24:25], v[44:45] op_sel:[0,0,1] op_sel_hi:[1,0,0]
	v_mov_b32_e32 v19, v9
	v_pk_add_f32 v[2:3], v[2:3], v[4:5]
	;; [unrolled: 5-line block ×5, first 2 shown]
	v_pk_fma_f32 v[28:29], v[36:37], v[32:33], v[52:53] op_sel:[0,0,1] op_sel_hi:[1,1,0] neg_lo:[0,0,1] neg_hi:[0,0,1]
	v_pk_fma_f32 v[30:31], v[36:37], v[32:33], v[52:53] op_sel:[0,0,1] op_sel_hi:[1,0,0]
	v_mov_b32_e32 v27, v17
	v_pk_add_f32 v[2:3], v[2:3], v[24:25]
	v_mov_b32_e32 v29, v31
	v_pk_add_f32 v[2:3], v[2:3], v[26:27]
	v_pk_add_f32 v[2:3], v[2:3], v[28:29]
	s_waitcnt vmcnt(0)
	v_pk_add_f32 v[2:3], v[34:35], v[2:3] neg_lo:[0,1] neg_hi:[0,1]
	buffer_store_dword v2, off, s[0:3], 0 offset:328
	buffer_store_dword v3, off, s[0:3], 0 offset:332
	s_and_saveexec_b64 s[4:5], vcc
	s_cbranch_execz .LBB114_239
; %bb.238:
	buffer_load_dword v2, off, s[0:3], 0 offset:320
	buffer_load_dword v3, off, s[0:3], 0 offset:324
	s_waitcnt vmcnt(0)
	ds_write_b64 v121, v[2:3]
	buffer_store_dword v1, off, s[0:3], 0 offset:320
	buffer_store_dword v1, off, s[0:3], 0 offset:324
.LBB114_239:
	s_or_b64 exec, exec, s[4:5]
	s_waitcnt lgkmcnt(0)
	; wave barrier
	s_waitcnt lgkmcnt(0)
	buffer_load_dword v40, off, s[0:3], 0 offset:332
	buffer_load_dword v42, off, s[0:3], 0 offset:340
	;; [unrolled: 1-line block ×22, first 2 shown]
	ds_read2_b64 v[2:5], v1 offset0:93 offset1:94
	ds_read2_b64 v[6:9], v1 offset0:95 offset1:96
	;; [unrolled: 1-line block ×5, first 2 shown]
	v_cmp_lt_u32_e32 vcc, 39, v0
	s_waitcnt vmcnt(21) lgkmcnt(4)
	v_mul_f32_e32 v41, v2, v40
	v_mul_f32_e32 v1, v3, v40
	s_waitcnt vmcnt(19)
	v_mov_b32_e32 v44, v23
	v_mul_f32_e32 v43, v4, v42
	v_mul_f32_e32 v42, v5, v42
	s_waitcnt vmcnt(18)
	v_mov_b32_e32 v46, v25
	s_waitcnt vmcnt(17)
	v_mov_b32_e32 v48, v27
	;; [unrolled: 2-line block ×6, first 2 shown]
	s_waitcnt vmcnt(11)
	v_fmac_f32_e32 v41, v3, v45
	v_fma_f32 v40, v2, v45, -v1
	s_waitcnt lgkmcnt(3)
	v_pk_mul_f32 v[2:3], v[6:7], v[44:45] op_sel_hi:[1,0]
	s_waitcnt vmcnt(10)
	v_fmac_f32_e32 v43, v5, v47
	v_fma_f32 v42, v4, v47, -v42
	v_pk_mul_f32 v[4:5], v[8:9], v[46:47] op_sel_hi:[1,0]
	s_waitcnt lgkmcnt(2)
	v_pk_mul_f32 v[44:45], v[10:11], v[48:49] op_sel_hi:[1,0]
	v_pk_mul_f32 v[46:47], v[12:13], v[50:51] op_sel_hi:[1,0]
	s_waitcnt lgkmcnt(1)
	v_pk_mul_f32 v[48:49], v[14:15], v[52:53] op_sel_hi:[1,0]
	;; [unrolled: 3-line block ×3, first 2 shown]
	v_pk_add_f32 v[40:41], v[40:41], 0 op_sel_hi:[1,0]
	s_waitcnt vmcnt(9)
	v_pk_fma_f32 v[56:57], v[6:7], v[22:23], v[2:3] op_sel:[0,0,1] op_sel_hi:[1,1,0] neg_lo:[0,0,1] neg_hi:[0,0,1]
	v_pk_fma_f32 v[2:3], v[6:7], v[22:23], v[2:3] op_sel:[0,0,1] op_sel_hi:[1,0,0]
	s_waitcnt vmcnt(8)
	v_pk_fma_f32 v[6:7], v[8:9], v[24:25], v[4:5] op_sel:[0,0,1] op_sel_hi:[1,1,0] neg_lo:[0,0,1] neg_hi:[0,0,1]
	v_pk_fma_f32 v[4:5], v[8:9], v[24:25], v[4:5] op_sel:[0,0,1] op_sel_hi:[1,0,0]
	;; [unrolled: 3-line block ×4, first 2 shown]
	v_pk_add_f32 v[32:33], v[40:41], v[42:43]
	v_mov_b32_e32 v57, v3
	v_mov_b32_e32 v7, v5
	v_pk_add_f32 v[2:3], v[32:33], v[56:57]
	v_pk_fma_f32 v[22:23], v[12:13], v[28:29], v[46:47] op_sel:[0,0,1] op_sel_hi:[1,1,0] neg_lo:[0,0,1] neg_hi:[0,0,1]
	v_pk_fma_f32 v[12:13], v[12:13], v[28:29], v[46:47] op_sel:[0,0,1] op_sel_hi:[1,0,0]
	v_mov_b32_e32 v9, v11
	v_pk_add_f32 v[2:3], v[2:3], v[6:7]
	v_pk_fma_f32 v[24:25], v[14:15], v[30:31], v[48:49] op_sel:[0,0,1] op_sel_hi:[1,1,0] neg_lo:[0,0,1] neg_hi:[0,0,1]
	v_pk_fma_f32 v[14:15], v[14:15], v[30:31], v[48:49] op_sel:[0,0,1] op_sel_hi:[1,0,0]
	v_mov_b32_e32 v23, v13
	v_pk_add_f32 v[2:3], v[2:3], v[8:9]
	v_mov_b32_e32 v58, v37
	v_mov_b32_e32 v25, v15
	v_pk_add_f32 v[2:3], v[2:3], v[22:23]
	v_pk_mul_f32 v[54:55], v[20:21], v[58:59] op_sel_hi:[1,0]
	v_pk_fma_f32 v[28:29], v[18:19], v[34:35], v[52:53] op_sel:[0,0,1] op_sel_hi:[1,1,0] neg_lo:[0,0,1] neg_hi:[0,0,1]
	v_pk_fma_f32 v[18:19], v[18:19], v[34:35], v[52:53] op_sel:[0,0,1] op_sel_hi:[1,0,0]
	v_mov_b32_e32 v27, v17
	v_pk_add_f32 v[2:3], v[2:3], v[24:25]
	v_pk_fma_f32 v[30:31], v[20:21], v[36:37], v[54:55] op_sel:[0,0,1] op_sel_hi:[1,1,0] neg_lo:[0,0,1] neg_hi:[0,0,1]
	v_pk_fma_f32 v[20:21], v[20:21], v[36:37], v[54:55] op_sel:[0,0,1] op_sel_hi:[1,0,0]
	v_mov_b32_e32 v29, v19
	v_pk_add_f32 v[2:3], v[2:3], v[26:27]
	v_mov_b32_e32 v31, v21
	v_pk_add_f32 v[2:3], v[2:3], v[28:29]
	v_pk_add_f32 v[2:3], v[2:3], v[30:31]
	s_waitcnt vmcnt(0)
	v_pk_add_f32 v[2:3], v[38:39], v[2:3] neg_lo:[0,1] neg_hi:[0,1]
	buffer_store_dword v2, off, s[0:3], 0 offset:320
	buffer_store_dword v3, off, s[0:3], 0 offset:324
	s_and_saveexec_b64 s[4:5], vcc
	s_cbranch_execz .LBB114_241
; %bb.240:
	buffer_load_dword v2, off, s[0:3], 0 offset:312
	buffer_load_dword v3, off, s[0:3], 0 offset:316
	v_mov_b32_e32 v1, 0
	buffer_store_dword v1, off, s[0:3], 0 offset:312
	buffer_store_dword v1, off, s[0:3], 0 offset:316
	s_waitcnt vmcnt(2)
	ds_write_b64 v121, v[2:3]
.LBB114_241:
	s_or_b64 exec, exec, s[4:5]
	s_waitcnt lgkmcnt(0)
	; wave barrier
	s_waitcnt lgkmcnt(0)
	buffer_load_dword v42, off, s[0:3], 0 offset:324
	buffer_load_dword v44, off, s[0:3], 0 offset:332
	;; [unrolled: 1-line block ×24, first 2 shown]
	v_mov_b32_e32 v1, 0
	ds_read_b128 v[2:5], v1 offset:736
	ds_read_b128 v[6:9], v1 offset:752
	;; [unrolled: 1-line block ×5, first 2 shown]
	ds_read_b64 v[40:41], v1 offset:816
	v_cmp_lt_u32_e32 vcc, 38, v0
	s_waitcnt vmcnt(23) lgkmcnt(5)
	v_mul_f32_e32 v55, v2, v42
	v_mul_f32_e32 v42, v3, v42
	s_waitcnt vmcnt(22)
	v_mul_f32_e32 v43, v4, v44
	s_waitcnt vmcnt(21) lgkmcnt(4)
	v_mul_f32_e32 v45, v6, v46
	v_mul_f32_e32 v44, v5, v44
	;; [unrolled: 1-line block ×3, first 2 shown]
	s_waitcnt vmcnt(20)
	v_mov_b32_e32 v46, v23
	s_waitcnt vmcnt(19)
	v_mov_b32_e32 v48, v25
	;; [unrolled: 2-line block ×5, first 2 shown]
	s_waitcnt vmcnt(12)
	v_fmac_f32_e32 v55, v3, v47
	v_fma_f32 v57, v2, v47, -v42
	v_mov_b32_e32 v56, v33
	s_waitcnt vmcnt(11)
	v_fmac_f32_e32 v43, v5, v49
	s_waitcnt vmcnt(10)
	v_fmac_f32_e32 v45, v7, v51
	v_fma_f32 v42, v4, v49, -v44
	v_fma_f32 v44, v6, v51, -v53
	v_pk_mul_f32 v[2:3], v[8:9], v[46:47] op_sel_hi:[1,0]
	s_waitcnt lgkmcnt(3)
	v_pk_mul_f32 v[4:5], v[10:11], v[48:49] op_sel_hi:[1,0]
	v_pk_mul_f32 v[6:7], v[12:13], v[50:51] op_sel_hi:[1,0]
	s_waitcnt lgkmcnt(2)
	v_pk_mul_f32 v[46:47], v[14:15], v[52:53] op_sel_hi:[1,0]
	v_pk_mul_f32 v[48:49], v[16:17], v[54:55] op_sel_hi:[1,0]
	v_add_f32_e32 v55, 0, v55
	v_add_f32_e32 v54, 0, v57
	s_waitcnt lgkmcnt(1)
	v_pk_mul_f32 v[50:51], v[18:19], v[56:57] op_sel_hi:[1,0]
	s_waitcnt vmcnt(9)
	v_pk_fma_f32 v[56:57], v[8:9], v[22:23], v[2:3] op_sel:[0,0,1] op_sel_hi:[1,1,0] neg_lo:[0,0,1] neg_hi:[0,0,1]
	v_pk_fma_f32 v[2:3], v[8:9], v[22:23], v[2:3] op_sel:[0,0,1] op_sel_hi:[1,0,0]
	s_waitcnt vmcnt(8)
	v_pk_fma_f32 v[8:9], v[10:11], v[24:25], v[4:5] op_sel:[0,0,1] op_sel_hi:[1,1,0] neg_lo:[0,0,1] neg_hi:[0,0,1]
	v_pk_fma_f32 v[4:5], v[10:11], v[24:25], v[4:5] op_sel:[0,0,1] op_sel_hi:[1,0,0]
	;; [unrolled: 3-line block ×4, first 2 shown]
	v_pk_add_f32 v[28:29], v[54:55], v[42:43]
	v_mov_b32_e32 v57, v3
	v_pk_add_f32 v[2:3], v[28:29], v[44:45]
	v_mov_b32_e32 v9, v5
	;; [unrolled: 2-line block ×4, first 2 shown]
	s_waitcnt vmcnt(2)
	v_pk_fma_f32 v[22:23], v[16:17], v[30:31], v[48:49] op_sel:[0,0,1] op_sel_hi:[1,1,0] neg_lo:[0,0,1] neg_hi:[0,0,1]
	v_pk_fma_f32 v[16:17], v[16:17], v[30:31], v[48:49] op_sel:[0,0,1] op_sel_hi:[1,0,0]
	v_mov_b32_e32 v13, v15
	v_pk_add_f32 v[2:3], v[2:3], v[10:11]
	v_mov_b32_e32 v60, v37
	v_pk_mul_f32 v[52:53], v[20:21], v[58:59] op_sel_hi:[1,0]
	v_pk_fma_f32 v[24:25], v[18:19], v[32:33], v[50:51] op_sel:[0,0,1] op_sel_hi:[1,1,0] neg_lo:[0,0,1] neg_hi:[0,0,1]
	v_pk_fma_f32 v[18:19], v[18:19], v[32:33], v[50:51] op_sel:[0,0,1] op_sel_hi:[1,0,0]
	v_mov_b32_e32 v23, v17
	v_pk_add_f32 v[2:3], v[2:3], v[12:13]
	v_pk_fma_f32 v[26:27], v[20:21], v[34:35], v[52:53] op_sel:[0,0,1] op_sel_hi:[1,1,0] neg_lo:[0,0,1] neg_hi:[0,0,1]
	v_pk_fma_f32 v[20:21], v[20:21], v[34:35], v[52:53] op_sel:[0,0,1] op_sel_hi:[1,0,0]
	v_mov_b32_e32 v25, v19
	v_pk_add_f32 v[2:3], v[2:3], v[22:23]
	s_waitcnt lgkmcnt(0)
	v_pk_mul_f32 v[4:5], v[40:41], v[60:61] op_sel_hi:[1,0]
	v_mov_b32_e32 v27, v21
	v_pk_add_f32 v[2:3], v[2:3], v[24:25]
	v_pk_fma_f32 v[6:7], v[40:41], v[36:37], v[4:5] op_sel:[0,0,1] op_sel_hi:[1,1,0] neg_lo:[0,0,1] neg_hi:[0,0,1]
	v_pk_fma_f32 v[4:5], v[40:41], v[36:37], v[4:5] op_sel:[0,0,1] op_sel_hi:[1,0,0]
	v_pk_add_f32 v[2:3], v[2:3], v[26:27]
	v_mov_b32_e32 v7, v5
	v_pk_add_f32 v[2:3], v[2:3], v[6:7]
	s_waitcnt vmcnt(0)
	v_pk_add_f32 v[2:3], v[38:39], v[2:3] neg_lo:[0,1] neg_hi:[0,1]
	buffer_store_dword v3, off, s[0:3], 0 offset:316
	buffer_store_dword v2, off, s[0:3], 0 offset:312
	s_and_saveexec_b64 s[4:5], vcc
	s_cbranch_execz .LBB114_243
; %bb.242:
	buffer_load_dword v2, off, s[0:3], 0 offset:304
	buffer_load_dword v3, off, s[0:3], 0 offset:308
	s_waitcnt vmcnt(0)
	ds_write_b64 v121, v[2:3]
	buffer_store_dword v1, off, s[0:3], 0 offset:304
	buffer_store_dword v1, off, s[0:3], 0 offset:308
.LBB114_243:
	s_or_b64 exec, exec, s[4:5]
	s_waitcnt lgkmcnt(0)
	; wave barrier
	s_waitcnt lgkmcnt(0)
	buffer_load_dword v44, off, s[0:3], 0 offset:316
	buffer_load_dword v46, off, s[0:3], 0 offset:324
	buffer_load_dword v48, off, s[0:3], 0 offset:332
	buffer_load_dword v49, off, s[0:3], 0 offset:340
	buffer_load_dword v27, off, s[0:3], 0 offset:348
	buffer_load_dword v29, off, s[0:3], 0 offset:356
	buffer_load_dword v31, off, s[0:3], 0 offset:364
	buffer_load_dword v33, off, s[0:3], 0 offset:372
	buffer_load_dword v35, off, s[0:3], 0 offset:380
	buffer_load_dword v37, off, s[0:3], 0 offset:388
	buffer_load_dword v51, off, s[0:3], 0 offset:312
	buffer_load_dword v53, off, s[0:3], 0 offset:320
	buffer_load_dword v55, off, s[0:3], 0 offset:328
	buffer_load_dword v57, off, s[0:3], 0 offset:336
	buffer_load_dword v26, off, s[0:3], 0 offset:344
	buffer_load_dword v28, off, s[0:3], 0 offset:352
	buffer_load_dword v30, off, s[0:3], 0 offset:360
	buffer_load_dword v38, off, s[0:3], 0 offset:392
	buffer_load_dword v36, off, s[0:3], 0 offset:384
	buffer_load_dword v34, off, s[0:3], 0 offset:376
	buffer_load_dword v32, off, s[0:3], 0 offset:368
	buffer_load_dword v39, off, s[0:3], 0 offset:396
	buffer_load_dword v41, off, s[0:3], 0 offset:404
	buffer_load_dword v40, off, s[0:3], 0 offset:400
	buffer_load_dword v42, off, s[0:3], 0 offset:304
	buffer_load_dword v43, off, s[0:3], 0 offset:308
	ds_read2_b64 v[2:5], v1 offset0:91 offset1:92
	ds_read2_b64 v[6:9], v1 offset0:93 offset1:94
	;; [unrolled: 1-line block ×6, first 2 shown]
	v_cmp_lt_u32_e32 vcc, 37, v0
	s_waitcnt vmcnt(25) lgkmcnt(5)
	v_mul_f32_e32 v1, v2, v44
	v_mul_f32_e32 v44, v3, v44
	s_waitcnt vmcnt(24)
	v_mul_f32_e32 v59, v4, v46
	s_waitcnt vmcnt(23) lgkmcnt(4)
	v_mul_f32_e32 v45, v6, v48
	s_waitcnt vmcnt(22)
	v_mul_f32_e32 v47, v8, v49
	v_mul_f32_e32 v46, v5, v46
	;; [unrolled: 1-line block ×4, first 2 shown]
	s_waitcnt vmcnt(21)
	v_mov_b32_e32 v48, v27
	s_waitcnt vmcnt(20)
	v_mov_b32_e32 v50, v29
	;; [unrolled: 2-line block ×3, first 2 shown]
	s_waitcnt vmcnt(15)
	v_fmac_f32_e32 v1, v3, v51
	v_fma_f32 v61, v2, v51, -v44
	v_mov_b32_e32 v52, v31
	s_waitcnt vmcnt(14)
	v_fmac_f32_e32 v59, v5, v53
	s_waitcnt vmcnt(12)
	v_fmac_f32_e32 v47, v9, v57
	v_fma_f32 v62, v4, v53, -v46
	v_fma_f32 v46, v8, v57, -v49
	s_waitcnt lgkmcnt(3)
	v_pk_mul_f32 v[2:3], v[10:11], v[48:49] op_sel_hi:[1,0]
	v_pk_mul_f32 v[4:5], v[12:13], v[50:51] op_sel_hi:[1,0]
	s_waitcnt lgkmcnt(2)
	v_pk_mul_f32 v[8:9], v[16:17], v[54:55] op_sel_hi:[1,0]
	v_add_f32_e32 v1, 0, v1
	v_add_f32_e32 v54, 0, v61
	v_fmac_f32_e32 v45, v7, v55
	v_fma_f32 v44, v6, v55, -v60
	v_pk_mul_f32 v[6:7], v[14:15], v[52:53] op_sel_hi:[1,0]
	s_waitcnt vmcnt(11)
	v_pk_fma_f32 v[52:53], v[10:11], v[26:27], v[2:3] op_sel:[0,0,1] op_sel_hi:[1,1,0] neg_lo:[0,0,1] neg_hi:[0,0,1]
	v_pk_fma_f32 v[2:3], v[10:11], v[26:27], v[2:3] op_sel:[0,0,1] op_sel_hi:[1,0,0]
	s_waitcnt vmcnt(10)
	v_pk_fma_f32 v[10:11], v[12:13], v[28:29], v[4:5] op_sel:[0,0,1] op_sel_hi:[1,1,0] neg_lo:[0,0,1] neg_hi:[0,0,1]
	v_pk_fma_f32 v[4:5], v[12:13], v[28:29], v[4:5] op_sel:[0,0,1] op_sel_hi:[1,0,0]
	v_add_f32_e32 v29, v1, v59
	v_add_f32_e32 v28, v54, v62
	v_mov_b32_e32 v53, v3
	v_pk_add_f32 v[2:3], v[28:29], v[44:45]
	v_pk_add_f32 v[2:3], v[2:3], v[46:47]
	v_mov_b32_e32 v56, v35
	s_waitcnt vmcnt(9)
	v_pk_fma_f32 v[12:13], v[14:15], v[30:31], v[6:7] op_sel:[0,0,1] op_sel_hi:[1,1,0] neg_lo:[0,0,1] neg_hi:[0,0,1]
	v_pk_fma_f32 v[6:7], v[14:15], v[30:31], v[6:7] op_sel:[0,0,1] op_sel_hi:[1,0,0]
	v_mov_b32_e32 v11, v5
	v_pk_add_f32 v[2:3], v[2:3], v[52:53]
	v_mov_b32_e32 v58, v37
	s_waitcnt lgkmcnt(1)
	v_pk_mul_f32 v[48:49], v[18:19], v[56:57] op_sel_hi:[1,0]
	s_waitcnt vmcnt(5)
	v_pk_fma_f32 v[14:15], v[16:17], v[32:33], v[8:9] op_sel:[0,0,1] op_sel_hi:[1,1,0] neg_lo:[0,0,1] neg_hi:[0,0,1]
	v_pk_fma_f32 v[8:9], v[16:17], v[32:33], v[8:9] op_sel:[0,0,1] op_sel_hi:[1,0,0]
	v_mov_b32_e32 v13, v7
	v_pk_add_f32 v[2:3], v[2:3], v[10:11]
	s_waitcnt vmcnt(4)
	v_mov_b32_e32 v4, v39
	v_pk_mul_f32 v[50:51], v[20:21], v[58:59] op_sel_hi:[1,0]
	v_pk_fma_f32 v[16:17], v[18:19], v[34:35], v[48:49] op_sel:[0,0,1] op_sel_hi:[1,1,0] neg_lo:[0,0,1] neg_hi:[0,0,1]
	v_pk_fma_f32 v[18:19], v[18:19], v[34:35], v[48:49] op_sel:[0,0,1] op_sel_hi:[1,0,0]
	v_mov_b32_e32 v15, v9
	v_pk_add_f32 v[2:3], v[2:3], v[12:13]
	s_waitcnt lgkmcnt(0)
	v_pk_mul_f32 v[4:5], v[22:23], v[4:5] op_sel_hi:[1,0]
	v_pk_fma_f32 v[26:27], v[20:21], v[36:37], v[50:51] op_sel:[0,0,1] op_sel_hi:[1,1,0] neg_lo:[0,0,1] neg_hi:[0,0,1]
	v_pk_fma_f32 v[20:21], v[20:21], v[36:37], v[50:51] op_sel:[0,0,1] op_sel_hi:[1,0,0]
	v_mov_b32_e32 v17, v19
	v_pk_add_f32 v[2:3], v[2:3], v[14:15]
	v_pk_fma_f32 v[6:7], v[22:23], v[38:39], v[4:5] op_sel:[0,0,1] op_sel_hi:[1,1,0] neg_lo:[0,0,1] neg_hi:[0,0,1]
	v_pk_fma_f32 v[4:5], v[22:23], v[38:39], v[4:5] op_sel:[0,0,1] op_sel_hi:[1,0,0]
	v_mov_b32_e32 v27, v21
	v_pk_add_f32 v[2:3], v[2:3], v[16:17]
	s_waitcnt vmcnt(3)
	v_mov_b32_e32 v4, v41
	v_pk_add_f32 v[2:3], v[2:3], v[26:27]
	v_mov_b32_e32 v7, v5
	v_pk_mul_f32 v[4:5], v[24:25], v[4:5] op_sel_hi:[1,0]
	v_pk_add_f32 v[2:3], v[2:3], v[6:7]
	s_waitcnt vmcnt(2)
	v_pk_fma_f32 v[6:7], v[24:25], v[40:41], v[4:5] op_sel:[0,0,1] op_sel_hi:[1,1,0] neg_lo:[0,0,1] neg_hi:[0,0,1]
	v_pk_fma_f32 v[4:5], v[24:25], v[40:41], v[4:5] op_sel:[0,0,1] op_sel_hi:[1,0,0]
	v_mov_b32_e32 v7, v5
	v_pk_add_f32 v[2:3], v[2:3], v[6:7]
	s_waitcnt vmcnt(0)
	v_pk_add_f32 v[2:3], v[42:43], v[2:3] neg_lo:[0,1] neg_hi:[0,1]
	buffer_store_dword v3, off, s[0:3], 0 offset:308
	buffer_store_dword v2, off, s[0:3], 0 offset:304
	s_and_saveexec_b64 s[4:5], vcc
	s_cbranch_execz .LBB114_245
; %bb.244:
	buffer_load_dword v2, off, s[0:3], 0 offset:296
	buffer_load_dword v3, off, s[0:3], 0 offset:300
	v_mov_b32_e32 v1, 0
	buffer_store_dword v1, off, s[0:3], 0 offset:296
	buffer_store_dword v1, off, s[0:3], 0 offset:300
	s_waitcnt vmcnt(2)
	ds_write_b64 v121, v[2:3]
.LBB114_245:
	s_or_b64 exec, exec, s[4:5]
	v_mov_b32_e32 v1, 0
	s_waitcnt lgkmcnt(0)
	; wave barrier
	s_waitcnt lgkmcnt(0)
	ds_read_b128 v[4:7], v1 offset:720
	ds_read_b128 v[8:11], v1 offset:736
	;; [unrolled: 1-line block ×4, first 2 shown]
	buffer_load_dword v2, off, s[0:3], 0 offset:296
	buffer_load_dword v3, off, s[0:3], 0 offset:300
	;; [unrolled: 1-line block ×28, first 2 shown]
	v_cmp_lt_u32_e32 vcc, 36, v0
	s_waitcnt vmcnt(24) lgkmcnt(3)
	v_mul_f32_e32 v25, v4, v26
	v_fmac_f32_e32 v25, v5, v24
	v_mul_f32_e32 v5, v5, v26
	s_waitcnt vmcnt(22)
	v_mul_f32_e32 v27, v6, v42
	v_fma_f32 v4, v4, v24, -v5
	v_mul_f32_e32 v5, v7, v42
	v_add_f32_e32 v25, 0, v25
	v_fmac_f32_e32 v27, v7, v28
	v_add_f32_e32 v4, 0, v4
	v_fma_f32 v5, v6, v28, -v5
	v_add_f32_e32 v25, v25, v27
	s_waitcnt vmcnt(20) lgkmcnt(2)
	v_mul_f32_e32 v27, v8, v44
	v_add_f32_e32 v4, v4, v5
	v_mul_f32_e32 v5, v9, v44
	v_fmac_f32_e32 v27, v9, v43
	v_fma_f32 v5, v8, v43, -v5
	v_add_f32_e32 v25, v25, v27
	s_waitcnt vmcnt(18)
	v_mul_f32_e32 v27, v10, v46
	v_add_f32_e32 v24, v4, v5
	v_mul_f32_e32 v4, v11, v46
	v_fmac_f32_e32 v27, v11, v45
	v_fma_f32 v26, v10, v45, -v4
	s_waitcnt vmcnt(16) lgkmcnt(1)
	v_mul_f32_e32 v29, v12, v48
	v_mul_f32_e32 v4, v13, v48
	v_pk_add_f32 v[24:25], v[24:25], v[26:27]
	s_waitcnt vmcnt(14)
	v_mov_b32_e32 v26, v21
	v_fmac_f32_e32 v29, v13, v47
	v_fma_f32 v28, v12, v47, -v4
	v_pk_mul_f32 v[26:27], v[14:15], v[26:27] op_sel_hi:[1,0]
	v_pk_add_f32 v[24:25], v[24:25], v[28:29]
	v_pk_fma_f32 v[28:29], v[14:15], v[20:21], v[26:27] op_sel:[0,0,1] op_sel_hi:[1,1,0] neg_lo:[0,0,1] neg_hi:[0,0,1]
	v_pk_fma_f32 v[14:15], v[14:15], v[20:21], v[26:27] op_sel:[0,0,1] op_sel_hi:[1,0,0]
	s_waitcnt vmcnt(12)
	v_mov_b32_e32 v20, v23
	v_mov_b32_e32 v29, v15
	s_waitcnt lgkmcnt(0)
	v_pk_mul_f32 v[20:21], v[16:17], v[20:21] op_sel_hi:[1,0]
	v_pk_add_f32 v[14:15], v[24:25], v[28:29]
	v_pk_fma_f32 v[24:25], v[16:17], v[22:23], v[20:21] op_sel:[0,0,1] op_sel_hi:[1,1,0] neg_lo:[0,0,1] neg_hi:[0,0,1]
	v_pk_fma_f32 v[16:17], v[16:17], v[22:23], v[20:21] op_sel:[0,0,1] op_sel_hi:[1,0,0]
	s_waitcnt vmcnt(11)
	v_mov_b32_e32 v16, v31
	ds_read_b128 v[4:7], v1 offset:784
	ds_read_b128 v[8:11], v1 offset:800
	ds_read_b64 v[12:13], v1 offset:816
	v_mov_b32_e32 v25, v17
	v_pk_mul_f32 v[16:17], v[18:19], v[16:17] op_sel_hi:[1,0]
	s_waitcnt vmcnt(10)
	v_pk_fma_f32 v[20:21], v[18:19], v[30:31], v[16:17] op_sel:[0,0,1] op_sel_hi:[1,1,0] neg_lo:[0,0,1] neg_hi:[0,0,1]
	v_pk_fma_f32 v[16:17], v[18:19], v[30:31], v[16:17] op_sel:[0,0,1] op_sel_hi:[1,0,0]
	s_waitcnt vmcnt(9)
	v_mov_b32_e32 v16, v33
	v_mov_b32_e32 v21, v17
	s_waitcnt lgkmcnt(2)
	v_pk_mul_f32 v[16:17], v[4:5], v[16:17] op_sel_hi:[1,0]
	v_pk_add_f32 v[14:15], v[14:15], v[24:25]
	s_waitcnt vmcnt(8)
	v_pk_fma_f32 v[18:19], v[4:5], v[32:33], v[16:17] op_sel:[0,0,1] op_sel_hi:[1,1,0] neg_lo:[0,0,1] neg_hi:[0,0,1]
	v_pk_fma_f32 v[4:5], v[4:5], v[32:33], v[16:17] op_sel:[0,0,1] op_sel_hi:[1,0,0]
	v_pk_add_f32 v[14:15], v[14:15], v[20:21]
	v_mov_b32_e32 v19, v5
	v_pk_add_f32 v[4:5], v[14:15], v[18:19]
	s_waitcnt vmcnt(7)
	v_mov_b32_e32 v14, v35
	v_pk_mul_f32 v[14:15], v[6:7], v[14:15] op_sel_hi:[1,0]
	s_waitcnt vmcnt(6)
	v_pk_fma_f32 v[16:17], v[6:7], v[34:35], v[14:15] op_sel:[0,0,1] op_sel_hi:[1,1,0] neg_lo:[0,0,1] neg_hi:[0,0,1]
	v_pk_fma_f32 v[6:7], v[6:7], v[34:35], v[14:15] op_sel:[0,0,1] op_sel_hi:[1,0,0]
	s_waitcnt vmcnt(5)
	v_mov_b32_e32 v6, v37
	v_mov_b32_e32 v17, v7
	s_waitcnt lgkmcnt(1)
	v_pk_mul_f32 v[6:7], v[8:9], v[6:7] op_sel_hi:[1,0]
	s_waitcnt vmcnt(4)
	v_pk_fma_f32 v[14:15], v[8:9], v[36:37], v[6:7] op_sel:[0,0,1] op_sel_hi:[1,1,0] neg_lo:[0,0,1] neg_hi:[0,0,1]
	v_pk_fma_f32 v[6:7], v[8:9], v[36:37], v[6:7] op_sel:[0,0,1] op_sel_hi:[1,0,0]
	s_waitcnt vmcnt(3)
	v_mov_b32_e32 v6, v39
	v_mov_b32_e32 v15, v7
	v_pk_mul_f32 v[6:7], v[10:11], v[6:7] op_sel_hi:[1,0]
	s_waitcnt vmcnt(2)
	v_pk_fma_f32 v[8:9], v[10:11], v[38:39], v[6:7] op_sel:[0,0,1] op_sel_hi:[1,1,0] neg_lo:[0,0,1] neg_hi:[0,0,1]
	v_pk_fma_f32 v[6:7], v[10:11], v[38:39], v[6:7] op_sel:[0,0,1] op_sel_hi:[1,0,0]
	v_pk_add_f32 v[4:5], v[4:5], v[16:17]
	s_waitcnt vmcnt(1)
	v_mov_b32_e32 v6, v41
	v_pk_add_f32 v[4:5], v[4:5], v[14:15]
	v_mov_b32_e32 v9, v7
	s_waitcnt lgkmcnt(0)
	v_pk_mul_f32 v[6:7], v[12:13], v[6:7] op_sel_hi:[1,0]
	v_pk_add_f32 v[4:5], v[4:5], v[8:9]
	s_waitcnt vmcnt(0)
	v_pk_fma_f32 v[8:9], v[12:13], v[40:41], v[6:7] op_sel:[0,0,1] op_sel_hi:[1,1,0] neg_lo:[0,0,1] neg_hi:[0,0,1]
	v_pk_fma_f32 v[6:7], v[12:13], v[40:41], v[6:7] op_sel:[0,0,1] op_sel_hi:[1,0,0]
	v_mov_b32_e32 v9, v7
	v_pk_add_f32 v[4:5], v[4:5], v[8:9]
	v_pk_add_f32 v[2:3], v[2:3], v[4:5] neg_lo:[0,1] neg_hi:[0,1]
	buffer_store_dword v3, off, s[0:3], 0 offset:300
	buffer_store_dword v2, off, s[0:3], 0 offset:296
	s_and_saveexec_b64 s[4:5], vcc
	s_cbranch_execz .LBB114_247
; %bb.246:
	buffer_load_dword v2, off, s[0:3], 0 offset:288
	buffer_load_dword v3, off, s[0:3], 0 offset:292
	s_waitcnt vmcnt(0)
	ds_write_b64 v121, v[2:3]
	buffer_store_dword v1, off, s[0:3], 0 offset:288
	buffer_store_dword v1, off, s[0:3], 0 offset:292
.LBB114_247:
	s_or_b64 exec, exec, s[4:5]
	s_waitcnt lgkmcnt(0)
	; wave barrier
	s_waitcnt lgkmcnt(0)
	ds_read2_b64 v[4:7], v1 offset0:89 offset1:90
	buffer_load_dword v2, off, s[0:3], 0 offset:288
	buffer_load_dword v3, off, s[0:3], 0 offset:292
	;; [unrolled: 1-line block ×16, first 2 shown]
	v_cmp_lt_u32_e32 vcc, 35, v0
	ds_read2_b64 v[16:19], v1 offset0:95 offset1:96
	s_waitcnt vmcnt(12) lgkmcnt(1)
	v_mul_f32_e32 v8, v4, v24
	v_fmac_f32_e32 v8, v5, v22
	s_waitcnt vmcnt(10)
	v_mul_f32_e32 v9, v6, v42
	v_add_f32_e32 v8, 0, v8
	v_fmac_f32_e32 v9, v7, v26
	v_add_f32_e32 v12, v8, v9
	ds_read2_b64 v[8:11], v1 offset0:91 offset1:92
	v_mul_f32_e32 v5, v5, v24
	v_fma_f32 v4, v4, v22, -v5
	v_mul_f32_e32 v5, v7, v42
	v_add_f32_e32 v4, 0, v4
	s_waitcnt vmcnt(8) lgkmcnt(0)
	v_mul_f32_e32 v13, v8, v44
	v_fmac_f32_e32 v13, v9, v43
	v_add_f32_e32 v12, v12, v13
	s_waitcnt vmcnt(6)
	v_mul_f32_e32 v13, v10, v46
	v_fmac_f32_e32 v13, v11, v45
	v_add_f32_e32 v23, v12, v13
	ds_read2_b64 v[12:15], v1 offset0:93 offset1:94
	buffer_load_dword v29, off, s[0:3], 0 offset:356
	buffer_load_dword v28, off, s[0:3], 0 offset:352
	;; [unrolled: 1-line block ×14, first 2 shown]
	v_fma_f32 v5, v6, v26, -v5
	v_add_f32_e32 v4, v4, v5
	v_mul_f32_e32 v5, v9, v44
	v_fma_f32 v5, v8, v43, -v5
	v_add_f32_e32 v4, v4, v5
	v_mul_f32_e32 v5, v11, v46
	v_fma_f32 v5, v10, v45, -v5
	s_waitcnt vmcnt(18) lgkmcnt(0)
	v_mul_f32_e32 v25, v12, v48
	v_add_f32_e32 v22, v4, v5
	v_mul_f32_e32 v4, v13, v48
	v_fmac_f32_e32 v25, v13, v47
	v_fma_f32 v24, v12, v47, -v4
	s_waitcnt vmcnt(16)
	v_mul_f32_e32 v27, v14, v50
	v_mul_f32_e32 v4, v15, v50
	v_pk_add_f32 v[22:23], v[22:23], v[24:25]
	s_waitcnt vmcnt(14)
	v_mov_b32_e32 v24, v21
	v_fmac_f32_e32 v27, v15, v49
	v_fma_f32 v26, v14, v49, -v4
	v_pk_mul_f32 v[24:25], v[16:17], v[24:25] op_sel_hi:[1,0]
	v_pk_add_f32 v[22:23], v[22:23], v[26:27]
	v_pk_fma_f32 v[26:27], v[16:17], v[20:21], v[24:25] op_sel:[0,0,1] op_sel_hi:[1,1,0] neg_lo:[0,0,1] neg_hi:[0,0,1]
	v_pk_fma_f32 v[16:17], v[16:17], v[20:21], v[24:25] op_sel:[0,0,1] op_sel_hi:[1,0,0]
	ds_read2_b64 v[4:7], v1 offset0:97 offset1:98
	ds_read2_b64 v[8:11], v1 offset0:99 offset1:100
	;; [unrolled: 1-line block ×3, first 2 shown]
	v_mov_b32_e32 v27, v17
	v_pk_add_f32 v[16:17], v[22:23], v[26:27]
	s_waitcnt vmcnt(13)
	v_mov_b32_e32 v20, v29
	v_pk_mul_f32 v[20:21], v[18:19], v[20:21] op_sel_hi:[1,0]
	s_waitcnt vmcnt(12)
	v_pk_fma_f32 v[22:23], v[18:19], v[28:29], v[20:21] op_sel:[0,0,1] op_sel_hi:[1,1,0] neg_lo:[0,0,1] neg_hi:[0,0,1]
	v_pk_fma_f32 v[18:19], v[18:19], v[28:29], v[20:21] op_sel:[0,0,1] op_sel_hi:[1,0,0]
	s_waitcnt vmcnt(11)
	v_mov_b32_e32 v18, v31
	v_mov_b32_e32 v23, v19
	s_waitcnt lgkmcnt(2)
	v_pk_mul_f32 v[18:19], v[4:5], v[18:19] op_sel_hi:[1,0]
	s_waitcnt vmcnt(10)
	v_pk_fma_f32 v[20:21], v[4:5], v[30:31], v[18:19] op_sel:[0,0,1] op_sel_hi:[1,1,0] neg_lo:[0,0,1] neg_hi:[0,0,1]
	v_pk_fma_f32 v[4:5], v[4:5], v[30:31], v[18:19] op_sel:[0,0,1] op_sel_hi:[1,0,0]
	v_pk_add_f32 v[16:17], v[16:17], v[22:23]
	v_mov_b32_e32 v21, v5
	v_pk_add_f32 v[4:5], v[16:17], v[20:21]
	s_waitcnt vmcnt(9)
	v_mov_b32_e32 v16, v33
	v_pk_mul_f32 v[16:17], v[6:7], v[16:17] op_sel_hi:[1,0]
	s_waitcnt vmcnt(8)
	v_pk_fma_f32 v[18:19], v[6:7], v[32:33], v[16:17] op_sel:[0,0,1] op_sel_hi:[1,1,0] neg_lo:[0,0,1] neg_hi:[0,0,1]
	v_pk_fma_f32 v[6:7], v[6:7], v[32:33], v[16:17] op_sel:[0,0,1] op_sel_hi:[1,0,0]
	s_waitcnt vmcnt(7)
	v_mov_b32_e32 v6, v35
	v_mov_b32_e32 v19, v7
	s_waitcnt lgkmcnt(1)
	v_pk_mul_f32 v[6:7], v[8:9], v[6:7] op_sel_hi:[1,0]
	s_waitcnt vmcnt(6)
	v_pk_fma_f32 v[16:17], v[8:9], v[34:35], v[6:7] op_sel:[0,0,1] op_sel_hi:[1,1,0] neg_lo:[0,0,1] neg_hi:[0,0,1]
	v_pk_fma_f32 v[6:7], v[8:9], v[34:35], v[6:7] op_sel:[0,0,1] op_sel_hi:[1,0,0]
	s_waitcnt vmcnt(5)
	v_mov_b32_e32 v6, v37
	v_mov_b32_e32 v17, v7
	v_pk_mul_f32 v[6:7], v[10:11], v[6:7] op_sel_hi:[1,0]
	s_waitcnt vmcnt(4)
	v_pk_fma_f32 v[8:9], v[10:11], v[36:37], v[6:7] op_sel:[0,0,1] op_sel_hi:[1,1,0] neg_lo:[0,0,1] neg_hi:[0,0,1]
	v_pk_fma_f32 v[6:7], v[10:11], v[36:37], v[6:7] op_sel:[0,0,1] op_sel_hi:[1,0,0]
	v_pk_add_f32 v[4:5], v[4:5], v[18:19]
	s_waitcnt vmcnt(3)
	v_mov_b32_e32 v6, v39
	v_pk_add_f32 v[4:5], v[4:5], v[16:17]
	v_mov_b32_e32 v9, v7
	s_waitcnt lgkmcnt(0)
	v_pk_mul_f32 v[6:7], v[12:13], v[6:7] op_sel_hi:[1,0]
	v_pk_add_f32 v[4:5], v[4:5], v[8:9]
	s_waitcnt vmcnt(2)
	v_pk_fma_f32 v[8:9], v[12:13], v[38:39], v[6:7] op_sel:[0,0,1] op_sel_hi:[1,1,0] neg_lo:[0,0,1] neg_hi:[0,0,1]
	v_pk_fma_f32 v[6:7], v[12:13], v[38:39], v[6:7] op_sel:[0,0,1] op_sel_hi:[1,0,0]
	s_waitcnt vmcnt(1)
	v_mov_b32_e32 v6, v41
	v_mov_b32_e32 v9, v7
	v_pk_mul_f32 v[6:7], v[14:15], v[6:7] op_sel_hi:[1,0]
	v_pk_add_f32 v[4:5], v[4:5], v[8:9]
	s_waitcnt vmcnt(0)
	v_pk_fma_f32 v[8:9], v[14:15], v[40:41], v[6:7] op_sel:[0,0,1] op_sel_hi:[1,1,0] neg_lo:[0,0,1] neg_hi:[0,0,1]
	v_pk_fma_f32 v[6:7], v[14:15], v[40:41], v[6:7] op_sel:[0,0,1] op_sel_hi:[1,0,0]
	v_mov_b32_e32 v9, v7
	v_pk_add_f32 v[4:5], v[4:5], v[8:9]
	v_pk_add_f32 v[2:3], v[2:3], v[4:5] neg_lo:[0,1] neg_hi:[0,1]
	buffer_store_dword v3, off, s[0:3], 0 offset:292
	buffer_store_dword v2, off, s[0:3], 0 offset:288
	s_and_saveexec_b64 s[4:5], vcc
	s_cbranch_execz .LBB114_249
; %bb.248:
	buffer_load_dword v2, off, s[0:3], 0 offset:280
	buffer_load_dword v3, off, s[0:3], 0 offset:284
	v_mov_b32_e32 v1, 0
	buffer_store_dword v1, off, s[0:3], 0 offset:280
	buffer_store_dword v1, off, s[0:3], 0 offset:284
	s_waitcnt vmcnt(2)
	ds_write_b64 v121, v[2:3]
.LBB114_249:
	s_or_b64 exec, exec, s[4:5]
	v_mov_b32_e32 v1, 0
	s_waitcnt lgkmcnt(0)
	; wave barrier
	s_waitcnt lgkmcnt(0)
	ds_read_b128 v[4:7], v1 offset:704
	ds_read_b128 v[8:11], v1 offset:720
	;; [unrolled: 1-line block ×4, first 2 shown]
	buffer_load_dword v2, off, s[0:3], 0 offset:280
	buffer_load_dword v3, off, s[0:3], 0 offset:284
	;; [unrolled: 1-line block ×32, first 2 shown]
	v_cmp_lt_u32_e32 vcc, 34, v0
	s_waitcnt vmcnt(28) lgkmcnt(3)
	v_mul_f32_e32 v21, v4, v22
	v_fmac_f32_e32 v21, v5, v20
	v_mul_f32_e32 v5, v5, v22
	s_waitcnt vmcnt(26)
	v_mul_f32_e32 v23, v6, v42
	v_fma_f32 v4, v4, v20, -v5
	v_mul_f32_e32 v5, v7, v42
	v_add_f32_e32 v21, 0, v21
	v_fmac_f32_e32 v23, v7, v24
	v_add_f32_e32 v4, 0, v4
	v_fma_f32 v5, v6, v24, -v5
	v_add_f32_e32 v21, v21, v23
	s_waitcnt vmcnt(24) lgkmcnt(2)
	v_mul_f32_e32 v23, v8, v44
	v_add_f32_e32 v4, v4, v5
	v_mul_f32_e32 v5, v9, v44
	v_fmac_f32_e32 v23, v9, v43
	v_fma_f32 v5, v8, v43, -v5
	v_add_f32_e32 v21, v21, v23
	s_waitcnt vmcnt(22)
	v_mul_f32_e32 v23, v10, v46
	v_add_f32_e32 v4, v4, v5
	v_mul_f32_e32 v5, v11, v46
	v_fmac_f32_e32 v23, v11, v45
	v_fma_f32 v5, v10, v45, -v5
	v_add_f32_e32 v21, v21, v23
	s_waitcnt vmcnt(20) lgkmcnt(1)
	v_mul_f32_e32 v23, v12, v48
	v_add_f32_e32 v4, v4, v5
	v_mul_f32_e32 v5, v13, v48
	v_fmac_f32_e32 v23, v13, v47
	v_fma_f32 v5, v12, v47, -v5
	v_add_f32_e32 v21, v21, v23
	s_waitcnt vmcnt(18)
	v_mul_f32_e32 v23, v14, v50
	v_add_f32_e32 v20, v4, v5
	v_mul_f32_e32 v4, v15, v50
	v_fmac_f32_e32 v23, v15, v49
	v_fma_f32 v22, v14, v49, -v4
	s_waitcnt vmcnt(16) lgkmcnt(0)
	v_mul_f32_e32 v25, v16, v52
	v_mul_f32_e32 v4, v17, v52
	v_pk_add_f32 v[20:21], v[20:21], v[22:23]
	s_waitcnt vmcnt(15)
	v_mov_b32_e32 v22, v27
	v_fmac_f32_e32 v25, v17, v51
	v_fma_f32 v24, v16, v51, -v4
	v_pk_mul_f32 v[22:23], v[18:19], v[22:23] op_sel_hi:[1,0]
	v_pk_add_f32 v[20:21], v[20:21], v[24:25]
	s_waitcnt vmcnt(14)
	v_pk_fma_f32 v[24:25], v[18:19], v[26:27], v[22:23] op_sel:[0,0,1] op_sel_hi:[1,1,0] neg_lo:[0,0,1] neg_hi:[0,0,1]
	v_pk_fma_f32 v[18:19], v[18:19], v[26:27], v[22:23] op_sel:[0,0,1] op_sel_hi:[1,0,0]
	ds_read_b128 v[4:7], v1 offset:768
	ds_read_b128 v[8:11], v1 offset:784
	;; [unrolled: 1-line block ×3, first 2 shown]
	ds_read_b64 v[16:17], v1 offset:816
	v_mov_b32_e32 v25, v19
	v_pk_add_f32 v[18:19], v[20:21], v[24:25]
	s_waitcnt vmcnt(13)
	v_mov_b32_e32 v20, v29
	s_waitcnt lgkmcnt(3)
	v_pk_mul_f32 v[20:21], v[4:5], v[20:21] op_sel_hi:[1,0]
	s_waitcnt vmcnt(12)
	v_pk_fma_f32 v[22:23], v[4:5], v[28:29], v[20:21] op_sel:[0,0,1] op_sel_hi:[1,1,0] neg_lo:[0,0,1] neg_hi:[0,0,1]
	v_pk_fma_f32 v[4:5], v[4:5], v[28:29], v[20:21] op_sel:[0,0,1] op_sel_hi:[1,0,0]
	v_mov_b32_e32 v23, v5
	v_pk_add_f32 v[4:5], v[18:19], v[22:23]
	s_waitcnt vmcnt(11)
	v_mov_b32_e32 v18, v31
	v_pk_mul_f32 v[18:19], v[6:7], v[18:19] op_sel_hi:[1,0]
	s_waitcnt vmcnt(10)
	v_pk_fma_f32 v[20:21], v[6:7], v[30:31], v[18:19] op_sel:[0,0,1] op_sel_hi:[1,1,0] neg_lo:[0,0,1] neg_hi:[0,0,1]
	v_pk_fma_f32 v[6:7], v[6:7], v[30:31], v[18:19] op_sel:[0,0,1] op_sel_hi:[1,0,0]
	s_waitcnt vmcnt(9)
	v_mov_b32_e32 v6, v33
	v_mov_b32_e32 v21, v7
	s_waitcnt lgkmcnt(2)
	v_pk_mul_f32 v[6:7], v[8:9], v[6:7] op_sel_hi:[1,0]
	s_waitcnt vmcnt(8)
	v_pk_fma_f32 v[18:19], v[8:9], v[32:33], v[6:7] op_sel:[0,0,1] op_sel_hi:[1,1,0] neg_lo:[0,0,1] neg_hi:[0,0,1]
	v_pk_fma_f32 v[6:7], v[8:9], v[32:33], v[6:7] op_sel:[0,0,1] op_sel_hi:[1,0,0]
	s_waitcnt vmcnt(7)
	v_mov_b32_e32 v6, v35
	v_mov_b32_e32 v19, v7
	v_pk_mul_f32 v[6:7], v[10:11], v[6:7] op_sel_hi:[1,0]
	s_waitcnt vmcnt(6)
	v_pk_fma_f32 v[8:9], v[10:11], v[34:35], v[6:7] op_sel:[0,0,1] op_sel_hi:[1,1,0] neg_lo:[0,0,1] neg_hi:[0,0,1]
	v_pk_fma_f32 v[6:7], v[10:11], v[34:35], v[6:7] op_sel:[0,0,1] op_sel_hi:[1,0,0]
	v_pk_add_f32 v[4:5], v[4:5], v[20:21]
	s_waitcnt vmcnt(5)
	v_mov_b32_e32 v6, v37
	v_pk_add_f32 v[4:5], v[4:5], v[18:19]
	v_mov_b32_e32 v9, v7
	s_waitcnt lgkmcnt(1)
	v_pk_mul_f32 v[6:7], v[12:13], v[6:7] op_sel_hi:[1,0]
	v_pk_add_f32 v[4:5], v[4:5], v[8:9]
	s_waitcnt vmcnt(4)
	v_pk_fma_f32 v[8:9], v[12:13], v[36:37], v[6:7] op_sel:[0,0,1] op_sel_hi:[1,1,0] neg_lo:[0,0,1] neg_hi:[0,0,1]
	v_pk_fma_f32 v[6:7], v[12:13], v[36:37], v[6:7] op_sel:[0,0,1] op_sel_hi:[1,0,0]
	s_waitcnt vmcnt(3)
	v_mov_b32_e32 v6, v39
	v_mov_b32_e32 v9, v7
	v_pk_mul_f32 v[6:7], v[14:15], v[6:7] op_sel_hi:[1,0]
	v_pk_add_f32 v[4:5], v[4:5], v[8:9]
	s_waitcnt vmcnt(2)
	v_pk_fma_f32 v[8:9], v[14:15], v[38:39], v[6:7] op_sel:[0,0,1] op_sel_hi:[1,1,0] neg_lo:[0,0,1] neg_hi:[0,0,1]
	v_pk_fma_f32 v[6:7], v[14:15], v[38:39], v[6:7] op_sel:[0,0,1] op_sel_hi:[1,0,0]
	s_waitcnt vmcnt(1)
	v_mov_b32_e32 v6, v41
	v_mov_b32_e32 v9, v7
	s_waitcnt lgkmcnt(0)
	v_pk_mul_f32 v[6:7], v[16:17], v[6:7] op_sel_hi:[1,0]
	v_pk_add_f32 v[4:5], v[4:5], v[8:9]
	s_waitcnt vmcnt(0)
	v_pk_fma_f32 v[8:9], v[16:17], v[40:41], v[6:7] op_sel:[0,0,1] op_sel_hi:[1,1,0] neg_lo:[0,0,1] neg_hi:[0,0,1]
	v_pk_fma_f32 v[6:7], v[16:17], v[40:41], v[6:7] op_sel:[0,0,1] op_sel_hi:[1,0,0]
	v_mov_b32_e32 v9, v7
	v_pk_add_f32 v[4:5], v[4:5], v[8:9]
	v_pk_add_f32 v[2:3], v[2:3], v[4:5] neg_lo:[0,1] neg_hi:[0,1]
	buffer_store_dword v3, off, s[0:3], 0 offset:284
	buffer_store_dword v2, off, s[0:3], 0 offset:280
	s_and_saveexec_b64 s[4:5], vcc
	s_cbranch_execz .LBB114_251
; %bb.250:
	buffer_load_dword v2, off, s[0:3], 0 offset:272
	buffer_load_dword v3, off, s[0:3], 0 offset:276
	s_waitcnt vmcnt(0)
	ds_write_b64 v121, v[2:3]
	buffer_store_dword v1, off, s[0:3], 0 offset:272
	buffer_store_dword v1, off, s[0:3], 0 offset:276
.LBB114_251:
	s_or_b64 exec, exec, s[4:5]
	s_waitcnt lgkmcnt(0)
	; wave barrier
	s_waitcnt lgkmcnt(0)
	ds_read2_b64 v[4:7], v1 offset0:87 offset1:88
	buffer_load_dword v2, off, s[0:3], 0 offset:272
	buffer_load_dword v3, off, s[0:3], 0 offset:276
	;; [unrolled: 1-line block ×16, first 2 shown]
	v_cmp_lt_u32_e32 vcc, 33, v0
	s_waitcnt vmcnt(12) lgkmcnt(0)
	v_mul_f32_e32 v8, v4, v26
	v_fmac_f32_e32 v8, v5, v24
	s_waitcnt vmcnt(10)
	v_mul_f32_e32 v9, v6, v46
	v_add_f32_e32 v8, 0, v8
	v_fmac_f32_e32 v9, v7, v28
	v_add_f32_e32 v12, v8, v9
	ds_read2_b64 v[8:11], v1 offset0:89 offset1:90
	v_mul_f32_e32 v5, v5, v26
	v_fma_f32 v4, v4, v24, -v5
	v_mul_f32_e32 v5, v7, v46
	v_add_f32_e32 v4, 0, v4
	s_waitcnt vmcnt(8) lgkmcnt(0)
	v_mul_f32_e32 v13, v8, v48
	v_fmac_f32_e32 v13, v9, v47
	v_add_f32_e32 v12, v12, v13
	s_waitcnt vmcnt(6)
	v_mul_f32_e32 v13, v10, v50
	v_fmac_f32_e32 v13, v11, v49
	v_add_f32_e32 v16, v12, v13
	ds_read2_b64 v[12:15], v1 offset0:91 offset1:92
	v_fma_f32 v5, v6, v28, -v5
	v_add_f32_e32 v4, v4, v5
	v_mul_f32_e32 v5, v9, v48
	v_fma_f32 v5, v8, v47, -v5
	s_waitcnt vmcnt(4) lgkmcnt(0)
	v_mul_f32_e32 v17, v12, v52
	v_fmac_f32_e32 v17, v13, v51
	v_add_f32_e32 v16, v16, v17
	s_waitcnt vmcnt(2)
	v_mul_f32_e32 v17, v14, v54
	v_fmac_f32_e32 v17, v15, v53
	v_add_f32_e32 v25, v16, v17
	ds_read2_b64 v[16:19], v1 offset0:93 offset1:94
	buffer_load_dword v57, off, s[0:3], 0 offset:336
	buffer_load_dword v58, off, s[0:3], 0 offset:340
	;; [unrolled: 1-line block ×4, first 2 shown]
	ds_read2_b64 v[20:23], v1 offset0:95 offset1:96
	buffer_load_dword v33, off, s[0:3], 0 offset:356
	buffer_load_dword v32, off, s[0:3], 0 offset:352
	;; [unrolled: 1-line block ×14, first 2 shown]
	v_add_f32_e32 v4, v4, v5
	v_mul_f32_e32 v5, v11, v50
	v_fma_f32 v5, v10, v49, -v5
	v_add_f32_e32 v4, v4, v5
	v_mul_f32_e32 v5, v13, v52
	v_fma_f32 v5, v12, v51, -v5
	;; [unrolled: 3-line block ×3, first 2 shown]
	v_add_f32_e32 v24, v4, v5
	s_waitcnt vmcnt(18) lgkmcnt(1)
	v_mul_f32_e32 v4, v17, v56
	v_fma_f32 v26, v16, v55, -v4
	v_mul_f32_e32 v27, v16, v56
	v_fmac_f32_e32 v27, v17, v55
	v_pk_add_f32 v[16:17], v[24:25], v[26:27]
	s_waitcnt vmcnt(16)
	v_mul_f32_e32 v4, v19, v58
	v_mul_f32_e32 v29, v18, v58
	v_fma_f32 v28, v18, v57, -v4
	s_waitcnt vmcnt(15)
	v_mov_b32_e32 v18, v31
	v_fmac_f32_e32 v29, v19, v57
	s_waitcnt lgkmcnt(0)
	v_pk_mul_f32 v[18:19], v[20:21], v[18:19] op_sel_hi:[1,0]
	s_waitcnt vmcnt(14)
	v_pk_fma_f32 v[24:25], v[20:21], v[30:31], v[18:19] op_sel:[0,0,1] op_sel_hi:[1,1,0] neg_lo:[0,0,1] neg_hi:[0,0,1]
	v_pk_fma_f32 v[18:19], v[20:21], v[30:31], v[18:19] op_sel:[0,0,1] op_sel_hi:[1,0,0]
	s_waitcnt vmcnt(13)
	v_mov_b32_e32 v18, v33
	ds_read2_b64 v[4:7], v1 offset0:97 offset1:98
	ds_read2_b64 v[8:11], v1 offset0:99 offset1:100
	;; [unrolled: 1-line block ×3, first 2 shown]
	v_mov_b32_e32 v25, v19
	v_pk_mul_f32 v[18:19], v[22:23], v[18:19] op_sel_hi:[1,0]
	s_waitcnt vmcnt(12)
	v_pk_fma_f32 v[20:21], v[22:23], v[32:33], v[18:19] op_sel:[0,0,1] op_sel_hi:[1,1,0] neg_lo:[0,0,1] neg_hi:[0,0,1]
	v_pk_fma_f32 v[18:19], v[22:23], v[32:33], v[18:19] op_sel:[0,0,1] op_sel_hi:[1,0,0]
	v_pk_add_f32 v[16:17], v[16:17], v[28:29]
	s_waitcnt vmcnt(11)
	v_mov_b32_e32 v18, v35
	v_pk_add_f32 v[16:17], v[16:17], v[24:25]
	v_mov_b32_e32 v21, v19
	s_waitcnt lgkmcnt(2)
	v_pk_mul_f32 v[18:19], v[4:5], v[18:19] op_sel_hi:[1,0]
	v_pk_add_f32 v[16:17], v[16:17], v[20:21]
	s_waitcnt vmcnt(10)
	v_pk_fma_f32 v[20:21], v[4:5], v[34:35], v[18:19] op_sel:[0,0,1] op_sel_hi:[1,1,0] neg_lo:[0,0,1] neg_hi:[0,0,1]
	v_pk_fma_f32 v[4:5], v[4:5], v[34:35], v[18:19] op_sel:[0,0,1] op_sel_hi:[1,0,0]
	v_mov_b32_e32 v21, v5
	v_pk_add_f32 v[4:5], v[16:17], v[20:21]
	s_waitcnt vmcnt(9)
	v_mov_b32_e32 v16, v37
	v_pk_mul_f32 v[16:17], v[6:7], v[16:17] op_sel_hi:[1,0]
	s_waitcnt vmcnt(8)
	v_pk_fma_f32 v[18:19], v[6:7], v[36:37], v[16:17] op_sel:[0,0,1] op_sel_hi:[1,1,0] neg_lo:[0,0,1] neg_hi:[0,0,1]
	v_pk_fma_f32 v[6:7], v[6:7], v[36:37], v[16:17] op_sel:[0,0,1] op_sel_hi:[1,0,0]
	s_waitcnt vmcnt(7)
	v_mov_b32_e32 v6, v39
	v_mov_b32_e32 v19, v7
	s_waitcnt lgkmcnt(1)
	v_pk_mul_f32 v[6:7], v[8:9], v[6:7] op_sel_hi:[1,0]
	s_waitcnt vmcnt(6)
	v_pk_fma_f32 v[16:17], v[8:9], v[38:39], v[6:7] op_sel:[0,0,1] op_sel_hi:[1,1,0] neg_lo:[0,0,1] neg_hi:[0,0,1]
	v_pk_fma_f32 v[6:7], v[8:9], v[38:39], v[6:7] op_sel:[0,0,1] op_sel_hi:[1,0,0]
	s_waitcnt vmcnt(5)
	v_mov_b32_e32 v6, v41
	v_mov_b32_e32 v17, v7
	v_pk_mul_f32 v[6:7], v[10:11], v[6:7] op_sel_hi:[1,0]
	s_waitcnt vmcnt(4)
	v_pk_fma_f32 v[8:9], v[10:11], v[40:41], v[6:7] op_sel:[0,0,1] op_sel_hi:[1,1,0] neg_lo:[0,0,1] neg_hi:[0,0,1]
	v_pk_fma_f32 v[6:7], v[10:11], v[40:41], v[6:7] op_sel:[0,0,1] op_sel_hi:[1,0,0]
	v_pk_add_f32 v[4:5], v[4:5], v[18:19]
	s_waitcnt vmcnt(3)
	v_mov_b32_e32 v6, v43
	v_pk_add_f32 v[4:5], v[4:5], v[16:17]
	v_mov_b32_e32 v9, v7
	s_waitcnt lgkmcnt(0)
	v_pk_mul_f32 v[6:7], v[12:13], v[6:7] op_sel_hi:[1,0]
	v_pk_add_f32 v[4:5], v[4:5], v[8:9]
	s_waitcnt vmcnt(2)
	v_pk_fma_f32 v[8:9], v[12:13], v[42:43], v[6:7] op_sel:[0,0,1] op_sel_hi:[1,1,0] neg_lo:[0,0,1] neg_hi:[0,0,1]
	v_pk_fma_f32 v[6:7], v[12:13], v[42:43], v[6:7] op_sel:[0,0,1] op_sel_hi:[1,0,0]
	s_waitcnt vmcnt(1)
	v_mov_b32_e32 v6, v45
	v_mov_b32_e32 v9, v7
	v_pk_mul_f32 v[6:7], v[14:15], v[6:7] op_sel_hi:[1,0]
	v_pk_add_f32 v[4:5], v[4:5], v[8:9]
	s_waitcnt vmcnt(0)
	v_pk_fma_f32 v[8:9], v[14:15], v[44:45], v[6:7] op_sel:[0,0,1] op_sel_hi:[1,1,0] neg_lo:[0,0,1] neg_hi:[0,0,1]
	v_pk_fma_f32 v[6:7], v[14:15], v[44:45], v[6:7] op_sel:[0,0,1] op_sel_hi:[1,0,0]
	v_mov_b32_e32 v9, v7
	v_pk_add_f32 v[4:5], v[4:5], v[8:9]
	v_pk_add_f32 v[2:3], v[2:3], v[4:5] neg_lo:[0,1] neg_hi:[0,1]
	buffer_store_dword v3, off, s[0:3], 0 offset:276
	buffer_store_dword v2, off, s[0:3], 0 offset:272
	s_and_saveexec_b64 s[4:5], vcc
	s_cbranch_execz .LBB114_253
; %bb.252:
	buffer_load_dword v2, off, s[0:3], 0 offset:264
	buffer_load_dword v3, off, s[0:3], 0 offset:268
	v_mov_b32_e32 v1, 0
	buffer_store_dword v1, off, s[0:3], 0 offset:264
	buffer_store_dword v1, off, s[0:3], 0 offset:268
	s_waitcnt vmcnt(2)
	ds_write_b64 v121, v[2:3]
.LBB114_253:
	s_or_b64 exec, exec, s[4:5]
	v_mov_b32_e32 v1, 0
	s_waitcnt lgkmcnt(0)
	; wave barrier
	s_waitcnt lgkmcnt(0)
	ds_read_b128 v[4:7], v1 offset:688
	ds_read_b128 v[8:11], v1 offset:704
	;; [unrolled: 1-line block ×4, first 2 shown]
	buffer_load_dword v2, off, s[0:3], 0 offset:264
	buffer_load_dword v3, off, s[0:3], 0 offset:268
	;; [unrolled: 1-line block ×18, first 2 shown]
	v_cmp_lt_u32_e32 vcc, 32, v0
	s_waitcnt vmcnt(14) lgkmcnt(3)
	v_mul_f32_e32 v20, v4, v26
	v_fmac_f32_e32 v20, v5, v24
	s_waitcnt vmcnt(12)
	v_mul_f32_e32 v21, v6, v46
	v_add_f32_e32 v20, 0, v20
	v_fmac_f32_e32 v21, v7, v28
	v_add_f32_e32 v20, v20, v21
	s_waitcnt vmcnt(10) lgkmcnt(2)
	v_mul_f32_e32 v21, v8, v48
	v_fmac_f32_e32 v21, v9, v47
	v_add_f32_e32 v20, v20, v21
	s_waitcnt vmcnt(8)
	v_mul_f32_e32 v21, v10, v50
	v_fmac_f32_e32 v21, v11, v49
	v_add_f32_e32 v20, v20, v21
	s_waitcnt vmcnt(6) lgkmcnt(1)
	v_mul_f32_e32 v21, v12, v52
	v_fmac_f32_e32 v21, v13, v51
	v_add_f32_e32 v20, v20, v21
	s_waitcnt vmcnt(4)
	v_mul_f32_e32 v21, v14, v54
	v_fmac_f32_e32 v21, v15, v53
	v_add_f32_e32 v20, v20, v21
	s_waitcnt vmcnt(2) lgkmcnt(0)
	v_mul_f32_e32 v21, v16, v56
	v_fmac_f32_e32 v21, v17, v55
	v_add_f32_e32 v25, v20, v21
	ds_read_b128 v[20:23], v1 offset:752
	buffer_load_dword v59, off, s[0:3], 0 offset:336
	buffer_load_dword v60, off, s[0:3], 0 offset:340
	;; [unrolled: 1-line block ×18, first 2 shown]
	v_mul_f32_e32 v5, v5, v26
	v_fma_f32 v4, v4, v24, -v5
	v_mul_f32_e32 v5, v7, v46
	v_add_f32_e32 v4, 0, v4
	v_fma_f32 v5, v6, v28, -v5
	v_add_f32_e32 v4, v4, v5
	v_mul_f32_e32 v5, v9, v48
	v_fma_f32 v5, v8, v47, -v5
	v_add_f32_e32 v4, v4, v5
	v_mul_f32_e32 v5, v11, v50
	;; [unrolled: 3-line block ×5, first 2 shown]
	v_fma_f32 v5, v16, v55, -v5
	v_add_f32_e32 v24, v4, v5
	s_waitcnt vmcnt(18)
	v_mul_f32_e32 v4, v19, v58
	v_fma_f32 v26, v18, v57, -v4
	v_mul_f32_e32 v27, v18, v58
	v_fmac_f32_e32 v27, v19, v57
	v_pk_add_f32 v[18:19], v[24:25], v[26:27]
	s_waitcnt vmcnt(16) lgkmcnt(0)
	v_mul_f32_e32 v4, v21, v60
	v_mul_f32_e32 v29, v20, v60
	v_fma_f32 v28, v20, v59, -v4
	s_waitcnt vmcnt(15)
	v_mov_b32_e32 v20, v31
	v_fmac_f32_e32 v29, v21, v59
	v_pk_mul_f32 v[20:21], v[22:23], v[20:21] op_sel_hi:[1,0]
	ds_read_b128 v[4:7], v1 offset:768
	ds_read_b128 v[8:11], v1 offset:784
	;; [unrolled: 1-line block ×3, first 2 shown]
	ds_read_b64 v[16:17], v1 offset:816
	s_waitcnt vmcnt(14)
	v_pk_fma_f32 v[24:25], v[22:23], v[30:31], v[20:21] op_sel:[0,0,1] op_sel_hi:[1,1,0] neg_lo:[0,0,1] neg_hi:[0,0,1]
	v_pk_fma_f32 v[20:21], v[22:23], v[30:31], v[20:21] op_sel:[0,0,1] op_sel_hi:[1,0,0]
	s_waitcnt vmcnt(13)
	v_mov_b32_e32 v20, v33
	v_mov_b32_e32 v25, v21
	s_waitcnt lgkmcnt(3)
	v_pk_mul_f32 v[20:21], v[4:5], v[20:21] op_sel_hi:[1,0]
	v_pk_add_f32 v[18:19], v[18:19], v[28:29]
	s_waitcnt vmcnt(12)
	v_pk_fma_f32 v[22:23], v[4:5], v[32:33], v[20:21] op_sel:[0,0,1] op_sel_hi:[1,1,0] neg_lo:[0,0,1] neg_hi:[0,0,1]
	v_pk_fma_f32 v[4:5], v[4:5], v[32:33], v[20:21] op_sel:[0,0,1] op_sel_hi:[1,0,0]
	v_pk_add_f32 v[18:19], v[18:19], v[24:25]
	v_mov_b32_e32 v23, v5
	v_pk_add_f32 v[4:5], v[18:19], v[22:23]
	s_waitcnt vmcnt(11)
	v_mov_b32_e32 v18, v35
	v_pk_mul_f32 v[18:19], v[6:7], v[18:19] op_sel_hi:[1,0]
	s_waitcnt vmcnt(10)
	v_pk_fma_f32 v[20:21], v[6:7], v[34:35], v[18:19] op_sel:[0,0,1] op_sel_hi:[1,1,0] neg_lo:[0,0,1] neg_hi:[0,0,1]
	v_pk_fma_f32 v[6:7], v[6:7], v[34:35], v[18:19] op_sel:[0,0,1] op_sel_hi:[1,0,0]
	s_waitcnt vmcnt(9)
	v_mov_b32_e32 v6, v37
	v_mov_b32_e32 v21, v7
	s_waitcnt lgkmcnt(2)
	v_pk_mul_f32 v[6:7], v[8:9], v[6:7] op_sel_hi:[1,0]
	s_waitcnt vmcnt(8)
	v_pk_fma_f32 v[18:19], v[8:9], v[36:37], v[6:7] op_sel:[0,0,1] op_sel_hi:[1,1,0] neg_lo:[0,0,1] neg_hi:[0,0,1]
	v_pk_fma_f32 v[6:7], v[8:9], v[36:37], v[6:7] op_sel:[0,0,1] op_sel_hi:[1,0,0]
	s_waitcnt vmcnt(7)
	v_mov_b32_e32 v6, v39
	v_mov_b32_e32 v19, v7
	v_pk_mul_f32 v[6:7], v[10:11], v[6:7] op_sel_hi:[1,0]
	s_waitcnt vmcnt(6)
	v_pk_fma_f32 v[8:9], v[10:11], v[38:39], v[6:7] op_sel:[0,0,1] op_sel_hi:[1,1,0] neg_lo:[0,0,1] neg_hi:[0,0,1]
	v_pk_fma_f32 v[6:7], v[10:11], v[38:39], v[6:7] op_sel:[0,0,1] op_sel_hi:[1,0,0]
	v_pk_add_f32 v[4:5], v[4:5], v[20:21]
	s_waitcnt vmcnt(5)
	v_mov_b32_e32 v6, v41
	v_pk_add_f32 v[4:5], v[4:5], v[18:19]
	v_mov_b32_e32 v9, v7
	s_waitcnt lgkmcnt(1)
	v_pk_mul_f32 v[6:7], v[12:13], v[6:7] op_sel_hi:[1,0]
	v_pk_add_f32 v[4:5], v[4:5], v[8:9]
	s_waitcnt vmcnt(4)
	v_pk_fma_f32 v[8:9], v[12:13], v[40:41], v[6:7] op_sel:[0,0,1] op_sel_hi:[1,1,0] neg_lo:[0,0,1] neg_hi:[0,0,1]
	v_pk_fma_f32 v[6:7], v[12:13], v[40:41], v[6:7] op_sel:[0,0,1] op_sel_hi:[1,0,0]
	s_waitcnt vmcnt(3)
	v_mov_b32_e32 v6, v43
	v_mov_b32_e32 v9, v7
	v_pk_mul_f32 v[6:7], v[14:15], v[6:7] op_sel_hi:[1,0]
	v_pk_add_f32 v[4:5], v[4:5], v[8:9]
	s_waitcnt vmcnt(2)
	v_pk_fma_f32 v[8:9], v[14:15], v[42:43], v[6:7] op_sel:[0,0,1] op_sel_hi:[1,1,0] neg_lo:[0,0,1] neg_hi:[0,0,1]
	v_pk_fma_f32 v[6:7], v[14:15], v[42:43], v[6:7] op_sel:[0,0,1] op_sel_hi:[1,0,0]
	s_waitcnt vmcnt(1)
	v_mov_b32_e32 v6, v45
	v_mov_b32_e32 v9, v7
	s_waitcnt lgkmcnt(0)
	v_pk_mul_f32 v[6:7], v[16:17], v[6:7] op_sel_hi:[1,0]
	v_pk_add_f32 v[4:5], v[4:5], v[8:9]
	s_waitcnt vmcnt(0)
	v_pk_fma_f32 v[8:9], v[16:17], v[44:45], v[6:7] op_sel:[0,0,1] op_sel_hi:[1,1,0] neg_lo:[0,0,1] neg_hi:[0,0,1]
	v_pk_fma_f32 v[6:7], v[16:17], v[44:45], v[6:7] op_sel:[0,0,1] op_sel_hi:[1,0,0]
	v_mov_b32_e32 v9, v7
	v_pk_add_f32 v[4:5], v[4:5], v[8:9]
	v_pk_add_f32 v[2:3], v[2:3], v[4:5] neg_lo:[0,1] neg_hi:[0,1]
	buffer_store_dword v3, off, s[0:3], 0 offset:268
	buffer_store_dword v2, off, s[0:3], 0 offset:264
	s_and_saveexec_b64 s[4:5], vcc
	s_cbranch_execz .LBB114_255
; %bb.254:
	buffer_load_dword v2, off, s[0:3], 0 offset:256
	buffer_load_dword v3, off, s[0:3], 0 offset:260
	s_waitcnt vmcnt(0)
	ds_write_b64 v121, v[2:3]
	buffer_store_dword v1, off, s[0:3], 0 offset:256
	buffer_store_dword v1, off, s[0:3], 0 offset:260
.LBB114_255:
	s_or_b64 exec, exec, s[4:5]
	s_waitcnt lgkmcnt(0)
	; wave barrier
	s_waitcnt lgkmcnt(0)
	buffer_load_dword v44, off, s[0:3], 0 offset:268
	buffer_load_dword v46, off, s[0:3], 0 offset:276
	;; [unrolled: 1-line block ×22, first 2 shown]
	ds_read2_b64 v[2:5], v1 offset0:85 offset1:86
	ds_read2_b64 v[6:9], v1 offset0:87 offset1:88
	buffer_load_dword v29, off, s[0:3], 0 offset:348
	buffer_load_dword v28, off, s[0:3], 0 offset:344
	;; [unrolled: 1-line block ×10, first 2 shown]
	ds_read2_b64 v[10:13], v1 offset0:89 offset1:90
	ds_read2_b64 v[14:17], v1 offset0:91 offset1:92
	ds_read2_b64 v[18:21], v1 offset0:93 offset1:94
	ds_read2_b64 v[22:25], v1 offset0:95 offset1:96
	buffer_load_dword v39, off, s[0:3], 0 offset:404
	buffer_load_dword v38, off, s[0:3], 0 offset:400
	;; [unrolled: 1-line block ×6, first 2 shown]
	v_cmp_lt_u32_e32 vcc, 31, v0
	s_waitcnt vmcnt(37) lgkmcnt(5)
	v_mul_f32_e32 v66, v2, v44
	s_waitcnt vmcnt(36)
	v_mul_f32_e32 v67, v4, v46
	s_waitcnt vmcnt(35) lgkmcnt(4)
	v_mul_f32_e32 v68, v6, v48
	v_mul_f32_e32 v44, v3, v44
	;; [unrolled: 1-line block ×4, first 2 shown]
	s_waitcnt vmcnt(34)
	v_mul_f32_e32 v69, v8, v49
	s_waitcnt vmcnt(33) lgkmcnt(3)
	v_mul_f32_e32 v70, v10, v50
	s_waitcnt vmcnt(32)
	v_mul_f32_e32 v71, v12, v51
	s_waitcnt vmcnt(31) lgkmcnt(2)
	v_mul_f32_e32 v72, v14, v52
	s_waitcnt vmcnt(27)
	v_fmac_f32_e32 v66, v3, v56
	s_waitcnt vmcnt(26)
	v_fmac_f32_e32 v67, v5, v57
	;; [unrolled: 2-line block ×3, first 2 shown]
	v_fma_f32 v2, v2, v56, -v44
	v_add_f32_e32 v7, 0, v66
	v_fma_f32 v3, v4, v57, -v46
	v_add_f32_e32 v2, 0, v2
	v_add_f32_e32 v7, v7, v67
	s_waitcnt vmcnt(24)
	v_fmac_f32_e32 v69, v9, v59
	v_add_f32_e32 v2, v2, v3
	v_add_f32_e32 v3, v7, v68
	s_waitcnt vmcnt(23)
	v_fmac_f32_e32 v70, v11, v60
	v_add_f32_e32 v3, v3, v69
	v_mul_f32_e32 v49, v9, v49
	s_waitcnt vmcnt(22)
	v_fmac_f32_e32 v71, v13, v61
	v_fma_f32 v4, v6, v58, -v48
	v_add_f32_e32 v3, v3, v70
	v_mul_f32_e32 v73, v16, v53
	v_mul_f32_e32 v50, v11, v50
	s_waitcnt vmcnt(21)
	v_fmac_f32_e32 v72, v15, v62
	v_fma_f32 v5, v8, v59, -v49
	v_add_f32_e32 v2, v2, v4
	v_add_f32_e32 v3, v3, v71
	v_mul_f32_e32 v51, v13, v51
	s_waitcnt vmcnt(20)
	v_fmac_f32_e32 v73, v17, v63
	v_fma_f32 v6, v10, v60, -v50
	v_add_f32_e32 v2, v2, v5
	v_add_f32_e32 v3, v3, v72
	;; [unrolled: 1-line block ×4, first 2 shown]
	v_fma_f32 v3, v12, v61, -v51
	v_add_f32_e32 v2, v2, v3
	v_mul_f32_e32 v3, v15, v52
	v_fma_f32 v3, v14, v62, -v3
	v_add_f32_e32 v2, v2, v3
	v_mul_f32_e32 v3, v17, v53
	v_fma_f32 v3, v16, v63, -v3
	s_waitcnt vmcnt(15)
	v_mov_b32_e32 v16, v29
	s_waitcnt lgkmcnt(1)
	v_mul_f32_e32 v45, v18, v54
	v_add_f32_e32 v48, v2, v3
	v_mul_f32_e32 v2, v19, v54
	s_waitcnt lgkmcnt(0)
	v_pk_mul_f32 v[16:17], v[22:23], v[16:17] op_sel_hi:[1,0]
	v_mul_f32_e32 v47, v20, v55
	v_fmac_f32_e32 v45, v19, v64
	v_fma_f32 v44, v18, v64, -v2
	v_mul_f32_e32 v2, v21, v55
	s_waitcnt vmcnt(14)
	v_pk_fma_f32 v[18:19], v[22:23], v[28:29], v[16:17] op_sel:[0,0,1] op_sel_hi:[1,1,0] neg_lo:[0,0,1] neg_hi:[0,0,1]
	v_pk_fma_f32 v[16:17], v[22:23], v[28:29], v[16:17] op_sel:[0,0,1] op_sel_hi:[1,0,0]
	v_fmac_f32_e32 v47, v21, v65
	v_fma_f32 v46, v20, v65, -v2
	v_pk_add_f32 v[14:15], v[48:49], v[44:45]
	s_waitcnt vmcnt(13)
	v_mov_b32_e32 v16, v31
	ds_read2_b64 v[2:5], v1 offset0:97 offset1:98
	ds_read2_b64 v[6:9], v1 offset0:99 offset1:100
	;; [unrolled: 1-line block ×3, first 2 shown]
	v_pk_add_f32 v[14:15], v[14:15], v[46:47]
	v_mov_b32_e32 v19, v17
	v_pk_mul_f32 v[16:17], v[24:25], v[16:17] op_sel_hi:[1,0]
	v_pk_add_f32 v[14:15], v[14:15], v[18:19]
	s_waitcnt vmcnt(6)
	v_pk_fma_f32 v[18:19], v[24:25], v[30:31], v[16:17] op_sel:[0,0,1] op_sel_hi:[1,1,0] neg_lo:[0,0,1] neg_hi:[0,0,1]
	v_pk_fma_f32 v[16:17], v[24:25], v[30:31], v[16:17] op_sel:[0,0,1] op_sel_hi:[1,0,0]
	v_mov_b32_e32 v16, v37
	v_mov_b32_e32 v19, v17
	s_waitcnt lgkmcnt(2)
	v_pk_mul_f32 v[16:17], v[2:3], v[16:17] op_sel_hi:[1,0]
	v_pk_add_f32 v[14:15], v[14:15], v[18:19]
	v_pk_fma_f32 v[18:19], v[2:3], v[36:37], v[16:17] op_sel:[0,0,1] op_sel_hi:[1,1,0] neg_lo:[0,0,1] neg_hi:[0,0,1]
	v_pk_fma_f32 v[2:3], v[2:3], v[36:37], v[16:17] op_sel:[0,0,1] op_sel_hi:[1,0,0]
	v_mov_b32_e32 v19, v3
	v_pk_add_f32 v[2:3], v[14:15], v[18:19]
	v_mov_b32_e32 v14, v35
	v_pk_mul_f32 v[14:15], v[4:5], v[14:15] op_sel_hi:[1,0]
	v_pk_fma_f32 v[16:17], v[4:5], v[34:35], v[14:15] op_sel:[0,0,1] op_sel_hi:[1,1,0] neg_lo:[0,0,1] neg_hi:[0,0,1]
	v_pk_fma_f32 v[4:5], v[4:5], v[34:35], v[14:15] op_sel:[0,0,1] op_sel_hi:[1,0,0]
	v_mov_b32_e32 v4, v33
	v_mov_b32_e32 v17, v5
	s_waitcnt lgkmcnt(1)
	v_pk_mul_f32 v[4:5], v[6:7], v[4:5] op_sel_hi:[1,0]
	v_pk_fma_f32 v[14:15], v[6:7], v[32:33], v[4:5] op_sel:[0,0,1] op_sel_hi:[1,1,0] neg_lo:[0,0,1] neg_hi:[0,0,1]
	v_pk_fma_f32 v[4:5], v[6:7], v[32:33], v[4:5] op_sel:[0,0,1] op_sel_hi:[1,0,0]
	s_waitcnt vmcnt(1)
	v_mov_b32_e32 v4, v43
	v_mov_b32_e32 v15, v5
	v_pk_mul_f32 v[4:5], v[8:9], v[4:5] op_sel_hi:[1,0]
	s_waitcnt vmcnt(0)
	v_pk_fma_f32 v[6:7], v[8:9], v[42:43], v[4:5] op_sel:[0,0,1] op_sel_hi:[1,1,0] neg_lo:[0,0,1] neg_hi:[0,0,1]
	v_pk_fma_f32 v[4:5], v[8:9], v[42:43], v[4:5] op_sel:[0,0,1] op_sel_hi:[1,0,0]
	v_pk_add_f32 v[2:3], v[2:3], v[16:17]
	v_mov_b32_e32 v4, v41
	v_pk_add_f32 v[2:3], v[2:3], v[14:15]
	v_mov_b32_e32 v7, v5
	s_waitcnt lgkmcnt(0)
	v_pk_mul_f32 v[4:5], v[10:11], v[4:5] op_sel_hi:[1,0]
	v_pk_add_f32 v[2:3], v[2:3], v[6:7]
	v_pk_fma_f32 v[6:7], v[10:11], v[40:41], v[4:5] op_sel:[0,0,1] op_sel_hi:[1,1,0] neg_lo:[0,0,1] neg_hi:[0,0,1]
	v_pk_fma_f32 v[4:5], v[10:11], v[40:41], v[4:5] op_sel:[0,0,1] op_sel_hi:[1,0,0]
	v_mov_b32_e32 v4, v39
	v_mov_b32_e32 v7, v5
	v_pk_mul_f32 v[4:5], v[12:13], v[4:5] op_sel_hi:[1,0]
	v_pk_add_f32 v[2:3], v[2:3], v[6:7]
	v_pk_fma_f32 v[6:7], v[12:13], v[38:39], v[4:5] op_sel:[0,0,1] op_sel_hi:[1,1,0] neg_lo:[0,0,1] neg_hi:[0,0,1]
	v_pk_fma_f32 v[4:5], v[12:13], v[38:39], v[4:5] op_sel:[0,0,1] op_sel_hi:[1,0,0]
	v_mov_b32_e32 v7, v5
	v_pk_add_f32 v[2:3], v[2:3], v[6:7]
	v_pk_add_f32 v[2:3], v[26:27], v[2:3] neg_lo:[0,1] neg_hi:[0,1]
	buffer_store_dword v3, off, s[0:3], 0 offset:260
	buffer_store_dword v2, off, s[0:3], 0 offset:256
	s_and_saveexec_b64 s[4:5], vcc
	s_cbranch_execz .LBB114_257
; %bb.256:
	buffer_load_dword v2, off, s[0:3], 0 offset:248
	buffer_load_dword v3, off, s[0:3], 0 offset:252
	v_mov_b32_e32 v1, 0
	buffer_store_dword v1, off, s[0:3], 0 offset:248
	buffer_store_dword v1, off, s[0:3], 0 offset:252
	s_waitcnt vmcnt(2)
	ds_write_b64 v121, v[2:3]
.LBB114_257:
	s_or_b64 exec, exec, s[4:5]
	s_waitcnt lgkmcnt(0)
	; wave barrier
	s_waitcnt lgkmcnt(0)
	buffer_load_dword v44, off, s[0:3], 0 offset:260
	buffer_load_dword v46, off, s[0:3], 0 offset:268
	;; [unrolled: 1-line block ×40, first 2 shown]
	v_mov_b32_e32 v1, 0
	ds_read_b128 v[2:5], v1 offset:672
	ds_read_b128 v[6:9], v1 offset:688
	ds_read_b128 v[10:13], v1 offset:704
	ds_read_b128 v[14:17], v1 offset:720
	ds_read_b128 v[18:21], v1 offset:736
	ds_read_b128 v[22:25], v1 offset:752
	v_cmp_lt_u32_e32 vcc, 30, v0
	s_waitcnt vmcnt(39) lgkmcnt(5)
	v_mul_f32_e32 v68, v2, v44
	s_waitcnt vmcnt(38)
	v_mul_f32_e32 v69, v4, v46
	s_waitcnt vmcnt(37) lgkmcnt(4)
	v_mul_f32_e32 v70, v6, v48
	v_mul_f32_e32 v44, v3, v44
	;; [unrolled: 1-line block ×4, first 2 shown]
	s_waitcnt vmcnt(36)
	v_mul_f32_e32 v71, v8, v49
	s_waitcnt vmcnt(35) lgkmcnt(3)
	v_mul_f32_e32 v72, v10, v50
	s_waitcnt vmcnt(34)
	v_mul_f32_e32 v73, v12, v51
	s_waitcnt vmcnt(33) lgkmcnt(2)
	v_mul_f32_e32 v74, v14, v52
	s_waitcnt vmcnt(32)
	v_mul_f32_e32 v75, v16, v53
	s_waitcnt vmcnt(28)
	v_fmac_f32_e32 v68, v3, v57
	s_waitcnt vmcnt(27)
	v_fmac_f32_e32 v69, v5, v58
	v_fma_f32 v2, v2, v57, -v44
	v_fma_f32 v3, v4, v58, -v46
	s_waitcnt vmcnt(26)
	v_fma_f32 v4, v6, v59, -v48
	v_add_f32_e32 v6, 0, v68
	v_fmac_f32_e32 v70, v7, v59
	v_add_f32_e32 v2, 0, v2
	v_add_f32_e32 v6, v6, v69
	s_waitcnt vmcnt(25)
	v_fmac_f32_e32 v71, v9, v60
	v_add_f32_e32 v2, v2, v3
	v_add_f32_e32 v3, v6, v70
	s_waitcnt vmcnt(24)
	v_fmac_f32_e32 v72, v11, v61
	v_add_f32_e32 v3, v3, v71
	s_waitcnt vmcnt(23)
	v_fmac_f32_e32 v73, v13, v62
	;; [unrolled: 3-line block ×3, first 2 shown]
	v_add_f32_e32 v3, v3, v73
	s_waitcnt lgkmcnt(1)
	v_mul_f32_e32 v76, v18, v54
	s_waitcnt vmcnt(21)
	v_fmac_f32_e32 v75, v17, v64
	v_add_f32_e32 v3, v3, v74
	v_mul_f32_e32 v49, v9, v49
	s_waitcnt vmcnt(20)
	v_fmac_f32_e32 v76, v19, v65
	v_add_f32_e32 v3, v3, v75
	v_fma_f32 v5, v8, v60, -v49
	v_add_f32_e32 v2, v2, v4
	v_add_f32_e32 v49, v3, v76
	v_mul_f32_e32 v3, v11, v50
	v_add_f32_e32 v2, v2, v5
	v_fma_f32 v3, v10, v61, -v3
	v_add_f32_e32 v2, v2, v3
	v_mul_f32_e32 v3, v13, v51
	v_fma_f32 v3, v12, v62, -v3
	v_add_f32_e32 v2, v2, v3
	v_mul_f32_e32 v3, v15, v52
	;; [unrolled: 3-line block ×5, first 2 shown]
	s_waitcnt vmcnt(9)
	v_mov_b32_e32 v18, v35
	v_mul_f32_e32 v45, v20, v55
	v_fma_f32 v44, v20, v66, -v2
	s_waitcnt lgkmcnt(0)
	v_mul_f32_e32 v2, v23, v56
	v_pk_mul_f32 v[18:19], v[24:25], v[18:19] op_sel_hi:[1,0]
	v_mul_f32_e32 v47, v22, v56
	v_fmac_f32_e32 v45, v21, v66
	v_fma_f32 v46, v22, v67, -v2
	ds_read_b128 v[2:5], v1 offset:768
	ds_read_b128 v[6:9], v1 offset:784
	;; [unrolled: 1-line block ×3, first 2 shown]
	ds_read_b64 v[14:15], v1 offset:816
	s_waitcnt vmcnt(8)
	v_pk_fma_f32 v[20:21], v[24:25], v[34:35], v[18:19] op_sel:[0,0,1] op_sel_hi:[1,1,0] neg_lo:[0,0,1] neg_hi:[0,0,1]
	v_pk_fma_f32 v[18:19], v[24:25], v[34:35], v[18:19] op_sel:[0,0,1] op_sel_hi:[1,0,0]
	v_fmac_f32_e32 v47, v23, v67
	v_pk_add_f32 v[16:17], v[48:49], v[44:45]
	v_mov_b32_e32 v18, v33
	v_pk_add_f32 v[16:17], v[16:17], v[46:47]
	v_mov_b32_e32 v21, v19
	s_waitcnt lgkmcnt(3)
	v_pk_mul_f32 v[18:19], v[2:3], v[18:19] op_sel_hi:[1,0]
	v_pk_add_f32 v[16:17], v[16:17], v[20:21]
	v_pk_fma_f32 v[20:21], v[2:3], v[32:33], v[18:19] op_sel:[0,0,1] op_sel_hi:[1,1,0] neg_lo:[0,0,1] neg_hi:[0,0,1]
	v_pk_fma_f32 v[2:3], v[2:3], v[32:33], v[18:19] op_sel:[0,0,1] op_sel_hi:[1,0,0]
	v_mov_b32_e32 v21, v3
	v_pk_add_f32 v[2:3], v[16:17], v[20:21]
	v_mov_b32_e32 v16, v31
	v_pk_mul_f32 v[16:17], v[4:5], v[16:17] op_sel_hi:[1,0]
	v_pk_fma_f32 v[18:19], v[4:5], v[30:31], v[16:17] op_sel:[0,0,1] op_sel_hi:[1,1,0] neg_lo:[0,0,1] neg_hi:[0,0,1]
	v_pk_fma_f32 v[4:5], v[4:5], v[30:31], v[16:17] op_sel:[0,0,1] op_sel_hi:[1,0,0]
	v_mov_b32_e32 v4, v29
	v_mov_b32_e32 v19, v5
	s_waitcnt lgkmcnt(2)
	v_pk_mul_f32 v[4:5], v[6:7], v[4:5] op_sel_hi:[1,0]
	v_pk_fma_f32 v[16:17], v[6:7], v[28:29], v[4:5] op_sel:[0,0,1] op_sel_hi:[1,1,0] neg_lo:[0,0,1] neg_hi:[0,0,1]
	v_pk_fma_f32 v[4:5], v[6:7], v[28:29], v[4:5] op_sel:[0,0,1] op_sel_hi:[1,0,0]
	s_waitcnt vmcnt(1)
	v_mov_b32_e32 v4, v43
	v_mov_b32_e32 v17, v5
	v_pk_mul_f32 v[4:5], v[8:9], v[4:5] op_sel_hi:[1,0]
	s_waitcnt vmcnt(0)
	v_pk_fma_f32 v[6:7], v[8:9], v[42:43], v[4:5] op_sel:[0,0,1] op_sel_hi:[1,1,0] neg_lo:[0,0,1] neg_hi:[0,0,1]
	v_pk_fma_f32 v[4:5], v[8:9], v[42:43], v[4:5] op_sel:[0,0,1] op_sel_hi:[1,0,0]
	v_pk_add_f32 v[2:3], v[2:3], v[18:19]
	v_mov_b32_e32 v4, v41
	v_pk_add_f32 v[2:3], v[2:3], v[16:17]
	v_mov_b32_e32 v7, v5
	s_waitcnt lgkmcnt(1)
	v_pk_mul_f32 v[4:5], v[10:11], v[4:5] op_sel_hi:[1,0]
	v_pk_add_f32 v[2:3], v[2:3], v[6:7]
	v_pk_fma_f32 v[6:7], v[10:11], v[40:41], v[4:5] op_sel:[0,0,1] op_sel_hi:[1,1,0] neg_lo:[0,0,1] neg_hi:[0,0,1]
	v_pk_fma_f32 v[4:5], v[10:11], v[40:41], v[4:5] op_sel:[0,0,1] op_sel_hi:[1,0,0]
	v_mov_b32_e32 v4, v39
	v_mov_b32_e32 v7, v5
	v_pk_mul_f32 v[4:5], v[12:13], v[4:5] op_sel_hi:[1,0]
	v_pk_add_f32 v[2:3], v[2:3], v[6:7]
	v_pk_fma_f32 v[6:7], v[12:13], v[38:39], v[4:5] op_sel:[0,0,1] op_sel_hi:[1,1,0] neg_lo:[0,0,1] neg_hi:[0,0,1]
	v_pk_fma_f32 v[4:5], v[12:13], v[38:39], v[4:5] op_sel:[0,0,1] op_sel_hi:[1,0,0]
	v_mov_b32_e32 v4, v37
	v_mov_b32_e32 v7, v5
	s_waitcnt lgkmcnt(0)
	v_pk_mul_f32 v[4:5], v[14:15], v[4:5] op_sel_hi:[1,0]
	v_pk_add_f32 v[2:3], v[2:3], v[6:7]
	v_pk_fma_f32 v[6:7], v[14:15], v[36:37], v[4:5] op_sel:[0,0,1] op_sel_hi:[1,1,0] neg_lo:[0,0,1] neg_hi:[0,0,1]
	v_pk_fma_f32 v[4:5], v[14:15], v[36:37], v[4:5] op_sel:[0,0,1] op_sel_hi:[1,0,0]
	v_mov_b32_e32 v7, v5
	v_pk_add_f32 v[2:3], v[2:3], v[6:7]
	v_pk_add_f32 v[2:3], v[26:27], v[2:3] neg_lo:[0,1] neg_hi:[0,1]
	buffer_store_dword v3, off, s[0:3], 0 offset:252
	buffer_store_dword v2, off, s[0:3], 0 offset:248
	s_and_saveexec_b64 s[4:5], vcc
	s_cbranch_execz .LBB114_259
; %bb.258:
	buffer_load_dword v2, off, s[0:3], 0 offset:240
	buffer_load_dword v3, off, s[0:3], 0 offset:244
	s_waitcnt vmcnt(0)
	ds_write_b64 v121, v[2:3]
	buffer_store_dword v1, off, s[0:3], 0 offset:240
	buffer_store_dword v1, off, s[0:3], 0 offset:244
.LBB114_259:
	s_or_b64 exec, exec, s[4:5]
	s_waitcnt lgkmcnt(0)
	; wave barrier
	s_waitcnt lgkmcnt(0)
	buffer_load_dword v44, off, s[0:3], 0 offset:252
	buffer_load_dword v46, off, s[0:3], 0 offset:260
	;; [unrolled: 1-line block ×26, first 2 shown]
	ds_read2_b64 v[2:5], v1 offset0:83 offset1:84
	ds_read2_b64 v[6:9], v1 offset0:85 offset1:86
	;; [unrolled: 1-line block ×6, first 2 shown]
	buffer_load_dword v29, off, s[0:3], 0 offset:364
	buffer_load_dword v28, off, s[0:3], 0 offset:360
	;; [unrolled: 1-line block ×16, first 2 shown]
	v_cmp_lt_u32_e32 vcc, 29, v0
	s_waitcnt vmcnt(41) lgkmcnt(5)
	v_mul_f32_e32 v70, v2, v44
	s_waitcnt vmcnt(40)
	v_mul_f32_e32 v71, v4, v46
	v_mul_f32_e32 v44, v3, v44
	s_waitcnt vmcnt(39) lgkmcnt(4)
	v_mul_f32_e32 v72, v6, v48
	v_mul_f32_e32 v46, v5, v46
	s_waitcnt vmcnt(38)
	v_mul_f32_e32 v73, v8, v50
	s_waitcnt vmcnt(37) lgkmcnt(3)
	v_mul_f32_e32 v74, v10, v51
	s_waitcnt vmcnt(36)
	v_mul_f32_e32 v75, v12, v52
	s_waitcnt vmcnt(35) lgkmcnt(2)
	;; [unrolled: 4-line block ×3, first 2 shown]
	v_mul_f32_e32 v78, v18, v55
	s_waitcnt vmcnt(32)
	v_mul_f32_e32 v79, v20, v56
	s_waitcnt vmcnt(29)
	v_fmac_f32_e32 v70, v3, v49
	s_waitcnt vmcnt(28)
	v_fmac_f32_e32 v71, v5, v59
	v_fma_f32 v2, v2, v49, -v44
	v_add_f32_e32 v5, 0, v70
	s_waitcnt vmcnt(27)
	v_fmac_f32_e32 v72, v7, v60
	v_fma_f32 v3, v4, v59, -v46
	v_add_f32_e32 v2, 0, v2
	v_add_f32_e32 v5, v5, v71
	s_waitcnt vmcnt(26)
	v_fmac_f32_e32 v73, v9, v61
	v_add_f32_e32 v2, v2, v3
	v_add_f32_e32 v3, v5, v72
	s_waitcnt vmcnt(25)
	v_fmac_f32_e32 v74, v11, v62
	v_add_f32_e32 v3, v3, v73
	s_waitcnt vmcnt(24)
	v_fmac_f32_e32 v75, v13, v63
	;; [unrolled: 3-line block ×5, first 2 shown]
	v_add_f32_e32 v3, v3, v77
	v_mul_f32_e32 v48, v7, v48
	s_waitcnt vmcnt(20)
	v_fmac_f32_e32 v79, v21, v67
	v_add_f32_e32 v3, v3, v78
	v_fma_f32 v4, v6, v60, -v48
	v_add_f32_e32 v49, v3, v79
	v_mul_f32_e32 v3, v9, v50
	v_add_f32_e32 v2, v2, v4
	v_fma_f32 v3, v8, v61, -v3
	v_add_f32_e32 v2, v2, v3
	v_mul_f32_e32 v3, v11, v51
	v_fma_f32 v3, v10, v62, -v3
	v_add_f32_e32 v2, v2, v3
	v_mul_f32_e32 v3, v13, v52
	;; [unrolled: 3-line block ×6, first 2 shown]
	v_fma_f32 v3, v20, v67, -v3
	v_add_f32_e32 v48, v2, v3
	s_waitcnt lgkmcnt(0)
	v_mul_f32_e32 v2, v23, v57
	s_waitcnt vmcnt(19)
	v_fma_f32 v44, v22, v68, -v2
	v_mul_f32_e32 v2, v25, v58
	s_waitcnt vmcnt(18)
	v_fma_f32 v46, v24, v69, -v2
	ds_read2_b64 v[2:5], v1 offset0:95 offset1:96
	ds_read2_b64 v[6:9], v1 offset0:97 offset1:98
	;; [unrolled: 1-line block ×4, first 2 shown]
	v_mul_f32_e32 v45, v22, v57
	s_waitcnt vmcnt(11)
	v_mov_b32_e32 v20, v33
	v_mul_f32_e32 v47, v24, v58
	v_fmac_f32_e32 v45, v23, v68
	s_waitcnt lgkmcnt(3)
	v_pk_mul_f32 v[20:21], v[2:3], v[20:21] op_sel_hi:[1,0]
	v_fmac_f32_e32 v47, v25, v69
	v_pk_add_f32 v[18:19], v[48:49], v[44:45]
	s_waitcnt vmcnt(10)
	v_pk_fma_f32 v[22:23], v[2:3], v[32:33], v[20:21] op_sel:[0,0,1] op_sel_hi:[1,1,0] neg_lo:[0,0,1] neg_hi:[0,0,1]
	v_pk_fma_f32 v[2:3], v[2:3], v[32:33], v[20:21] op_sel:[0,0,1] op_sel_hi:[1,0,0]
	v_pk_add_f32 v[18:19], v[18:19], v[46:47]
	v_mov_b32_e32 v23, v3
	v_pk_add_f32 v[2:3], v[18:19], v[22:23]
	v_mov_b32_e32 v18, v31
	v_pk_mul_f32 v[18:19], v[4:5], v[18:19] op_sel_hi:[1,0]
	v_pk_fma_f32 v[20:21], v[4:5], v[30:31], v[18:19] op_sel:[0,0,1] op_sel_hi:[1,1,0] neg_lo:[0,0,1] neg_hi:[0,0,1]
	v_pk_fma_f32 v[4:5], v[4:5], v[30:31], v[18:19] op_sel:[0,0,1] op_sel_hi:[1,0,0]
	v_mov_b32_e32 v4, v29
	v_mov_b32_e32 v21, v5
	s_waitcnt lgkmcnt(2)
	v_pk_mul_f32 v[4:5], v[6:7], v[4:5] op_sel_hi:[1,0]
	v_pk_fma_f32 v[18:19], v[6:7], v[28:29], v[4:5] op_sel:[0,0,1] op_sel_hi:[1,1,0] neg_lo:[0,0,1] neg_hi:[0,0,1]
	v_pk_fma_f32 v[4:5], v[6:7], v[28:29], v[4:5] op_sel:[0,0,1] op_sel_hi:[1,0,0]
	s_waitcnt vmcnt(3)
	v_mov_b32_e32 v4, v41
	v_mov_b32_e32 v19, v5
	v_pk_mul_f32 v[4:5], v[8:9], v[4:5] op_sel_hi:[1,0]
	s_waitcnt vmcnt(2)
	v_pk_fma_f32 v[6:7], v[8:9], v[40:41], v[4:5] op_sel:[0,0,1] op_sel_hi:[1,1,0] neg_lo:[0,0,1] neg_hi:[0,0,1]
	v_pk_fma_f32 v[4:5], v[8:9], v[40:41], v[4:5] op_sel:[0,0,1] op_sel_hi:[1,0,0]
	v_pk_add_f32 v[2:3], v[2:3], v[20:21]
	v_mov_b32_e32 v4, v39
	v_pk_add_f32 v[2:3], v[2:3], v[18:19]
	v_mov_b32_e32 v7, v5
	s_waitcnt lgkmcnt(1)
	v_pk_mul_f32 v[4:5], v[10:11], v[4:5] op_sel_hi:[1,0]
	v_pk_add_f32 v[2:3], v[2:3], v[6:7]
	v_pk_fma_f32 v[6:7], v[10:11], v[38:39], v[4:5] op_sel:[0,0,1] op_sel_hi:[1,1,0] neg_lo:[0,0,1] neg_hi:[0,0,1]
	v_pk_fma_f32 v[4:5], v[10:11], v[38:39], v[4:5] op_sel:[0,0,1] op_sel_hi:[1,0,0]
	v_mov_b32_e32 v4, v37
	v_mov_b32_e32 v7, v5
	v_pk_mul_f32 v[4:5], v[12:13], v[4:5] op_sel_hi:[1,0]
	v_pk_add_f32 v[2:3], v[2:3], v[6:7]
	v_pk_fma_f32 v[6:7], v[12:13], v[36:37], v[4:5] op_sel:[0,0,1] op_sel_hi:[1,1,0] neg_lo:[0,0,1] neg_hi:[0,0,1]
	v_pk_fma_f32 v[4:5], v[12:13], v[36:37], v[4:5] op_sel:[0,0,1] op_sel_hi:[1,0,0]
	v_mov_b32_e32 v4, v35
	v_mov_b32_e32 v7, v5
	s_waitcnt lgkmcnt(0)
	v_pk_mul_f32 v[4:5], v[14:15], v[4:5] op_sel_hi:[1,0]
	v_pk_add_f32 v[2:3], v[2:3], v[6:7]
	v_pk_fma_f32 v[6:7], v[14:15], v[34:35], v[4:5] op_sel:[0,0,1] op_sel_hi:[1,1,0] neg_lo:[0,0,1] neg_hi:[0,0,1]
	v_pk_fma_f32 v[4:5], v[14:15], v[34:35], v[4:5] op_sel:[0,0,1] op_sel_hi:[1,0,0]
	s_waitcnt vmcnt(1)
	v_mov_b32_e32 v4, v43
	v_mov_b32_e32 v7, v5
	v_pk_mul_f32 v[4:5], v[16:17], v[4:5] op_sel_hi:[1,0]
	v_pk_add_f32 v[2:3], v[2:3], v[6:7]
	s_waitcnt vmcnt(0)
	v_pk_fma_f32 v[6:7], v[16:17], v[42:43], v[4:5] op_sel:[0,0,1] op_sel_hi:[1,1,0] neg_lo:[0,0,1] neg_hi:[0,0,1]
	v_pk_fma_f32 v[4:5], v[16:17], v[42:43], v[4:5] op_sel:[0,0,1] op_sel_hi:[1,0,0]
	v_mov_b32_e32 v7, v5
	v_pk_add_f32 v[2:3], v[2:3], v[6:7]
	v_pk_add_f32 v[2:3], v[26:27], v[2:3] neg_lo:[0,1] neg_hi:[0,1]
	buffer_store_dword v3, off, s[0:3], 0 offset:244
	buffer_store_dword v2, off, s[0:3], 0 offset:240
	s_and_saveexec_b64 s[4:5], vcc
	s_cbranch_execz .LBB114_261
; %bb.260:
	buffer_load_dword v2, off, s[0:3], 0 offset:232
	buffer_load_dword v3, off, s[0:3], 0 offset:236
	v_mov_b32_e32 v1, 0
	buffer_store_dword v1, off, s[0:3], 0 offset:232
	buffer_store_dword v1, off, s[0:3], 0 offset:236
	s_waitcnt vmcnt(2)
	ds_write_b64 v121, v[2:3]
.LBB114_261:
	s_or_b64 exec, exec, s[4:5]
	s_waitcnt lgkmcnt(0)
	; wave barrier
	s_waitcnt lgkmcnt(0)
	buffer_load_dword v52, off, s[0:3], 0 offset:244
	buffer_load_dword v54, off, s[0:3], 0 offset:252
	;; [unrolled: 1-line block ×44, first 2 shown]
	v_mov_b32_e32 v1, 0
	ds_read_b128 v[2:5], v1 offset:656
	ds_read_b128 v[6:9], v1 offset:672
	;; [unrolled: 1-line block ×8, first 2 shown]
	v_cmp_lt_u32_e32 vcc, 28, v0
	s_waitcnt vmcnt(43) lgkmcnt(7)
	v_mul_f32_e32 v57, v2, v52
	s_waitcnt vmcnt(42)
	v_mul_f32_e32 v81, v4, v54
	s_waitcnt vmcnt(41) lgkmcnt(6)
	v_mul_f32_e32 v82, v6, v56
	v_mul_f32_e32 v52, v3, v52
	s_waitcnt vmcnt(40)
	v_mul_f32_e32 v83, v8, v58
	s_waitcnt vmcnt(39) lgkmcnt(5)
	v_mul_f32_e32 v84, v10, v59
	s_waitcnt vmcnt(38)
	v_mul_f32_e32 v85, v12, v60
	s_waitcnt vmcnt(37) lgkmcnt(4)
	;; [unrolled: 4-line block ×4, first 2 shown]
	v_mul_f32_e32 v90, v22, v65
	s_waitcnt vmcnt(32)
	v_mul_f32_e32 v53, v24, v66
	s_waitcnt vmcnt(30)
	v_fmac_f32_e32 v57, v3, v68
	s_waitcnt vmcnt(29)
	v_fmac_f32_e32 v81, v5, v69
	v_add_f32_e32 v3, 0, v57
	s_waitcnt vmcnt(28)
	v_fmac_f32_e32 v82, v7, v70
	v_add_f32_e32 v3, v3, v81
	;; [unrolled: 3-line block ×10, first 2 shown]
	v_add_f32_e32 v57, v3, v90
	v_fma_f32 v2, v2, v68, -v52
	v_mul_f32_e32 v3, v5, v54
	v_add_f32_e32 v2, 0, v2
	v_fma_f32 v3, v4, v69, -v3
	v_add_f32_e32 v2, v2, v3
	v_mul_f32_e32 v3, v7, v56
	v_fma_f32 v3, v6, v70, -v3
	v_add_f32_e32 v2, v2, v3
	v_mul_f32_e32 v3, v9, v58
	;; [unrolled: 3-line block ×9, first 2 shown]
	v_fma_f32 v3, v22, v78, -v3
	s_waitcnt vmcnt(13)
	v_mov_b32_e32 v14, v39
	v_add_f32_e32 v56, v2, v3
	v_mul_f32_e32 v2, v25, v66
	s_waitcnt lgkmcnt(1)
	v_pk_mul_f32 v[14:15], v[28:29], v[14:15] op_sel_hi:[1,0]
	v_mul_f32_e32 v55, v26, v67
	v_fmac_f32_e32 v53, v25, v79
	v_fma_f32 v52, v24, v79, -v2
	v_mul_f32_e32 v2, v27, v67
	s_waitcnt vmcnt(12)
	v_pk_fma_f32 v[16:17], v[28:29], v[38:39], v[14:15] op_sel:[0,0,1] op_sel_hi:[1,1,0] neg_lo:[0,0,1] neg_hi:[0,0,1]
	v_pk_fma_f32 v[14:15], v[28:29], v[38:39], v[14:15] op_sel:[0,0,1] op_sel_hi:[1,0,0]
	v_fmac_f32_e32 v55, v27, v80
	v_fma_f32 v54, v26, v80, -v2
	v_pk_add_f32 v[12:13], v[56:57], v[52:53]
	v_mov_b32_e32 v14, v37
	v_pk_add_f32 v[12:13], v[12:13], v[54:55]
	v_mov_b32_e32 v17, v15
	s_waitcnt lgkmcnt(0)
	v_pk_mul_f32 v[14:15], v[30:31], v[14:15] op_sel_hi:[1,0]
	v_pk_add_f32 v[12:13], v[12:13], v[16:17]
	v_pk_fma_f32 v[16:17], v[30:31], v[36:37], v[14:15] op_sel:[0,0,1] op_sel_hi:[1,1,0] neg_lo:[0,0,1] neg_hi:[0,0,1]
	v_pk_fma_f32 v[14:15], v[30:31], v[36:37], v[14:15] op_sel:[0,0,1] op_sel_hi:[1,0,0]
	s_waitcnt vmcnt(5)
	v_mov_b32_e32 v14, v47
	ds_read_b128 v[2:5], v1 offset:784
	ds_read_b128 v[6:9], v1 offset:800
	ds_read_b64 v[10:11], v1 offset:816
	v_mov_b32_e32 v17, v15
	v_pk_mul_f32 v[14:15], v[32:33], v[14:15] op_sel_hi:[1,0]
	v_pk_add_f32 v[12:13], v[12:13], v[16:17]
	s_waitcnt vmcnt(4)
	v_pk_fma_f32 v[16:17], v[32:33], v[46:47], v[14:15] op_sel:[0,0,1] op_sel_hi:[1,1,0] neg_lo:[0,0,1] neg_hi:[0,0,1]
	v_pk_fma_f32 v[14:15], v[32:33], v[46:47], v[14:15] op_sel:[0,0,1] op_sel_hi:[1,0,0]
	v_mov_b32_e32 v14, v45
	v_mov_b32_e32 v17, v15
	s_waitcnt lgkmcnt(2)
	v_pk_mul_f32 v[14:15], v[2:3], v[14:15] op_sel_hi:[1,0]
	v_pk_add_f32 v[12:13], v[12:13], v[16:17]
	v_pk_fma_f32 v[16:17], v[2:3], v[44:45], v[14:15] op_sel:[0,0,1] op_sel_hi:[1,1,0] neg_lo:[0,0,1] neg_hi:[0,0,1]
	v_pk_fma_f32 v[2:3], v[2:3], v[44:45], v[14:15] op_sel:[0,0,1] op_sel_hi:[1,0,0]
	v_mov_b32_e32 v17, v3
	v_pk_add_f32 v[2:3], v[12:13], v[16:17]
	v_mov_b32_e32 v12, v43
	v_pk_mul_f32 v[12:13], v[4:5], v[12:13] op_sel_hi:[1,0]
	v_pk_fma_f32 v[14:15], v[4:5], v[42:43], v[12:13] op_sel:[0,0,1] op_sel_hi:[1,1,0] neg_lo:[0,0,1] neg_hi:[0,0,1]
	v_pk_fma_f32 v[4:5], v[4:5], v[42:43], v[12:13] op_sel:[0,0,1] op_sel_hi:[1,0,0]
	v_mov_b32_e32 v4, v41
	v_mov_b32_e32 v15, v5
	s_waitcnt lgkmcnt(1)
	v_pk_mul_f32 v[4:5], v[6:7], v[4:5] op_sel_hi:[1,0]
	v_pk_fma_f32 v[12:13], v[6:7], v[40:41], v[4:5] op_sel:[0,0,1] op_sel_hi:[1,1,0] neg_lo:[0,0,1] neg_hi:[0,0,1]
	v_pk_fma_f32 v[4:5], v[6:7], v[40:41], v[4:5] op_sel:[0,0,1] op_sel_hi:[1,0,0]
	s_waitcnt vmcnt(1)
	v_mov_b32_e32 v4, v51
	v_mov_b32_e32 v13, v5
	v_pk_mul_f32 v[4:5], v[8:9], v[4:5] op_sel_hi:[1,0]
	s_waitcnt vmcnt(0)
	v_pk_fma_f32 v[6:7], v[8:9], v[50:51], v[4:5] op_sel:[0,0,1] op_sel_hi:[1,1,0] neg_lo:[0,0,1] neg_hi:[0,0,1]
	v_pk_fma_f32 v[4:5], v[8:9], v[50:51], v[4:5] op_sel:[0,0,1] op_sel_hi:[1,0,0]
	v_pk_add_f32 v[2:3], v[2:3], v[14:15]
	v_mov_b32_e32 v4, v49
	v_pk_add_f32 v[2:3], v[2:3], v[12:13]
	v_mov_b32_e32 v7, v5
	s_waitcnt lgkmcnt(0)
	v_pk_mul_f32 v[4:5], v[10:11], v[4:5] op_sel_hi:[1,0]
	v_pk_add_f32 v[2:3], v[2:3], v[6:7]
	v_pk_fma_f32 v[6:7], v[10:11], v[48:49], v[4:5] op_sel:[0,0,1] op_sel_hi:[1,1,0] neg_lo:[0,0,1] neg_hi:[0,0,1]
	v_pk_fma_f32 v[4:5], v[10:11], v[48:49], v[4:5] op_sel:[0,0,1] op_sel_hi:[1,0,0]
	v_mov_b32_e32 v7, v5
	v_pk_add_f32 v[2:3], v[2:3], v[6:7]
	v_pk_add_f32 v[2:3], v[34:35], v[2:3] neg_lo:[0,1] neg_hi:[0,1]
	buffer_store_dword v3, off, s[0:3], 0 offset:236
	buffer_store_dword v2, off, s[0:3], 0 offset:232
	s_and_saveexec_b64 s[4:5], vcc
	s_cbranch_execz .LBB114_263
; %bb.262:
	buffer_load_dword v2, off, s[0:3], 0 offset:224
	buffer_load_dword v3, off, s[0:3], 0 offset:228
	s_waitcnt vmcnt(0)
	ds_write_b64 v121, v[2:3]
	buffer_store_dword v1, off, s[0:3], 0 offset:224
	buffer_store_dword v1, off, s[0:3], 0 offset:228
.LBB114_263:
	s_or_b64 exec, exec, s[4:5]
	s_waitcnt lgkmcnt(0)
	; wave barrier
	s_waitcnt lgkmcnt(0)
	buffer_load_dword v52, off, s[0:3], 0 offset:236
	buffer_load_dword v54, off, s[0:3], 0 offset:244
	;; [unrolled: 1-line block ×30, first 2 shown]
	ds_read2_b64 v[2:5], v1 offset0:81 offset1:82
	ds_read2_b64 v[6:9], v1 offset0:83 offset1:84
	;; [unrolled: 1-line block ×6, first 2 shown]
	buffer_load_dword v37, off, s[0:3], 0 offset:348
	buffer_load_dword v36, off, s[0:3], 0 offset:344
	ds_read2_b64 v[26:29], v1 offset0:93 offset1:94
	ds_read2_b64 v[30:33], v1 offset0:95 offset1:96
	buffer_load_dword v39, off, s[0:3], 0 offset:380
	buffer_load_dword v38, off, s[0:3], 0 offset:376
	buffer_load_dword v41, off, s[0:3], 0 offset:372
	buffer_load_dword v40, off, s[0:3], 0 offset:368
	buffer_load_dword v43, off, s[0:3], 0 offset:364
	buffer_load_dword v42, off, s[0:3], 0 offset:360
	buffer_load_dword v45, off, s[0:3], 0 offset:356
	buffer_load_dword v44, off, s[0:3], 0 offset:352
	buffer_load_dword v47, off, s[0:3], 0 offset:404
	buffer_load_dword v46, off, s[0:3], 0 offset:400
	buffer_load_dword v49, off, s[0:3], 0 offset:396
	buffer_load_dword v48, off, s[0:3], 0 offset:392
	buffer_load_dword v51, off, s[0:3], 0 offset:388
	buffer_load_dword v50, off, s[0:3], 0 offset:384
	v_cmp_lt_u32_e32 vcc, 27, v0
	s_waitcnt vmcnt(45) lgkmcnt(7)
	v_mul_f32_e32 v55, v2, v52
	s_waitcnt vmcnt(44)
	v_mul_f32_e32 v57, v4, v54
	s_waitcnt vmcnt(43) lgkmcnt(6)
	v_mul_f32_e32 v83, v6, v56
	s_waitcnt vmcnt(42)
	v_mul_f32_e32 v84, v8, v58
	;; [unrolled: 4-line block ×6, first 2 shown]
	s_waitcnt vmcnt(33) lgkmcnt(1)
	v_mul_f32_e32 v53, v26, v67
	s_waitcnt vmcnt(32)
	v_fmac_f32_e32 v55, v3, v68
	v_mul_f32_e32 v3, v3, v52
	v_fma_f32 v2, v2, v68, -v3
	v_mul_f32_e32 v3, v5, v54
	v_add_f32_e32 v2, 0, v2
	s_waitcnt vmcnt(31)
	v_fma_f32 v3, v4, v69, -v3
	v_add_f32_e32 v2, v2, v3
	v_mul_f32_e32 v3, v7, v56
	s_waitcnt vmcnt(30)
	v_fma_f32 v3, v6, v70, -v3
	v_add_f32_e32 v2, v2, v3
	v_mul_f32_e32 v3, v9, v58
	;; [unrolled: 4-line block ×5, first 2 shown]
	s_waitcnt vmcnt(26)
	v_fma_f32 v3, v14, v74, -v3
	v_fmac_f32_e32 v57, v5, v69
	v_add_f32_e32 v55, 0, v55
	v_add_f32_e32 v2, v2, v3
	v_mul_f32_e32 v3, v17, v62
	v_fmac_f32_e32 v83, v7, v70
	v_add_f32_e32 v55, v55, v57
	s_waitcnt vmcnt(25)
	v_fma_f32 v3, v16, v75, -v3
	v_fmac_f32_e32 v84, v9, v71
	v_add_f32_e32 v55, v55, v83
	v_add_f32_e32 v2, v2, v3
	v_mul_f32_e32 v3, v19, v63
	v_fmac_f32_e32 v85, v11, v72
	v_add_f32_e32 v55, v55, v84
	;; [unrolled: 8-line block ×5, first 2 shown]
	s_waitcnt vmcnt(21)
	v_fma_f32 v3, v24, v79, -v3
	s_waitcnt vmcnt(15)
	v_mov_b32_e32 v16, v37
	v_fmac_f32_e32 v92, v25, v79
	v_add_f32_e32 v55, v55, v91
	v_add_f32_e32 v54, v2, v3
	v_mul_f32_e32 v2, v27, v67
	s_waitcnt lgkmcnt(0)
	v_pk_mul_f32 v[16:17], v[30:31], v[16:17] op_sel_hi:[1,0]
	v_fmac_f32_e32 v53, v27, v80
	v_add_f32_e32 v55, v55, v92
	v_mul_f32_e32 v57, v28, v81
	v_fma_f32 v52, v26, v80, -v2
	v_mul_f32_e32 v2, v29, v81
	s_waitcnt vmcnt(14)
	v_pk_fma_f32 v[18:19], v[30:31], v[36:37], v[16:17] op_sel:[0,0,1] op_sel_hi:[1,1,0] neg_lo:[0,0,1] neg_hi:[0,0,1]
	v_pk_fma_f32 v[16:17], v[30:31], v[36:37], v[16:17] op_sel:[0,0,1] op_sel_hi:[1,0,0]
	v_fmac_f32_e32 v57, v29, v82
	v_fma_f32 v56, v28, v82, -v2
	v_pk_add_f32 v[14:15], v[54:55], v[52:53]
	s_waitcnt vmcnt(7)
	v_mov_b32_e32 v16, v45
	ds_read2_b64 v[2:5], v1 offset0:97 offset1:98
	ds_read2_b64 v[6:9], v1 offset0:99 offset1:100
	;; [unrolled: 1-line block ×3, first 2 shown]
	v_pk_add_f32 v[14:15], v[14:15], v[56:57]
	v_mov_b32_e32 v19, v17
	v_pk_mul_f32 v[16:17], v[32:33], v[16:17] op_sel_hi:[1,0]
	v_pk_add_f32 v[14:15], v[14:15], v[18:19]
	s_waitcnt vmcnt(6)
	v_pk_fma_f32 v[18:19], v[32:33], v[44:45], v[16:17] op_sel:[0,0,1] op_sel_hi:[1,1,0] neg_lo:[0,0,1] neg_hi:[0,0,1]
	v_pk_fma_f32 v[16:17], v[32:33], v[44:45], v[16:17] op_sel:[0,0,1] op_sel_hi:[1,0,0]
	v_mov_b32_e32 v16, v43
	v_mov_b32_e32 v19, v17
	s_waitcnt lgkmcnt(2)
	v_pk_mul_f32 v[16:17], v[2:3], v[16:17] op_sel_hi:[1,0]
	v_pk_add_f32 v[14:15], v[14:15], v[18:19]
	v_pk_fma_f32 v[18:19], v[2:3], v[42:43], v[16:17] op_sel:[0,0,1] op_sel_hi:[1,1,0] neg_lo:[0,0,1] neg_hi:[0,0,1]
	v_pk_fma_f32 v[2:3], v[2:3], v[42:43], v[16:17] op_sel:[0,0,1] op_sel_hi:[1,0,0]
	v_mov_b32_e32 v19, v3
	v_pk_add_f32 v[2:3], v[14:15], v[18:19]
	v_mov_b32_e32 v14, v41
	v_pk_mul_f32 v[14:15], v[4:5], v[14:15] op_sel_hi:[1,0]
	v_pk_fma_f32 v[16:17], v[4:5], v[40:41], v[14:15] op_sel:[0,0,1] op_sel_hi:[1,1,0] neg_lo:[0,0,1] neg_hi:[0,0,1]
	v_pk_fma_f32 v[4:5], v[4:5], v[40:41], v[14:15] op_sel:[0,0,1] op_sel_hi:[1,0,0]
	v_mov_b32_e32 v4, v39
	v_mov_b32_e32 v17, v5
	s_waitcnt lgkmcnt(1)
	v_pk_mul_f32 v[4:5], v[6:7], v[4:5] op_sel_hi:[1,0]
	v_pk_fma_f32 v[14:15], v[6:7], v[38:39], v[4:5] op_sel:[0,0,1] op_sel_hi:[1,1,0] neg_lo:[0,0,1] neg_hi:[0,0,1]
	v_pk_fma_f32 v[4:5], v[6:7], v[38:39], v[4:5] op_sel:[0,0,1] op_sel_hi:[1,0,0]
	s_waitcnt vmcnt(1)
	v_mov_b32_e32 v4, v51
	v_mov_b32_e32 v15, v5
	v_pk_mul_f32 v[4:5], v[8:9], v[4:5] op_sel_hi:[1,0]
	s_waitcnt vmcnt(0)
	v_pk_fma_f32 v[6:7], v[8:9], v[50:51], v[4:5] op_sel:[0,0,1] op_sel_hi:[1,1,0] neg_lo:[0,0,1] neg_hi:[0,0,1]
	v_pk_fma_f32 v[4:5], v[8:9], v[50:51], v[4:5] op_sel:[0,0,1] op_sel_hi:[1,0,0]
	v_pk_add_f32 v[2:3], v[2:3], v[16:17]
	v_mov_b32_e32 v4, v49
	v_pk_add_f32 v[2:3], v[2:3], v[14:15]
	v_mov_b32_e32 v7, v5
	s_waitcnt lgkmcnt(0)
	v_pk_mul_f32 v[4:5], v[10:11], v[4:5] op_sel_hi:[1,0]
	v_pk_add_f32 v[2:3], v[2:3], v[6:7]
	v_pk_fma_f32 v[6:7], v[10:11], v[48:49], v[4:5] op_sel:[0,0,1] op_sel_hi:[1,1,0] neg_lo:[0,0,1] neg_hi:[0,0,1]
	v_pk_fma_f32 v[4:5], v[10:11], v[48:49], v[4:5] op_sel:[0,0,1] op_sel_hi:[1,0,0]
	v_mov_b32_e32 v4, v47
	v_mov_b32_e32 v7, v5
	v_pk_mul_f32 v[4:5], v[12:13], v[4:5] op_sel_hi:[1,0]
	v_pk_add_f32 v[2:3], v[2:3], v[6:7]
	v_pk_fma_f32 v[6:7], v[12:13], v[46:47], v[4:5] op_sel:[0,0,1] op_sel_hi:[1,1,0] neg_lo:[0,0,1] neg_hi:[0,0,1]
	v_pk_fma_f32 v[4:5], v[12:13], v[46:47], v[4:5] op_sel:[0,0,1] op_sel_hi:[1,0,0]
	v_mov_b32_e32 v7, v5
	v_pk_add_f32 v[2:3], v[2:3], v[6:7]
	v_pk_add_f32 v[2:3], v[34:35], v[2:3] neg_lo:[0,1] neg_hi:[0,1]
	buffer_store_dword v3, off, s[0:3], 0 offset:228
	buffer_store_dword v2, off, s[0:3], 0 offset:224
	s_and_saveexec_b64 s[4:5], vcc
	s_cbranch_execz .LBB114_265
; %bb.264:
	buffer_load_dword v2, off, s[0:3], 0 offset:216
	buffer_load_dword v3, off, s[0:3], 0 offset:220
	v_mov_b32_e32 v1, 0
	buffer_store_dword v1, off, s[0:3], 0 offset:216
	buffer_store_dword v1, off, s[0:3], 0 offset:220
	s_waitcnt vmcnt(2)
	ds_write_b64 v121, v[2:3]
.LBB114_265:
	s_or_b64 exec, exec, s[4:5]
	s_waitcnt lgkmcnt(0)
	; wave barrier
	s_waitcnt lgkmcnt(0)
	buffer_load_dword v50, off, s[0:3], 0 offset:228
	buffer_load_dword v54, off, s[0:3], 0 offset:236
	;; [unrolled: 1-line block ×32, first 2 shown]
	v_mov_b32_e32 v1, 0
	buffer_load_dword v37, off, s[0:3], 0 offset:372
	buffer_load_dword v36, off, s[0:3], 0 offset:368
	;; [unrolled: 1-line block ×13, first 2 shown]
	ds_read_b128 v[2:5], v1 offset:640
	ds_read_b128 v[6:9], v1 offset:656
	;; [unrolled: 1-line block ×8, first 2 shown]
	v_cmp_lt_u32_e32 vcc, 26, v0
	s_waitcnt vmcnt(44) lgkmcnt(7)
	v_mul_f32_e32 v44, v2, v50
	s_waitcnt vmcnt(43)
	v_mul_f32_e32 v51, v4, v54
	s_waitcnt vmcnt(42) lgkmcnt(6)
	v_mul_f32_e32 v52, v6, v56
	s_waitcnt vmcnt(41)
	v_mul_f32_e32 v53, v8, v58
	;; [unrolled: 4-line block ×6, first 2 shown]
	s_waitcnt vmcnt(32) lgkmcnt(1)
	v_mul_f32_e32 v91, v26, v67
	s_waitcnt vmcnt(31)
	v_fmac_f32_e32 v44, v3, v68
	s_waitcnt vmcnt(30)
	v_fmac_f32_e32 v51, v5, v69
	v_add_f32_e32 v44, 0, v44
	s_waitcnt vmcnt(29)
	v_fmac_f32_e32 v52, v7, v70
	v_add_f32_e32 v44, v44, v51
	;; [unrolled: 3-line block ×12, first 2 shown]
	v_add_f32_e32 v51, v44, v91
	buffer_load_dword v53, off, s[0:3], 0 offset:388
	buffer_load_dword v52, off, s[0:3], 0 offset:384
	;; [unrolled: 1-line block ×3, first 2 shown]
	v_mul_f32_e32 v3, v3, v50
	v_fma_f32 v2, v2, v68, -v3
	v_mul_f32_e32 v3, v5, v54
	v_add_f32_e32 v2, 0, v2
	v_fma_f32 v3, v4, v69, -v3
	v_add_f32_e32 v2, v2, v3
	v_mul_f32_e32 v3, v7, v56
	v_fma_f32 v3, v6, v70, -v3
	v_add_f32_e32 v2, v2, v3
	v_mul_f32_e32 v3, v9, v58
	;; [unrolled: 3-line block ×11, first 2 shown]
	v_fma_f32 v3, v26, v80, -v3
	v_add_f32_e32 v50, v2, v3
	s_waitcnt vmcnt(21)
	v_mul_f32_e32 v2, v29, v81
	s_waitcnt vmcnt(9)
	v_mov_b32_e32 v18, v43
	v_mul_f32_e32 v55, v28, v81
	v_fma_f32 v54, v28, v82, -v2
	s_waitcnt lgkmcnt(0)
	v_mul_f32_e32 v2, v31, v83
	v_pk_mul_f32 v[18:19], v[32:33], v[18:19] op_sel_hi:[1,0]
	v_fmac_f32_e32 v55, v29, v82
	v_mul_f32_e32 v57, v30, v83
	v_fma_f32 v56, v30, v84, -v2
	ds_read_b128 v[2:5], v1 offset:768
	ds_read_b128 v[6:9], v1 offset:784
	;; [unrolled: 1-line block ×3, first 2 shown]
	ds_read_b64 v[14:15], v1 offset:816
	s_waitcnt vmcnt(8)
	v_pk_fma_f32 v[20:21], v[32:33], v[42:43], v[18:19] op_sel:[0,0,1] op_sel_hi:[1,1,0] neg_lo:[0,0,1] neg_hi:[0,0,1]
	v_pk_fma_f32 v[18:19], v[32:33], v[42:43], v[18:19] op_sel:[0,0,1] op_sel_hi:[1,0,0]
	v_fmac_f32_e32 v57, v31, v84
	v_pk_add_f32 v[16:17], v[50:51], v[54:55]
	v_mov_b32_e32 v18, v41
	v_pk_add_f32 v[16:17], v[16:17], v[56:57]
	v_mov_b32_e32 v21, v19
	s_waitcnt lgkmcnt(3)
	v_pk_mul_f32 v[18:19], v[2:3], v[18:19] op_sel_hi:[1,0]
	v_pk_add_f32 v[16:17], v[16:17], v[20:21]
	v_pk_fma_f32 v[20:21], v[2:3], v[40:41], v[18:19] op_sel:[0,0,1] op_sel_hi:[1,1,0] neg_lo:[0,0,1] neg_hi:[0,0,1]
	v_pk_fma_f32 v[2:3], v[2:3], v[40:41], v[18:19] op_sel:[0,0,1] op_sel_hi:[1,0,0]
	v_mov_b32_e32 v21, v3
	v_pk_add_f32 v[2:3], v[16:17], v[20:21]
	v_mov_b32_e32 v16, v39
	v_pk_mul_f32 v[16:17], v[4:5], v[16:17] op_sel_hi:[1,0]
	v_pk_fma_f32 v[18:19], v[4:5], v[38:39], v[16:17] op_sel:[0,0,1] op_sel_hi:[1,1,0] neg_lo:[0,0,1] neg_hi:[0,0,1]
	v_pk_fma_f32 v[4:5], v[4:5], v[38:39], v[16:17] op_sel:[0,0,1] op_sel_hi:[1,0,0]
	v_mov_b32_e32 v4, v37
	v_mov_b32_e32 v19, v5
	s_waitcnt lgkmcnt(2)
	v_pk_mul_f32 v[4:5], v[6:7], v[4:5] op_sel_hi:[1,0]
	v_pk_fma_f32 v[16:17], v[6:7], v[36:37], v[4:5] op_sel:[0,0,1] op_sel_hi:[1,1,0] neg_lo:[0,0,1] neg_hi:[0,0,1]
	v_pk_fma_f32 v[4:5], v[6:7], v[36:37], v[4:5] op_sel:[0,0,1] op_sel_hi:[1,0,0]
	s_waitcnt vmcnt(7)
	v_mov_b32_e32 v4, v45
	v_mov_b32_e32 v17, v5
	v_pk_mul_f32 v[4:5], v[8:9], v[4:5] op_sel_hi:[1,0]
	v_pk_add_f32 v[2:3], v[2:3], v[18:19]
	v_pk_add_f32 v[2:3], v[2:3], v[16:17]
	s_waitcnt vmcnt(0)
	v_pk_fma_f32 v[6:7], v[8:9], v[44:45], v[4:5] op_sel:[0,0,1] op_sel_hi:[1,1,0] neg_lo:[0,0,1] neg_hi:[0,0,1]
	v_pk_fma_f32 v[4:5], v[8:9], v[44:45], v[4:5] op_sel:[0,0,1] op_sel_hi:[1,0,0]
	v_mov_b32_e32 v4, v53
	v_mov_b32_e32 v7, v5
	s_waitcnt lgkmcnt(1)
	v_pk_mul_f32 v[4:5], v[10:11], v[4:5] op_sel_hi:[1,0]
	v_pk_add_f32 v[2:3], v[2:3], v[6:7]
	v_pk_fma_f32 v[6:7], v[10:11], v[52:53], v[4:5] op_sel:[0,0,1] op_sel_hi:[1,1,0] neg_lo:[0,0,1] neg_hi:[0,0,1]
	v_pk_fma_f32 v[4:5], v[10:11], v[52:53], v[4:5] op_sel:[0,0,1] op_sel_hi:[1,0,0]
	v_mov_b32_e32 v4, v49
	v_mov_b32_e32 v7, v5
	v_pk_mul_f32 v[4:5], v[12:13], v[4:5] op_sel_hi:[1,0]
	v_pk_add_f32 v[2:3], v[2:3], v[6:7]
	v_pk_fma_f32 v[6:7], v[12:13], v[48:49], v[4:5] op_sel:[0,0,1] op_sel_hi:[1,1,0] neg_lo:[0,0,1] neg_hi:[0,0,1]
	v_pk_fma_f32 v[4:5], v[12:13], v[48:49], v[4:5] op_sel:[0,0,1] op_sel_hi:[1,0,0]
	v_mov_b32_e32 v4, v47
	v_mov_b32_e32 v7, v5
	s_waitcnt lgkmcnt(0)
	v_pk_mul_f32 v[4:5], v[14:15], v[4:5] op_sel_hi:[1,0]
	v_pk_add_f32 v[2:3], v[2:3], v[6:7]
	v_pk_fma_f32 v[6:7], v[14:15], v[46:47], v[4:5] op_sel:[0,0,1] op_sel_hi:[1,1,0] neg_lo:[0,0,1] neg_hi:[0,0,1]
	v_pk_fma_f32 v[4:5], v[14:15], v[46:47], v[4:5] op_sel:[0,0,1] op_sel_hi:[1,0,0]
	v_mov_b32_e32 v7, v5
	v_pk_add_f32 v[2:3], v[2:3], v[6:7]
	v_pk_add_f32 v[2:3], v[34:35], v[2:3] neg_lo:[0,1] neg_hi:[0,1]
	buffer_store_dword v3, off, s[0:3], 0 offset:220
	buffer_store_dword v2, off, s[0:3], 0 offset:216
	s_and_saveexec_b64 s[4:5], vcc
	s_cbranch_execz .LBB114_267
; %bb.266:
	buffer_load_dword v2, off, s[0:3], 0 offset:208
	buffer_load_dword v3, off, s[0:3], 0 offset:212
	s_waitcnt vmcnt(0)
	ds_write_b64 v121, v[2:3]
	buffer_store_dword v1, off, s[0:3], 0 offset:208
	buffer_store_dword v1, off, s[0:3], 0 offset:212
.LBB114_267:
	s_or_b64 exec, exec, s[4:5]
	s_waitcnt lgkmcnt(0)
	; wave barrier
	s_waitcnt lgkmcnt(0)
	buffer_load_dword v50, off, s[0:3], 0 offset:220
	buffer_load_dword v52, off, s[0:3], 0 offset:228
	;; [unrolled: 1-line block ×34, first 2 shown]
	ds_read2_b64 v[2:5], v1 offset0:79 offset1:80
	ds_read2_b64 v[6:9], v1 offset0:81 offset1:82
	;; [unrolled: 1-line block ×8, first 2 shown]
	buffer_load_dword v37, off, s[0:3], 0 offset:364
	buffer_load_dword v36, off, s[0:3], 0 offset:360
	;; [unrolled: 1-line block ×9, first 2 shown]
	v_cmp_lt_u32_e32 vcc, 25, v0
	s_waitcnt vmcnt(42) lgkmcnt(7)
	v_mul_f32_e32 v42, v2, v50
	s_waitcnt vmcnt(41)
	v_mul_f32_e32 v46, v4, v52
	s_waitcnt vmcnt(40) lgkmcnt(6)
	v_mul_f32_e32 v47, v6, v54
	s_waitcnt vmcnt(39)
	v_mul_f32_e32 v48, v8, v58
	;; [unrolled: 4-line block ×7, first 2 shown]
	s_waitcnt vmcnt(28)
	v_fmac_f32_e32 v42, v3, v69
	s_waitcnt vmcnt(27)
	v_fmac_f32_e32 v46, v5, v70
	v_add_f32_e32 v42, 0, v42
	s_waitcnt vmcnt(26)
	v_fmac_f32_e32 v47, v7, v71
	v_add_f32_e32 v42, v42, v46
	;; [unrolled: 3-line block ×12, first 2 shown]
	v_add_f32_e32 v51, v42, v89
	buffer_load_dword v47, off, s[0:3], 0 offset:388
	buffer_load_dword v46, off, s[0:3], 0 offset:384
	;; [unrolled: 1-line block ×7, first 2 shown]
	v_mul_f32_e32 v3, v3, v50
	v_fma_f32 v2, v2, v69, -v3
	v_mul_f32_e32 v3, v5, v52
	v_add_f32_e32 v2, 0, v2
	v_fma_f32 v3, v4, v70, -v3
	v_add_f32_e32 v2, v2, v3
	v_mul_f32_e32 v3, v7, v54
	v_fma_f32 v3, v6, v71, -v3
	v_add_f32_e32 v2, v2, v3
	v_mul_f32_e32 v3, v9, v58
	;; [unrolled: 3-line block ×12, first 2 shown]
	s_waitcnt vmcnt(22)
	v_fma_f32 v3, v28, v82, -v3
	v_add_f32_e32 v50, v2, v3
	s_waitcnt vmcnt(21) lgkmcnt(0)
	v_mul_f32_e32 v2, v31, v83
	s_waitcnt vmcnt(20)
	v_fma_f32 v52, v30, v84, -v2
	s_waitcnt vmcnt(19)
	v_mul_f32_e32 v2, v33, v85
	s_waitcnt vmcnt(18)
	v_fma_f32 v54, v32, v86, -v2
	ds_read2_b64 v[2:5], v1 offset0:95 offset1:96
	ds_read2_b64 v[6:9], v1 offset0:97 offset1:98
	;; [unrolled: 1-line block ×4, first 2 shown]
	v_fmac_f32_e32 v90, v29, v82
	v_mul_f32_e32 v53, v30, v83
	s_waitcnt vmcnt(11)
	v_mov_b32_e32 v20, v41
	v_add_f32_e32 v51, v51, v90
	v_fmac_f32_e32 v53, v31, v84
	v_mul_f32_e32 v55, v32, v85
	s_waitcnt lgkmcnt(3)
	v_pk_mul_f32 v[20:21], v[2:3], v[20:21] op_sel_hi:[1,0]
	v_fmac_f32_e32 v55, v33, v86
	v_pk_add_f32 v[18:19], v[50:51], v[52:53]
	s_waitcnt vmcnt(10)
	v_pk_fma_f32 v[22:23], v[2:3], v[40:41], v[20:21] op_sel:[0,0,1] op_sel_hi:[1,1,0] neg_lo:[0,0,1] neg_hi:[0,0,1]
	v_pk_fma_f32 v[2:3], v[2:3], v[40:41], v[20:21] op_sel:[0,0,1] op_sel_hi:[1,0,0]
	v_pk_add_f32 v[18:19], v[18:19], v[54:55]
	v_mov_b32_e32 v23, v3
	v_pk_add_f32 v[2:3], v[18:19], v[22:23]
	v_mov_b32_e32 v18, v39
	v_pk_mul_f32 v[18:19], v[4:5], v[18:19] op_sel_hi:[1,0]
	v_pk_fma_f32 v[20:21], v[4:5], v[38:39], v[18:19] op_sel:[0,0,1] op_sel_hi:[1,1,0] neg_lo:[0,0,1] neg_hi:[0,0,1]
	v_pk_fma_f32 v[4:5], v[4:5], v[38:39], v[18:19] op_sel:[0,0,1] op_sel_hi:[1,0,0]
	v_mov_b32_e32 v4, v37
	v_mov_b32_e32 v21, v5
	s_waitcnt lgkmcnt(2)
	v_pk_mul_f32 v[4:5], v[6:7], v[4:5] op_sel_hi:[1,0]
	v_pk_fma_f32 v[18:19], v[6:7], v[36:37], v[4:5] op_sel:[0,0,1] op_sel_hi:[1,1,0] neg_lo:[0,0,1] neg_hi:[0,0,1]
	v_pk_fma_f32 v[4:5], v[6:7], v[36:37], v[4:5] op_sel:[0,0,1] op_sel_hi:[1,0,0]
	s_waitcnt vmcnt(9)
	v_mov_b32_e32 v4, v43
	v_mov_b32_e32 v19, v5
	v_pk_mul_f32 v[4:5], v[8:9], v[4:5] op_sel_hi:[1,0]
	v_pk_add_f32 v[2:3], v[2:3], v[20:21]
	v_pk_add_f32 v[2:3], v[2:3], v[18:19]
	s_waitcnt vmcnt(2)
	v_pk_fma_f32 v[6:7], v[8:9], v[42:43], v[4:5] op_sel:[0,0,1] op_sel_hi:[1,1,0] neg_lo:[0,0,1] neg_hi:[0,0,1]
	v_pk_fma_f32 v[4:5], v[8:9], v[42:43], v[4:5] op_sel:[0,0,1] op_sel_hi:[1,0,0]
	v_mov_b32_e32 v4, v49
	v_mov_b32_e32 v7, v5
	s_waitcnt lgkmcnt(1)
	v_pk_mul_f32 v[4:5], v[10:11], v[4:5] op_sel_hi:[1,0]
	v_pk_add_f32 v[2:3], v[2:3], v[6:7]
	v_pk_fma_f32 v[6:7], v[10:11], v[48:49], v[4:5] op_sel:[0,0,1] op_sel_hi:[1,1,0] neg_lo:[0,0,1] neg_hi:[0,0,1]
	v_pk_fma_f32 v[4:5], v[10:11], v[48:49], v[4:5] op_sel:[0,0,1] op_sel_hi:[1,0,0]
	v_mov_b32_e32 v4, v47
	v_mov_b32_e32 v7, v5
	v_pk_mul_f32 v[4:5], v[12:13], v[4:5] op_sel_hi:[1,0]
	v_pk_add_f32 v[2:3], v[2:3], v[6:7]
	v_pk_fma_f32 v[6:7], v[12:13], v[46:47], v[4:5] op_sel:[0,0,1] op_sel_hi:[1,1,0] neg_lo:[0,0,1] neg_hi:[0,0,1]
	v_pk_fma_f32 v[4:5], v[12:13], v[46:47], v[4:5] op_sel:[0,0,1] op_sel_hi:[1,0,0]
	v_mov_b32_e32 v4, v45
	v_mov_b32_e32 v7, v5
	s_waitcnt lgkmcnt(0)
	v_pk_mul_f32 v[4:5], v[14:15], v[4:5] op_sel_hi:[1,0]
	v_pk_add_f32 v[2:3], v[2:3], v[6:7]
	v_pk_fma_f32 v[6:7], v[14:15], v[44:45], v[4:5] op_sel:[0,0,1] op_sel_hi:[1,1,0] neg_lo:[0,0,1] neg_hi:[0,0,1]
	v_pk_fma_f32 v[4:5], v[14:15], v[44:45], v[4:5] op_sel:[0,0,1] op_sel_hi:[1,0,0]
	s_waitcnt vmcnt(1)
	v_mov_b32_e32 v4, v57
	v_mov_b32_e32 v7, v5
	v_pk_mul_f32 v[4:5], v[16:17], v[4:5] op_sel_hi:[1,0]
	v_pk_add_f32 v[2:3], v[2:3], v[6:7]
	s_waitcnt vmcnt(0)
	v_pk_fma_f32 v[6:7], v[16:17], v[56:57], v[4:5] op_sel:[0,0,1] op_sel_hi:[1,1,0] neg_lo:[0,0,1] neg_hi:[0,0,1]
	v_pk_fma_f32 v[4:5], v[16:17], v[56:57], v[4:5] op_sel:[0,0,1] op_sel_hi:[1,0,0]
	v_mov_b32_e32 v7, v5
	v_pk_add_f32 v[2:3], v[2:3], v[6:7]
	v_pk_add_f32 v[2:3], v[34:35], v[2:3] neg_lo:[0,1] neg_hi:[0,1]
	buffer_store_dword v3, off, s[0:3], 0 offset:212
	buffer_store_dword v2, off, s[0:3], 0 offset:208
	s_and_saveexec_b64 s[4:5], vcc
	s_cbranch_execz .LBB114_269
; %bb.268:
	buffer_load_dword v2, off, s[0:3], 0 offset:200
	buffer_load_dword v3, off, s[0:3], 0 offset:204
	v_mov_b32_e32 v1, 0
	buffer_store_dword v1, off, s[0:3], 0 offset:200
	buffer_store_dword v1, off, s[0:3], 0 offset:204
	s_waitcnt vmcnt(2)
	ds_write_b64 v121, v[2:3]
.LBB114_269:
	s_or_b64 exec, exec, s[4:5]
	s_waitcnt lgkmcnt(0)
	; wave barrier
	s_waitcnt lgkmcnt(0)
	buffer_load_dword v56, off, s[0:3], 0 offset:212
	buffer_load_dword v58, off, s[0:3], 0 offset:220
	;; [unrolled: 1-line block ×36, first 2 shown]
	v_mov_b32_e32 v1, 0
	buffer_load_dword v45, off, s[0:3], 0 offset:356
	buffer_load_dword v44, off, s[0:3], 0 offset:352
	;; [unrolled: 1-line block ×5, first 2 shown]
	ds_read_b128 v[4:7], v1 offset:624
	ds_read_b128 v[8:11], v1 offset:640
	;; [unrolled: 1-line block ×8, first 2 shown]
	v_cmp_lt_u32_e32 vcc, 24, v0
	s_waitcnt vmcnt(40) lgkmcnt(7)
	v_mul_f32_e32 v36, v4, v56
	s_waitcnt vmcnt(39)
	v_mul_f32_e32 v37, v6, v58
	s_waitcnt vmcnt(38) lgkmcnt(6)
	v_mul_f32_e32 v38, v8, v60
	s_waitcnt vmcnt(37)
	v_mul_f32_e32 v39, v10, v66
	;; [unrolled: 4-line block ×7, first 2 shown]
	s_waitcnt vmcnt(26) lgkmcnt(0)
	v_mul_f32_e32 v57, v32, v77
	s_waitcnt vmcnt(25)
	v_fmac_f32_e32 v36, v5, v78
	s_waitcnt vmcnt(24)
	v_fmac_f32_e32 v37, v7, v79
	v_add_f32_e32 v36, 0, v36
	s_waitcnt vmcnt(23)
	v_fmac_f32_e32 v38, v9, v80
	v_add_f32_e32 v36, v36, v37
	;; [unrolled: 3-line block ×13, first 2 shown]
	v_add_f32_e32 v40, v36, v54
	buffer_load_dword v51, off, s[0:3], 0 offset:388
	buffer_load_dword v50, off, s[0:3], 0 offset:384
	;; [unrolled: 1-line block ×7, first 2 shown]
	s_waitcnt vmcnt(18)
	v_fmac_f32_e32 v57, v33, v92
	ds_read_b128 v[36:39], v1 offset:752
	v_add_f32_e32 v57, v40, v57
	ds_read_b128 v[40:43], v1 offset:768
	buffer_load_dword v63, off, s[0:3], 0 offset:404
	buffer_load_dword v62, off, s[0:3], 0 offset:400
	;; [unrolled: 1-line block ×4, first 2 shown]
	v_mul_f32_e32 v5, v5, v56
	v_fma_f32 v4, v4, v78, -v5
	v_mul_f32_e32 v5, v7, v58
	v_add_f32_e32 v4, 0, v4
	v_fma_f32 v5, v6, v79, -v5
	v_add_f32_e32 v4, v4, v5
	v_mul_f32_e32 v5, v9, v60
	v_fma_f32 v5, v8, v80, -v5
	v_add_f32_e32 v4, v4, v5
	v_mul_f32_e32 v5, v11, v66
	;; [unrolled: 3-line block ×13, first 2 shown]
	v_fma_f32 v5, v32, v92, -v5
	s_waitcnt vmcnt(13)
	v_mov_b32_e32 v16, v47
	v_mul_f32_e32 v59, v34, v93
	v_add_f32_e32 v56, v4, v5
	v_mul_f32_e32 v4, v35, v93
	s_waitcnt lgkmcnt(1)
	v_pk_mul_f32 v[16:17], v[38:39], v[16:17] op_sel_hi:[1,0]
	v_fmac_f32_e32 v59, v35, v94
	v_mul_f32_e32 v61, v36, v95
	v_fma_f32 v58, v34, v94, -v4
	v_mul_f32_e32 v4, v37, v95
	s_waitcnt vmcnt(12)
	v_pk_fma_f32 v[18:19], v[38:39], v[46:47], v[16:17] op_sel:[0,0,1] op_sel_hi:[1,1,0] neg_lo:[0,0,1] neg_hi:[0,0,1]
	v_pk_fma_f32 v[16:17], v[38:39], v[46:47], v[16:17] op_sel:[0,0,1] op_sel_hi:[1,0,0]
	v_fmac_f32_e32 v61, v37, v96
	v_fma_f32 v60, v36, v96, -v4
	v_pk_add_f32 v[14:15], v[56:57], v[58:59]
	v_mov_b32_e32 v16, v45
	v_pk_add_f32 v[14:15], v[14:15], v[60:61]
	v_mov_b32_e32 v19, v17
	s_waitcnt lgkmcnt(0)
	v_pk_mul_f32 v[16:17], v[40:41], v[16:17] op_sel_hi:[1,0]
	v_pk_add_f32 v[14:15], v[14:15], v[18:19]
	v_pk_fma_f32 v[18:19], v[40:41], v[44:45], v[16:17] op_sel:[0,0,1] op_sel_hi:[1,1,0] neg_lo:[0,0,1] neg_hi:[0,0,1]
	v_pk_fma_f32 v[16:17], v[40:41], v[44:45], v[16:17] op_sel:[0,0,1] op_sel_hi:[1,0,0]
	s_waitcnt vmcnt(11)
	v_mov_b32_e32 v16, v49
	ds_read_b128 v[4:7], v1 offset:784
	ds_read_b128 v[8:11], v1 offset:800
	ds_read_b64 v[12:13], v1 offset:816
	v_mov_b32_e32 v19, v17
	v_pk_mul_f32 v[16:17], v[42:43], v[16:17] op_sel_hi:[1,0]
	v_pk_add_f32 v[14:15], v[14:15], v[18:19]
	s_waitcnt vmcnt(4)
	v_pk_fma_f32 v[18:19], v[42:43], v[48:49], v[16:17] op_sel:[0,0,1] op_sel_hi:[1,1,0] neg_lo:[0,0,1] neg_hi:[0,0,1]
	v_pk_fma_f32 v[16:17], v[42:43], v[48:49], v[16:17] op_sel:[0,0,1] op_sel_hi:[1,0,0]
	v_mov_b32_e32 v16, v55
	v_mov_b32_e32 v19, v17
	s_waitcnt lgkmcnt(2)
	v_pk_mul_f32 v[16:17], v[4:5], v[16:17] op_sel_hi:[1,0]
	v_pk_add_f32 v[14:15], v[14:15], v[18:19]
	v_pk_fma_f32 v[18:19], v[4:5], v[54:55], v[16:17] op_sel:[0,0,1] op_sel_hi:[1,1,0] neg_lo:[0,0,1] neg_hi:[0,0,1]
	v_pk_fma_f32 v[4:5], v[4:5], v[54:55], v[16:17] op_sel:[0,0,1] op_sel_hi:[1,0,0]
	v_mov_b32_e32 v19, v5
	v_pk_add_f32 v[4:5], v[14:15], v[18:19]
	v_mov_b32_e32 v14, v53
	v_pk_mul_f32 v[14:15], v[6:7], v[14:15] op_sel_hi:[1,0]
	v_pk_fma_f32 v[16:17], v[6:7], v[52:53], v[14:15] op_sel:[0,0,1] op_sel_hi:[1,1,0] neg_lo:[0,0,1] neg_hi:[0,0,1]
	v_pk_fma_f32 v[6:7], v[6:7], v[52:53], v[14:15] op_sel:[0,0,1] op_sel_hi:[1,0,0]
	v_mov_b32_e32 v6, v51
	v_mov_b32_e32 v17, v7
	s_waitcnt lgkmcnt(1)
	v_pk_mul_f32 v[6:7], v[8:9], v[6:7] op_sel_hi:[1,0]
	v_pk_fma_f32 v[14:15], v[8:9], v[50:51], v[6:7] op_sel:[0,0,1] op_sel_hi:[1,1,0] neg_lo:[0,0,1] neg_hi:[0,0,1]
	v_pk_fma_f32 v[6:7], v[8:9], v[50:51], v[6:7] op_sel:[0,0,1] op_sel_hi:[1,0,0]
	s_waitcnt vmcnt(1)
	v_mov_b32_e32 v6, v65
	v_mov_b32_e32 v15, v7
	v_pk_mul_f32 v[6:7], v[10:11], v[6:7] op_sel_hi:[1,0]
	s_waitcnt vmcnt(0)
	v_pk_fma_f32 v[8:9], v[10:11], v[64:65], v[6:7] op_sel:[0,0,1] op_sel_hi:[1,1,0] neg_lo:[0,0,1] neg_hi:[0,0,1]
	v_pk_fma_f32 v[6:7], v[10:11], v[64:65], v[6:7] op_sel:[0,0,1] op_sel_hi:[1,0,0]
	v_pk_add_f32 v[4:5], v[4:5], v[16:17]
	v_mov_b32_e32 v6, v63
	v_pk_add_f32 v[4:5], v[4:5], v[14:15]
	v_mov_b32_e32 v9, v7
	s_waitcnt lgkmcnt(0)
	v_pk_mul_f32 v[6:7], v[12:13], v[6:7] op_sel_hi:[1,0]
	v_pk_add_f32 v[4:5], v[4:5], v[8:9]
	v_pk_fma_f32 v[8:9], v[12:13], v[62:63], v[6:7] op_sel:[0,0,1] op_sel_hi:[1,1,0] neg_lo:[0,0,1] neg_hi:[0,0,1]
	v_pk_fma_f32 v[6:7], v[12:13], v[62:63], v[6:7] op_sel:[0,0,1] op_sel_hi:[1,0,0]
	v_mov_b32_e32 v9, v7
	v_pk_add_f32 v[4:5], v[4:5], v[8:9]
	v_pk_add_f32 v[2:3], v[2:3], v[4:5] neg_lo:[0,1] neg_hi:[0,1]
	buffer_store_dword v3, off, s[0:3], 0 offset:204
	buffer_store_dword v2, off, s[0:3], 0 offset:200
	s_and_saveexec_b64 s[4:5], vcc
	s_cbranch_execz .LBB114_271
; %bb.270:
	buffer_load_dword v2, off, s[0:3], 0 offset:192
	buffer_load_dword v3, off, s[0:3], 0 offset:196
	s_waitcnt vmcnt(0)
	ds_write_b64 v121, v[2:3]
	buffer_store_dword v1, off, s[0:3], 0 offset:192
	buffer_store_dword v1, off, s[0:3], 0 offset:196
.LBB114_271:
	s_or_b64 exec, exec, s[4:5]
	s_waitcnt lgkmcnt(0)
	; wave barrier
	s_waitcnt lgkmcnt(0)
	buffer_load_dword v54, off, s[0:3], 0 offset:204
	buffer_load_dword v56, off, s[0:3], 0 offset:212
	;; [unrolled: 1-line block ×38, first 2 shown]
	ds_read2_b64 v[2:5], v1 offset0:77 offset1:78
	ds_read2_b64 v[6:9], v1 offset0:79 offset1:80
	;; [unrolled: 1-line block ×8, first 2 shown]
	buffer_load_dword v45, off, s[0:3], 0 offset:348
	buffer_load_dword v44, off, s[0:3], 0 offset:344
	;; [unrolled: 1-line block ×4, first 2 shown]
	v_cmp_lt_u32_e32 vcc, 23, v0
	s_waitcnt vmcnt(41) lgkmcnt(7)
	v_mul_f32_e32 v34, v2, v54
	s_waitcnt vmcnt(40)
	v_mul_f32_e32 v35, v4, v56
	s_waitcnt vmcnt(39) lgkmcnt(6)
	v_mul_f32_e32 v36, v6, v58
	s_waitcnt vmcnt(38)
	v_mul_f32_e32 v37, v8, v66
	;; [unrolled: 4-line block ×7, first 2 shown]
	s_waitcnt vmcnt(27) lgkmcnt(0)
	v_mul_f32_e32 v55, v30, v77
	s_waitcnt vmcnt(26)
	v_fmac_f32_e32 v34, v3, v78
	s_waitcnt vmcnt(25)
	v_fmac_f32_e32 v35, v5, v79
	v_add_f32_e32 v34, 0, v34
	s_waitcnt vmcnt(24)
	v_fmac_f32_e32 v36, v7, v80
	v_add_f32_e32 v34, v34, v35
	;; [unrolled: 3-line block ×13, first 2 shown]
	v_add_f32_e32 v34, v34, v53
	buffer_load_dword v49, off, s[0:3], 0 offset:372
	buffer_load_dword v48, off, s[0:3], 0 offset:368
	;; [unrolled: 1-line block ×6, first 2 shown]
	s_waitcnt vmcnt(18)
	v_fmac_f32_e32 v55, v31, v92
	s_waitcnt vmcnt(17)
	v_mul_f32_e32 v39, v32, v93
	v_add_f32_e32 v38, v34, v55
	s_waitcnt vmcnt(16)
	v_fmac_f32_e32 v39, v33, v94
	ds_read2_b64 v[34:37], v1 offset0:93 offset1:94
	v_add_f32_e32 v55, v38, v39
	ds_read2_b64 v[38:41], v1 offset0:95 offset1:96
	buffer_load_dword v61, off, s[0:3], 0 offset:404
	buffer_load_dword v60, off, s[0:3], 0 offset:400
	;; [unrolled: 1-line block ×6, first 2 shown]
	v_mul_f32_e32 v3, v3, v54
	v_fma_f32 v2, v2, v78, -v3
	v_mul_f32_e32 v3, v5, v56
	v_add_f32_e32 v2, 0, v2
	v_fma_f32 v3, v4, v79, -v3
	v_add_f32_e32 v2, v2, v3
	v_mul_f32_e32 v3, v7, v58
	v_fma_f32 v3, v6, v80, -v3
	v_add_f32_e32 v2, v2, v3
	v_mul_f32_e32 v3, v9, v66
	;; [unrolled: 3-line block ×14, first 2 shown]
	v_fma_f32 v3, v32, v94, -v3
	s_waitcnt vmcnt(15)
	v_mov_b32_e32 v16, v45
	s_waitcnt lgkmcnt(1)
	v_mul_f32_e32 v57, v34, v95
	v_add_f32_e32 v54, v2, v3
	v_mul_f32_e32 v2, v35, v95
	s_waitcnt lgkmcnt(0)
	v_pk_mul_f32 v[16:17], v[38:39], v[16:17] op_sel_hi:[1,0]
	v_fmac_f32_e32 v57, v35, v96
	v_mul_f32_e32 v59, v36, v97
	v_fma_f32 v56, v34, v96, -v2
	v_mul_f32_e32 v2, v37, v97
	s_waitcnt vmcnt(14)
	v_pk_fma_f32 v[18:19], v[38:39], v[44:45], v[16:17] op_sel:[0,0,1] op_sel_hi:[1,1,0] neg_lo:[0,0,1] neg_hi:[0,0,1]
	v_pk_fma_f32 v[16:17], v[38:39], v[44:45], v[16:17] op_sel:[0,0,1] op_sel_hi:[1,0,0]
	v_fmac_f32_e32 v59, v37, v98
	v_fma_f32 v58, v36, v98, -v2
	v_pk_add_f32 v[14:15], v[54:55], v[56:57]
	ds_read2_b64 v[2:5], v1 offset0:97 offset1:98
	ds_read2_b64 v[6:9], v1 offset0:99 offset1:100
	;; [unrolled: 1-line block ×3, first 2 shown]
	v_pk_add_f32 v[14:15], v[14:15], v[58:59]
	v_mov_b32_e32 v19, v17
	v_pk_add_f32 v[14:15], v[14:15], v[18:19]
	s_waitcnt vmcnt(7)
	v_mov_b32_e32 v16, v53
	v_pk_mul_f32 v[16:17], v[40:41], v[16:17] op_sel_hi:[1,0]
	s_waitcnt vmcnt(6)
	v_pk_fma_f32 v[18:19], v[40:41], v[52:53], v[16:17] op_sel:[0,0,1] op_sel_hi:[1,1,0] neg_lo:[0,0,1] neg_hi:[0,0,1]
	v_pk_fma_f32 v[16:17], v[40:41], v[52:53], v[16:17] op_sel:[0,0,1] op_sel_hi:[1,0,0]
	v_mov_b32_e32 v16, v51
	v_mov_b32_e32 v19, v17
	s_waitcnt lgkmcnt(2)
	v_pk_mul_f32 v[16:17], v[2:3], v[16:17] op_sel_hi:[1,0]
	v_pk_add_f32 v[14:15], v[14:15], v[18:19]
	v_pk_fma_f32 v[18:19], v[2:3], v[50:51], v[16:17] op_sel:[0,0,1] op_sel_hi:[1,1,0] neg_lo:[0,0,1] neg_hi:[0,0,1]
	v_pk_fma_f32 v[2:3], v[2:3], v[50:51], v[16:17] op_sel:[0,0,1] op_sel_hi:[1,0,0]
	v_mov_b32_e32 v19, v3
	v_pk_add_f32 v[2:3], v[14:15], v[18:19]
	v_mov_b32_e32 v14, v49
	v_pk_mul_f32 v[14:15], v[4:5], v[14:15] op_sel_hi:[1,0]
	v_pk_fma_f32 v[16:17], v[4:5], v[48:49], v[14:15] op_sel:[0,0,1] op_sel_hi:[1,1,0] neg_lo:[0,0,1] neg_hi:[0,0,1]
	v_pk_fma_f32 v[4:5], v[4:5], v[48:49], v[14:15] op_sel:[0,0,1] op_sel_hi:[1,0,0]
	v_mov_b32_e32 v4, v47
	v_mov_b32_e32 v17, v5
	s_waitcnt lgkmcnt(1)
	v_pk_mul_f32 v[4:5], v[6:7], v[4:5] op_sel_hi:[1,0]
	v_pk_fma_f32 v[14:15], v[6:7], v[46:47], v[4:5] op_sel:[0,0,1] op_sel_hi:[1,1,0] neg_lo:[0,0,1] neg_hi:[0,0,1]
	v_pk_fma_f32 v[4:5], v[6:7], v[46:47], v[4:5] op_sel:[0,0,1] op_sel_hi:[1,0,0]
	s_waitcnt vmcnt(1)
	v_mov_b32_e32 v4, v65
	v_mov_b32_e32 v15, v5
	v_pk_mul_f32 v[4:5], v[8:9], v[4:5] op_sel_hi:[1,0]
	s_waitcnt vmcnt(0)
	v_pk_fma_f32 v[6:7], v[8:9], v[64:65], v[4:5] op_sel:[0,0,1] op_sel_hi:[1,1,0] neg_lo:[0,0,1] neg_hi:[0,0,1]
	v_pk_fma_f32 v[4:5], v[8:9], v[64:65], v[4:5] op_sel:[0,0,1] op_sel_hi:[1,0,0]
	v_pk_add_f32 v[2:3], v[2:3], v[16:17]
	v_mov_b32_e32 v4, v63
	v_pk_add_f32 v[2:3], v[2:3], v[14:15]
	v_mov_b32_e32 v7, v5
	s_waitcnt lgkmcnt(0)
	v_pk_mul_f32 v[4:5], v[10:11], v[4:5] op_sel_hi:[1,0]
	v_pk_add_f32 v[2:3], v[2:3], v[6:7]
	v_pk_fma_f32 v[6:7], v[10:11], v[62:63], v[4:5] op_sel:[0,0,1] op_sel_hi:[1,1,0] neg_lo:[0,0,1] neg_hi:[0,0,1]
	v_pk_fma_f32 v[4:5], v[10:11], v[62:63], v[4:5] op_sel:[0,0,1] op_sel_hi:[1,0,0]
	v_mov_b32_e32 v4, v61
	v_mov_b32_e32 v7, v5
	v_pk_mul_f32 v[4:5], v[12:13], v[4:5] op_sel_hi:[1,0]
	v_pk_add_f32 v[2:3], v[2:3], v[6:7]
	v_pk_fma_f32 v[6:7], v[12:13], v[60:61], v[4:5] op_sel:[0,0,1] op_sel_hi:[1,1,0] neg_lo:[0,0,1] neg_hi:[0,0,1]
	v_pk_fma_f32 v[4:5], v[12:13], v[60:61], v[4:5] op_sel:[0,0,1] op_sel_hi:[1,0,0]
	v_mov_b32_e32 v7, v5
	v_pk_add_f32 v[2:3], v[2:3], v[6:7]
	v_pk_add_f32 v[2:3], v[42:43], v[2:3] neg_lo:[0,1] neg_hi:[0,1]
	buffer_store_dword v3, off, s[0:3], 0 offset:196
	buffer_store_dword v2, off, s[0:3], 0 offset:192
	s_and_saveexec_b64 s[4:5], vcc
	s_cbranch_execz .LBB114_273
; %bb.272:
	buffer_load_dword v2, off, s[0:3], 0 offset:184
	buffer_load_dword v3, off, s[0:3], 0 offset:188
	v_mov_b32_e32 v1, 0
	buffer_store_dword v1, off, s[0:3], 0 offset:184
	buffer_store_dword v1, off, s[0:3], 0 offset:188
	s_waitcnt vmcnt(2)
	ds_write_b64 v121, v[2:3]
.LBB114_273:
	s_or_b64 exec, exec, s[4:5]
	s_waitcnt lgkmcnt(0)
	; wave barrier
	s_waitcnt lgkmcnt(0)
	buffer_load_dword v52, off, s[0:3], 0 offset:196
	buffer_load_dword v54, off, s[0:3], 0 offset:204
	;; [unrolled: 1-line block ×40, first 2 shown]
	v_mov_b32_e32 v1, 0
	ds_read_b128 v[4:7], v1 offset:608
	ds_read_b128 v[8:11], v1 offset:624
	;; [unrolled: 1-line block ×8, first 2 shown]
	v_cmp_lt_u32_e32 vcc, 22, v0
	s_waitcnt vmcnt(39) lgkmcnt(7)
	v_mul_f32_e32 v36, v4, v52
	s_waitcnt vmcnt(38)
	v_mul_f32_e32 v37, v6, v54
	s_waitcnt vmcnt(37) lgkmcnt(6)
	v_mul_f32_e32 v38, v8, v56
	s_waitcnt vmcnt(36)
	v_mul_f32_e32 v39, v10, v66
	;; [unrolled: 4-line block ×8, first 2 shown]
	s_waitcnt vmcnt(23)
	v_fmac_f32_e32 v36, v5, v79
	s_waitcnt vmcnt(22)
	v_fmac_f32_e32 v37, v7, v80
	v_add_f32_e32 v36, 0, v36
	s_waitcnt vmcnt(21)
	v_fmac_f32_e32 v38, v9, v81
	v_add_f32_e32 v36, v36, v37
	;; [unrolled: 3-line block ×14, first 2 shown]
	v_add_f32_e32 v36, v36, v50
	s_waitcnt vmcnt(8)
	v_fmac_f32_e32 v51, v35, v94
	v_add_f32_e32 v53, v36, v51
	ds_read_b128 v[36:39], v1 offset:736
	buffer_load_dword v45, off, s[0:3], 0 offset:348
	buffer_load_dword v47, off, s[0:3], 0 offset:372
	buffer_load_dword v46, off, s[0:3], 0 offset:368
	buffer_load_dword v49, off, s[0:3], 0 offset:364
	buffer_load_dword v48, off, s[0:3], 0 offset:360
	buffer_load_dword v51, off, s[0:3], 0 offset:356
	buffer_load_dword v50, off, s[0:3], 0 offset:352
	buffer_load_dword v44, off, s[0:3], 0 offset:344
	ds_read_b128 v[40:43], v1 offset:752
	buffer_load_dword v59, off, s[0:3], 0 offset:404
	buffer_load_dword v58, off, s[0:3], 0 offset:400
	;; [unrolled: 1-line block ×8, first 2 shown]
	v_mul_f32_e32 v5, v5, v52
	v_fma_f32 v4, v4, v79, -v5
	v_mul_f32_e32 v5, v7, v54
	v_add_f32_e32 v4, 0, v4
	v_fma_f32 v5, v6, v80, -v5
	v_add_f32_e32 v4, v4, v5
	v_mul_f32_e32 v5, v9, v56
	v_fma_f32 v5, v8, v81, -v5
	v_add_f32_e32 v4, v4, v5
	v_mul_f32_e32 v5, v11, v66
	;; [unrolled: 3-line block ×14, first 2 shown]
	v_fma_f32 v5, v34, v94, -v5
	v_add_f32_e32 v4, v4, v5
	s_waitcnt vmcnt(23) lgkmcnt(1)
	v_mul_f32_e32 v5, v37, v95
	v_mul_f32_e32 v55, v36, v95
	s_waitcnt vmcnt(22)
	v_fma_f32 v5, v36, v96, -v5
	v_fmac_f32_e32 v55, v37, v96
	v_add_f32_e32 v52, v4, v5
	s_waitcnt vmcnt(21)
	v_mul_f32_e32 v4, v39, v97
	v_add_f32_e32 v53, v53, v55
	v_mul_f32_e32 v55, v38, v97
	s_waitcnt vmcnt(20)
	v_fma_f32 v54, v38, v98, -v4
	s_waitcnt vmcnt(19) lgkmcnt(0)
	v_mul_f32_e32 v4, v41, v99
	v_fmac_f32_e32 v55, v39, v98
	v_mul_f32_e32 v57, v40, v99
	s_waitcnt vmcnt(18)
	v_fma_f32 v56, v40, v100, -v4
	ds_read_b128 v[4:7], v1 offset:768
	ds_read_b128 v[8:11], v1 offset:784
	;; [unrolled: 1-line block ×3, first 2 shown]
	ds_read_b64 v[16:17], v1 offset:816
	v_fmac_f32_e32 v57, v41, v100
	v_pk_add_f32 v[18:19], v[52:53], v[54:55]
	v_pk_add_f32 v[18:19], v[18:19], v[56:57]
	s_waitcnt vmcnt(15)
	v_mov_b32_e32 v20, v45
	v_pk_mul_f32 v[20:21], v[42:43], v[20:21] op_sel_hi:[1,0]
	s_waitcnt vmcnt(8)
	v_pk_fma_f32 v[22:23], v[42:43], v[44:45], v[20:21] op_sel:[0,0,1] op_sel_hi:[1,1,0] neg_lo:[0,0,1] neg_hi:[0,0,1]
	v_pk_fma_f32 v[20:21], v[42:43], v[44:45], v[20:21] op_sel:[0,0,1] op_sel_hi:[1,0,0]
	v_mov_b32_e32 v20, v51
	v_mov_b32_e32 v23, v21
	s_waitcnt lgkmcnt(3)
	v_pk_mul_f32 v[20:21], v[4:5], v[20:21] op_sel_hi:[1,0]
	v_pk_add_f32 v[18:19], v[18:19], v[22:23]
	v_pk_fma_f32 v[22:23], v[4:5], v[50:51], v[20:21] op_sel:[0,0,1] op_sel_hi:[1,1,0] neg_lo:[0,0,1] neg_hi:[0,0,1]
	v_pk_fma_f32 v[4:5], v[4:5], v[50:51], v[20:21] op_sel:[0,0,1] op_sel_hi:[1,0,0]
	v_mov_b32_e32 v23, v5
	v_pk_add_f32 v[4:5], v[18:19], v[22:23]
	v_mov_b32_e32 v18, v49
	v_pk_mul_f32 v[18:19], v[6:7], v[18:19] op_sel_hi:[1,0]
	v_pk_fma_f32 v[20:21], v[6:7], v[48:49], v[18:19] op_sel:[0,0,1] op_sel_hi:[1,1,0] neg_lo:[0,0,1] neg_hi:[0,0,1]
	v_pk_fma_f32 v[6:7], v[6:7], v[48:49], v[18:19] op_sel:[0,0,1] op_sel_hi:[1,0,0]
	v_mov_b32_e32 v6, v47
	v_mov_b32_e32 v21, v7
	s_waitcnt lgkmcnt(2)
	v_pk_mul_f32 v[6:7], v[8:9], v[6:7] op_sel_hi:[1,0]
	v_pk_fma_f32 v[18:19], v[8:9], v[46:47], v[6:7] op_sel:[0,0,1] op_sel_hi:[1,1,0] neg_lo:[0,0,1] neg_hi:[0,0,1]
	v_pk_fma_f32 v[6:7], v[8:9], v[46:47], v[6:7] op_sel:[0,0,1] op_sel_hi:[1,0,0]
	s_waitcnt vmcnt(1)
	v_mov_b32_e32 v6, v65
	v_mov_b32_e32 v19, v7
	v_pk_mul_f32 v[6:7], v[10:11], v[6:7] op_sel_hi:[1,0]
	s_waitcnt vmcnt(0)
	v_pk_fma_f32 v[8:9], v[10:11], v[64:65], v[6:7] op_sel:[0,0,1] op_sel_hi:[1,1,0] neg_lo:[0,0,1] neg_hi:[0,0,1]
	v_pk_fma_f32 v[6:7], v[10:11], v[64:65], v[6:7] op_sel:[0,0,1] op_sel_hi:[1,0,0]
	v_pk_add_f32 v[4:5], v[4:5], v[20:21]
	v_mov_b32_e32 v6, v63
	v_pk_add_f32 v[4:5], v[4:5], v[18:19]
	v_mov_b32_e32 v9, v7
	s_waitcnt lgkmcnt(1)
	v_pk_mul_f32 v[6:7], v[12:13], v[6:7] op_sel_hi:[1,0]
	v_pk_add_f32 v[4:5], v[4:5], v[8:9]
	v_pk_fma_f32 v[8:9], v[12:13], v[62:63], v[6:7] op_sel:[0,0,1] op_sel_hi:[1,1,0] neg_lo:[0,0,1] neg_hi:[0,0,1]
	v_pk_fma_f32 v[6:7], v[12:13], v[62:63], v[6:7] op_sel:[0,0,1] op_sel_hi:[1,0,0]
	v_mov_b32_e32 v6, v61
	v_mov_b32_e32 v9, v7
	v_pk_mul_f32 v[6:7], v[14:15], v[6:7] op_sel_hi:[1,0]
	v_pk_add_f32 v[4:5], v[4:5], v[8:9]
	v_pk_fma_f32 v[8:9], v[14:15], v[60:61], v[6:7] op_sel:[0,0,1] op_sel_hi:[1,1,0] neg_lo:[0,0,1] neg_hi:[0,0,1]
	v_pk_fma_f32 v[6:7], v[14:15], v[60:61], v[6:7] op_sel:[0,0,1] op_sel_hi:[1,0,0]
	v_mov_b32_e32 v6, v59
	v_mov_b32_e32 v9, v7
	s_waitcnt lgkmcnt(0)
	v_pk_mul_f32 v[6:7], v[16:17], v[6:7] op_sel_hi:[1,0]
	v_pk_add_f32 v[4:5], v[4:5], v[8:9]
	v_pk_fma_f32 v[8:9], v[16:17], v[58:59], v[6:7] op_sel:[0,0,1] op_sel_hi:[1,1,0] neg_lo:[0,0,1] neg_hi:[0,0,1]
	v_pk_fma_f32 v[6:7], v[16:17], v[58:59], v[6:7] op_sel:[0,0,1] op_sel_hi:[1,0,0]
	v_mov_b32_e32 v9, v7
	v_pk_add_f32 v[4:5], v[4:5], v[8:9]
	v_pk_add_f32 v[2:3], v[2:3], v[4:5] neg_lo:[0,1] neg_hi:[0,1]
	buffer_store_dword v3, off, s[0:3], 0 offset:188
	buffer_store_dword v2, off, s[0:3], 0 offset:184
	s_and_saveexec_b64 s[4:5], vcc
	s_cbranch_execz .LBB114_275
; %bb.274:
	buffer_load_dword v2, off, s[0:3], 0 offset:176
	buffer_load_dword v3, off, s[0:3], 0 offset:180
	s_waitcnt vmcnt(0)
	ds_write_b64 v121, v[2:3]
	buffer_store_dword v1, off, s[0:3], 0 offset:176
	buffer_store_dword v1, off, s[0:3], 0 offset:180
.LBB114_275:
	s_or_b64 exec, exec, s[4:5]
	s_waitcnt lgkmcnt(0)
	; wave barrier
	s_waitcnt lgkmcnt(0)
	buffer_load_dword v44, off, s[0:3], 0 offset:188
	buffer_load_dword v46, off, s[0:3], 0 offset:196
	;; [unrolled: 1-line block ×42, first 2 shown]
	ds_read2_b64 v[4:7], v1 offset0:75 offset1:76
	ds_read2_b64 v[8:11], v1 offset0:77 offset1:78
	;; [unrolled: 1-line block ×8, first 2 shown]
	v_cmp_lt_u32_e32 vcc, 21, v0
	s_waitcnt vmcnt(41) lgkmcnt(7)
	v_mul_f32_e32 v36, v4, v44
	s_waitcnt vmcnt(40)
	v_mul_f32_e32 v37, v6, v46
	s_waitcnt vmcnt(39) lgkmcnt(6)
	v_mul_f32_e32 v38, v8, v54
	s_waitcnt vmcnt(38)
	v_mul_f32_e32 v39, v10, v66
	;; [unrolled: 4-line block ×7, first 2 shown]
	s_waitcnt vmcnt(27) lgkmcnt(0)
	v_mul_f32_e32 v52, v32, v77
	s_waitcnt vmcnt(26)
	v_fmac_f32_e32 v36, v5, v78
	s_waitcnt vmcnt(25)
	v_fmac_f32_e32 v37, v7, v79
	v_add_f32_e32 v36, 0, v36
	s_waitcnt vmcnt(24)
	v_fmac_f32_e32 v38, v9, v80
	v_add_f32_e32 v36, v36, v37
	;; [unrolled: 3-line block ×14, first 2 shown]
	s_waitcnt vmcnt(11)
	v_mul_f32_e32 v41, v34, v93
	v_add_f32_e32 v40, v36, v52
	s_waitcnt vmcnt(10)
	v_fmac_f32_e32 v41, v35, v94
	ds_read2_b64 v[36:39], v1 offset0:91 offset1:92
	v_add_f32_e32 v45, v40, v41
	ds_read2_b64 v[40:43], v1 offset0:93 offset1:94
	buffer_load_dword v49, off, s[0:3], 0 offset:348
	buffer_load_dword v51, off, s[0:3], 0 offset:364
	;; [unrolled: 1-line block ×16, first 2 shown]
	v_mul_f32_e32 v5, v5, v44
	v_fma_f32 v4, v4, v78, -v5
	v_mul_f32_e32 v5, v7, v46
	v_add_f32_e32 v4, 0, v4
	v_fma_f32 v5, v6, v79, -v5
	v_add_f32_e32 v4, v4, v5
	v_mul_f32_e32 v5, v9, v54
	v_fma_f32 v5, v8, v80, -v5
	v_add_f32_e32 v4, v4, v5
	v_mul_f32_e32 v5, v11, v66
	;; [unrolled: 3-line block ×14, first 2 shown]
	v_fma_f32 v5, v34, v94, -v5
	v_add_f32_e32 v4, v4, v5
	s_waitcnt vmcnt(25) lgkmcnt(1)
	v_mul_f32_e32 v5, v37, v95
	s_waitcnt vmcnt(24)
	v_fma_f32 v5, v36, v96, -v5
	v_add_f32_e32 v4, v4, v5
	s_waitcnt vmcnt(23)
	v_mul_f32_e32 v5, v39, v97
	v_mul_f32_e32 v47, v36, v95
	s_waitcnt vmcnt(22)
	v_fma_f32 v5, v38, v98, -v5
	v_fmac_f32_e32 v47, v37, v96
	v_add_f32_e32 v44, v4, v5
	s_waitcnt vmcnt(21) lgkmcnt(0)
	v_mul_f32_e32 v4, v41, v99
	v_add_f32_e32 v45, v45, v47
	v_mul_f32_e32 v47, v38, v97
	s_waitcnt vmcnt(20)
	v_fma_f32 v46, v40, v100, -v4
	s_waitcnt vmcnt(19)
	v_mul_f32_e32 v4, v43, v101
	v_fmac_f32_e32 v47, v39, v98
	s_waitcnt vmcnt(18)
	v_fma_f32 v54, v42, v102, -v4
	ds_read2_b64 v[4:7], v1 offset0:95 offset1:96
	ds_read2_b64 v[8:11], v1 offset0:97 offset1:98
	;; [unrolled: 1-line block ×4, first 2 shown]
	v_add_f32_e32 v45, v45, v47
	v_mul_f32_e32 v47, v40, v99
	v_fmac_f32_e32 v47, v41, v100
	v_mul_f32_e32 v55, v42, v101
	v_fmac_f32_e32 v55, v43, v102
	v_pk_add_f32 v[20:21], v[44:45], v[46:47]
	v_pk_add_f32 v[20:21], v[20:21], v[54:55]
	s_waitcnt vmcnt(15)
	v_mov_b32_e32 v22, v49
	s_waitcnt lgkmcnt(3)
	v_pk_mul_f32 v[22:23], v[4:5], v[22:23] op_sel_hi:[1,0]
	s_waitcnt vmcnt(10)
	v_pk_fma_f32 v[24:25], v[4:5], v[48:49], v[22:23] op_sel:[0,0,1] op_sel_hi:[1,1,0] neg_lo:[0,0,1] neg_hi:[0,0,1]
	v_pk_fma_f32 v[4:5], v[4:5], v[48:49], v[22:23] op_sel:[0,0,1] op_sel_hi:[1,0,0]
	v_mov_b32_e32 v25, v5
	v_pk_add_f32 v[4:5], v[20:21], v[24:25]
	v_mov_b32_e32 v20, v53
	v_pk_mul_f32 v[20:21], v[6:7], v[20:21] op_sel_hi:[1,0]
	v_pk_fma_f32 v[22:23], v[6:7], v[52:53], v[20:21] op_sel:[0,0,1] op_sel_hi:[1,1,0] neg_lo:[0,0,1] neg_hi:[0,0,1]
	v_pk_fma_f32 v[6:7], v[6:7], v[52:53], v[20:21] op_sel:[0,0,1] op_sel_hi:[1,0,0]
	v_mov_b32_e32 v6, v51
	v_mov_b32_e32 v23, v7
	s_waitcnt lgkmcnt(2)
	v_pk_mul_f32 v[6:7], v[8:9], v[6:7] op_sel_hi:[1,0]
	v_pk_fma_f32 v[20:21], v[8:9], v[50:51], v[6:7] op_sel:[0,0,1] op_sel_hi:[1,1,0] neg_lo:[0,0,1] neg_hi:[0,0,1]
	v_pk_fma_f32 v[6:7], v[8:9], v[50:51], v[6:7] op_sel:[0,0,1] op_sel_hi:[1,0,0]
	s_waitcnt vmcnt(3)
	v_mov_b32_e32 v6, v63
	v_mov_b32_e32 v21, v7
	v_pk_mul_f32 v[6:7], v[10:11], v[6:7] op_sel_hi:[1,0]
	s_waitcnt vmcnt(2)
	v_pk_fma_f32 v[8:9], v[10:11], v[62:63], v[6:7] op_sel:[0,0,1] op_sel_hi:[1,1,0] neg_lo:[0,0,1] neg_hi:[0,0,1]
	v_pk_fma_f32 v[6:7], v[10:11], v[62:63], v[6:7] op_sel:[0,0,1] op_sel_hi:[1,0,0]
	v_pk_add_f32 v[4:5], v[4:5], v[22:23]
	v_mov_b32_e32 v6, v61
	v_pk_add_f32 v[4:5], v[4:5], v[20:21]
	v_mov_b32_e32 v9, v7
	s_waitcnt lgkmcnt(1)
	v_pk_mul_f32 v[6:7], v[12:13], v[6:7] op_sel_hi:[1,0]
	v_pk_add_f32 v[4:5], v[4:5], v[8:9]
	v_pk_fma_f32 v[8:9], v[12:13], v[60:61], v[6:7] op_sel:[0,0,1] op_sel_hi:[1,1,0] neg_lo:[0,0,1] neg_hi:[0,0,1]
	v_pk_fma_f32 v[6:7], v[12:13], v[60:61], v[6:7] op_sel:[0,0,1] op_sel_hi:[1,0,0]
	v_mov_b32_e32 v6, v59
	v_mov_b32_e32 v9, v7
	v_pk_mul_f32 v[6:7], v[14:15], v[6:7] op_sel_hi:[1,0]
	v_pk_add_f32 v[4:5], v[4:5], v[8:9]
	v_pk_fma_f32 v[8:9], v[14:15], v[58:59], v[6:7] op_sel:[0,0,1] op_sel_hi:[1,1,0] neg_lo:[0,0,1] neg_hi:[0,0,1]
	v_pk_fma_f32 v[6:7], v[14:15], v[58:59], v[6:7] op_sel:[0,0,1] op_sel_hi:[1,0,0]
	v_mov_b32_e32 v6, v57
	v_mov_b32_e32 v9, v7
	s_waitcnt lgkmcnt(0)
	v_pk_mul_f32 v[6:7], v[16:17], v[6:7] op_sel_hi:[1,0]
	v_pk_add_f32 v[4:5], v[4:5], v[8:9]
	v_pk_fma_f32 v[8:9], v[16:17], v[56:57], v[6:7] op_sel:[0,0,1] op_sel_hi:[1,1,0] neg_lo:[0,0,1] neg_hi:[0,0,1]
	v_pk_fma_f32 v[6:7], v[16:17], v[56:57], v[6:7] op_sel:[0,0,1] op_sel_hi:[1,0,0]
	s_waitcnt vmcnt(1)
	v_mov_b32_e32 v6, v65
	v_mov_b32_e32 v9, v7
	v_pk_mul_f32 v[6:7], v[18:19], v[6:7] op_sel_hi:[1,0]
	v_pk_add_f32 v[4:5], v[4:5], v[8:9]
	s_waitcnt vmcnt(0)
	v_pk_fma_f32 v[8:9], v[18:19], v[64:65], v[6:7] op_sel:[0,0,1] op_sel_hi:[1,1,0] neg_lo:[0,0,1] neg_hi:[0,0,1]
	v_pk_fma_f32 v[6:7], v[18:19], v[64:65], v[6:7] op_sel:[0,0,1] op_sel_hi:[1,0,0]
	v_mov_b32_e32 v9, v7
	v_pk_add_f32 v[4:5], v[4:5], v[8:9]
	v_pk_add_f32 v[2:3], v[2:3], v[4:5] neg_lo:[0,1] neg_hi:[0,1]
	buffer_store_dword v3, off, s[0:3], 0 offset:180
	buffer_store_dword v2, off, s[0:3], 0 offset:176
	s_and_saveexec_b64 s[4:5], vcc
	s_cbranch_execz .LBB114_277
; %bb.276:
	buffer_load_dword v2, off, s[0:3], 0 offset:168
	buffer_load_dword v3, off, s[0:3], 0 offset:172
	v_mov_b32_e32 v1, 0
	buffer_store_dword v1, off, s[0:3], 0 offset:168
	buffer_store_dword v1, off, s[0:3], 0 offset:172
	s_waitcnt vmcnt(2)
	ds_write_b64 v121, v[2:3]
.LBB114_277:
	s_or_b64 exec, exec, s[4:5]
	s_waitcnt lgkmcnt(0)
	; wave barrier
	s_waitcnt lgkmcnt(0)
	buffer_load_dword v52, off, s[0:3], 0 offset:180
	buffer_load_dword v58, off, s[0:3], 0 offset:188
	;; [unrolled: 1-line block ×44, first 2 shown]
	v_mov_b32_e32 v1, 0
	ds_read_b128 v[4:7], v1 offset:592
	ds_read_b128 v[8:11], v1 offset:608
	;; [unrolled: 1-line block ×8, first 2 shown]
	v_cmp_lt_u32_e32 vcc, 20, v0
	s_waitcnt vmcnt(43) lgkmcnt(7)
	v_mul_f32_e32 v36, v4, v52
	s_waitcnt vmcnt(42)
	v_mul_f32_e32 v37, v6, v58
	s_waitcnt vmcnt(41) lgkmcnt(6)
	v_mul_f32_e32 v38, v8, v60
	s_waitcnt vmcnt(40)
	v_mul_f32_e32 v39, v10, v74
	;; [unrolled: 4-line block ×7, first 2 shown]
	s_waitcnt vmcnt(29)
	v_fmac_f32_e32 v36, v5, v85
	s_waitcnt vmcnt(28)
	v_fmac_f32_e32 v37, v7, v86
	v_add_f32_e32 v36, 0, v36
	s_waitcnt vmcnt(27)
	v_fmac_f32_e32 v38, v9, v87
	v_add_f32_e32 v36, v36, v37
	;; [unrolled: 3-line block ×12, first 2 shown]
	v_add_f32_e32 v36, v36, v48
	s_waitcnt vmcnt(16)
	v_fmac_f32_e32 v49, v31, v98
	s_waitcnt vmcnt(15) lgkmcnt(0)
	v_mul_f32_e32 v37, v32, v99
	v_add_f32_e32 v36, v36, v49
	s_waitcnt vmcnt(14)
	v_fmac_f32_e32 v37, v33, v100
	v_add_f32_e32 v40, v36, v37
	ds_read_b128 v[36:39], v1 offset:720
	s_waitcnt vmcnt(13)
	v_mul_f32_e32 v41, v34, v101
	s_waitcnt vmcnt(12)
	v_fmac_f32_e32 v41, v35, v102
	v_add_f32_e32 v44, v40, v41
	ds_read_b128 v[40:43], v1 offset:736
	s_waitcnt vmcnt(11) lgkmcnt(1)
	v_mul_f32_e32 v45, v36, v103
	s_waitcnt vmcnt(10)
	v_fmac_f32_e32 v45, v37, v104
	v_add_f32_e32 v44, v44, v45
	s_waitcnt vmcnt(9)
	v_mul_f32_e32 v45, v38, v105
	s_waitcnt vmcnt(8)
	v_fmac_f32_e32 v45, v39, v106
	v_add_f32_e32 v44, v44, v45
	s_waitcnt vmcnt(7) lgkmcnt(0)
	v_mul_f32_e32 v45, v40, v107
	s_waitcnt vmcnt(6)
	v_fmac_f32_e32 v45, v41, v188
	v_add_f32_e32 v53, v44, v45
	ds_read_b128 v[44:47], v1 offset:752
	buffer_load_dword v55, off, s[0:3], 0 offset:356
	buffer_load_dword v54, off, s[0:3], 0 offset:352
	buffer_load_dword v57, off, s[0:3], 0 offset:348
	buffer_load_dword v56, off, s[0:3], 0 offset:344
	ds_read_b128 v[48:51], v1 offset:768
	buffer_load_dword v63, off, s[0:3], 0 offset:388
	buffer_load_dword v62, off, s[0:3], 0 offset:384
	;; [unrolled: 1-line block ×12, first 2 shown]
	v_mul_f32_e32 v5, v5, v52
	v_fma_f32 v4, v4, v85, -v5
	v_mul_f32_e32 v5, v7, v58
	v_add_f32_e32 v4, 0, v4
	v_fma_f32 v5, v6, v86, -v5
	v_add_f32_e32 v4, v4, v5
	v_mul_f32_e32 v5, v9, v60
	v_fma_f32 v5, v8, v87, -v5
	v_add_f32_e32 v4, v4, v5
	v_mul_f32_e32 v5, v11, v74
	v_fma_f32 v5, v10, v88, -v5
	v_add_f32_e32 v4, v4, v5
	v_mul_f32_e32 v5, v13, v75
	v_fma_f32 v5, v12, v89, -v5
	v_add_f32_e32 v4, v4, v5
	v_mul_f32_e32 v5, v15, v76
	v_fma_f32 v5, v14, v90, -v5
	v_add_f32_e32 v4, v4, v5
	v_mul_f32_e32 v5, v17, v77
	v_fma_f32 v5, v16, v91, -v5
	v_add_f32_e32 v4, v4, v5
	v_mul_f32_e32 v5, v19, v78
	v_fma_f32 v5, v18, v92, -v5
	v_add_f32_e32 v4, v4, v5
	v_mul_f32_e32 v5, v21, v79
	v_fma_f32 v5, v20, v93, -v5
	v_add_f32_e32 v4, v4, v5
	v_mul_f32_e32 v5, v23, v80
	v_fma_f32 v5, v22, v94, -v5
	v_add_f32_e32 v4, v4, v5
	v_mul_f32_e32 v5, v25, v81
	v_fma_f32 v5, v24, v95, -v5
	v_add_f32_e32 v4, v4, v5
	v_mul_f32_e32 v5, v27, v82
	v_fma_f32 v5, v26, v96, -v5
	v_add_f32_e32 v4, v4, v5
	v_mul_f32_e32 v5, v29, v83
	v_fma_f32 v5, v28, v97, -v5
	v_add_f32_e32 v4, v4, v5
	v_mul_f32_e32 v5, v31, v84
	v_fma_f32 v5, v30, v98, -v5
	v_add_f32_e32 v4, v4, v5
	v_mul_f32_e32 v5, v33, v99
	v_fma_f32 v5, v32, v100, -v5
	v_add_f32_e32 v4, v4, v5
	v_mul_f32_e32 v5, v35, v101
	v_fma_f32 v5, v34, v102, -v5
	v_add_f32_e32 v4, v4, v5
	v_mul_f32_e32 v5, v37, v103
	v_fma_f32 v5, v36, v104, -v5
	v_add_f32_e32 v4, v4, v5
	v_mul_f32_e32 v5, v39, v105
	v_fma_f32 v5, v38, v106, -v5
	v_add_f32_e32 v4, v4, v5
	v_mul_f32_e32 v5, v41, v107
	v_fma_f32 v5, v40, v188, -v5
	s_waitcnt vmcnt(21)
	v_mul_f32_e32 v59, v42, v189
	v_add_f32_e32 v52, v4, v5
	v_mul_f32_e32 v4, v43, v189
	s_waitcnt vmcnt(20)
	v_fmac_f32_e32 v59, v43, v190
	s_waitcnt vmcnt(19) lgkmcnt(1)
	v_mul_f32_e32 v61, v44, v191
	v_fma_f32 v58, v42, v190, -v4
	v_mul_f32_e32 v4, v45, v191
	s_waitcnt vmcnt(18)
	v_fmac_f32_e32 v61, v45, v192
	v_fma_f32 v60, v44, v192, -v4
	v_pk_add_f32 v[14:15], v[52:53], v[58:59]
	v_pk_add_f32 v[14:15], v[14:15], v[60:61]
	ds_read_b128 v[4:7], v1 offset:784
	ds_read_b128 v[8:11], v1 offset:800
	ds_read_b64 v[12:13], v1 offset:816
	s_waitcnt vmcnt(13)
	v_mov_b32_e32 v16, v57
	v_pk_mul_f32 v[16:17], v[46:47], v[16:17] op_sel_hi:[1,0]
	s_waitcnt vmcnt(12)
	v_pk_fma_f32 v[18:19], v[46:47], v[56:57], v[16:17] op_sel:[0,0,1] op_sel_hi:[1,1,0] neg_lo:[0,0,1] neg_hi:[0,0,1]
	v_pk_fma_f32 v[16:17], v[46:47], v[56:57], v[16:17] op_sel:[0,0,1] op_sel_hi:[1,0,0]
	v_mov_b32_e32 v16, v55
	v_mov_b32_e32 v19, v17
	s_waitcnt lgkmcnt(3)
	v_pk_mul_f32 v[16:17], v[48:49], v[16:17] op_sel_hi:[1,0]
	v_pk_add_f32 v[14:15], v[14:15], v[18:19]
	v_pk_fma_f32 v[18:19], v[48:49], v[54:55], v[16:17] op_sel:[0,0,1] op_sel_hi:[1,1,0] neg_lo:[0,0,1] neg_hi:[0,0,1]
	v_pk_fma_f32 v[16:17], v[48:49], v[54:55], v[16:17] op_sel:[0,0,1] op_sel_hi:[1,0,0]
	s_waitcnt vmcnt(5)
	v_mov_b32_e32 v16, v69
	v_mov_b32_e32 v19, v17
	v_pk_mul_f32 v[16:17], v[50:51], v[16:17] op_sel_hi:[1,0]
	v_pk_add_f32 v[14:15], v[14:15], v[18:19]
	s_waitcnt vmcnt(4)
	v_pk_fma_f32 v[18:19], v[50:51], v[68:69], v[16:17] op_sel:[0,0,1] op_sel_hi:[1,1,0] neg_lo:[0,0,1] neg_hi:[0,0,1]
	v_pk_fma_f32 v[16:17], v[50:51], v[68:69], v[16:17] op_sel:[0,0,1] op_sel_hi:[1,0,0]
	v_mov_b32_e32 v16, v67
	v_mov_b32_e32 v19, v17
	s_waitcnt lgkmcnt(2)
	v_pk_mul_f32 v[16:17], v[4:5], v[16:17] op_sel_hi:[1,0]
	v_pk_add_f32 v[14:15], v[14:15], v[18:19]
	v_pk_fma_f32 v[18:19], v[4:5], v[66:67], v[16:17] op_sel:[0,0,1] op_sel_hi:[1,1,0] neg_lo:[0,0,1] neg_hi:[0,0,1]
	v_pk_fma_f32 v[4:5], v[4:5], v[66:67], v[16:17] op_sel:[0,0,1] op_sel_hi:[1,0,0]
	v_mov_b32_e32 v19, v5
	v_pk_add_f32 v[4:5], v[14:15], v[18:19]
	v_mov_b32_e32 v14, v65
	v_pk_mul_f32 v[14:15], v[6:7], v[14:15] op_sel_hi:[1,0]
	v_pk_fma_f32 v[16:17], v[6:7], v[64:65], v[14:15] op_sel:[0,0,1] op_sel_hi:[1,1,0] neg_lo:[0,0,1] neg_hi:[0,0,1]
	v_pk_fma_f32 v[6:7], v[6:7], v[64:65], v[14:15] op_sel:[0,0,1] op_sel_hi:[1,0,0]
	v_mov_b32_e32 v6, v63
	v_mov_b32_e32 v17, v7
	s_waitcnt lgkmcnt(1)
	v_pk_mul_f32 v[6:7], v[8:9], v[6:7] op_sel_hi:[1,0]
	v_pk_fma_f32 v[14:15], v[8:9], v[62:63], v[6:7] op_sel:[0,0,1] op_sel_hi:[1,1,0] neg_lo:[0,0,1] neg_hi:[0,0,1]
	v_pk_fma_f32 v[6:7], v[8:9], v[62:63], v[6:7] op_sel:[0,0,1] op_sel_hi:[1,0,0]
	s_waitcnt vmcnt(1)
	v_mov_b32_e32 v6, v73
	v_mov_b32_e32 v15, v7
	v_pk_mul_f32 v[6:7], v[10:11], v[6:7] op_sel_hi:[1,0]
	s_waitcnt vmcnt(0)
	v_pk_fma_f32 v[8:9], v[10:11], v[72:73], v[6:7] op_sel:[0,0,1] op_sel_hi:[1,1,0] neg_lo:[0,0,1] neg_hi:[0,0,1]
	v_pk_fma_f32 v[6:7], v[10:11], v[72:73], v[6:7] op_sel:[0,0,1] op_sel_hi:[1,0,0]
	v_pk_add_f32 v[4:5], v[4:5], v[16:17]
	v_mov_b32_e32 v6, v71
	v_pk_add_f32 v[4:5], v[4:5], v[14:15]
	v_mov_b32_e32 v9, v7
	s_waitcnt lgkmcnt(0)
	v_pk_mul_f32 v[6:7], v[12:13], v[6:7] op_sel_hi:[1,0]
	v_pk_add_f32 v[4:5], v[4:5], v[8:9]
	v_pk_fma_f32 v[8:9], v[12:13], v[70:71], v[6:7] op_sel:[0,0,1] op_sel_hi:[1,1,0] neg_lo:[0,0,1] neg_hi:[0,0,1]
	v_pk_fma_f32 v[6:7], v[12:13], v[70:71], v[6:7] op_sel:[0,0,1] op_sel_hi:[1,0,0]
	v_mov_b32_e32 v9, v7
	v_pk_add_f32 v[4:5], v[4:5], v[8:9]
	v_pk_add_f32 v[2:3], v[2:3], v[4:5] neg_lo:[0,1] neg_hi:[0,1]
	buffer_store_dword v3, off, s[0:3], 0 offset:172
	buffer_store_dword v2, off, s[0:3], 0 offset:168
	s_and_saveexec_b64 s[4:5], vcc
	s_cbranch_execz .LBB114_279
; %bb.278:
	buffer_load_dword v2, off, s[0:3], 0 offset:160
	buffer_load_dword v3, off, s[0:3], 0 offset:164
	s_waitcnt vmcnt(0)
	ds_write_b64 v121, v[2:3]
	buffer_store_dword v1, off, s[0:3], 0 offset:160
	buffer_store_dword v1, off, s[0:3], 0 offset:164
.LBB114_279:
	s_or_b64 exec, exec, s[4:5]
	s_waitcnt lgkmcnt(0)
	; wave barrier
	s_waitcnt lgkmcnt(0)
	buffer_load_dword v54, off, s[0:3], 0 offset:172
	buffer_load_dword v56, off, s[0:3], 0 offset:180
	;; [unrolled: 1-line block ×46, first 2 shown]
	ds_read2_b64 v[4:7], v1 offset0:73 offset1:74
	ds_read2_b64 v[8:11], v1 offset0:75 offset1:76
	;; [unrolled: 1-line block ×8, first 2 shown]
	v_cmp_lt_u32_e32 vcc, 19, v0
	s_waitcnt vmcnt(45) lgkmcnt(7)
	v_mul_f32_e32 v36, v4, v54
	s_waitcnt vmcnt(44)
	v_mul_f32_e32 v37, v6, v56
	s_waitcnt vmcnt(43) lgkmcnt(6)
	v_mul_f32_e32 v38, v8, v58
	s_waitcnt vmcnt(42)
	v_mul_f32_e32 v39, v10, v74
	;; [unrolled: 4-line block ×6, first 2 shown]
	s_waitcnt vmcnt(33) lgkmcnt(1)
	v_mul_f32_e32 v48, v28, v83
	s_waitcnt vmcnt(32)
	v_fmac_f32_e32 v36, v5, v84
	s_waitcnt vmcnt(31)
	v_fmac_f32_e32 v37, v7, v85
	v_add_f32_e32 v36, 0, v36
	s_waitcnt vmcnt(30)
	v_fmac_f32_e32 v38, v9, v86
	v_add_f32_e32 v36, v36, v37
	;; [unrolled: 3-line block ×12, first 2 shown]
	s_waitcnt vmcnt(19)
	v_mul_f32_e32 v37, v30, v97
	v_add_f32_e32 v36, v36, v48
	s_waitcnt vmcnt(18)
	v_fmac_f32_e32 v37, v31, v98
	v_add_f32_e32 v36, v36, v37
	s_waitcnt vmcnt(17) lgkmcnt(0)
	v_mul_f32_e32 v37, v32, v99
	s_waitcnt vmcnt(16)
	v_fmac_f32_e32 v37, v33, v100
	v_add_f32_e32 v40, v36, v37
	ds_read2_b64 v[36:39], v1 offset0:89 offset1:90
	s_waitcnt vmcnt(15)
	v_mul_f32_e32 v41, v34, v101
	s_waitcnt vmcnt(14)
	v_fmac_f32_e32 v41, v35, v102
	v_add_f32_e32 v44, v40, v41
	ds_read2_b64 v[40:43], v1 offset0:91 offset1:92
	buffer_load_dword v53, off, s[0:3], 0 offset:348
	buffer_load_dword v52, off, s[0:3], 0 offset:344
	s_waitcnt vmcnt(15) lgkmcnt(1)
	v_mul_f32_e32 v45, v36, v103
	s_waitcnt vmcnt(14)
	v_fmac_f32_e32 v45, v37, v104
	v_add_f32_e32 v44, v44, v45
	s_waitcnt vmcnt(13)
	v_mul_f32_e32 v45, v38, v105
	s_waitcnt vmcnt(12)
	v_fmac_f32_e32 v45, v39, v106
	v_add_f32_e32 v44, v44, v45
	s_waitcnt vmcnt(11) lgkmcnt(0)
	v_mul_f32_e32 v45, v40, v107
	s_waitcnt vmcnt(10)
	v_fmac_f32_e32 v45, v41, v188
	s_waitcnt vmcnt(9)
	v_mul_f32_e32 v49, v42, v189
	v_add_f32_e32 v48, v44, v45
	s_waitcnt vmcnt(8)
	v_fmac_f32_e32 v49, v43, v190
	ds_read2_b64 v[44:47], v1 offset0:93 offset1:94
	v_add_f32_e32 v55, v48, v49
	ds_read2_b64 v[48:51], v1 offset0:95 offset1:96
	buffer_load_dword v61, off, s[0:3], 0 offset:380
	buffer_load_dword v60, off, s[0:3], 0 offset:376
	;; [unrolled: 1-line block ×14, first 2 shown]
	v_mul_f32_e32 v5, v5, v54
	v_fma_f32 v4, v4, v84, -v5
	v_mul_f32_e32 v5, v7, v56
	v_add_f32_e32 v4, 0, v4
	v_fma_f32 v5, v6, v85, -v5
	v_add_f32_e32 v4, v4, v5
	v_mul_f32_e32 v5, v9, v58
	v_fma_f32 v5, v8, v86, -v5
	v_add_f32_e32 v4, v4, v5
	v_mul_f32_e32 v5, v11, v74
	;; [unrolled: 3-line block ×18, first 2 shown]
	v_fma_f32 v5, v42, v190, -v5
	s_waitcnt vmcnt(21) lgkmcnt(1)
	v_mul_f32_e32 v57, v44, v191
	v_add_f32_e32 v54, v4, v5
	v_mul_f32_e32 v4, v45, v191
	s_waitcnt vmcnt(20)
	v_fmac_f32_e32 v57, v45, v192
	s_waitcnt vmcnt(15)
	v_mov_b32_e32 v18, v53
	s_waitcnt lgkmcnt(0)
	v_pk_mul_f32 v[18:19], v[48:49], v[18:19] op_sel_hi:[1,0]
	v_mul_f32_e32 v59, v46, v193
	v_fma_f32 v56, v44, v192, -v4
	v_mul_f32_e32 v4, v47, v193
	s_waitcnt vmcnt(14)
	v_pk_fma_f32 v[20:21], v[48:49], v[52:53], v[18:19] op_sel:[0,0,1] op_sel_hi:[1,1,0] neg_lo:[0,0,1] neg_hi:[0,0,1]
	v_pk_fma_f32 v[18:19], v[48:49], v[52:53], v[18:19] op_sel:[0,0,1] op_sel_hi:[1,0,0]
	v_fmac_f32_e32 v59, v47, v194
	v_fma_f32 v58, v46, v194, -v4
	v_pk_add_f32 v[16:17], v[54:55], v[56:57]
	s_waitcnt vmcnt(7)
	v_mov_b32_e32 v18, v67
	ds_read2_b64 v[4:7], v1 offset0:97 offset1:98
	ds_read2_b64 v[8:11], v1 offset0:99 offset1:100
	;; [unrolled: 1-line block ×3, first 2 shown]
	v_pk_add_f32 v[16:17], v[16:17], v[58:59]
	v_mov_b32_e32 v21, v19
	v_pk_mul_f32 v[18:19], v[50:51], v[18:19] op_sel_hi:[1,0]
	v_pk_add_f32 v[16:17], v[16:17], v[20:21]
	s_waitcnt vmcnt(6)
	v_pk_fma_f32 v[20:21], v[50:51], v[66:67], v[18:19] op_sel:[0,0,1] op_sel_hi:[1,1,0] neg_lo:[0,0,1] neg_hi:[0,0,1]
	v_pk_fma_f32 v[18:19], v[50:51], v[66:67], v[18:19] op_sel:[0,0,1] op_sel_hi:[1,0,0]
	v_mov_b32_e32 v18, v65
	v_mov_b32_e32 v21, v19
	s_waitcnt lgkmcnt(2)
	v_pk_mul_f32 v[18:19], v[4:5], v[18:19] op_sel_hi:[1,0]
	v_pk_add_f32 v[16:17], v[16:17], v[20:21]
	v_pk_fma_f32 v[20:21], v[4:5], v[64:65], v[18:19] op_sel:[0,0,1] op_sel_hi:[1,1,0] neg_lo:[0,0,1] neg_hi:[0,0,1]
	v_pk_fma_f32 v[4:5], v[4:5], v[64:65], v[18:19] op_sel:[0,0,1] op_sel_hi:[1,0,0]
	v_mov_b32_e32 v21, v5
	v_pk_add_f32 v[4:5], v[16:17], v[20:21]
	v_mov_b32_e32 v16, v63
	v_pk_mul_f32 v[16:17], v[6:7], v[16:17] op_sel_hi:[1,0]
	v_pk_fma_f32 v[18:19], v[6:7], v[62:63], v[16:17] op_sel:[0,0,1] op_sel_hi:[1,1,0] neg_lo:[0,0,1] neg_hi:[0,0,1]
	v_pk_fma_f32 v[6:7], v[6:7], v[62:63], v[16:17] op_sel:[0,0,1] op_sel_hi:[1,0,0]
	v_mov_b32_e32 v6, v61
	v_mov_b32_e32 v19, v7
	s_waitcnt lgkmcnt(1)
	v_pk_mul_f32 v[6:7], v[8:9], v[6:7] op_sel_hi:[1,0]
	v_pk_fma_f32 v[16:17], v[8:9], v[60:61], v[6:7] op_sel:[0,0,1] op_sel_hi:[1,1,0] neg_lo:[0,0,1] neg_hi:[0,0,1]
	v_pk_fma_f32 v[6:7], v[8:9], v[60:61], v[6:7] op_sel:[0,0,1] op_sel_hi:[1,0,0]
	s_waitcnt vmcnt(1)
	v_mov_b32_e32 v6, v73
	v_mov_b32_e32 v17, v7
	v_pk_mul_f32 v[6:7], v[10:11], v[6:7] op_sel_hi:[1,0]
	s_waitcnt vmcnt(0)
	v_pk_fma_f32 v[8:9], v[10:11], v[72:73], v[6:7] op_sel:[0,0,1] op_sel_hi:[1,1,0] neg_lo:[0,0,1] neg_hi:[0,0,1]
	v_pk_fma_f32 v[6:7], v[10:11], v[72:73], v[6:7] op_sel:[0,0,1] op_sel_hi:[1,0,0]
	v_pk_add_f32 v[4:5], v[4:5], v[18:19]
	v_mov_b32_e32 v6, v71
	v_pk_add_f32 v[4:5], v[4:5], v[16:17]
	v_mov_b32_e32 v9, v7
	s_waitcnt lgkmcnt(0)
	v_pk_mul_f32 v[6:7], v[12:13], v[6:7] op_sel_hi:[1,0]
	v_pk_add_f32 v[4:5], v[4:5], v[8:9]
	v_pk_fma_f32 v[8:9], v[12:13], v[70:71], v[6:7] op_sel:[0,0,1] op_sel_hi:[1,1,0] neg_lo:[0,0,1] neg_hi:[0,0,1]
	v_pk_fma_f32 v[6:7], v[12:13], v[70:71], v[6:7] op_sel:[0,0,1] op_sel_hi:[1,0,0]
	v_mov_b32_e32 v6, v69
	v_mov_b32_e32 v9, v7
	v_pk_mul_f32 v[6:7], v[14:15], v[6:7] op_sel_hi:[1,0]
	v_pk_add_f32 v[4:5], v[4:5], v[8:9]
	v_pk_fma_f32 v[8:9], v[14:15], v[68:69], v[6:7] op_sel:[0,0,1] op_sel_hi:[1,1,0] neg_lo:[0,0,1] neg_hi:[0,0,1]
	v_pk_fma_f32 v[6:7], v[14:15], v[68:69], v[6:7] op_sel:[0,0,1] op_sel_hi:[1,0,0]
	v_mov_b32_e32 v9, v7
	v_pk_add_f32 v[4:5], v[4:5], v[8:9]
	v_pk_add_f32 v[2:3], v[2:3], v[4:5] neg_lo:[0,1] neg_hi:[0,1]
	buffer_store_dword v3, off, s[0:3], 0 offset:164
	buffer_store_dword v2, off, s[0:3], 0 offset:160
	s_and_saveexec_b64 s[4:5], vcc
	s_cbranch_execz .LBB114_281
; %bb.280:
	buffer_load_dword v2, off, s[0:3], 0 offset:152
	buffer_load_dword v3, off, s[0:3], 0 offset:156
	v_mov_b32_e32 v1, 0
	buffer_store_dword v1, off, s[0:3], 0 offset:152
	buffer_store_dword v1, off, s[0:3], 0 offset:156
	s_waitcnt vmcnt(2)
	ds_write_b64 v121, v[2:3]
.LBB114_281:
	s_or_b64 exec, exec, s[4:5]
	s_waitcnt lgkmcnt(0)
	; wave barrier
	s_waitcnt lgkmcnt(0)
	buffer_load_dword v52, off, s[0:3], 0 offset:164
	buffer_load_dword v54, off, s[0:3], 0 offset:172
	buffer_load_dword v56, off, s[0:3], 0 offset:180
	buffer_load_dword v74, off, s[0:3], 0 offset:188
	buffer_load_dword v75, off, s[0:3], 0 offset:196
	buffer_load_dword v76, off, s[0:3], 0 offset:204
	buffer_load_dword v77, off, s[0:3], 0 offset:212
	buffer_load_dword v78, off, s[0:3], 0 offset:220
	buffer_load_dword v79, off, s[0:3], 0 offset:228
	buffer_load_dword v80, off, s[0:3], 0 offset:236
	buffer_load_dword v81, off, s[0:3], 0 offset:244
	buffer_load_dword v82, off, s[0:3], 0 offset:252
	buffer_load_dword v83, off, s[0:3], 0 offset:160
	buffer_load_dword v84, off, s[0:3], 0 offset:168
	buffer_load_dword v85, off, s[0:3], 0 offset:176
	buffer_load_dword v86, off, s[0:3], 0 offset:184
	buffer_load_dword v87, off, s[0:3], 0 offset:192
	buffer_load_dword v88, off, s[0:3], 0 offset:200
	buffer_load_dword v89, off, s[0:3], 0 offset:208
	buffer_load_dword v90, off, s[0:3], 0 offset:216
	buffer_load_dword v91, off, s[0:3], 0 offset:224
	buffer_load_dword v92, off, s[0:3], 0 offset:232
	buffer_load_dword v93, off, s[0:3], 0 offset:240
	buffer_load_dword v94, off, s[0:3], 0 offset:248
	buffer_load_dword v95, off, s[0:3], 0 offset:260
	buffer_load_dword v96, off, s[0:3], 0 offset:256
	buffer_load_dword v97, off, s[0:3], 0 offset:268
	buffer_load_dword v98, off, s[0:3], 0 offset:264
	buffer_load_dword v99, off, s[0:3], 0 offset:276
	buffer_load_dword v100, off, s[0:3], 0 offset:272
	buffer_load_dword v101, off, s[0:3], 0 offset:284
	buffer_load_dword v102, off, s[0:3], 0 offset:280
	buffer_load_dword v103, off, s[0:3], 0 offset:292
	buffer_load_dword v104, off, s[0:3], 0 offset:288
	buffer_load_dword v105, off, s[0:3], 0 offset:300
	buffer_load_dword v106, off, s[0:3], 0 offset:296
	buffer_load_dword v107, off, s[0:3], 0 offset:308
	buffer_load_dword v188, off, s[0:3], 0 offset:304
	buffer_load_dword v189, off, s[0:3], 0 offset:316
	buffer_load_dword v190, off, s[0:3], 0 offset:312
	buffer_load_dword v191, off, s[0:3], 0 offset:320
	buffer_load_dword v192, off, s[0:3], 0 offset:324
	buffer_load_dword v2, off, s[0:3], 0 offset:152
	buffer_load_dword v3, off, s[0:3], 0 offset:156
	buffer_load_dword v193, off, s[0:3], 0 offset:332
	buffer_load_dword v194, off, s[0:3], 0 offset:328
	buffer_load_dword v195, off, s[0:3], 0 offset:340
	buffer_load_dword v196, off, s[0:3], 0 offset:336
	v_mov_b32_e32 v1, 0
	ds_read_b128 v[4:7], v1 offset:576
	ds_read_b128 v[8:11], v1 offset:592
	;; [unrolled: 1-line block ×6, first 2 shown]
	v_cmp_lt_u32_e32 vcc, 18, v0
	s_waitcnt vmcnt(47) lgkmcnt(5)
	v_mul_f32_e32 v28, v4, v52
	s_waitcnt vmcnt(46)
	v_mul_f32_e32 v29, v6, v54
	s_waitcnt vmcnt(45) lgkmcnt(4)
	v_mul_f32_e32 v30, v8, v56
	s_waitcnt vmcnt(44)
	v_mul_f32_e32 v31, v10, v74
	;; [unrolled: 4-line block ×6, first 2 shown]
	s_waitcnt vmcnt(35)
	v_fmac_f32_e32 v28, v5, v83
	s_waitcnt vmcnt(34)
	v_fmac_f32_e32 v29, v7, v84
	v_add_f32_e32 v28, 0, v28
	s_waitcnt vmcnt(33)
	v_fmac_f32_e32 v30, v9, v85
	v_add_f32_e32 v28, v28, v29
	;; [unrolled: 3-line block ×8, first 2 shown]
	v_add_f32_e32 v32, v28, v36
	ds_read_b128 v[28:31], v1 offset:672
	s_waitcnt vmcnt(26)
	v_fmac_f32_e32 v37, v23, v92
	s_waitcnt vmcnt(25)
	v_fmac_f32_e32 v38, v25, v93
	v_add_f32_e32 v32, v32, v37
	s_waitcnt vmcnt(24)
	v_fmac_f32_e32 v39, v27, v94
	v_add_f32_e32 v32, v32, v38
	v_add_f32_e32 v36, v32, v39
	ds_read_b128 v[32:35], v1 offset:688
	s_waitcnt vmcnt(23) lgkmcnt(1)
	v_mul_f32_e32 v37, v28, v95
	s_waitcnt vmcnt(22)
	v_fmac_f32_e32 v37, v29, v96
	v_add_f32_e32 v36, v36, v37
	s_waitcnt vmcnt(21)
	v_mul_f32_e32 v37, v30, v97
	s_waitcnt vmcnt(20)
	v_fmac_f32_e32 v37, v31, v98
	v_add_f32_e32 v36, v36, v37
	s_waitcnt vmcnt(19) lgkmcnt(0)
	v_mul_f32_e32 v37, v32, v99
	s_waitcnt vmcnt(18)
	v_fmac_f32_e32 v37, v33, v100
	v_add_f32_e32 v40, v36, v37
	ds_read_b128 v[36:39], v1 offset:704
	s_waitcnt vmcnt(17)
	v_mul_f32_e32 v41, v34, v101
	s_waitcnt vmcnt(16)
	v_fmac_f32_e32 v41, v35, v102
	v_add_f32_e32 v44, v40, v41
	ds_read_b128 v[40:43], v1 offset:720
	s_waitcnt vmcnt(15) lgkmcnt(1)
	v_mul_f32_e32 v45, v36, v103
	s_waitcnt vmcnt(14)
	v_fmac_f32_e32 v45, v37, v104
	v_add_f32_e32 v44, v44, v45
	s_waitcnt vmcnt(13)
	v_mul_f32_e32 v45, v38, v105
	s_waitcnt vmcnt(12)
	v_fmac_f32_e32 v45, v39, v106
	v_add_f32_e32 v44, v44, v45
	s_waitcnt vmcnt(11) lgkmcnt(0)
	v_mul_f32_e32 v45, v40, v107
	s_waitcnt vmcnt(10)
	v_fmac_f32_e32 v45, v41, v188
	s_waitcnt vmcnt(9)
	v_mul_f32_e32 v49, v42, v189
	v_add_f32_e32 v48, v44, v45
	s_waitcnt vmcnt(8)
	v_fmac_f32_e32 v49, v43, v190
	ds_read_b128 v[44:47], v1 offset:736
	v_add_f32_e32 v53, v48, v49
	ds_read_b128 v[48:51], v1 offset:752
	buffer_load_dword v59, off, s[0:3], 0 offset:372
	buffer_load_dword v58, off, s[0:3], 0 offset:368
	;; [unrolled: 1-line block ×16, first 2 shown]
	v_mul_f32_e32 v5, v5, v52
	v_fma_f32 v4, v4, v83, -v5
	v_mul_f32_e32 v5, v7, v54
	v_add_f32_e32 v4, 0, v4
	v_fma_f32 v5, v6, v84, -v5
	v_add_f32_e32 v4, v4, v5
	v_mul_f32_e32 v5, v9, v56
	v_fma_f32 v5, v8, v85, -v5
	v_add_f32_e32 v4, v4, v5
	v_mul_f32_e32 v5, v11, v74
	;; [unrolled: 3-line block ×18, first 2 shown]
	v_fma_f32 v5, v42, v190, -v5
	v_add_f32_e32 v4, v4, v5
	s_waitcnt vmcnt(22) lgkmcnt(1)
	v_mul_f32_e32 v5, v45, v192
	v_mul_f32_e32 v55, v44, v192
	v_fma_f32 v5, v44, v191, -v5
	v_fmac_f32_e32 v55, v45, v191
	v_add_f32_e32 v52, v4, v5
	s_waitcnt vmcnt(19)
	v_mul_f32_e32 v4, v47, v193
	v_add_f32_e32 v53, v53, v55
	v_mul_f32_e32 v55, v46, v193
	s_waitcnt vmcnt(18)
	v_fma_f32 v54, v46, v194, -v4
	s_waitcnt vmcnt(17) lgkmcnt(0)
	v_mul_f32_e32 v4, v49, v195
	s_waitcnt vmcnt(9)
	v_mov_b32_e32 v20, v65
	v_pk_mul_f32 v[20:21], v[50:51], v[20:21] op_sel_hi:[1,0]
	v_fmac_f32_e32 v55, v47, v194
	v_mul_f32_e32 v57, v48, v195
	v_fma_f32 v56, v48, v196, -v4
	ds_read_b128 v[4:7], v1 offset:768
	ds_read_b128 v[8:11], v1 offset:784
	;; [unrolled: 1-line block ×3, first 2 shown]
	ds_read_b64 v[16:17], v1 offset:816
	s_waitcnt vmcnt(8)
	v_pk_fma_f32 v[22:23], v[50:51], v[64:65], v[20:21] op_sel:[0,0,1] op_sel_hi:[1,1,0] neg_lo:[0,0,1] neg_hi:[0,0,1]
	v_pk_fma_f32 v[20:21], v[50:51], v[64:65], v[20:21] op_sel:[0,0,1] op_sel_hi:[1,0,0]
	v_fmac_f32_e32 v57, v49, v196
	v_pk_add_f32 v[18:19], v[52:53], v[54:55]
	v_mov_b32_e32 v20, v63
	v_pk_add_f32 v[18:19], v[18:19], v[56:57]
	v_mov_b32_e32 v23, v21
	s_waitcnt lgkmcnt(3)
	v_pk_mul_f32 v[20:21], v[4:5], v[20:21] op_sel_hi:[1,0]
	v_pk_add_f32 v[18:19], v[18:19], v[22:23]
	v_pk_fma_f32 v[22:23], v[4:5], v[62:63], v[20:21] op_sel:[0,0,1] op_sel_hi:[1,1,0] neg_lo:[0,0,1] neg_hi:[0,0,1]
	v_pk_fma_f32 v[4:5], v[4:5], v[62:63], v[20:21] op_sel:[0,0,1] op_sel_hi:[1,0,0]
	v_mov_b32_e32 v23, v5
	v_pk_add_f32 v[4:5], v[18:19], v[22:23]
	v_mov_b32_e32 v18, v61
	v_pk_mul_f32 v[18:19], v[6:7], v[18:19] op_sel_hi:[1,0]
	v_pk_fma_f32 v[20:21], v[6:7], v[60:61], v[18:19] op_sel:[0,0,1] op_sel_hi:[1,1,0] neg_lo:[0,0,1] neg_hi:[0,0,1]
	v_pk_fma_f32 v[6:7], v[6:7], v[60:61], v[18:19] op_sel:[0,0,1] op_sel_hi:[1,0,0]
	v_mov_b32_e32 v6, v59
	v_mov_b32_e32 v21, v7
	s_waitcnt lgkmcnt(2)
	v_pk_mul_f32 v[6:7], v[8:9], v[6:7] op_sel_hi:[1,0]
	v_pk_fma_f32 v[18:19], v[8:9], v[58:59], v[6:7] op_sel:[0,0,1] op_sel_hi:[1,1,0] neg_lo:[0,0,1] neg_hi:[0,0,1]
	v_pk_fma_f32 v[6:7], v[8:9], v[58:59], v[6:7] op_sel:[0,0,1] op_sel_hi:[1,0,0]
	s_waitcnt vmcnt(1)
	v_mov_b32_e32 v6, v73
	v_mov_b32_e32 v19, v7
	v_pk_mul_f32 v[6:7], v[10:11], v[6:7] op_sel_hi:[1,0]
	s_waitcnt vmcnt(0)
	v_pk_fma_f32 v[8:9], v[10:11], v[72:73], v[6:7] op_sel:[0,0,1] op_sel_hi:[1,1,0] neg_lo:[0,0,1] neg_hi:[0,0,1]
	v_pk_fma_f32 v[6:7], v[10:11], v[72:73], v[6:7] op_sel:[0,0,1] op_sel_hi:[1,0,0]
	v_pk_add_f32 v[4:5], v[4:5], v[20:21]
	v_mov_b32_e32 v6, v71
	v_pk_add_f32 v[4:5], v[4:5], v[18:19]
	v_mov_b32_e32 v9, v7
	s_waitcnt lgkmcnt(1)
	v_pk_mul_f32 v[6:7], v[12:13], v[6:7] op_sel_hi:[1,0]
	v_pk_add_f32 v[4:5], v[4:5], v[8:9]
	v_pk_fma_f32 v[8:9], v[12:13], v[70:71], v[6:7] op_sel:[0,0,1] op_sel_hi:[1,1,0] neg_lo:[0,0,1] neg_hi:[0,0,1]
	v_pk_fma_f32 v[6:7], v[12:13], v[70:71], v[6:7] op_sel:[0,0,1] op_sel_hi:[1,0,0]
	v_mov_b32_e32 v6, v69
	v_mov_b32_e32 v9, v7
	v_pk_mul_f32 v[6:7], v[14:15], v[6:7] op_sel_hi:[1,0]
	v_pk_add_f32 v[4:5], v[4:5], v[8:9]
	v_pk_fma_f32 v[8:9], v[14:15], v[68:69], v[6:7] op_sel:[0,0,1] op_sel_hi:[1,1,0] neg_lo:[0,0,1] neg_hi:[0,0,1]
	v_pk_fma_f32 v[6:7], v[14:15], v[68:69], v[6:7] op_sel:[0,0,1] op_sel_hi:[1,0,0]
	v_mov_b32_e32 v6, v67
	v_mov_b32_e32 v9, v7
	s_waitcnt lgkmcnt(0)
	v_pk_mul_f32 v[6:7], v[16:17], v[6:7] op_sel_hi:[1,0]
	v_pk_add_f32 v[4:5], v[4:5], v[8:9]
	v_pk_fma_f32 v[8:9], v[16:17], v[66:67], v[6:7] op_sel:[0,0,1] op_sel_hi:[1,1,0] neg_lo:[0,0,1] neg_hi:[0,0,1]
	v_pk_fma_f32 v[6:7], v[16:17], v[66:67], v[6:7] op_sel:[0,0,1] op_sel_hi:[1,0,0]
	v_mov_b32_e32 v9, v7
	v_pk_add_f32 v[4:5], v[4:5], v[8:9]
	v_pk_add_f32 v[2:3], v[2:3], v[4:5] neg_lo:[0,1] neg_hi:[0,1]
	buffer_store_dword v3, off, s[0:3], 0 offset:156
	buffer_store_dword v2, off, s[0:3], 0 offset:152
	s_and_saveexec_b64 s[4:5], vcc
	s_cbranch_execz .LBB114_283
; %bb.282:
	buffer_load_dword v2, off, s[0:3], 0 offset:144
	buffer_load_dword v3, off, s[0:3], 0 offset:148
	s_waitcnt vmcnt(0)
	ds_write_b64 v121, v[2:3]
	buffer_store_dword v1, off, s[0:3], 0 offset:144
	buffer_store_dword v1, off, s[0:3], 0 offset:148
.LBB114_283:
	s_or_b64 exec, exec, s[4:5]
	s_waitcnt lgkmcnt(0)
	; wave barrier
	s_waitcnt lgkmcnt(0)
	buffer_load_dword v52, off, s[0:3], 0 offset:156
	buffer_load_dword v54, off, s[0:3], 0 offset:164
	;; [unrolled: 1-line block ×48, first 2 shown]
	ds_read2_b64 v[4:7], v1 offset0:71 offset1:72
	ds_read2_b64 v[8:11], v1 offset0:73 offset1:74
	;; [unrolled: 1-line block ×6, first 2 shown]
	buffer_load_dword v197, off, s[0:3], 0 offset:336
	buffer_load_dword v198, off, s[0:3], 0 offset:340
	v_cmp_lt_u32_e32 vcc, 17, v0
	s_waitcnt vmcnt(49) lgkmcnt(5)
	v_mul_f32_e32 v28, v4, v52
	s_waitcnt vmcnt(48)
	v_mul_f32_e32 v29, v6, v54
	s_waitcnt vmcnt(47) lgkmcnt(4)
	v_mul_f32_e32 v30, v8, v62
	s_waitcnt vmcnt(46)
	v_mul_f32_e32 v31, v10, v74
	;; [unrolled: 4-line block ×6, first 2 shown]
	s_waitcnt vmcnt(37)
	v_fmac_f32_e32 v28, v5, v83
	s_waitcnt vmcnt(36)
	v_fmac_f32_e32 v29, v7, v84
	v_add_f32_e32 v28, 0, v28
	s_waitcnt vmcnt(35)
	v_fmac_f32_e32 v30, v9, v85
	v_add_f32_e32 v28, v28, v29
	;; [unrolled: 3-line block ×9, first 2 shown]
	v_add_f32_e32 v32, v28, v37
	ds_read2_b64 v[28:31], v1 offset0:83 offset1:84
	s_waitcnt vmcnt(27)
	v_fmac_f32_e32 v38, v25, v93
	v_add_f32_e32 v32, v32, v38
	s_waitcnt vmcnt(26)
	v_fmac_f32_e32 v39, v27, v94
	v_add_f32_e32 v36, v32, v39
	ds_read2_b64 v[32:35], v1 offset0:85 offset1:86
	s_waitcnt vmcnt(25) lgkmcnt(1)
	v_mul_f32_e32 v37, v28, v95
	s_waitcnt vmcnt(24)
	v_fmac_f32_e32 v37, v29, v96
	v_add_f32_e32 v36, v36, v37
	s_waitcnt vmcnt(23)
	v_mul_f32_e32 v37, v30, v97
	s_waitcnt vmcnt(22)
	v_fmac_f32_e32 v37, v31, v98
	v_add_f32_e32 v36, v36, v37
	s_waitcnt vmcnt(21) lgkmcnt(0)
	v_mul_f32_e32 v37, v32, v99
	s_waitcnt vmcnt(20)
	v_fmac_f32_e32 v37, v33, v100
	v_add_f32_e32 v40, v36, v37
	ds_read2_b64 v[36:39], v1 offset0:87 offset1:88
	s_waitcnt vmcnt(19)
	v_mul_f32_e32 v41, v34, v101
	s_waitcnt vmcnt(18)
	v_fmac_f32_e32 v41, v35, v102
	v_add_f32_e32 v44, v40, v41
	ds_read2_b64 v[40:43], v1 offset0:89 offset1:90
	s_waitcnt vmcnt(17) lgkmcnt(1)
	v_mul_f32_e32 v45, v36, v103
	s_waitcnt vmcnt(16)
	v_fmac_f32_e32 v45, v37, v104
	v_add_f32_e32 v44, v44, v45
	s_waitcnt vmcnt(15)
	v_mul_f32_e32 v45, v38, v105
	s_waitcnt vmcnt(14)
	v_fmac_f32_e32 v45, v39, v106
	v_add_f32_e32 v44, v44, v45
	s_waitcnt vmcnt(13) lgkmcnt(0)
	v_mul_f32_e32 v45, v40, v107
	s_waitcnt vmcnt(12)
	v_fmac_f32_e32 v45, v41, v188
	s_waitcnt vmcnt(11)
	v_mul_f32_e32 v49, v42, v189
	v_add_f32_e32 v48, v44, v45
	s_waitcnt vmcnt(10)
	v_fmac_f32_e32 v49, v43, v190
	ds_read2_b64 v[44:47], v1 offset0:91 offset1:92
	v_add_f32_e32 v53, v48, v49
	ds_read2_b64 v[48:51], v1 offset0:93 offset1:94
	buffer_load_dword v57, off, s[0:3], 0 offset:364
	buffer_load_dword v56, off, s[0:3], 0 offset:360
	;; [unrolled: 1-line block ×16, first 2 shown]
	v_mul_f32_e32 v5, v5, v52
	v_fma_f32 v4, v4, v83, -v5
	v_mul_f32_e32 v5, v7, v54
	v_add_f32_e32 v4, 0, v4
	v_fma_f32 v5, v6, v84, -v5
	v_add_f32_e32 v4, v4, v5
	v_mul_f32_e32 v5, v9, v62
	v_fma_f32 v5, v8, v85, -v5
	v_add_f32_e32 v4, v4, v5
	v_mul_f32_e32 v5, v11, v74
	;; [unrolled: 3-line block ×18, first 2 shown]
	v_fma_f32 v5, v42, v190, -v5
	v_add_f32_e32 v4, v4, v5
	s_waitcnt vmcnt(23) lgkmcnt(1)
	v_mul_f32_e32 v5, v45, v191
	s_waitcnt vmcnt(22)
	v_fma_f32 v5, v44, v192, -v5
	v_add_f32_e32 v4, v4, v5
	s_waitcnt vmcnt(20)
	v_mul_f32_e32 v5, v47, v194
	v_mul_f32_e32 v55, v44, v191
	v_fma_f32 v5, v46, v193, -v5
	v_fmac_f32_e32 v55, v45, v192
	v_add_f32_e32 v52, v4, v5
	s_waitcnt vmcnt(18) lgkmcnt(0)
	v_mul_f32_e32 v4, v49, v196
	v_add_f32_e32 v53, v53, v55
	v_mul_f32_e32 v55, v46, v194
	v_fma_f32 v54, v48, v195, -v4
	s_waitcnt vmcnt(16)
	v_mul_f32_e32 v4, v51, v198
	v_fmac_f32_e32 v55, v47, v193
	v_fma_f32 v62, v50, v197, -v4
	ds_read2_b64 v[4:7], v1 offset0:95 offset1:96
	ds_read2_b64 v[8:11], v1 offset0:97 offset1:98
	;; [unrolled: 1-line block ×4, first 2 shown]
	v_add_f32_e32 v53, v53, v55
	v_mul_f32_e32 v55, v48, v196
	s_waitcnt vmcnt(11)
	v_mov_b32_e32 v22, v61
	v_fmac_f32_e32 v55, v49, v195
	v_mul_f32_e32 v63, v50, v198
	s_waitcnt lgkmcnt(3)
	v_pk_mul_f32 v[22:23], v[4:5], v[22:23] op_sel_hi:[1,0]
	v_fmac_f32_e32 v63, v51, v197
	v_pk_add_f32 v[20:21], v[52:53], v[54:55]
	s_waitcnt vmcnt(10)
	v_pk_fma_f32 v[24:25], v[4:5], v[60:61], v[22:23] op_sel:[0,0,1] op_sel_hi:[1,1,0] neg_lo:[0,0,1] neg_hi:[0,0,1]
	v_pk_fma_f32 v[4:5], v[4:5], v[60:61], v[22:23] op_sel:[0,0,1] op_sel_hi:[1,0,0]
	v_pk_add_f32 v[20:21], v[20:21], v[62:63]
	v_mov_b32_e32 v25, v5
	v_pk_add_f32 v[4:5], v[20:21], v[24:25]
	v_mov_b32_e32 v20, v59
	v_pk_mul_f32 v[20:21], v[6:7], v[20:21] op_sel_hi:[1,0]
	v_pk_fma_f32 v[22:23], v[6:7], v[58:59], v[20:21] op_sel:[0,0,1] op_sel_hi:[1,1,0] neg_lo:[0,0,1] neg_hi:[0,0,1]
	v_pk_fma_f32 v[6:7], v[6:7], v[58:59], v[20:21] op_sel:[0,0,1] op_sel_hi:[1,0,0]
	v_mov_b32_e32 v6, v57
	v_mov_b32_e32 v23, v7
	s_waitcnt lgkmcnt(2)
	v_pk_mul_f32 v[6:7], v[8:9], v[6:7] op_sel_hi:[1,0]
	v_pk_fma_f32 v[20:21], v[8:9], v[56:57], v[6:7] op_sel:[0,0,1] op_sel_hi:[1,1,0] neg_lo:[0,0,1] neg_hi:[0,0,1]
	v_pk_fma_f32 v[6:7], v[8:9], v[56:57], v[6:7] op_sel:[0,0,1] op_sel_hi:[1,0,0]
	s_waitcnt vmcnt(3)
	v_mov_b32_e32 v6, v71
	v_mov_b32_e32 v21, v7
	v_pk_mul_f32 v[6:7], v[10:11], v[6:7] op_sel_hi:[1,0]
	s_waitcnt vmcnt(2)
	v_pk_fma_f32 v[8:9], v[10:11], v[70:71], v[6:7] op_sel:[0,0,1] op_sel_hi:[1,1,0] neg_lo:[0,0,1] neg_hi:[0,0,1]
	v_pk_fma_f32 v[6:7], v[10:11], v[70:71], v[6:7] op_sel:[0,0,1] op_sel_hi:[1,0,0]
	v_pk_add_f32 v[4:5], v[4:5], v[22:23]
	v_mov_b32_e32 v6, v69
	v_pk_add_f32 v[4:5], v[4:5], v[20:21]
	v_mov_b32_e32 v9, v7
	s_waitcnt lgkmcnt(1)
	v_pk_mul_f32 v[6:7], v[12:13], v[6:7] op_sel_hi:[1,0]
	v_pk_add_f32 v[4:5], v[4:5], v[8:9]
	v_pk_fma_f32 v[8:9], v[12:13], v[68:69], v[6:7] op_sel:[0,0,1] op_sel_hi:[1,1,0] neg_lo:[0,0,1] neg_hi:[0,0,1]
	v_pk_fma_f32 v[6:7], v[12:13], v[68:69], v[6:7] op_sel:[0,0,1] op_sel_hi:[1,0,0]
	v_mov_b32_e32 v6, v67
	v_mov_b32_e32 v9, v7
	v_pk_mul_f32 v[6:7], v[14:15], v[6:7] op_sel_hi:[1,0]
	v_pk_add_f32 v[4:5], v[4:5], v[8:9]
	v_pk_fma_f32 v[8:9], v[14:15], v[66:67], v[6:7] op_sel:[0,0,1] op_sel_hi:[1,1,0] neg_lo:[0,0,1] neg_hi:[0,0,1]
	v_pk_fma_f32 v[6:7], v[14:15], v[66:67], v[6:7] op_sel:[0,0,1] op_sel_hi:[1,0,0]
	v_mov_b32_e32 v6, v65
	v_mov_b32_e32 v9, v7
	s_waitcnt lgkmcnt(0)
	v_pk_mul_f32 v[6:7], v[16:17], v[6:7] op_sel_hi:[1,0]
	v_pk_add_f32 v[4:5], v[4:5], v[8:9]
	v_pk_fma_f32 v[8:9], v[16:17], v[64:65], v[6:7] op_sel:[0,0,1] op_sel_hi:[1,1,0] neg_lo:[0,0,1] neg_hi:[0,0,1]
	v_pk_fma_f32 v[6:7], v[16:17], v[64:65], v[6:7] op_sel:[0,0,1] op_sel_hi:[1,0,0]
	s_waitcnt vmcnt(1)
	v_mov_b32_e32 v6, v73
	v_mov_b32_e32 v9, v7
	v_pk_mul_f32 v[6:7], v[18:19], v[6:7] op_sel_hi:[1,0]
	v_pk_add_f32 v[4:5], v[4:5], v[8:9]
	s_waitcnt vmcnt(0)
	v_pk_fma_f32 v[8:9], v[18:19], v[72:73], v[6:7] op_sel:[0,0,1] op_sel_hi:[1,1,0] neg_lo:[0,0,1] neg_hi:[0,0,1]
	v_pk_fma_f32 v[6:7], v[18:19], v[72:73], v[6:7] op_sel:[0,0,1] op_sel_hi:[1,0,0]
	v_mov_b32_e32 v9, v7
	v_pk_add_f32 v[4:5], v[4:5], v[8:9]
	v_pk_add_f32 v[2:3], v[2:3], v[4:5] neg_lo:[0,1] neg_hi:[0,1]
	buffer_store_dword v3, off, s[0:3], 0 offset:148
	buffer_store_dword v2, off, s[0:3], 0 offset:144
	s_and_saveexec_b64 s[4:5], vcc
	s_cbranch_execz .LBB114_285
; %bb.284:
	buffer_load_dword v2, off, s[0:3], 0 offset:136
	buffer_load_dword v3, off, s[0:3], 0 offset:140
	v_mov_b32_e32 v1, 0
	buffer_store_dword v1, off, s[0:3], 0 offset:136
	buffer_store_dword v1, off, s[0:3], 0 offset:140
	s_waitcnt vmcnt(2)
	ds_write_b64 v121, v[2:3]
.LBB114_285:
	s_or_b64 exec, exec, s[4:5]
	s_waitcnt lgkmcnt(0)
	; wave barrier
	s_waitcnt lgkmcnt(0)
	buffer_load_dword v1, off, s[0:3], 0 offset:148
	buffer_load_dword v5, off, s[0:3], 0 offset:156
	;; [unrolled: 1-line block ×52, first 2 shown]
	v_mov_b32_e32 v4, 0
	ds_read_b128 v[6:9], v4 offset:560
	ds_read_b128 v[10:13], v4 offset:576
	;; [unrolled: 1-line block ×6, first 2 shown]
	v_cmp_lt_u32_e32 vcc, 16, v0
	s_waitcnt vmcnt(51) lgkmcnt(5)
	v_mul_f32_e32 v30, v6, v1
	s_waitcnt vmcnt(50)
	v_mul_f32_e32 v31, v8, v5
	s_waitcnt vmcnt(49) lgkmcnt(4)
	v_mul_f32_e32 v32, v10, v62
	s_waitcnt vmcnt(48)
	v_mul_f32_e32 v33, v12, v68
	;; [unrolled: 4-line block ×5, first 2 shown]
	s_waitcnt vmcnt(41) lgkmcnt(0)
	v_mul_f32_e32 v40, v26, v89
	s_waitcnt vmcnt(40)
	v_fmac_f32_e32 v30, v7, v90
	s_waitcnt vmcnt(39)
	v_fmac_f32_e32 v31, v9, v91
	v_add_f32_e32 v30, 0, v30
	s_waitcnt vmcnt(38)
	v_fmac_f32_e32 v32, v11, v92
	v_add_f32_e32 v30, v30, v31
	;; [unrolled: 3-line block ×9, first 2 shown]
	v_add_f32_e32 v30, v30, v39
	s_waitcnt vmcnt(30)
	v_fmac_f32_e32 v40, v27, v100
	v_add_f32_e32 v34, v30, v40
	ds_read_b128 v[30:33], v4 offset:656
	s_waitcnt vmcnt(29)
	v_mul_f32_e32 v35, v28, v101
	s_waitcnt vmcnt(28)
	v_fmac_f32_e32 v35, v29, v102
	v_add_f32_e32 v38, v34, v35
	ds_read_b128 v[34:37], v4 offset:672
	s_waitcnt vmcnt(27) lgkmcnt(1)
	v_mul_f32_e32 v39, v30, v103
	s_waitcnt vmcnt(26)
	v_fmac_f32_e32 v39, v31, v104
	v_add_f32_e32 v38, v38, v39
	s_waitcnt vmcnt(25)
	v_mul_f32_e32 v39, v32, v105
	s_waitcnt vmcnt(24)
	v_fmac_f32_e32 v39, v33, v106
	v_add_f32_e32 v38, v38, v39
	s_waitcnt vmcnt(23) lgkmcnt(0)
	v_mul_f32_e32 v39, v34, v107
	s_waitcnt vmcnt(22)
	v_fmac_f32_e32 v39, v35, v188
	v_add_f32_e32 v42, v38, v39
	ds_read_b128 v[38:41], v4 offset:688
	s_waitcnt vmcnt(21)
	v_mul_f32_e32 v43, v36, v189
	s_waitcnt vmcnt(20)
	v_fmac_f32_e32 v43, v37, v190
	v_add_f32_e32 v46, v42, v43
	ds_read_b128 v[42:45], v4 offset:704
	s_waitcnt vmcnt(19) lgkmcnt(1)
	v_mul_f32_e32 v47, v38, v191
	s_waitcnt vmcnt(18)
	v_fmac_f32_e32 v47, v39, v192
	v_add_f32_e32 v46, v46, v47
	s_waitcnt vmcnt(17)
	v_mul_f32_e32 v47, v40, v193
	s_waitcnt vmcnt(16)
	v_fmac_f32_e32 v47, v41, v194
	v_add_f32_e32 v46, v46, v47
	s_waitcnt vmcnt(14) lgkmcnt(0)
	v_mul_f32_e32 v47, v42, v196
	v_fmac_f32_e32 v47, v43, v195
	v_add_f32_e32 v50, v46, v47
	ds_read_b128 v[46:49], v4 offset:720
	s_waitcnt vmcnt(10)
	v_mul_f32_e32 v51, v44, v198
	v_fmac_f32_e32 v51, v45, v197
	v_add_f32_e32 v54, v50, v51
	ds_read_b128 v[50:53], v4 offset:736
	s_waitcnt vmcnt(8) lgkmcnt(1)
	v_mul_f32_e32 v55, v46, v200
	v_fmac_f32_e32 v55, v47, v199
	v_add_f32_e32 v54, v54, v55
	s_waitcnt vmcnt(6)
	v_mul_f32_e32 v55, v48, v202
	v_fmac_f32_e32 v55, v49, v201
	v_add_f32_e32 v54, v54, v55
	s_waitcnt vmcnt(4) lgkmcnt(0)
	v_mul_f32_e32 v55, v50, v204
	v_fmac_f32_e32 v55, v51, v203
	v_add_f32_e32 v63, v54, v55
	ds_read_b128 v[54:57], v4 offset:752
	buffer_load_dword v65, off, s[0:3], 0 offset:356
	buffer_load_dword v64, off, s[0:3], 0 offset:352
	;; [unrolled: 1-line block ×4, first 2 shown]
	ds_read_b128 v[58:61], v4 offset:768
	buffer_load_dword v73, off, s[0:3], 0 offset:388
	buffer_load_dword v72, off, s[0:3], 0 offset:384
	;; [unrolled: 1-line block ×12, first 2 shown]
	v_mul_f32_e32 v1, v7, v1
	v_fma_f32 v1, v6, v90, -v1
	v_mul_f32_e32 v5, v9, v5
	v_add_f32_e32 v1, 0, v1
	v_fma_f32 v5, v8, v91, -v5
	v_add_f32_e32 v1, v1, v5
	v_mul_f32_e32 v5, v11, v62
	v_fma_f32 v5, v10, v92, -v5
	v_add_f32_e32 v1, v1, v5
	v_mul_f32_e32 v5, v13, v68
	;; [unrolled: 3-line block ×21, first 2 shown]
	v_fma_f32 v5, v50, v203, -v5
	s_waitcnt vmcnt(18)
	v_mul_f32_e32 v69, v52, v206
	v_add_f32_e32 v62, v1, v5
	v_mul_f32_e32 v1, v53, v206
	v_fmac_f32_e32 v69, v53, v205
	s_waitcnt vmcnt(16) lgkmcnt(1)
	v_mul_f32_e32 v71, v54, v208
	v_fma_f32 v68, v52, v205, -v1
	v_mul_f32_e32 v1, v55, v208
	v_fmac_f32_e32 v71, v55, v207
	s_waitcnt vmcnt(13)
	v_mov_b32_e32 v18, v67
	v_pk_mul_f32 v[18:19], v[56:57], v[18:19] op_sel_hi:[1,0]
	s_waitcnt vmcnt(12)
	v_pk_fma_f32 v[20:21], v[56:57], v[66:67], v[18:19] op_sel:[0,0,1] op_sel_hi:[1,1,0] neg_lo:[0,0,1] neg_hi:[0,0,1]
	v_pk_fma_f32 v[18:19], v[56:57], v[66:67], v[18:19] op_sel:[0,0,1] op_sel_hi:[1,0,0]
	v_fma_f32 v70, v54, v207, -v1
	v_pk_add_f32 v[16:17], v[62:63], v[68:69]
	v_mov_b32_e32 v18, v65
	v_pk_add_f32 v[16:17], v[16:17], v[70:71]
	v_mov_b32_e32 v21, v19
	s_waitcnt lgkmcnt(0)
	v_pk_mul_f32 v[18:19], v[58:59], v[18:19] op_sel_hi:[1,0]
	v_pk_add_f32 v[16:17], v[16:17], v[20:21]
	v_pk_fma_f32 v[20:21], v[58:59], v[64:65], v[18:19] op_sel:[0,0,1] op_sel_hi:[1,1,0] neg_lo:[0,0,1] neg_hi:[0,0,1]
	v_pk_fma_f32 v[18:19], v[58:59], v[64:65], v[18:19] op_sel:[0,0,1] op_sel_hi:[1,0,0]
	s_waitcnt vmcnt(5)
	v_mov_b32_e32 v18, v79
	ds_read_b128 v[6:9], v4 offset:784
	ds_read_b128 v[10:13], v4 offset:800
	ds_read_b64 v[14:15], v4 offset:816
	v_mov_b32_e32 v21, v19
	v_pk_mul_f32 v[18:19], v[60:61], v[18:19] op_sel_hi:[1,0]
	v_pk_add_f32 v[16:17], v[16:17], v[20:21]
	s_waitcnt vmcnt(4)
	v_pk_fma_f32 v[20:21], v[60:61], v[78:79], v[18:19] op_sel:[0,0,1] op_sel_hi:[1,1,0] neg_lo:[0,0,1] neg_hi:[0,0,1]
	v_pk_fma_f32 v[18:19], v[60:61], v[78:79], v[18:19] op_sel:[0,0,1] op_sel_hi:[1,0,0]
	v_mov_b32_e32 v18, v77
	v_mov_b32_e32 v21, v19
	s_waitcnt lgkmcnt(2)
	v_pk_mul_f32 v[18:19], v[6:7], v[18:19] op_sel_hi:[1,0]
	v_pk_add_f32 v[16:17], v[16:17], v[20:21]
	v_pk_fma_f32 v[20:21], v[6:7], v[76:77], v[18:19] op_sel:[0,0,1] op_sel_hi:[1,1,0] neg_lo:[0,0,1] neg_hi:[0,0,1]
	v_pk_fma_f32 v[6:7], v[6:7], v[76:77], v[18:19] op_sel:[0,0,1] op_sel_hi:[1,0,0]
	v_mov_b32_e32 v21, v7
	v_pk_add_f32 v[6:7], v[16:17], v[20:21]
	v_mov_b32_e32 v16, v75
	v_pk_mul_f32 v[16:17], v[8:9], v[16:17] op_sel_hi:[1,0]
	v_pk_fma_f32 v[18:19], v[8:9], v[74:75], v[16:17] op_sel:[0,0,1] op_sel_hi:[1,1,0] neg_lo:[0,0,1] neg_hi:[0,0,1]
	v_pk_fma_f32 v[8:9], v[8:9], v[74:75], v[16:17] op_sel:[0,0,1] op_sel_hi:[1,0,0]
	v_mov_b32_e32 v8, v73
	v_mov_b32_e32 v19, v9
	s_waitcnt lgkmcnt(1)
	v_pk_mul_f32 v[8:9], v[10:11], v[8:9] op_sel_hi:[1,0]
	v_pk_fma_f32 v[16:17], v[10:11], v[72:73], v[8:9] op_sel:[0,0,1] op_sel_hi:[1,1,0] neg_lo:[0,0,1] neg_hi:[0,0,1]
	v_pk_fma_f32 v[8:9], v[10:11], v[72:73], v[8:9] op_sel:[0,0,1] op_sel_hi:[1,0,0]
	s_waitcnt vmcnt(1)
	v_mov_b32_e32 v8, v83
	v_mov_b32_e32 v17, v9
	v_pk_mul_f32 v[8:9], v[12:13], v[8:9] op_sel_hi:[1,0]
	s_waitcnt vmcnt(0)
	v_pk_fma_f32 v[10:11], v[12:13], v[82:83], v[8:9] op_sel:[0,0,1] op_sel_hi:[1,1,0] neg_lo:[0,0,1] neg_hi:[0,0,1]
	v_pk_fma_f32 v[8:9], v[12:13], v[82:83], v[8:9] op_sel:[0,0,1] op_sel_hi:[1,0,0]
	v_pk_add_f32 v[6:7], v[6:7], v[18:19]
	v_mov_b32_e32 v8, v81
	v_pk_add_f32 v[6:7], v[6:7], v[16:17]
	v_mov_b32_e32 v11, v9
	s_waitcnt lgkmcnt(0)
	v_pk_mul_f32 v[8:9], v[14:15], v[8:9] op_sel_hi:[1,0]
	v_pk_add_f32 v[6:7], v[6:7], v[10:11]
	v_pk_fma_f32 v[10:11], v[14:15], v[80:81], v[8:9] op_sel:[0,0,1] op_sel_hi:[1,1,0] neg_lo:[0,0,1] neg_hi:[0,0,1]
	v_pk_fma_f32 v[8:9], v[14:15], v[80:81], v[8:9] op_sel:[0,0,1] op_sel_hi:[1,0,0]
	v_mov_b32_e32 v11, v9
	v_pk_add_f32 v[6:7], v[6:7], v[10:11]
	v_pk_add_f32 v[2:3], v[2:3], v[6:7] neg_lo:[0,1] neg_hi:[0,1]
	buffer_store_dword v3, off, s[0:3], 0 offset:140
	buffer_store_dword v2, off, s[0:3], 0 offset:136
	s_and_saveexec_b64 s[4:5], vcc
	s_cbranch_execz .LBB114_287
; %bb.286:
	buffer_load_dword v2, off, s[0:3], 0 offset:128
	buffer_load_dword v3, off, s[0:3], 0 offset:132
	s_waitcnt vmcnt(0)
	ds_write_b64 v121, v[2:3]
	buffer_store_dword v4, off, s[0:3], 0 offset:128
	buffer_store_dword v4, off, s[0:3], 0 offset:132
.LBB114_287:
	s_or_b64 exec, exec, s[4:5]
	s_waitcnt lgkmcnt(0)
	; wave barrier
	s_waitcnt lgkmcnt(0)
	buffer_load_dword v1, off, s[0:3], 0 offset:140
	buffer_load_dword v5, off, s[0:3], 0 offset:148
	;; [unrolled: 1-line block ×42, first 2 shown]
	ds_read2_b64 v[6:9], v4 offset0:69 offset1:70
	ds_read2_b64 v[10:13], v4 offset0:71 offset1:72
	buffer_load_dword v199, off, s[0:3], 0 offset:296
	buffer_load_dword v200, off, s[0:3], 0 offset:300
	ds_read2_b64 v[14:17], v4 offset0:73 offset1:74
	ds_read2_b64 v[18:21], v4 offset0:75 offset1:76
	buffer_load_dword v201, off, s[0:3], 0 offset:304
	buffer_load_dword v202, off, s[0:3], 0 offset:308
	;; [unrolled: 1-line block ×4, first 2 shown]
	ds_read2_b64 v[22:25], v4 offset0:77 offset1:78
	ds_read2_b64 v[26:29], v4 offset0:79 offset1:80
	buffer_load_dword v205, off, s[0:3], 0 offset:320
	buffer_load_dword v206, off, s[0:3], 0 offset:324
	;; [unrolled: 1-line block ×6, first 2 shown]
	v_cmp_lt_u32_e32 vcc, 15, v0
	s_waitcnt vmcnt(53) lgkmcnt(5)
	v_mul_f32_e32 v30, v6, v1
	s_waitcnt vmcnt(52)
	v_mul_f32_e32 v31, v8, v5
	s_waitcnt vmcnt(51) lgkmcnt(4)
	v_mul_f32_e32 v32, v10, v64
	s_waitcnt vmcnt(50)
	v_mul_f32_e32 v33, v12, v66
	;; [unrolled: 4-line block ×5, first 2 shown]
	s_waitcnt vmcnt(43)
	v_fmac_f32_e32 v30, v7, v89
	s_waitcnt vmcnt(42)
	v_fmac_f32_e32 v31, v9, v90
	v_add_f32_e32 v30, 0, v30
	s_waitcnt vmcnt(41)
	v_fmac_f32_e32 v32, v11, v91
	v_add_f32_e32 v30, v30, v31
	;; [unrolled: 3-line block ×9, first 2 shown]
	s_waitcnt vmcnt(33) lgkmcnt(0)
	v_mul_f32_e32 v31, v26, v99
	v_add_f32_e32 v30, v30, v39
	s_waitcnt vmcnt(32)
	v_fmac_f32_e32 v31, v27, v100
	v_add_f32_e32 v34, v30, v31
	ds_read2_b64 v[30:33], v4 offset0:81 offset1:82
	s_waitcnt vmcnt(31)
	v_mul_f32_e32 v35, v28, v101
	s_waitcnt vmcnt(30)
	v_fmac_f32_e32 v35, v29, v102
	v_add_f32_e32 v38, v34, v35
	ds_read2_b64 v[34:37], v4 offset0:83 offset1:84
	s_waitcnt vmcnt(29) lgkmcnt(1)
	v_mul_f32_e32 v39, v30, v103
	s_waitcnt vmcnt(28)
	v_fmac_f32_e32 v39, v31, v104
	v_add_f32_e32 v38, v38, v39
	s_waitcnt vmcnt(27)
	v_mul_f32_e32 v39, v32, v105
	s_waitcnt vmcnt(26)
	v_fmac_f32_e32 v39, v33, v106
	v_add_f32_e32 v38, v38, v39
	s_waitcnt vmcnt(25) lgkmcnt(0)
	v_mul_f32_e32 v39, v34, v107
	s_waitcnt vmcnt(24)
	v_fmac_f32_e32 v39, v35, v188
	v_add_f32_e32 v42, v38, v39
	ds_read2_b64 v[38:41], v4 offset0:85 offset1:86
	s_waitcnt vmcnt(23)
	v_mul_f32_e32 v43, v36, v189
	s_waitcnt vmcnt(22)
	v_fmac_f32_e32 v43, v37, v190
	v_add_f32_e32 v46, v42, v43
	ds_read2_b64 v[42:45], v4 offset0:87 offset1:88
	s_waitcnt vmcnt(21) lgkmcnt(1)
	v_mul_f32_e32 v47, v38, v191
	s_waitcnt vmcnt(20)
	v_fmac_f32_e32 v47, v39, v192
	v_add_f32_e32 v46, v46, v47
	s_waitcnt vmcnt(18)
	v_mul_f32_e32 v47, v40, v194
	v_fmac_f32_e32 v47, v41, v193
	v_add_f32_e32 v46, v46, v47
	s_waitcnt vmcnt(15) lgkmcnt(0)
	v_mul_f32_e32 v47, v42, v195
	s_waitcnt vmcnt(14)
	v_fmac_f32_e32 v47, v43, v196
	v_add_f32_e32 v50, v46, v47
	ds_read2_b64 v[46:49], v4 offset0:89 offset1:90
	s_waitcnt vmcnt(12)
	v_mul_f32_e32 v51, v44, v198
	v_fmac_f32_e32 v51, v45, v197
	v_add_f32_e32 v54, v50, v51
	ds_read2_b64 v[50:53], v4 offset0:91 offset1:92
	buffer_load_dword v63, off, s[0:3], 0 offset:348
	buffer_load_dword v62, off, s[0:3], 0 offset:344
	s_waitcnt vmcnt(12) lgkmcnt(1)
	v_mul_f32_e32 v55, v46, v200
	v_fmac_f32_e32 v55, v47, v199
	v_add_f32_e32 v54, v54, v55
	s_waitcnt vmcnt(10)
	v_mul_f32_e32 v55, v48, v202
	v_fmac_f32_e32 v55, v49, v201
	v_add_f32_e32 v54, v54, v55
	s_waitcnt vmcnt(8) lgkmcnt(0)
	v_mul_f32_e32 v55, v50, v204
	v_fmac_f32_e32 v55, v51, v203
	s_waitcnt vmcnt(6)
	v_mul_f32_e32 v59, v52, v206
	v_add_f32_e32 v58, v54, v55
	v_fmac_f32_e32 v59, v53, v205
	ds_read2_b64 v[54:57], v4 offset0:93 offset1:94
	v_add_f32_e32 v65, v58, v59
	ds_read2_b64 v[58:61], v4 offset0:95 offset1:96
	buffer_load_dword v71, off, s[0:3], 0 offset:380
	buffer_load_dword v70, off, s[0:3], 0 offset:376
	;; [unrolled: 1-line block ×14, first 2 shown]
	v_mul_f32_e32 v1, v7, v1
	v_fma_f32 v1, v6, v89, -v1
	v_mul_f32_e32 v5, v9, v5
	v_add_f32_e32 v1, 0, v1
	v_fma_f32 v5, v8, v90, -v5
	v_add_f32_e32 v1, v1, v5
	v_mul_f32_e32 v5, v11, v64
	v_fma_f32 v5, v10, v91, -v5
	v_add_f32_e32 v1, v1, v5
	v_mul_f32_e32 v5, v13, v66
	v_fma_f32 v5, v12, v92, -v5
	v_add_f32_e32 v1, v1, v5
	v_mul_f32_e32 v5, v15, v68
	v_fma_f32 v5, v14, v93, -v5
	v_add_f32_e32 v1, v1, v5
	v_mul_f32_e32 v5, v17, v84
	v_fma_f32 v5, v16, v94, -v5
	v_add_f32_e32 v1, v1, v5
	v_mul_f32_e32 v5, v19, v85
	v_fma_f32 v5, v18, v95, -v5
	v_add_f32_e32 v1, v1, v5
	v_mul_f32_e32 v5, v21, v86
	v_fma_f32 v5, v20, v96, -v5
	v_add_f32_e32 v1, v1, v5
	v_mul_f32_e32 v5, v23, v87
	v_fma_f32 v5, v22, v97, -v5
	v_add_f32_e32 v1, v1, v5
	v_mul_f32_e32 v5, v25, v88
	v_fma_f32 v5, v24, v98, -v5
	v_add_f32_e32 v1, v1, v5
	v_mul_f32_e32 v5, v27, v99
	v_fma_f32 v5, v26, v100, -v5
	v_add_f32_e32 v1, v1, v5
	v_mul_f32_e32 v5, v29, v101
	v_fma_f32 v5, v28, v102, -v5
	v_add_f32_e32 v1, v1, v5
	v_mul_f32_e32 v5, v31, v103
	v_fma_f32 v5, v30, v104, -v5
	v_add_f32_e32 v1, v1, v5
	v_mul_f32_e32 v5, v33, v105
	v_fma_f32 v5, v32, v106, -v5
	v_add_f32_e32 v1, v1, v5
	v_mul_f32_e32 v5, v35, v107
	v_fma_f32 v5, v34, v188, -v5
	v_add_f32_e32 v1, v1, v5
	v_mul_f32_e32 v5, v37, v189
	v_fma_f32 v5, v36, v190, -v5
	v_add_f32_e32 v1, v1, v5
	v_mul_f32_e32 v5, v39, v191
	v_fma_f32 v5, v38, v192, -v5
	v_add_f32_e32 v1, v1, v5
	v_mul_f32_e32 v5, v41, v194
	v_fma_f32 v5, v40, v193, -v5
	v_add_f32_e32 v1, v1, v5
	v_mul_f32_e32 v5, v43, v195
	v_fma_f32 v5, v42, v196, -v5
	v_add_f32_e32 v1, v1, v5
	v_mul_f32_e32 v5, v45, v198
	v_fma_f32 v5, v44, v197, -v5
	v_add_f32_e32 v1, v1, v5
	v_mul_f32_e32 v5, v47, v200
	v_fma_f32 v5, v46, v199, -v5
	v_add_f32_e32 v1, v1, v5
	v_mul_f32_e32 v5, v49, v202
	v_fma_f32 v5, v48, v201, -v5
	v_add_f32_e32 v1, v1, v5
	v_mul_f32_e32 v5, v51, v204
	v_fma_f32 v5, v50, v203, -v5
	v_add_f32_e32 v1, v1, v5
	v_mul_f32_e32 v5, v53, v206
	v_fma_f32 v5, v52, v205, -v5
	s_waitcnt vmcnt(15)
	v_mov_b32_e32 v18, v63
	s_waitcnt lgkmcnt(1)
	v_mul_f32_e32 v67, v54, v208
	v_add_f32_e32 v64, v1, v5
	v_mul_f32_e32 v1, v55, v208
	s_waitcnt lgkmcnt(0)
	v_pk_mul_f32 v[18:19], v[58:59], v[18:19] op_sel_hi:[1,0]
	v_fmac_f32_e32 v67, v55, v207
	v_mul_f32_e32 v69, v56, v210
	v_fma_f32 v66, v54, v207, -v1
	v_mul_f32_e32 v1, v57, v210
	s_waitcnt vmcnt(14)
	v_pk_fma_f32 v[20:21], v[58:59], v[62:63], v[18:19] op_sel:[0,0,1] op_sel_hi:[1,1,0] neg_lo:[0,0,1] neg_hi:[0,0,1]
	v_pk_fma_f32 v[18:19], v[58:59], v[62:63], v[18:19] op_sel:[0,0,1] op_sel_hi:[1,0,0]
	v_fmac_f32_e32 v69, v57, v209
	v_fma_f32 v68, v56, v209, -v1
	ds_read2_b64 v[6:9], v4 offset0:97 offset1:98
	ds_read2_b64 v[10:13], v4 offset0:99 offset1:100
	;; [unrolled: 1-line block ×3, first 2 shown]
	v_pk_add_f32 v[4:5], v[64:65], v[66:67]
	s_waitcnt vmcnt(7)
	v_mov_b32_e32 v18, v77
	v_pk_add_f32 v[4:5], v[4:5], v[68:69]
	v_mov_b32_e32 v21, v19
	v_pk_mul_f32 v[18:19], v[60:61], v[18:19] op_sel_hi:[1,0]
	v_pk_add_f32 v[4:5], v[4:5], v[20:21]
	s_waitcnt vmcnt(6)
	v_pk_fma_f32 v[20:21], v[60:61], v[76:77], v[18:19] op_sel:[0,0,1] op_sel_hi:[1,1,0] neg_lo:[0,0,1] neg_hi:[0,0,1]
	v_pk_fma_f32 v[18:19], v[60:61], v[76:77], v[18:19] op_sel:[0,0,1] op_sel_hi:[1,0,0]
	v_mov_b32_e32 v18, v75
	v_mov_b32_e32 v21, v19
	s_waitcnt lgkmcnt(2)
	v_pk_mul_f32 v[18:19], v[6:7], v[18:19] op_sel_hi:[1,0]
	v_pk_add_f32 v[4:5], v[4:5], v[20:21]
	v_pk_fma_f32 v[20:21], v[6:7], v[74:75], v[18:19] op_sel:[0,0,1] op_sel_hi:[1,1,0] neg_lo:[0,0,1] neg_hi:[0,0,1]
	v_pk_fma_f32 v[6:7], v[6:7], v[74:75], v[18:19] op_sel:[0,0,1] op_sel_hi:[1,0,0]
	v_mov_b32_e32 v6, v73
	v_mov_b32_e32 v21, v7
	v_pk_mul_f32 v[6:7], v[8:9], v[6:7] op_sel_hi:[1,0]
	v_pk_fma_f32 v[18:19], v[8:9], v[72:73], v[6:7] op_sel:[0,0,1] op_sel_hi:[1,1,0] neg_lo:[0,0,1] neg_hi:[0,0,1]
	v_pk_fma_f32 v[6:7], v[8:9], v[72:73], v[6:7] op_sel:[0,0,1] op_sel_hi:[1,0,0]
	v_mov_b32_e32 v6, v71
	v_mov_b32_e32 v19, v7
	s_waitcnt lgkmcnt(1)
	v_pk_mul_f32 v[6:7], v[10:11], v[6:7] op_sel_hi:[1,0]
	v_pk_fma_f32 v[8:9], v[10:11], v[70:71], v[6:7] op_sel:[0,0,1] op_sel_hi:[1,1,0] neg_lo:[0,0,1] neg_hi:[0,0,1]
	v_pk_fma_f32 v[6:7], v[10:11], v[70:71], v[6:7] op_sel:[0,0,1] op_sel_hi:[1,0,0]
	v_pk_add_f32 v[4:5], v[4:5], v[20:21]
	s_waitcnt vmcnt(1)
	v_mov_b32_e32 v6, v83
	v_pk_add_f32 v[4:5], v[4:5], v[18:19]
	v_mov_b32_e32 v9, v7
	v_pk_mul_f32 v[6:7], v[12:13], v[6:7] op_sel_hi:[1,0]
	v_pk_add_f32 v[4:5], v[4:5], v[8:9]
	s_waitcnt vmcnt(0)
	v_pk_fma_f32 v[8:9], v[12:13], v[82:83], v[6:7] op_sel:[0,0,1] op_sel_hi:[1,1,0] neg_lo:[0,0,1] neg_hi:[0,0,1]
	v_pk_fma_f32 v[6:7], v[12:13], v[82:83], v[6:7] op_sel:[0,0,1] op_sel_hi:[1,0,0]
	v_mov_b32_e32 v6, v81
	v_mov_b32_e32 v9, v7
	s_waitcnt lgkmcnt(0)
	v_pk_mul_f32 v[6:7], v[14:15], v[6:7] op_sel_hi:[1,0]
	v_pk_add_f32 v[4:5], v[4:5], v[8:9]
	v_pk_fma_f32 v[8:9], v[14:15], v[80:81], v[6:7] op_sel:[0,0,1] op_sel_hi:[1,1,0] neg_lo:[0,0,1] neg_hi:[0,0,1]
	v_pk_fma_f32 v[6:7], v[14:15], v[80:81], v[6:7] op_sel:[0,0,1] op_sel_hi:[1,0,0]
	v_mov_b32_e32 v6, v79
	v_mov_b32_e32 v9, v7
	v_pk_mul_f32 v[6:7], v[16:17], v[6:7] op_sel_hi:[1,0]
	v_pk_add_f32 v[4:5], v[4:5], v[8:9]
	v_pk_fma_f32 v[8:9], v[16:17], v[78:79], v[6:7] op_sel:[0,0,1] op_sel_hi:[1,1,0] neg_lo:[0,0,1] neg_hi:[0,0,1]
	v_pk_fma_f32 v[6:7], v[16:17], v[78:79], v[6:7] op_sel:[0,0,1] op_sel_hi:[1,0,0]
	v_mov_b32_e32 v9, v7
	v_pk_add_f32 v[4:5], v[4:5], v[8:9]
	v_pk_add_f32 v[2:3], v[2:3], v[4:5] neg_lo:[0,1] neg_hi:[0,1]
	buffer_store_dword v3, off, s[0:3], 0 offset:132
	buffer_store_dword v2, off, s[0:3], 0 offset:128
	s_and_saveexec_b64 s[4:5], vcc
	s_cbranch_execz .LBB114_289
; %bb.288:
	buffer_load_dword v2, off, s[0:3], 0 offset:120
	buffer_load_dword v3, off, s[0:3], 0 offset:124
	v_mov_b32_e32 v1, 0
	buffer_store_dword v1, off, s[0:3], 0 offset:120
	buffer_store_dword v1, off, s[0:3], 0 offset:124
	s_waitcnt vmcnt(2)
	ds_write_b64 v121, v[2:3]
.LBB114_289:
	s_or_b64 exec, exec, s[4:5]
	s_waitcnt lgkmcnt(0)
	; wave barrier
	s_waitcnt lgkmcnt(0)
	buffer_load_dword v1, off, s[0:3], 0 offset:132
	buffer_load_dword v5, off, s[0:3], 0 offset:140
	;; [unrolled: 1-line block ×56, first 2 shown]
	v_mov_b32_e32 v4, 0
	ds_read_b128 v[6:9], v4 offset:544
	ds_read_b128 v[10:13], v4 offset:560
	;; [unrolled: 1-line block ×6, first 2 shown]
	v_cmp_lt_u32_e32 vcc, 14, v0
	s_waitcnt vmcnt(55) lgkmcnt(5)
	v_mul_f32_e32 v30, v6, v1
	s_waitcnt vmcnt(54)
	v_mul_f32_e32 v31, v8, v5
	s_waitcnt vmcnt(53) lgkmcnt(4)
	v_mul_f32_e32 v32, v10, v62
	s_waitcnt vmcnt(52)
	v_mul_f32_e32 v33, v12, v64
	;; [unrolled: 4-line block ×4, first 2 shown]
	s_waitcnt vmcnt(47) lgkmcnt(1)
	v_mul_f32_e32 v38, v22, v87
	s_waitcnt vmcnt(46)
	v_fmac_f32_e32 v30, v7, v88
	s_waitcnt vmcnt(45)
	v_fmac_f32_e32 v31, v9, v89
	v_add_f32_e32 v30, 0, v30
	s_waitcnt vmcnt(44)
	v_fmac_f32_e32 v32, v11, v90
	v_add_f32_e32 v30, v30, v31
	;; [unrolled: 3-line block ×7, first 2 shown]
	v_add_f32_e32 v30, v30, v37
	s_waitcnt vmcnt(38)
	v_fmac_f32_e32 v38, v23, v96
	s_waitcnt vmcnt(37)
	v_mul_f32_e32 v31, v24, v97
	v_add_f32_e32 v30, v30, v38
	s_waitcnt vmcnt(36)
	v_fmac_f32_e32 v31, v25, v98
	v_add_f32_e32 v30, v30, v31
	s_waitcnt vmcnt(35) lgkmcnt(0)
	v_mul_f32_e32 v31, v26, v99
	s_waitcnt vmcnt(34)
	v_fmac_f32_e32 v31, v27, v100
	v_add_f32_e32 v34, v30, v31
	ds_read_b128 v[30:33], v4 offset:640
	s_waitcnt vmcnt(33)
	v_mul_f32_e32 v35, v28, v101
	s_waitcnt vmcnt(32)
	v_fmac_f32_e32 v35, v29, v102
	v_add_f32_e32 v38, v34, v35
	ds_read_b128 v[34:37], v4 offset:656
	s_waitcnt vmcnt(31) lgkmcnt(1)
	v_mul_f32_e32 v39, v30, v103
	s_waitcnt vmcnt(30)
	v_fmac_f32_e32 v39, v31, v104
	v_add_f32_e32 v38, v38, v39
	s_waitcnt vmcnt(29)
	v_mul_f32_e32 v39, v32, v105
	s_waitcnt vmcnt(28)
	v_fmac_f32_e32 v39, v33, v106
	v_add_f32_e32 v38, v38, v39
	s_waitcnt vmcnt(27) lgkmcnt(0)
	v_mul_f32_e32 v39, v34, v107
	s_waitcnt vmcnt(26)
	v_fmac_f32_e32 v39, v35, v188
	v_add_f32_e32 v42, v38, v39
	ds_read_b128 v[38:41], v4 offset:672
	s_waitcnt vmcnt(24)
	v_mul_f32_e32 v43, v36, v190
	v_fmac_f32_e32 v43, v37, v189
	v_add_f32_e32 v46, v42, v43
	ds_read_b128 v[42:45], v4 offset:688
	s_waitcnt vmcnt(20) lgkmcnt(1)
	v_mul_f32_e32 v47, v38, v192
	v_fmac_f32_e32 v47, v39, v191
	v_add_f32_e32 v46, v46, v47
	s_waitcnt vmcnt(18)
	v_mul_f32_e32 v47, v40, v194
	v_fmac_f32_e32 v47, v41, v193
	v_add_f32_e32 v46, v46, v47
	s_waitcnt vmcnt(16) lgkmcnt(0)
	v_mul_f32_e32 v47, v42, v196
	v_fmac_f32_e32 v47, v43, v195
	v_add_f32_e32 v50, v46, v47
	ds_read_b128 v[46:49], v4 offset:704
	s_waitcnt vmcnt(14)
	v_mul_f32_e32 v51, v44, v198
	v_fmac_f32_e32 v51, v45, v197
	v_add_f32_e32 v54, v50, v51
	ds_read_b128 v[50:53], v4 offset:720
	s_waitcnt vmcnt(12) lgkmcnt(1)
	v_mul_f32_e32 v55, v46, v200
	v_fmac_f32_e32 v55, v47, v199
	v_add_f32_e32 v54, v54, v55
	s_waitcnt vmcnt(10)
	v_mul_f32_e32 v55, v48, v202
	v_fmac_f32_e32 v55, v49, v201
	v_add_f32_e32 v54, v54, v55
	s_waitcnt vmcnt(8) lgkmcnt(0)
	v_mul_f32_e32 v55, v50, v204
	v_fmac_f32_e32 v55, v51, v203
	s_waitcnt vmcnt(6)
	v_mul_f32_e32 v59, v52, v206
	v_add_f32_e32 v58, v54, v55
	v_fmac_f32_e32 v59, v53, v205
	ds_read_b128 v[54:57], v4 offset:736
	v_add_f32_e32 v63, v58, v59
	ds_read_b128 v[58:61], v4 offset:752
	buffer_load_dword v69, off, s[0:3], 0 offset:372
	buffer_load_dword v68, off, s[0:3], 0 offset:368
	;; [unrolled: 1-line block ×16, first 2 shown]
	v_mul_f32_e32 v1, v7, v1
	v_fma_f32 v1, v6, v88, -v1
	v_mul_f32_e32 v5, v9, v5
	v_add_f32_e32 v1, 0, v1
	v_fma_f32 v5, v8, v89, -v5
	v_add_f32_e32 v1, v1, v5
	v_mul_f32_e32 v5, v11, v62
	v_fma_f32 v5, v10, v90, -v5
	v_add_f32_e32 v1, v1, v5
	v_mul_f32_e32 v5, v13, v64
	;; [unrolled: 3-line block ×22, first 2 shown]
	v_fma_f32 v5, v52, v205, -v5
	s_waitcnt vmcnt(20) lgkmcnt(1)
	v_mul_f32_e32 v65, v54, v208
	v_add_f32_e32 v1, v1, v5
	v_mul_f32_e32 v5, v55, v208
	v_fmac_f32_e32 v65, v55, v207
	v_fma_f32 v5, v54, v207, -v5
	s_waitcnt vmcnt(9)
	v_mov_b32_e32 v22, v75
	v_add_f32_e32 v63, v63, v65
	v_mul_f32_e32 v65, v56, v210
	v_add_f32_e32 v62, v1, v5
	v_mul_f32_e32 v1, v57, v210
	s_waitcnt lgkmcnt(0)
	v_pk_mul_f32 v[22:23], v[60:61], v[22:23] op_sel_hi:[1,0]
	v_fmac_f32_e32 v65, v57, v209
	v_mul_f32_e32 v67, v58, v212
	v_fma_f32 v64, v56, v209, -v1
	v_mul_f32_e32 v1, v59, v212
	ds_read_b128 v[6:9], v4 offset:768
	ds_read_b128 v[10:13], v4 offset:784
	;; [unrolled: 1-line block ×3, first 2 shown]
	ds_read_b64 v[18:19], v4 offset:816
	s_waitcnt vmcnt(8)
	v_pk_fma_f32 v[24:25], v[60:61], v[74:75], v[22:23] op_sel:[0,0,1] op_sel_hi:[1,1,0] neg_lo:[0,0,1] neg_hi:[0,0,1]
	v_pk_fma_f32 v[22:23], v[60:61], v[74:75], v[22:23] op_sel:[0,0,1] op_sel_hi:[1,0,0]
	v_fmac_f32_e32 v67, v59, v211
	v_fma_f32 v66, v58, v211, -v1
	v_pk_add_f32 v[20:21], v[62:63], v[64:65]
	v_mov_b32_e32 v22, v73
	v_pk_add_f32 v[20:21], v[20:21], v[66:67]
	v_mov_b32_e32 v25, v23
	s_waitcnt lgkmcnt(3)
	v_pk_mul_f32 v[22:23], v[6:7], v[22:23] op_sel_hi:[1,0]
	v_pk_add_f32 v[20:21], v[20:21], v[24:25]
	v_pk_fma_f32 v[24:25], v[6:7], v[72:73], v[22:23] op_sel:[0,0,1] op_sel_hi:[1,1,0] neg_lo:[0,0,1] neg_hi:[0,0,1]
	v_pk_fma_f32 v[6:7], v[6:7], v[72:73], v[22:23] op_sel:[0,0,1] op_sel_hi:[1,0,0]
	v_mov_b32_e32 v25, v7
	v_pk_add_f32 v[6:7], v[20:21], v[24:25]
	v_mov_b32_e32 v20, v71
	v_pk_mul_f32 v[20:21], v[8:9], v[20:21] op_sel_hi:[1,0]
	v_pk_fma_f32 v[22:23], v[8:9], v[70:71], v[20:21] op_sel:[0,0,1] op_sel_hi:[1,1,0] neg_lo:[0,0,1] neg_hi:[0,0,1]
	v_pk_fma_f32 v[8:9], v[8:9], v[70:71], v[20:21] op_sel:[0,0,1] op_sel_hi:[1,0,0]
	v_mov_b32_e32 v8, v69
	v_mov_b32_e32 v23, v9
	s_waitcnt lgkmcnt(2)
	v_pk_mul_f32 v[8:9], v[10:11], v[8:9] op_sel_hi:[1,0]
	v_pk_fma_f32 v[20:21], v[10:11], v[68:69], v[8:9] op_sel:[0,0,1] op_sel_hi:[1,1,0] neg_lo:[0,0,1] neg_hi:[0,0,1]
	v_pk_fma_f32 v[8:9], v[10:11], v[68:69], v[8:9] op_sel:[0,0,1] op_sel_hi:[1,0,0]
	s_waitcnt vmcnt(1)
	v_mov_b32_e32 v8, v83
	v_mov_b32_e32 v21, v9
	v_pk_mul_f32 v[8:9], v[12:13], v[8:9] op_sel_hi:[1,0]
	s_waitcnt vmcnt(0)
	v_pk_fma_f32 v[10:11], v[12:13], v[82:83], v[8:9] op_sel:[0,0,1] op_sel_hi:[1,1,0] neg_lo:[0,0,1] neg_hi:[0,0,1]
	v_pk_fma_f32 v[8:9], v[12:13], v[82:83], v[8:9] op_sel:[0,0,1] op_sel_hi:[1,0,0]
	v_pk_add_f32 v[6:7], v[6:7], v[22:23]
	v_mov_b32_e32 v8, v81
	v_pk_add_f32 v[6:7], v[6:7], v[20:21]
	v_mov_b32_e32 v11, v9
	s_waitcnt lgkmcnt(1)
	v_pk_mul_f32 v[8:9], v[14:15], v[8:9] op_sel_hi:[1,0]
	v_pk_add_f32 v[6:7], v[6:7], v[10:11]
	v_pk_fma_f32 v[10:11], v[14:15], v[80:81], v[8:9] op_sel:[0,0,1] op_sel_hi:[1,1,0] neg_lo:[0,0,1] neg_hi:[0,0,1]
	v_pk_fma_f32 v[8:9], v[14:15], v[80:81], v[8:9] op_sel:[0,0,1] op_sel_hi:[1,0,0]
	v_mov_b32_e32 v8, v79
	v_mov_b32_e32 v11, v9
	v_pk_mul_f32 v[8:9], v[16:17], v[8:9] op_sel_hi:[1,0]
	v_pk_add_f32 v[6:7], v[6:7], v[10:11]
	v_pk_fma_f32 v[10:11], v[16:17], v[78:79], v[8:9] op_sel:[0,0,1] op_sel_hi:[1,1,0] neg_lo:[0,0,1] neg_hi:[0,0,1]
	v_pk_fma_f32 v[8:9], v[16:17], v[78:79], v[8:9] op_sel:[0,0,1] op_sel_hi:[1,0,0]
	v_mov_b32_e32 v8, v77
	v_mov_b32_e32 v11, v9
	s_waitcnt lgkmcnt(0)
	v_pk_mul_f32 v[8:9], v[18:19], v[8:9] op_sel_hi:[1,0]
	v_pk_add_f32 v[6:7], v[6:7], v[10:11]
	v_pk_fma_f32 v[10:11], v[18:19], v[76:77], v[8:9] op_sel:[0,0,1] op_sel_hi:[1,1,0] neg_lo:[0,0,1] neg_hi:[0,0,1]
	v_pk_fma_f32 v[8:9], v[18:19], v[76:77], v[8:9] op_sel:[0,0,1] op_sel_hi:[1,0,0]
	v_mov_b32_e32 v11, v9
	v_pk_add_f32 v[6:7], v[6:7], v[10:11]
	v_pk_add_f32 v[2:3], v[2:3], v[6:7] neg_lo:[0,1] neg_hi:[0,1]
	buffer_store_dword v3, off, s[0:3], 0 offset:124
	buffer_store_dword v2, off, s[0:3], 0 offset:120
	s_and_saveexec_b64 s[4:5], vcc
	s_cbranch_execz .LBB114_291
; %bb.290:
	buffer_load_dword v2, off, s[0:3], 0 offset:112
	buffer_load_dword v3, off, s[0:3], 0 offset:116
	s_waitcnt vmcnt(0)
	ds_write_b64 v121, v[2:3]
	buffer_store_dword v4, off, s[0:3], 0 offset:112
	buffer_store_dword v4, off, s[0:3], 0 offset:116
.LBB114_291:
	s_or_b64 exec, exec, s[4:5]
	s_waitcnt lgkmcnt(0)
	; wave barrier
	s_waitcnt lgkmcnt(0)
	buffer_load_dword v1, off, s[0:3], 0 offset:124
	buffer_load_dword v5, off, s[0:3], 0 offset:132
	;; [unrolled: 1-line block ×36, first 2 shown]
	ds_read2_b64 v[6:9], v4 offset0:67 offset1:68
	ds_read2_b64 v[10:13], v4 offset0:69 offset1:70
	buffer_load_dword v193, off, s[0:3], 0 offset:256
	buffer_load_dword v194, off, s[0:3], 0 offset:260
	;; [unrolled: 1-line block ×4, first 2 shown]
	ds_read2_b64 v[14:17], v4 offset0:71 offset1:72
	ds_read2_b64 v[18:21], v4 offset0:73 offset1:74
	buffer_load_dword v197, off, s[0:3], 0 offset:272
	buffer_load_dword v198, off, s[0:3], 0 offset:276
	ds_read2_b64 v[22:25], v4 offset0:75 offset1:76
	ds_read2_b64 v[26:29], v4 offset0:77 offset1:78
	buffer_load_dword v199, off, s[0:3], 0 offset:280
	buffer_load_dword v200, off, s[0:3], 0 offset:284
	;; [unrolled: 1-line block ×16, first 2 shown]
	v_cmp_lt_u32_e32 vcc, 13, v0
	s_waitcnt vmcnt(57) lgkmcnt(5)
	v_mul_f32_e32 v30, v6, v1
	s_waitcnt vmcnt(56)
	v_mul_f32_e32 v31, v8, v5
	s_waitcnt vmcnt(55) lgkmcnt(4)
	v_mul_f32_e32 v32, v10, v62
	s_waitcnt vmcnt(54)
	v_mul_f32_e32 v33, v12, v64
	;; [unrolled: 4-line block ×4, first 2 shown]
	s_waitcnt vmcnt(49)
	v_fmac_f32_e32 v30, v7, v87
	s_waitcnt vmcnt(48)
	v_fmac_f32_e32 v31, v9, v88
	v_add_f32_e32 v30, 0, v30
	s_waitcnt vmcnt(47)
	v_fmac_f32_e32 v32, v11, v89
	v_add_f32_e32 v30, v30, v31
	;; [unrolled: 3-line block ×7, first 2 shown]
	s_waitcnt vmcnt(41) lgkmcnt(1)
	v_mul_f32_e32 v31, v22, v95
	v_add_f32_e32 v30, v30, v37
	s_waitcnt vmcnt(40)
	v_fmac_f32_e32 v31, v23, v96
	v_add_f32_e32 v30, v30, v31
	s_waitcnt vmcnt(39)
	v_mul_f32_e32 v31, v24, v97
	s_waitcnt vmcnt(38)
	v_fmac_f32_e32 v31, v25, v98
	v_add_f32_e32 v30, v30, v31
	s_waitcnt vmcnt(37) lgkmcnt(0)
	v_mul_f32_e32 v31, v26, v99
	s_waitcnt vmcnt(36)
	v_fmac_f32_e32 v31, v27, v100
	v_add_f32_e32 v34, v30, v31
	ds_read2_b64 v[30:33], v4 offset0:79 offset1:80
	s_waitcnt vmcnt(35)
	v_mul_f32_e32 v35, v28, v101
	s_waitcnt vmcnt(34)
	v_fmac_f32_e32 v35, v29, v102
	v_add_f32_e32 v38, v34, v35
	ds_read2_b64 v[34:37], v4 offset0:81 offset1:82
	s_waitcnt vmcnt(33) lgkmcnt(1)
	v_mul_f32_e32 v39, v30, v103
	s_waitcnt vmcnt(32)
	v_fmac_f32_e32 v39, v31, v104
	v_add_f32_e32 v38, v38, v39
	s_waitcnt vmcnt(31)
	v_mul_f32_e32 v39, v32, v105
	s_waitcnt vmcnt(30)
	v_fmac_f32_e32 v39, v33, v106
	v_add_f32_e32 v38, v38, v39
	s_waitcnt vmcnt(29) lgkmcnt(0)
	v_mul_f32_e32 v39, v34, v107
	s_waitcnt vmcnt(28)
	v_fmac_f32_e32 v39, v35, v188
	v_add_f32_e32 v42, v38, v39
	ds_read2_b64 v[38:41], v4 offset0:83 offset1:84
	s_waitcnt vmcnt(25)
	v_mul_f32_e32 v43, v36, v189
	s_waitcnt vmcnt(24)
	v_fmac_f32_e32 v43, v37, v190
	v_add_f32_e32 v46, v42, v43
	ds_read2_b64 v[42:45], v4 offset0:85 offset1:86
	s_waitcnt vmcnt(22) lgkmcnt(1)
	v_mul_f32_e32 v47, v38, v192
	v_fmac_f32_e32 v47, v39, v191
	v_add_f32_e32 v46, v46, v47
	s_waitcnt vmcnt(20)
	v_mul_f32_e32 v47, v40, v194
	v_fmac_f32_e32 v47, v41, v193
	v_add_f32_e32 v46, v46, v47
	s_waitcnt vmcnt(18) lgkmcnt(0)
	v_mul_f32_e32 v47, v42, v196
	v_fmac_f32_e32 v47, v43, v195
	v_add_f32_e32 v50, v46, v47
	ds_read2_b64 v[46:49], v4 offset0:87 offset1:88
	s_waitcnt vmcnt(16)
	v_mul_f32_e32 v51, v44, v198
	v_fmac_f32_e32 v51, v45, v197
	v_add_f32_e32 v54, v50, v51
	ds_read2_b64 v[50:53], v4 offset0:89 offset1:90
	s_waitcnt vmcnt(14) lgkmcnt(1)
	v_mul_f32_e32 v55, v46, v200
	v_fmac_f32_e32 v55, v47, v199
	v_add_f32_e32 v54, v54, v55
	s_waitcnt vmcnt(12)
	v_mul_f32_e32 v55, v48, v202
	v_fmac_f32_e32 v55, v49, v201
	v_add_f32_e32 v54, v54, v55
	s_waitcnt vmcnt(10) lgkmcnt(0)
	v_mul_f32_e32 v55, v50, v204
	v_fmac_f32_e32 v55, v51, v203
	s_waitcnt vmcnt(8)
	v_mul_f32_e32 v59, v52, v206
	v_add_f32_e32 v58, v54, v55
	v_fmac_f32_e32 v59, v53, v205
	ds_read2_b64 v[54:57], v4 offset0:91 offset1:92
	v_add_f32_e32 v63, v58, v59
	ds_read2_b64 v[58:61], v4 offset0:93 offset1:94
	buffer_load_dword v67, off, s[0:3], 0 offset:364
	buffer_load_dword v66, off, s[0:3], 0 offset:360
	;; [unrolled: 1-line block ×16, first 2 shown]
	v_mul_f32_e32 v1, v7, v1
	v_fma_f32 v1, v6, v87, -v1
	v_mul_f32_e32 v5, v9, v5
	v_add_f32_e32 v1, 0, v1
	v_fma_f32 v5, v8, v88, -v5
	v_add_f32_e32 v1, v1, v5
	v_mul_f32_e32 v5, v11, v62
	v_fma_f32 v5, v10, v89, -v5
	v_add_f32_e32 v1, v1, v5
	v_mul_f32_e32 v5, v13, v64
	;; [unrolled: 3-line block ×22, first 2 shown]
	ds_read2_b64 v[6:9], v4 offset0:95 offset1:96
	ds_read2_b64 v[10:13], v4 offset0:97 offset1:98
	;; [unrolled: 1-line block ×4, first 2 shown]
	v_fma_f32 v5, v52, v205, -v5
	s_waitcnt vmcnt(22) lgkmcnt(5)
	v_mul_f32_e32 v65, v54, v208
	v_add_f32_e32 v1, v1, v5
	v_mul_f32_e32 v5, v55, v208
	v_fmac_f32_e32 v65, v55, v207
	v_fma_f32 v5, v54, v207, -v5
	s_waitcnt vmcnt(11)
	v_mov_b32_e32 v22, v71
	s_waitcnt lgkmcnt(3)
	v_pk_mul_f32 v[22:23], v[6:7], v[22:23] op_sel_hi:[1,0]
	s_waitcnt vmcnt(10)
	v_pk_fma_f32 v[24:25], v[6:7], v[70:71], v[22:23] op_sel:[0,0,1] op_sel_hi:[1,1,0] neg_lo:[0,0,1] neg_hi:[0,0,1]
	v_pk_fma_f32 v[6:7], v[6:7], v[70:71], v[22:23] op_sel:[0,0,1] op_sel_hi:[1,0,0]
	v_add_f32_e32 v63, v63, v65
	v_mul_f32_e32 v65, v56, v210
	v_add_f32_e32 v1, v1, v5
	v_mul_f32_e32 v5, v57, v210
	v_mov_b32_e32 v6, v69
	v_fmac_f32_e32 v65, v57, v209
	v_fma_f32 v5, v56, v209, -v5
	v_mov_b32_e32 v25, v7
	v_pk_mul_f32 v[6:7], v[8:9], v[6:7] op_sel_hi:[1,0]
	v_add_f32_e32 v63, v63, v65
	v_mul_f32_e32 v65, v58, v212
	v_add_f32_e32 v62, v1, v5
	v_mul_f32_e32 v1, v59, v212
	v_pk_fma_f32 v[22:23], v[8:9], v[68:69], v[6:7] op_sel:[0,0,1] op_sel_hi:[1,1,0] neg_lo:[0,0,1] neg_hi:[0,0,1]
	v_pk_fma_f32 v[6:7], v[8:9], v[68:69], v[6:7] op_sel:[0,0,1] op_sel_hi:[1,0,0]
	v_fmac_f32_e32 v65, v59, v211
	v_mul_f32_e32 v73, v60, v214
	v_fma_f32 v64, v58, v211, -v1
	v_mul_f32_e32 v1, v61, v214
	v_mov_b32_e32 v6, v67
	v_fmac_f32_e32 v73, v61, v213
	v_fma_f32 v72, v60, v213, -v1
	v_pk_add_f32 v[4:5], v[62:63], v[64:65]
	v_mov_b32_e32 v23, v7
	s_waitcnt lgkmcnt(2)
	v_pk_mul_f32 v[6:7], v[10:11], v[6:7] op_sel_hi:[1,0]
	v_pk_add_f32 v[4:5], v[4:5], v[72:73]
	v_pk_fma_f32 v[8:9], v[10:11], v[66:67], v[6:7] op_sel:[0,0,1] op_sel_hi:[1,1,0] neg_lo:[0,0,1] neg_hi:[0,0,1]
	v_pk_fma_f32 v[6:7], v[10:11], v[66:67], v[6:7] op_sel:[0,0,1] op_sel_hi:[1,0,0]
	v_pk_add_f32 v[4:5], v[4:5], v[24:25]
	s_waitcnt vmcnt(3)
	v_mov_b32_e32 v6, v81
	v_pk_add_f32 v[4:5], v[4:5], v[22:23]
	v_mov_b32_e32 v9, v7
	v_pk_mul_f32 v[6:7], v[12:13], v[6:7] op_sel_hi:[1,0]
	v_pk_add_f32 v[4:5], v[4:5], v[8:9]
	s_waitcnt vmcnt(2)
	v_pk_fma_f32 v[8:9], v[12:13], v[80:81], v[6:7] op_sel:[0,0,1] op_sel_hi:[1,1,0] neg_lo:[0,0,1] neg_hi:[0,0,1]
	v_pk_fma_f32 v[6:7], v[12:13], v[80:81], v[6:7] op_sel:[0,0,1] op_sel_hi:[1,0,0]
	v_mov_b32_e32 v6, v79
	v_mov_b32_e32 v9, v7
	s_waitcnt lgkmcnt(1)
	v_pk_mul_f32 v[6:7], v[14:15], v[6:7] op_sel_hi:[1,0]
	v_pk_add_f32 v[4:5], v[4:5], v[8:9]
	v_pk_fma_f32 v[8:9], v[14:15], v[78:79], v[6:7] op_sel:[0,0,1] op_sel_hi:[1,1,0] neg_lo:[0,0,1] neg_hi:[0,0,1]
	v_pk_fma_f32 v[6:7], v[14:15], v[78:79], v[6:7] op_sel:[0,0,1] op_sel_hi:[1,0,0]
	v_mov_b32_e32 v6, v77
	v_mov_b32_e32 v9, v7
	v_pk_mul_f32 v[6:7], v[16:17], v[6:7] op_sel_hi:[1,0]
	v_pk_add_f32 v[4:5], v[4:5], v[8:9]
	v_pk_fma_f32 v[8:9], v[16:17], v[76:77], v[6:7] op_sel:[0,0,1] op_sel_hi:[1,1,0] neg_lo:[0,0,1] neg_hi:[0,0,1]
	v_pk_fma_f32 v[6:7], v[16:17], v[76:77], v[6:7] op_sel:[0,0,1] op_sel_hi:[1,0,0]
	v_mov_b32_e32 v6, v75
	v_mov_b32_e32 v9, v7
	s_waitcnt lgkmcnt(0)
	v_pk_mul_f32 v[6:7], v[18:19], v[6:7] op_sel_hi:[1,0]
	v_pk_add_f32 v[4:5], v[4:5], v[8:9]
	v_pk_fma_f32 v[8:9], v[18:19], v[74:75], v[6:7] op_sel:[0,0,1] op_sel_hi:[1,1,0] neg_lo:[0,0,1] neg_hi:[0,0,1]
	v_pk_fma_f32 v[6:7], v[18:19], v[74:75], v[6:7] op_sel:[0,0,1] op_sel_hi:[1,0,0]
	s_waitcnt vmcnt(1)
	v_mov_b32_e32 v6, v83
	v_mov_b32_e32 v9, v7
	v_pk_mul_f32 v[6:7], v[20:21], v[6:7] op_sel_hi:[1,0]
	v_pk_add_f32 v[4:5], v[4:5], v[8:9]
	s_waitcnt vmcnt(0)
	v_pk_fma_f32 v[8:9], v[20:21], v[82:83], v[6:7] op_sel:[0,0,1] op_sel_hi:[1,1,0] neg_lo:[0,0,1] neg_hi:[0,0,1]
	v_pk_fma_f32 v[6:7], v[20:21], v[82:83], v[6:7] op_sel:[0,0,1] op_sel_hi:[1,0,0]
	v_mov_b32_e32 v9, v7
	v_pk_add_f32 v[4:5], v[4:5], v[8:9]
	v_pk_add_f32 v[2:3], v[2:3], v[4:5] neg_lo:[0,1] neg_hi:[0,1]
	buffer_store_dword v3, off, s[0:3], 0 offset:116
	buffer_store_dword v2, off, s[0:3], 0 offset:112
	s_and_saveexec_b64 s[4:5], vcc
	s_cbranch_execz .LBB114_293
; %bb.292:
	buffer_load_dword v2, off, s[0:3], 0 offset:104
	buffer_load_dword v3, off, s[0:3], 0 offset:108
	v_mov_b32_e32 v1, 0
	buffer_store_dword v1, off, s[0:3], 0 offset:104
	buffer_store_dword v1, off, s[0:3], 0 offset:108
	s_waitcnt vmcnt(2)
	ds_write_b64 v121, v[2:3]
.LBB114_293:
	s_or_b64 exec, exec, s[4:5]
	s_waitcnt lgkmcnt(0)
	; wave barrier
	s_waitcnt lgkmcnt(0)
	buffer_load_dword v1, off, s[0:3], 0 offset:116
	buffer_load_dword v17, off, s[0:3], 0 offset:124
	;; [unrolled: 1-line block ×56, first 2 shown]
	v_mov_b32_e32 v16, 0
	ds_read_b128 v[2:5], v16 offset:528
	buffer_load_dword v221, off, s[0:3], 0 offset:328
	buffer_load_dword v222, off, s[0:3], 0 offset:332
	;; [unrolled: 1-line block ×4, first 2 shown]
	ds_read_b128 v[8:11], v16 offset:544
	ds_read_b128 v[12:15], v16 offset:560
	;; [unrolled: 1-line block ×3, first 2 shown]
	v_cmp_lt_u32_e32 vcc, 12, v0
	s_waitcnt vmcnt(59) lgkmcnt(3)
	v_mul_f32_e32 v22, v2, v1
	s_waitcnt vmcnt(58)
	v_mul_f32_e32 v23, v4, v17
	s_waitcnt vmcnt(57) lgkmcnt(2)
	v_mul_f32_e32 v24, v8, v70
	s_waitcnt vmcnt(56)
	v_mul_f32_e32 v25, v10, v76
	;; [unrolled: 4-line block ×3, first 2 shown]
	s_waitcnt vmcnt(53) lgkmcnt(0)
	v_mul_f32_e32 v28, v18, v93
	s_waitcnt vmcnt(52)
	v_fmac_f32_e32 v22, v3, v94
	s_waitcnt vmcnt(51)
	v_fmac_f32_e32 v23, v5, v95
	v_add_f32_e32 v22, 0, v22
	s_waitcnt vmcnt(50)
	v_fmac_f32_e32 v24, v9, v96
	v_add_f32_e32 v22, v22, v23
	;; [unrolled: 3-line block ×6, first 2 shown]
	v_add_f32_e32 v26, v22, v28
	ds_read_b128 v[22:25], v16 offset:592
	s_waitcnt vmcnt(45)
	v_mul_f32_e32 v27, v20, v101
	s_waitcnt vmcnt(44)
	v_fmac_f32_e32 v27, v21, v102
	v_add_f32_e32 v30, v26, v27
	ds_read_b128 v[26:29], v16 offset:608
	s_waitcnt vmcnt(43) lgkmcnt(1)
	v_mul_f32_e32 v31, v22, v103
	s_waitcnt vmcnt(42)
	v_fmac_f32_e32 v31, v23, v104
	v_add_f32_e32 v30, v30, v31
	s_waitcnt vmcnt(41)
	v_mul_f32_e32 v31, v24, v105
	s_waitcnt vmcnt(40)
	v_fmac_f32_e32 v31, v25, v106
	v_add_f32_e32 v30, v30, v31
	s_waitcnt vmcnt(39) lgkmcnt(0)
	v_mul_f32_e32 v31, v26, v107
	s_waitcnt vmcnt(38)
	v_fmac_f32_e32 v31, v27, v188
	v_add_f32_e32 v34, v30, v31
	ds_read_b128 v[30:33], v16 offset:624
	s_waitcnt vmcnt(37)
	v_mul_f32_e32 v35, v28, v189
	s_waitcnt vmcnt(36)
	v_fmac_f32_e32 v35, v29, v190
	v_add_f32_e32 v38, v34, v35
	ds_read_b128 v[34:37], v16 offset:640
	s_waitcnt vmcnt(34) lgkmcnt(1)
	v_mul_f32_e32 v39, v30, v192
	v_fmac_f32_e32 v39, v31, v191
	v_add_f32_e32 v38, v38, v39
	s_waitcnt vmcnt(31)
	v_mul_f32_e32 v39, v32, v193
	s_waitcnt vmcnt(30)
	v_fmac_f32_e32 v39, v33, v194
	v_add_f32_e32 v38, v38, v39
	s_waitcnt vmcnt(28) lgkmcnt(0)
	v_mul_f32_e32 v39, v34, v196
	v_fmac_f32_e32 v39, v35, v195
	v_add_f32_e32 v42, v38, v39
	ds_read_b128 v[38:41], v16 offset:656
	s_waitcnt vmcnt(26)
	v_mul_f32_e32 v43, v36, v198
	v_fmac_f32_e32 v43, v37, v197
	v_add_f32_e32 v46, v42, v43
	ds_read_b128 v[42:45], v16 offset:672
	s_waitcnt vmcnt(24) lgkmcnt(1)
	v_mul_f32_e32 v47, v38, v200
	v_fmac_f32_e32 v47, v39, v199
	v_add_f32_e32 v46, v46, v47
	s_waitcnt vmcnt(22)
	v_mul_f32_e32 v47, v40, v202
	v_fmac_f32_e32 v47, v41, v201
	v_add_f32_e32 v46, v46, v47
	s_waitcnt vmcnt(20) lgkmcnt(0)
	v_mul_f32_e32 v47, v42, v204
	v_fmac_f32_e32 v47, v43, v203
	v_add_f32_e32 v50, v46, v47
	ds_read_b128 v[46:49], v16 offset:688
	s_waitcnt vmcnt(18)
	v_mul_f32_e32 v51, v44, v206
	v_fmac_f32_e32 v51, v45, v205
	v_add_f32_e32 v54, v50, v51
	ds_read_b128 v[50:53], v16 offset:704
	s_waitcnt vmcnt(16) lgkmcnt(1)
	v_mul_f32_e32 v55, v46, v208
	v_fmac_f32_e32 v55, v47, v207
	v_add_f32_e32 v54, v54, v55
	s_waitcnt vmcnt(14)
	v_mul_f32_e32 v55, v48, v210
	;; [unrolled: 18-line block ×3, first 2 shown]
	v_fmac_f32_e32 v63, v57, v217
	v_add_f32_e32 v62, v62, v63
	s_waitcnt vmcnt(4) lgkmcnt(0)
	v_mul_f32_e32 v63, v58, v220
	v_fmac_f32_e32 v63, v59, v219
	v_add_f32_e32 v71, v62, v63
	ds_read_b128 v[62:65], v16 offset:752
	buffer_load_dword v73, off, s[0:3], 0 offset:356
	buffer_load_dword v72, off, s[0:3], 0 offset:352
	;; [unrolled: 1-line block ×4, first 2 shown]
	ds_read_b128 v[66:69], v16 offset:768
	buffer_load_dword v81, off, s[0:3], 0 offset:388
	buffer_load_dword v80, off, s[0:3], 0 offset:384
	;; [unrolled: 1-line block ×12, first 2 shown]
	v_mul_f32_e32 v1, v3, v1
	v_fma_f32 v1, v2, v94, -v1
	v_mul_f32_e32 v2, v5, v17
	v_add_f32_e32 v1, 0, v1
	v_fma_f32 v2, v4, v95, -v2
	v_add_f32_e32 v1, v1, v2
	v_mul_f32_e32 v2, v9, v70
	v_fma_f32 v2, v8, v96, -v2
	v_add_f32_e32 v1, v1, v2
	v_mul_f32_e32 v2, v11, v76
	;; [unrolled: 3-line block ×25, first 2 shown]
	v_fma_f32 v2, v58, v219, -v2
	s_waitcnt vmcnt(13)
	v_mov_b32_e32 v18, v75
	v_mul_f32_e32 v77, v60, v222
	v_add_f32_e32 v70, v1, v2
	v_mul_f32_e32 v1, v61, v222
	s_waitcnt lgkmcnt(1)
	v_pk_mul_f32 v[18:19], v[64:65], v[18:19] op_sel_hi:[1,0]
	v_fmac_f32_e32 v77, v61, v221
	v_mul_f32_e32 v79, v62, v224
	v_fma_f32 v76, v60, v221, -v1
	v_mul_f32_e32 v1, v63, v224
	s_waitcnt vmcnt(12)
	v_pk_fma_f32 v[20:21], v[64:65], v[74:75], v[18:19] op_sel:[0,0,1] op_sel_hi:[1,1,0] neg_lo:[0,0,1] neg_hi:[0,0,1]
	v_pk_fma_f32 v[18:19], v[64:65], v[74:75], v[18:19] op_sel:[0,0,1] op_sel_hi:[1,0,0]
	v_fmac_f32_e32 v79, v63, v223
	v_fma_f32 v78, v62, v223, -v1
	v_pk_add_f32 v[14:15], v[70:71], v[76:77]
	v_mov_b32_e32 v18, v73
	v_pk_add_f32 v[14:15], v[14:15], v[78:79]
	v_mov_b32_e32 v21, v19
	s_waitcnt lgkmcnt(0)
	v_pk_mul_f32 v[18:19], v[66:67], v[18:19] op_sel_hi:[1,0]
	v_pk_add_f32 v[14:15], v[14:15], v[20:21]
	v_pk_fma_f32 v[20:21], v[66:67], v[72:73], v[18:19] op_sel:[0,0,1] op_sel_hi:[1,1,0] neg_lo:[0,0,1] neg_hi:[0,0,1]
	v_pk_fma_f32 v[18:19], v[66:67], v[72:73], v[18:19] op_sel:[0,0,1] op_sel_hi:[1,0,0]
	s_waitcnt vmcnt(5)
	v_mov_b32_e32 v18, v87
	ds_read_b128 v[2:5], v16 offset:784
	ds_read_b128 v[8:11], v16 offset:800
	ds_read_b64 v[12:13], v16 offset:816
	v_mov_b32_e32 v21, v19
	v_pk_mul_f32 v[18:19], v[68:69], v[18:19] op_sel_hi:[1,0]
	v_pk_add_f32 v[14:15], v[14:15], v[20:21]
	s_waitcnt vmcnt(4)
	v_pk_fma_f32 v[20:21], v[68:69], v[86:87], v[18:19] op_sel:[0,0,1] op_sel_hi:[1,1,0] neg_lo:[0,0,1] neg_hi:[0,0,1]
	v_pk_fma_f32 v[18:19], v[68:69], v[86:87], v[18:19] op_sel:[0,0,1] op_sel_hi:[1,0,0]
	v_mov_b32_e32 v18, v85
	v_mov_b32_e32 v21, v19
	s_waitcnt lgkmcnt(2)
	v_pk_mul_f32 v[18:19], v[2:3], v[18:19] op_sel_hi:[1,0]
	v_pk_add_f32 v[14:15], v[14:15], v[20:21]
	v_pk_fma_f32 v[20:21], v[2:3], v[84:85], v[18:19] op_sel:[0,0,1] op_sel_hi:[1,1,0] neg_lo:[0,0,1] neg_hi:[0,0,1]
	v_pk_fma_f32 v[2:3], v[2:3], v[84:85], v[18:19] op_sel:[0,0,1] op_sel_hi:[1,0,0]
	v_mov_b32_e32 v21, v3
	v_pk_add_f32 v[2:3], v[14:15], v[20:21]
	v_mov_b32_e32 v14, v83
	v_pk_mul_f32 v[14:15], v[4:5], v[14:15] op_sel_hi:[1,0]
	v_pk_fma_f32 v[18:19], v[4:5], v[82:83], v[14:15] op_sel:[0,0,1] op_sel_hi:[1,1,0] neg_lo:[0,0,1] neg_hi:[0,0,1]
	v_pk_fma_f32 v[4:5], v[4:5], v[82:83], v[14:15] op_sel:[0,0,1] op_sel_hi:[1,0,0]
	v_mov_b32_e32 v4, v81
	v_mov_b32_e32 v19, v5
	s_waitcnt lgkmcnt(1)
	v_pk_mul_f32 v[4:5], v[8:9], v[4:5] op_sel_hi:[1,0]
	v_pk_fma_f32 v[14:15], v[8:9], v[80:81], v[4:5] op_sel:[0,0,1] op_sel_hi:[1,1,0] neg_lo:[0,0,1] neg_hi:[0,0,1]
	v_pk_fma_f32 v[4:5], v[8:9], v[80:81], v[4:5] op_sel:[0,0,1] op_sel_hi:[1,0,0]
	s_waitcnt vmcnt(1)
	v_mov_b32_e32 v4, v91
	v_mov_b32_e32 v15, v5
	v_pk_mul_f32 v[4:5], v[10:11], v[4:5] op_sel_hi:[1,0]
	s_waitcnt vmcnt(0)
	v_pk_fma_f32 v[8:9], v[10:11], v[90:91], v[4:5] op_sel:[0,0,1] op_sel_hi:[1,1,0] neg_lo:[0,0,1] neg_hi:[0,0,1]
	v_pk_fma_f32 v[4:5], v[10:11], v[90:91], v[4:5] op_sel:[0,0,1] op_sel_hi:[1,0,0]
	v_pk_add_f32 v[2:3], v[2:3], v[18:19]
	v_mov_b32_e32 v4, v89
	v_pk_add_f32 v[2:3], v[2:3], v[14:15]
	v_mov_b32_e32 v9, v5
	s_waitcnt lgkmcnt(0)
	v_pk_mul_f32 v[4:5], v[12:13], v[4:5] op_sel_hi:[1,0]
	v_pk_add_f32 v[2:3], v[2:3], v[8:9]
	v_pk_fma_f32 v[8:9], v[12:13], v[88:89], v[4:5] op_sel:[0,0,1] op_sel_hi:[1,1,0] neg_lo:[0,0,1] neg_hi:[0,0,1]
	v_pk_fma_f32 v[4:5], v[12:13], v[88:89], v[4:5] op_sel:[0,0,1] op_sel_hi:[1,0,0]
	v_mov_b32_e32 v9, v5
	v_pk_add_f32 v[2:3], v[2:3], v[8:9]
	v_pk_add_f32 v[2:3], v[6:7], v[2:3] neg_lo:[0,1] neg_hi:[0,1]
	buffer_store_dword v3, off, s[0:3], 0 offset:108
	buffer_store_dword v2, off, s[0:3], 0 offset:104
	s_and_saveexec_b64 s[4:5], vcc
	s_cbranch_execz .LBB114_295
; %bb.294:
	buffer_load_dword v2, off, s[0:3], 0 offset:96
	buffer_load_dword v3, off, s[0:3], 0 offset:100
	s_waitcnt vmcnt(0)
	ds_write_b64 v121, v[2:3]
	buffer_store_dword v16, off, s[0:3], 0 offset:96
	buffer_store_dword v16, off, s[0:3], 0 offset:100
.LBB114_295:
	s_or_b64 exec, exec, s[4:5]
	s_waitcnt lgkmcnt(0)
	; wave barrier
	s_waitcnt lgkmcnt(0)
	buffer_load_dword v1, off, s[0:3], 0 offset:108
	buffer_load_dword v17, off, s[0:3], 0 offset:116
	;; [unrolled: 1-line block ×32, first 2 shown]
	ds_read2_b64 v[18:21], v16 offset0:65 offset1:66
	ds_read2_b64 v[6:9], v16 offset0:67 offset1:68
	buffer_load_dword v197, off, s[0:3], 0 offset:224
	buffer_load_dword v198, off, s[0:3], 0 offset:228
	ds_read2_b64 v[10:13], v16 offset0:69 offset1:70
	ds_read2_b64 v[2:5], v16 offset0:71 offset1:72
	buffer_load_dword v199, off, s[0:3], 0 offset:232
	buffer_load_dword v200, off, s[0:3], 0 offset:236
	;; [unrolled: 1-line block ×28, first 2 shown]
	v_cmp_lt_u32_e32 vcc, 11, v0
	s_waitcnt vmcnt(61) lgkmcnt(3)
	v_mul_f32_e32 v22, v18, v1
	s_waitcnt vmcnt(60)
	v_mul_f32_e32 v23, v20, v17
	s_waitcnt vmcnt(59) lgkmcnt(2)
	v_mul_f32_e32 v24, v6, v72
	s_waitcnt vmcnt(58)
	v_mul_f32_e32 v25, v8, v74
	;; [unrolled: 4-line block ×3, first 2 shown]
	s_waitcnt vmcnt(55) lgkmcnt(0)
	v_mul_f32_e32 v28, v2, v93
	s_waitcnt vmcnt(54)
	v_fmac_f32_e32 v22, v19, v94
	s_waitcnt vmcnt(53)
	v_fmac_f32_e32 v23, v21, v95
	v_add_f32_e32 v22, 0, v22
	s_waitcnt vmcnt(52)
	v_fmac_f32_e32 v24, v7, v96
	v_add_f32_e32 v22, v22, v23
	;; [unrolled: 3-line block ×6, first 2 shown]
	v_add_f32_e32 v26, v22, v28
	ds_read2_b64 v[22:25], v16 offset0:73 offset1:74
	s_waitcnt vmcnt(47)
	v_mul_f32_e32 v27, v4, v101
	s_waitcnt vmcnt(46)
	v_fmac_f32_e32 v27, v5, v102
	v_add_f32_e32 v30, v26, v27
	ds_read2_b64 v[26:29], v16 offset0:75 offset1:76
	s_waitcnt vmcnt(45) lgkmcnt(1)
	v_mul_f32_e32 v31, v22, v103
	s_waitcnt vmcnt(44)
	v_fmac_f32_e32 v31, v23, v104
	v_add_f32_e32 v30, v30, v31
	s_waitcnt vmcnt(43)
	v_mul_f32_e32 v31, v24, v105
	s_waitcnt vmcnt(42)
	v_fmac_f32_e32 v31, v25, v106
	v_add_f32_e32 v30, v30, v31
	s_waitcnt vmcnt(41) lgkmcnt(0)
	v_mul_f32_e32 v31, v26, v107
	s_waitcnt vmcnt(40)
	v_fmac_f32_e32 v31, v27, v188
	v_add_f32_e32 v34, v30, v31
	ds_read2_b64 v[30:33], v16 offset0:77 offset1:78
	s_waitcnt vmcnt(39)
	v_mul_f32_e32 v35, v28, v189
	s_waitcnt vmcnt(38)
	v_fmac_f32_e32 v35, v29, v190
	v_add_f32_e32 v38, v34, v35
	ds_read2_b64 v[34:37], v16 offset0:79 offset1:80
	s_waitcnt vmcnt(35) lgkmcnt(1)
	v_mul_f32_e32 v39, v30, v191
	s_waitcnt vmcnt(34)
	v_fmac_f32_e32 v39, v31, v192
	v_add_f32_e32 v38, v38, v39
	s_waitcnt vmcnt(32)
	v_mul_f32_e32 v39, v32, v194
	v_fmac_f32_e32 v39, v33, v193
	v_add_f32_e32 v38, v38, v39
	s_waitcnt vmcnt(30) lgkmcnt(0)
	v_mul_f32_e32 v39, v34, v196
	v_fmac_f32_e32 v39, v35, v195
	v_add_f32_e32 v42, v38, v39
	ds_read2_b64 v[38:41], v16 offset0:81 offset1:82
	s_waitcnt vmcnt(28)
	v_mul_f32_e32 v43, v36, v198
	v_fmac_f32_e32 v43, v37, v197
	v_add_f32_e32 v46, v42, v43
	ds_read2_b64 v[42:45], v16 offset0:83 offset1:84
	s_waitcnt vmcnt(26) lgkmcnt(1)
	v_mul_f32_e32 v47, v38, v200
	v_fmac_f32_e32 v47, v39, v199
	v_add_f32_e32 v46, v46, v47
	s_waitcnt vmcnt(24)
	v_mul_f32_e32 v47, v40, v202
	v_fmac_f32_e32 v47, v41, v201
	v_add_f32_e32 v46, v46, v47
	s_waitcnt vmcnt(22) lgkmcnt(0)
	v_mul_f32_e32 v47, v42, v204
	v_fmac_f32_e32 v47, v43, v203
	v_add_f32_e32 v50, v46, v47
	ds_read2_b64 v[46:49], v16 offset0:85 offset1:86
	s_waitcnt vmcnt(20)
	v_mul_f32_e32 v51, v44, v206
	v_fmac_f32_e32 v51, v45, v205
	v_add_f32_e32 v54, v50, v51
	ds_read2_b64 v[50:53], v16 offset0:87 offset1:88
	s_waitcnt vmcnt(18) lgkmcnt(1)
	v_mul_f32_e32 v55, v46, v208
	v_fmac_f32_e32 v55, v47, v207
	v_add_f32_e32 v54, v54, v55
	s_waitcnt vmcnt(16)
	v_mul_f32_e32 v55, v48, v210
	v_fmac_f32_e32 v55, v49, v209
	v_add_f32_e32 v54, v54, v55
	s_waitcnt vmcnt(14) lgkmcnt(0)
	v_mul_f32_e32 v55, v50, v212
	v_fmac_f32_e32 v55, v51, v211
	v_add_f32_e32 v58, v54, v55
	ds_read2_b64 v[54:57], v16 offset0:89 offset1:90
	s_waitcnt vmcnt(12)
	v_mul_f32_e32 v59, v52, v214
	v_fmac_f32_e32 v59, v53, v213
	v_add_f32_e32 v62, v58, v59
	ds_read2_b64 v[58:61], v16 offset0:91 offset1:92
	buffer_load_dword v71, off, s[0:3], 0 offset:348
	buffer_load_dword v70, off, s[0:3], 0 offset:344
	s_waitcnt vmcnt(12) lgkmcnt(1)
	v_mul_f32_e32 v63, v54, v216
	v_fmac_f32_e32 v63, v55, v215
	v_add_f32_e32 v62, v62, v63
	s_waitcnt vmcnt(10)
	v_mul_f32_e32 v63, v56, v218
	v_fmac_f32_e32 v63, v57, v217
	v_add_f32_e32 v62, v62, v63
	s_waitcnt vmcnt(8) lgkmcnt(0)
	v_mul_f32_e32 v63, v58, v220
	v_fmac_f32_e32 v63, v59, v219
	s_waitcnt vmcnt(6)
	v_mul_f32_e32 v67, v60, v222
	v_add_f32_e32 v66, v62, v63
	v_fmac_f32_e32 v67, v61, v221
	ds_read2_b64 v[62:65], v16 offset0:93 offset1:94
	v_add_f32_e32 v73, v66, v67
	ds_read2_b64 v[66:69], v16 offset0:95 offset1:96
	buffer_load_dword v79, off, s[0:3], 0 offset:380
	buffer_load_dword v78, off, s[0:3], 0 offset:376
	;; [unrolled: 1-line block ×14, first 2 shown]
	v_mul_f32_e32 v1, v19, v1
	v_fma_f32 v1, v18, v94, -v1
	v_mul_f32_e32 v17, v21, v17
	v_add_f32_e32 v1, 0, v1
	v_fma_f32 v17, v20, v95, -v17
	v_mul_f32_e32 v7, v7, v72
	v_add_f32_e32 v1, v1, v17
	v_fma_f32 v6, v6, v96, -v7
	v_add_f32_e32 v1, v1, v6
	v_mul_f32_e32 v6, v9, v74
	v_fma_f32 v6, v8, v97, -v6
	v_add_f32_e32 v1, v1, v6
	v_mul_f32_e32 v6, v11, v76
	;; [unrolled: 3-line block ×3, first 2 shown]
	v_fma_f32 v6, v12, v99, -v6
	v_mul_f32_e32 v3, v3, v93
	v_add_f32_e32 v1, v1, v6
	v_fma_f32 v2, v2, v100, -v3
	v_add_f32_e32 v1, v1, v2
	v_mul_f32_e32 v2, v5, v101
	v_fma_f32 v2, v4, v102, -v2
	v_add_f32_e32 v1, v1, v2
	v_mul_f32_e32 v2, v23, v103
	;; [unrolled: 3-line block ×21, first 2 shown]
	v_fma_f32 v2, v60, v221, -v2
	s_waitcnt vmcnt(15)
	v_mov_b32_e32 v18, v71
	s_waitcnt lgkmcnt(1)
	v_mul_f32_e32 v75, v62, v224
	v_add_f32_e32 v72, v1, v2
	v_mul_f32_e32 v1, v63, v224
	s_waitcnt lgkmcnt(0)
	v_pk_mul_f32 v[18:19], v[66:67], v[18:19] op_sel_hi:[1,0]
	v_fmac_f32_e32 v75, v63, v223
	v_mul_f32_e32 v77, v64, v226
	v_fma_f32 v74, v62, v223, -v1
	v_mul_f32_e32 v1, v65, v226
	s_waitcnt vmcnt(14)
	v_pk_fma_f32 v[20:21], v[66:67], v[70:71], v[18:19] op_sel:[0,0,1] op_sel_hi:[1,1,0] neg_lo:[0,0,1] neg_hi:[0,0,1]
	v_pk_fma_f32 v[18:19], v[66:67], v[70:71], v[18:19] op_sel:[0,0,1] op_sel_hi:[1,0,0]
	v_fmac_f32_e32 v77, v65, v225
	v_fma_f32 v76, v64, v225, -v1
	ds_read2_b64 v[2:5], v16 offset0:97 offset1:98
	ds_read2_b64 v[6:9], v16 offset0:99 offset1:100
	;; [unrolled: 1-line block ×3, first 2 shown]
	v_pk_add_f32 v[16:17], v[72:73], v[74:75]
	s_waitcnt vmcnt(7)
	v_mov_b32_e32 v18, v85
	v_pk_add_f32 v[16:17], v[16:17], v[76:77]
	v_mov_b32_e32 v21, v19
	v_pk_mul_f32 v[18:19], v[68:69], v[18:19] op_sel_hi:[1,0]
	v_pk_add_f32 v[16:17], v[16:17], v[20:21]
	s_waitcnt vmcnt(6)
	v_pk_fma_f32 v[20:21], v[68:69], v[84:85], v[18:19] op_sel:[0,0,1] op_sel_hi:[1,1,0] neg_lo:[0,0,1] neg_hi:[0,0,1]
	v_pk_fma_f32 v[18:19], v[68:69], v[84:85], v[18:19] op_sel:[0,0,1] op_sel_hi:[1,0,0]
	v_mov_b32_e32 v18, v83
	v_mov_b32_e32 v21, v19
	s_waitcnt lgkmcnt(2)
	v_pk_mul_f32 v[18:19], v[2:3], v[18:19] op_sel_hi:[1,0]
	v_pk_add_f32 v[16:17], v[16:17], v[20:21]
	v_pk_fma_f32 v[20:21], v[2:3], v[82:83], v[18:19] op_sel:[0,0,1] op_sel_hi:[1,1,0] neg_lo:[0,0,1] neg_hi:[0,0,1]
	v_pk_fma_f32 v[2:3], v[2:3], v[82:83], v[18:19] op_sel:[0,0,1] op_sel_hi:[1,0,0]
	v_mov_b32_e32 v21, v3
	v_pk_add_f32 v[2:3], v[16:17], v[20:21]
	v_mov_b32_e32 v16, v81
	v_pk_mul_f32 v[16:17], v[4:5], v[16:17] op_sel_hi:[1,0]
	v_pk_fma_f32 v[18:19], v[4:5], v[80:81], v[16:17] op_sel:[0,0,1] op_sel_hi:[1,1,0] neg_lo:[0,0,1] neg_hi:[0,0,1]
	v_pk_fma_f32 v[4:5], v[4:5], v[80:81], v[16:17] op_sel:[0,0,1] op_sel_hi:[1,0,0]
	v_mov_b32_e32 v4, v79
	v_mov_b32_e32 v19, v5
	s_waitcnt lgkmcnt(1)
	v_pk_mul_f32 v[4:5], v[6:7], v[4:5] op_sel_hi:[1,0]
	v_pk_fma_f32 v[16:17], v[6:7], v[78:79], v[4:5] op_sel:[0,0,1] op_sel_hi:[1,1,0] neg_lo:[0,0,1] neg_hi:[0,0,1]
	v_pk_fma_f32 v[4:5], v[6:7], v[78:79], v[4:5] op_sel:[0,0,1] op_sel_hi:[1,0,0]
	s_waitcnt vmcnt(1)
	v_mov_b32_e32 v4, v91
	v_mov_b32_e32 v17, v5
	v_pk_mul_f32 v[4:5], v[8:9], v[4:5] op_sel_hi:[1,0]
	s_waitcnt vmcnt(0)
	v_pk_fma_f32 v[6:7], v[8:9], v[90:91], v[4:5] op_sel:[0,0,1] op_sel_hi:[1,1,0] neg_lo:[0,0,1] neg_hi:[0,0,1]
	v_pk_fma_f32 v[4:5], v[8:9], v[90:91], v[4:5] op_sel:[0,0,1] op_sel_hi:[1,0,0]
	v_pk_add_f32 v[2:3], v[2:3], v[18:19]
	v_mov_b32_e32 v4, v89
	v_pk_add_f32 v[2:3], v[2:3], v[16:17]
	v_mov_b32_e32 v7, v5
	s_waitcnt lgkmcnt(0)
	v_pk_mul_f32 v[4:5], v[10:11], v[4:5] op_sel_hi:[1,0]
	v_pk_add_f32 v[2:3], v[2:3], v[6:7]
	v_pk_fma_f32 v[6:7], v[10:11], v[88:89], v[4:5] op_sel:[0,0,1] op_sel_hi:[1,1,0] neg_lo:[0,0,1] neg_hi:[0,0,1]
	v_pk_fma_f32 v[4:5], v[10:11], v[88:89], v[4:5] op_sel:[0,0,1] op_sel_hi:[1,0,0]
	v_mov_b32_e32 v4, v87
	v_mov_b32_e32 v7, v5
	v_pk_mul_f32 v[4:5], v[12:13], v[4:5] op_sel_hi:[1,0]
	v_pk_add_f32 v[2:3], v[2:3], v[6:7]
	v_pk_fma_f32 v[6:7], v[12:13], v[86:87], v[4:5] op_sel:[0,0,1] op_sel_hi:[1,1,0] neg_lo:[0,0,1] neg_hi:[0,0,1]
	v_pk_fma_f32 v[4:5], v[12:13], v[86:87], v[4:5] op_sel:[0,0,1] op_sel_hi:[1,0,0]
	v_mov_b32_e32 v7, v5
	v_pk_add_f32 v[2:3], v[2:3], v[6:7]
	v_pk_add_f32 v[2:3], v[14:15], v[2:3] neg_lo:[0,1] neg_hi:[0,1]
	buffer_store_dword v3, off, s[0:3], 0 offset:100
	buffer_store_dword v2, off, s[0:3], 0 offset:96
	s_and_saveexec_b64 s[4:5], vcc
	s_cbranch_execz .LBB114_297
; %bb.296:
	buffer_load_dword v2, off, s[0:3], 0 offset:88
	buffer_load_dword v3, off, s[0:3], 0 offset:92
	v_mov_b32_e32 v1, 0
	buffer_store_dword v1, off, s[0:3], 0 offset:88
	buffer_store_dword v1, off, s[0:3], 0 offset:92
	s_waitcnt vmcnt(2)
	ds_write_b64 v121, v[2:3]
.LBB114_297:
	s_or_b64 exec, exec, s[4:5]
	s_waitcnt lgkmcnt(0)
	; wave barrier
	s_waitcnt lgkmcnt(0)
	buffer_load_dword v1, off, s[0:3], 0 offset:100
	buffer_load_dword v21, off, s[0:3], 0 offset:108
	;; [unrolled: 1-line block ×48, first 2 shown]
	v_mov_b32_e32 v20, 0
	ds_read_b128 v[4:7], v20 offset:512
	buffer_load_dword v213, off, s[0:3], 0 offset:280
	buffer_load_dword v214, off, s[0:3], 0 offset:284
	;; [unrolled: 1-line block ×8, first 2 shown]
	ds_read_b128 v[8:11], v20 offset:528
	ds_read_b128 v[12:15], v20 offset:544
	;; [unrolled: 1-line block ×3, first 2 shown]
	buffer_load_dword v221, off, s[0:3], 0 offset:312
	buffer_load_dword v222, off, s[0:3], 0 offset:316
	;; [unrolled: 1-line block ×8, first 2 shown]
	v_cmp_lt_u32_e32 vcc, 10, v0
	s_waitcnt vmcnt(62) lgkmcnt(3)
	v_mul_f32_e32 v22, v4, v1
	v_mul_f32_e32 v23, v6, v21
	s_waitcnt vmcnt(61) lgkmcnt(2)
	v_mul_f32_e32 v24, v8, v70
	s_waitcnt vmcnt(60)
	v_mul_f32_e32 v25, v10, v72
	s_waitcnt vmcnt(59) lgkmcnt(1)
	v_mul_f32_e32 v26, v12, v74
	s_waitcnt vmcnt(58)
	;; [unrolled: 4-line block ×3, first 2 shown]
	v_fmac_f32_e32 v22, v5, v94
	s_waitcnt vmcnt(55)
	v_fmac_f32_e32 v23, v7, v95
	v_add_f32_e32 v22, 0, v22
	s_waitcnt vmcnt(54)
	v_fmac_f32_e32 v24, v9, v96
	v_add_f32_e32 v22, v22, v23
	;; [unrolled: 3-line block ×6, first 2 shown]
	v_add_f32_e32 v26, v22, v28
	ds_read_b128 v[22:25], v20 offset:576
	s_waitcnt vmcnt(49)
	v_mul_f32_e32 v27, v18, v101
	s_waitcnt vmcnt(48)
	v_fmac_f32_e32 v27, v19, v102
	v_add_f32_e32 v30, v26, v27
	ds_read_b128 v[26:29], v20 offset:592
	s_waitcnt vmcnt(47) lgkmcnt(1)
	v_mul_f32_e32 v31, v22, v103
	s_waitcnt vmcnt(46)
	v_fmac_f32_e32 v31, v23, v104
	v_add_f32_e32 v30, v30, v31
	s_waitcnt vmcnt(45)
	v_mul_f32_e32 v31, v24, v105
	s_waitcnt vmcnt(44)
	v_fmac_f32_e32 v31, v25, v106
	v_add_f32_e32 v30, v30, v31
	s_waitcnt vmcnt(42) lgkmcnt(0)
	v_mul_f32_e32 v31, v26, v188
	v_fmac_f32_e32 v31, v27, v107
	v_add_f32_e32 v34, v30, v31
	ds_read_b128 v[30:33], v20 offset:608
	s_waitcnt vmcnt(38)
	v_mul_f32_e32 v35, v28, v190
	v_fmac_f32_e32 v35, v29, v189
	v_add_f32_e32 v38, v34, v35
	ds_read_b128 v[34:37], v20 offset:624
	s_waitcnt vmcnt(36) lgkmcnt(1)
	v_mul_f32_e32 v39, v30, v192
	v_fmac_f32_e32 v39, v31, v191
	v_add_f32_e32 v38, v38, v39
	s_waitcnt vmcnt(34)
	v_mul_f32_e32 v39, v32, v194
	v_fmac_f32_e32 v39, v33, v193
	v_add_f32_e32 v38, v38, v39
	s_waitcnt vmcnt(32) lgkmcnt(0)
	v_mul_f32_e32 v39, v34, v196
	v_fmac_f32_e32 v39, v35, v195
	v_add_f32_e32 v42, v38, v39
	ds_read_b128 v[38:41], v20 offset:640
	s_waitcnt vmcnt(30)
	v_mul_f32_e32 v43, v36, v198
	v_fmac_f32_e32 v43, v37, v197
	v_add_f32_e32 v46, v42, v43
	ds_read_b128 v[42:45], v20 offset:656
	s_waitcnt vmcnt(28) lgkmcnt(1)
	v_mul_f32_e32 v47, v38, v200
	v_fmac_f32_e32 v47, v39, v199
	v_add_f32_e32 v46, v46, v47
	s_waitcnt vmcnt(26)
	v_mul_f32_e32 v47, v40, v202
	;; [unrolled: 18-line block ×4, first 2 shown]
	v_fmac_f32_e32 v63, v57, v217
	v_add_f32_e32 v62, v62, v63
	s_waitcnt vmcnt(8) lgkmcnt(0)
	v_mul_f32_e32 v63, v58, v220
	v_fmac_f32_e32 v63, v59, v219
	s_waitcnt vmcnt(6)
	v_mul_f32_e32 v67, v60, v222
	v_add_f32_e32 v66, v62, v63
	v_fmac_f32_e32 v67, v61, v221
	ds_read_b128 v[62:65], v20 offset:736
	v_add_f32_e32 v71, v66, v67
	ds_read_b128 v[66:69], v20 offset:752
	buffer_load_dword v77, off, s[0:3], 0 offset:372
	buffer_load_dword v76, off, s[0:3], 0 offset:368
	;; [unrolled: 1-line block ×16, first 2 shown]
	v_mul_f32_e32 v1, v5, v1
	v_fma_f32 v1, v4, v94, -v1
	v_mul_f32_e32 v4, v7, v21
	v_add_f32_e32 v1, 0, v1
	v_fma_f32 v4, v6, v95, -v4
	v_add_f32_e32 v1, v1, v4
	v_mul_f32_e32 v4, v9, v70
	v_fma_f32 v4, v8, v96, -v4
	v_add_f32_e32 v1, v1, v4
	v_mul_f32_e32 v4, v11, v72
	;; [unrolled: 3-line block ×26, first 2 shown]
	v_fma_f32 v4, v60, v221, -v4
	s_waitcnt vmcnt(20) lgkmcnt(1)
	v_mul_f32_e32 v73, v62, v224
	v_add_f32_e32 v1, v1, v4
	v_mul_f32_e32 v4, v63, v224
	v_fmac_f32_e32 v73, v63, v223
	v_fma_f32 v4, v62, v223, -v4
	s_waitcnt vmcnt(9)
	v_mov_b32_e32 v22, v83
	v_add_f32_e32 v71, v71, v73
	v_mul_f32_e32 v73, v64, v226
	v_add_f32_e32 v70, v1, v4
	v_mul_f32_e32 v1, v65, v226
	s_waitcnt lgkmcnt(0)
	v_pk_mul_f32 v[22:23], v[68:69], v[22:23] op_sel_hi:[1,0]
	v_fmac_f32_e32 v73, v65, v225
	v_mul_f32_e32 v75, v66, v228
	v_fma_f32 v72, v64, v225, -v1
	v_mul_f32_e32 v1, v67, v228
	ds_read_b128 v[4:7], v20 offset:768
	ds_read_b128 v[8:11], v20 offset:784
	;; [unrolled: 1-line block ×3, first 2 shown]
	ds_read_b64 v[16:17], v20 offset:816
	s_waitcnt vmcnt(8)
	v_pk_fma_f32 v[24:25], v[68:69], v[82:83], v[22:23] op_sel:[0,0,1] op_sel_hi:[1,1,0] neg_lo:[0,0,1] neg_hi:[0,0,1]
	v_pk_fma_f32 v[22:23], v[68:69], v[82:83], v[22:23] op_sel:[0,0,1] op_sel_hi:[1,0,0]
	v_fmac_f32_e32 v75, v67, v227
	v_fma_f32 v74, v66, v227, -v1
	v_pk_add_f32 v[18:19], v[70:71], v[72:73]
	v_mov_b32_e32 v22, v81
	v_pk_add_f32 v[18:19], v[18:19], v[74:75]
	v_mov_b32_e32 v25, v23
	s_waitcnt lgkmcnt(3)
	v_pk_mul_f32 v[22:23], v[4:5], v[22:23] op_sel_hi:[1,0]
	v_pk_add_f32 v[18:19], v[18:19], v[24:25]
	v_pk_fma_f32 v[24:25], v[4:5], v[80:81], v[22:23] op_sel:[0,0,1] op_sel_hi:[1,1,0] neg_lo:[0,0,1] neg_hi:[0,0,1]
	v_pk_fma_f32 v[4:5], v[4:5], v[80:81], v[22:23] op_sel:[0,0,1] op_sel_hi:[1,0,0]
	v_mov_b32_e32 v25, v5
	v_pk_add_f32 v[4:5], v[18:19], v[24:25]
	v_mov_b32_e32 v18, v79
	v_pk_mul_f32 v[18:19], v[6:7], v[18:19] op_sel_hi:[1,0]
	v_pk_fma_f32 v[22:23], v[6:7], v[78:79], v[18:19] op_sel:[0,0,1] op_sel_hi:[1,1,0] neg_lo:[0,0,1] neg_hi:[0,0,1]
	v_pk_fma_f32 v[6:7], v[6:7], v[78:79], v[18:19] op_sel:[0,0,1] op_sel_hi:[1,0,0]
	v_mov_b32_e32 v6, v77
	v_mov_b32_e32 v23, v7
	s_waitcnt lgkmcnt(2)
	v_pk_mul_f32 v[6:7], v[8:9], v[6:7] op_sel_hi:[1,0]
	v_pk_fma_f32 v[18:19], v[8:9], v[76:77], v[6:7] op_sel:[0,0,1] op_sel_hi:[1,1,0] neg_lo:[0,0,1] neg_hi:[0,0,1]
	v_pk_fma_f32 v[6:7], v[8:9], v[76:77], v[6:7] op_sel:[0,0,1] op_sel_hi:[1,0,0]
	s_waitcnt vmcnt(1)
	v_mov_b32_e32 v6, v91
	v_mov_b32_e32 v19, v7
	v_pk_mul_f32 v[6:7], v[10:11], v[6:7] op_sel_hi:[1,0]
	s_waitcnt vmcnt(0)
	v_pk_fma_f32 v[8:9], v[10:11], v[90:91], v[6:7] op_sel:[0,0,1] op_sel_hi:[1,1,0] neg_lo:[0,0,1] neg_hi:[0,0,1]
	v_pk_fma_f32 v[6:7], v[10:11], v[90:91], v[6:7] op_sel:[0,0,1] op_sel_hi:[1,0,0]
	v_pk_add_f32 v[4:5], v[4:5], v[22:23]
	v_mov_b32_e32 v6, v89
	v_pk_add_f32 v[4:5], v[4:5], v[18:19]
	v_mov_b32_e32 v9, v7
	s_waitcnt lgkmcnt(1)
	v_pk_mul_f32 v[6:7], v[12:13], v[6:7] op_sel_hi:[1,0]
	v_pk_add_f32 v[4:5], v[4:5], v[8:9]
	v_pk_fma_f32 v[8:9], v[12:13], v[88:89], v[6:7] op_sel:[0,0,1] op_sel_hi:[1,1,0] neg_lo:[0,0,1] neg_hi:[0,0,1]
	v_pk_fma_f32 v[6:7], v[12:13], v[88:89], v[6:7] op_sel:[0,0,1] op_sel_hi:[1,0,0]
	v_mov_b32_e32 v6, v87
	v_mov_b32_e32 v9, v7
	v_pk_mul_f32 v[6:7], v[14:15], v[6:7] op_sel_hi:[1,0]
	v_pk_add_f32 v[4:5], v[4:5], v[8:9]
	v_pk_fma_f32 v[8:9], v[14:15], v[86:87], v[6:7] op_sel:[0,0,1] op_sel_hi:[1,1,0] neg_lo:[0,0,1] neg_hi:[0,0,1]
	v_pk_fma_f32 v[6:7], v[14:15], v[86:87], v[6:7] op_sel:[0,0,1] op_sel_hi:[1,0,0]
	v_mov_b32_e32 v6, v85
	v_mov_b32_e32 v9, v7
	s_waitcnt lgkmcnt(0)
	v_pk_mul_f32 v[6:7], v[16:17], v[6:7] op_sel_hi:[1,0]
	v_pk_add_f32 v[4:5], v[4:5], v[8:9]
	v_pk_fma_f32 v[8:9], v[16:17], v[84:85], v[6:7] op_sel:[0,0,1] op_sel_hi:[1,1,0] neg_lo:[0,0,1] neg_hi:[0,0,1]
	v_pk_fma_f32 v[6:7], v[16:17], v[84:85], v[6:7] op_sel:[0,0,1] op_sel_hi:[1,0,0]
	v_mov_b32_e32 v9, v7
	v_pk_add_f32 v[4:5], v[4:5], v[8:9]
	v_pk_add_f32 v[2:3], v[2:3], v[4:5] neg_lo:[0,1] neg_hi:[0,1]
	buffer_store_dword v3, off, s[0:3], 0 offset:92
	buffer_store_dword v2, off, s[0:3], 0 offset:88
	s_and_saveexec_b64 s[4:5], vcc
	s_cbranch_execz .LBB114_299
; %bb.298:
	buffer_load_dword v2, off, s[0:3], 0 offset:80
	buffer_load_dword v3, off, s[0:3], 0 offset:84
	s_waitcnt vmcnt(0)
	ds_write_b64 v121, v[2:3]
	buffer_store_dword v20, off, s[0:3], 0 offset:80
	buffer_store_dword v20, off, s[0:3], 0 offset:84
.LBB114_299:
	s_or_b64 exec, exec, s[4:5]
	s_waitcnt lgkmcnt(0)
	; wave barrier
	s_waitcnt lgkmcnt(0)
	buffer_load_dword v1, off, s[0:3], 0 offset:92
	buffer_load_dword v21, off, s[0:3], 0 offset:100
	;; [unrolled: 1-line block ×26, first 2 shown]
	ds_read2_b64 v[14:17], v20 offset0:63 offset1:64
	ds_read2_b64 v[6:9], v20 offset0:65 offset1:66
	buffer_load_dword v191, off, s[0:3], 0 offset:184
	buffer_load_dword v192, off, s[0:3], 0 offset:188
	ds_read2_b64 v[10:13], v20 offset0:67 offset1:68
	ds_read2_b64 v[2:5], v20 offset0:69 offset1:70
	buffer_load_dword v193, off, s[0:3], 0 offset:192
	buffer_load_dword v194, off, s[0:3], 0 offset:196
	;; [unrolled: 1-line block ×32, first 2 shown]
	v_cmp_lt_u32_e32 vcc, 9, v0
	s_waitcnt vmcnt(59) lgkmcnt(3)
	v_mul_f32_e32 v22, v14, v1
	s_waitcnt vmcnt(58)
	v_mul_f32_e32 v23, v16, v21
	s_waitcnt vmcnt(57) lgkmcnt(2)
	v_mul_f32_e32 v24, v6, v70
	s_waitcnt vmcnt(56)
	v_mul_f32_e32 v25, v8, v72
	;; [unrolled: 4-line block ×4, first 2 shown]
	s_waitcnt vmcnt(51)
	v_fmac_f32_e32 v22, v15, v95
	s_waitcnt vmcnt(50)
	v_fmac_f32_e32 v23, v17, v96
	v_add_f32_e32 v22, 0, v22
	s_waitcnt vmcnt(49)
	v_fmac_f32_e32 v24, v7, v97
	v_add_f32_e32 v22, v22, v23
	;; [unrolled: 3-line block ×6, first 2 shown]
	v_add_f32_e32 v26, v22, v28
	ds_read2_b64 v[22:25], v20 offset0:71 offset1:72
	s_waitcnt vmcnt(44)
	v_fmac_f32_e32 v29, v5, v102
	buffer_load_dword v225, off, s[0:3], 0 offset:320
	buffer_load_dword v226, off, s[0:3], 0 offset:324
	v_add_f32_e32 v30, v26, v29
	buffer_load_dword v227, off, s[0:3], 0 offset:328
	buffer_load_dword v228, off, s[0:3], 0 offset:332
	ds_read2_b64 v[26:29], v20 offset0:73 offset1:74
	s_waitcnt vmcnt(47) lgkmcnt(1)
	v_mul_f32_e32 v31, v22, v103
	s_waitcnt vmcnt(46)
	v_fmac_f32_e32 v31, v23, v104
	v_add_f32_e32 v30, v30, v31
	s_waitcnt vmcnt(45)
	v_mul_f32_e32 v31, v24, v105
	s_waitcnt vmcnt(44)
	v_fmac_f32_e32 v31, v25, v106
	v_add_f32_e32 v30, v30, v31
	s_waitcnt vmcnt(41) lgkmcnt(0)
	v_mul_f32_e32 v31, v26, v107
	s_waitcnt vmcnt(40)
	v_fmac_f32_e32 v31, v27, v188
	buffer_load_dword v229, off, s[0:3], 0 offset:336
	buffer_load_dword v230, off, s[0:3], 0 offset:340
	v_add_f32_e32 v34, v30, v31
	ds_read2_b64 v[30:33], v20 offset0:75 offset1:76
	s_waitcnt vmcnt(40)
	v_mul_f32_e32 v35, v28, v190
	v_fmac_f32_e32 v35, v29, v189
	v_add_f32_e32 v38, v34, v35
	ds_read2_b64 v[34:37], v20 offset0:77 offset1:78
	s_waitcnt vmcnt(38) lgkmcnt(1)
	v_mul_f32_e32 v39, v30, v192
	v_fmac_f32_e32 v39, v31, v191
	v_add_f32_e32 v38, v38, v39
	s_waitcnt vmcnt(36)
	v_mul_f32_e32 v39, v32, v194
	v_fmac_f32_e32 v39, v33, v193
	v_add_f32_e32 v38, v38, v39
	s_waitcnt vmcnt(34) lgkmcnt(0)
	v_mul_f32_e32 v39, v34, v196
	v_fmac_f32_e32 v39, v35, v195
	v_add_f32_e32 v42, v38, v39
	ds_read2_b64 v[38:41], v20 offset0:79 offset1:80
	s_waitcnt vmcnt(32)
	v_mul_f32_e32 v43, v36, v198
	v_fmac_f32_e32 v43, v37, v197
	v_add_f32_e32 v46, v42, v43
	ds_read2_b64 v[42:45], v20 offset0:81 offset1:82
	s_waitcnt vmcnt(30) lgkmcnt(1)
	v_mul_f32_e32 v47, v38, v200
	v_fmac_f32_e32 v47, v39, v199
	v_add_f32_e32 v46, v46, v47
	s_waitcnt vmcnt(28)
	v_mul_f32_e32 v47, v40, v202
	v_fmac_f32_e32 v47, v41, v201
	v_add_f32_e32 v46, v46, v47
	s_waitcnt vmcnt(26) lgkmcnt(0)
	v_mul_f32_e32 v47, v42, v204
	v_fmac_f32_e32 v47, v43, v203
	;; [unrolled: 18-line block ×4, first 2 shown]
	s_waitcnt vmcnt(8)
	v_mul_f32_e32 v67, v60, v222
	v_add_f32_e32 v66, v62, v63
	v_fmac_f32_e32 v67, v61, v221
	ds_read2_b64 v[62:65], v20 offset0:91 offset1:92
	v_add_f32_e32 v71, v66, v67
	ds_read2_b64 v[66:69], v20 offset0:93 offset1:94
	buffer_load_dword v75, off, s[0:3], 0 offset:364
	buffer_load_dword v74, off, s[0:3], 0 offset:360
	;; [unrolled: 1-line block ×16, first 2 shown]
	v_mul_f32_e32 v1, v15, v1
	v_fma_f32 v1, v14, v95, -v1
	v_mul_f32_e32 v14, v17, v21
	v_add_f32_e32 v1, 0, v1
	v_fma_f32 v14, v16, v96, -v14
	v_mul_f32_e32 v7, v7, v70
	v_add_f32_e32 v1, v1, v14
	v_fma_f32 v6, v6, v97, -v7
	v_add_f32_e32 v1, v1, v6
	v_mul_f32_e32 v6, v9, v72
	v_fma_f32 v6, v8, v98, -v6
	v_add_f32_e32 v1, v1, v6
	v_mul_f32_e32 v6, v11, v80
	;; [unrolled: 3-line block ×3, first 2 shown]
	v_fma_f32 v6, v12, v100, -v6
	v_mul_f32_e32 v3, v3, v93
	v_add_f32_e32 v1, v1, v6
	v_fma_f32 v2, v2, v101, -v3
	v_add_f32_e32 v1, v1, v2
	v_mul_f32_e32 v2, v5, v94
	v_fma_f32 v2, v4, v102, -v2
	v_add_f32_e32 v1, v1, v2
	v_mul_f32_e32 v2, v23, v103
	;; [unrolled: 3-line block ×21, first 2 shown]
	v_fma_f32 v2, v60, v221, -v2
	v_add_f32_e32 v1, v1, v2
	s_waitcnt vmcnt(22) lgkmcnt(1)
	v_mul_f32_e32 v2, v63, v224
	v_mul_f32_e32 v73, v62, v224
	v_fma_f32 v2, v62, v223, -v2
	v_fmac_f32_e32 v73, v63, v223
	v_add_f32_e32 v1, v1, v2
	s_waitcnt vmcnt(20)
	v_mul_f32_e32 v2, v65, v226
	v_add_f32_e32 v71, v71, v73
	v_mul_f32_e32 v73, v64, v226
	v_fma_f32 v2, v64, v225, -v2
	v_fmac_f32_e32 v73, v65, v225
	v_add_f32_e32 v70, v1, v2
	ds_read2_b64 v[2:5], v20 offset0:95 offset1:96
	ds_read2_b64 v[6:9], v20 offset0:97 offset1:98
	;; [unrolled: 1-line block ×4, first 2 shown]
	v_add_f32_e32 v71, v71, v73
	s_waitcnt vmcnt(18) lgkmcnt(4)
	v_mul_f32_e32 v73, v66, v228
	v_mul_f32_e32 v1, v67, v228
	s_waitcnt vmcnt(11)
	v_mov_b32_e32 v22, v79
	v_fmac_f32_e32 v73, v67, v227
	v_mul_f32_e32 v81, v68, v230
	v_fma_f32 v72, v66, v227, -v1
	v_mul_f32_e32 v1, v69, v230
	s_waitcnt lgkmcnt(3)
	v_pk_mul_f32 v[22:23], v[2:3], v[22:23] op_sel_hi:[1,0]
	v_fmac_f32_e32 v81, v69, v229
	v_fma_f32 v80, v68, v229, -v1
	v_pk_add_f32 v[20:21], v[70:71], v[72:73]
	s_waitcnt vmcnt(10)
	v_pk_fma_f32 v[24:25], v[2:3], v[78:79], v[22:23] op_sel:[0,0,1] op_sel_hi:[1,1,0] neg_lo:[0,0,1] neg_hi:[0,0,1]
	v_pk_fma_f32 v[2:3], v[2:3], v[78:79], v[22:23] op_sel:[0,0,1] op_sel_hi:[1,0,0]
	v_pk_add_f32 v[20:21], v[20:21], v[80:81]
	v_mov_b32_e32 v25, v3
	v_pk_add_f32 v[2:3], v[20:21], v[24:25]
	v_mov_b32_e32 v20, v77
	v_pk_mul_f32 v[20:21], v[4:5], v[20:21] op_sel_hi:[1,0]
	v_pk_fma_f32 v[22:23], v[4:5], v[76:77], v[20:21] op_sel:[0,0,1] op_sel_hi:[1,1,0] neg_lo:[0,0,1] neg_hi:[0,0,1]
	v_pk_fma_f32 v[4:5], v[4:5], v[76:77], v[20:21] op_sel:[0,0,1] op_sel_hi:[1,0,0]
	v_mov_b32_e32 v4, v75
	v_mov_b32_e32 v23, v5
	s_waitcnt lgkmcnt(2)
	v_pk_mul_f32 v[4:5], v[6:7], v[4:5] op_sel_hi:[1,0]
	v_pk_fma_f32 v[20:21], v[6:7], v[74:75], v[4:5] op_sel:[0,0,1] op_sel_hi:[1,1,0] neg_lo:[0,0,1] neg_hi:[0,0,1]
	v_pk_fma_f32 v[4:5], v[6:7], v[74:75], v[4:5] op_sel:[0,0,1] op_sel_hi:[1,0,0]
	s_waitcnt vmcnt(3)
	v_mov_b32_e32 v4, v89
	v_mov_b32_e32 v21, v5
	v_pk_mul_f32 v[4:5], v[8:9], v[4:5] op_sel_hi:[1,0]
	s_waitcnt vmcnt(2)
	v_pk_fma_f32 v[6:7], v[8:9], v[88:89], v[4:5] op_sel:[0,0,1] op_sel_hi:[1,1,0] neg_lo:[0,0,1] neg_hi:[0,0,1]
	v_pk_fma_f32 v[4:5], v[8:9], v[88:89], v[4:5] op_sel:[0,0,1] op_sel_hi:[1,0,0]
	v_pk_add_f32 v[2:3], v[2:3], v[22:23]
	v_mov_b32_e32 v4, v87
	v_pk_add_f32 v[2:3], v[2:3], v[20:21]
	v_mov_b32_e32 v7, v5
	s_waitcnt lgkmcnt(1)
	v_pk_mul_f32 v[4:5], v[10:11], v[4:5] op_sel_hi:[1,0]
	v_pk_add_f32 v[2:3], v[2:3], v[6:7]
	v_pk_fma_f32 v[6:7], v[10:11], v[86:87], v[4:5] op_sel:[0,0,1] op_sel_hi:[1,1,0] neg_lo:[0,0,1] neg_hi:[0,0,1]
	v_pk_fma_f32 v[4:5], v[10:11], v[86:87], v[4:5] op_sel:[0,0,1] op_sel_hi:[1,0,0]
	v_mov_b32_e32 v4, v85
	v_mov_b32_e32 v7, v5
	v_pk_mul_f32 v[4:5], v[12:13], v[4:5] op_sel_hi:[1,0]
	v_pk_add_f32 v[2:3], v[2:3], v[6:7]
	v_pk_fma_f32 v[6:7], v[12:13], v[84:85], v[4:5] op_sel:[0,0,1] op_sel_hi:[1,1,0] neg_lo:[0,0,1] neg_hi:[0,0,1]
	v_pk_fma_f32 v[4:5], v[12:13], v[84:85], v[4:5] op_sel:[0,0,1] op_sel_hi:[1,0,0]
	v_mov_b32_e32 v4, v83
	v_mov_b32_e32 v7, v5
	s_waitcnt lgkmcnt(0)
	v_pk_mul_f32 v[4:5], v[14:15], v[4:5] op_sel_hi:[1,0]
	v_pk_add_f32 v[2:3], v[2:3], v[6:7]
	v_pk_fma_f32 v[6:7], v[14:15], v[82:83], v[4:5] op_sel:[0,0,1] op_sel_hi:[1,1,0] neg_lo:[0,0,1] neg_hi:[0,0,1]
	v_pk_fma_f32 v[4:5], v[14:15], v[82:83], v[4:5] op_sel:[0,0,1] op_sel_hi:[1,0,0]
	s_waitcnt vmcnt(1)
	v_mov_b32_e32 v4, v91
	v_mov_b32_e32 v7, v5
	v_pk_mul_f32 v[4:5], v[16:17], v[4:5] op_sel_hi:[1,0]
	v_pk_add_f32 v[2:3], v[2:3], v[6:7]
	s_waitcnt vmcnt(0)
	v_pk_fma_f32 v[6:7], v[16:17], v[90:91], v[4:5] op_sel:[0,0,1] op_sel_hi:[1,1,0] neg_lo:[0,0,1] neg_hi:[0,0,1]
	v_pk_fma_f32 v[4:5], v[16:17], v[90:91], v[4:5] op_sel:[0,0,1] op_sel_hi:[1,0,0]
	v_mov_b32_e32 v7, v5
	v_pk_add_f32 v[2:3], v[2:3], v[6:7]
	v_pk_add_f32 v[2:3], v[18:19], v[2:3] neg_lo:[0,1] neg_hi:[0,1]
	buffer_store_dword v3, off, s[0:3], 0 offset:84
	buffer_store_dword v2, off, s[0:3], 0 offset:80
	s_and_saveexec_b64 s[4:5], vcc
	s_cbranch_execz .LBB114_301
; %bb.300:
	buffer_load_dword v2, off, s[0:3], 0 offset:72
	buffer_load_dword v3, off, s[0:3], 0 offset:76
	v_mov_b32_e32 v1, 0
	buffer_store_dword v1, off, s[0:3], 0 offset:72
	buffer_store_dword v1, off, s[0:3], 0 offset:76
	s_waitcnt vmcnt(2)
	ds_write_b64 v121, v[2:3]
.LBB114_301:
	s_or_b64 exec, exec, s[4:5]
	v_mov_b32_e32 v196, 0
	s_waitcnt lgkmcnt(0)
	; wave barrier
	s_waitcnt lgkmcnt(0)
	ds_read_b128 v[14:17], v196 offset:496
	ds_read_b128 v[10:13], v196 offset:512
	;; [unrolled: 1-line block ×4, first 2 shown]
	buffer_load_dword v70, off, s[0:3], 0 offset:72
	buffer_load_dword v71, off, s[0:3], 0 offset:76
	;; [unrolled: 1-line block ×18, first 2 shown]
	v_cmp_lt_u32_e32 vcc, 8, v0
	s_waitcnt vmcnt(14) lgkmcnt(3)
	v_mul_f32_e32 v1, v14, v197
	v_fmac_f32_e32 v1, v15, v72
	s_waitcnt vmcnt(12)
	v_mul_f32_e32 v18, v16, v199
	v_add_f32_e32 v1, 0, v1
	v_fmac_f32_e32 v18, v17, v74
	v_add_f32_e32 v1, v1, v18
	s_waitcnt vmcnt(10) lgkmcnt(2)
	v_mul_f32_e32 v18, v10, v201
	v_fmac_f32_e32 v18, v11, v78
	v_add_f32_e32 v1, v1, v18
	s_waitcnt vmcnt(8)
	v_mul_f32_e32 v18, v12, v203
	v_fmac_f32_e32 v18, v13, v198
	v_add_f32_e32 v1, v1, v18
	s_waitcnt vmcnt(6) lgkmcnt(1)
	v_mul_f32_e32 v18, v6, v205
	v_fmac_f32_e32 v18, v7, v200
	v_add_f32_e32 v1, v1, v18
	s_waitcnt vmcnt(4)
	v_mul_f32_e32 v18, v8, v206
	;; [unrolled: 8-line block ×3, first 2 shown]
	v_fmac_f32_e32 v18, v5, v208
	v_add_f32_e32 v1, v1, v18
	ds_read_b128 v[18:21], v196 offset:560
	buffer_load_dword v210, off, s[0:3], 0 offset:144
	buffer_load_dword v211, off, s[0:3], 0 offset:148
	;; [unrolled: 1-line block ×4, first 2 shown]
	ds_read_b128 v[26:29], v196 offset:576
	buffer_load_dword v214, off, s[0:3], 0 offset:160
	buffer_load_dword v215, off, s[0:3], 0 offset:164
	v_mul_f32_e32 v15, v15, v197
	v_fma_f32 v14, v14, v72, -v15
	v_mul_f32_e32 v15, v17, v199
	v_add_f32_e32 v14, 0, v14
	v_fma_f32 v15, v16, v74, -v15
	v_mul_f32_e32 v11, v11, v201
	v_add_f32_e32 v14, v14, v15
	;; [unrolled: 3-line block ×7, first 2 shown]
	v_fma_f32 v3, v4, v208, -v3
	v_add_f32_e32 v2, v2, v3
	s_waitcnt vmcnt(4) lgkmcnt(1)
	v_mul_f32_e32 v22, v18, v211
	v_fmac_f32_e32 v22, v19, v210
	v_add_f32_e32 v1, v1, v22
	s_waitcnt vmcnt(2)
	v_mul_f32_e32 v22, v20, v213
	v_fmac_f32_e32 v22, v21, v212
	v_add_f32_e32 v1, v1, v22
	s_waitcnt vmcnt(0) lgkmcnt(0)
	v_mul_f32_e32 v22, v26, v215
	v_fmac_f32_e32 v22, v27, v214
	v_add_f32_e32 v22, v1, v22
	buffer_load_dword v1, off, s[0:3], 0 offset:168
	buffer_load_dword v86, off, s[0:3], 0 offset:172
	ds_read_b128 v[30:33], v196 offset:592
	buffer_load_dword v87, off, s[0:3], 0 offset:176
	buffer_load_dword v216, off, s[0:3], 0 offset:180
	buffer_load_dword v88, off, s[0:3], 0 offset:184
	buffer_load_dword v89, off, s[0:3], 0 offset:188
	ds_read_b128 v[34:37], v196 offset:608
	buffer_load_dword v217, off, s[0:3], 0 offset:192
	buffer_load_dword v218, off, s[0:3], 0 offset:196
	;; [unrolled: 5-line block ×10, first 2 shown]
	buffer_load_dword v233, off, s[0:3], 0 offset:328
	buffer_load_dword v234, off, s[0:3], 0 offset:332
	v_mul_f32_e32 v3, v19, v211
	v_fma_f32 v3, v18, v210, -v3
	v_add_f32_e32 v2, v2, v3
	v_mul_f32_e32 v3, v21, v213
	v_fma_f32 v3, v20, v212, -v3
	v_add_f32_e32 v2, v2, v3
	;; [unrolled: 3-line block ×3, first 2 shown]
	s_waitcnt vmcnt(40)
	v_mul_f32_e32 v23, v28, v86
	v_fmac_f32_e32 v23, v29, v1
	v_add_f32_e32 v22, v22, v23
	s_waitcnt vmcnt(38) lgkmcnt(9)
	v_mul_f32_e32 v23, v30, v216
	v_fmac_f32_e32 v23, v31, v87
	v_add_f32_e32 v22, v22, v23
	s_waitcnt vmcnt(36)
	v_mul_f32_e32 v23, v32, v89
	v_fmac_f32_e32 v23, v33, v88
	v_add_f32_e32 v22, v22, v23
	s_waitcnt vmcnt(34) lgkmcnt(8)
	v_mul_f32_e32 v23, v34, v218
	v_fmac_f32_e32 v23, v35, v217
	v_add_f32_e32 v22, v22, v23
	;; [unrolled: 8-line block ×10, first 2 shown]
	ds_read_b128 v[22:25], v196 offset:752
	buffer_load_dword v235, off, s[0:3], 0 offset:336
	buffer_load_dword v236, off, s[0:3], 0 offset:340
	buffer_load_dword v77, off, s[0:3], 0 offset:348
	buffer_load_dword v76, off, s[0:3], 0 offset:344
	buffer_load_dword v195, off, s[0:3], 0 offset:356
	buffer_load_dword v194, off, s[0:3], 0 offset:352
	buffer_load_dword v193, off, s[0:3], 0 offset:364
	buffer_load_dword v192, off, s[0:3], 0 offset:360
	buffer_load_dword v191, off, s[0:3], 0 offset:372
	buffer_load_dword v190, off, s[0:3], 0 offset:368
	buffer_load_dword v189, off, s[0:3], 0 offset:380
	buffer_load_dword v188, off, s[0:3], 0 offset:376
	buffer_load_dword v85, off, s[0:3], 0 offset:388
	buffer_load_dword v84, off, s[0:3], 0 offset:384
	buffer_load_dword v83, off, s[0:3], 0 offset:396
	buffer_load_dword v82, off, s[0:3], 0 offset:392
	buffer_load_dword v81, off, s[0:3], 0 offset:404
	buffer_load_dword v80, off, s[0:3], 0 offset:400
	v_mul_f32_e32 v3, v29, v86
	v_fma_f32 v1, v28, v1, -v3
	v_add_f32_e32 v1, v2, v1
	v_mul_f32_e32 v2, v31, v216
	v_fma_f32 v2, v30, v87, -v2
	v_add_f32_e32 v1, v1, v2
	;; [unrolled: 3-line block ×19, first 2 shown]
	v_mul_f32_e32 v2, v67, v232
	v_fma_f32 v2, v66, v231, -v2
	s_waitcnt vmcnt(18)
	v_mul_f32_e32 v75, v68, v234
	v_add_f32_e32 v72, v1, v2
	v_mul_f32_e32 v1, v69, v234
	v_fmac_f32_e32 v75, v69, v233
	v_fma_f32 v74, v68, v233, -v1
	s_waitcnt vmcnt(15)
	v_mov_b32_e32 v18, v77
	s_waitcnt lgkmcnt(0)
	v_pk_mul_f32 v[18:19], v[24:25], v[18:19] op_sel_hi:[1,0]
	ds_read_b128 v[2:5], v196 offset:768
	ds_read_b128 v[6:9], v196 offset:784
	;; [unrolled: 1-line block ×3, first 2 shown]
	ds_read_b64 v[14:15], v196 offset:816
	s_waitcnt vmcnt(14)
	v_pk_fma_f32 v[20:21], v[24:25], v[76:77], v[18:19] op_sel:[0,0,1] op_sel_hi:[1,1,0] neg_lo:[0,0,1] neg_hi:[0,0,1]
	v_pk_fma_f32 v[18:19], v[24:25], v[76:77], v[18:19] op_sel:[0,0,1] op_sel_hi:[1,0,0]
	v_pk_add_f32 v[16:17], v[72:73], v[74:75]
	s_waitcnt vmcnt(13)
	v_mov_b32_e32 v18, v195
	v_mov_b32_e32 v21, v19
	s_waitcnt lgkmcnt(3)
	v_pk_mul_f32 v[18:19], v[2:3], v[18:19] op_sel_hi:[1,0]
	v_mul_f32_e32 v79, v22, v236
	v_mul_f32_e32 v1, v23, v236
	v_fmac_f32_e32 v79, v23, v235
	v_fma_f32 v78, v22, v235, -v1
	v_pk_add_f32 v[16:17], v[16:17], v[78:79]
	v_pk_add_f32 v[16:17], v[16:17], v[20:21]
	s_waitcnt vmcnt(12)
	v_pk_fma_f32 v[20:21], v[2:3], v[194:195], v[18:19] op_sel:[0,0,1] op_sel_hi:[1,1,0] neg_lo:[0,0,1] neg_hi:[0,0,1]
	v_pk_fma_f32 v[2:3], v[2:3], v[194:195], v[18:19] op_sel:[0,0,1] op_sel_hi:[1,0,0]
	v_mov_b32_e32 v21, v3
	v_pk_add_f32 v[2:3], v[16:17], v[20:21]
	s_waitcnt vmcnt(11)
	v_mov_b32_e32 v16, v193
	v_pk_mul_f32 v[16:17], v[4:5], v[16:17] op_sel_hi:[1,0]
	s_waitcnt vmcnt(10)
	v_pk_fma_f32 v[18:19], v[4:5], v[192:193], v[16:17] op_sel:[0,0,1] op_sel_hi:[1,1,0] neg_lo:[0,0,1] neg_hi:[0,0,1]
	v_pk_fma_f32 v[4:5], v[4:5], v[192:193], v[16:17] op_sel:[0,0,1] op_sel_hi:[1,0,0]
	s_waitcnt vmcnt(9)
	v_mov_b32_e32 v4, v191
	v_mov_b32_e32 v19, v5
	s_waitcnt lgkmcnt(2)
	v_pk_mul_f32 v[4:5], v[6:7], v[4:5] op_sel_hi:[1,0]
	s_waitcnt vmcnt(8)
	v_pk_fma_f32 v[16:17], v[6:7], v[190:191], v[4:5] op_sel:[0,0,1] op_sel_hi:[1,1,0] neg_lo:[0,0,1] neg_hi:[0,0,1]
	v_pk_fma_f32 v[4:5], v[6:7], v[190:191], v[4:5] op_sel:[0,0,1] op_sel_hi:[1,0,0]
	s_waitcnt vmcnt(7)
	v_mov_b32_e32 v4, v189
	v_mov_b32_e32 v17, v5
	v_pk_mul_f32 v[4:5], v[8:9], v[4:5] op_sel_hi:[1,0]
	s_waitcnt vmcnt(6)
	v_pk_fma_f32 v[6:7], v[8:9], v[188:189], v[4:5] op_sel:[0,0,1] op_sel_hi:[1,1,0] neg_lo:[0,0,1] neg_hi:[0,0,1]
	v_pk_fma_f32 v[4:5], v[8:9], v[188:189], v[4:5] op_sel:[0,0,1] op_sel_hi:[1,0,0]
	v_pk_add_f32 v[2:3], v[2:3], v[18:19]
	s_waitcnt vmcnt(5)
	v_mov_b32_e32 v4, v85
	v_pk_add_f32 v[2:3], v[2:3], v[16:17]
	v_mov_b32_e32 v7, v5
	s_waitcnt lgkmcnt(1)
	v_pk_mul_f32 v[4:5], v[10:11], v[4:5] op_sel_hi:[1,0]
	v_pk_add_f32 v[2:3], v[2:3], v[6:7]
	s_waitcnt vmcnt(4)
	v_pk_fma_f32 v[6:7], v[10:11], v[84:85], v[4:5] op_sel:[0,0,1] op_sel_hi:[1,1,0] neg_lo:[0,0,1] neg_hi:[0,0,1]
	v_pk_fma_f32 v[4:5], v[10:11], v[84:85], v[4:5] op_sel:[0,0,1] op_sel_hi:[1,0,0]
	s_waitcnt vmcnt(3)
	v_mov_b32_e32 v4, v83
	v_mov_b32_e32 v7, v5
	v_pk_mul_f32 v[4:5], v[12:13], v[4:5] op_sel_hi:[1,0]
	v_pk_add_f32 v[2:3], v[2:3], v[6:7]
	s_waitcnt vmcnt(2)
	v_pk_fma_f32 v[6:7], v[12:13], v[82:83], v[4:5] op_sel:[0,0,1] op_sel_hi:[1,1,0] neg_lo:[0,0,1] neg_hi:[0,0,1]
	v_pk_fma_f32 v[4:5], v[12:13], v[82:83], v[4:5] op_sel:[0,0,1] op_sel_hi:[1,0,0]
	s_waitcnt vmcnt(1)
	v_mov_b32_e32 v4, v81
	v_mov_b32_e32 v7, v5
	s_waitcnt lgkmcnt(0)
	v_pk_mul_f32 v[4:5], v[14:15], v[4:5] op_sel_hi:[1,0]
	v_pk_add_f32 v[2:3], v[2:3], v[6:7]
	s_waitcnt vmcnt(0)
	v_pk_fma_f32 v[6:7], v[14:15], v[80:81], v[4:5] op_sel:[0,0,1] op_sel_hi:[1,1,0] neg_lo:[0,0,1] neg_hi:[0,0,1]
	v_pk_fma_f32 v[4:5], v[14:15], v[80:81], v[4:5] op_sel:[0,0,1] op_sel_hi:[1,0,0]
	v_mov_b32_e32 v7, v5
	v_pk_add_f32 v[2:3], v[2:3], v[6:7]
	v_pk_add_f32 v[2:3], v[70:71], v[2:3] neg_lo:[0,1] neg_hi:[0,1]
	buffer_store_dword v3, off, s[0:3], 0 offset:76
	buffer_store_dword v2, off, s[0:3], 0 offset:72
	s_and_saveexec_b64 s[4:5], vcc
	s_cbranch_execz .LBB114_303
; %bb.302:
	buffer_load_dword v2, off, s[0:3], 0 offset:64
	buffer_load_dword v3, off, s[0:3], 0 offset:68
	s_waitcnt vmcnt(0)
	ds_write_b64 v121, v[2:3]
	buffer_store_dword v196, off, s[0:3], 0 offset:64
	buffer_store_dword v196, off, s[0:3], 0 offset:68
.LBB114_303:
	s_or_b64 exec, exec, s[4:5]
	s_waitcnt lgkmcnt(0)
	; wave barrier
	s_waitcnt lgkmcnt(0)
	buffer_load_dword v1, off, s[0:3], 0 offset:76
	buffer_load_dword v78, off, s[0:3], 0 offset:84
	;; [unrolled: 1-line block ×24, first 2 shown]
	ds_read2_b64 v[22:25], v196 offset0:61 offset1:62
	ds_read2_b64 v[18:21], v196 offset0:63 offset1:64
	;; [unrolled: 1-line block ×4, first 2 shown]
	buffer_load_dword v197, off, s[0:3], 0 offset:160
	buffer_load_dword v198, off, s[0:3], 0 offset:164
	ds_read2_b64 v[10:13], v196 offset0:69 offset1:70
	ds_read2_b64 v[2:5], v196 offset0:71 offset1:72
	buffer_load_dword v199, off, s[0:3], 0 offset:168
	buffer_load_dword v200, off, s[0:3], 0 offset:172
	;; [unrolled: 1-line block ×44, first 2 shown]
	v_cmp_lt_u32_e32 vcc, 7, v0
	s_waitcnt vmcnt(62) lgkmcnt(5)
	v_mul_f32_e32 v28, v22, v1
	v_mul_f32_e32 v29, v24, v78
	s_waitcnt lgkmcnt(4)
	v_mul_f32_e32 v31, v20, v80
	s_waitcnt lgkmcnt(3)
	v_mul_f32_e32 v32, v14, v82
	v_mul_f32_e32 v33, v16, v98
	;; [unrolled: 1-line block ×3, first 2 shown]
	s_waitcnt lgkmcnt(2)
	v_mul_f32_e32 v34, v6, v100
	v_mul_f32_e32 v35, v8, v101
	s_waitcnt vmcnt(61)
	v_fmac_f32_e32 v30, v19, v102
	s_waitcnt vmcnt(60)
	v_fmac_f32_e32 v29, v25, v103
	;; [unrolled: 2-line block ×3, first 2 shown]
	v_add_f32_e32 v28, 0, v28
	v_add_f32_e32 v28, v28, v29
	;; [unrolled: 1-line block ×3, first 2 shown]
	s_waitcnt vmcnt(55)
	v_fmac_f32_e32 v31, v21, v188
	v_fmac_f32_e32 v32, v15, v107
	v_add_f32_e32 v28, v28, v31
	v_fmac_f32_e32 v33, v17, v106
	v_add_f32_e32 v28, v28, v32
	;; [unrolled: 2-line block ×3, first 2 shown]
	s_waitcnt vmcnt(51)
	v_fmac_f32_e32 v35, v9, v192
	v_add_f32_e32 v28, v28, v34
	s_waitcnt vmcnt(50) lgkmcnt(1)
	v_mul_f32_e32 v29, v10, v193
	v_add_f32_e32 v28, v28, v35
	v_fmac_f32_e32 v29, v11, v191
	v_add_f32_e32 v28, v28, v29
	s_waitcnt vmcnt(49)
	v_mul_f32_e32 v29, v12, v194
	v_fmac_f32_e32 v29, v13, v190
	v_add_f32_e32 v28, v28, v29
	s_waitcnt vmcnt(48) lgkmcnt(0)
	v_mul_f32_e32 v29, v2, v195
	v_fmac_f32_e32 v29, v3, v189
	v_add_f32_e32 v32, v28, v29
	ds_read2_b64 v[28:31], v196 offset0:73 offset1:74
	s_waitcnt vmcnt(44)
	v_mul_f32_e32 v33, v4, v198
	v_fmac_f32_e32 v33, v5, v197
	v_add_f32_e32 v36, v32, v33
	ds_read2_b64 v[32:35], v196 offset0:75 offset1:76
	s_waitcnt vmcnt(42) lgkmcnt(1)
	v_mul_f32_e32 v37, v28, v200
	v_fmac_f32_e32 v37, v29, v199
	v_add_f32_e32 v36, v36, v37
	s_waitcnt vmcnt(40)
	v_mul_f32_e32 v37, v30, v202
	v_fmac_f32_e32 v37, v31, v201
	v_add_f32_e32 v36, v36, v37
	s_waitcnt vmcnt(38) lgkmcnt(0)
	v_mul_f32_e32 v37, v32, v204
	v_fmac_f32_e32 v37, v33, v203
	v_add_f32_e32 v40, v36, v37
	ds_read2_b64 v[36:39], v196 offset0:77 offset1:78
	s_waitcnt vmcnt(36)
	v_mul_f32_e32 v41, v34, v206
	v_fmac_f32_e32 v41, v35, v205
	v_add_f32_e32 v44, v40, v41
	ds_read2_b64 v[40:43], v196 offset0:79 offset1:80
	s_waitcnt vmcnt(34) lgkmcnt(1)
	v_mul_f32_e32 v45, v36, v208
	;; [unrolled: 18-line block ×4, first 2 shown]
	v_fmac_f32_e32 v61, v53, v223
	v_add_f32_e32 v60, v60, v61
	s_waitcnt vmcnt(16)
	v_mul_f32_e32 v61, v54, v226
	v_fmac_f32_e32 v61, v55, v225
	v_add_f32_e32 v60, v60, v61
	s_waitcnt vmcnt(14) lgkmcnt(0)
	v_mul_f32_e32 v61, v56, v228
	v_fmac_f32_e32 v61, v57, v227
	v_add_f32_e32 v64, v60, v61
	ds_read2_b64 v[60:63], v196 offset0:89 offset1:90
	s_waitcnt vmcnt(12)
	v_mul_f32_e32 v65, v58, v230
	v_fmac_f32_e32 v65, v59, v229
	v_add_f32_e32 v68, v64, v65
	ds_read2_b64 v[64:67], v196 offset0:91 offset1:92
	buffer_load_dword v77, off, s[0:3], 0 offset:348
	buffer_load_dword v76, off, s[0:3], 0 offset:344
	s_waitcnt vmcnt(12) lgkmcnt(1)
	v_mul_f32_e32 v69, v60, v232
	v_fmac_f32_e32 v69, v61, v231
	v_add_f32_e32 v68, v68, v69
	s_waitcnt vmcnt(10)
	v_mul_f32_e32 v69, v62, v234
	v_fmac_f32_e32 v69, v63, v233
	v_add_f32_e32 v68, v68, v69
	s_waitcnt vmcnt(8) lgkmcnt(0)
	v_mul_f32_e32 v69, v64, v236
	v_fmac_f32_e32 v69, v65, v235
	s_waitcnt vmcnt(6)
	v_mul_f32_e32 v73, v66, v238
	v_add_f32_e32 v72, v68, v69
	v_fmac_f32_e32 v73, v67, v237
	ds_read2_b64 v[68:71], v196 offset0:93 offset1:94
	v_add_f32_e32 v79, v72, v73
	ds_read2_b64 v[72:75], v196 offset0:95 offset1:96
	buffer_load_dword v85, off, s[0:3], 0 offset:380
	buffer_load_dword v84, off, s[0:3], 0 offset:376
	;; [unrolled: 1-line block ×14, first 2 shown]
	v_mul_f32_e32 v1, v23, v1
	v_fma_f32 v1, v22, v104, -v1
	v_mul_f32_e32 v22, v25, v78
	v_add_f32_e32 v1, 0, v1
	v_fma_f32 v22, v24, v103, -v22
	v_mul_f32_e32 v19, v19, v99
	v_add_f32_e32 v1, v1, v22
	v_fma_f32 v18, v18, v102, -v19
	v_add_f32_e32 v1, v1, v18
	v_mul_f32_e32 v18, v21, v80
	v_fma_f32 v18, v20, v188, -v18
	v_mul_f32_e32 v15, v15, v82
	v_add_f32_e32 v1, v1, v18
	v_fma_f32 v14, v14, v107, -v15
	v_add_f32_e32 v1, v1, v14
	v_mul_f32_e32 v14, v17, v98
	;; [unrolled: 6-line block ×3, first 2 shown]
	v_fma_f32 v6, v8, v192, -v6
	v_add_f32_e32 v1, v1, v6
	v_mul_f32_e32 v6, v11, v193
	v_fma_f32 v6, v10, v191, -v6
	v_add_f32_e32 v1, v1, v6
	v_mul_f32_e32 v6, v13, v194
	v_fma_f32 v6, v12, v190, -v6
	v_mul_f32_e32 v3, v3, v195
	v_add_f32_e32 v1, v1, v6
	v_fma_f32 v2, v2, v189, -v3
	v_add_f32_e32 v1, v1, v2
	v_mul_f32_e32 v2, v5, v198
	v_fma_f32 v2, v4, v197, -v2
	v_add_f32_e32 v1, v1, v2
	v_mul_f32_e32 v2, v29, v200
	;; [unrolled: 3-line block ×21, first 2 shown]
	v_fma_f32 v2, v66, v237, -v2
	s_waitcnt vmcnt(15)
	v_mov_b32_e32 v16, v77
	s_waitcnt lgkmcnt(1)
	v_mul_f32_e32 v81, v68, v240
	v_add_f32_e32 v78, v1, v2
	v_mul_f32_e32 v1, v69, v240
	s_waitcnt lgkmcnt(0)
	v_pk_mul_f32 v[16:17], v[72:73], v[16:17] op_sel_hi:[1,0]
	v_fmac_f32_e32 v81, v69, v239
	v_mul_f32_e32 v83, v70, v242
	v_fma_f32 v80, v68, v239, -v1
	v_mul_f32_e32 v1, v71, v242
	s_waitcnt vmcnt(14)
	v_pk_fma_f32 v[18:19], v[72:73], v[76:77], v[16:17] op_sel:[0,0,1] op_sel_hi:[1,1,0] neg_lo:[0,0,1] neg_hi:[0,0,1]
	v_pk_fma_f32 v[16:17], v[72:73], v[76:77], v[16:17] op_sel:[0,0,1] op_sel_hi:[1,0,0]
	v_fmac_f32_e32 v83, v71, v241
	v_fma_f32 v82, v70, v241, -v1
	v_pk_add_f32 v[14:15], v[78:79], v[80:81]
	s_waitcnt vmcnt(7)
	v_mov_b32_e32 v16, v91
	ds_read2_b64 v[2:5], v196 offset0:97 offset1:98
	ds_read2_b64 v[6:9], v196 offset0:99 offset1:100
	;; [unrolled: 1-line block ×3, first 2 shown]
	v_pk_add_f32 v[14:15], v[14:15], v[82:83]
	v_mov_b32_e32 v19, v17
	v_pk_mul_f32 v[16:17], v[74:75], v[16:17] op_sel_hi:[1,0]
	v_pk_add_f32 v[14:15], v[14:15], v[18:19]
	s_waitcnt vmcnt(6)
	v_pk_fma_f32 v[18:19], v[74:75], v[90:91], v[16:17] op_sel:[0,0,1] op_sel_hi:[1,1,0] neg_lo:[0,0,1] neg_hi:[0,0,1]
	v_pk_fma_f32 v[16:17], v[74:75], v[90:91], v[16:17] op_sel:[0,0,1] op_sel_hi:[1,0,0]
	v_mov_b32_e32 v16, v89
	v_mov_b32_e32 v19, v17
	s_waitcnt lgkmcnt(2)
	v_pk_mul_f32 v[16:17], v[2:3], v[16:17] op_sel_hi:[1,0]
	v_pk_add_f32 v[14:15], v[14:15], v[18:19]
	v_pk_fma_f32 v[18:19], v[2:3], v[88:89], v[16:17] op_sel:[0,0,1] op_sel_hi:[1,1,0] neg_lo:[0,0,1] neg_hi:[0,0,1]
	v_pk_fma_f32 v[2:3], v[2:3], v[88:89], v[16:17] op_sel:[0,0,1] op_sel_hi:[1,0,0]
	v_mov_b32_e32 v19, v3
	v_pk_add_f32 v[2:3], v[14:15], v[18:19]
	v_mov_b32_e32 v14, v87
	v_pk_mul_f32 v[14:15], v[4:5], v[14:15] op_sel_hi:[1,0]
	v_pk_fma_f32 v[16:17], v[4:5], v[86:87], v[14:15] op_sel:[0,0,1] op_sel_hi:[1,1,0] neg_lo:[0,0,1] neg_hi:[0,0,1]
	v_pk_fma_f32 v[4:5], v[4:5], v[86:87], v[14:15] op_sel:[0,0,1] op_sel_hi:[1,0,0]
	v_mov_b32_e32 v4, v85
	v_mov_b32_e32 v17, v5
	s_waitcnt lgkmcnt(1)
	v_pk_mul_f32 v[4:5], v[6:7], v[4:5] op_sel_hi:[1,0]
	v_pk_fma_f32 v[14:15], v[6:7], v[84:85], v[4:5] op_sel:[0,0,1] op_sel_hi:[1,1,0] neg_lo:[0,0,1] neg_hi:[0,0,1]
	v_pk_fma_f32 v[4:5], v[6:7], v[84:85], v[4:5] op_sel:[0,0,1] op_sel_hi:[1,0,0]
	s_waitcnt vmcnt(1)
	v_mov_b32_e32 v4, v97
	v_mov_b32_e32 v15, v5
	v_pk_mul_f32 v[4:5], v[8:9], v[4:5] op_sel_hi:[1,0]
	s_waitcnt vmcnt(0)
	v_pk_fma_f32 v[6:7], v[8:9], v[96:97], v[4:5] op_sel:[0,0,1] op_sel_hi:[1,1,0] neg_lo:[0,0,1] neg_hi:[0,0,1]
	v_pk_fma_f32 v[4:5], v[8:9], v[96:97], v[4:5] op_sel:[0,0,1] op_sel_hi:[1,0,0]
	v_pk_add_f32 v[2:3], v[2:3], v[16:17]
	v_mov_b32_e32 v4, v95
	v_pk_add_f32 v[2:3], v[2:3], v[14:15]
	v_mov_b32_e32 v7, v5
	s_waitcnt lgkmcnt(0)
	v_pk_mul_f32 v[4:5], v[10:11], v[4:5] op_sel_hi:[1,0]
	v_pk_add_f32 v[2:3], v[2:3], v[6:7]
	v_pk_fma_f32 v[6:7], v[10:11], v[94:95], v[4:5] op_sel:[0,0,1] op_sel_hi:[1,1,0] neg_lo:[0,0,1] neg_hi:[0,0,1]
	v_pk_fma_f32 v[4:5], v[10:11], v[94:95], v[4:5] op_sel:[0,0,1] op_sel_hi:[1,0,0]
	v_mov_b32_e32 v4, v93
	v_mov_b32_e32 v7, v5
	v_pk_mul_f32 v[4:5], v[12:13], v[4:5] op_sel_hi:[1,0]
	v_pk_add_f32 v[2:3], v[2:3], v[6:7]
	v_pk_fma_f32 v[6:7], v[12:13], v[92:93], v[4:5] op_sel:[0,0,1] op_sel_hi:[1,1,0] neg_lo:[0,0,1] neg_hi:[0,0,1]
	v_pk_fma_f32 v[4:5], v[12:13], v[92:93], v[4:5] op_sel:[0,0,1] op_sel_hi:[1,0,0]
	v_mov_b32_e32 v7, v5
	v_pk_add_f32 v[2:3], v[2:3], v[6:7]
	v_pk_add_f32 v[2:3], v[26:27], v[2:3] neg_lo:[0,1] neg_hi:[0,1]
	buffer_store_dword v3, off, s[0:3], 0 offset:68
	buffer_store_dword v2, off, s[0:3], 0 offset:64
	s_and_saveexec_b64 s[4:5], vcc
	s_cbranch_execz .LBB114_305
; %bb.304:
	buffer_load_dword v2, off, s[0:3], 0 offset:56
	buffer_load_dword v3, off, s[0:3], 0 offset:60
	v_mov_b32_e32 v1, 0
	buffer_store_dword v1, off, s[0:3], 0 offset:56
	buffer_store_dword v1, off, s[0:3], 0 offset:60
	s_waitcnt vmcnt(2)
	ds_write_b64 v121, v[2:3]
.LBB114_305:
	s_or_b64 exec, exec, s[4:5]
	s_waitcnt lgkmcnt(0)
	; wave barrier
	s_waitcnt lgkmcnt(0)
	buffer_load_dword v1, off, s[0:3], 0 offset:68
	buffer_load_dword v29, off, s[0:3], 0 offset:76
	;; [unrolled: 1-line block ×56, first 2 shown]
	v_mov_b32_e32 v28, 0
	ds_read_b128 v[4:7], v28 offset:480
	ds_read_b128 v[8:11], v28 offset:496
	;; [unrolled: 1-line block ×6, first 2 shown]
	buffer_load_dword v229, off, s[0:3], 0 offset:280
	buffer_load_dword v230, off, s[0:3], 0 offset:284
	;; [unrolled: 1-line block ×16, first 2 shown]
	v_cmp_lt_u32_e32 vcc, 6, v0
	s_waitcnt vmcnt(62) lgkmcnt(5)
	v_mul_f32_e32 v30, v4, v1
	v_mul_f32_e32 v31, v6, v29
	s_waitcnt lgkmcnt(4)
	v_mul_f32_e32 v33, v10, v78
	s_waitcnt lgkmcnt(3)
	v_mul_f32_e32 v34, v12, v80
	v_mul_f32_e32 v35, v14, v82
	;; [unrolled: 1-line block ×3, first 2 shown]
	s_waitcnt lgkmcnt(2)
	v_mul_f32_e32 v36, v16, v101
	v_mul_f32_e32 v37, v18, v102
	s_waitcnt lgkmcnt(1)
	v_mul_f32_e32 v38, v20, v103
	v_fmac_f32_e32 v32, v9, v104
	s_waitcnt vmcnt(61)
	v_fmac_f32_e32 v31, v7, v105
	s_waitcnt vmcnt(60)
	v_fmac_f32_e32 v30, v5, v106
	v_add_f32_e32 v30, 0, v30
	v_add_f32_e32 v30, v30, v31
	;; [unrolled: 1-line block ×3, first 2 shown]
	s_waitcnt vmcnt(56)
	v_fmac_f32_e32 v33, v11, v190
	v_fmac_f32_e32 v34, v13, v189
	v_add_f32_e32 v30, v30, v33
	v_fmac_f32_e32 v35, v15, v188
	v_add_f32_e32 v30, v30, v34
	;; [unrolled: 2-line block ×3, first 2 shown]
	s_waitcnt vmcnt(52)
	v_fmac_f32_e32 v37, v19, v194
	v_add_f32_e32 v30, v30, v36
	v_add_f32_e32 v30, v30, v37
	v_fmac_f32_e32 v38, v21, v193
	s_waitcnt vmcnt(51)
	v_mul_f32_e32 v31, v22, v195
	v_add_f32_e32 v30, v30, v38
	v_fmac_f32_e32 v31, v23, v192
	v_add_f32_e32 v30, v30, v31
	s_waitcnt vmcnt(50) lgkmcnt(0)
	v_mul_f32_e32 v31, v24, v196
	v_fmac_f32_e32 v31, v25, v191
	v_add_f32_e32 v34, v30, v31
	ds_read_b128 v[30:33], v28 offset:576
	s_waitcnt vmcnt(46)
	v_mul_f32_e32 v35, v26, v198
	v_fmac_f32_e32 v35, v27, v197
	v_add_f32_e32 v38, v34, v35
	ds_read_b128 v[34:37], v28 offset:592
	s_waitcnt vmcnt(44) lgkmcnt(1)
	v_mul_f32_e32 v39, v30, v200
	v_fmac_f32_e32 v39, v31, v199
	v_add_f32_e32 v38, v38, v39
	s_waitcnt vmcnt(42)
	v_mul_f32_e32 v39, v32, v202
	v_fmac_f32_e32 v39, v33, v201
	v_add_f32_e32 v38, v38, v39
	s_waitcnt vmcnt(40) lgkmcnt(0)
	v_mul_f32_e32 v39, v34, v204
	v_fmac_f32_e32 v39, v35, v203
	v_add_f32_e32 v42, v38, v39
	ds_read_b128 v[38:41], v28 offset:608
	s_waitcnt vmcnt(38)
	v_mul_f32_e32 v43, v36, v206
	v_fmac_f32_e32 v43, v37, v205
	v_add_f32_e32 v46, v42, v43
	ds_read_b128 v[42:45], v28 offset:624
	s_waitcnt vmcnt(36) lgkmcnt(1)
	v_mul_f32_e32 v47, v38, v208
	v_fmac_f32_e32 v47, v39, v207
	v_add_f32_e32 v46, v46, v47
	s_waitcnt vmcnt(34)
	v_mul_f32_e32 v47, v40, v210
	v_fmac_f32_e32 v47, v41, v209
	v_add_f32_e32 v46, v46, v47
	s_waitcnt vmcnt(32) lgkmcnt(0)
	v_mul_f32_e32 v47, v42, v212
	v_fmac_f32_e32 v47, v43, v211
	v_add_f32_e32 v50, v46, v47
	ds_read_b128 v[46:49], v28 offset:640
	s_waitcnt vmcnt(30)
	v_mul_f32_e32 v51, v44, v214
	v_fmac_f32_e32 v51, v45, v213
	v_add_f32_e32 v54, v50, v51
	ds_read_b128 v[50:53], v28 offset:656
	s_waitcnt vmcnt(28) lgkmcnt(1)
	v_mul_f32_e32 v55, v46, v216
	v_fmac_f32_e32 v55, v47, v215
	v_add_f32_e32 v54, v54, v55
	s_waitcnt vmcnt(26)
	v_mul_f32_e32 v55, v48, v218
	v_fmac_f32_e32 v55, v49, v217
	v_add_f32_e32 v54, v54, v55
	s_waitcnt vmcnt(24) lgkmcnt(0)
	v_mul_f32_e32 v55, v50, v220
	v_fmac_f32_e32 v55, v51, v219
	v_add_f32_e32 v58, v54, v55
	ds_read_b128 v[54:57], v28 offset:672
	s_waitcnt vmcnt(22)
	v_mul_f32_e32 v59, v52, v222
	v_fmac_f32_e32 v59, v53, v221
	v_add_f32_e32 v62, v58, v59
	ds_read_b128 v[58:61], v28 offset:688
	s_waitcnt vmcnt(20) lgkmcnt(1)
	v_mul_f32_e32 v63, v54, v224
	v_fmac_f32_e32 v63, v55, v223
	v_add_f32_e32 v62, v62, v63
	s_waitcnt vmcnt(18)
	v_mul_f32_e32 v63, v56, v226
	v_fmac_f32_e32 v63, v57, v225
	v_add_f32_e32 v62, v62, v63
	s_waitcnt vmcnt(16) lgkmcnt(0)
	v_mul_f32_e32 v63, v58, v228
	v_fmac_f32_e32 v63, v59, v227
	v_add_f32_e32 v66, v62, v63
	ds_read_b128 v[62:65], v28 offset:704
	s_waitcnt vmcnt(14)
	v_mul_f32_e32 v67, v60, v230
	v_fmac_f32_e32 v67, v61, v229
	v_add_f32_e32 v70, v66, v67
	ds_read_b128 v[66:69], v28 offset:720
	s_waitcnt vmcnt(12) lgkmcnt(1)
	v_mul_f32_e32 v71, v62, v232
	v_fmac_f32_e32 v71, v63, v231
	v_add_f32_e32 v70, v70, v71
	s_waitcnt vmcnt(10)
	v_mul_f32_e32 v71, v64, v234
	v_fmac_f32_e32 v71, v65, v233
	v_add_f32_e32 v70, v70, v71
	s_waitcnt vmcnt(8) lgkmcnt(0)
	v_mul_f32_e32 v71, v66, v236
	v_fmac_f32_e32 v71, v67, v235
	s_waitcnt vmcnt(6)
	v_mul_f32_e32 v75, v68, v238
	v_add_f32_e32 v74, v70, v71
	v_fmac_f32_e32 v75, v69, v237
	ds_read_b128 v[70:73], v28 offset:736
	v_add_f32_e32 v79, v74, v75
	ds_read_b128 v[74:77], v28 offset:752
	buffer_load_dword v85, off, s[0:3], 0 offset:372
	buffer_load_dword v84, off, s[0:3], 0 offset:368
	;; [unrolled: 1-line block ×16, first 2 shown]
	v_mul_f32_e32 v1, v5, v1
	v_fma_f32 v1, v4, v106, -v1
	v_mul_f32_e32 v4, v7, v29
	v_add_f32_e32 v1, 0, v1
	v_fma_f32 v4, v6, v105, -v4
	v_add_f32_e32 v1, v1, v4
	v_mul_f32_e32 v4, v9, v100
	v_fma_f32 v4, v8, v104, -v4
	v_add_f32_e32 v1, v1, v4
	v_mul_f32_e32 v4, v11, v78
	;; [unrolled: 3-line block ×30, first 2 shown]
	v_fma_f32 v4, v68, v237, -v4
	s_waitcnt vmcnt(20) lgkmcnt(1)
	v_mul_f32_e32 v81, v70, v240
	v_add_f32_e32 v1, v1, v4
	v_mul_f32_e32 v4, v71, v240
	v_fmac_f32_e32 v81, v71, v239
	v_fma_f32 v4, v70, v239, -v4
	s_waitcnt vmcnt(9)
	v_mov_b32_e32 v20, v91
	v_add_f32_e32 v79, v79, v81
	v_mul_f32_e32 v81, v72, v242
	v_add_f32_e32 v78, v1, v4
	v_mul_f32_e32 v1, v73, v242
	s_waitcnt lgkmcnt(0)
	v_pk_mul_f32 v[20:21], v[76:77], v[20:21] op_sel_hi:[1,0]
	v_fmac_f32_e32 v81, v73, v241
	v_mul_f32_e32 v83, v74, v244
	v_fma_f32 v80, v72, v241, -v1
	v_mul_f32_e32 v1, v75, v244
	ds_read_b128 v[4:7], v28 offset:768
	ds_read_b128 v[8:11], v28 offset:784
	;; [unrolled: 1-line block ×3, first 2 shown]
	ds_read_b64 v[16:17], v28 offset:816
	s_waitcnt vmcnt(8)
	v_pk_fma_f32 v[22:23], v[76:77], v[90:91], v[20:21] op_sel:[0,0,1] op_sel_hi:[1,1,0] neg_lo:[0,0,1] neg_hi:[0,0,1]
	v_pk_fma_f32 v[20:21], v[76:77], v[90:91], v[20:21] op_sel:[0,0,1] op_sel_hi:[1,0,0]
	v_fmac_f32_e32 v83, v75, v243
	v_fma_f32 v82, v74, v243, -v1
	v_pk_add_f32 v[18:19], v[78:79], v[80:81]
	v_mov_b32_e32 v20, v89
	v_pk_add_f32 v[18:19], v[18:19], v[82:83]
	v_mov_b32_e32 v23, v21
	s_waitcnt lgkmcnt(3)
	v_pk_mul_f32 v[20:21], v[4:5], v[20:21] op_sel_hi:[1,0]
	v_pk_add_f32 v[18:19], v[18:19], v[22:23]
	v_pk_fma_f32 v[22:23], v[4:5], v[88:89], v[20:21] op_sel:[0,0,1] op_sel_hi:[1,1,0] neg_lo:[0,0,1] neg_hi:[0,0,1]
	v_pk_fma_f32 v[4:5], v[4:5], v[88:89], v[20:21] op_sel:[0,0,1] op_sel_hi:[1,0,0]
	v_mov_b32_e32 v23, v5
	v_pk_add_f32 v[4:5], v[18:19], v[22:23]
	v_mov_b32_e32 v18, v87
	v_pk_mul_f32 v[18:19], v[6:7], v[18:19] op_sel_hi:[1,0]
	v_pk_fma_f32 v[20:21], v[6:7], v[86:87], v[18:19] op_sel:[0,0,1] op_sel_hi:[1,1,0] neg_lo:[0,0,1] neg_hi:[0,0,1]
	v_pk_fma_f32 v[6:7], v[6:7], v[86:87], v[18:19] op_sel:[0,0,1] op_sel_hi:[1,0,0]
	v_mov_b32_e32 v6, v85
	v_mov_b32_e32 v21, v7
	s_waitcnt lgkmcnt(2)
	v_pk_mul_f32 v[6:7], v[8:9], v[6:7] op_sel_hi:[1,0]
	v_pk_fma_f32 v[18:19], v[8:9], v[84:85], v[6:7] op_sel:[0,0,1] op_sel_hi:[1,1,0] neg_lo:[0,0,1] neg_hi:[0,0,1]
	v_pk_fma_f32 v[6:7], v[8:9], v[84:85], v[6:7] op_sel:[0,0,1] op_sel_hi:[1,0,0]
	s_waitcnt vmcnt(1)
	v_mov_b32_e32 v6, v99
	v_mov_b32_e32 v19, v7
	v_pk_mul_f32 v[6:7], v[10:11], v[6:7] op_sel_hi:[1,0]
	s_waitcnt vmcnt(0)
	v_pk_fma_f32 v[8:9], v[10:11], v[98:99], v[6:7] op_sel:[0,0,1] op_sel_hi:[1,1,0] neg_lo:[0,0,1] neg_hi:[0,0,1]
	v_pk_fma_f32 v[6:7], v[10:11], v[98:99], v[6:7] op_sel:[0,0,1] op_sel_hi:[1,0,0]
	v_pk_add_f32 v[4:5], v[4:5], v[20:21]
	v_mov_b32_e32 v6, v97
	v_pk_add_f32 v[4:5], v[4:5], v[18:19]
	v_mov_b32_e32 v9, v7
	s_waitcnt lgkmcnt(1)
	v_pk_mul_f32 v[6:7], v[12:13], v[6:7] op_sel_hi:[1,0]
	v_pk_add_f32 v[4:5], v[4:5], v[8:9]
	v_pk_fma_f32 v[8:9], v[12:13], v[96:97], v[6:7] op_sel:[0,0,1] op_sel_hi:[1,1,0] neg_lo:[0,0,1] neg_hi:[0,0,1]
	v_pk_fma_f32 v[6:7], v[12:13], v[96:97], v[6:7] op_sel:[0,0,1] op_sel_hi:[1,0,0]
	v_mov_b32_e32 v6, v95
	v_mov_b32_e32 v9, v7
	v_pk_mul_f32 v[6:7], v[14:15], v[6:7] op_sel_hi:[1,0]
	v_pk_add_f32 v[4:5], v[4:5], v[8:9]
	v_pk_fma_f32 v[8:9], v[14:15], v[94:95], v[6:7] op_sel:[0,0,1] op_sel_hi:[1,1,0] neg_lo:[0,0,1] neg_hi:[0,0,1]
	v_pk_fma_f32 v[6:7], v[14:15], v[94:95], v[6:7] op_sel:[0,0,1] op_sel_hi:[1,0,0]
	v_mov_b32_e32 v6, v93
	v_mov_b32_e32 v9, v7
	s_waitcnt lgkmcnt(0)
	v_pk_mul_f32 v[6:7], v[16:17], v[6:7] op_sel_hi:[1,0]
	v_pk_add_f32 v[4:5], v[4:5], v[8:9]
	v_pk_fma_f32 v[8:9], v[16:17], v[92:93], v[6:7] op_sel:[0,0,1] op_sel_hi:[1,1,0] neg_lo:[0,0,1] neg_hi:[0,0,1]
	v_pk_fma_f32 v[6:7], v[16:17], v[92:93], v[6:7] op_sel:[0,0,1] op_sel_hi:[1,0,0]
	v_mov_b32_e32 v9, v7
	v_pk_add_f32 v[4:5], v[4:5], v[8:9]
	v_pk_add_f32 v[2:3], v[2:3], v[4:5] neg_lo:[0,1] neg_hi:[0,1]
	buffer_store_dword v3, off, s[0:3], 0 offset:60
	buffer_store_dword v2, off, s[0:3], 0 offset:56
	s_and_saveexec_b64 s[4:5], vcc
	s_cbranch_execz .LBB114_307
; %bb.306:
	buffer_load_dword v2, off, s[0:3], 0 offset:48
	buffer_load_dword v3, off, s[0:3], 0 offset:52
	s_waitcnt vmcnt(0)
	ds_write_b64 v121, v[2:3]
	buffer_store_dword v28, off, s[0:3], 0 offset:48
	buffer_store_dword v28, off, s[0:3], 0 offset:52
.LBB114_307:
	s_or_b64 exec, exec, s[4:5]
	s_waitcnt lgkmcnt(0)
	; wave barrier
	s_waitcnt lgkmcnt(0)
	buffer_load_dword v1, off, s[0:3], 0 offset:60
	buffer_load_dword v29, off, s[0:3], 0 offset:68
	;; [unrolled: 1-line block ×26, first 2 shown]
	ds_read2_b64 v[22:25], v28 offset0:59 offset1:60
	ds_read2_b64 v[18:21], v28 offset0:61 offset1:62
	;; [unrolled: 1-line block ×6, first 2 shown]
	buffer_load_dword v199, off, s[0:3], 0 offset:152
	buffer_load_dword v200, off, s[0:3], 0 offset:156
	;; [unrolled: 1-line block ×42, first 2 shown]
	v_cmp_lt_u32_e32 vcc, 5, v0
	s_waitcnt vmcnt(62) lgkmcnt(5)
	v_mul_f32_e32 v30, v22, v1
	v_mul_f32_e32 v31, v24, v29
	s_waitcnt lgkmcnt(4)
	v_mul_f32_e32 v33, v20, v78
	s_waitcnt lgkmcnt(3)
	v_mul_f32_e32 v34, v14, v80
	v_mul_f32_e32 v35, v16, v88
	;; [unrolled: 1-line block ×3, first 2 shown]
	s_waitcnt vmcnt(61) lgkmcnt(2)
	v_mul_f32_e32 v36, v10, v101
	s_waitcnt vmcnt(60)
	v_mul_f32_e32 v37, v12, v102
	s_waitcnt vmcnt(59) lgkmcnt(1)
	v_mul_f32_e32 v38, v6, v103
	s_waitcnt vmcnt(58)
	v_fmac_f32_e32 v32, v19, v104
	s_waitcnt vmcnt(57)
	v_fmac_f32_e32 v31, v25, v105
	;; [unrolled: 2-line block ×3, first 2 shown]
	v_add_f32_e32 v30, 0, v30
	v_add_f32_e32 v30, v30, v31
	;; [unrolled: 1-line block ×3, first 2 shown]
	s_waitcnt vmcnt(52)
	v_fmac_f32_e32 v33, v21, v190
	v_fmac_f32_e32 v34, v15, v189
	v_add_f32_e32 v30, v30, v33
	v_fmac_f32_e32 v35, v17, v188
	v_add_f32_e32 v30, v30, v34
	;; [unrolled: 2-line block ×3, first 2 shown]
	s_waitcnt vmcnt(48)
	v_fmac_f32_e32 v37, v13, v194
	v_add_f32_e32 v30, v30, v36
	v_fmac_f32_e32 v38, v7, v193
	v_add_f32_e32 v30, v30, v37
	s_waitcnt vmcnt(47)
	v_mul_f32_e32 v31, v8, v195
	v_add_f32_e32 v30, v30, v38
	v_fmac_f32_e32 v31, v9, v192
	v_add_f32_e32 v30, v30, v31
	s_waitcnt vmcnt(46) lgkmcnt(0)
	v_mul_f32_e32 v31, v2, v196
	v_fmac_f32_e32 v31, v3, v191
	v_add_f32_e32 v34, v30, v31
	ds_read2_b64 v[30:33], v28 offset0:71 offset1:72
	s_waitcnt vmcnt(42)
	v_mul_f32_e32 v35, v4, v198
	v_fmac_f32_e32 v35, v5, v197
	buffer_load_dword v241, off, s[0:3], 0 offset:320
	buffer_load_dword v242, off, s[0:3], 0 offset:324
	v_add_f32_e32 v38, v34, v35
	buffer_load_dword v243, off, s[0:3], 0 offset:328
	buffer_load_dword v244, off, s[0:3], 0 offset:332
	ds_read2_b64 v[34:37], v28 offset0:73 offset1:74
	s_waitcnt vmcnt(44) lgkmcnt(1)
	v_mul_f32_e32 v39, v30, v200
	v_fmac_f32_e32 v39, v31, v199
	v_add_f32_e32 v38, v38, v39
	s_waitcnt vmcnt(42)
	v_mul_f32_e32 v39, v32, v202
	v_fmac_f32_e32 v39, v33, v201
	v_add_f32_e32 v38, v38, v39
	s_waitcnt vmcnt(40) lgkmcnt(0)
	v_mul_f32_e32 v39, v34, v204
	v_fmac_f32_e32 v39, v35, v203
	buffer_load_dword v245, off, s[0:3], 0 offset:336
	buffer_load_dword v246, off, s[0:3], 0 offset:340
	v_add_f32_e32 v42, v38, v39
	ds_read2_b64 v[38:41], v28 offset0:75 offset1:76
	s_waitcnt vmcnt(40)
	v_mul_f32_e32 v43, v36, v206
	v_fmac_f32_e32 v43, v37, v205
	v_add_f32_e32 v46, v42, v43
	ds_read2_b64 v[42:45], v28 offset0:77 offset1:78
	s_waitcnt vmcnt(38) lgkmcnt(1)
	v_mul_f32_e32 v47, v38, v208
	v_fmac_f32_e32 v47, v39, v207
	v_add_f32_e32 v46, v46, v47
	s_waitcnt vmcnt(36)
	v_mul_f32_e32 v47, v40, v210
	v_fmac_f32_e32 v47, v41, v209
	v_add_f32_e32 v46, v46, v47
	s_waitcnt vmcnt(34) lgkmcnt(0)
	v_mul_f32_e32 v47, v42, v212
	v_fmac_f32_e32 v47, v43, v211
	v_add_f32_e32 v50, v46, v47
	ds_read2_b64 v[46:49], v28 offset0:79 offset1:80
	s_waitcnt vmcnt(32)
	v_mul_f32_e32 v51, v44, v214
	v_fmac_f32_e32 v51, v45, v213
	v_add_f32_e32 v54, v50, v51
	ds_read2_b64 v[50:53], v28 offset0:81 offset1:82
	s_waitcnt vmcnt(30) lgkmcnt(1)
	v_mul_f32_e32 v55, v46, v216
	v_fmac_f32_e32 v55, v47, v215
	v_add_f32_e32 v54, v54, v55
	s_waitcnt vmcnt(28)
	v_mul_f32_e32 v55, v48, v218
	v_fmac_f32_e32 v55, v49, v217
	v_add_f32_e32 v54, v54, v55
	s_waitcnt vmcnt(26) lgkmcnt(0)
	v_mul_f32_e32 v55, v50, v220
	v_fmac_f32_e32 v55, v51, v219
	;; [unrolled: 18-line block ×4, first 2 shown]
	s_waitcnt vmcnt(8)
	v_mul_f32_e32 v75, v68, v238
	v_add_f32_e32 v74, v70, v71
	v_fmac_f32_e32 v75, v69, v237
	ds_read2_b64 v[70:73], v28 offset0:91 offset1:92
	v_add_f32_e32 v79, v74, v75
	ds_read2_b64 v[74:77], v28 offset0:93 offset1:94
	buffer_load_dword v83, off, s[0:3], 0 offset:364
	buffer_load_dword v82, off, s[0:3], 0 offset:360
	;; [unrolled: 1-line block ×16, first 2 shown]
	v_mul_f32_e32 v1, v23, v1
	v_fma_f32 v1, v22, v106, -v1
	v_mul_f32_e32 v22, v25, v29
	v_add_f32_e32 v1, 0, v1
	v_fma_f32 v22, v24, v105, -v22
	v_mul_f32_e32 v19, v19, v100
	v_add_f32_e32 v1, v1, v22
	v_fma_f32 v18, v18, v104, -v19
	v_add_f32_e32 v1, v1, v18
	v_mul_f32_e32 v18, v21, v78
	v_fma_f32 v18, v20, v190, -v18
	v_mul_f32_e32 v15, v15, v80
	v_add_f32_e32 v1, v1, v18
	v_fma_f32 v14, v14, v189, -v15
	v_add_f32_e32 v1, v1, v14
	v_mul_f32_e32 v14, v17, v88
	v_fma_f32 v14, v16, v188, -v14
	v_mul_f32_e32 v11, v11, v101
	v_add_f32_e32 v1, v1, v14
	v_fma_f32 v10, v10, v107, -v11
	v_add_f32_e32 v1, v1, v10
	v_mul_f32_e32 v10, v13, v102
	v_fma_f32 v10, v12, v194, -v10
	v_mul_f32_e32 v7, v7, v103
	v_add_f32_e32 v1, v1, v10
	v_fma_f32 v6, v6, v193, -v7
	v_add_f32_e32 v1, v1, v6
	v_mul_f32_e32 v6, v9, v195
	v_fma_f32 v6, v8, v192, -v6
	v_mul_f32_e32 v3, v3, v196
	v_add_f32_e32 v1, v1, v6
	v_fma_f32 v2, v2, v191, -v3
	v_add_f32_e32 v1, v1, v2
	v_mul_f32_e32 v2, v5, v198
	v_fma_f32 v2, v4, v197, -v2
	v_add_f32_e32 v1, v1, v2
	v_mul_f32_e32 v2, v31, v200
	v_fma_f32 v2, v30, v199, -v2
	v_add_f32_e32 v1, v1, v2
	v_mul_f32_e32 v2, v33, v202
	;; [unrolled: 3-line block ×20, first 2 shown]
	v_fma_f32 v2, v68, v237, -v2
	v_add_f32_e32 v1, v1, v2
	s_waitcnt vmcnt(22) lgkmcnt(1)
	v_mul_f32_e32 v2, v71, v240
	v_mul_f32_e32 v81, v70, v240
	v_fma_f32 v2, v70, v239, -v2
	v_fmac_f32_e32 v81, v71, v239
	v_add_f32_e32 v1, v1, v2
	s_waitcnt vmcnt(20)
	v_mul_f32_e32 v2, v73, v242
	v_add_f32_e32 v79, v79, v81
	v_mul_f32_e32 v81, v72, v242
	v_fma_f32 v2, v72, v241, -v2
	v_fmac_f32_e32 v81, v73, v241
	v_add_f32_e32 v78, v1, v2
	ds_read2_b64 v[2:5], v28 offset0:95 offset1:96
	ds_read2_b64 v[6:9], v28 offset0:97 offset1:98
	;; [unrolled: 1-line block ×4, first 2 shown]
	v_add_f32_e32 v79, v79, v81
	s_waitcnt vmcnt(18) lgkmcnt(4)
	v_mul_f32_e32 v81, v74, v244
	v_mul_f32_e32 v1, v75, v244
	s_waitcnt vmcnt(11)
	v_mov_b32_e32 v20, v87
	v_fmac_f32_e32 v81, v75, v243
	v_mul_f32_e32 v89, v76, v246
	v_fma_f32 v80, v74, v243, -v1
	v_mul_f32_e32 v1, v77, v246
	s_waitcnt lgkmcnt(3)
	v_pk_mul_f32 v[20:21], v[2:3], v[20:21] op_sel_hi:[1,0]
	v_fmac_f32_e32 v89, v77, v245
	v_fma_f32 v88, v76, v245, -v1
	v_pk_add_f32 v[18:19], v[78:79], v[80:81]
	s_waitcnt vmcnt(10)
	v_pk_fma_f32 v[22:23], v[2:3], v[86:87], v[20:21] op_sel:[0,0,1] op_sel_hi:[1,1,0] neg_lo:[0,0,1] neg_hi:[0,0,1]
	v_pk_fma_f32 v[2:3], v[2:3], v[86:87], v[20:21] op_sel:[0,0,1] op_sel_hi:[1,0,0]
	v_pk_add_f32 v[18:19], v[18:19], v[88:89]
	v_mov_b32_e32 v23, v3
	v_pk_add_f32 v[2:3], v[18:19], v[22:23]
	v_mov_b32_e32 v18, v85
	v_pk_mul_f32 v[18:19], v[4:5], v[18:19] op_sel_hi:[1,0]
	v_pk_fma_f32 v[20:21], v[4:5], v[84:85], v[18:19] op_sel:[0,0,1] op_sel_hi:[1,1,0] neg_lo:[0,0,1] neg_hi:[0,0,1]
	v_pk_fma_f32 v[4:5], v[4:5], v[84:85], v[18:19] op_sel:[0,0,1] op_sel_hi:[1,0,0]
	v_mov_b32_e32 v4, v83
	v_mov_b32_e32 v21, v5
	s_waitcnt lgkmcnt(2)
	v_pk_mul_f32 v[4:5], v[6:7], v[4:5] op_sel_hi:[1,0]
	v_pk_fma_f32 v[18:19], v[6:7], v[82:83], v[4:5] op_sel:[0,0,1] op_sel_hi:[1,1,0] neg_lo:[0,0,1] neg_hi:[0,0,1]
	v_pk_fma_f32 v[4:5], v[6:7], v[82:83], v[4:5] op_sel:[0,0,1] op_sel_hi:[1,0,0]
	s_waitcnt vmcnt(3)
	v_mov_b32_e32 v4, v97
	v_mov_b32_e32 v19, v5
	v_pk_mul_f32 v[4:5], v[8:9], v[4:5] op_sel_hi:[1,0]
	s_waitcnt vmcnt(2)
	v_pk_fma_f32 v[6:7], v[8:9], v[96:97], v[4:5] op_sel:[0,0,1] op_sel_hi:[1,1,0] neg_lo:[0,0,1] neg_hi:[0,0,1]
	v_pk_fma_f32 v[4:5], v[8:9], v[96:97], v[4:5] op_sel:[0,0,1] op_sel_hi:[1,0,0]
	v_pk_add_f32 v[2:3], v[2:3], v[20:21]
	v_mov_b32_e32 v4, v95
	v_pk_add_f32 v[2:3], v[2:3], v[18:19]
	v_mov_b32_e32 v7, v5
	s_waitcnt lgkmcnt(1)
	v_pk_mul_f32 v[4:5], v[10:11], v[4:5] op_sel_hi:[1,0]
	v_pk_add_f32 v[2:3], v[2:3], v[6:7]
	v_pk_fma_f32 v[6:7], v[10:11], v[94:95], v[4:5] op_sel:[0,0,1] op_sel_hi:[1,1,0] neg_lo:[0,0,1] neg_hi:[0,0,1]
	v_pk_fma_f32 v[4:5], v[10:11], v[94:95], v[4:5] op_sel:[0,0,1] op_sel_hi:[1,0,0]
	v_mov_b32_e32 v4, v93
	v_mov_b32_e32 v7, v5
	v_pk_mul_f32 v[4:5], v[12:13], v[4:5] op_sel_hi:[1,0]
	v_pk_add_f32 v[2:3], v[2:3], v[6:7]
	v_pk_fma_f32 v[6:7], v[12:13], v[92:93], v[4:5] op_sel:[0,0,1] op_sel_hi:[1,1,0] neg_lo:[0,0,1] neg_hi:[0,0,1]
	v_pk_fma_f32 v[4:5], v[12:13], v[92:93], v[4:5] op_sel:[0,0,1] op_sel_hi:[1,0,0]
	v_mov_b32_e32 v4, v91
	v_mov_b32_e32 v7, v5
	s_waitcnt lgkmcnt(0)
	v_pk_mul_f32 v[4:5], v[14:15], v[4:5] op_sel_hi:[1,0]
	v_pk_add_f32 v[2:3], v[2:3], v[6:7]
	v_pk_fma_f32 v[6:7], v[14:15], v[90:91], v[4:5] op_sel:[0,0,1] op_sel_hi:[1,1,0] neg_lo:[0,0,1] neg_hi:[0,0,1]
	v_pk_fma_f32 v[4:5], v[14:15], v[90:91], v[4:5] op_sel:[0,0,1] op_sel_hi:[1,0,0]
	s_waitcnt vmcnt(1)
	v_mov_b32_e32 v4, v99
	v_mov_b32_e32 v7, v5
	v_pk_mul_f32 v[4:5], v[16:17], v[4:5] op_sel_hi:[1,0]
	v_pk_add_f32 v[2:3], v[2:3], v[6:7]
	s_waitcnt vmcnt(0)
	v_pk_fma_f32 v[6:7], v[16:17], v[98:99], v[4:5] op_sel:[0,0,1] op_sel_hi:[1,1,0] neg_lo:[0,0,1] neg_hi:[0,0,1]
	v_pk_fma_f32 v[4:5], v[16:17], v[98:99], v[4:5] op_sel:[0,0,1] op_sel_hi:[1,0,0]
	v_mov_b32_e32 v7, v5
	v_pk_add_f32 v[2:3], v[2:3], v[6:7]
	v_pk_add_f32 v[2:3], v[26:27], v[2:3] neg_lo:[0,1] neg_hi:[0,1]
	buffer_store_dword v3, off, s[0:3], 0 offset:52
	buffer_store_dword v2, off, s[0:3], 0 offset:48
	s_and_saveexec_b64 s[4:5], vcc
	s_cbranch_execz .LBB114_309
; %bb.308:
	buffer_load_dword v2, off, s[0:3], 0 offset:40
	buffer_load_dword v3, off, s[0:3], 0 offset:44
	v_mov_b32_e32 v1, 0
	buffer_store_dword v1, off, s[0:3], 0 offset:40
	buffer_store_dword v1, off, s[0:3], 0 offset:44
	s_waitcnt vmcnt(2)
	ds_write_b64 v121, v[2:3]
.LBB114_309:
	s_or_b64 exec, exec, s[4:5]
	v_mov_b32_e32 v204, 0
	s_waitcnt lgkmcnt(0)
	; wave barrier
	s_waitcnt lgkmcnt(0)
	ds_read_b128 v[14:17], v204 offset:464
	ds_read_b128 v[10:13], v204 offset:480
	;; [unrolled: 1-line block ×4, first 2 shown]
	buffer_load_dword v78, off, s[0:3], 0 offset:40
	buffer_load_dword v79, off, s[0:3], 0 offset:44
	;; [unrolled: 1-line block ×18, first 2 shown]
	v_cmp_lt_u32_e32 vcc, 4, v0
	s_waitcnt vmcnt(14) lgkmcnt(3)
	v_mul_f32_e32 v1, v14, v205
	v_fmac_f32_e32 v1, v15, v80
	s_waitcnt vmcnt(12)
	v_mul_f32_e32 v18, v16, v207
	v_add_f32_e32 v1, 0, v1
	v_fmac_f32_e32 v18, v17, v82
	v_add_f32_e32 v1, v1, v18
	s_waitcnt vmcnt(10) lgkmcnt(2)
	v_mul_f32_e32 v18, v10, v209
	v_fmac_f32_e32 v18, v11, v188
	v_add_f32_e32 v1, v1, v18
	s_waitcnt vmcnt(8)
	v_mul_f32_e32 v18, v12, v211
	v_fmac_f32_e32 v18, v13, v206
	v_add_f32_e32 v1, v1, v18
	s_waitcnt vmcnt(6) lgkmcnt(1)
	v_mul_f32_e32 v18, v6, v213
	v_fmac_f32_e32 v18, v7, v208
	v_add_f32_e32 v1, v1, v18
	s_waitcnt vmcnt(4)
	v_mul_f32_e32 v18, v8, v214
	;; [unrolled: 8-line block ×3, first 2 shown]
	v_fmac_f32_e32 v18, v5, v216
	v_add_f32_e32 v1, v1, v18
	ds_read_b128 v[18:21], v204 offset:528
	buffer_load_dword v218, off, s[0:3], 0 offset:112
	buffer_load_dword v219, off, s[0:3], 0 offset:116
	;; [unrolled: 1-line block ×4, first 2 shown]
	v_mul_f32_e32 v15, v15, v205
	v_fma_f32 v14, v14, v80, -v15
	v_mul_f32_e32 v15, v17, v207
	v_add_f32_e32 v14, 0, v14
	v_fma_f32 v15, v16, v82, -v15
	v_mul_f32_e32 v11, v11, v209
	v_add_f32_e32 v14, v14, v15
	;; [unrolled: 3-line block ×7, first 2 shown]
	v_fma_f32 v3, v4, v216, -v3
	v_add_f32_e32 v2, v2, v3
	s_waitcnt vmcnt(2) lgkmcnt(0)
	v_mul_f32_e32 v22, v18, v219
	v_fmac_f32_e32 v22, v19, v218
	v_add_f32_e32 v1, v1, v22
	s_waitcnt vmcnt(0)
	v_mul_f32_e32 v22, v20, v221
	v_fmac_f32_e32 v22, v21, v220
	v_add_f32_e32 v1, v1, v22
	ds_read_b128 v[22:25], v204 offset:544
	buffer_load_dword v222, off, s[0:3], 0 offset:128
	buffer_load_dword v223, off, s[0:3], 0 offset:132
	buffer_load_dword v224, off, s[0:3], 0 offset:136
	buffer_load_dword v225, off, s[0:3], 0 offset:140
	ds_read_b128 v[30:33], v204 offset:560
	buffer_load_dword v226, off, s[0:3], 0 offset:144
	buffer_load_dword v227, off, s[0:3], 0 offset:148
	buffer_load_dword v228, off, s[0:3], 0 offset:152
	buffer_load_dword v229, off, s[0:3], 0 offset:156
	;; [unrolled: 5-line block ×5, first 2 shown]
	ds_read_b128 v[46:49], v204 offset:624
	v_mul_f32_e32 v3, v19, v219
	v_fma_f32 v3, v18, v218, -v3
	v_add_f32_e32 v2, v2, v3
	v_mul_f32_e32 v3, v21, v221
	v_fma_f32 v3, v20, v220, -v3
	v_add_f32_e32 v2, v2, v3
	s_waitcnt vmcnt(18) lgkmcnt(5)
	v_mul_f32_e32 v26, v22, v223
	v_fmac_f32_e32 v26, v23, v222
	v_add_f32_e32 v1, v1, v26
	s_waitcnt vmcnt(16)
	v_mul_f32_e32 v26, v24, v225
	v_fmac_f32_e32 v26, v25, v224
	v_add_f32_e32 v1, v1, v26
	s_waitcnt vmcnt(14) lgkmcnt(4)
	v_mul_f32_e32 v26, v30, v227
	v_fmac_f32_e32 v26, v31, v226
	v_add_f32_e32 v1, v1, v26
	s_waitcnt vmcnt(12)
	v_mul_f32_e32 v26, v32, v229
	v_fmac_f32_e32 v26, v33, v228
	;; [unrolled: 8-line block ×5, first 2 shown]
	v_add_f32_e32 v26, v1, v26
	buffer_load_dword v1, off, s[0:3], 0 offset:208
	buffer_load_dword v86, off, s[0:3], 0 offset:212
	buffer_load_dword v87, off, s[0:3], 0 offset:216
	buffer_load_dword v242, off, s[0:3], 0 offset:220
	ds_read_b128 v[50:53], v204 offset:640
	buffer_load_dword v88, off, s[0:3], 0 offset:224
	buffer_load_dword v89, off, s[0:3], 0 offset:228
	buffer_load_dword v90, off, s[0:3], 0 offset:232
	buffer_load_dword v91, off, s[0:3], 0 offset:236
	ds_read_b128 v[54:57], v204 offset:656
	;; [unrolled: 5-line block ×7, first 2 shown]
	buffer_load_dword v247, off, s[0:3], 0 offset:320
	buffer_load_dword v248, off, s[0:3], 0 offset:324
	;; [unrolled: 1-line block ×4, first 2 shown]
	v_mul_f32_e32 v3, v23, v223
	v_fma_f32 v3, v22, v222, -v3
	v_add_f32_e32 v2, v2, v3
	v_mul_f32_e32 v3, v25, v225
	v_fma_f32 v3, v24, v224, -v3
	v_add_f32_e32 v2, v2, v3
	;; [unrolled: 3-line block ×10, first 2 shown]
	s_waitcnt vmcnt(30) lgkmcnt(7)
	v_mul_f32_e32 v27, v46, v86
	v_fmac_f32_e32 v27, v47, v1
	v_add_f32_e32 v26, v26, v27
	s_waitcnt vmcnt(28)
	v_mul_f32_e32 v27, v48, v242
	v_fmac_f32_e32 v27, v49, v87
	v_add_f32_e32 v26, v26, v27
	s_waitcnt vmcnt(26) lgkmcnt(6)
	v_mul_f32_e32 v27, v50, v89
	v_fmac_f32_e32 v27, v51, v88
	v_add_f32_e32 v26, v26, v27
	s_waitcnt vmcnt(24)
	v_mul_f32_e32 v27, v52, v91
	v_fmac_f32_e32 v27, v53, v90
	v_add_f32_e32 v26, v26, v27
	;; [unrolled: 8-line block ×7, first 2 shown]
	s_waitcnt vmcnt(2) lgkmcnt(0)
	v_mul_f32_e32 v27, v74, v248
	v_fmac_f32_e32 v27, v75, v247
	v_add_f32_e32 v81, v26, v27
	ds_read_b128 v[26:29], v204 offset:752
	buffer_load_dword v251, off, s[0:3], 0 offset:336
	buffer_load_dword v252, off, s[0:3], 0 offset:340
	;; [unrolled: 1-line block ×18, first 2 shown]
	v_mul_f32_e32 v3, v47, v86
	v_fma_f32 v1, v46, v1, -v3
	v_add_f32_e32 v1, v2, v1
	v_mul_f32_e32 v2, v49, v242
	v_fma_f32 v2, v48, v87, -v2
	v_add_f32_e32 v1, v1, v2
	;; [unrolled: 3-line block ×14, first 2 shown]
	v_mul_f32_e32 v2, v75, v248
	v_fma_f32 v2, v74, v247, -v2
	s_waitcnt vmcnt(18)
	v_mul_f32_e32 v83, v76, v250
	v_add_f32_e32 v80, v1, v2
	v_mul_f32_e32 v1, v77, v250
	v_fmac_f32_e32 v83, v77, v249
	v_fma_f32 v82, v76, v249, -v1
	ds_read_b128 v[2:5], v204 offset:768
	ds_read_b128 v[6:9], v204 offset:784
	;; [unrolled: 1-line block ×3, first 2 shown]
	ds_read_b64 v[14:15], v204 offset:816
	v_pk_add_f32 v[16:17], v[80:81], v[82:83]
	s_waitcnt vmcnt(15)
	v_mov_b32_e32 v18, v85
	s_waitcnt lgkmcnt(4)
	v_pk_mul_f32 v[18:19], v[28:29], v[18:19] op_sel_hi:[1,0]
	s_waitcnt vmcnt(14)
	v_pk_fma_f32 v[20:21], v[28:29], v[84:85], v[18:19] op_sel:[0,0,1] op_sel_hi:[1,1,0] neg_lo:[0,0,1] neg_hi:[0,0,1]
	v_pk_fma_f32 v[18:19], v[28:29], v[84:85], v[18:19] op_sel:[0,0,1] op_sel_hi:[1,0,0]
	s_waitcnt vmcnt(13)
	v_mov_b32_e32 v18, v203
	v_mov_b32_e32 v21, v19
	s_waitcnt lgkmcnt(3)
	v_pk_mul_f32 v[18:19], v[2:3], v[18:19] op_sel_hi:[1,0]
	v_mul_f32_e32 v189, v26, v252
	v_mul_f32_e32 v1, v27, v252
	v_fmac_f32_e32 v189, v27, v251
	v_fma_f32 v188, v26, v251, -v1
	v_pk_add_f32 v[16:17], v[16:17], v[188:189]
	v_pk_add_f32 v[16:17], v[16:17], v[20:21]
	s_waitcnt vmcnt(12)
	v_pk_fma_f32 v[20:21], v[2:3], v[202:203], v[18:19] op_sel:[0,0,1] op_sel_hi:[1,1,0] neg_lo:[0,0,1] neg_hi:[0,0,1]
	v_pk_fma_f32 v[2:3], v[2:3], v[202:203], v[18:19] op_sel:[0,0,1] op_sel_hi:[1,0,0]
	v_mov_b32_e32 v21, v3
	v_pk_add_f32 v[2:3], v[16:17], v[20:21]
	s_waitcnt vmcnt(11)
	v_mov_b32_e32 v16, v201
	v_pk_mul_f32 v[16:17], v[4:5], v[16:17] op_sel_hi:[1,0]
	s_waitcnt vmcnt(10)
	v_pk_fma_f32 v[18:19], v[4:5], v[200:201], v[16:17] op_sel:[0,0,1] op_sel_hi:[1,1,0] neg_lo:[0,0,1] neg_hi:[0,0,1]
	v_pk_fma_f32 v[4:5], v[4:5], v[200:201], v[16:17] op_sel:[0,0,1] op_sel_hi:[1,0,0]
	s_waitcnt vmcnt(9)
	v_mov_b32_e32 v4, v199
	v_mov_b32_e32 v19, v5
	s_waitcnt lgkmcnt(2)
	v_pk_mul_f32 v[4:5], v[6:7], v[4:5] op_sel_hi:[1,0]
	s_waitcnt vmcnt(8)
	v_pk_fma_f32 v[16:17], v[6:7], v[198:199], v[4:5] op_sel:[0,0,1] op_sel_hi:[1,1,0] neg_lo:[0,0,1] neg_hi:[0,0,1]
	v_pk_fma_f32 v[4:5], v[6:7], v[198:199], v[4:5] op_sel:[0,0,1] op_sel_hi:[1,0,0]
	s_waitcnt vmcnt(7)
	v_mov_b32_e32 v4, v197
	v_mov_b32_e32 v17, v5
	v_pk_mul_f32 v[4:5], v[8:9], v[4:5] op_sel_hi:[1,0]
	s_waitcnt vmcnt(6)
	v_pk_fma_f32 v[6:7], v[8:9], v[196:197], v[4:5] op_sel:[0,0,1] op_sel_hi:[1,1,0] neg_lo:[0,0,1] neg_hi:[0,0,1]
	v_pk_fma_f32 v[4:5], v[8:9], v[196:197], v[4:5] op_sel:[0,0,1] op_sel_hi:[1,0,0]
	v_pk_add_f32 v[2:3], v[2:3], v[18:19]
	s_waitcnt vmcnt(5)
	v_mov_b32_e32 v4, v195
	v_pk_add_f32 v[2:3], v[2:3], v[16:17]
	v_mov_b32_e32 v7, v5
	s_waitcnt lgkmcnt(1)
	v_pk_mul_f32 v[4:5], v[10:11], v[4:5] op_sel_hi:[1,0]
	v_pk_add_f32 v[2:3], v[2:3], v[6:7]
	s_waitcnt vmcnt(4)
	v_pk_fma_f32 v[6:7], v[10:11], v[194:195], v[4:5] op_sel:[0,0,1] op_sel_hi:[1,1,0] neg_lo:[0,0,1] neg_hi:[0,0,1]
	v_pk_fma_f32 v[4:5], v[10:11], v[194:195], v[4:5] op_sel:[0,0,1] op_sel_hi:[1,0,0]
	s_waitcnt vmcnt(3)
	v_mov_b32_e32 v4, v193
	v_mov_b32_e32 v7, v5
	v_pk_mul_f32 v[4:5], v[12:13], v[4:5] op_sel_hi:[1,0]
	v_pk_add_f32 v[2:3], v[2:3], v[6:7]
	s_waitcnt vmcnt(2)
	v_pk_fma_f32 v[6:7], v[12:13], v[192:193], v[4:5] op_sel:[0,0,1] op_sel_hi:[1,1,0] neg_lo:[0,0,1] neg_hi:[0,0,1]
	v_pk_fma_f32 v[4:5], v[12:13], v[192:193], v[4:5] op_sel:[0,0,1] op_sel_hi:[1,0,0]
	s_waitcnt vmcnt(1)
	v_mov_b32_e32 v4, v191
	v_mov_b32_e32 v7, v5
	s_waitcnt lgkmcnt(0)
	v_pk_mul_f32 v[4:5], v[14:15], v[4:5] op_sel_hi:[1,0]
	v_pk_add_f32 v[2:3], v[2:3], v[6:7]
	s_waitcnt vmcnt(0)
	v_pk_fma_f32 v[6:7], v[14:15], v[190:191], v[4:5] op_sel:[0,0,1] op_sel_hi:[1,1,0] neg_lo:[0,0,1] neg_hi:[0,0,1]
	v_pk_fma_f32 v[4:5], v[14:15], v[190:191], v[4:5] op_sel:[0,0,1] op_sel_hi:[1,0,0]
	v_mov_b32_e32 v7, v5
	v_pk_add_f32 v[2:3], v[2:3], v[6:7]
	v_pk_add_f32 v[2:3], v[78:79], v[2:3] neg_lo:[0,1] neg_hi:[0,1]
	buffer_store_dword v3, off, s[0:3], 0 offset:44
	buffer_store_dword v2, off, s[0:3], 0 offset:40
	s_and_saveexec_b64 s[4:5], vcc
	s_cbranch_execz .LBB114_311
; %bb.310:
	buffer_load_dword v2, off, s[0:3], 0 offset:32
	buffer_load_dword v3, off, s[0:3], 0 offset:36
	s_waitcnt vmcnt(0)
	ds_write_b64 v121, v[2:3]
	buffer_store_dword v204, off, s[0:3], 0 offset:32
	buffer_store_dword v204, off, s[0:3], 0 offset:36
.LBB114_311:
	s_or_b64 exec, exec, s[4:5]
	s_waitcnt lgkmcnt(0)
	; wave barrier
	s_waitcnt lgkmcnt(0)
	buffer_load_dword v90, off, s[0:3], 0 offset:44
	buffer_load_dword v92, off, s[0:3], 0 offset:52
	;; [unrolled: 1-line block ×32, first 2 shown]
	ds_read2_b64 v[22:25], v204 offset0:57 offset1:58
	ds_read2_b64 v[18:21], v204 offset0:59 offset1:60
	;; [unrolled: 1-line block ×6, first 2 shown]
	buffer_load_dword v213, off, s[0:3], 0 offset:160
	buffer_load_dword v214, off, s[0:3], 0 offset:164
	;; [unrolled: 1-line block ×32, first 2 shown]
	v_cmp_lt_u32_e32 vcc, 3, v0
	s_waitcnt vmcnt(62) lgkmcnt(5)
	v_mul_f32_e32 v31, v22, v90
	v_mul_f32_e32 v32, v24, v92
	s_waitcnt vmcnt(61) lgkmcnt(4)
	v_mul_f32_e32 v34, v20, v30
	s_waitcnt vmcnt(60) lgkmcnt(3)
	v_mul_f32_e32 v35, v14, v29
	s_waitcnt vmcnt(59)
	v_mul_f32_e32 v36, v16, v1
	s_waitcnt vmcnt(58)
	v_mul_f32_e32 v33, v18, v188
	s_waitcnt vmcnt(57) lgkmcnt(2)
	v_mul_f32_e32 v37, v10, v28
	s_waitcnt vmcnt(56)
	v_mul_f32_e32 v38, v12, v189
	s_waitcnt vmcnt(55) lgkmcnt(1)
	v_mul_f32_e32 v39, v6, v190
	s_waitcnt vmcnt(54)
	v_mul_f32_e32 v40, v8, v191
	s_waitcnt vmcnt(53)
	v_fmac_f32_e32 v33, v19, v192
	s_waitcnt vmcnt(52)
	v_fmac_f32_e32 v32, v25, v193
	;; [unrolled: 2-line block ×3, first 2 shown]
	v_add_f32_e32 v31, 0, v31
	v_add_f32_e32 v31, v31, v32
	;; [unrolled: 1-line block ×3, first 2 shown]
	s_waitcnt vmcnt(47)
	v_fmac_f32_e32 v34, v21, v198
	v_fmac_f32_e32 v35, v15, v197
	v_add_f32_e32 v31, v31, v34
	v_fmac_f32_e32 v36, v17, v196
	v_add_f32_e32 v31, v31, v35
	;; [unrolled: 2-line block ×3, first 2 shown]
	s_waitcnt vmcnt(43)
	v_fmac_f32_e32 v38, v13, v202
	v_add_f32_e32 v31, v31, v37
	v_fmac_f32_e32 v39, v7, v201
	v_add_f32_e32 v31, v31, v38
	;; [unrolled: 2-line block ×3, first 2 shown]
	s_waitcnt vmcnt(42) lgkmcnt(0)
	v_mul_f32_e32 v32, v2, v203
	v_add_f32_e32 v31, v31, v40
	v_fmac_f32_e32 v32, v3, v199
	v_add_f32_e32 v31, v31, v32
	ds_read2_b64 v[32:35], v204 offset0:69 offset1:70
	buffer_load_dword v245, off, s[0:3], 0 offset:288
	buffer_load_dword v246, off, s[0:3], 0 offset:292
	s_waitcnt vmcnt(43)
	v_mul_f32_e32 v36, v4, v205
	s_waitcnt vmcnt(36)
	v_fmac_f32_e32 v36, v5, v212
	v_add_f32_e32 v31, v31, v36
	ds_read2_b64 v[36:39], v204 offset0:71 offset1:72
	buffer_load_dword v247, off, s[0:3], 0 offset:296
	buffer_load_dword v248, off, s[0:3], 0 offset:300
	;; [unrolled: 1-line block ×8, first 2 shown]
	s_waitcnt lgkmcnt(1)
	v_mul_f32_e32 v40, v32, v207
	v_fmac_f32_e32 v40, v33, v206
	v_add_f32_e32 v31, v31, v40
	v_mul_f32_e32 v40, v34, v209
	v_fmac_f32_e32 v40, v35, v208
	v_add_f32_e32 v31, v31, v40
	s_waitcnt lgkmcnt(0)
	v_mul_f32_e32 v40, v36, v211
	v_fmac_f32_e32 v40, v37, v210
	v_add_f32_e32 v31, v31, v40
	buffer_load_dword v255, off, s[0:3], 0 offset:328
	buffer_load_dword v108, off, s[0:3], 0 offset:332
	;; [unrolled: 1-line block ×4, first 2 shown]
	ds_read2_b64 v[40:43], v204 offset0:73 offset1:74
	s_waitcnt vmcnt(44)
	v_mul_f32_e32 v44, v38, v214
	v_fmac_f32_e32 v44, v39, v213
	v_add_f32_e32 v31, v31, v44
	ds_read2_b64 v[44:47], v204 offset0:75 offset1:76
	s_waitcnt vmcnt(42) lgkmcnt(1)
	v_mul_f32_e32 v48, v40, v216
	v_fmac_f32_e32 v48, v41, v215
	v_add_f32_e32 v31, v31, v48
	s_waitcnt vmcnt(40)
	v_mul_f32_e32 v48, v42, v218
	v_fmac_f32_e32 v48, v43, v217
	v_add_f32_e32 v31, v31, v48
	s_waitcnt vmcnt(38) lgkmcnt(0)
	v_mul_f32_e32 v48, v44, v220
	v_fmac_f32_e32 v48, v45, v219
	v_add_f32_e32 v31, v31, v48
	ds_read2_b64 v[48:51], v204 offset0:77 offset1:78
	s_waitcnt vmcnt(36)
	v_mul_f32_e32 v52, v46, v222
	v_fmac_f32_e32 v52, v47, v221
	v_add_f32_e32 v31, v31, v52
	ds_read2_b64 v[52:55], v204 offset0:79 offset1:80
	s_waitcnt vmcnt(34) lgkmcnt(1)
	v_mul_f32_e32 v56, v48, v224
	v_fmac_f32_e32 v56, v49, v223
	v_add_f32_e32 v31, v31, v56
	s_waitcnt vmcnt(32)
	v_mul_f32_e32 v56, v50, v226
	v_fmac_f32_e32 v56, v51, v225
	v_add_f32_e32 v31, v31, v56
	s_waitcnt vmcnt(30) lgkmcnt(0)
	v_mul_f32_e32 v56, v52, v228
	v_fmac_f32_e32 v56, v53, v227
	v_add_f32_e32 v31, v31, v56
	;; [unrolled: 18-line block ×4, first 2 shown]
	ds_read2_b64 v[72:75], v204 offset0:89 offset1:90
	v_mul_f32_e32 v23, v23, v90
	v_fma_f32 v22, v22, v194, -v23
	v_mul_f32_e32 v23, v25, v92
	v_add_f32_e32 v22, 0, v22
	s_waitcnt vmcnt(12)
	v_mul_f32_e32 v76, v70, v246
	v_fmac_f32_e32 v76, v71, v245
	v_add_f32_e32 v31, v31, v76
	ds_read2_b64 v[76:79], v204 offset0:91 offset1:92
	buffer_load_dword v89, off, s[0:3], 0 offset:348
	buffer_load_dword v88, off, s[0:3], 0 offset:344
	s_waitcnt vmcnt(12) lgkmcnt(1)
	v_mul_f32_e32 v80, v72, v248
	v_fmac_f32_e32 v80, v73, v247
	v_add_f32_e32 v31, v31, v80
	s_waitcnt vmcnt(10)
	v_mul_f32_e32 v80, v74, v250
	v_fmac_f32_e32 v80, v75, v249
	v_add_f32_e32 v31, v31, v80
	s_waitcnt vmcnt(8) lgkmcnt(0)
	v_mul_f32_e32 v80, v76, v252
	v_fmac_f32_e32 v80, v77, v251
	s_waitcnt vmcnt(6)
	v_mul_f32_e32 v84, v78, v254
	v_add_f32_e32 v31, v31, v80
	v_fmac_f32_e32 v84, v79, v253
	ds_read2_b64 v[80:83], v204 offset0:93 offset1:94
	v_add_f32_e32 v31, v31, v84
	ds_read2_b64 v[84:87], v204 offset0:95 offset1:96
	buffer_load_dword v95, off, s[0:3], 0 offset:380
	buffer_load_dword v94, off, s[0:3], 0 offset:376
	;; [unrolled: 1-line block ×14, first 2 shown]
	v_fma_f32 v23, v24, v193, -v23
	v_mul_f32_e32 v19, v19, v188
	v_add_f32_e32 v22, v22, v23
	v_fma_f32 v18, v18, v192, -v19
	v_mul_f32_e32 v19, v21, v30
	v_add_f32_e32 v18, v22, v18
	;; [unrolled: 3-line block ×5, first 2 shown]
	v_fma_f32 v10, v10, v195, -v11
	v_add_f32_e32 v1, v1, v10
	v_mul_f32_e32 v10, v13, v189
	v_fma_f32 v10, v12, v202, -v10
	v_mul_f32_e32 v7, v7, v190
	v_add_f32_e32 v1, v1, v10
	v_fma_f32 v6, v6, v201, -v7
	v_add_f32_e32 v1, v1, v6
	v_mul_f32_e32 v6, v9, v191
	v_fma_f32 v6, v8, v200, -v6
	v_mul_f32_e32 v3, v3, v203
	v_add_f32_e32 v1, v1, v6
	v_fma_f32 v2, v2, v199, -v3
	v_add_f32_e32 v1, v1, v2
	v_mul_f32_e32 v2, v5, v205
	v_fma_f32 v2, v4, v212, -v2
	v_add_f32_e32 v1, v1, v2
	v_mul_f32_e32 v2, v33, v207
	;; [unrolled: 3-line block ×25, first 2 shown]
	v_fma_f32 v2, v78, v253, -v2
	s_waitcnt vmcnt(15)
	v_mov_b32_e32 v16, v89
	s_waitcnt lgkmcnt(1)
	v_mul_f32_e32 v91, v80, v108
	v_add_f32_e32 v30, v1, v2
	v_mul_f32_e32 v1, v81, v108
	s_waitcnt lgkmcnt(0)
	v_pk_mul_f32 v[16:17], v[84:85], v[16:17] op_sel_hi:[1,0]
	v_fmac_f32_e32 v91, v81, v255
	v_mul_f32_e32 v93, v82, v110
	v_fma_f32 v90, v80, v255, -v1
	v_mul_f32_e32 v1, v83, v110
	s_waitcnt vmcnt(14)
	v_pk_fma_f32 v[18:19], v[84:85], v[88:89], v[16:17] op_sel:[0,0,1] op_sel_hi:[1,1,0] neg_lo:[0,0,1] neg_hi:[0,0,1]
	v_pk_fma_f32 v[16:17], v[84:85], v[88:89], v[16:17] op_sel:[0,0,1] op_sel_hi:[1,0,0]
	v_fmac_f32_e32 v93, v83, v109
	v_fma_f32 v92, v82, v109, -v1
	v_pk_add_f32 v[14:15], v[30:31], v[90:91]
	s_waitcnt vmcnt(7)
	v_mov_b32_e32 v16, v101
	ds_read2_b64 v[2:5], v204 offset0:97 offset1:98
	ds_read2_b64 v[6:9], v204 offset0:99 offset1:100
	;; [unrolled: 1-line block ×3, first 2 shown]
	v_pk_add_f32 v[14:15], v[14:15], v[92:93]
	v_mov_b32_e32 v19, v17
	v_pk_mul_f32 v[16:17], v[86:87], v[16:17] op_sel_hi:[1,0]
	v_pk_add_f32 v[14:15], v[14:15], v[18:19]
	s_waitcnt vmcnt(6)
	v_pk_fma_f32 v[18:19], v[86:87], v[100:101], v[16:17] op_sel:[0,0,1] op_sel_hi:[1,1,0] neg_lo:[0,0,1] neg_hi:[0,0,1]
	v_pk_fma_f32 v[16:17], v[86:87], v[100:101], v[16:17] op_sel:[0,0,1] op_sel_hi:[1,0,0]
	v_mov_b32_e32 v16, v99
	v_mov_b32_e32 v19, v17
	s_waitcnt lgkmcnt(2)
	v_pk_mul_f32 v[16:17], v[2:3], v[16:17] op_sel_hi:[1,0]
	v_pk_add_f32 v[14:15], v[14:15], v[18:19]
	v_pk_fma_f32 v[18:19], v[2:3], v[98:99], v[16:17] op_sel:[0,0,1] op_sel_hi:[1,1,0] neg_lo:[0,0,1] neg_hi:[0,0,1]
	v_pk_fma_f32 v[2:3], v[2:3], v[98:99], v[16:17] op_sel:[0,0,1] op_sel_hi:[1,0,0]
	v_mov_b32_e32 v19, v3
	v_pk_add_f32 v[2:3], v[14:15], v[18:19]
	v_mov_b32_e32 v14, v97
	v_pk_mul_f32 v[14:15], v[4:5], v[14:15] op_sel_hi:[1,0]
	v_pk_fma_f32 v[16:17], v[4:5], v[96:97], v[14:15] op_sel:[0,0,1] op_sel_hi:[1,1,0] neg_lo:[0,0,1] neg_hi:[0,0,1]
	v_pk_fma_f32 v[4:5], v[4:5], v[96:97], v[14:15] op_sel:[0,0,1] op_sel_hi:[1,0,0]
	v_mov_b32_e32 v4, v95
	v_mov_b32_e32 v17, v5
	s_waitcnt lgkmcnt(1)
	v_pk_mul_f32 v[4:5], v[6:7], v[4:5] op_sel_hi:[1,0]
	v_pk_fma_f32 v[14:15], v[6:7], v[94:95], v[4:5] op_sel:[0,0,1] op_sel_hi:[1,1,0] neg_lo:[0,0,1] neg_hi:[0,0,1]
	v_pk_fma_f32 v[4:5], v[6:7], v[94:95], v[4:5] op_sel:[0,0,1] op_sel_hi:[1,0,0]
	s_waitcnt vmcnt(1)
	v_mov_b32_e32 v4, v107
	v_mov_b32_e32 v15, v5
	v_pk_mul_f32 v[4:5], v[8:9], v[4:5] op_sel_hi:[1,0]
	s_waitcnt vmcnt(0)
	v_pk_fma_f32 v[6:7], v[8:9], v[106:107], v[4:5] op_sel:[0,0,1] op_sel_hi:[1,1,0] neg_lo:[0,0,1] neg_hi:[0,0,1]
	v_pk_fma_f32 v[4:5], v[8:9], v[106:107], v[4:5] op_sel:[0,0,1] op_sel_hi:[1,0,0]
	v_pk_add_f32 v[2:3], v[2:3], v[16:17]
	v_mov_b32_e32 v4, v105
	v_pk_add_f32 v[2:3], v[2:3], v[14:15]
	v_mov_b32_e32 v7, v5
	s_waitcnt lgkmcnt(0)
	v_pk_mul_f32 v[4:5], v[10:11], v[4:5] op_sel_hi:[1,0]
	v_pk_add_f32 v[2:3], v[2:3], v[6:7]
	v_pk_fma_f32 v[6:7], v[10:11], v[104:105], v[4:5] op_sel:[0,0,1] op_sel_hi:[1,1,0] neg_lo:[0,0,1] neg_hi:[0,0,1]
	v_pk_fma_f32 v[4:5], v[10:11], v[104:105], v[4:5] op_sel:[0,0,1] op_sel_hi:[1,0,0]
	v_mov_b32_e32 v4, v103
	v_mov_b32_e32 v7, v5
	v_pk_mul_f32 v[4:5], v[12:13], v[4:5] op_sel_hi:[1,0]
	v_pk_add_f32 v[2:3], v[2:3], v[6:7]
	v_pk_fma_f32 v[6:7], v[12:13], v[102:103], v[4:5] op_sel:[0,0,1] op_sel_hi:[1,1,0] neg_lo:[0,0,1] neg_hi:[0,0,1]
	v_pk_fma_f32 v[4:5], v[12:13], v[102:103], v[4:5] op_sel:[0,0,1] op_sel_hi:[1,0,0]
	v_mov_b32_e32 v7, v5
	v_pk_add_f32 v[2:3], v[2:3], v[6:7]
	v_pk_add_f32 v[2:3], v[26:27], v[2:3] neg_lo:[0,1] neg_hi:[0,1]
	buffer_store_dword v3, off, s[0:3], 0 offset:36
	buffer_store_dword v2, off, s[0:3], 0 offset:32
	s_and_saveexec_b64 s[4:5], vcc
	s_cbranch_execz .LBB114_313
; %bb.312:
	buffer_load_dword v2, off, s[0:3], 0 offset:24
	buffer_load_dword v3, off, s[0:3], 0 offset:28
	v_mov_b32_e32 v1, 0
	buffer_store_dword v1, off, s[0:3], 0 offset:24
	buffer_store_dword v1, off, s[0:3], 0 offset:28
	s_waitcnt vmcnt(2)
	ds_write_b64 v121, v[2:3]
.LBB114_313:
	s_or_b64 exec, exec, s[4:5]
	s_waitcnt lgkmcnt(0)
	; wave barrier
	s_waitcnt lgkmcnt(0)
	buffer_load_dword v32, off, s[0:3], 0 offset:36
	buffer_load_dword v31, off, s[0:3], 0 offset:44
	;; [unrolled: 1-line block ×48, first 2 shown]
	v_mov_b32_e32 v36, 0
	ds_read_b128 v[22:25], v36 offset:448
	ds_read_b128 v[18:21], v36 offset:464
	;; [unrolled: 1-line block ×6, first 2 shown]
	buffer_load_dword v225, off, s[0:3], 0 offset:216
	buffer_load_dword v226, off, s[0:3], 0 offset:220
	;; [unrolled: 1-line block ×12, first 2 shown]
	v_cmp_lt_u32_e32 vcc, 2, v0
	s_waitcnt vmcnt(59) lgkmcnt(5)
	v_mul_f32_e32 v35, v22, v32
	s_waitcnt vmcnt(58)
	v_mul_f32_e32 v38, v24, v31
	s_waitcnt vmcnt(57) lgkmcnt(4)
	v_mul_f32_e32 v40, v20, v30
	s_waitcnt vmcnt(56) lgkmcnt(3)
	v_mul_f32_e32 v41, v14, v29
	s_waitcnt vmcnt(55)
	v_mul_f32_e32 v42, v16, v1
	s_waitcnt vmcnt(54)
	v_mul_f32_e32 v39, v18, v33
	s_waitcnt vmcnt(53) lgkmcnt(2)
	v_mul_f32_e32 v43, v10, v28
	s_waitcnt vmcnt(52)
	v_mul_f32_e32 v44, v12, v34
	s_waitcnt vmcnt(51) lgkmcnt(1)
	v_mul_f32_e32 v45, v6, v37
	s_waitcnt vmcnt(50)
	v_mul_f32_e32 v46, v8, v94
	s_waitcnt vmcnt(49)
	v_fmac_f32_e32 v39, v19, v96
	s_waitcnt vmcnt(48)
	v_fmac_f32_e32 v38, v25, v108
	;; [unrolled: 2-line block ×3, first 2 shown]
	v_add_f32_e32 v35, 0, v35
	v_add_f32_e32 v35, v35, v38
	;; [unrolled: 1-line block ×3, first 2 shown]
	s_waitcnt vmcnt(43)
	v_fmac_f32_e32 v40, v21, v195
	v_fmac_f32_e32 v41, v15, v194
	v_add_f32_e32 v35, v35, v40
	v_fmac_f32_e32 v42, v17, v111
	v_add_f32_e32 v35, v35, v41
	v_fmac_f32_e32 v43, v11, v110
	v_add_f32_e32 v35, v35, v42
	s_waitcnt vmcnt(39)
	v_fmac_f32_e32 v44, v13, v199
	v_add_f32_e32 v35, v35, v43
	v_fmac_f32_e32 v45, v7, v198
	v_add_f32_e32 v35, v35, v44
	;; [unrolled: 2-line block ×3, first 2 shown]
	s_waitcnt vmcnt(38) lgkmcnt(0)
	v_mul_f32_e32 v38, v2, v200
	v_add_f32_e32 v35, v35, v46
	v_fmac_f32_e32 v38, v3, v196
	v_add_f32_e32 v35, v35, v38
	ds_read_b128 v[38:41], v36 offset:544
	buffer_load_dword v237, off, s[0:3], 0 offset:264
	buffer_load_dword v238, off, s[0:3], 0 offset:268
	;; [unrolled: 1-line block ×4, first 2 shown]
	s_waitcnt vmcnt(35)
	v_mul_f32_e32 v42, v4, v207
	s_waitcnt vmcnt(34)
	v_fmac_f32_e32 v42, v5, v208
	v_add_f32_e32 v35, v35, v42
	ds_read_b128 v[42:45], v36 offset:560
	buffer_load_dword v241, off, s[0:3], 0 offset:280
	buffer_load_dword v242, off, s[0:3], 0 offset:284
	;; [unrolled: 1-line block ×10, first 2 shown]
	s_waitcnt lgkmcnt(1)
	v_mul_f32_e32 v46, v38, v202
	v_fmac_f32_e32 v46, v39, v201
	v_add_f32_e32 v35, v35, v46
	v_mul_f32_e32 v46, v40, v204
	v_fmac_f32_e32 v46, v41, v203
	v_add_f32_e32 v35, v35, v46
	s_waitcnt lgkmcnt(0)
	v_mul_f32_e32 v46, v42, v206
	v_fmac_f32_e32 v46, v43, v205
	v_add_f32_e32 v35, v35, v46
	buffer_load_dword v251, off, s[0:3], 0 offset:320
	buffer_load_dword v252, off, s[0:3], 0 offset:324
	buffer_load_dword v253, off, s[0:3], 0 offset:328
	buffer_load_dword v254, off, s[0:3], 0 offset:332
	buffer_load_dword v255, off, s[0:3], 0 offset:336
	buffer_load_dword v112, off, s[0:3], 0 offset:340
	ds_read_b128 v[46:49], v36 offset:576
	s_waitcnt vmcnt(46)
	v_mul_f32_e32 v50, v44, v210
	v_fmac_f32_e32 v50, v45, v209
	v_add_f32_e32 v35, v35, v50
	ds_read_b128 v[50:53], v36 offset:592
	s_waitcnt vmcnt(44) lgkmcnt(1)
	v_mul_f32_e32 v54, v46, v212
	v_fmac_f32_e32 v54, v47, v211
	v_add_f32_e32 v35, v35, v54
	s_waitcnt vmcnt(42)
	v_mul_f32_e32 v54, v48, v214
	v_fmac_f32_e32 v54, v49, v213
	v_add_f32_e32 v35, v35, v54
	s_waitcnt vmcnt(40) lgkmcnt(0)
	v_mul_f32_e32 v54, v50, v216
	v_fmac_f32_e32 v54, v51, v215
	v_add_f32_e32 v35, v35, v54
	ds_read_b128 v[54:57], v36 offset:608
	s_waitcnt vmcnt(38)
	v_mul_f32_e32 v58, v52, v218
	v_fmac_f32_e32 v58, v53, v217
	v_add_f32_e32 v35, v35, v58
	ds_read_b128 v[58:61], v36 offset:624
	s_waitcnt vmcnt(36) lgkmcnt(1)
	v_mul_f32_e32 v62, v54, v220
	v_fmac_f32_e32 v62, v55, v219
	v_add_f32_e32 v35, v35, v62
	s_waitcnt vmcnt(34)
	v_mul_f32_e32 v62, v56, v222
	v_fmac_f32_e32 v62, v57, v221
	v_add_f32_e32 v35, v35, v62
	s_waitcnt vmcnt(32) lgkmcnt(0)
	v_mul_f32_e32 v62, v58, v224
	v_fmac_f32_e32 v62, v59, v223
	v_add_f32_e32 v35, v35, v62
	;; [unrolled: 18-line block ×3, first 2 shown]
	ds_read_b128 v[70:73], v36 offset:672
	s_waitcnt vmcnt(22)
	v_mul_f32_e32 v74, v68, v234
	v_fmac_f32_e32 v74, v69, v233
	v_add_f32_e32 v35, v35, v74
	ds_read_b128 v[74:77], v36 offset:688
	s_waitcnt vmcnt(20) lgkmcnt(1)
	v_mul_f32_e32 v78, v70, v236
	v_fmac_f32_e32 v78, v71, v235
	v_add_f32_e32 v35, v35, v78
	v_mul_f32_e32 v23, v23, v32
	v_fma_f32 v22, v22, v109, -v23
	v_mul_f32_e32 v23, v25, v31
	v_add_f32_e32 v22, 0, v22
	v_fma_f32 v23, v24, v108, -v23
	v_mul_f32_e32 v19, v19, v33
	v_add_f32_e32 v22, v22, v23
	v_fma_f32 v18, v18, v96, -v19
	v_mul_f32_e32 v19, v21, v30
	s_waitcnt vmcnt(18)
	v_mul_f32_e32 v78, v72, v238
	v_fmac_f32_e32 v78, v73, v237
	v_add_f32_e32 v35, v35, v78
	s_waitcnt vmcnt(16) lgkmcnt(0)
	v_mul_f32_e32 v78, v74, v240
	v_fmac_f32_e32 v78, v75, v239
	v_add_f32_e32 v35, v35, v78
	ds_read_b128 v[78:81], v36 offset:704
	s_waitcnt vmcnt(14)
	v_mul_f32_e32 v82, v76, v242
	v_fmac_f32_e32 v82, v77, v241
	v_add_f32_e32 v35, v35, v82
	ds_read_b128 v[82:85], v36 offset:720
	s_waitcnt vmcnt(12) lgkmcnt(1)
	v_mul_f32_e32 v86, v78, v244
	v_fmac_f32_e32 v86, v79, v243
	v_add_f32_e32 v35, v35, v86
	s_waitcnt vmcnt(10)
	v_mul_f32_e32 v86, v80, v246
	v_fmac_f32_e32 v86, v81, v245
	v_add_f32_e32 v35, v35, v86
	s_waitcnt vmcnt(8) lgkmcnt(0)
	v_mul_f32_e32 v86, v82, v248
	v_fmac_f32_e32 v86, v83, v247
	s_waitcnt vmcnt(6)
	v_mul_f32_e32 v90, v84, v250
	v_add_f32_e32 v35, v35, v86
	v_fmac_f32_e32 v90, v85, v249
	ds_read_b128 v[86:89], v36 offset:736
	v_add_f32_e32 v35, v35, v90
	ds_read_b128 v[90:93], v36 offset:752
	buffer_load_dword v99, off, s[0:3], 0 offset:372
	buffer_load_dword v98, off, s[0:3], 0 offset:368
	buffer_load_dword v101, off, s[0:3], 0 offset:364
	buffer_load_dword v100, off, s[0:3], 0 offset:360
	buffer_load_dword v103, off, s[0:3], 0 offset:356
	buffer_load_dword v102, off, s[0:3], 0 offset:352
	buffer_load_dword v105, off, s[0:3], 0 offset:348
	buffer_load_dword v104, off, s[0:3], 0 offset:344
	buffer_load_dword v107, off, s[0:3], 0 offset:404
	buffer_load_dword v106, off, s[0:3], 0 offset:400
	buffer_load_dword v189, off, s[0:3], 0 offset:396
	buffer_load_dword v188, off, s[0:3], 0 offset:392
	buffer_load_dword v191, off, s[0:3], 0 offset:388
	buffer_load_dword v190, off, s[0:3], 0 offset:384
	buffer_load_dword v193, off, s[0:3], 0 offset:380
	buffer_load_dword v192, off, s[0:3], 0 offset:376
	v_add_f32_e32 v18, v22, v18
	v_fma_f32 v19, v20, v195, -v19
	v_mul_f32_e32 v15, v15, v29
	v_add_f32_e32 v18, v18, v19
	v_fma_f32 v14, v14, v194, -v15
	v_mul_f32_e32 v1, v17, v1
	;; [unrolled: 3-line block ×3, first 2 shown]
	v_add_f32_e32 v1, v14, v1
	v_fma_f32 v10, v10, v110, -v11
	v_add_f32_e32 v1, v1, v10
	v_mul_f32_e32 v10, v13, v34
	v_fma_f32 v10, v12, v199, -v10
	v_mul_f32_e32 v7, v7, v37
	v_add_f32_e32 v1, v1, v10
	v_fma_f32 v6, v6, v198, -v7
	v_add_f32_e32 v1, v1, v6
	v_mul_f32_e32 v6, v9, v94
	v_fma_f32 v6, v8, v197, -v6
	v_mul_f32_e32 v3, v3, v200
	v_add_f32_e32 v1, v1, v6
	v_fma_f32 v2, v2, v196, -v3
	v_add_f32_e32 v1, v1, v2
	v_mul_f32_e32 v2, v5, v207
	v_fma_f32 v2, v4, v208, -v2
	v_add_f32_e32 v1, v1, v2
	v_mul_f32_e32 v2, v39, v202
	v_fma_f32 v2, v38, v201, -v2
	v_add_f32_e32 v1, v1, v2
	v_mul_f32_e32 v2, v41, v204
	v_fma_f32 v2, v40, v203, -v2
	v_add_f32_e32 v1, v1, v2
	v_mul_f32_e32 v2, v43, v206
	v_fma_f32 v2, v42, v205, -v2
	v_add_f32_e32 v1, v1, v2
	v_mul_f32_e32 v2, v45, v210
	v_fma_f32 v2, v44, v209, -v2
	v_add_f32_e32 v1, v1, v2
	v_mul_f32_e32 v2, v47, v212
	v_fma_f32 v2, v46, v211, -v2
	v_add_f32_e32 v1, v1, v2
	v_mul_f32_e32 v2, v49, v214
	v_fma_f32 v2, v48, v213, -v2
	v_add_f32_e32 v1, v1, v2
	v_mul_f32_e32 v2, v51, v216
	v_fma_f32 v2, v50, v215, -v2
	v_add_f32_e32 v1, v1, v2
	v_mul_f32_e32 v2, v53, v218
	v_fma_f32 v2, v52, v217, -v2
	v_add_f32_e32 v1, v1, v2
	v_mul_f32_e32 v2, v55, v220
	v_fma_f32 v2, v54, v219, -v2
	v_add_f32_e32 v1, v1, v2
	v_mul_f32_e32 v2, v57, v222
	v_fma_f32 v2, v56, v221, -v2
	v_add_f32_e32 v1, v1, v2
	v_mul_f32_e32 v2, v59, v224
	v_fma_f32 v2, v58, v223, -v2
	v_add_f32_e32 v1, v1, v2
	v_mul_f32_e32 v2, v61, v226
	v_fma_f32 v2, v60, v225, -v2
	v_add_f32_e32 v1, v1, v2
	v_mul_f32_e32 v2, v63, v228
	v_fma_f32 v2, v62, v227, -v2
	v_add_f32_e32 v1, v1, v2
	v_mul_f32_e32 v2, v65, v230
	v_fma_f32 v2, v64, v229, -v2
	v_add_f32_e32 v1, v1, v2
	v_mul_f32_e32 v2, v67, v232
	v_fma_f32 v2, v66, v231, -v2
	v_add_f32_e32 v1, v1, v2
	v_mul_f32_e32 v2, v69, v234
	v_fma_f32 v2, v68, v233, -v2
	v_add_f32_e32 v1, v1, v2
	v_mul_f32_e32 v2, v71, v236
	v_fma_f32 v2, v70, v235, -v2
	v_add_f32_e32 v1, v1, v2
	v_mul_f32_e32 v2, v73, v238
	v_fma_f32 v2, v72, v237, -v2
	v_add_f32_e32 v1, v1, v2
	v_mul_f32_e32 v2, v75, v240
	v_fma_f32 v2, v74, v239, -v2
	v_add_f32_e32 v1, v1, v2
	v_mul_f32_e32 v2, v77, v242
	v_fma_f32 v2, v76, v241, -v2
	v_add_f32_e32 v1, v1, v2
	v_mul_f32_e32 v2, v79, v244
	v_fma_f32 v2, v78, v243, -v2
	v_add_f32_e32 v1, v1, v2
	v_mul_f32_e32 v2, v81, v246
	v_fma_f32 v2, v80, v245, -v2
	v_add_f32_e32 v1, v1, v2
	v_mul_f32_e32 v2, v83, v248
	v_fma_f32 v2, v82, v247, -v2
	v_add_f32_e32 v1, v1, v2
	v_mul_f32_e32 v2, v85, v250
	v_fma_f32 v2, v84, v249, -v2
	s_waitcnt vmcnt(20) lgkmcnt(1)
	v_mul_f32_e32 v95, v86, v252
	v_add_f32_e32 v1, v1, v2
	v_mul_f32_e32 v2, v87, v252
	v_fmac_f32_e32 v95, v87, v251
	v_fma_f32 v2, v86, v251, -v2
	s_waitcnt vmcnt(9)
	v_mov_b32_e32 v18, v105
	v_add_f32_e32 v35, v35, v95
	v_mul_f32_e32 v95, v88, v254
	v_add_f32_e32 v34, v1, v2
	v_mul_f32_e32 v1, v89, v254
	s_waitcnt lgkmcnt(0)
	v_pk_mul_f32 v[18:19], v[92:93], v[18:19] op_sel_hi:[1,0]
	v_fmac_f32_e32 v95, v89, v253
	v_mul_f32_e32 v97, v90, v112
	v_fma_f32 v94, v88, v253, -v1
	v_mul_f32_e32 v1, v91, v112
	ds_read_b128 v[2:5], v36 offset:768
	ds_read_b128 v[6:9], v36 offset:784
	ds_read_b128 v[10:13], v36 offset:800
	ds_read_b64 v[14:15], v36 offset:816
	s_waitcnt vmcnt(8)
	v_pk_fma_f32 v[20:21], v[92:93], v[104:105], v[18:19] op_sel:[0,0,1] op_sel_hi:[1,1,0] neg_lo:[0,0,1] neg_hi:[0,0,1]
	v_pk_fma_f32 v[18:19], v[92:93], v[104:105], v[18:19] op_sel:[0,0,1] op_sel_hi:[1,0,0]
	v_fmac_f32_e32 v97, v91, v255
	v_fma_f32 v96, v90, v255, -v1
	v_pk_add_f32 v[16:17], v[34:35], v[94:95]
	v_mov_b32_e32 v18, v103
	v_pk_add_f32 v[16:17], v[16:17], v[96:97]
	v_mov_b32_e32 v21, v19
	s_waitcnt lgkmcnt(3)
	v_pk_mul_f32 v[18:19], v[2:3], v[18:19] op_sel_hi:[1,0]
	v_pk_add_f32 v[16:17], v[16:17], v[20:21]
	v_pk_fma_f32 v[20:21], v[2:3], v[102:103], v[18:19] op_sel:[0,0,1] op_sel_hi:[1,1,0] neg_lo:[0,0,1] neg_hi:[0,0,1]
	v_pk_fma_f32 v[2:3], v[2:3], v[102:103], v[18:19] op_sel:[0,0,1] op_sel_hi:[1,0,0]
	v_mov_b32_e32 v21, v3
	v_pk_add_f32 v[2:3], v[16:17], v[20:21]
	v_mov_b32_e32 v16, v101
	v_pk_mul_f32 v[16:17], v[4:5], v[16:17] op_sel_hi:[1,0]
	v_pk_fma_f32 v[18:19], v[4:5], v[100:101], v[16:17] op_sel:[0,0,1] op_sel_hi:[1,1,0] neg_lo:[0,0,1] neg_hi:[0,0,1]
	v_pk_fma_f32 v[4:5], v[4:5], v[100:101], v[16:17] op_sel:[0,0,1] op_sel_hi:[1,0,0]
	v_mov_b32_e32 v4, v99
	v_mov_b32_e32 v19, v5
	s_waitcnt lgkmcnt(2)
	v_pk_mul_f32 v[4:5], v[6:7], v[4:5] op_sel_hi:[1,0]
	v_pk_fma_f32 v[16:17], v[6:7], v[98:99], v[4:5] op_sel:[0,0,1] op_sel_hi:[1,1,0] neg_lo:[0,0,1] neg_hi:[0,0,1]
	v_pk_fma_f32 v[4:5], v[6:7], v[98:99], v[4:5] op_sel:[0,0,1] op_sel_hi:[1,0,0]
	s_waitcnt vmcnt(1)
	v_mov_b32_e32 v4, v193
	v_mov_b32_e32 v17, v5
	v_pk_mul_f32 v[4:5], v[8:9], v[4:5] op_sel_hi:[1,0]
	s_waitcnt vmcnt(0)
	v_pk_fma_f32 v[6:7], v[8:9], v[192:193], v[4:5] op_sel:[0,0,1] op_sel_hi:[1,1,0] neg_lo:[0,0,1] neg_hi:[0,0,1]
	v_pk_fma_f32 v[4:5], v[8:9], v[192:193], v[4:5] op_sel:[0,0,1] op_sel_hi:[1,0,0]
	v_pk_add_f32 v[2:3], v[2:3], v[18:19]
	v_mov_b32_e32 v4, v191
	v_pk_add_f32 v[2:3], v[2:3], v[16:17]
	v_mov_b32_e32 v7, v5
	s_waitcnt lgkmcnt(1)
	v_pk_mul_f32 v[4:5], v[10:11], v[4:5] op_sel_hi:[1,0]
	v_pk_add_f32 v[2:3], v[2:3], v[6:7]
	v_pk_fma_f32 v[6:7], v[10:11], v[190:191], v[4:5] op_sel:[0,0,1] op_sel_hi:[1,1,0] neg_lo:[0,0,1] neg_hi:[0,0,1]
	v_pk_fma_f32 v[4:5], v[10:11], v[190:191], v[4:5] op_sel:[0,0,1] op_sel_hi:[1,0,0]
	v_mov_b32_e32 v4, v189
	v_mov_b32_e32 v7, v5
	v_pk_mul_f32 v[4:5], v[12:13], v[4:5] op_sel_hi:[1,0]
	v_pk_add_f32 v[2:3], v[2:3], v[6:7]
	v_pk_fma_f32 v[6:7], v[12:13], v[188:189], v[4:5] op_sel:[0,0,1] op_sel_hi:[1,1,0] neg_lo:[0,0,1] neg_hi:[0,0,1]
	v_pk_fma_f32 v[4:5], v[12:13], v[188:189], v[4:5] op_sel:[0,0,1] op_sel_hi:[1,0,0]
	v_mov_b32_e32 v4, v107
	v_mov_b32_e32 v7, v5
	s_waitcnt lgkmcnt(0)
	v_pk_mul_f32 v[4:5], v[14:15], v[4:5] op_sel_hi:[1,0]
	v_pk_add_f32 v[2:3], v[2:3], v[6:7]
	v_pk_fma_f32 v[6:7], v[14:15], v[106:107], v[4:5] op_sel:[0,0,1] op_sel_hi:[1,1,0] neg_lo:[0,0,1] neg_hi:[0,0,1]
	v_pk_fma_f32 v[4:5], v[14:15], v[106:107], v[4:5] op_sel:[0,0,1] op_sel_hi:[1,0,0]
	v_mov_b32_e32 v7, v5
	v_pk_add_f32 v[2:3], v[2:3], v[6:7]
	v_pk_add_f32 v[2:3], v[26:27], v[2:3] neg_lo:[0,1] neg_hi:[0,1]
	buffer_store_dword v3, off, s[0:3], 0 offset:28
	buffer_store_dword v2, off, s[0:3], 0 offset:24
	s_and_saveexec_b64 s[4:5], vcc
	s_cbranch_execz .LBB114_315
; %bb.314:
	buffer_load_dword v2, off, s[0:3], 0 offset:16
	buffer_load_dword v3, off, s[0:3], 0 offset:20
	s_waitcnt vmcnt(0)
	ds_write_b64 v121, v[2:3]
	buffer_store_dword v36, off, s[0:3], 0 offset:16
	buffer_store_dword v36, off, s[0:3], 0 offset:20
.LBB114_315:
	s_or_b64 exec, exec, s[4:5]
	s_waitcnt lgkmcnt(0)
	; wave barrier
	s_waitcnt lgkmcnt(0)
	buffer_load_dword v41, off, s[0:3], 0 offset:28
	buffer_load_dword v40, off, s[0:3], 0 offset:36
	;; [unrolled: 1-line block ×32, first 2 shown]
	ds_read2_b64 v[22:25], v36 offset0:55 offset1:56
	ds_read2_b64 v[18:21], v36 offset0:57 offset1:58
	;; [unrolled: 1-line block ×6, first 2 shown]
	buffer_load_dword v207, off, s[0:3], 0 offset:144
	buffer_load_dword v208, off, s[0:3], 0 offset:148
	;; [unrolled: 1-line block ×26, first 2 shown]
	v_cmp_lt_u32_e32 vcc, 1, v0
	s_waitcnt vmcnt(57) lgkmcnt(5)
	v_mul_f32_e32 v26, v22, v41
	s_waitcnt vmcnt(56)
	v_mul_f32_e32 v27, v24, v40
	s_waitcnt vmcnt(55) lgkmcnt(4)
	v_mul_f32_e32 v29, v20, v39
	s_waitcnt vmcnt(54) lgkmcnt(3)
	v_mul_f32_e32 v30, v14, v38
	s_waitcnt vmcnt(53)
	v_mul_f32_e32 v31, v16, v1
	s_waitcnt vmcnt(52)
	v_mul_f32_e32 v28, v18, v42
	s_waitcnt vmcnt(51) lgkmcnt(2)
	v_mul_f32_e32 v32, v10, v37
	s_waitcnt vmcnt(50)
	v_mul_f32_e32 v33, v12, v43
	s_waitcnt vmcnt(49) lgkmcnt(1)
	;; [unrolled: 4-line block ×3, first 2 shown]
	v_mul_f32_e32 v46, v2, v102
	s_waitcnt vmcnt(46)
	v_fmac_f32_e32 v28, v19, v108
	s_waitcnt vmcnt(45)
	v_fmac_f32_e32 v27, v25, v109
	;; [unrolled: 2-line block ×3, first 2 shown]
	v_add_f32_e32 v26, 0, v26
	v_add_f32_e32 v26, v26, v27
	;; [unrolled: 1-line block ×3, first 2 shown]
	s_waitcnt vmcnt(40)
	v_fmac_f32_e32 v29, v21, v194
	v_fmac_f32_e32 v30, v15, v113
	v_add_f32_e32 v26, v26, v29
	v_fmac_f32_e32 v31, v17, v112
	v_add_f32_e32 v26, v26, v30
	;; [unrolled: 2-line block ×3, first 2 shown]
	s_waitcnt vmcnt(36)
	v_fmac_f32_e32 v33, v13, v198
	v_add_f32_e32 v26, v26, v32
	v_fmac_f32_e32 v44, v7, v197
	v_add_f32_e32 v26, v26, v33
	;; [unrolled: 2-line block ×4, first 2 shown]
	s_waitcnt vmcnt(30)
	v_mul_f32_e32 v27, v4, v204
	v_add_f32_e32 v26, v26, v46
	s_waitcnt vmcnt(29)
	v_fmac_f32_e32 v27, v5, v205
	v_add_f32_e32 v44, v26, v27
	ds_read2_b64 v[26:29], v36 offset0:67 offset1:68
	buffer_load_dword v233, off, s[0:3], 0 offset:248
	buffer_load_dword v234, off, s[0:3], 0 offset:252
	ds_read2_b64 v[30:33], v36 offset0:69 offset1:70
	buffer_load_dword v235, off, s[0:3], 0 offset:256
	buffer_load_dword v236, off, s[0:3], 0 offset:260
	buffer_load_dword v237, off, s[0:3], 0 offset:264
	buffer_load_dword v238, off, s[0:3], 0 offset:268
	buffer_load_dword v239, off, s[0:3], 0 offset:272
	buffer_load_dword v240, off, s[0:3], 0 offset:276
	buffer_load_dword v241, off, s[0:3], 0 offset:280
	buffer_load_dword v242, off, s[0:3], 0 offset:284
	buffer_load_dword v243, off, s[0:3], 0 offset:288
	buffer_load_dword v244, off, s[0:3], 0 offset:292
	buffer_load_dword v245, off, s[0:3], 0 offset:296
	buffer_load_dword v246, off, s[0:3], 0 offset:300
	buffer_load_dword v247, off, s[0:3], 0 offset:304
	buffer_load_dword v248, off, s[0:3], 0 offset:308
	s_waitcnt vmcnt(44) lgkmcnt(1)
	v_mul_f32_e32 v45, v26, v206
	v_fmac_f32_e32 v45, v27, v203
	v_add_f32_e32 v44, v44, v45
	v_mul_f32_e32 v45, v28, v200
	v_fmac_f32_e32 v45, v29, v199
	v_add_f32_e32 v44, v44, v45
	s_waitcnt lgkmcnt(0)
	v_mul_f32_e32 v45, v30, v202
	v_fmac_f32_e32 v45, v31, v201
	v_add_f32_e32 v48, v44, v45
	buffer_load_dword v249, off, s[0:3], 0 offset:312
	buffer_load_dword v250, off, s[0:3], 0 offset:316
	ds_read2_b64 v[44:47], v36 offset0:71 offset1:72
	s_waitcnt vmcnt(42)
	v_mul_f32_e32 v49, v32, v208
	v_fmac_f32_e32 v49, v33, v207
	buffer_load_dword v251, off, s[0:3], 0 offset:320
	buffer_load_dword v252, off, s[0:3], 0 offset:324
	v_add_f32_e32 v52, v48, v49
	buffer_load_dword v253, off, s[0:3], 0 offset:328
	buffer_load_dword v254, off, s[0:3], 0 offset:332
	ds_read2_b64 v[48:51], v36 offset0:73 offset1:74
	s_waitcnt vmcnt(44) lgkmcnt(1)
	v_mul_f32_e32 v53, v44, v210
	v_fmac_f32_e32 v53, v45, v209
	v_add_f32_e32 v52, v52, v53
	s_waitcnt vmcnt(42)
	v_mul_f32_e32 v53, v46, v212
	v_fmac_f32_e32 v53, v47, v211
	v_add_f32_e32 v52, v52, v53
	s_waitcnt vmcnt(40) lgkmcnt(0)
	v_mul_f32_e32 v53, v48, v214
	v_fmac_f32_e32 v53, v49, v213
	buffer_load_dword v255, off, s[0:3], 0 offset:336
	buffer_load_dword v114, off, s[0:3], 0 offset:340
	v_add_f32_e32 v56, v52, v53
	ds_read2_b64 v[52:55], v36 offset0:75 offset1:76
	s_waitcnt vmcnt(40)
	v_mul_f32_e32 v57, v50, v216
	v_fmac_f32_e32 v57, v51, v215
	v_add_f32_e32 v60, v56, v57
	ds_read2_b64 v[56:59], v36 offset0:77 offset1:78
	s_waitcnt vmcnt(38) lgkmcnt(1)
	v_mul_f32_e32 v61, v52, v218
	v_fmac_f32_e32 v61, v53, v217
	v_add_f32_e32 v60, v60, v61
	s_waitcnt vmcnt(36)
	v_mul_f32_e32 v61, v54, v220
	v_fmac_f32_e32 v61, v55, v219
	v_add_f32_e32 v60, v60, v61
	s_waitcnt vmcnt(34) lgkmcnt(0)
	v_mul_f32_e32 v61, v56, v222
	v_fmac_f32_e32 v61, v57, v221
	v_add_f32_e32 v64, v60, v61
	ds_read2_b64 v[60:63], v36 offset0:79 offset1:80
	s_waitcnt vmcnt(32)
	v_mul_f32_e32 v65, v58, v224
	v_fmac_f32_e32 v65, v59, v223
	v_add_f32_e32 v68, v64, v65
	ds_read2_b64 v[64:67], v36 offset0:81 offset1:82
	s_waitcnt vmcnt(30) lgkmcnt(1)
	v_mul_f32_e32 v69, v60, v226
	v_fmac_f32_e32 v69, v61, v225
	v_add_f32_e32 v68, v68, v69
	s_waitcnt vmcnt(28)
	v_mul_f32_e32 v69, v62, v228
	v_fmac_f32_e32 v69, v63, v227
	v_add_f32_e32 v68, v68, v69
	s_waitcnt vmcnt(26) lgkmcnt(0)
	v_mul_f32_e32 v69, v64, v230
	v_fmac_f32_e32 v69, v65, v229
	v_add_f32_e32 v72, v68, v69
	ds_read2_b64 v[68:71], v36 offset0:83 offset1:84
	s_waitcnt vmcnt(24)
	v_mul_f32_e32 v73, v66, v232
	v_fmac_f32_e32 v73, v67, v231
	v_add_f32_e32 v76, v72, v73
	ds_read2_b64 v[72:75], v36 offset0:85 offset1:86
	v_mul_f32_e32 v23, v23, v41
	v_fma_f32 v22, v22, v110, -v23
	v_mul_f32_e32 v23, v25, v40
	v_add_f32_e32 v22, 0, v22
	v_fma_f32 v23, v24, v109, -v23
	v_mul_f32_e32 v19, v19, v42
	v_add_f32_e32 v22, v22, v23
	;; [unrolled: 3-line block ×3, first 2 shown]
	v_fma_f32 v19, v20, v194, -v19
	s_waitcnt vmcnt(22) lgkmcnt(1)
	v_mul_f32_e32 v77, v68, v234
	v_fmac_f32_e32 v77, v69, v233
	v_add_f32_e32 v76, v76, v77
	s_waitcnt vmcnt(20)
	v_mul_f32_e32 v77, v70, v236
	v_fmac_f32_e32 v77, v71, v235
	v_add_f32_e32 v76, v76, v77
	s_waitcnt vmcnt(18) lgkmcnt(0)
	v_mul_f32_e32 v77, v72, v238
	v_fmac_f32_e32 v77, v73, v237
	v_add_f32_e32 v80, v76, v77
	ds_read2_b64 v[76:79], v36 offset0:87 offset1:88
	s_waitcnt vmcnt(16)
	v_mul_f32_e32 v81, v74, v240
	v_fmac_f32_e32 v81, v75, v239
	v_add_f32_e32 v84, v80, v81
	ds_read2_b64 v[80:83], v36 offset0:89 offset1:90
	s_waitcnt vmcnt(14) lgkmcnt(1)
	v_mul_f32_e32 v85, v76, v242
	v_fmac_f32_e32 v85, v77, v241
	v_add_f32_e32 v84, v84, v85
	s_waitcnt vmcnt(12)
	v_mul_f32_e32 v85, v78, v244
	v_fmac_f32_e32 v85, v79, v243
	v_add_f32_e32 v84, v84, v85
	s_waitcnt vmcnt(10) lgkmcnt(0)
	v_mul_f32_e32 v85, v80, v246
	v_fmac_f32_e32 v85, v81, v245
	s_waitcnt vmcnt(8)
	v_mul_f32_e32 v89, v82, v248
	v_add_f32_e32 v88, v84, v85
	v_fmac_f32_e32 v89, v83, v247
	ds_read2_b64 v[84:87], v36 offset0:91 offset1:92
	v_add_f32_e32 v93, v88, v89
	ds_read2_b64 v[88:91], v36 offset0:93 offset1:94
	buffer_load_dword v97, off, s[0:3], 0 offset:364
	buffer_load_dword v96, off, s[0:3], 0 offset:360
	;; [unrolled: 1-line block ×16, first 2 shown]
	v_mul_f32_e32 v15, v15, v38
	v_add_f32_e32 v18, v18, v19
	v_fma_f32 v14, v14, v113, -v15
	v_mul_f32_e32 v1, v17, v1
	v_add_f32_e32 v14, v18, v14
	v_fma_f32 v1, v16, v112, -v1
	;; [unrolled: 3-line block ×3, first 2 shown]
	v_add_f32_e32 v1, v1, v10
	v_mul_f32_e32 v10, v13, v43
	v_fma_f32 v10, v12, v198, -v10
	v_mul_f32_e32 v7, v7, v92
	v_add_f32_e32 v1, v1, v10
	v_fma_f32 v6, v6, v197, -v7
	v_add_f32_e32 v1, v1, v6
	v_mul_f32_e32 v6, v9, v94
	v_fma_f32 v6, v8, v196, -v6
	v_mul_f32_e32 v3, v3, v102
	v_add_f32_e32 v1, v1, v6
	v_fma_f32 v2, v2, v195, -v3
	v_add_f32_e32 v1, v1, v2
	v_mul_f32_e32 v2, v5, v204
	v_fma_f32 v2, v4, v205, -v2
	v_add_f32_e32 v1, v1, v2
	v_mul_f32_e32 v2, v27, v206
	;; [unrolled: 3-line block ×25, first 2 shown]
	v_fma_f32 v2, v82, v247, -v2
	v_add_f32_e32 v1, v1, v2
	s_waitcnt vmcnt(22) lgkmcnt(1)
	v_mul_f32_e32 v2, v85, v250
	v_mul_f32_e32 v95, v84, v250
	v_fma_f32 v2, v84, v249, -v2
	v_fmac_f32_e32 v95, v85, v249
	v_add_f32_e32 v1, v1, v2
	s_waitcnt vmcnt(20)
	v_mul_f32_e32 v2, v87, v252
	v_add_f32_e32 v93, v93, v95
	v_mul_f32_e32 v95, v86, v252
	v_fma_f32 v2, v86, v251, -v2
	v_fmac_f32_e32 v95, v87, v251
	v_add_f32_e32 v92, v1, v2
	ds_read2_b64 v[2:5], v36 offset0:95 offset1:96
	ds_read2_b64 v[6:9], v36 offset0:97 offset1:98
	;; [unrolled: 1-line block ×4, first 2 shown]
	v_add_f32_e32 v93, v93, v95
	s_waitcnt vmcnt(18) lgkmcnt(4)
	v_mul_f32_e32 v95, v88, v254
	v_mul_f32_e32 v1, v89, v254
	s_waitcnt vmcnt(11)
	v_mov_b32_e32 v20, v101
	v_fmac_f32_e32 v95, v89, v253
	v_mul_f32_e32 v103, v90, v114
	v_fma_f32 v94, v88, v253, -v1
	v_mul_f32_e32 v1, v91, v114
	s_waitcnt lgkmcnt(3)
	v_pk_mul_f32 v[20:21], v[2:3], v[20:21] op_sel_hi:[1,0]
	v_fmac_f32_e32 v103, v91, v255
	v_fma_f32 v102, v90, v255, -v1
	v_pk_add_f32 v[18:19], v[92:93], v[94:95]
	s_waitcnt vmcnt(10)
	v_pk_fma_f32 v[22:23], v[2:3], v[100:101], v[20:21] op_sel:[0,0,1] op_sel_hi:[1,1,0] neg_lo:[0,0,1] neg_hi:[0,0,1]
	v_pk_fma_f32 v[2:3], v[2:3], v[100:101], v[20:21] op_sel:[0,0,1] op_sel_hi:[1,0,0]
	v_pk_add_f32 v[18:19], v[18:19], v[102:103]
	v_mov_b32_e32 v23, v3
	v_pk_add_f32 v[2:3], v[18:19], v[22:23]
	v_mov_b32_e32 v18, v99
	v_pk_mul_f32 v[18:19], v[4:5], v[18:19] op_sel_hi:[1,0]
	v_pk_fma_f32 v[20:21], v[4:5], v[98:99], v[18:19] op_sel:[0,0,1] op_sel_hi:[1,1,0] neg_lo:[0,0,1] neg_hi:[0,0,1]
	v_pk_fma_f32 v[4:5], v[4:5], v[98:99], v[18:19] op_sel:[0,0,1] op_sel_hi:[1,0,0]
	v_mov_b32_e32 v4, v97
	v_mov_b32_e32 v21, v5
	s_waitcnt lgkmcnt(2)
	v_pk_mul_f32 v[4:5], v[6:7], v[4:5] op_sel_hi:[1,0]
	v_pk_fma_f32 v[18:19], v[6:7], v[96:97], v[4:5] op_sel:[0,0,1] op_sel_hi:[1,1,0] neg_lo:[0,0,1] neg_hi:[0,0,1]
	v_pk_fma_f32 v[4:5], v[6:7], v[96:97], v[4:5] op_sel:[0,0,1] op_sel_hi:[1,0,0]
	s_waitcnt vmcnt(3)
	v_mov_b32_e32 v4, v191
	v_mov_b32_e32 v19, v5
	v_pk_mul_f32 v[4:5], v[8:9], v[4:5] op_sel_hi:[1,0]
	s_waitcnt vmcnt(2)
	v_pk_fma_f32 v[6:7], v[8:9], v[190:191], v[4:5] op_sel:[0,0,1] op_sel_hi:[1,1,0] neg_lo:[0,0,1] neg_hi:[0,0,1]
	v_pk_fma_f32 v[4:5], v[8:9], v[190:191], v[4:5] op_sel:[0,0,1] op_sel_hi:[1,0,0]
	v_pk_add_f32 v[2:3], v[2:3], v[20:21]
	v_mov_b32_e32 v4, v189
	v_pk_add_f32 v[2:3], v[2:3], v[18:19]
	v_mov_b32_e32 v7, v5
	s_waitcnt lgkmcnt(1)
	v_pk_mul_f32 v[4:5], v[10:11], v[4:5] op_sel_hi:[1,0]
	v_pk_add_f32 v[2:3], v[2:3], v[6:7]
	v_pk_fma_f32 v[6:7], v[10:11], v[188:189], v[4:5] op_sel:[0,0,1] op_sel_hi:[1,1,0] neg_lo:[0,0,1] neg_hi:[0,0,1]
	v_pk_fma_f32 v[4:5], v[10:11], v[188:189], v[4:5] op_sel:[0,0,1] op_sel_hi:[1,0,0]
	v_mov_b32_e32 v4, v107
	v_mov_b32_e32 v7, v5
	v_pk_mul_f32 v[4:5], v[12:13], v[4:5] op_sel_hi:[1,0]
	v_pk_add_f32 v[2:3], v[2:3], v[6:7]
	v_pk_fma_f32 v[6:7], v[12:13], v[106:107], v[4:5] op_sel:[0,0,1] op_sel_hi:[1,1,0] neg_lo:[0,0,1] neg_hi:[0,0,1]
	v_pk_fma_f32 v[4:5], v[12:13], v[106:107], v[4:5] op_sel:[0,0,1] op_sel_hi:[1,0,0]
	v_mov_b32_e32 v4, v105
	v_mov_b32_e32 v7, v5
	s_waitcnt lgkmcnt(0)
	v_pk_mul_f32 v[4:5], v[14:15], v[4:5] op_sel_hi:[1,0]
	v_pk_add_f32 v[2:3], v[2:3], v[6:7]
	v_pk_fma_f32 v[6:7], v[14:15], v[104:105], v[4:5] op_sel:[0,0,1] op_sel_hi:[1,1,0] neg_lo:[0,0,1] neg_hi:[0,0,1]
	v_pk_fma_f32 v[4:5], v[14:15], v[104:105], v[4:5] op_sel:[0,0,1] op_sel_hi:[1,0,0]
	s_waitcnt vmcnt(1)
	v_mov_b32_e32 v4, v193
	v_mov_b32_e32 v7, v5
	v_pk_mul_f32 v[4:5], v[16:17], v[4:5] op_sel_hi:[1,0]
	v_pk_add_f32 v[2:3], v[2:3], v[6:7]
	s_waitcnt vmcnt(0)
	v_pk_fma_f32 v[6:7], v[16:17], v[192:193], v[4:5] op_sel:[0,0,1] op_sel_hi:[1,1,0] neg_lo:[0,0,1] neg_hi:[0,0,1]
	v_pk_fma_f32 v[4:5], v[16:17], v[192:193], v[4:5] op_sel:[0,0,1] op_sel_hi:[1,0,0]
	v_mov_b32_e32 v7, v5
	v_pk_add_f32 v[2:3], v[2:3], v[6:7]
	v_pk_add_f32 v[2:3], v[34:35], v[2:3] neg_lo:[0,1] neg_hi:[0,1]
	buffer_store_dword v3, off, s[0:3], 0 offset:20
	buffer_store_dword v2, off, s[0:3], 0 offset:16
	s_and_saveexec_b64 s[4:5], vcc
	s_cbranch_execz .LBB114_317
; %bb.316:
	buffer_load_dword v2, off, s[0:3], 0 offset:8
	buffer_load_dword v3, off, s[0:3], 0 offset:12
	v_mov_b32_e32 v1, 0
	buffer_store_dword v1, off, s[0:3], 0 offset:8
	buffer_store_dword v1, off, s[0:3], 0 offset:12
	s_waitcnt vmcnt(2)
	ds_write_b64 v121, v[2:3]
.LBB114_317:
	s_or_b64 exec, exec, s[4:5]
	v_mov_b32_e32 v212, 0
	s_waitcnt lgkmcnt(0)
	; wave barrier
	s_waitcnt lgkmcnt(0)
	ds_read_b128 v[2:5], v212 offset:432
	buffer_load_dword v188, off, s[0:3], 0 offset:8
	buffer_load_dword v189, off, s[0:3], 0 offset:12
	;; [unrolled: 1-line block ×16, first 2 shown]
	v_cmp_ne_u32_e32 vcc, 0, v0
	s_waitcnt vmcnt(12) lgkmcnt(0)
	v_mul_f32_e32 v1, v2, v213
	v_fmac_f32_e32 v1, v3, v190
	s_waitcnt vmcnt(10)
	v_mul_f32_e32 v6, v4, v215
	v_add_f32_e32 v1, 0, v1
	v_fmac_f32_e32 v6, v5, v192
	v_add_f32_e32 v1, v1, v6
	ds_read_b128 v[6:9], v212 offset:448
	v_mul_f32_e32 v3, v3, v213
	v_fma_f32 v2, v2, v190, -v3
	v_mul_f32_e32 v3, v5, v215
	v_add_f32_e32 v2, 0, v2
	s_waitcnt vmcnt(8) lgkmcnt(0)
	v_mul_f32_e32 v10, v6, v217
	v_fmac_f32_e32 v10, v7, v196
	v_add_f32_e32 v1, v1, v10
	s_waitcnt vmcnt(6)
	v_mul_f32_e32 v10, v8, v219
	v_fmac_f32_e32 v10, v9, v214
	v_add_f32_e32 v1, v1, v10
	ds_read_b128 v[10:13], v212 offset:464
	v_fma_f32 v3, v4, v192, -v3
	v_add_f32_e32 v2, v2, v3
	v_mul_f32_e32 v3, v7, v217
	v_fma_f32 v3, v6, v196, -v3
	s_waitcnt vmcnt(4) lgkmcnt(0)
	v_mul_f32_e32 v14, v10, v221
	v_fmac_f32_e32 v14, v11, v216
	v_add_f32_e32 v1, v1, v14
	s_waitcnt vmcnt(2)
	v_mul_f32_e32 v14, v12, v222
	v_fmac_f32_e32 v14, v13, v218
	v_add_f32_e32 v1, v1, v14
	ds_read_b128 v[14:17], v212 offset:480
	buffer_load_dword v224, off, s[0:3], 0 offset:72
	buffer_load_dword v225, off, s[0:3], 0 offset:76
	v_add_f32_e32 v2, v2, v3
	v_mul_f32_e32 v3, v9, v219
	v_fma_f32 v3, v8, v214, -v3
	s_waitcnt vmcnt(2) lgkmcnt(0)
	v_mul_f32_e32 v18, v14, v223
	v_fmac_f32_e32 v18, v15, v220
	v_add_f32_e32 v1, v1, v18
	v_add_f32_e32 v2, v2, v3
	v_mul_f32_e32 v3, v11, v221
	v_fma_f32 v3, v10, v216, -v3
	v_add_f32_e32 v2, v2, v3
	v_mul_f32_e32 v3, v13, v222
	v_fma_f32 v3, v12, v218, -v3
	;; [unrolled: 3-line block ×3, first 2 shown]
	v_add_f32_e32 v2, v2, v3
	s_waitcnt vmcnt(0)
	v_mul_f32_e32 v18, v16, v225
	v_fmac_f32_e32 v18, v17, v224
	v_add_f32_e32 v1, v1, v18
	ds_read_b128 v[18:21], v212 offset:496
	buffer_load_dword v226, off, s[0:3], 0 offset:80
	buffer_load_dword v227, off, s[0:3], 0 offset:84
	;; [unrolled: 1-line block ×4, first 2 shown]
	v_mul_f32_e32 v3, v17, v225
	v_fma_f32 v3, v16, v224, -v3
	v_add_f32_e32 v2, v2, v3
	s_waitcnt vmcnt(2) lgkmcnt(0)
	v_mul_f32_e32 v22, v18, v227
	v_fmac_f32_e32 v22, v19, v226
	v_add_f32_e32 v1, v1, v22
	s_waitcnt vmcnt(0)
	v_mul_f32_e32 v22, v20, v229
	v_fmac_f32_e32 v22, v21, v228
	v_add_f32_e32 v1, v1, v22
	ds_read_b128 v[22:25], v212 offset:512
	buffer_load_dword v230, off, s[0:3], 0 offset:96
	buffer_load_dword v231, off, s[0:3], 0 offset:100
	;; [unrolled: 1-line block ×4, first 2 shown]
	v_mul_f32_e32 v3, v19, v227
	v_fma_f32 v3, v18, v226, -v3
	v_add_f32_e32 v2, v2, v3
	v_mul_f32_e32 v3, v21, v229
	v_fma_f32 v3, v20, v228, -v3
	v_add_f32_e32 v2, v2, v3
	s_waitcnt vmcnt(2) lgkmcnt(0)
	v_mul_f32_e32 v26, v22, v231
	v_fmac_f32_e32 v26, v23, v230
	v_add_f32_e32 v1, v1, v26
	s_waitcnt vmcnt(0)
	v_mul_f32_e32 v26, v24, v233
	v_fmac_f32_e32 v26, v25, v232
	v_add_f32_e32 v1, v1, v26
	ds_read_b128 v[26:29], v212 offset:528
	buffer_load_dword v234, off, s[0:3], 0 offset:112
	buffer_load_dword v235, off, s[0:3], 0 offset:116
	buffer_load_dword v236, off, s[0:3], 0 offset:120
	buffer_load_dword v237, off, s[0:3], 0 offset:124
	v_mul_f32_e32 v3, v23, v231
	v_fma_f32 v3, v22, v230, -v3
	v_add_f32_e32 v2, v2, v3
	v_mul_f32_e32 v3, v25, v233
	v_fma_f32 v3, v24, v232, -v3
	v_add_f32_e32 v2, v2, v3
	s_waitcnt vmcnt(2) lgkmcnt(0)
	v_mul_f32_e32 v30, v26, v235
	v_fmac_f32_e32 v30, v27, v234
	v_add_f32_e32 v1, v1, v30
	s_waitcnt vmcnt(0)
	v_mul_f32_e32 v30, v28, v237
	v_fmac_f32_e32 v30, v29, v236
	v_add_f32_e32 v1, v1, v30
	ds_read_b128 v[30:33], v212 offset:544
	buffer_load_dword v238, off, s[0:3], 0 offset:128
	buffer_load_dword v239, off, s[0:3], 0 offset:132
	buffer_load_dword v240, off, s[0:3], 0 offset:136
	buffer_load_dword v241, off, s[0:3], 0 offset:140
	ds_read_b128 v[38:41], v212 offset:560
	buffer_load_dword v242, off, s[0:3], 0 offset:144
	buffer_load_dword v243, off, s[0:3], 0 offset:148
	buffer_load_dword v244, off, s[0:3], 0 offset:152
	buffer_load_dword v245, off, s[0:3], 0 offset:156
	;; [unrolled: 5-line block ×4, first 2 shown]
	ds_read_b128 v[50:53], v212 offset:608
	buffer_load_dword v254, off, s[0:3], 0 offset:192
	buffer_load_dword v255, off, s[0:3], 0 offset:196
	v_mul_f32_e32 v3, v27, v235
	v_fma_f32 v3, v26, v234, -v3
	v_add_f32_e32 v2, v2, v3
	v_mul_f32_e32 v3, v29, v237
	v_fma_f32 v3, v28, v236, -v3
	v_add_f32_e32 v2, v2, v3
	s_waitcnt vmcnt(16) lgkmcnt(4)
	v_mul_f32_e32 v34, v30, v239
	v_fmac_f32_e32 v34, v31, v238
	v_add_f32_e32 v1, v1, v34
	s_waitcnt vmcnt(14)
	v_mul_f32_e32 v34, v32, v241
	v_fmac_f32_e32 v34, v33, v240
	v_add_f32_e32 v1, v1, v34
	s_waitcnt vmcnt(12) lgkmcnt(3)
	v_mul_f32_e32 v34, v38, v243
	v_fmac_f32_e32 v34, v39, v242
	v_add_f32_e32 v1, v1, v34
	s_waitcnt vmcnt(10)
	v_mul_f32_e32 v34, v40, v245
	v_fmac_f32_e32 v34, v41, v244
	;; [unrolled: 8-line block ×4, first 2 shown]
	v_add_f32_e32 v1, v1, v34
	s_waitcnt vmcnt(0) lgkmcnt(0)
	v_mul_f32_e32 v34, v50, v255
	v_fmac_f32_e32 v34, v51, v254
	v_add_f32_e32 v34, v1, v34
	buffer_load_dword v1, off, s[0:3], 0 offset:200
	buffer_load_dword v86, off, s[0:3], 0 offset:204
	ds_read_b128 v[54:57], v212 offset:624
	buffer_load_dword v87, off, s[0:3], 0 offset:208
	buffer_load_dword v88, off, s[0:3], 0 offset:212
	buffer_load_dword v89, off, s[0:3], 0 offset:216
	buffer_load_dword v90, off, s[0:3], 0 offset:220
	ds_read_b128 v[58:61], v212 offset:640
	buffer_load_dword v91, off, s[0:3], 0 offset:224
	buffer_load_dword v92, off, s[0:3], 0 offset:228
	;; [unrolled: 5-line block ×8, first 2 shown]
	buffer_load_dword v117, off, s[0:3], 0 offset:328
	buffer_load_dword v118, off, s[0:3], 0 offset:332
	v_mul_f32_e32 v3, v31, v239
	v_fma_f32 v3, v30, v238, -v3
	v_add_f32_e32 v2, v2, v3
	v_mul_f32_e32 v3, v33, v241
	v_fma_f32 v3, v32, v240, -v3
	v_add_f32_e32 v2, v2, v3
	;; [unrolled: 3-line block ×9, first 2 shown]
	s_waitcnt vmcnt(32)
	v_mul_f32_e32 v35, v52, v86
	v_fmac_f32_e32 v35, v53, v1
	v_add_f32_e32 v34, v34, v35
	s_waitcnt vmcnt(30) lgkmcnt(7)
	v_mul_f32_e32 v35, v54, v88
	v_fmac_f32_e32 v35, v55, v87
	v_add_f32_e32 v34, v34, v35
	s_waitcnt vmcnt(28)
	v_mul_f32_e32 v35, v56, v90
	v_fmac_f32_e32 v35, v57, v89
	v_add_f32_e32 v34, v34, v35
	s_waitcnt vmcnt(26) lgkmcnt(6)
	v_mul_f32_e32 v35, v58, v92
	v_fmac_f32_e32 v35, v59, v91
	v_add_f32_e32 v34, v34, v35
	;; [unrolled: 8-line block ×8, first 2 shown]
	ds_read_b128 v[34:37], v212 offset:752
	buffer_load_dword v119, off, s[0:3], 0 offset:336
	buffer_load_dword v120, off, s[0:3], 0 offset:340
	;; [unrolled: 1-line block ×18, first 2 shown]
	v_mul_f32_e32 v3, v53, v86
	v_fma_f32 v1, v52, v1, -v3
	v_add_f32_e32 v1, v2, v1
	v_mul_f32_e32 v2, v55, v88
	v_fma_f32 v2, v54, v87, -v2
	v_add_f32_e32 v1, v1, v2
	;; [unrolled: 3-line block ×15, first 2 shown]
	v_mul_f32_e32 v2, v83, v116
	v_fma_f32 v2, v82, v115, -v2
	s_waitcnt vmcnt(18)
	v_mul_f32_e32 v193, v84, v118
	v_add_f32_e32 v190, v1, v2
	v_mul_f32_e32 v1, v85, v118
	v_fmac_f32_e32 v193, v85, v117
	v_fma_f32 v192, v84, v117, -v1
	ds_read_b128 v[2:5], v212 offset:768
	ds_read_b128 v[6:9], v212 offset:784
	ds_read_b128 v[10:13], v212 offset:800
	ds_read_b64 v[14:15], v212 offset:816
	v_pk_add_f32 v[16:17], v[190:191], v[192:193]
	s_waitcnt vmcnt(15)
	v_mov_b32_e32 v18, v195
	s_waitcnt lgkmcnt(4)
	v_pk_mul_f32 v[18:19], v[36:37], v[18:19] op_sel_hi:[1,0]
	s_waitcnt vmcnt(14)
	v_pk_fma_f32 v[20:21], v[36:37], v[194:195], v[18:19] op_sel:[0,0,1] op_sel_hi:[1,1,0] neg_lo:[0,0,1] neg_hi:[0,0,1]
	v_pk_fma_f32 v[18:19], v[36:37], v[194:195], v[18:19] op_sel:[0,0,1] op_sel_hi:[1,0,0]
	s_waitcnt vmcnt(13)
	v_mov_b32_e32 v18, v211
	v_mov_b32_e32 v21, v19
	s_waitcnt lgkmcnt(3)
	v_pk_mul_f32 v[18:19], v[2:3], v[18:19] op_sel_hi:[1,0]
	v_mul_f32_e32 v197, v34, v120
	v_mul_f32_e32 v1, v35, v120
	v_fmac_f32_e32 v197, v35, v119
	v_fma_f32 v196, v34, v119, -v1
	v_pk_add_f32 v[16:17], v[16:17], v[196:197]
	v_pk_add_f32 v[16:17], v[16:17], v[20:21]
	s_waitcnt vmcnt(12)
	v_pk_fma_f32 v[20:21], v[2:3], v[210:211], v[18:19] op_sel:[0,0,1] op_sel_hi:[1,1,0] neg_lo:[0,0,1] neg_hi:[0,0,1]
	v_pk_fma_f32 v[2:3], v[2:3], v[210:211], v[18:19] op_sel:[0,0,1] op_sel_hi:[1,0,0]
	v_mov_b32_e32 v21, v3
	v_pk_add_f32 v[2:3], v[16:17], v[20:21]
	s_waitcnt vmcnt(11)
	v_mov_b32_e32 v16, v209
	v_pk_mul_f32 v[16:17], v[4:5], v[16:17] op_sel_hi:[1,0]
	s_waitcnt vmcnt(10)
	v_pk_fma_f32 v[18:19], v[4:5], v[208:209], v[16:17] op_sel:[0,0,1] op_sel_hi:[1,1,0] neg_lo:[0,0,1] neg_hi:[0,0,1]
	v_pk_fma_f32 v[4:5], v[4:5], v[208:209], v[16:17] op_sel:[0,0,1] op_sel_hi:[1,0,0]
	s_waitcnt vmcnt(9)
	v_mov_b32_e32 v4, v207
	v_mov_b32_e32 v19, v5
	s_waitcnt lgkmcnt(2)
	v_pk_mul_f32 v[4:5], v[6:7], v[4:5] op_sel_hi:[1,0]
	s_waitcnt vmcnt(8)
	v_pk_fma_f32 v[16:17], v[6:7], v[206:207], v[4:5] op_sel:[0,0,1] op_sel_hi:[1,1,0] neg_lo:[0,0,1] neg_hi:[0,0,1]
	v_pk_fma_f32 v[4:5], v[6:7], v[206:207], v[4:5] op_sel:[0,0,1] op_sel_hi:[1,0,0]
	s_waitcnt vmcnt(7)
	v_mov_b32_e32 v4, v205
	v_mov_b32_e32 v17, v5
	v_pk_mul_f32 v[4:5], v[8:9], v[4:5] op_sel_hi:[1,0]
	s_waitcnt vmcnt(6)
	v_pk_fma_f32 v[6:7], v[8:9], v[204:205], v[4:5] op_sel:[0,0,1] op_sel_hi:[1,1,0] neg_lo:[0,0,1] neg_hi:[0,0,1]
	v_pk_fma_f32 v[4:5], v[8:9], v[204:205], v[4:5] op_sel:[0,0,1] op_sel_hi:[1,0,0]
	v_pk_add_f32 v[2:3], v[2:3], v[18:19]
	s_waitcnt vmcnt(5)
	v_mov_b32_e32 v4, v203
	v_pk_add_f32 v[2:3], v[2:3], v[16:17]
	v_mov_b32_e32 v7, v5
	s_waitcnt lgkmcnt(1)
	v_pk_mul_f32 v[4:5], v[10:11], v[4:5] op_sel_hi:[1,0]
	v_pk_add_f32 v[2:3], v[2:3], v[6:7]
	s_waitcnt vmcnt(4)
	v_pk_fma_f32 v[6:7], v[10:11], v[202:203], v[4:5] op_sel:[0,0,1] op_sel_hi:[1,1,0] neg_lo:[0,0,1] neg_hi:[0,0,1]
	v_pk_fma_f32 v[4:5], v[10:11], v[202:203], v[4:5] op_sel:[0,0,1] op_sel_hi:[1,0,0]
	s_waitcnt vmcnt(3)
	v_mov_b32_e32 v4, v201
	v_mov_b32_e32 v7, v5
	v_pk_mul_f32 v[4:5], v[12:13], v[4:5] op_sel_hi:[1,0]
	v_pk_add_f32 v[2:3], v[2:3], v[6:7]
	s_waitcnt vmcnt(2)
	v_pk_fma_f32 v[6:7], v[12:13], v[200:201], v[4:5] op_sel:[0,0,1] op_sel_hi:[1,1,0] neg_lo:[0,0,1] neg_hi:[0,0,1]
	v_pk_fma_f32 v[4:5], v[12:13], v[200:201], v[4:5] op_sel:[0,0,1] op_sel_hi:[1,0,0]
	s_waitcnt vmcnt(1)
	v_mov_b32_e32 v4, v199
	v_mov_b32_e32 v7, v5
	s_waitcnt lgkmcnt(0)
	v_pk_mul_f32 v[4:5], v[14:15], v[4:5] op_sel_hi:[1,0]
	v_pk_add_f32 v[2:3], v[2:3], v[6:7]
	s_waitcnt vmcnt(0)
	v_pk_fma_f32 v[6:7], v[14:15], v[198:199], v[4:5] op_sel:[0,0,1] op_sel_hi:[1,1,0] neg_lo:[0,0,1] neg_hi:[0,0,1]
	v_pk_fma_f32 v[4:5], v[14:15], v[198:199], v[4:5] op_sel:[0,0,1] op_sel_hi:[1,0,0]
	v_mov_b32_e32 v7, v5
	v_pk_add_f32 v[2:3], v[2:3], v[6:7]
	v_pk_add_f32 v[2:3], v[188:189], v[2:3] neg_lo:[0,1] neg_hi:[0,1]
	buffer_store_dword v3, off, s[0:3], 0 offset:12
	buffer_store_dword v2, off, s[0:3], 0 offset:8
	s_and_saveexec_b64 s[4:5], vcc
	s_cbranch_execz .LBB114_319
; %bb.318:
	buffer_load_dword v0, off, s[0:3], 0
	buffer_load_dword v1, off, s[0:3], 0 offset:4
	s_waitcnt vmcnt(0)
	ds_write_b64 v121, v[0:1]
	buffer_store_dword v212, off, s[0:3], 0
	buffer_store_dword v212, off, s[0:3], 0 offset:4
.LBB114_319:
	s_or_b64 exec, exec, s[4:5]
	s_waitcnt lgkmcnt(0)
	; wave barrier
	s_waitcnt lgkmcnt(0)
	buffer_load_dword v39, off, s[0:3], 0 offset:12
	buffer_load_dword v38, off, s[0:3], 0 offset:20
	;; [unrolled: 1-line block ×30, first 2 shown]
	buffer_load_dword v32, off, s[0:3], 0
	buffer_load_dword v33, off, s[0:3], 0 offset:4
	ds_read2_b64 v[20:23], v212 offset0:53 offset1:54
	ds_read2_b64 v[16:19], v212 offset0:55 offset1:56
	;; [unrolled: 1-line block ×6, first 2 shown]
	buffer_load_dword v205, off, s[0:3], 0 offset:128
	buffer_load_dword v206, off, s[0:3], 0 offset:132
	;; [unrolled: 1-line block ×20, first 2 shown]
	s_and_b64 vcc, exec, s[16:17]
	s_waitcnt vmcnt(51) lgkmcnt(5)
	v_mul_f32_e32 v24, v20, v39
	s_waitcnt vmcnt(50)
	v_mul_f32_e32 v25, v22, v38
	s_waitcnt vmcnt(49) lgkmcnt(4)
	v_mul_f32_e32 v27, v18, v37
	s_waitcnt vmcnt(48) lgkmcnt(3)
	v_mul_f32_e32 v28, v12, v36
	s_waitcnt vmcnt(47)
	v_mul_f32_e32 v29, v14, v35
	s_waitcnt vmcnt(46) lgkmcnt(2)
	v_mul_f32_e32 v30, v8, v34
	s_waitcnt vmcnt(45)
	v_mul_f32_e32 v26, v16, v40
	s_waitcnt vmcnt(44)
	v_mul_f32_e32 v31, v10, v41
	s_waitcnt vmcnt(43) lgkmcnt(1)
	v_mul_f32_e32 v46, v4, v42
	s_waitcnt vmcnt(42)
	v_mul_f32_e32 v47, v6, v43
	s_waitcnt vmcnt(41) lgkmcnt(0)
	v_mul_f32_e32 v48, v0, v44
	s_waitcnt vmcnt(40)
	v_mul_f32_e32 v49, v2, v45
	s_waitcnt vmcnt(39)
	v_fmac_f32_e32 v26, v17, v104
	s_waitcnt vmcnt(38)
	v_fmac_f32_e32 v25, v23, v106
	;; [unrolled: 2-line block ×3, first 2 shown]
	v_add_f32_e32 v24, 0, v24
	v_add_f32_e32 v24, v24, v25
	;; [unrolled: 1-line block ×3, first 2 shown]
	s_waitcnt vmcnt(33)
	v_fmac_f32_e32 v27, v19, v112
	v_fmac_f32_e32 v28, v13, v111
	v_add_f32_e32 v24, v24, v27
	v_fmac_f32_e32 v29, v15, v110
	v_add_f32_e32 v24, v24, v28
	;; [unrolled: 2-line block ×3, first 2 shown]
	s_waitcnt vmcnt(29)
	v_fmac_f32_e32 v31, v11, v116
	v_add_f32_e32 v24, v24, v30
	v_fmac_f32_e32 v46, v5, v115
	v_add_f32_e32 v24, v24, v31
	;; [unrolled: 2-line block ×4, first 2 shown]
	v_add_f32_e32 v28, v24, v48
	ds_read2_b64 v[24:27], v212 offset0:65 offset1:66
	buffer_load_dword v226, off, s[0:3], 0 offset:208
	buffer_load_dword v227, off, s[0:3], 0 offset:212
	;; [unrolled: 1-line block ×4, first 2 shown]
	s_waitcnt vmcnt(28)
	v_fmac_f32_e32 v49, v3, v121
	v_add_f32_e32 v46, v28, v49
	ds_read2_b64 v[28:31], v212 offset0:67 offset1:68
	buffer_load_dword v230, off, s[0:3], 0 offset:224
	buffer_load_dword v231, off, s[0:3], 0 offset:228
	;; [unrolled: 1-line block ×12, first 2 shown]
	s_waitcnt vmcnt(39) lgkmcnt(1)
	v_mul_f32_e32 v47, v24, v188
	v_fmac_f32_e32 v47, v25, v120
	buffer_load_dword v242, off, s[0:3], 0 offset:272
	buffer_load_dword v243, off, s[0:3], 0 offset:276
	v_add_f32_e32 v46, v46, v47
	s_waitcnt vmcnt(40)
	v_mul_f32_e32 v47, v26, v204
	v_fmac_f32_e32 v47, v27, v119
	buffer_load_dword v244, off, s[0:3], 0 offset:280
	buffer_load_dword v245, off, s[0:3], 0 offset:284
	v_add_f32_e32 v46, v46, v47
	s_waitcnt lgkmcnt(0)
	v_mul_f32_e32 v47, v28, v118
	v_fmac_f32_e32 v47, v29, v117
	v_add_f32_e32 v50, v46, v47
	ds_read2_b64 v[46:49], v212 offset0:69 offset1:70
	buffer_load_dword v246, off, s[0:3], 0 offset:288
	buffer_load_dword v247, off, s[0:3], 0 offset:292
	s_waitcnt vmcnt(40)
	v_mul_f32_e32 v51, v30, v206
	v_fmac_f32_e32 v51, v31, v205
	v_add_f32_e32 v54, v50, v51
	ds_read2_b64 v[50:53], v212 offset0:71 offset1:72
	buffer_load_dword v248, off, s[0:3], 0 offset:296
	buffer_load_dword v249, off, s[0:3], 0 offset:300
	;; [unrolled: 1-line block ×8, first 2 shown]
	s_waitcnt vmcnt(46) lgkmcnt(1)
	v_mul_f32_e32 v55, v46, v208
	v_fmac_f32_e32 v55, v47, v207
	v_add_f32_e32 v54, v54, v55
	s_waitcnt vmcnt(44)
	v_mul_f32_e32 v55, v48, v210
	v_fmac_f32_e32 v55, v49, v209
	v_add_f32_e32 v54, v54, v55
	s_waitcnt vmcnt(42) lgkmcnt(0)
	v_mul_f32_e32 v55, v50, v213
	v_fmac_f32_e32 v55, v51, v211
	v_add_f32_e32 v58, v54, v55
	buffer_load_dword v122, off, s[0:3], 0 offset:328
	buffer_load_dword v123, off, s[0:3], 0 offset:332
	buffer_load_dword v124, off, s[0:3], 0 offset:336
	buffer_load_dword v125, off, s[0:3], 0 offset:340
	ds_read2_b64 v[54:57], v212 offset0:73 offset1:74
	s_waitcnt vmcnt(44)
	v_mul_f32_e32 v59, v52, v215
	v_fmac_f32_e32 v59, v53, v214
	v_add_f32_e32 v62, v58, v59
	ds_read2_b64 v[58:61], v212 offset0:75 offset1:76
	s_waitcnt vmcnt(42) lgkmcnt(1)
	v_mul_f32_e32 v63, v54, v217
	v_fmac_f32_e32 v63, v55, v216
	v_add_f32_e32 v62, v62, v63
	s_waitcnt vmcnt(40)
	v_mul_f32_e32 v63, v56, v219
	v_fmac_f32_e32 v63, v57, v218
	v_add_f32_e32 v62, v62, v63
	s_waitcnt vmcnt(38) lgkmcnt(0)
	v_mul_f32_e32 v63, v58, v221
	v_fmac_f32_e32 v63, v59, v220
	v_add_f32_e32 v66, v62, v63
	ds_read2_b64 v[62:65], v212 offset0:77 offset1:78
	s_waitcnt vmcnt(36)
	v_mul_f32_e32 v67, v60, v223
	v_fmac_f32_e32 v67, v61, v222
	v_add_f32_e32 v70, v66, v67
	ds_read2_b64 v[66:69], v212 offset0:79 offset1:80
	s_waitcnt vmcnt(34) lgkmcnt(1)
	v_mul_f32_e32 v71, v62, v225
	v_fmac_f32_e32 v71, v63, v224
	v_add_f32_e32 v70, v70, v71
	v_mul_f32_e32 v21, v21, v39
	v_fma_f32 v20, v20, v108, -v21
	v_mul_f32_e32 v21, v23, v38
	v_add_f32_e32 v20, 0, v20
	v_fma_f32 v21, v22, v106, -v21
	v_mul_f32_e32 v17, v17, v40
	v_add_f32_e32 v20, v20, v21
	;; [unrolled: 3-line block ×5, first 2 shown]
	s_waitcnt vmcnt(32)
	v_mul_f32_e32 v71, v64, v227
	v_fmac_f32_e32 v71, v65, v226
	v_add_f32_e32 v70, v70, v71
	s_waitcnt vmcnt(30) lgkmcnt(0)
	v_mul_f32_e32 v71, v66, v229
	v_fmac_f32_e32 v71, v67, v228
	v_add_f32_e32 v74, v70, v71
	ds_read2_b64 v[70:73], v212 offset0:81 offset1:82
	s_waitcnt vmcnt(28)
	v_mul_f32_e32 v75, v68, v231
	v_fmac_f32_e32 v75, v69, v230
	v_add_f32_e32 v78, v74, v75
	ds_read2_b64 v[74:77], v212 offset0:83 offset1:84
	s_waitcnt vmcnt(26) lgkmcnt(1)
	v_mul_f32_e32 v79, v70, v233
	v_fmac_f32_e32 v79, v71, v232
	v_add_f32_e32 v78, v78, v79
	s_waitcnt vmcnt(24)
	v_mul_f32_e32 v79, v72, v235
	v_fmac_f32_e32 v79, v73, v234
	v_add_f32_e32 v78, v78, v79
	s_waitcnt vmcnt(22) lgkmcnt(0)
	v_mul_f32_e32 v79, v74, v237
	v_fmac_f32_e32 v79, v75, v236
	v_add_f32_e32 v82, v78, v79
	ds_read2_b64 v[78:81], v212 offset0:85 offset1:86
	s_waitcnt vmcnt(20)
	v_mul_f32_e32 v83, v76, v239
	v_fmac_f32_e32 v83, v77, v238
	v_add_f32_e32 v86, v82, v83
	ds_read2_b64 v[82:85], v212 offset0:87 offset1:88
	s_waitcnt vmcnt(18) lgkmcnt(1)
	v_mul_f32_e32 v87, v78, v241
	v_fmac_f32_e32 v87, v79, v240
	v_add_f32_e32 v86, v86, v87
	s_waitcnt vmcnt(16)
	v_mul_f32_e32 v87, v80, v243
	v_fmac_f32_e32 v87, v81, v242
	v_add_f32_e32 v86, v86, v87
	s_waitcnt vmcnt(14) lgkmcnt(0)
	v_mul_f32_e32 v87, v82, v245
	v_fmac_f32_e32 v87, v83, v244
	v_add_f32_e32 v90, v86, v87
	ds_read2_b64 v[86:89], v212 offset0:89 offset1:90
	s_waitcnt vmcnt(12)
	v_mul_f32_e32 v91, v84, v247
	v_fmac_f32_e32 v91, v85, v246
	v_add_f32_e32 v94, v90, v91
	ds_read2_b64 v[90:93], v212 offset0:91 offset1:92
	buffer_load_dword v103, off, s[0:3], 0 offset:348
	buffer_load_dword v102, off, s[0:3], 0 offset:344
	s_waitcnt vmcnt(12) lgkmcnt(1)
	v_mul_f32_e32 v95, v86, v249
	v_fmac_f32_e32 v95, v87, v248
	v_add_f32_e32 v94, v94, v95
	s_waitcnt vmcnt(10)
	v_mul_f32_e32 v95, v88, v251
	v_fmac_f32_e32 v95, v89, v250
	v_add_f32_e32 v94, v94, v95
	s_waitcnt vmcnt(8) lgkmcnt(0)
	v_mul_f32_e32 v95, v90, v253
	v_fmac_f32_e32 v95, v91, v252
	s_waitcnt vmcnt(6)
	v_mul_f32_e32 v99, v92, v255
	v_add_f32_e32 v98, v94, v95
	v_fmac_f32_e32 v99, v93, v254
	ds_read2_b64 v[94:97], v212 offset0:93 offset1:94
	v_add_f32_e32 v105, v98, v99
	ds_read2_b64 v[98:101], v212 offset0:95 offset1:96
	buffer_load_dword v191, off, s[0:3], 0 offset:380
	buffer_load_dword v190, off, s[0:3], 0 offset:376
	;; [unrolled: 1-line block ×14, first 2 shown]
	v_fma_f32 v13, v14, v110, -v13
	v_mul_f32_e32 v9, v9, v34
	v_add_f32_e32 v12, v12, v13
	v_fma_f32 v8, v8, v109, -v9
	v_mul_f32_e32 v9, v11, v41
	v_add_f32_e32 v8, v12, v8
	;; [unrolled: 3-line block ×6, first 2 shown]
	v_fma_f32 v1, v2, v121, -v1
	v_add_f32_e32 v0, v0, v1
	v_mul_f32_e32 v1, v25, v188
	v_fma_f32 v1, v24, v120, -v1
	v_add_f32_e32 v0, v0, v1
	v_mul_f32_e32 v1, v27, v204
	;; [unrolled: 3-line block ×28, first 2 shown]
	v_fma_f32 v1, v92, v254, -v1
	s_waitcnt vmcnt(15)
	v_mov_b32_e32 v14, v103
	s_waitcnt lgkmcnt(1)
	v_mul_f32_e32 v107, v94, v123
	v_add_f32_e32 v104, v0, v1
	v_mul_f32_e32 v0, v95, v123
	s_waitcnt lgkmcnt(0)
	v_pk_mul_f32 v[14:15], v[98:99], v[14:15] op_sel_hi:[1,0]
	v_fmac_f32_e32 v107, v95, v122
	v_mul_f32_e32 v189, v96, v125
	v_fma_f32 v106, v94, v122, -v0
	v_mul_f32_e32 v0, v97, v125
	s_waitcnt vmcnt(14)
	v_pk_fma_f32 v[16:17], v[98:99], v[102:103], v[14:15] op_sel:[0,0,1] op_sel_hi:[1,1,0] neg_lo:[0,0,1] neg_hi:[0,0,1]
	v_pk_fma_f32 v[14:15], v[98:99], v[102:103], v[14:15] op_sel:[0,0,1] op_sel_hi:[1,0,0]
	v_fmac_f32_e32 v189, v97, v124
	v_fma_f32 v188, v96, v124, -v0
	v_pk_add_f32 v[12:13], v[104:105], v[106:107]
	s_waitcnt vmcnt(7)
	v_mov_b32_e32 v14, v197
	ds_read2_b64 v[0:3], v212 offset0:97 offset1:98
	ds_read2_b64 v[4:7], v212 offset0:99 offset1:100
	;; [unrolled: 1-line block ×3, first 2 shown]
	v_pk_add_f32 v[12:13], v[12:13], v[188:189]
	v_mov_b32_e32 v17, v15
	v_pk_mul_f32 v[14:15], v[100:101], v[14:15] op_sel_hi:[1,0]
	v_pk_add_f32 v[12:13], v[12:13], v[16:17]
	s_waitcnt vmcnt(6)
	v_pk_fma_f32 v[16:17], v[100:101], v[196:197], v[14:15] op_sel:[0,0,1] op_sel_hi:[1,1,0] neg_lo:[0,0,1] neg_hi:[0,0,1]
	v_pk_fma_f32 v[14:15], v[100:101], v[196:197], v[14:15] op_sel:[0,0,1] op_sel_hi:[1,0,0]
	v_mov_b32_e32 v14, v195
	v_mov_b32_e32 v17, v15
	s_waitcnt lgkmcnt(2)
	v_pk_mul_f32 v[14:15], v[0:1], v[14:15] op_sel_hi:[1,0]
	v_pk_add_f32 v[12:13], v[12:13], v[16:17]
	v_pk_fma_f32 v[16:17], v[0:1], v[194:195], v[14:15] op_sel:[0,0,1] op_sel_hi:[1,1,0] neg_lo:[0,0,1] neg_hi:[0,0,1]
	v_pk_fma_f32 v[0:1], v[0:1], v[194:195], v[14:15] op_sel:[0,0,1] op_sel_hi:[1,0,0]
	v_mov_b32_e32 v17, v1
	v_pk_add_f32 v[0:1], v[12:13], v[16:17]
	v_mov_b32_e32 v12, v193
	v_pk_mul_f32 v[12:13], v[2:3], v[12:13] op_sel_hi:[1,0]
	v_pk_fma_f32 v[14:15], v[2:3], v[192:193], v[12:13] op_sel:[0,0,1] op_sel_hi:[1,1,0] neg_lo:[0,0,1] neg_hi:[0,0,1]
	v_pk_fma_f32 v[2:3], v[2:3], v[192:193], v[12:13] op_sel:[0,0,1] op_sel_hi:[1,0,0]
	v_mov_b32_e32 v2, v191
	v_mov_b32_e32 v15, v3
	s_waitcnt lgkmcnt(1)
	v_pk_mul_f32 v[2:3], v[4:5], v[2:3] op_sel_hi:[1,0]
	v_pk_fma_f32 v[12:13], v[4:5], v[190:191], v[2:3] op_sel:[0,0,1] op_sel_hi:[1,1,0] neg_lo:[0,0,1] neg_hi:[0,0,1]
	v_pk_fma_f32 v[2:3], v[4:5], v[190:191], v[2:3] op_sel:[0,0,1] op_sel_hi:[1,0,0]
	s_waitcnt vmcnt(1)
	v_mov_b32_e32 v2, v203
	v_mov_b32_e32 v13, v3
	v_pk_mul_f32 v[2:3], v[6:7], v[2:3] op_sel_hi:[1,0]
	s_waitcnt vmcnt(0)
	v_pk_fma_f32 v[4:5], v[6:7], v[202:203], v[2:3] op_sel:[0,0,1] op_sel_hi:[1,1,0] neg_lo:[0,0,1] neg_hi:[0,0,1]
	v_pk_fma_f32 v[2:3], v[6:7], v[202:203], v[2:3] op_sel:[0,0,1] op_sel_hi:[1,0,0]
	v_pk_add_f32 v[0:1], v[0:1], v[14:15]
	v_mov_b32_e32 v2, v201
	v_pk_add_f32 v[0:1], v[0:1], v[12:13]
	v_mov_b32_e32 v5, v3
	s_waitcnt lgkmcnt(0)
	v_pk_mul_f32 v[2:3], v[8:9], v[2:3] op_sel_hi:[1,0]
	v_pk_add_f32 v[0:1], v[0:1], v[4:5]
	v_pk_fma_f32 v[4:5], v[8:9], v[200:201], v[2:3] op_sel:[0,0,1] op_sel_hi:[1,1,0] neg_lo:[0,0,1] neg_hi:[0,0,1]
	v_pk_fma_f32 v[2:3], v[8:9], v[200:201], v[2:3] op_sel:[0,0,1] op_sel_hi:[1,0,0]
	v_mov_b32_e32 v2, v199
	v_mov_b32_e32 v5, v3
	v_pk_mul_f32 v[2:3], v[10:11], v[2:3] op_sel_hi:[1,0]
	v_pk_add_f32 v[0:1], v[0:1], v[4:5]
	v_pk_fma_f32 v[4:5], v[10:11], v[198:199], v[2:3] op_sel:[0,0,1] op_sel_hi:[1,1,0] neg_lo:[0,0,1] neg_hi:[0,0,1]
	v_pk_fma_f32 v[2:3], v[10:11], v[198:199], v[2:3] op_sel:[0,0,1] op_sel_hi:[1,0,0]
	v_mov_b32_e32 v5, v3
	v_pk_add_f32 v[0:1], v[0:1], v[4:5]
	v_pk_add_f32 v[0:1], v[32:33], v[0:1] neg_lo:[0,1] neg_hi:[0,1]
	buffer_store_dword v1, off, s[0:3], 0 offset:4
	buffer_store_dword v0, off, s[0:3], 0
	s_cbranch_vccz .LBB114_421
; %bb.320:
	v_pk_mov_b32 v[0:1], s[10:11], s[10:11] op_sel:[0,1]
	flat_load_dword v0, v[0:1] offset:196
	s_waitcnt vmcnt(0) lgkmcnt(0)
	v_add_u32_e32 v0, -1, v0
	v_cmp_ne_u32_e32 vcc, 49, v0
	s_and_saveexec_b64 s[4:5], vcc
	s_cbranch_execz .LBB114_322
; %bb.321:
	v_mov_b32_e32 v1, 0
	v_lshl_add_u32 v0, v0, 3, v1
	buffer_load_dword v1, v0, s[0:3], 0 offen
	buffer_load_dword v2, v0, s[0:3], 0 offen offset:4
	buffer_load_dword v3, off, s[0:3], 0 offset:392
	buffer_load_dword v4, off, s[0:3], 0 offset:396
	s_waitcnt vmcnt(3)
	buffer_store_dword v1, off, s[0:3], 0 offset:392
	s_waitcnt vmcnt(3)
	buffer_store_dword v2, off, s[0:3], 0 offset:396
	s_waitcnt vmcnt(3)
	buffer_store_dword v3, v0, s[0:3], 0 offen
	s_waitcnt vmcnt(3)
	buffer_store_dword v4, v0, s[0:3], 0 offen offset:4
.LBB114_322:
	s_or_b64 exec, exec, s[4:5]
	v_pk_mov_b32 v[0:1], s[10:11], s[10:11] op_sel:[0,1]
	flat_load_dword v0, v[0:1] offset:192
	s_waitcnt vmcnt(0) lgkmcnt(0)
	v_add_u32_e32 v0, -1, v0
	v_cmp_ne_u32_e32 vcc, 48, v0
	s_and_saveexec_b64 s[4:5], vcc
	s_cbranch_execz .LBB114_324
; %bb.323:
	v_mov_b32_e32 v1, 0
	v_lshl_add_u32 v0, v0, 3, v1
	buffer_load_dword v1, v0, s[0:3], 0 offen
	buffer_load_dword v2, v0, s[0:3], 0 offen offset:4
	buffer_load_dword v3, off, s[0:3], 0 offset:388
	buffer_load_dword v4, off, s[0:3], 0 offset:384
	s_waitcnt vmcnt(3)
	buffer_store_dword v1, off, s[0:3], 0 offset:384
	s_waitcnt vmcnt(3)
	buffer_store_dword v2, off, s[0:3], 0 offset:388
	s_waitcnt vmcnt(3)
	buffer_store_dword v3, v0, s[0:3], 0 offen offset:4
	s_waitcnt vmcnt(3)
	buffer_store_dword v4, v0, s[0:3], 0 offen
.LBB114_324:
	s_or_b64 exec, exec, s[4:5]
	v_pk_mov_b32 v[0:1], s[10:11], s[10:11] op_sel:[0,1]
	flat_load_dword v0, v[0:1] offset:188
	s_waitcnt vmcnt(0) lgkmcnt(0)
	v_add_u32_e32 v0, -1, v0
	v_cmp_ne_u32_e32 vcc, 47, v0
	s_and_saveexec_b64 s[4:5], vcc
	s_cbranch_execz .LBB114_326
; %bb.325:
	v_mov_b32_e32 v1, 0
	v_lshl_add_u32 v0, v0, 3, v1
	buffer_load_dword v1, v0, s[0:3], 0 offen
	buffer_load_dword v2, v0, s[0:3], 0 offen offset:4
	buffer_load_dword v3, off, s[0:3], 0 offset:376
	buffer_load_dword v4, off, s[0:3], 0 offset:380
	s_waitcnt vmcnt(3)
	buffer_store_dword v1, off, s[0:3], 0 offset:376
	s_waitcnt vmcnt(3)
	buffer_store_dword v2, off, s[0:3], 0 offset:380
	s_waitcnt vmcnt(3)
	buffer_store_dword v3, v0, s[0:3], 0 offen
	s_waitcnt vmcnt(3)
	buffer_store_dword v4, v0, s[0:3], 0 offen offset:4
.LBB114_326:
	s_or_b64 exec, exec, s[4:5]
	v_pk_mov_b32 v[0:1], s[10:11], s[10:11] op_sel:[0,1]
	flat_load_dword v0, v[0:1] offset:184
	s_waitcnt vmcnt(0) lgkmcnt(0)
	v_add_u32_e32 v0, -1, v0
	v_cmp_ne_u32_e32 vcc, 46, v0
	s_and_saveexec_b64 s[4:5], vcc
	s_cbranch_execz .LBB114_328
; %bb.327:
	v_mov_b32_e32 v1, 0
	v_lshl_add_u32 v0, v0, 3, v1
	buffer_load_dword v1, v0, s[0:3], 0 offen
	buffer_load_dword v2, v0, s[0:3], 0 offen offset:4
	buffer_load_dword v3, off, s[0:3], 0 offset:372
	buffer_load_dword v4, off, s[0:3], 0 offset:368
	s_waitcnt vmcnt(3)
	buffer_store_dword v1, off, s[0:3], 0 offset:368
	s_waitcnt vmcnt(3)
	buffer_store_dword v2, off, s[0:3], 0 offset:372
	s_waitcnt vmcnt(3)
	buffer_store_dword v3, v0, s[0:3], 0 offen offset:4
	s_waitcnt vmcnt(3)
	buffer_store_dword v4, v0, s[0:3], 0 offen
.LBB114_328:
	s_or_b64 exec, exec, s[4:5]
	;; [unrolled: 48-line block ×24, first 2 shown]
	v_pk_mov_b32 v[0:1], s[10:11], s[10:11] op_sel:[0,1]
	flat_load_dword v0, v[0:1] offset:4
	s_waitcnt vmcnt(0) lgkmcnt(0)
	v_add_u32_e32 v0, -1, v0
	v_cmp_ne_u32_e32 vcc, 1, v0
	s_and_saveexec_b64 s[4:5], vcc
	s_cbranch_execz .LBB114_418
; %bb.417:
	v_mov_b32_e32 v1, 0
	v_lshl_add_u32 v0, v0, 3, v1
	buffer_load_dword v1, v0, s[0:3], 0 offen
	buffer_load_dword v2, v0, s[0:3], 0 offen offset:4
	buffer_load_dword v3, off, s[0:3], 0 offset:8
	buffer_load_dword v4, off, s[0:3], 0 offset:12
	s_waitcnt vmcnt(3)
	buffer_store_dword v1, off, s[0:3], 0 offset:8
	s_waitcnt vmcnt(3)
	buffer_store_dword v2, off, s[0:3], 0 offset:12
	s_waitcnt vmcnt(3)
	buffer_store_dword v3, v0, s[0:3], 0 offen
	s_waitcnt vmcnt(3)
	buffer_store_dword v4, v0, s[0:3], 0 offen offset:4
.LBB114_418:
	s_or_b64 exec, exec, s[4:5]
	v_pk_mov_b32 v[0:1], s[10:11], s[10:11] op_sel:[0,1]
	flat_load_dword v2, v[0:1]
	s_nop 0
	buffer_load_dword v0, off, s[0:3], 0
	buffer_load_dword v1, off, s[0:3], 0 offset:4
	s_waitcnt vmcnt(0) lgkmcnt(0)
	v_add_u32_e32 v2, -1, v2
	v_cmp_ne_u32_e32 vcc, 0, v2
	s_and_saveexec_b64 s[4:5], vcc
	s_cbranch_execz .LBB114_420
; %bb.419:
	v_mov_b32_e32 v3, 0
	v_lshl_add_u32 v2, v2, 3, v3
	buffer_load_dword v3, v2, s[0:3], 0 offen offset:4
	buffer_load_dword v4, v2, s[0:3], 0 offen
	s_waitcnt vmcnt(1)
	buffer_store_dword v3, off, s[0:3], 0 offset:4
	s_waitcnt vmcnt(1)
	buffer_store_dword v4, off, s[0:3], 0
	buffer_store_dword v1, v2, s[0:3], 0 offen offset:4
	buffer_store_dword v0, v2, s[0:3], 0 offen
	buffer_load_dword v0, off, s[0:3], 0
	s_nop 0
	buffer_load_dword v1, off, s[0:3], 0 offset:4
.LBB114_420:
	s_or_b64 exec, exec, s[4:5]
.LBB114_421:
	buffer_load_dword v2, off, s[0:3], 0 offset:8
	buffer_load_dword v3, off, s[0:3], 0 offset:12
	;; [unrolled: 1-line block ×100, first 2 shown]
	s_waitcnt vmcnt(62)
	global_store_dwordx2 v[178:179], v[0:1], off
	global_store_dwordx2 v[180:181], v[2:3], off
	v_accvgpr_read_b32 v0, a0
	v_accvgpr_read_b32 v1, a1
	global_store_dwordx2 v[0:1], v[4:5], off
	v_accvgpr_read_b32 v0, a2
	v_accvgpr_read_b32 v1, a3
	;; [unrolled: 3-line block ×19, first 2 shown]
	s_waitcnt vmcnt(62)
	global_store_dwordx2 v[0:1], v[40:41], off
	v_accvgpr_read_b32 v0, a38
	v_accvgpr_read_b32 v1, a39
	global_store_dwordx2 v[0:1], v[42:43], off
	global_store_dwordx2 v[126:127], v[44:45], off
	;; [unrolled: 1-line block ×9, first 2 shown]
	s_waitcnt vmcnt(62)
	global_store_dwordx2 v[142:143], v[60:61], off
	global_store_dwordx2 v[144:145], v[62:63], off
	;; [unrolled: 1-line block ×5, first 2 shown]
	s_waitcnt vmcnt(62)
	global_store_dwordx2 v[152:153], v[70:71], off
	global_store_dwordx2 v[154:155], v[72:73], off
	s_waitcnt vmcnt(62)
	global_store_dwordx2 v[156:157], v[74:75], off
	s_waitcnt vmcnt(62)
	;; [unrolled: 2-line block ×14, first 2 shown]
	global_store_dwordx2 v[186:187], v[100:101], off
	s_endpgm
	.section	.rodata,"a",@progbits
	.p2align	6, 0x0
	.amdhsa_kernel _ZN9rocsolver6v33100L18getri_kernel_smallILi51E19rocblas_complex_numIfEPKPS3_EEvT1_iilPiilS8_bb
		.amdhsa_group_segment_fixed_size 824
		.amdhsa_private_segment_fixed_size 416
		.amdhsa_kernarg_size 60
		.amdhsa_user_sgpr_count 8
		.amdhsa_user_sgpr_private_segment_buffer 1
		.amdhsa_user_sgpr_dispatch_ptr 0
		.amdhsa_user_sgpr_queue_ptr 0
		.amdhsa_user_sgpr_kernarg_segment_ptr 1
		.amdhsa_user_sgpr_dispatch_id 0
		.amdhsa_user_sgpr_flat_scratch_init 1
		.amdhsa_user_sgpr_kernarg_preload_length 0
		.amdhsa_user_sgpr_kernarg_preload_offset 0
		.amdhsa_user_sgpr_private_segment_size 0
		.amdhsa_uses_dynamic_stack 0
		.amdhsa_system_sgpr_private_segment_wavefront_offset 1
		.amdhsa_system_sgpr_workgroup_id_x 1
		.amdhsa_system_sgpr_workgroup_id_y 0
		.amdhsa_system_sgpr_workgroup_id_z 0
		.amdhsa_system_sgpr_workgroup_info 0
		.amdhsa_system_vgpr_workitem_id 0
		.amdhsa_next_free_vgpr 296
		.amdhsa_next_free_sgpr 22
		.amdhsa_accum_offset 256
		.amdhsa_reserve_vcc 1
		.amdhsa_reserve_flat_scratch 1
		.amdhsa_float_round_mode_32 0
		.amdhsa_float_round_mode_16_64 0
		.amdhsa_float_denorm_mode_32 3
		.amdhsa_float_denorm_mode_16_64 3
		.amdhsa_dx10_clamp 1
		.amdhsa_ieee_mode 1
		.amdhsa_fp16_overflow 0
		.amdhsa_tg_split 0
		.amdhsa_exception_fp_ieee_invalid_op 0
		.amdhsa_exception_fp_denorm_src 0
		.amdhsa_exception_fp_ieee_div_zero 0
		.amdhsa_exception_fp_ieee_overflow 0
		.amdhsa_exception_fp_ieee_underflow 0
		.amdhsa_exception_fp_ieee_inexact 0
		.amdhsa_exception_int_div_zero 0
	.end_amdhsa_kernel
	.section	.text._ZN9rocsolver6v33100L18getri_kernel_smallILi51E19rocblas_complex_numIfEPKPS3_EEvT1_iilPiilS8_bb,"axG",@progbits,_ZN9rocsolver6v33100L18getri_kernel_smallILi51E19rocblas_complex_numIfEPKPS3_EEvT1_iilPiilS8_bb,comdat
.Lfunc_end114:
	.size	_ZN9rocsolver6v33100L18getri_kernel_smallILi51E19rocblas_complex_numIfEPKPS3_EEvT1_iilPiilS8_bb, .Lfunc_end114-_ZN9rocsolver6v33100L18getri_kernel_smallILi51E19rocblas_complex_numIfEPKPS3_EEvT1_iilPiilS8_bb
                                        ; -- End function
	.section	.AMDGPU.csdata,"",@progbits
; Kernel info:
; codeLenInByte = 102176
; NumSgprs: 28
; NumVgprs: 256
; NumAgprs: 40
; TotalNumVgprs: 296
; ScratchSize: 416
; MemoryBound: 0
; FloatMode: 240
; IeeeMode: 1
; LDSByteSize: 824 bytes/workgroup (compile time only)
; SGPRBlocks: 3
; VGPRBlocks: 36
; NumSGPRsForWavesPerEU: 28
; NumVGPRsForWavesPerEU: 296
; AccumOffset: 256
; Occupancy: 1
; WaveLimiterHint : 1
; COMPUTE_PGM_RSRC2:SCRATCH_EN: 1
; COMPUTE_PGM_RSRC2:USER_SGPR: 8
; COMPUTE_PGM_RSRC2:TRAP_HANDLER: 0
; COMPUTE_PGM_RSRC2:TGID_X_EN: 1
; COMPUTE_PGM_RSRC2:TGID_Y_EN: 0
; COMPUTE_PGM_RSRC2:TGID_Z_EN: 0
; COMPUTE_PGM_RSRC2:TIDIG_COMP_CNT: 0
; COMPUTE_PGM_RSRC3_GFX90A:ACCUM_OFFSET: 63
; COMPUTE_PGM_RSRC3_GFX90A:TG_SPLIT: 0
	.section	.text._ZN9rocsolver6v33100L18getri_kernel_smallILi52E19rocblas_complex_numIfEPKPS3_EEvT1_iilPiilS8_bb,"axG",@progbits,_ZN9rocsolver6v33100L18getri_kernel_smallILi52E19rocblas_complex_numIfEPKPS3_EEvT1_iilPiilS8_bb,comdat
	.globl	_ZN9rocsolver6v33100L18getri_kernel_smallILi52E19rocblas_complex_numIfEPKPS3_EEvT1_iilPiilS8_bb ; -- Begin function _ZN9rocsolver6v33100L18getri_kernel_smallILi52E19rocblas_complex_numIfEPKPS3_EEvT1_iilPiilS8_bb
	.p2align	8
	.type	_ZN9rocsolver6v33100L18getri_kernel_smallILi52E19rocblas_complex_numIfEPKPS3_EEvT1_iilPiilS8_bb,@function
_ZN9rocsolver6v33100L18getri_kernel_smallILi52E19rocblas_complex_numIfEPKPS3_EEvT1_iilPiilS8_bb: ; @_ZN9rocsolver6v33100L18getri_kernel_smallILi52E19rocblas_complex_numIfEPKPS3_EEvT1_iilPiilS8_bb
; %bb.0:
	s_add_u32 flat_scratch_lo, s6, s9
	s_addc_u32 flat_scratch_hi, s7, 0
	s_add_u32 s0, s0, s9
	s_addc_u32 s1, s1, 0
	v_cmp_gt_u32_e32 vcc, 52, v0
	s_and_saveexec_b64 s[6:7], vcc
	s_cbranch_execz .LBB115_222
; %bb.1:
	s_load_dword s20, s[4:5], 0x38
	s_load_dwordx2 s[6:7], s[4:5], 0x0
	s_load_dwordx4 s[12:15], s[4:5], 0x28
	s_waitcnt lgkmcnt(0)
	s_bitcmp1_b32 s20, 8
	s_cselect_b64 s[16:17], -1, 0
	s_ashr_i32 s9, s8, 31
	s_lshl_b64 s[10:11], s[8:9], 3
	s_add_u32 s6, s6, s10
	s_addc_u32 s7, s7, s11
	s_load_dwordx2 s[18:19], s[6:7], 0x0
	s_bfe_u32 s6, s20, 0x10008
	s_cmp_eq_u32 s6, 0
                                        ; implicit-def: $sgpr10_sgpr11
	s_cbranch_scc1 .LBB115_3
; %bb.2:
	s_load_dword s6, s[4:5], 0x20
	s_load_dwordx2 s[10:11], s[4:5], 0x18
	s_mul_i32 s7, s8, s13
	s_mul_hi_u32 s13, s8, s12
	s_add_i32 s13, s13, s7
	s_mul_i32 s21, s9, s12
	s_add_i32 s13, s13, s21
	s_mul_i32 s12, s8, s12
	s_waitcnt lgkmcnt(0)
	s_ashr_i32 s7, s6, 31
	s_lshl_b64 s[12:13], s[12:13], 2
	s_add_u32 s10, s10, s12
	s_addc_u32 s11, s11, s13
	s_lshl_b64 s[6:7], s[6:7], 2
	s_add_u32 s10, s10, s6
	s_addc_u32 s11, s11, s7
.LBB115_3:
	s_load_dwordx2 s[6:7], s[4:5], 0x8
	v_lshlrev_b32_e32 v6, 3, v0
	s_waitcnt lgkmcnt(0)
	s_ashr_i32 s5, s6, 31
	s_mov_b32 s4, s6
	s_lshl_b64 s[4:5], s[4:5], 3
	s_add_u32 s4, s18, s4
	s_addc_u32 s5, s19, s5
	s_add_i32 s6, s7, s7
	v_add_u32_e32 v2, s6, v0
	v_ashrrev_i32_e32 v3, 31, v2
	v_lshlrev_b64 v[4:5], 3, v[2:3]
	v_add_u32_e32 v2, s7, v2
	v_mov_b32_e32 v1, s5
	v_add_co_u32_e32 v12, vcc, s4, v4
	v_ashrrev_i32_e32 v3, 31, v2
	v_addc_co_u32_e32 v13, vcc, v1, v5, vcc
	v_lshlrev_b64 v[4:5], 3, v[2:3]
	v_add_u32_e32 v2, s7, v2
	v_add_co_u32_e32 v14, vcc, s4, v4
	v_ashrrev_i32_e32 v3, 31, v2
	v_addc_co_u32_e32 v15, vcc, v1, v5, vcc
	v_lshlrev_b64 v[4:5], 3, v[2:3]
	v_add_u32_e32 v2, s7, v2
	;; [unrolled: 5-line block ×42, first 2 shown]
	v_add_co_u32_e32 v170, vcc, s4, v4
	v_ashrrev_i32_e32 v3, 31, v2
	v_addc_co_u32_e32 v171, vcc, v1, v5, vcc
	v_lshlrev_b64 v[4:5], 3, v[2:3]
	v_add_co_u32_e32 v172, vcc, s4, v4
	v_addc_co_u32_e32 v173, vcc, v1, v5, vcc
	global_load_dwordx2 v[4:5], v6, s[4:5]
	v_add_co_u32_e32 v180, vcc, s4, v6
	s_ashr_i32 s13, s7, 31
	s_mov_b32 s12, s7
	v_addc_co_u32_e32 v181, vcc, 0, v1, vcc
	s_lshl_b64 s[12:13], s[12:13], 3
	v_mov_b32_e32 v1, s13
	v_add_co_u32_e32 v182, vcc, s12, v180
	v_addc_co_u32_e32 v183, vcc, v181, v1, vcc
	global_load_dwordx2 v[8:9], v[182:183], off
	v_accvgpr_write_b32 a0, v12
	v_add_u32_e32 v2, s7, v2
	v_accvgpr_write_b32 a1, v13
	global_load_dwordx2 v[12:13], v[12:13], off
	v_ashrrev_i32_e32 v3, 31, v2
	v_lshlrev_b64 v[10:11], 3, v[2:3]
	v_mov_b32_e32 v1, s5
	v_add_co_u32_e32 v174, vcc, s4, v10
	v_addc_co_u32_e32 v175, vcc, v1, v11, vcc
	global_load_dwordx2 v[10:11], v[14:15], off
	v_accvgpr_write_b32 a2, v14
	v_accvgpr_write_b32 a6, v18
	;; [unrolled: 1-line block ×4, first 2 shown]
	global_load_dwordx2 v[18:19], v[18:19], off
	v_add_u32_e32 v2, s7, v2
	global_load_dwordx2 v[14:15], v[16:17], off
	v_ashrrev_i32_e32 v3, 31, v2
	v_accvgpr_write_b32 a4, v16
	v_accvgpr_write_b32 a10, v22
	;; [unrolled: 1-line block ×6, first 2 shown]
	global_load_dwordx2 v[22:23], v[22:23], off
	v_accvgpr_write_b32 a17, v29
	global_load_dwordx2 v[28:29], v[28:29], off
	v_accvgpr_write_b32 a31, v43
	global_load_dwordx2 v[42:43], v[42:43], off
	v_lshlrev_b64 v[16:17], 3, v[2:3]
	v_add_co_u32_e32 v176, vcc, s4, v16
	v_addc_co_u32_e32 v177, vcc, v1, v17, vcc
	global_load_dwordx2 v[16:17], v[20:21], off
	v_add_u32_e32 v2, s7, v2
	v_accvgpr_write_b32 a8, v20
	v_ashrrev_i32_e32 v3, 31, v2
	v_accvgpr_write_b32 a12, v24
	v_accvgpr_write_b32 a18, v30
	;; [unrolled: 1-line block ×5, first 2 shown]
	global_load_dwordx2 v[24:25], v[24:25], off
	v_accvgpr_write_b32 a19, v31
	global_load_dwordx2 v[30:31], v[30:31], off
	v_accvgpr_write_b32 a33, v45
	global_load_dwordx2 v[44:45], v[44:45], off
	v_lshlrev_b64 v[20:21], 3, v[2:3]
	v_add_u32_e32 v2, s7, v2
	v_add_co_u32_e32 v178, vcc, s4, v20
	v_ashrrev_i32_e32 v3, 31, v2
	v_accvgpr_write_b32 a14, v26
	v_accvgpr_write_b32 a28, v40
	v_addc_co_u32_e32 v179, vcc, v1, v21, vcc
	v_accvgpr_write_b32 a15, v27
	global_load_dwordx2 v[20:21], v[26:27], off
	v_accvgpr_write_b32 a29, v41
	global_load_dwordx2 v[40:41], v[40:41], off
	v_lshlrev_b64 v[26:27], 3, v[2:3]
	v_add_u32_e32 v2, s7, v2
	v_add_co_u32_e32 v184, vcc, s4, v26
	v_accvgpr_write_b32 a20, v32
	v_accvgpr_write_b32 a22, v34
	v_ashrrev_i32_e32 v3, 31, v2
	v_accvgpr_write_b32 a24, v36
	v_accvgpr_write_b32 a26, v38
	;; [unrolled: 1-line block ×3, first 2 shown]
	v_addc_co_u32_e32 v185, vcc, v1, v27, vcc
	v_accvgpr_write_b32 a21, v33
	global_load_dwordx2 v[26:27], v[32:33], off
	v_accvgpr_write_b32 a23, v35
	v_accvgpr_write_b32 a25, v37
	;; [unrolled: 1-line block ×4, first 2 shown]
	global_load_dwordx2 v[46:47], v[46:47], off
	v_accvgpr_write_b32 a36, v48
	global_load_dwordx2 v[32:33], v[34:35], off
	v_accvgpr_write_b32 a38, v50
	;; [unrolled: 2-line block ×3, first 2 shown]
	global_load_dwordx2 v[36:37], v[38:39], off
	v_lshlrev_b64 v[38:39], 3, v[2:3]
	v_add_u32_e32 v2, s7, v2
	v_add_co_u32_e32 v186, vcc, s4, v38
	v_ashrrev_i32_e32 v3, 31, v2
	v_addc_co_u32_e32 v187, vcc, v1, v39, vcc
	v_lshlrev_b64 v[2:3], 3, v[2:3]
	v_accvgpr_write_b32 a42, v54
	v_add_co_u32_e32 v188, vcc, s4, v2
	v_accvgpr_write_b32 a37, v49
	global_load_dwordx2 v[38:39], v[48:49], off
	v_accvgpr_write_b32 a39, v51
	global_load_dwordx2 v[48:49], v[50:51], off
	;; [unrolled: 2-line block ×4, first 2 shown]
	s_nop 0
	global_load_dwordx2 v[54:55], v[130:131], off
	global_load_dwordx2 v[56:57], v[132:133], off
	;; [unrolled: 1-line block ×4, first 2 shown]
	v_addc_co_u32_e32 v189, vcc, v1, v3, vcc
	global_load_dwordx2 v[2:3], v[138:139], off
	global_load_dwordx2 v[62:63], v[188:189], off
	;; [unrolled: 1-line block ×14, first 2 shown]
	s_bitcmp0_b32 s20, 0
	s_waitcnt vmcnt(41)
	buffer_store_dword v5, off, s[0:3], 0 offset:4
	buffer_store_dword v4, off, s[0:3], 0
	global_load_dwordx2 v[4:5], v[144:145], off
	s_mov_b64 s[6:7], -1
	s_waitcnt vmcnt(43)
	buffer_store_dword v9, off, s[0:3], 0 offset:12
	buffer_store_dword v8, off, s[0:3], 0 offset:8
	global_load_dwordx2 v[8:9], v[148:149], off
	s_waitcnt vmcnt(45)
	buffer_store_dword v13, off, s[0:3], 0 offset:20
	buffer_store_dword v12, off, s[0:3], 0 offset:16
	global_load_dwordx2 v[12:13], v[152:153], off
	;; [unrolled: 4-line block ×4, first 2 shown]
	s_nop 0
	buffer_store_dword v19, off, s[0:3], 0 offset:44
	buffer_store_dword v18, off, s[0:3], 0 offset:40
	global_load_dwordx2 v[18:19], v[164:165], off
	s_waitcnt vmcnt(50)
	buffer_store_dword v17, off, s[0:3], 0 offset:52
	buffer_store_dword v16, off, s[0:3], 0 offset:48
	global_load_dwordx2 v[16:17], v[168:169], off
	s_nop 0
	buffer_store_dword v23, off, s[0:3], 0 offset:60
	buffer_store_dword v22, off, s[0:3], 0 offset:56
	global_load_dwordx2 v[22:23], v[172:173], off
	s_waitcnt vmcnt(55)
	buffer_store_dword v25, off, s[0:3], 0 offset:68
	buffer_store_dword v24, off, s[0:3], 0 offset:64
	global_load_dwordx2 v[24:25], v[176:177], off
	s_waitcnt vmcnt(55)
	buffer_store_dword v20, off, s[0:3], 0 offset:72
	buffer_store_dword v21, off, s[0:3], 0 offset:76
	global_load_dwordx2 v[20:21], v[184:185], off
	s_nop 0
	buffer_store_dword v28, off, s[0:3], 0 offset:80
	buffer_store_dword v29, off, s[0:3], 0 offset:84
	;; [unrolled: 1-line block ×4, first 2 shown]
	s_waitcnt vmcnt(60)
	buffer_store_dword v26, off, s[0:3], 0 offset:96
	buffer_store_dword v27, off, s[0:3], 0 offset:100
	s_waitcnt vmcnt(60)
	buffer_store_dword v32, off, s[0:3], 0 offset:104
	buffer_store_dword v33, off, s[0:3], 0 offset:108
	;; [unrolled: 3-line block ×4, first 2 shown]
	buffer_store_dword v40, off, s[0:3], 0 offset:128
	buffer_store_dword v41, off, s[0:3], 0 offset:132
	;; [unrolled: 1-line block ×8, first 2 shown]
	s_waitcnt vmcnt(62)
	buffer_store_dword v39, off, s[0:3], 0 offset:164
	buffer_store_dword v38, off, s[0:3], 0 offset:160
	;; [unrolled: 1-line block ×18, first 2 shown]
	s_waitcnt vmcnt(62)
	buffer_store_dword v64, off, s[0:3], 0 offset:232
	buffer_store_dword v65, off, s[0:3], 0 offset:236
	;; [unrolled: 1-line block ×12, first 2 shown]
	s_waitcnt vmcnt(62)
	buffer_store_dword v12, off, s[0:3], 0 offset:280
	buffer_store_dword v13, off, s[0:3], 0 offset:284
	;; [unrolled: 1-line block ×16, first 2 shown]
	s_waitcnt vmcnt(62)
	buffer_store_dword v17, off, s[0:3], 0 offset:348
	buffer_store_dword v16, off, s[0:3], 0 offset:344
	;; [unrolled: 1-line block ×18, first 2 shown]
	s_cbranch_scc1 .LBB115_220
; %bb.4:
	v_cmp_eq_u32_e64 s[4:5], 0, v0
	s_and_saveexec_b64 s[6:7], s[4:5]
	s_cbranch_execz .LBB115_6
; %bb.5:
	v_mov_b32_e32 v1, 0
	ds_write_b32 v1, v1 offset:832
.LBB115_6:
	s_or_b64 exec, exec, s[6:7]
	v_mov_b32_e32 v1, 0
	v_lshl_add_u32 v7, v0, 3, v1
	s_waitcnt lgkmcnt(0)
	; wave barrier
	s_waitcnt lgkmcnt(0)
	buffer_load_dword v1, v7, s[0:3], 0 offen
	buffer_load_dword v2, v7, s[0:3], 0 offen offset:4
	s_waitcnt vmcnt(1)
	v_cmp_eq_f32_e32 vcc, 0, v1
	s_waitcnt vmcnt(0)
	v_cmp_eq_f32_e64 s[6:7], 0, v2
	s_and_b64 s[6:7], vcc, s[6:7]
	s_and_saveexec_b64 s[12:13], s[6:7]
	s_cbranch_execz .LBB115_10
; %bb.7:
	v_mov_b32_e32 v1, 0
	ds_read_b32 v3, v1 offset:832
	v_add_u32_e32 v2, 1, v0
	s_waitcnt lgkmcnt(0)
	v_readfirstlane_b32 s6, v3
	s_cmp_eq_u32 s6, 0
	s_cselect_b64 s[18:19], -1, 0
	v_cmp_gt_i32_e32 vcc, s6, v2
	s_or_b64 s[18:19], s[18:19], vcc
	s_and_b64 exec, exec, s[18:19]
	s_cbranch_execz .LBB115_10
; %bb.8:
	s_mov_b64 s[18:19], 0
	v_mov_b32_e32 v3, s6
.LBB115_9:                              ; =>This Inner Loop Header: Depth=1
	ds_cmpst_rtn_b32 v3, v1, v3, v2 offset:832
	s_waitcnt lgkmcnt(0)
	v_cmp_ne_u32_e32 vcc, 0, v3
	v_cmp_le_i32_e64 s[6:7], v3, v2
	s_and_b64 s[6:7], vcc, s[6:7]
	s_and_b64 s[6:7], exec, s[6:7]
	s_or_b64 s[18:19], s[6:7], s[18:19]
	s_andn2_b64 exec, exec, s[18:19]
	s_cbranch_execnz .LBB115_9
.LBB115_10:
	s_or_b64 exec, exec, s[12:13]
	v_mov_b32_e32 v2, 0
	s_waitcnt lgkmcnt(0)
	; wave barrier
	ds_read_b32 v1, v2 offset:832
	s_and_saveexec_b64 s[6:7], s[4:5]
	s_cbranch_execz .LBB115_12
; %bb.11:
	s_lshl_b64 s[12:13], s[8:9], 2
	s_add_u32 s12, s14, s12
	s_addc_u32 s13, s15, s13
	s_waitcnt lgkmcnt(0)
	global_store_dword v2, v1, s[12:13]
.LBB115_12:
	s_or_b64 exec, exec, s[6:7]
	s_waitcnt lgkmcnt(0)
	v_cmp_ne_u32_e32 vcc, 0, v1
	s_mov_b64 s[6:7], 0
	s_cbranch_vccnz .LBB115_220
; %bb.13:
	buffer_load_dword v8, v7, s[0:3], 0 offen offset:4
	buffer_load_dword v3, v7, s[0:3], 0 offen
	s_waitcnt vmcnt(1)
	v_cmp_gt_f32_e32 vcc, 0, v8
	v_cndmask_b32_e64 v1, v8, -v8, vcc
	s_waitcnt vmcnt(0)
	v_cmp_gt_f32_e32 vcc, 0, v3
	v_cndmask_b32_e64 v2, v3, -v3, vcc
	v_cmp_ngt_f32_e32 vcc, v2, v1
                                        ; implicit-def: $vgpr1
                                        ; implicit-def: $vgpr2
	s_and_saveexec_b64 s[6:7], vcc
	s_xor_b64 s[6:7], exec, s[6:7]
                                        ; implicit-def: $vgpr4_vgpr5
	s_cbranch_execz .LBB115_15
; %bb.14:
	v_div_scale_f32 v1, s[12:13], v8, v8, v3
	v_rcp_f32_e32 v2, v1
	v_div_scale_f32 v4, vcc, v3, v8, v3
	v_fma_f32 v5, -v1, v2, 1.0
	v_fmac_f32_e32 v2, v5, v2
	v_mul_f32_e32 v5, v4, v2
	v_fma_f32 v9, -v1, v5, v4
	v_fmac_f32_e32 v5, v9, v2
	v_fma_f32 v1, -v1, v5, v4
	v_div_fmas_f32 v1, v1, v2, v5
	v_div_fixup_f32 v2, v1, v8, v3
	v_fmac_f32_e32 v8, v3, v2
	v_div_scale_f32 v1, s[12:13], v8, v8, -1.0
	v_rcp_f32_e32 v3, v1
	v_fma_f32 v4, -v1, v3, 1.0
	v_fmac_f32_e32 v3, v4, v3
	v_div_scale_f32 v4, vcc, -1.0, v8, -1.0
	v_mul_f32_e32 v5, v4, v3
	v_fma_f32 v9, -v1, v5, v4
	v_fmac_f32_e32 v5, v9, v3
	v_fma_f32 v1, -v1, v5, v4
	v_div_fmas_f32 v1, v1, v3, v5
	v_div_fixup_f32 v1, v1, v8, -1.0
	v_mul_f32_e32 v2, v2, v1
	v_xor_b32_e32 v4, 0x80000000, v2
                                        ; implicit-def: $vgpr3
                                        ; implicit-def: $vgpr8
.LBB115_15:
	s_andn2_saveexec_b64 s[6:7], s[6:7]
	s_cbranch_execz .LBB115_17
; %bb.16:
	v_div_scale_f32 v1, s[12:13], v3, v3, v8
	v_rcp_f32_e32 v2, v1
	v_div_scale_f32 v4, vcc, v8, v3, v8
	v_fma_f32 v5, -v1, v2, 1.0
	v_fmac_f32_e32 v2, v5, v2
	v_mul_f32_e32 v5, v4, v2
	v_fma_f32 v9, -v1, v5, v4
	v_fmac_f32_e32 v5, v9, v2
	v_fma_f32 v1, -v1, v5, v4
	v_div_fmas_f32 v1, v1, v2, v5
	v_div_fixup_f32 v1, v1, v3, v8
	v_fmac_f32_e32 v3, v8, v1
	v_div_scale_f32 v2, s[12:13], v3, v3, 1.0
	v_rcp_f32_e32 v4, v2
	v_fma_f32 v5, -v2, v4, 1.0
	v_fmac_f32_e32 v4, v5, v4
	v_div_scale_f32 v5, vcc, 1.0, v3, 1.0
	v_mul_f32_e32 v8, v5, v4
	v_fma_f32 v9, -v2, v8, v5
	v_fmac_f32_e32 v8, v9, v4
	v_fma_f32 v2, -v2, v8, v5
	v_div_fmas_f32 v2, v2, v4, v8
	v_div_fixup_f32 v4, v2, v3, 1.0
	v_xor_b32_e32 v2, 0x80000000, v4
	v_mul_f32_e64 v1, v1, -v4
.LBB115_17:
	s_or_b64 exec, exec, s[6:7]
	buffer_store_dword v1, v7, s[0:3], 0 offen offset:4
	buffer_store_dword v4, v7, s[0:3], 0 offen
	buffer_load_dword v5, off, s[0:3], 0 offset:12
	s_nop 0
	buffer_load_dword v4, off, s[0:3], 0 offset:8
	v_xor_b32_e32 v3, 0x80000000, v1
	v_add_u32_e32 v1, 0x1a0, v6
	s_waitcnt vmcnt(0)
	ds_write2_b64 v6, v[2:3], v[4:5] offset1:52
	s_waitcnt lgkmcnt(0)
	; wave barrier
	s_waitcnt lgkmcnt(0)
	s_and_saveexec_b64 s[6:7], s[4:5]
	s_cbranch_execz .LBB115_19
; %bb.18:
	buffer_load_dword v8, v7, s[0:3], 0 offen offset:4
	buffer_load_dword v9, v7, s[0:3], 0 offen
	ds_read_b64 v[2:3], v1
	v_mov_b32_e32 v4, 0
	ds_read_b64 v[4:5], v4 offset:8
	s_waitcnt vmcnt(1) lgkmcnt(1)
	v_mul_f32_e32 v10, v3, v8
	v_mul_f32_e32 v8, v2, v8
	s_waitcnt vmcnt(0)
	v_fmac_f32_e32 v8, v3, v9
	v_fma_f32 v2, v2, v9, -v10
	v_add_f32_e32 v3, 0, v8
	v_add_f32_e32 v2, 0, v2
	s_waitcnt lgkmcnt(0)
	v_mul_f32_e32 v8, v3, v5
	v_mul_f32_e32 v5, v2, v5
	v_fma_f32 v2, v2, v4, -v8
	v_fmac_f32_e32 v5, v3, v4
	buffer_store_dword v2, off, s[0:3], 0 offset:8
	buffer_store_dword v5, off, s[0:3], 0 offset:12
.LBB115_19:
	s_or_b64 exec, exec, s[6:7]
	s_waitcnt lgkmcnt(0)
	; wave barrier
	buffer_load_dword v2, off, s[0:3], 0 offset:16
	buffer_load_dword v3, off, s[0:3], 0 offset:20
	v_cmp_gt_u32_e32 vcc, 2, v0
	s_waitcnt vmcnt(0)
	ds_write_b64 v1, v[2:3]
	s_waitcnt lgkmcnt(0)
	; wave barrier
	s_waitcnt lgkmcnt(0)
	s_and_saveexec_b64 s[6:7], vcc
	s_cbranch_execz .LBB115_23
; %bb.20:
	buffer_load_dword v4, v7, s[0:3], 0 offen offset:4
	buffer_load_dword v5, v7, s[0:3], 0 offen
	ds_read_b64 v[2:3], v1
	s_waitcnt vmcnt(1) lgkmcnt(0)
	v_mul_f32_e32 v7, v3, v4
	v_mul_f32_e32 v4, v2, v4
	s_waitcnt vmcnt(0)
	v_fma_f32 v2, v2, v5, -v7
	v_fmac_f32_e32 v4, v3, v5
	v_add_f32_e32 v3, 0, v2
	v_add_f32_e32 v2, 0, v4
	s_and_saveexec_b64 s[12:13], s[4:5]
	s_cbranch_execz .LBB115_22
; %bb.21:
	buffer_load_dword v7, off, s[0:3], 0 offset:12
	buffer_load_dword v8, off, s[0:3], 0 offset:8
	v_mov_b32_e32 v4, 0
	ds_read_b64 v[4:5], v4 offset:424
	s_waitcnt vmcnt(1) lgkmcnt(0)
	v_mul_f32_e32 v9, v4, v7
	v_mul_f32_e32 v7, v5, v7
	s_waitcnt vmcnt(0)
	v_fmac_f32_e32 v9, v5, v8
	v_fma_f32 v4, v4, v8, -v7
	v_add_f32_e32 v2, v2, v9
	v_add_f32_e32 v3, v3, v4
.LBB115_22:
	s_or_b64 exec, exec, s[12:13]
	v_mov_b32_e32 v4, 0
	ds_read_b64 v[4:5], v4 offset:16
	s_waitcnt lgkmcnt(0)
	v_mul_f32_e32 v7, v2, v5
	v_mul_f32_e32 v5, v3, v5
	v_fma_f32 v3, v3, v4, -v7
	v_fmac_f32_e32 v5, v2, v4
	buffer_store_dword v3, off, s[0:3], 0 offset:16
	buffer_store_dword v5, off, s[0:3], 0 offset:20
.LBB115_23:
	s_or_b64 exec, exec, s[6:7]
	s_waitcnt lgkmcnt(0)
	; wave barrier
	buffer_load_dword v2, off, s[0:3], 0 offset:24
	buffer_load_dword v3, off, s[0:3], 0 offset:28
	v_cmp_gt_u32_e32 vcc, 3, v0
	s_waitcnt vmcnt(0)
	ds_write_b64 v1, v[2:3]
	v_add_u32_e32 v2, -1, v0
	s_waitcnt lgkmcnt(0)
	; wave barrier
	s_waitcnt lgkmcnt(0)
	s_and_saveexec_b64 s[4:5], vcc
	s_cbranch_execz .LBB115_27
; %bb.24:
	v_add_u32_e32 v4, -1, v0
	v_add_u32_e32 v5, 0x1a0, v6
	v_add_u32_e32 v7, 0, v6
	s_mov_b64 s[6:7], 0
	v_mov_b32_e32 v3, 0
	v_mov_b32_e32 v8, 0
.LBB115_25:                             ; =>This Inner Loop Header: Depth=1
	buffer_load_dword v9, v7, s[0:3], 0 offen offset:4
	buffer_load_dword v12, v7, s[0:3], 0 offen
	ds_read_b64 v[10:11], v5
	v_add_u32_e32 v4, 1, v4
	v_cmp_lt_u32_e32 vcc, 1, v4
	v_add_u32_e32 v5, 8, v5
	v_add_u32_e32 v7, 8, v7
	s_or_b64 s[6:7], vcc, s[6:7]
	s_waitcnt vmcnt(1) lgkmcnt(0)
	v_mul_f32_e32 v13, v11, v9
	v_mul_f32_e32 v9, v10, v9
	s_waitcnt vmcnt(0)
	v_fma_f32 v10, v10, v12, -v13
	v_fmac_f32_e32 v9, v11, v12
	v_add_f32_e32 v8, v8, v10
	v_add_f32_e32 v3, v3, v9
	s_andn2_b64 exec, exec, s[6:7]
	s_cbranch_execnz .LBB115_25
; %bb.26:
	s_or_b64 exec, exec, s[6:7]
	v_mov_b32_e32 v4, 0
	ds_read_b64 v[4:5], v4 offset:24
	s_waitcnt lgkmcnt(0)
	v_mul_f32_e32 v7, v3, v5
	v_mul_f32_e32 v5, v8, v5
	v_fma_f32 v7, v8, v4, -v7
	v_fmac_f32_e32 v5, v3, v4
	buffer_store_dword v7, off, s[0:3], 0 offset:24
	buffer_store_dword v5, off, s[0:3], 0 offset:28
.LBB115_27:
	s_or_b64 exec, exec, s[4:5]
	s_waitcnt lgkmcnt(0)
	; wave barrier
	buffer_load_dword v4, off, s[0:3], 0 offset:32
	buffer_load_dword v5, off, s[0:3], 0 offset:36
	v_cmp_gt_u32_e32 vcc, 4, v0
	s_waitcnt vmcnt(0)
	ds_write_b64 v1, v[4:5]
	s_waitcnt lgkmcnt(0)
	; wave barrier
	s_waitcnt lgkmcnt(0)
	s_and_saveexec_b64 s[4:5], vcc
	s_cbranch_execz .LBB115_31
; %bb.28:
	v_add_u32_e32 v4, -1, v0
	v_add_u32_e32 v5, 0x1a0, v6
	v_add_u32_e32 v7, 0, v6
	s_mov_b64 s[6:7], 0
	v_mov_b32_e32 v3, 0
	v_mov_b32_e32 v8, 0
.LBB115_29:                             ; =>This Inner Loop Header: Depth=1
	buffer_load_dword v9, v7, s[0:3], 0 offen offset:4
	buffer_load_dword v12, v7, s[0:3], 0 offen
	ds_read_b64 v[10:11], v5
	v_add_u32_e32 v4, 1, v4
	v_cmp_lt_u32_e32 vcc, 2, v4
	v_add_u32_e32 v5, 8, v5
	v_add_u32_e32 v7, 8, v7
	s_or_b64 s[6:7], vcc, s[6:7]
	s_waitcnt vmcnt(1) lgkmcnt(0)
	v_mul_f32_e32 v13, v11, v9
	v_mul_f32_e32 v9, v10, v9
	s_waitcnt vmcnt(0)
	v_fma_f32 v10, v10, v12, -v13
	v_fmac_f32_e32 v9, v11, v12
	v_add_f32_e32 v8, v8, v10
	v_add_f32_e32 v3, v3, v9
	s_andn2_b64 exec, exec, s[6:7]
	s_cbranch_execnz .LBB115_29
; %bb.30:
	s_or_b64 exec, exec, s[6:7]
	v_mov_b32_e32 v4, 0
	ds_read_b64 v[4:5], v4 offset:32
	s_waitcnt lgkmcnt(0)
	v_mul_f32_e32 v7, v3, v5
	v_mul_f32_e32 v5, v8, v5
	v_fma_f32 v7, v8, v4, -v7
	v_fmac_f32_e32 v5, v3, v4
	buffer_store_dword v7, off, s[0:3], 0 offset:32
	buffer_store_dword v5, off, s[0:3], 0 offset:36
.LBB115_31:
	s_or_b64 exec, exec, s[4:5]
	s_waitcnt lgkmcnt(0)
	; wave barrier
	buffer_load_dword v4, off, s[0:3], 0 offset:40
	buffer_load_dword v5, off, s[0:3], 0 offset:44
	v_cmp_gt_u32_e32 vcc, 5, v0
	s_waitcnt vmcnt(0)
	ds_write_b64 v1, v[4:5]
	;; [unrolled: 51-line block ×19, first 2 shown]
	s_waitcnt lgkmcnt(0)
	; wave barrier
	s_waitcnt lgkmcnt(0)
	s_and_saveexec_b64 s[4:5], vcc
	s_cbranch_execz .LBB115_103
; %bb.100:
	v_add_u32_e32 v4, -1, v0
	v_add_u32_e32 v5, 0x1a0, v6
	v_add_u32_e32 v7, 0, v6
	s_mov_b64 s[6:7], 0
	v_mov_b32_e32 v3, 0
	v_mov_b32_e32 v8, 0
.LBB115_101:                            ; =>This Inner Loop Header: Depth=1
	buffer_load_dword v9, v7, s[0:3], 0 offen offset:4
	buffer_load_dword v12, v7, s[0:3], 0 offen
	ds_read_b64 v[10:11], v5
	v_add_u32_e32 v4, 1, v4
	v_cmp_lt_u32_e32 vcc, 20, v4
	v_add_u32_e32 v5, 8, v5
	v_add_u32_e32 v7, 8, v7
	s_or_b64 s[6:7], vcc, s[6:7]
	s_waitcnt vmcnt(1) lgkmcnt(0)
	v_mul_f32_e32 v13, v11, v9
	v_mul_f32_e32 v9, v10, v9
	s_waitcnt vmcnt(0)
	v_fma_f32 v10, v10, v12, -v13
	v_fmac_f32_e32 v9, v11, v12
	v_add_f32_e32 v8, v8, v10
	v_add_f32_e32 v3, v3, v9
	s_andn2_b64 exec, exec, s[6:7]
	s_cbranch_execnz .LBB115_101
; %bb.102:
	s_or_b64 exec, exec, s[6:7]
	v_mov_b32_e32 v4, 0
	ds_read_b64 v[4:5], v4 offset:176
	s_waitcnt lgkmcnt(0)
	v_mul_f32_e32 v7, v3, v5
	v_mul_f32_e32 v5, v8, v5
	v_fma_f32 v7, v8, v4, -v7
	v_fmac_f32_e32 v5, v3, v4
	buffer_store_dword v7, off, s[0:3], 0 offset:176
	buffer_store_dword v5, off, s[0:3], 0 offset:180
.LBB115_103:
	s_or_b64 exec, exec, s[4:5]
	s_waitcnt lgkmcnt(0)
	; wave barrier
	buffer_load_dword v4, off, s[0:3], 0 offset:184
	buffer_load_dword v5, off, s[0:3], 0 offset:188
	v_cmp_gt_u32_e32 vcc, 23, v0
	s_waitcnt vmcnt(0)
	ds_write_b64 v1, v[4:5]
	s_waitcnt lgkmcnt(0)
	; wave barrier
	s_waitcnt lgkmcnt(0)
	s_and_saveexec_b64 s[4:5], vcc
	s_cbranch_execz .LBB115_107
; %bb.104:
	v_add_u32_e32 v4, -1, v0
	v_add_u32_e32 v5, 0x1a0, v6
	v_add_u32_e32 v7, 0, v6
	s_mov_b64 s[6:7], 0
	v_mov_b32_e32 v3, 0
	v_mov_b32_e32 v8, 0
.LBB115_105:                            ; =>This Inner Loop Header: Depth=1
	buffer_load_dword v9, v7, s[0:3], 0 offen offset:4
	buffer_load_dword v12, v7, s[0:3], 0 offen
	ds_read_b64 v[10:11], v5
	v_add_u32_e32 v4, 1, v4
	v_cmp_lt_u32_e32 vcc, 21, v4
	v_add_u32_e32 v5, 8, v5
	v_add_u32_e32 v7, 8, v7
	s_or_b64 s[6:7], vcc, s[6:7]
	s_waitcnt vmcnt(1) lgkmcnt(0)
	v_mul_f32_e32 v13, v11, v9
	v_mul_f32_e32 v9, v10, v9
	s_waitcnt vmcnt(0)
	v_fma_f32 v10, v10, v12, -v13
	v_fmac_f32_e32 v9, v11, v12
	v_add_f32_e32 v8, v8, v10
	v_add_f32_e32 v3, v3, v9
	s_andn2_b64 exec, exec, s[6:7]
	s_cbranch_execnz .LBB115_105
; %bb.106:
	s_or_b64 exec, exec, s[6:7]
	v_mov_b32_e32 v4, 0
	ds_read_b64 v[4:5], v4 offset:184
	s_waitcnt lgkmcnt(0)
	v_mul_f32_e32 v7, v3, v5
	v_mul_f32_e32 v5, v8, v5
	v_fma_f32 v7, v8, v4, -v7
	v_fmac_f32_e32 v5, v3, v4
	buffer_store_dword v7, off, s[0:3], 0 offset:184
	buffer_store_dword v5, off, s[0:3], 0 offset:188
.LBB115_107:
	s_or_b64 exec, exec, s[4:5]
	s_waitcnt lgkmcnt(0)
	; wave barrier
	buffer_load_dword v4, off, s[0:3], 0 offset:192
	buffer_load_dword v5, off, s[0:3], 0 offset:196
	v_cmp_gt_u32_e32 vcc, 24, v0
	s_waitcnt vmcnt(0)
	ds_write_b64 v1, v[4:5]
	;; [unrolled: 51-line block ×28, first 2 shown]
	s_waitcnt lgkmcnt(0)
	; wave barrier
	s_waitcnt lgkmcnt(0)
	s_and_saveexec_b64 s[4:5], vcc
	s_cbranch_execz .LBB115_215
; %bb.212:
	v_add_u32_e32 v4, -1, v0
	v_add_u32_e32 v5, 0x1a0, v6
	v_add_u32_e32 v7, 0, v6
	s_mov_b64 s[6:7], 0
	v_mov_b32_e32 v3, 0
	v_mov_b32_e32 v8, 0
.LBB115_213:                            ; =>This Inner Loop Header: Depth=1
	buffer_load_dword v9, v7, s[0:3], 0 offen offset:4
	buffer_load_dword v12, v7, s[0:3], 0 offen
	ds_read_b64 v[10:11], v5
	v_add_u32_e32 v4, 1, v4
	v_cmp_lt_u32_e32 vcc, 48, v4
	v_add_u32_e32 v5, 8, v5
	v_add_u32_e32 v7, 8, v7
	s_or_b64 s[6:7], vcc, s[6:7]
	s_waitcnt vmcnt(1) lgkmcnt(0)
	v_mul_f32_e32 v13, v11, v9
	v_mul_f32_e32 v9, v10, v9
	s_waitcnt vmcnt(0)
	v_fma_f32 v10, v10, v12, -v13
	v_fmac_f32_e32 v9, v11, v12
	v_add_f32_e32 v8, v8, v10
	v_add_f32_e32 v3, v3, v9
	s_andn2_b64 exec, exec, s[6:7]
	s_cbranch_execnz .LBB115_213
; %bb.214:
	s_or_b64 exec, exec, s[6:7]
	v_mov_b32_e32 v4, 0
	ds_read_b64 v[4:5], v4 offset:400
	s_waitcnt lgkmcnt(0)
	v_mul_f32_e32 v7, v3, v5
	v_mul_f32_e32 v5, v8, v5
	v_fma_f32 v7, v8, v4, -v7
	v_fmac_f32_e32 v5, v3, v4
	buffer_store_dword v7, off, s[0:3], 0 offset:400
	buffer_store_dword v5, off, s[0:3], 0 offset:404
.LBB115_215:
	s_or_b64 exec, exec, s[4:5]
	s_waitcnt lgkmcnt(0)
	; wave barrier
	buffer_load_dword v4, off, s[0:3], 0 offset:408
	buffer_load_dword v5, off, s[0:3], 0 offset:412
	v_cmp_ne_u32_e32 vcc, 51, v0
	s_waitcnt vmcnt(0)
	ds_write_b64 v1, v[4:5]
	s_waitcnt lgkmcnt(0)
	; wave barrier
	s_waitcnt lgkmcnt(0)
	s_and_saveexec_b64 s[4:5], vcc
	s_cbranch_execz .LBB115_219
; %bb.216:
	v_add_u32_e32 v3, 0x1a0, v6
	v_add_u32_e32 v4, 0, v6
	s_mov_b64 s[6:7], 0
	v_mov_b32_e32 v1, 0
	v_mov_b32_e32 v5, 0
.LBB115_217:                            ; =>This Inner Loop Header: Depth=1
	buffer_load_dword v8, v4, s[0:3], 0 offen offset:4
	buffer_load_dword v9, v4, s[0:3], 0 offen
	ds_read_b64 v[6:7], v3
	v_add_u32_e32 v2, 1, v2
	v_cmp_lt_u32_e32 vcc, 49, v2
	v_add_u32_e32 v3, 8, v3
	v_add_u32_e32 v4, 8, v4
	s_or_b64 s[6:7], vcc, s[6:7]
	s_waitcnt vmcnt(1) lgkmcnt(0)
	v_mul_f32_e32 v10, v7, v8
	v_mul_f32_e32 v8, v6, v8
	s_waitcnt vmcnt(0)
	v_fma_f32 v6, v6, v9, -v10
	v_fmac_f32_e32 v8, v7, v9
	v_add_f32_e32 v5, v5, v6
	v_add_f32_e32 v1, v1, v8
	s_andn2_b64 exec, exec, s[6:7]
	s_cbranch_execnz .LBB115_217
; %bb.218:
	s_or_b64 exec, exec, s[6:7]
	v_mov_b32_e32 v2, 0
	ds_read_b64 v[2:3], v2 offset:408
	s_waitcnt lgkmcnt(0)
	v_mul_f32_e32 v4, v1, v3
	v_mul_f32_e32 v3, v5, v3
	v_fma_f32 v4, v5, v2, -v4
	v_fmac_f32_e32 v3, v1, v2
	buffer_store_dword v4, off, s[0:3], 0 offset:408
	buffer_store_dword v3, off, s[0:3], 0 offset:412
.LBB115_219:
	s_or_b64 exec, exec, s[4:5]
	s_mov_b64 s[6:7], -1
	s_waitcnt lgkmcnt(0)
	; wave barrier
.LBB115_220:
	s_and_b64 vcc, exec, s[6:7]
	s_cbranch_vccz .LBB115_222
; %bb.221:
	s_lshl_b64 s[4:5], s[8:9], 2
	s_add_u32 s4, s14, s4
	s_addc_u32 s5, s15, s5
	v_mov_b32_e32 v1, 0
	global_load_dword v1, v1, s[4:5]
	s_waitcnt vmcnt(0)
	v_cmp_ne_u32_e32 vcc, 0, v1
	s_cbranch_vccz .LBB115_223
.LBB115_222:
	s_endpgm
.LBB115_223:
	v_mov_b32_e32 v1, 0x1a0
	v_lshl_add_u32 v129, v0, 3, v1
	v_cmp_eq_u32_e32 vcc, 51, v0
	s_and_saveexec_b64 s[4:5], vcc
	s_cbranch_execz .LBB115_225
; %bb.224:
	buffer_load_dword v2, off, s[0:3], 0 offset:400
	buffer_load_dword v3, off, s[0:3], 0 offset:404
	v_mov_b32_e32 v1, 0
	buffer_store_dword v1, off, s[0:3], 0 offset:400
	buffer_store_dword v1, off, s[0:3], 0 offset:404
	s_waitcnt vmcnt(2)
	ds_write_b64 v129, v[2:3]
.LBB115_225:
	s_or_b64 exec, exec, s[4:5]
	s_waitcnt lgkmcnt(0)
	; wave barrier
	s_waitcnt lgkmcnt(0)
	buffer_load_dword v3, off, s[0:3], 0 offset:412
	buffer_load_dword v2, off, s[0:3], 0 offset:408
	;; [unrolled: 1-line block ×4, first 2 shown]
	v_mov_b32_e32 v1, 0
	ds_read_b64 v[6:7], v1 offset:824
	v_cmp_lt_u32_e32 vcc, 49, v0
	s_waitcnt vmcnt(3)
	v_mov_b32_e32 v8, v3
	s_waitcnt lgkmcnt(0)
	v_pk_mul_f32 v[8:9], v[6:7], v[8:9] op_sel_hi:[1,0]
	s_waitcnt vmcnt(2)
	v_pk_fma_f32 v[10:11], v[6:7], v[2:3], v[8:9] op_sel:[0,0,1] op_sel_hi:[1,1,0] neg_lo:[0,0,1] neg_hi:[0,0,1]
	v_pk_fma_f32 v[2:3], v[6:7], v[2:3], v[8:9] op_sel:[0,0,1] op_sel_hi:[1,0,0]
	v_mov_b32_e32 v11, v3
	v_pk_add_f32 v[2:3], v[10:11], 0 op_sel_hi:[1,0]
	s_waitcnt vmcnt(0)
	v_pk_add_f32 v[2:3], v[4:5], v[2:3] neg_lo:[0,1] neg_hi:[0,1]
	buffer_store_dword v2, off, s[0:3], 0 offset:400
	buffer_store_dword v3, off, s[0:3], 0 offset:404
	s_and_saveexec_b64 s[4:5], vcc
	s_cbranch_execz .LBB115_227
; %bb.226:
	buffer_load_dword v2, off, s[0:3], 0 offset:392
	buffer_load_dword v3, off, s[0:3], 0 offset:396
	s_waitcnt vmcnt(0)
	ds_write_b64 v129, v[2:3]
	buffer_store_dword v1, off, s[0:3], 0 offset:392
	buffer_store_dword v1, off, s[0:3], 0 offset:396
.LBB115_227:
	s_or_b64 exec, exec, s[4:5]
	s_waitcnt lgkmcnt(0)
	; wave barrier
	s_waitcnt lgkmcnt(0)
	buffer_load_dword v7, off, s[0:3], 0 offset:404
	buffer_load_dword v9, off, s[0:3], 0 offset:412
	;; [unrolled: 1-line block ×6, first 2 shown]
	ds_read_b128 v[2:5], v1 offset:816
	v_cmp_lt_u32_e32 vcc, 48, v0
	s_waitcnt vmcnt(5)
	v_mov_b32_e32 v12, v7
	s_waitcnt vmcnt(4)
	v_mov_b32_e32 v14, v9
	s_waitcnt lgkmcnt(0)
	v_pk_mul_f32 v[12:13], v[2:3], v[12:13] op_sel_hi:[1,0]
	v_pk_mul_f32 v[14:15], v[4:5], v[14:15] op_sel_hi:[1,0]
	s_waitcnt vmcnt(3)
	v_pk_fma_f32 v[16:17], v[2:3], v[6:7], v[12:13] op_sel:[0,0,1] op_sel_hi:[1,1,0] neg_lo:[0,0,1] neg_hi:[0,0,1]
	v_pk_fma_f32 v[2:3], v[2:3], v[6:7], v[12:13] op_sel:[0,0,1] op_sel_hi:[1,0,0]
	s_waitcnt vmcnt(2)
	v_pk_fma_f32 v[6:7], v[4:5], v[8:9], v[14:15] op_sel:[0,0,1] op_sel_hi:[1,1,0] neg_lo:[0,0,1] neg_hi:[0,0,1]
	v_pk_fma_f32 v[4:5], v[4:5], v[8:9], v[14:15] op_sel:[0,0,1] op_sel_hi:[1,0,0]
	v_mov_b32_e32 v17, v3
	v_mov_b32_e32 v7, v5
	v_pk_add_f32 v[2:3], v[16:17], 0 op_sel_hi:[1,0]
	v_pk_add_f32 v[2:3], v[2:3], v[6:7]
	s_waitcnt vmcnt(0)
	v_pk_add_f32 v[2:3], v[10:11], v[2:3] neg_lo:[0,1] neg_hi:[0,1]
	buffer_store_dword v2, off, s[0:3], 0 offset:392
	buffer_store_dword v3, off, s[0:3], 0 offset:396
	s_and_saveexec_b64 s[4:5], vcc
	s_cbranch_execz .LBB115_229
; %bb.228:
	buffer_load_dword v2, off, s[0:3], 0 offset:384
	buffer_load_dword v3, off, s[0:3], 0 offset:388
	v_mov_b32_e32 v1, 0
	buffer_store_dword v1, off, s[0:3], 0 offset:384
	buffer_store_dword v1, off, s[0:3], 0 offset:388
	s_waitcnt vmcnt(2)
	ds_write_b64 v129, v[2:3]
.LBB115_229:
	s_or_b64 exec, exec, s[4:5]
	s_waitcnt lgkmcnt(0)
	; wave barrier
	s_waitcnt lgkmcnt(0)
	buffer_load_dword v6, off, s[0:3], 0 offset:384
	buffer_load_dword v7, off, s[0:3], 0 offset:388
	;; [unrolled: 1-line block ×8, first 2 shown]
	v_mov_b32_e32 v1, 0
	ds_read2_b64 v[2:5], v1 offset0:101 offset1:102
	ds_read_b64 v[14:15], v1 offset:824
	v_cmp_lt_u32_e32 vcc, 47, v0
	s_waitcnt vmcnt(4)
	v_mov_b32_e32 v16, v9
	s_waitcnt lgkmcnt(1)
	v_pk_mul_f32 v[16:17], v[2:3], v[16:17] op_sel_hi:[1,0]
	v_pk_fma_f32 v[18:19], v[2:3], v[8:9], v[16:17] op_sel:[0,0,1] op_sel_hi:[1,1,0] neg_lo:[0,0,1] neg_hi:[0,0,1]
	v_pk_fma_f32 v[2:3], v[2:3], v[8:9], v[16:17] op_sel:[0,0,1] op_sel_hi:[1,0,0]
	s_waitcnt vmcnt(2)
	v_mov_b32_e32 v8, v11
	v_pk_mul_f32 v[8:9], v[4:5], v[8:9] op_sel_hi:[1,0]
	v_pk_fma_f32 v[16:17], v[4:5], v[10:11], v[8:9] op_sel:[0,0,1] op_sel_hi:[1,1,0] neg_lo:[0,0,1] neg_hi:[0,0,1]
	v_pk_fma_f32 v[4:5], v[4:5], v[10:11], v[8:9] op_sel:[0,0,1] op_sel_hi:[1,0,0]
	s_waitcnt vmcnt(0)
	v_mov_b32_e32 v4, v13
	v_mov_b32_e32 v19, v3
	;; [unrolled: 1-line block ×3, first 2 shown]
	s_waitcnt lgkmcnt(0)
	v_pk_mul_f32 v[4:5], v[14:15], v[4:5] op_sel_hi:[1,0]
	v_pk_add_f32 v[2:3], v[18:19], 0 op_sel_hi:[1,0]
	v_pk_fma_f32 v[8:9], v[14:15], v[12:13], v[4:5] op_sel:[0,0,1] op_sel_hi:[1,1,0] neg_lo:[0,0,1] neg_hi:[0,0,1]
	v_pk_fma_f32 v[4:5], v[14:15], v[12:13], v[4:5] op_sel:[0,0,1] op_sel_hi:[1,0,0]
	v_pk_add_f32 v[2:3], v[2:3], v[16:17]
	v_mov_b32_e32 v9, v5
	v_pk_add_f32 v[2:3], v[2:3], v[8:9]
	v_pk_add_f32 v[2:3], v[6:7], v[2:3] neg_lo:[0,1] neg_hi:[0,1]
	buffer_store_dword v2, off, s[0:3], 0 offset:384
	buffer_store_dword v3, off, s[0:3], 0 offset:388
	s_and_saveexec_b64 s[4:5], vcc
	s_cbranch_execz .LBB115_231
; %bb.230:
	buffer_load_dword v2, off, s[0:3], 0 offset:376
	buffer_load_dword v3, off, s[0:3], 0 offset:380
	s_waitcnt vmcnt(0)
	ds_write_b64 v129, v[2:3]
	buffer_store_dword v1, off, s[0:3], 0 offset:376
	buffer_store_dword v1, off, s[0:3], 0 offset:380
.LBB115_231:
	s_or_b64 exec, exec, s[4:5]
	s_waitcnt lgkmcnt(0)
	; wave barrier
	s_waitcnt lgkmcnt(0)
	buffer_load_dword v10, off, s[0:3], 0 offset:376
	buffer_load_dword v11, off, s[0:3], 0 offset:380
	;; [unrolled: 1-line block ×10, first 2 shown]
	ds_read_b128 v[2:5], v1 offset:800
	ds_read_b128 v[6:9], v1 offset:816
	v_cmp_lt_u32_e32 vcc, 46, v0
	s_waitcnt vmcnt(6)
	v_mov_b32_e32 v20, v13
	s_waitcnt lgkmcnt(1)
	v_pk_mul_f32 v[20:21], v[2:3], v[20:21] op_sel_hi:[1,0]
	v_pk_fma_f32 v[22:23], v[2:3], v[12:13], v[20:21] op_sel:[0,0,1] op_sel_hi:[1,1,0] neg_lo:[0,0,1] neg_hi:[0,0,1]
	v_pk_fma_f32 v[2:3], v[2:3], v[12:13], v[20:21] op_sel:[0,0,1] op_sel_hi:[1,0,0]
	s_waitcnt vmcnt(4)
	v_mov_b32_e32 v12, v15
	v_pk_mul_f32 v[12:13], v[4:5], v[12:13] op_sel_hi:[1,0]
	v_pk_fma_f32 v[20:21], v[4:5], v[14:15], v[12:13] op_sel:[0,0,1] op_sel_hi:[1,1,0] neg_lo:[0,0,1] neg_hi:[0,0,1]
	v_pk_fma_f32 v[4:5], v[4:5], v[14:15], v[12:13] op_sel:[0,0,1] op_sel_hi:[1,0,0]
	s_waitcnt vmcnt(2)
	v_mov_b32_e32 v4, v17
	v_mov_b32_e32 v21, v5
	s_waitcnt lgkmcnt(0)
	v_pk_mul_f32 v[4:5], v[6:7], v[4:5] op_sel_hi:[1,0]
	v_pk_fma_f32 v[12:13], v[6:7], v[16:17], v[4:5] op_sel:[0,0,1] op_sel_hi:[1,1,0] neg_lo:[0,0,1] neg_hi:[0,0,1]
	v_pk_fma_f32 v[4:5], v[6:7], v[16:17], v[4:5] op_sel:[0,0,1] op_sel_hi:[1,0,0]
	v_mov_b32_e32 v23, v3
	s_waitcnt vmcnt(0)
	v_mov_b32_e32 v4, v19
	v_pk_add_f32 v[2:3], v[22:23], 0 op_sel_hi:[1,0]
	v_mov_b32_e32 v13, v5
	v_pk_mul_f32 v[4:5], v[8:9], v[4:5] op_sel_hi:[1,0]
	v_pk_add_f32 v[2:3], v[2:3], v[20:21]
	v_pk_fma_f32 v[6:7], v[8:9], v[18:19], v[4:5] op_sel:[0,0,1] op_sel_hi:[1,1,0] neg_lo:[0,0,1] neg_hi:[0,0,1]
	v_pk_fma_f32 v[4:5], v[8:9], v[18:19], v[4:5] op_sel:[0,0,1] op_sel_hi:[1,0,0]
	v_pk_add_f32 v[2:3], v[2:3], v[12:13]
	v_mov_b32_e32 v7, v5
	v_pk_add_f32 v[2:3], v[2:3], v[6:7]
	v_pk_add_f32 v[2:3], v[10:11], v[2:3] neg_lo:[0,1] neg_hi:[0,1]
	buffer_store_dword v2, off, s[0:3], 0 offset:376
	buffer_store_dword v3, off, s[0:3], 0 offset:380
	s_and_saveexec_b64 s[4:5], vcc
	s_cbranch_execz .LBB115_233
; %bb.232:
	buffer_load_dword v2, off, s[0:3], 0 offset:368
	buffer_load_dword v3, off, s[0:3], 0 offset:372
	v_mov_b32_e32 v1, 0
	buffer_store_dword v1, off, s[0:3], 0 offset:368
	buffer_store_dword v1, off, s[0:3], 0 offset:372
	s_waitcnt vmcnt(2)
	ds_write_b64 v129, v[2:3]
.LBB115_233:
	s_or_b64 exec, exec, s[4:5]
	s_waitcnt lgkmcnt(0)
	; wave barrier
	s_waitcnt lgkmcnt(0)
	buffer_load_dword v11, off, s[0:3], 0 offset:380
	buffer_load_dword v13, off, s[0:3], 0 offset:388
	;; [unrolled: 1-line block ×12, first 2 shown]
	v_mov_b32_e32 v1, 0
	ds_read2_b64 v[2:5], v1 offset0:99 offset1:100
	ds_read2_b64 v[6:9], v1 offset0:101 offset1:102
	ds_read_b64 v[22:23], v1 offset:824
	v_cmp_lt_u32_e32 vcc, 45, v0
	s_waitcnt vmcnt(11)
	v_mov_b32_e32 v24, v11
	s_waitcnt vmcnt(10)
	v_mov_b32_e32 v26, v13
	s_waitcnt lgkmcnt(2)
	v_pk_mul_f32 v[24:25], v[2:3], v[24:25] op_sel_hi:[1,0]
	s_waitcnt vmcnt(9)
	v_mov_b32_e32 v28, v15
	v_pk_mul_f32 v[26:27], v[4:5], v[26:27] op_sel_hi:[1,0]
	s_waitcnt vmcnt(6)
	v_pk_fma_f32 v[34:35], v[2:3], v[10:11], v[24:25] op_sel:[0,0,1] op_sel_hi:[1,1,0] neg_lo:[0,0,1] neg_hi:[0,0,1]
	v_pk_fma_f32 v[2:3], v[2:3], v[10:11], v[24:25] op_sel:[0,0,1] op_sel_hi:[1,0,0]
	v_mov_b32_e32 v30, v17
	s_waitcnt lgkmcnt(1)
	v_pk_mul_f32 v[28:29], v[6:7], v[28:29] op_sel_hi:[1,0]
	s_waitcnt vmcnt(5)
	v_pk_fma_f32 v[10:11], v[4:5], v[12:13], v[26:27] op_sel:[0,0,1] op_sel_hi:[1,1,0] neg_lo:[0,0,1] neg_hi:[0,0,1]
	v_pk_fma_f32 v[4:5], v[4:5], v[12:13], v[26:27] op_sel:[0,0,1] op_sel_hi:[1,0,0]
	v_mov_b32_e32 v35, v3
	v_mov_b32_e32 v32, v19
	v_pk_mul_f32 v[30:31], v[8:9], v[30:31] op_sel_hi:[1,0]
	s_waitcnt vmcnt(4)
	v_pk_fma_f32 v[12:13], v[6:7], v[14:15], v[28:29] op_sel:[0,0,1] op_sel_hi:[1,1,0] neg_lo:[0,0,1] neg_hi:[0,0,1]
	v_pk_fma_f32 v[6:7], v[6:7], v[14:15], v[28:29] op_sel:[0,0,1] op_sel_hi:[1,0,0]
	v_mov_b32_e32 v11, v5
	v_pk_add_f32 v[2:3], v[34:35], 0 op_sel_hi:[1,0]
	s_waitcnt lgkmcnt(0)
	v_pk_mul_f32 v[32:33], v[22:23], v[32:33] op_sel_hi:[1,0]
	s_waitcnt vmcnt(3)
	v_pk_fma_f32 v[14:15], v[8:9], v[16:17], v[30:31] op_sel:[0,0,1] op_sel_hi:[1,1,0] neg_lo:[0,0,1] neg_hi:[0,0,1]
	v_pk_fma_f32 v[8:9], v[8:9], v[16:17], v[30:31] op_sel:[0,0,1] op_sel_hi:[1,0,0]
	v_mov_b32_e32 v13, v7
	v_pk_add_f32 v[2:3], v[2:3], v[10:11]
	s_waitcnt vmcnt(2)
	v_pk_fma_f32 v[16:17], v[22:23], v[18:19], v[32:33] op_sel:[0,0,1] op_sel_hi:[1,1,0] neg_lo:[0,0,1] neg_hi:[0,0,1]
	v_pk_fma_f32 v[18:19], v[22:23], v[18:19], v[32:33] op_sel:[0,0,1] op_sel_hi:[1,0,0]
	v_mov_b32_e32 v15, v9
	v_pk_add_f32 v[2:3], v[2:3], v[12:13]
	v_mov_b32_e32 v17, v19
	v_pk_add_f32 v[2:3], v[2:3], v[14:15]
	v_pk_add_f32 v[2:3], v[2:3], v[16:17]
	s_waitcnt vmcnt(0)
	v_pk_add_f32 v[2:3], v[20:21], v[2:3] neg_lo:[0,1] neg_hi:[0,1]
	buffer_store_dword v2, off, s[0:3], 0 offset:368
	buffer_store_dword v3, off, s[0:3], 0 offset:372
	s_and_saveexec_b64 s[4:5], vcc
	s_cbranch_execz .LBB115_235
; %bb.234:
	buffer_load_dword v2, off, s[0:3], 0 offset:360
	buffer_load_dword v3, off, s[0:3], 0 offset:364
	s_waitcnt vmcnt(0)
	ds_write_b64 v129, v[2:3]
	buffer_store_dword v1, off, s[0:3], 0 offset:360
	buffer_store_dword v1, off, s[0:3], 0 offset:364
.LBB115_235:
	s_or_b64 exec, exec, s[4:5]
	s_waitcnt lgkmcnt(0)
	; wave barrier
	s_waitcnt lgkmcnt(0)
	buffer_load_dword v15, off, s[0:3], 0 offset:372
	buffer_load_dword v17, off, s[0:3], 0 offset:380
	;; [unrolled: 1-line block ×14, first 2 shown]
	ds_read_b128 v[2:5], v1 offset:784
	ds_read_b128 v[6:9], v1 offset:800
	;; [unrolled: 1-line block ×3, first 2 shown]
	v_cmp_lt_u32_e32 vcc, 44, v0
	s_waitcnt vmcnt(13)
	v_mov_b32_e32 v28, v15
	s_waitcnt vmcnt(12)
	v_mov_b32_e32 v30, v17
	s_waitcnt lgkmcnt(2)
	v_pk_mul_f32 v[28:29], v[2:3], v[28:29] op_sel_hi:[1,0]
	s_waitcnt vmcnt(11)
	v_mov_b32_e32 v32, v19
	v_pk_mul_f32 v[30:31], v[4:5], v[30:31] op_sel_hi:[1,0]
	s_waitcnt vmcnt(10)
	v_mov_b32_e32 v34, v21
	s_waitcnt vmcnt(7)
	v_pk_fma_f32 v[40:41], v[2:3], v[14:15], v[28:29] op_sel:[0,0,1] op_sel_hi:[1,1,0] neg_lo:[0,0,1] neg_hi:[0,0,1]
	v_pk_fma_f32 v[2:3], v[2:3], v[14:15], v[28:29] op_sel:[0,0,1] op_sel_hi:[1,0,0]
	s_waitcnt lgkmcnt(1)
	v_pk_mul_f32 v[32:33], v[6:7], v[32:33] op_sel_hi:[1,0]
	s_waitcnt vmcnt(6)
	v_pk_fma_f32 v[14:15], v[4:5], v[16:17], v[30:31] op_sel:[0,0,1] op_sel_hi:[1,1,0] neg_lo:[0,0,1] neg_hi:[0,0,1]
	v_pk_fma_f32 v[4:5], v[4:5], v[16:17], v[30:31] op_sel:[0,0,1] op_sel_hi:[1,0,0]
	v_mov_b32_e32 v41, v3
	v_mov_b32_e32 v36, v23
	v_pk_mul_f32 v[34:35], v[8:9], v[34:35] op_sel_hi:[1,0]
	s_waitcnt vmcnt(5)
	v_pk_fma_f32 v[16:17], v[6:7], v[18:19], v[32:33] op_sel:[0,0,1] op_sel_hi:[1,1,0] neg_lo:[0,0,1] neg_hi:[0,0,1]
	v_pk_fma_f32 v[6:7], v[6:7], v[18:19], v[32:33] op_sel:[0,0,1] op_sel_hi:[1,0,0]
	v_mov_b32_e32 v15, v5
	v_pk_add_f32 v[2:3], v[40:41], 0 op_sel_hi:[1,0]
	v_mov_b32_e32 v38, v25
	s_waitcnt lgkmcnt(0)
	v_pk_mul_f32 v[36:37], v[10:11], v[36:37] op_sel_hi:[1,0]
	s_waitcnt vmcnt(4)
	v_pk_fma_f32 v[18:19], v[8:9], v[20:21], v[34:35] op_sel:[0,0,1] op_sel_hi:[1,1,0] neg_lo:[0,0,1] neg_hi:[0,0,1]
	v_pk_fma_f32 v[8:9], v[8:9], v[20:21], v[34:35] op_sel:[0,0,1] op_sel_hi:[1,0,0]
	v_mov_b32_e32 v17, v7
	v_pk_add_f32 v[2:3], v[2:3], v[14:15]
	v_pk_mul_f32 v[38:39], v[12:13], v[38:39] op_sel_hi:[1,0]
	s_waitcnt vmcnt(3)
	v_pk_fma_f32 v[20:21], v[10:11], v[22:23], v[36:37] op_sel:[0,0,1] op_sel_hi:[1,1,0] neg_lo:[0,0,1] neg_hi:[0,0,1]
	v_pk_fma_f32 v[10:11], v[10:11], v[22:23], v[36:37] op_sel:[0,0,1] op_sel_hi:[1,0,0]
	v_mov_b32_e32 v19, v9
	v_pk_add_f32 v[2:3], v[2:3], v[16:17]
	s_waitcnt vmcnt(2)
	v_pk_fma_f32 v[22:23], v[12:13], v[24:25], v[38:39] op_sel:[0,0,1] op_sel_hi:[1,1,0] neg_lo:[0,0,1] neg_hi:[0,0,1]
	v_pk_fma_f32 v[12:13], v[12:13], v[24:25], v[38:39] op_sel:[0,0,1] op_sel_hi:[1,0,0]
	v_mov_b32_e32 v21, v11
	v_pk_add_f32 v[2:3], v[2:3], v[18:19]
	v_mov_b32_e32 v23, v13
	v_pk_add_f32 v[2:3], v[2:3], v[20:21]
	v_pk_add_f32 v[2:3], v[2:3], v[22:23]
	s_waitcnt vmcnt(0)
	v_pk_add_f32 v[2:3], v[26:27], v[2:3] neg_lo:[0,1] neg_hi:[0,1]
	buffer_store_dword v2, off, s[0:3], 0 offset:360
	buffer_store_dword v3, off, s[0:3], 0 offset:364
	s_and_saveexec_b64 s[4:5], vcc
	s_cbranch_execz .LBB115_237
; %bb.236:
	buffer_load_dword v2, off, s[0:3], 0 offset:352
	buffer_load_dword v3, off, s[0:3], 0 offset:356
	v_mov_b32_e32 v1, 0
	buffer_store_dword v1, off, s[0:3], 0 offset:352
	buffer_store_dword v1, off, s[0:3], 0 offset:356
	s_waitcnt vmcnt(2)
	ds_write_b64 v129, v[2:3]
.LBB115_237:
	s_or_b64 exec, exec, s[4:5]
	s_waitcnt lgkmcnt(0)
	; wave barrier
	s_waitcnt lgkmcnt(0)
	buffer_load_dword v15, off, s[0:3], 0 offset:364
	buffer_load_dword v17, off, s[0:3], 0 offset:372
	;; [unrolled: 1-line block ×16, first 2 shown]
	v_mov_b32_e32 v1, 0
	ds_read2_b64 v[2:5], v1 offset0:97 offset1:98
	ds_read2_b64 v[6:9], v1 offset0:99 offset1:100
	;; [unrolled: 1-line block ×3, first 2 shown]
	ds_read_b64 v[30:31], v1 offset:824
	v_cmp_lt_u32_e32 vcc, 43, v0
	s_waitcnt vmcnt(15)
	v_mov_b32_e32 v32, v15
	s_waitcnt vmcnt(14)
	v_mov_b32_e32 v34, v17
	s_waitcnt lgkmcnt(3)
	v_pk_mul_f32 v[32:33], v[2:3], v[32:33] op_sel_hi:[1,0]
	s_waitcnt vmcnt(13)
	v_mov_b32_e32 v36, v19
	v_pk_mul_f32 v[34:35], v[4:5], v[34:35] op_sel_hi:[1,0]
	s_waitcnt vmcnt(12)
	v_mov_b32_e32 v38, v21
	s_waitcnt lgkmcnt(2)
	v_pk_mul_f32 v[36:37], v[6:7], v[36:37] op_sel_hi:[1,0]
	s_waitcnt vmcnt(8)
	v_pk_fma_f32 v[46:47], v[2:3], v[14:15], v[32:33] op_sel:[0,0,1] op_sel_hi:[1,1,0] neg_lo:[0,0,1] neg_hi:[0,0,1]
	v_pk_fma_f32 v[2:3], v[2:3], v[14:15], v[32:33] op_sel:[0,0,1] op_sel_hi:[1,0,0]
	s_waitcnt vmcnt(7)
	v_pk_fma_f32 v[14:15], v[4:5], v[16:17], v[34:35] op_sel:[0,0,1] op_sel_hi:[1,1,0] neg_lo:[0,0,1] neg_hi:[0,0,1]
	v_pk_fma_f32 v[4:5], v[4:5], v[16:17], v[34:35] op_sel:[0,0,1] op_sel_hi:[1,0,0]
	v_mov_b32_e32 v47, v3
	v_mov_b32_e32 v40, v23
	v_pk_mul_f32 v[38:39], v[8:9], v[38:39] op_sel_hi:[1,0]
	s_waitcnt vmcnt(6)
	v_pk_fma_f32 v[16:17], v[6:7], v[18:19], v[36:37] op_sel:[0,0,1] op_sel_hi:[1,1,0] neg_lo:[0,0,1] neg_hi:[0,0,1]
	v_pk_fma_f32 v[6:7], v[6:7], v[18:19], v[36:37] op_sel:[0,0,1] op_sel_hi:[1,0,0]
	v_mov_b32_e32 v15, v5
	v_pk_add_f32 v[2:3], v[46:47], 0 op_sel_hi:[1,0]
	v_mov_b32_e32 v42, v25
	s_waitcnt lgkmcnt(1)
	v_pk_mul_f32 v[40:41], v[10:11], v[40:41] op_sel_hi:[1,0]
	s_waitcnt vmcnt(5)
	v_pk_fma_f32 v[18:19], v[8:9], v[20:21], v[38:39] op_sel:[0,0,1] op_sel_hi:[1,1,0] neg_lo:[0,0,1] neg_hi:[0,0,1]
	v_pk_fma_f32 v[8:9], v[8:9], v[20:21], v[38:39] op_sel:[0,0,1] op_sel_hi:[1,0,0]
	v_mov_b32_e32 v17, v7
	v_pk_add_f32 v[2:3], v[2:3], v[14:15]
	v_mov_b32_e32 v44, v27
	v_pk_mul_f32 v[42:43], v[12:13], v[42:43] op_sel_hi:[1,0]
	s_waitcnt vmcnt(4)
	v_pk_fma_f32 v[20:21], v[10:11], v[22:23], v[40:41] op_sel:[0,0,1] op_sel_hi:[1,1,0] neg_lo:[0,0,1] neg_hi:[0,0,1]
	v_pk_fma_f32 v[10:11], v[10:11], v[22:23], v[40:41] op_sel:[0,0,1] op_sel_hi:[1,0,0]
	v_mov_b32_e32 v19, v9
	v_pk_add_f32 v[2:3], v[2:3], v[16:17]
	s_waitcnt lgkmcnt(0)
	v_pk_mul_f32 v[44:45], v[30:31], v[44:45] op_sel_hi:[1,0]
	s_waitcnt vmcnt(3)
	v_pk_fma_f32 v[22:23], v[12:13], v[24:25], v[42:43] op_sel:[0,0,1] op_sel_hi:[1,1,0] neg_lo:[0,0,1] neg_hi:[0,0,1]
	v_pk_fma_f32 v[12:13], v[12:13], v[24:25], v[42:43] op_sel:[0,0,1] op_sel_hi:[1,0,0]
	v_mov_b32_e32 v21, v11
	v_pk_add_f32 v[2:3], v[2:3], v[18:19]
	s_waitcnt vmcnt(2)
	v_pk_fma_f32 v[24:25], v[30:31], v[26:27], v[44:45] op_sel:[0,0,1] op_sel_hi:[1,1,0] neg_lo:[0,0,1] neg_hi:[0,0,1]
	v_pk_fma_f32 v[26:27], v[30:31], v[26:27], v[44:45] op_sel:[0,0,1] op_sel_hi:[1,0,0]
	v_mov_b32_e32 v23, v13
	v_pk_add_f32 v[2:3], v[2:3], v[20:21]
	v_mov_b32_e32 v25, v27
	v_pk_add_f32 v[2:3], v[2:3], v[22:23]
	v_pk_add_f32 v[2:3], v[2:3], v[24:25]
	s_waitcnt vmcnt(0)
	v_pk_add_f32 v[2:3], v[28:29], v[2:3] neg_lo:[0,1] neg_hi:[0,1]
	buffer_store_dword v2, off, s[0:3], 0 offset:352
	buffer_store_dword v3, off, s[0:3], 0 offset:356
	s_and_saveexec_b64 s[4:5], vcc
	s_cbranch_execz .LBB115_239
; %bb.238:
	buffer_load_dword v2, off, s[0:3], 0 offset:344
	buffer_load_dword v3, off, s[0:3], 0 offset:348
	s_waitcnt vmcnt(0)
	ds_write_b64 v129, v[2:3]
	buffer_store_dword v1, off, s[0:3], 0 offset:344
	buffer_store_dword v1, off, s[0:3], 0 offset:348
.LBB115_239:
	s_or_b64 exec, exec, s[4:5]
	s_waitcnt lgkmcnt(0)
	; wave barrier
	s_waitcnt lgkmcnt(0)
	buffer_load_dword v19, off, s[0:3], 0 offset:356
	buffer_load_dword v21, off, s[0:3], 0 offset:364
	;; [unrolled: 1-line block ×18, first 2 shown]
	ds_read_b128 v[2:5], v1 offset:768
	ds_read_b128 v[6:9], v1 offset:784
	;; [unrolled: 1-line block ×4, first 2 shown]
	v_cmp_lt_u32_e32 vcc, 42, v0
	s_waitcnt vmcnt(17)
	v_mov_b32_e32 v36, v19
	s_waitcnt vmcnt(16)
	v_mov_b32_e32 v38, v21
	s_waitcnt lgkmcnt(3)
	v_pk_mul_f32 v[36:37], v[2:3], v[36:37] op_sel_hi:[1,0]
	s_waitcnt vmcnt(15)
	v_mov_b32_e32 v40, v23
	v_pk_mul_f32 v[38:39], v[4:5], v[38:39] op_sel_hi:[1,0]
	s_waitcnt vmcnt(14)
	v_mov_b32_e32 v42, v25
	s_waitcnt lgkmcnt(2)
	v_pk_mul_f32 v[40:41], v[6:7], v[40:41] op_sel_hi:[1,0]
	s_waitcnt vmcnt(13)
	v_mov_b32_e32 v44, v27
	s_waitcnt vmcnt(9)
	v_pk_fma_f32 v[52:53], v[2:3], v[18:19], v[36:37] op_sel:[0,0,1] op_sel_hi:[1,1,0] neg_lo:[0,0,1] neg_hi:[0,0,1]
	v_pk_fma_f32 v[2:3], v[2:3], v[18:19], v[36:37] op_sel:[0,0,1] op_sel_hi:[1,0,0]
	s_waitcnt vmcnt(8)
	v_pk_fma_f32 v[18:19], v[4:5], v[20:21], v[38:39] op_sel:[0,0,1] op_sel_hi:[1,1,0] neg_lo:[0,0,1] neg_hi:[0,0,1]
	v_pk_fma_f32 v[4:5], v[4:5], v[20:21], v[38:39] op_sel:[0,0,1] op_sel_hi:[1,0,0]
	v_mov_b32_e32 v53, v3
	v_pk_mul_f32 v[42:43], v[8:9], v[42:43] op_sel_hi:[1,0]
	s_waitcnt vmcnt(7)
	v_pk_fma_f32 v[20:21], v[6:7], v[22:23], v[40:41] op_sel:[0,0,1] op_sel_hi:[1,1,0] neg_lo:[0,0,1] neg_hi:[0,0,1]
	v_pk_fma_f32 v[6:7], v[6:7], v[22:23], v[40:41] op_sel:[0,0,1] op_sel_hi:[1,0,0]
	v_mov_b32_e32 v19, v5
	v_pk_add_f32 v[2:3], v[52:53], 0 op_sel_hi:[1,0]
	v_mov_b32_e32 v46, v29
	s_waitcnt lgkmcnt(1)
	v_pk_mul_f32 v[44:45], v[10:11], v[44:45] op_sel_hi:[1,0]
	s_waitcnt vmcnt(6)
	v_pk_fma_f32 v[22:23], v[8:9], v[24:25], v[42:43] op_sel:[0,0,1] op_sel_hi:[1,1,0] neg_lo:[0,0,1] neg_hi:[0,0,1]
	v_pk_fma_f32 v[8:9], v[8:9], v[24:25], v[42:43] op_sel:[0,0,1] op_sel_hi:[1,0,0]
	v_mov_b32_e32 v21, v7
	v_pk_add_f32 v[2:3], v[2:3], v[18:19]
	v_mov_b32_e32 v48, v31
	v_pk_mul_f32 v[46:47], v[12:13], v[46:47] op_sel_hi:[1,0]
	s_waitcnt vmcnt(5)
	v_pk_fma_f32 v[24:25], v[10:11], v[26:27], v[44:45] op_sel:[0,0,1] op_sel_hi:[1,1,0] neg_lo:[0,0,1] neg_hi:[0,0,1]
	v_pk_fma_f32 v[10:11], v[10:11], v[26:27], v[44:45] op_sel:[0,0,1] op_sel_hi:[1,0,0]
	v_mov_b32_e32 v23, v9
	v_pk_add_f32 v[2:3], v[2:3], v[20:21]
	v_mov_b32_e32 v50, v33
	s_waitcnt lgkmcnt(0)
	v_pk_mul_f32 v[48:49], v[14:15], v[48:49] op_sel_hi:[1,0]
	s_waitcnt vmcnt(4)
	v_pk_fma_f32 v[26:27], v[12:13], v[28:29], v[46:47] op_sel:[0,0,1] op_sel_hi:[1,1,0] neg_lo:[0,0,1] neg_hi:[0,0,1]
	v_pk_fma_f32 v[12:13], v[12:13], v[28:29], v[46:47] op_sel:[0,0,1] op_sel_hi:[1,0,0]
	v_mov_b32_e32 v25, v11
	v_pk_add_f32 v[2:3], v[2:3], v[22:23]
	v_pk_mul_f32 v[50:51], v[16:17], v[50:51] op_sel_hi:[1,0]
	s_waitcnt vmcnt(3)
	v_pk_fma_f32 v[28:29], v[14:15], v[30:31], v[48:49] op_sel:[0,0,1] op_sel_hi:[1,1,0] neg_lo:[0,0,1] neg_hi:[0,0,1]
	v_pk_fma_f32 v[14:15], v[14:15], v[30:31], v[48:49] op_sel:[0,0,1] op_sel_hi:[1,0,0]
	v_mov_b32_e32 v27, v13
	v_pk_add_f32 v[2:3], v[2:3], v[24:25]
	s_waitcnt vmcnt(2)
	v_pk_fma_f32 v[30:31], v[16:17], v[32:33], v[50:51] op_sel:[0,0,1] op_sel_hi:[1,1,0] neg_lo:[0,0,1] neg_hi:[0,0,1]
	v_pk_fma_f32 v[16:17], v[16:17], v[32:33], v[50:51] op_sel:[0,0,1] op_sel_hi:[1,0,0]
	v_mov_b32_e32 v29, v15
	v_pk_add_f32 v[2:3], v[2:3], v[26:27]
	v_mov_b32_e32 v31, v17
	v_pk_add_f32 v[2:3], v[2:3], v[28:29]
	v_pk_add_f32 v[2:3], v[2:3], v[30:31]
	s_waitcnt vmcnt(0)
	v_pk_add_f32 v[2:3], v[34:35], v[2:3] neg_lo:[0,1] neg_hi:[0,1]
	buffer_store_dword v2, off, s[0:3], 0 offset:344
	buffer_store_dword v3, off, s[0:3], 0 offset:348
	s_and_saveexec_b64 s[4:5], vcc
	s_cbranch_execz .LBB115_241
; %bb.240:
	buffer_load_dword v2, off, s[0:3], 0 offset:336
	buffer_load_dword v3, off, s[0:3], 0 offset:340
	v_mov_b32_e32 v1, 0
	buffer_store_dword v1, off, s[0:3], 0 offset:336
	buffer_store_dword v1, off, s[0:3], 0 offset:340
	s_waitcnt vmcnt(2)
	ds_write_b64 v129, v[2:3]
.LBB115_241:
	s_or_b64 exec, exec, s[4:5]
	s_waitcnt lgkmcnt(0)
	; wave barrier
	s_waitcnt lgkmcnt(0)
	buffer_load_dword v38, off, s[0:3], 0 offset:348
	buffer_load_dword v19, off, s[0:3], 0 offset:356
	;; [unrolled: 1-line block ×20, first 2 shown]
	v_mov_b32_e32 v1, 0
	ds_read2_b64 v[2:5], v1 offset0:95 offset1:96
	ds_read2_b64 v[6:9], v1 offset0:97 offset1:98
	;; [unrolled: 1-line block ×4, first 2 shown]
	ds_read_b64 v[36:37], v1 offset:824
	v_cmp_lt_u32_e32 vcc, 41, v0
	s_waitcnt vmcnt(19) lgkmcnt(4)
	v_mul_f32_e32 v39, v2, v38
	v_mul_f32_e32 v38, v3, v38
	s_waitcnt vmcnt(18)
	v_mov_b32_e32 v40, v19
	s_waitcnt vmcnt(17)
	v_mov_b32_e32 v42, v21
	;; [unrolled: 2-line block ×8, first 2 shown]
	s_waitcnt vmcnt(10)
	v_fmac_f32_e32 v39, v3, v41
	v_fma_f32 v38, v2, v41, -v38
	v_pk_mul_f32 v[2:3], v[4:5], v[40:41] op_sel_hi:[1,0]
	s_waitcnt lgkmcnt(3)
	v_pk_mul_f32 v[40:41], v[6:7], v[42:43] op_sel_hi:[1,0]
	v_pk_mul_f32 v[42:43], v[8:9], v[44:45] op_sel_hi:[1,0]
	s_waitcnt lgkmcnt(2)
	v_pk_mul_f32 v[44:45], v[10:11], v[46:47] op_sel_hi:[1,0]
	v_pk_mul_f32 v[46:47], v[12:13], v[48:49] op_sel_hi:[1,0]
	s_waitcnt lgkmcnt(1)
	v_pk_mul_f32 v[48:49], v[14:15], v[50:51] op_sel_hi:[1,0]
	v_pk_mul_f32 v[50:51], v[16:17], v[52:53] op_sel_hi:[1,0]
	s_waitcnt lgkmcnt(0)
	v_pk_mul_f32 v[52:53], v[36:37], v[54:55] op_sel_hi:[1,0]
	s_waitcnt vmcnt(9)
	v_pk_fma_f32 v[54:55], v[4:5], v[18:19], v[2:3] op_sel:[0,0,1] op_sel_hi:[1,1,0] neg_lo:[0,0,1] neg_hi:[0,0,1]
	v_pk_fma_f32 v[2:3], v[4:5], v[18:19], v[2:3] op_sel:[0,0,1] op_sel_hi:[1,0,0]
	v_pk_add_f32 v[38:39], v[38:39], 0 op_sel_hi:[1,0]
	s_waitcnt vmcnt(8)
	v_pk_fma_f32 v[4:5], v[6:7], v[20:21], v[40:41] op_sel:[0,0,1] op_sel_hi:[1,1,0] neg_lo:[0,0,1] neg_hi:[0,0,1]
	v_pk_fma_f32 v[6:7], v[6:7], v[20:21], v[40:41] op_sel:[0,0,1] op_sel_hi:[1,0,0]
	v_mov_b32_e32 v55, v3
	s_waitcnt vmcnt(7)
	v_pk_fma_f32 v[18:19], v[8:9], v[22:23], v[42:43] op_sel:[0,0,1] op_sel_hi:[1,1,0] neg_lo:[0,0,1] neg_hi:[0,0,1]
	v_pk_fma_f32 v[8:9], v[8:9], v[22:23], v[42:43] op_sel:[0,0,1] op_sel_hi:[1,0,0]
	v_mov_b32_e32 v5, v7
	v_pk_add_f32 v[2:3], v[38:39], v[54:55]
	s_waitcnt vmcnt(6)
	v_pk_fma_f32 v[20:21], v[10:11], v[24:25], v[44:45] op_sel:[0,0,1] op_sel_hi:[1,1,0] neg_lo:[0,0,1] neg_hi:[0,0,1]
	v_pk_fma_f32 v[10:11], v[10:11], v[24:25], v[44:45] op_sel:[0,0,1] op_sel_hi:[1,0,0]
	v_mov_b32_e32 v19, v9
	v_pk_add_f32 v[2:3], v[2:3], v[4:5]
	;; [unrolled: 5-line block ×5, first 2 shown]
	v_pk_fma_f32 v[28:29], v[36:37], v[32:33], v[52:53] op_sel:[0,0,1] op_sel_hi:[1,1,0] neg_lo:[0,0,1] neg_hi:[0,0,1]
	v_pk_fma_f32 v[30:31], v[36:37], v[32:33], v[52:53] op_sel:[0,0,1] op_sel_hi:[1,0,0]
	v_mov_b32_e32 v27, v17
	v_pk_add_f32 v[2:3], v[2:3], v[24:25]
	v_mov_b32_e32 v29, v31
	v_pk_add_f32 v[2:3], v[2:3], v[26:27]
	v_pk_add_f32 v[2:3], v[2:3], v[28:29]
	s_waitcnt vmcnt(0)
	v_pk_add_f32 v[2:3], v[34:35], v[2:3] neg_lo:[0,1] neg_hi:[0,1]
	buffer_store_dword v2, off, s[0:3], 0 offset:336
	buffer_store_dword v3, off, s[0:3], 0 offset:340
	s_and_saveexec_b64 s[4:5], vcc
	s_cbranch_execz .LBB115_243
; %bb.242:
	buffer_load_dword v2, off, s[0:3], 0 offset:328
	buffer_load_dword v3, off, s[0:3], 0 offset:332
	s_waitcnt vmcnt(0)
	ds_write_b64 v129, v[2:3]
	buffer_store_dword v1, off, s[0:3], 0 offset:328
	buffer_store_dword v1, off, s[0:3], 0 offset:332
.LBB115_243:
	s_or_b64 exec, exec, s[4:5]
	s_waitcnt lgkmcnt(0)
	; wave barrier
	s_waitcnt lgkmcnt(0)
	buffer_load_dword v40, off, s[0:3], 0 offset:340
	buffer_load_dword v42, off, s[0:3], 0 offset:348
	;; [unrolled: 1-line block ×22, first 2 shown]
	ds_read_b128 v[2:5], v1 offset:752
	ds_read_b128 v[6:9], v1 offset:768
	;; [unrolled: 1-line block ×5, first 2 shown]
	v_cmp_lt_u32_e32 vcc, 40, v0
	s_waitcnt vmcnt(21) lgkmcnt(4)
	v_mul_f32_e32 v41, v2, v40
	v_mul_f32_e32 v1, v3, v40
	s_waitcnt vmcnt(19)
	v_mov_b32_e32 v44, v23
	v_mul_f32_e32 v43, v4, v42
	v_mul_f32_e32 v42, v5, v42
	s_waitcnt vmcnt(18)
	v_mov_b32_e32 v46, v25
	s_waitcnt vmcnt(17)
	v_mov_b32_e32 v48, v27
	;; [unrolled: 2-line block ×6, first 2 shown]
	s_waitcnt vmcnt(11)
	v_fmac_f32_e32 v41, v3, v45
	v_fma_f32 v40, v2, v45, -v1
	s_waitcnt lgkmcnt(3)
	v_pk_mul_f32 v[2:3], v[6:7], v[44:45] op_sel_hi:[1,0]
	s_waitcnt vmcnt(10)
	v_fmac_f32_e32 v43, v5, v47
	v_fma_f32 v42, v4, v47, -v42
	v_pk_mul_f32 v[4:5], v[8:9], v[46:47] op_sel_hi:[1,0]
	s_waitcnt lgkmcnt(2)
	v_pk_mul_f32 v[44:45], v[10:11], v[48:49] op_sel_hi:[1,0]
	v_pk_mul_f32 v[46:47], v[12:13], v[50:51] op_sel_hi:[1,0]
	s_waitcnt lgkmcnt(1)
	v_pk_mul_f32 v[48:49], v[14:15], v[52:53] op_sel_hi:[1,0]
	;; [unrolled: 3-line block ×3, first 2 shown]
	v_pk_add_f32 v[40:41], v[40:41], 0 op_sel_hi:[1,0]
	s_waitcnt vmcnt(9)
	v_pk_fma_f32 v[56:57], v[6:7], v[22:23], v[2:3] op_sel:[0,0,1] op_sel_hi:[1,1,0] neg_lo:[0,0,1] neg_hi:[0,0,1]
	v_pk_fma_f32 v[2:3], v[6:7], v[22:23], v[2:3] op_sel:[0,0,1] op_sel_hi:[1,0,0]
	s_waitcnt vmcnt(8)
	v_pk_fma_f32 v[6:7], v[8:9], v[24:25], v[4:5] op_sel:[0,0,1] op_sel_hi:[1,1,0] neg_lo:[0,0,1] neg_hi:[0,0,1]
	v_pk_fma_f32 v[4:5], v[8:9], v[24:25], v[4:5] op_sel:[0,0,1] op_sel_hi:[1,0,0]
	;; [unrolled: 3-line block ×4, first 2 shown]
	v_pk_add_f32 v[32:33], v[40:41], v[42:43]
	v_mov_b32_e32 v57, v3
	v_mov_b32_e32 v7, v5
	v_pk_add_f32 v[2:3], v[32:33], v[56:57]
	v_pk_fma_f32 v[22:23], v[12:13], v[28:29], v[46:47] op_sel:[0,0,1] op_sel_hi:[1,1,0] neg_lo:[0,0,1] neg_hi:[0,0,1]
	v_pk_fma_f32 v[12:13], v[12:13], v[28:29], v[46:47] op_sel:[0,0,1] op_sel_hi:[1,0,0]
	v_mov_b32_e32 v9, v11
	v_pk_add_f32 v[2:3], v[2:3], v[6:7]
	v_pk_fma_f32 v[24:25], v[14:15], v[30:31], v[48:49] op_sel:[0,0,1] op_sel_hi:[1,1,0] neg_lo:[0,0,1] neg_hi:[0,0,1]
	v_pk_fma_f32 v[14:15], v[14:15], v[30:31], v[48:49] op_sel:[0,0,1] op_sel_hi:[1,0,0]
	v_mov_b32_e32 v23, v13
	v_pk_add_f32 v[2:3], v[2:3], v[8:9]
	v_mov_b32_e32 v58, v37
	v_mov_b32_e32 v25, v15
	v_pk_add_f32 v[2:3], v[2:3], v[22:23]
	v_pk_mul_f32 v[54:55], v[20:21], v[58:59] op_sel_hi:[1,0]
	v_pk_fma_f32 v[28:29], v[18:19], v[34:35], v[52:53] op_sel:[0,0,1] op_sel_hi:[1,1,0] neg_lo:[0,0,1] neg_hi:[0,0,1]
	v_pk_fma_f32 v[18:19], v[18:19], v[34:35], v[52:53] op_sel:[0,0,1] op_sel_hi:[1,0,0]
	v_mov_b32_e32 v27, v17
	v_pk_add_f32 v[2:3], v[2:3], v[24:25]
	v_pk_fma_f32 v[30:31], v[20:21], v[36:37], v[54:55] op_sel:[0,0,1] op_sel_hi:[1,1,0] neg_lo:[0,0,1] neg_hi:[0,0,1]
	v_pk_fma_f32 v[20:21], v[20:21], v[36:37], v[54:55] op_sel:[0,0,1] op_sel_hi:[1,0,0]
	v_mov_b32_e32 v29, v19
	v_pk_add_f32 v[2:3], v[2:3], v[26:27]
	v_mov_b32_e32 v31, v21
	v_pk_add_f32 v[2:3], v[2:3], v[28:29]
	v_pk_add_f32 v[2:3], v[2:3], v[30:31]
	s_waitcnt vmcnt(0)
	v_pk_add_f32 v[2:3], v[38:39], v[2:3] neg_lo:[0,1] neg_hi:[0,1]
	buffer_store_dword v2, off, s[0:3], 0 offset:328
	buffer_store_dword v3, off, s[0:3], 0 offset:332
	s_and_saveexec_b64 s[4:5], vcc
	s_cbranch_execz .LBB115_245
; %bb.244:
	buffer_load_dword v2, off, s[0:3], 0 offset:320
	buffer_load_dword v3, off, s[0:3], 0 offset:324
	v_mov_b32_e32 v1, 0
	buffer_store_dword v1, off, s[0:3], 0 offset:320
	buffer_store_dword v1, off, s[0:3], 0 offset:324
	s_waitcnt vmcnt(2)
	ds_write_b64 v129, v[2:3]
.LBB115_245:
	s_or_b64 exec, exec, s[4:5]
	s_waitcnt lgkmcnt(0)
	; wave barrier
	s_waitcnt lgkmcnt(0)
	buffer_load_dword v42, off, s[0:3], 0 offset:332
	buffer_load_dword v44, off, s[0:3], 0 offset:340
	;; [unrolled: 1-line block ×24, first 2 shown]
	v_mov_b32_e32 v1, 0
	ds_read2_b64 v[2:5], v1 offset0:93 offset1:94
	ds_read2_b64 v[6:9], v1 offset0:95 offset1:96
	;; [unrolled: 1-line block ×5, first 2 shown]
	ds_read_b64 v[40:41], v1 offset:824
	v_cmp_lt_u32_e32 vcc, 39, v0
	s_waitcnt vmcnt(23) lgkmcnt(5)
	v_mul_f32_e32 v55, v2, v42
	v_mul_f32_e32 v42, v3, v42
	s_waitcnt vmcnt(22)
	v_mul_f32_e32 v43, v4, v44
	s_waitcnt vmcnt(21) lgkmcnt(4)
	v_mul_f32_e32 v45, v6, v46
	v_mul_f32_e32 v44, v5, v44
	;; [unrolled: 1-line block ×3, first 2 shown]
	s_waitcnt vmcnt(20)
	v_mov_b32_e32 v46, v23
	s_waitcnt vmcnt(19)
	v_mov_b32_e32 v48, v25
	;; [unrolled: 2-line block ×5, first 2 shown]
	s_waitcnt vmcnt(12)
	v_fmac_f32_e32 v55, v3, v47
	v_fma_f32 v57, v2, v47, -v42
	v_mov_b32_e32 v56, v33
	s_waitcnt vmcnt(11)
	v_fmac_f32_e32 v43, v5, v49
	s_waitcnt vmcnt(10)
	v_fmac_f32_e32 v45, v7, v51
	v_fma_f32 v42, v4, v49, -v44
	v_fma_f32 v44, v6, v51, -v53
	v_pk_mul_f32 v[2:3], v[8:9], v[46:47] op_sel_hi:[1,0]
	s_waitcnt lgkmcnt(3)
	v_pk_mul_f32 v[4:5], v[10:11], v[48:49] op_sel_hi:[1,0]
	v_pk_mul_f32 v[6:7], v[12:13], v[50:51] op_sel_hi:[1,0]
	s_waitcnt lgkmcnt(2)
	v_pk_mul_f32 v[46:47], v[14:15], v[52:53] op_sel_hi:[1,0]
	v_pk_mul_f32 v[48:49], v[16:17], v[54:55] op_sel_hi:[1,0]
	v_add_f32_e32 v55, 0, v55
	v_add_f32_e32 v54, 0, v57
	s_waitcnt lgkmcnt(1)
	v_pk_mul_f32 v[50:51], v[18:19], v[56:57] op_sel_hi:[1,0]
	s_waitcnt vmcnt(9)
	v_pk_fma_f32 v[56:57], v[8:9], v[22:23], v[2:3] op_sel:[0,0,1] op_sel_hi:[1,1,0] neg_lo:[0,0,1] neg_hi:[0,0,1]
	v_pk_fma_f32 v[2:3], v[8:9], v[22:23], v[2:3] op_sel:[0,0,1] op_sel_hi:[1,0,0]
	s_waitcnt vmcnt(8)
	v_pk_fma_f32 v[8:9], v[10:11], v[24:25], v[4:5] op_sel:[0,0,1] op_sel_hi:[1,1,0] neg_lo:[0,0,1] neg_hi:[0,0,1]
	v_pk_fma_f32 v[4:5], v[10:11], v[24:25], v[4:5] op_sel:[0,0,1] op_sel_hi:[1,0,0]
	;; [unrolled: 3-line block ×4, first 2 shown]
	v_pk_add_f32 v[28:29], v[54:55], v[42:43]
	v_mov_b32_e32 v57, v3
	v_pk_add_f32 v[2:3], v[28:29], v[44:45]
	v_mov_b32_e32 v9, v5
	;; [unrolled: 2-line block ×4, first 2 shown]
	s_waitcnt vmcnt(2)
	v_pk_fma_f32 v[22:23], v[16:17], v[30:31], v[48:49] op_sel:[0,0,1] op_sel_hi:[1,1,0] neg_lo:[0,0,1] neg_hi:[0,0,1]
	v_pk_fma_f32 v[16:17], v[16:17], v[30:31], v[48:49] op_sel:[0,0,1] op_sel_hi:[1,0,0]
	v_mov_b32_e32 v13, v15
	v_pk_add_f32 v[2:3], v[2:3], v[10:11]
	v_mov_b32_e32 v60, v37
	v_pk_mul_f32 v[52:53], v[20:21], v[58:59] op_sel_hi:[1,0]
	v_pk_fma_f32 v[24:25], v[18:19], v[32:33], v[50:51] op_sel:[0,0,1] op_sel_hi:[1,1,0] neg_lo:[0,0,1] neg_hi:[0,0,1]
	v_pk_fma_f32 v[18:19], v[18:19], v[32:33], v[50:51] op_sel:[0,0,1] op_sel_hi:[1,0,0]
	v_mov_b32_e32 v23, v17
	v_pk_add_f32 v[2:3], v[2:3], v[12:13]
	v_pk_fma_f32 v[26:27], v[20:21], v[34:35], v[52:53] op_sel:[0,0,1] op_sel_hi:[1,1,0] neg_lo:[0,0,1] neg_hi:[0,0,1]
	v_pk_fma_f32 v[20:21], v[20:21], v[34:35], v[52:53] op_sel:[0,0,1] op_sel_hi:[1,0,0]
	v_mov_b32_e32 v25, v19
	v_pk_add_f32 v[2:3], v[2:3], v[22:23]
	s_waitcnt lgkmcnt(0)
	v_pk_mul_f32 v[4:5], v[40:41], v[60:61] op_sel_hi:[1,0]
	v_mov_b32_e32 v27, v21
	v_pk_add_f32 v[2:3], v[2:3], v[24:25]
	v_pk_fma_f32 v[6:7], v[40:41], v[36:37], v[4:5] op_sel:[0,0,1] op_sel_hi:[1,1,0] neg_lo:[0,0,1] neg_hi:[0,0,1]
	v_pk_fma_f32 v[4:5], v[40:41], v[36:37], v[4:5] op_sel:[0,0,1] op_sel_hi:[1,0,0]
	v_pk_add_f32 v[2:3], v[2:3], v[26:27]
	v_mov_b32_e32 v7, v5
	v_pk_add_f32 v[2:3], v[2:3], v[6:7]
	s_waitcnt vmcnt(0)
	v_pk_add_f32 v[2:3], v[38:39], v[2:3] neg_lo:[0,1] neg_hi:[0,1]
	buffer_store_dword v3, off, s[0:3], 0 offset:324
	buffer_store_dword v2, off, s[0:3], 0 offset:320
	s_and_saveexec_b64 s[4:5], vcc
	s_cbranch_execz .LBB115_247
; %bb.246:
	buffer_load_dword v2, off, s[0:3], 0 offset:312
	buffer_load_dword v3, off, s[0:3], 0 offset:316
	s_waitcnt vmcnt(0)
	ds_write_b64 v129, v[2:3]
	buffer_store_dword v1, off, s[0:3], 0 offset:312
	buffer_store_dword v1, off, s[0:3], 0 offset:316
.LBB115_247:
	s_or_b64 exec, exec, s[4:5]
	s_waitcnt lgkmcnt(0)
	; wave barrier
	s_waitcnt lgkmcnt(0)
	buffer_load_dword v44, off, s[0:3], 0 offset:324
	buffer_load_dword v46, off, s[0:3], 0 offset:332
	buffer_load_dword v48, off, s[0:3], 0 offset:340
	buffer_load_dword v49, off, s[0:3], 0 offset:348
	buffer_load_dword v27, off, s[0:3], 0 offset:356
	buffer_load_dword v29, off, s[0:3], 0 offset:364
	buffer_load_dword v31, off, s[0:3], 0 offset:372
	buffer_load_dword v33, off, s[0:3], 0 offset:380
	buffer_load_dword v35, off, s[0:3], 0 offset:388
	buffer_load_dword v37, off, s[0:3], 0 offset:396
	buffer_load_dword v51, off, s[0:3], 0 offset:320
	buffer_load_dword v53, off, s[0:3], 0 offset:328
	buffer_load_dword v55, off, s[0:3], 0 offset:336
	buffer_load_dword v57, off, s[0:3], 0 offset:344
	buffer_load_dword v26, off, s[0:3], 0 offset:352
	buffer_load_dword v28, off, s[0:3], 0 offset:360
	buffer_load_dword v30, off, s[0:3], 0 offset:368
	buffer_load_dword v38, off, s[0:3], 0 offset:400
	buffer_load_dword v36, off, s[0:3], 0 offset:392
	buffer_load_dword v34, off, s[0:3], 0 offset:384
	buffer_load_dword v32, off, s[0:3], 0 offset:376
	buffer_load_dword v39, off, s[0:3], 0 offset:404
	buffer_load_dword v41, off, s[0:3], 0 offset:412
	buffer_load_dword v40, off, s[0:3], 0 offset:408
	buffer_load_dword v42, off, s[0:3], 0 offset:312
	buffer_load_dword v43, off, s[0:3], 0 offset:316
	ds_read_b128 v[2:5], v1 offset:736
	ds_read_b128 v[6:9], v1 offset:752
	;; [unrolled: 1-line block ×6, first 2 shown]
	v_cmp_lt_u32_e32 vcc, 38, v0
	s_waitcnt vmcnt(25) lgkmcnt(5)
	v_mul_f32_e32 v1, v2, v44
	v_mul_f32_e32 v44, v3, v44
	s_waitcnt vmcnt(24)
	v_mul_f32_e32 v59, v4, v46
	s_waitcnt vmcnt(23) lgkmcnt(4)
	v_mul_f32_e32 v45, v6, v48
	s_waitcnt vmcnt(22)
	v_mul_f32_e32 v47, v8, v49
	v_mul_f32_e32 v46, v5, v46
	;; [unrolled: 1-line block ×4, first 2 shown]
	s_waitcnt vmcnt(21)
	v_mov_b32_e32 v48, v27
	s_waitcnt vmcnt(20)
	v_mov_b32_e32 v50, v29
	;; [unrolled: 2-line block ×3, first 2 shown]
	s_waitcnt vmcnt(15)
	v_fmac_f32_e32 v1, v3, v51
	v_fma_f32 v61, v2, v51, -v44
	v_mov_b32_e32 v52, v31
	s_waitcnt vmcnt(14)
	v_fmac_f32_e32 v59, v5, v53
	s_waitcnt vmcnt(12)
	v_fmac_f32_e32 v47, v9, v57
	v_fma_f32 v62, v4, v53, -v46
	v_fma_f32 v46, v8, v57, -v49
	s_waitcnt lgkmcnt(3)
	v_pk_mul_f32 v[2:3], v[10:11], v[48:49] op_sel_hi:[1,0]
	v_pk_mul_f32 v[4:5], v[12:13], v[50:51] op_sel_hi:[1,0]
	s_waitcnt lgkmcnt(2)
	v_pk_mul_f32 v[8:9], v[16:17], v[54:55] op_sel_hi:[1,0]
	v_add_f32_e32 v1, 0, v1
	v_add_f32_e32 v54, 0, v61
	v_fmac_f32_e32 v45, v7, v55
	v_fma_f32 v44, v6, v55, -v60
	v_pk_mul_f32 v[6:7], v[14:15], v[52:53] op_sel_hi:[1,0]
	s_waitcnt vmcnt(11)
	v_pk_fma_f32 v[52:53], v[10:11], v[26:27], v[2:3] op_sel:[0,0,1] op_sel_hi:[1,1,0] neg_lo:[0,0,1] neg_hi:[0,0,1]
	v_pk_fma_f32 v[2:3], v[10:11], v[26:27], v[2:3] op_sel:[0,0,1] op_sel_hi:[1,0,0]
	s_waitcnt vmcnt(10)
	v_pk_fma_f32 v[10:11], v[12:13], v[28:29], v[4:5] op_sel:[0,0,1] op_sel_hi:[1,1,0] neg_lo:[0,0,1] neg_hi:[0,0,1]
	v_pk_fma_f32 v[4:5], v[12:13], v[28:29], v[4:5] op_sel:[0,0,1] op_sel_hi:[1,0,0]
	v_add_f32_e32 v29, v1, v59
	v_add_f32_e32 v28, v54, v62
	v_mov_b32_e32 v53, v3
	v_pk_add_f32 v[2:3], v[28:29], v[44:45]
	v_pk_add_f32 v[2:3], v[2:3], v[46:47]
	v_mov_b32_e32 v56, v35
	s_waitcnt vmcnt(9)
	v_pk_fma_f32 v[12:13], v[14:15], v[30:31], v[6:7] op_sel:[0,0,1] op_sel_hi:[1,1,0] neg_lo:[0,0,1] neg_hi:[0,0,1]
	v_pk_fma_f32 v[6:7], v[14:15], v[30:31], v[6:7] op_sel:[0,0,1] op_sel_hi:[1,0,0]
	v_mov_b32_e32 v11, v5
	v_pk_add_f32 v[2:3], v[2:3], v[52:53]
	v_mov_b32_e32 v58, v37
	s_waitcnt lgkmcnt(1)
	v_pk_mul_f32 v[48:49], v[18:19], v[56:57] op_sel_hi:[1,0]
	s_waitcnt vmcnt(5)
	v_pk_fma_f32 v[14:15], v[16:17], v[32:33], v[8:9] op_sel:[0,0,1] op_sel_hi:[1,1,0] neg_lo:[0,0,1] neg_hi:[0,0,1]
	v_pk_fma_f32 v[8:9], v[16:17], v[32:33], v[8:9] op_sel:[0,0,1] op_sel_hi:[1,0,0]
	v_mov_b32_e32 v13, v7
	v_pk_add_f32 v[2:3], v[2:3], v[10:11]
	s_waitcnt vmcnt(4)
	v_mov_b32_e32 v4, v39
	v_pk_mul_f32 v[50:51], v[20:21], v[58:59] op_sel_hi:[1,0]
	v_pk_fma_f32 v[16:17], v[18:19], v[34:35], v[48:49] op_sel:[0,0,1] op_sel_hi:[1,1,0] neg_lo:[0,0,1] neg_hi:[0,0,1]
	v_pk_fma_f32 v[18:19], v[18:19], v[34:35], v[48:49] op_sel:[0,0,1] op_sel_hi:[1,0,0]
	v_mov_b32_e32 v15, v9
	v_pk_add_f32 v[2:3], v[2:3], v[12:13]
	s_waitcnt lgkmcnt(0)
	v_pk_mul_f32 v[4:5], v[22:23], v[4:5] op_sel_hi:[1,0]
	v_pk_fma_f32 v[26:27], v[20:21], v[36:37], v[50:51] op_sel:[0,0,1] op_sel_hi:[1,1,0] neg_lo:[0,0,1] neg_hi:[0,0,1]
	v_pk_fma_f32 v[20:21], v[20:21], v[36:37], v[50:51] op_sel:[0,0,1] op_sel_hi:[1,0,0]
	v_mov_b32_e32 v17, v19
	v_pk_add_f32 v[2:3], v[2:3], v[14:15]
	v_pk_fma_f32 v[6:7], v[22:23], v[38:39], v[4:5] op_sel:[0,0,1] op_sel_hi:[1,1,0] neg_lo:[0,0,1] neg_hi:[0,0,1]
	v_pk_fma_f32 v[4:5], v[22:23], v[38:39], v[4:5] op_sel:[0,0,1] op_sel_hi:[1,0,0]
	v_mov_b32_e32 v27, v21
	v_pk_add_f32 v[2:3], v[2:3], v[16:17]
	s_waitcnt vmcnt(3)
	v_mov_b32_e32 v4, v41
	v_pk_add_f32 v[2:3], v[2:3], v[26:27]
	v_mov_b32_e32 v7, v5
	v_pk_mul_f32 v[4:5], v[24:25], v[4:5] op_sel_hi:[1,0]
	v_pk_add_f32 v[2:3], v[2:3], v[6:7]
	s_waitcnt vmcnt(2)
	v_pk_fma_f32 v[6:7], v[24:25], v[40:41], v[4:5] op_sel:[0,0,1] op_sel_hi:[1,1,0] neg_lo:[0,0,1] neg_hi:[0,0,1]
	v_pk_fma_f32 v[4:5], v[24:25], v[40:41], v[4:5] op_sel:[0,0,1] op_sel_hi:[1,0,0]
	v_mov_b32_e32 v7, v5
	v_pk_add_f32 v[2:3], v[2:3], v[6:7]
	s_waitcnt vmcnt(0)
	v_pk_add_f32 v[2:3], v[42:43], v[2:3] neg_lo:[0,1] neg_hi:[0,1]
	buffer_store_dword v3, off, s[0:3], 0 offset:316
	buffer_store_dword v2, off, s[0:3], 0 offset:312
	s_and_saveexec_b64 s[4:5], vcc
	s_cbranch_execz .LBB115_249
; %bb.248:
	buffer_load_dword v2, off, s[0:3], 0 offset:304
	buffer_load_dword v3, off, s[0:3], 0 offset:308
	v_mov_b32_e32 v1, 0
	buffer_store_dword v1, off, s[0:3], 0 offset:304
	buffer_store_dword v1, off, s[0:3], 0 offset:308
	s_waitcnt vmcnt(2)
	ds_write_b64 v129, v[2:3]
.LBB115_249:
	s_or_b64 exec, exec, s[4:5]
	v_mov_b32_e32 v1, 0
	s_waitcnt lgkmcnt(0)
	; wave barrier
	s_waitcnt lgkmcnt(0)
	ds_read2_b64 v[4:7], v1 offset0:91 offset1:92
	buffer_load_dword v2, off, s[0:3], 0 offset:304
	buffer_load_dword v3, off, s[0:3], 0 offset:308
	;; [unrolled: 1-line block ×16, first 2 shown]
	v_cmp_lt_u32_e32 vcc, 37, v0
	s_waitcnt vmcnt(12) lgkmcnt(0)
	v_mul_f32_e32 v8, v4, v17
	v_fmac_f32_e32 v8, v5, v16
	s_waitcnt vmcnt(10)
	v_mul_f32_e32 v9, v6, v19
	v_add_f32_e32 v8, 0, v8
	v_fmac_f32_e32 v9, v7, v18
	v_add_f32_e32 v12, v8, v9
	ds_read2_b64 v[8:11], v1 offset0:93 offset1:94
	v_mul_f32_e32 v5, v5, v17
	v_fma_f32 v4, v4, v16, -v5
	v_mul_f32_e32 v5, v7, v19
	v_add_f32_e32 v4, 0, v4
	s_waitcnt vmcnt(8) lgkmcnt(0)
	v_mul_f32_e32 v13, v8, v26
	v_fmac_f32_e32 v13, v9, v24
	v_add_f32_e32 v25, v12, v13
	ds_read2_b64 v[12:15], v1 offset0:95 offset1:96
	buffer_load_dword v31, off, s[0:3], 0 offset:372
	buffer_load_dword v30, off, s[0:3], 0 offset:368
	;; [unrolled: 1-line block ×12, first 2 shown]
	v_fma_f32 v5, v6, v18, -v5
	v_add_f32_e32 v4, v4, v5
	v_mul_f32_e32 v5, v9, v26
	v_fma_f32 v5, v8, v24, -v5
	s_waitcnt vmcnt(18)
	v_mul_f32_e32 v27, v10, v42
	v_add_f32_e32 v24, v4, v5
	v_mul_f32_e32 v4, v11, v42
	v_fmac_f32_e32 v27, v11, v28
	v_fma_f32 v26, v10, v28, -v4
	s_waitcnt vmcnt(16) lgkmcnt(0)
	v_mul_f32_e32 v29, v12, v44
	v_mul_f32_e32 v4, v13, v44
	v_pk_add_f32 v[24:25], v[24:25], v[26:27]
	s_waitcnt vmcnt(14)
	v_mov_b32_e32 v26, v21
	v_fmac_f32_e32 v29, v13, v43
	v_fma_f32 v28, v12, v43, -v4
	ds_read2_b64 v[4:7], v1 offset0:97 offset1:98
	ds_read2_b64 v[8:11], v1 offset0:99 offset1:100
	;; [unrolled: 1-line block ×3, first 2 shown]
	ds_read_b64 v[12:13], v1 offset:824
	v_pk_mul_f32 v[26:27], v[14:15], v[26:27] op_sel_hi:[1,0]
	v_pk_add_f32 v[24:25], v[24:25], v[28:29]
	v_pk_fma_f32 v[28:29], v[14:15], v[20:21], v[26:27] op_sel:[0,0,1] op_sel_hi:[1,1,0] neg_lo:[0,0,1] neg_hi:[0,0,1]
	v_pk_fma_f32 v[14:15], v[14:15], v[20:21], v[26:27] op_sel:[0,0,1] op_sel_hi:[1,0,0]
	s_waitcnt vmcnt(12)
	v_mov_b32_e32 v20, v23
	v_mov_b32_e32 v29, v15
	s_waitcnt lgkmcnt(3)
	v_pk_mul_f32 v[20:21], v[4:5], v[20:21] op_sel_hi:[1,0]
	v_pk_add_f32 v[14:15], v[24:25], v[28:29]
	v_pk_fma_f32 v[24:25], v[4:5], v[22:23], v[20:21] op_sel:[0,0,1] op_sel_hi:[1,1,0] neg_lo:[0,0,1] neg_hi:[0,0,1]
	v_pk_fma_f32 v[4:5], v[4:5], v[22:23], v[20:21] op_sel:[0,0,1] op_sel_hi:[1,0,0]
	v_mov_b32_e32 v25, v5
	v_pk_add_f32 v[4:5], v[14:15], v[24:25]
	s_waitcnt vmcnt(11)
	v_mov_b32_e32 v14, v31
	v_pk_mul_f32 v[14:15], v[6:7], v[14:15] op_sel_hi:[1,0]
	s_waitcnt vmcnt(10)
	v_pk_fma_f32 v[20:21], v[6:7], v[30:31], v[14:15] op_sel:[0,0,1] op_sel_hi:[1,1,0] neg_lo:[0,0,1] neg_hi:[0,0,1]
	v_pk_fma_f32 v[6:7], v[6:7], v[30:31], v[14:15] op_sel:[0,0,1] op_sel_hi:[1,0,0]
	s_waitcnt vmcnt(9)
	v_mov_b32_e32 v6, v33
	v_mov_b32_e32 v21, v7
	s_waitcnt lgkmcnt(2)
	v_pk_mul_f32 v[6:7], v[8:9], v[6:7] op_sel_hi:[1,0]
	s_waitcnt vmcnt(8)
	v_pk_fma_f32 v[14:15], v[8:9], v[32:33], v[6:7] op_sel:[0,0,1] op_sel_hi:[1,1,0] neg_lo:[0,0,1] neg_hi:[0,0,1]
	v_pk_fma_f32 v[6:7], v[8:9], v[32:33], v[6:7] op_sel:[0,0,1] op_sel_hi:[1,0,0]
	s_waitcnt vmcnt(7)
	v_mov_b32_e32 v6, v35
	v_mov_b32_e32 v15, v7
	v_pk_mul_f32 v[6:7], v[10:11], v[6:7] op_sel_hi:[1,0]
	s_waitcnt vmcnt(6)
	v_pk_fma_f32 v[8:9], v[10:11], v[34:35], v[6:7] op_sel:[0,0,1] op_sel_hi:[1,1,0] neg_lo:[0,0,1] neg_hi:[0,0,1]
	v_pk_fma_f32 v[6:7], v[10:11], v[34:35], v[6:7] op_sel:[0,0,1] op_sel_hi:[1,0,0]
	v_pk_add_f32 v[4:5], v[4:5], v[20:21]
	s_waitcnt vmcnt(5)
	v_mov_b32_e32 v6, v37
	v_pk_add_f32 v[4:5], v[4:5], v[14:15]
	v_mov_b32_e32 v9, v7
	s_waitcnt lgkmcnt(1)
	v_pk_mul_f32 v[6:7], v[16:17], v[6:7] op_sel_hi:[1,0]
	v_pk_add_f32 v[4:5], v[4:5], v[8:9]
	s_waitcnt vmcnt(4)
	v_pk_fma_f32 v[8:9], v[16:17], v[36:37], v[6:7] op_sel:[0,0,1] op_sel_hi:[1,1,0] neg_lo:[0,0,1] neg_hi:[0,0,1]
	v_pk_fma_f32 v[6:7], v[16:17], v[36:37], v[6:7] op_sel:[0,0,1] op_sel_hi:[1,0,0]
	s_waitcnt vmcnt(3)
	v_mov_b32_e32 v6, v39
	v_mov_b32_e32 v9, v7
	v_pk_mul_f32 v[6:7], v[18:19], v[6:7] op_sel_hi:[1,0]
	v_pk_add_f32 v[4:5], v[4:5], v[8:9]
	s_waitcnt vmcnt(2)
	v_pk_fma_f32 v[8:9], v[18:19], v[38:39], v[6:7] op_sel:[0,0,1] op_sel_hi:[1,1,0] neg_lo:[0,0,1] neg_hi:[0,0,1]
	v_pk_fma_f32 v[6:7], v[18:19], v[38:39], v[6:7] op_sel:[0,0,1] op_sel_hi:[1,0,0]
	s_waitcnt vmcnt(1)
	v_mov_b32_e32 v6, v41
	v_mov_b32_e32 v9, v7
	s_waitcnt lgkmcnt(0)
	v_pk_mul_f32 v[6:7], v[12:13], v[6:7] op_sel_hi:[1,0]
	v_pk_add_f32 v[4:5], v[4:5], v[8:9]
	s_waitcnt vmcnt(0)
	v_pk_fma_f32 v[8:9], v[12:13], v[40:41], v[6:7] op_sel:[0,0,1] op_sel_hi:[1,1,0] neg_lo:[0,0,1] neg_hi:[0,0,1]
	v_pk_fma_f32 v[6:7], v[12:13], v[40:41], v[6:7] op_sel:[0,0,1] op_sel_hi:[1,0,0]
	v_mov_b32_e32 v9, v7
	v_pk_add_f32 v[4:5], v[4:5], v[8:9]
	v_pk_add_f32 v[2:3], v[2:3], v[4:5] neg_lo:[0,1] neg_hi:[0,1]
	buffer_store_dword v3, off, s[0:3], 0 offset:308
	buffer_store_dword v2, off, s[0:3], 0 offset:304
	s_and_saveexec_b64 s[4:5], vcc
	s_cbranch_execz .LBB115_251
; %bb.250:
	buffer_load_dword v2, off, s[0:3], 0 offset:296
	buffer_load_dword v3, off, s[0:3], 0 offset:300
	s_waitcnt vmcnt(0)
	ds_write_b64 v129, v[2:3]
	buffer_store_dword v1, off, s[0:3], 0 offset:296
	buffer_store_dword v1, off, s[0:3], 0 offset:300
.LBB115_251:
	s_or_b64 exec, exec, s[4:5]
	s_waitcnt lgkmcnt(0)
	; wave barrier
	s_waitcnt lgkmcnt(0)
	ds_read_b128 v[4:7], v1 offset:720
	ds_read_b128 v[8:11], v1 offset:736
	;; [unrolled: 1-line block ×4, first 2 shown]
	buffer_load_dword v2, off, s[0:3], 0 offset:296
	buffer_load_dword v3, off, s[0:3], 0 offset:300
	;; [unrolled: 1-line block ×30, first 2 shown]
	v_cmp_lt_u32_e32 vcc, 36, v0
	s_waitcnt vmcnt(26) lgkmcnt(3)
	v_mul_f32_e32 v23, v4, v24
	v_fmac_f32_e32 v23, v5, v22
	v_mul_f32_e32 v5, v5, v24
	s_waitcnt vmcnt(24)
	v_mul_f32_e32 v25, v6, v42
	v_fma_f32 v4, v4, v22, -v5
	v_mul_f32_e32 v5, v7, v42
	v_add_f32_e32 v23, 0, v23
	v_fmac_f32_e32 v25, v7, v26
	v_add_f32_e32 v4, 0, v4
	v_fma_f32 v5, v6, v26, -v5
	v_add_f32_e32 v23, v23, v25
	s_waitcnt vmcnt(22) lgkmcnt(2)
	v_mul_f32_e32 v25, v8, v44
	v_add_f32_e32 v4, v4, v5
	v_mul_f32_e32 v5, v9, v44
	v_fmac_f32_e32 v25, v9, v43
	v_fma_f32 v5, v8, v43, -v5
	v_add_f32_e32 v23, v23, v25
	s_waitcnt vmcnt(20)
	v_mul_f32_e32 v25, v10, v46
	v_add_f32_e32 v4, v4, v5
	v_mul_f32_e32 v5, v11, v46
	v_fmac_f32_e32 v25, v11, v45
	v_fma_f32 v5, v10, v45, -v5
	v_add_f32_e32 v23, v23, v25
	s_waitcnt vmcnt(18) lgkmcnt(1)
	v_mul_f32_e32 v25, v12, v48
	v_add_f32_e32 v22, v4, v5
	v_mul_f32_e32 v4, v13, v48
	v_fmac_f32_e32 v25, v13, v47
	v_fma_f32 v24, v12, v47, -v4
	s_waitcnt vmcnt(16)
	v_mul_f32_e32 v27, v14, v50
	v_mul_f32_e32 v4, v15, v50
	v_pk_add_f32 v[22:23], v[22:23], v[24:25]
	s_waitcnt vmcnt(14)
	v_mov_b32_e32 v24, v21
	v_fmac_f32_e32 v27, v15, v49
	v_fma_f32 v26, v14, v49, -v4
	s_waitcnt lgkmcnt(0)
	v_pk_mul_f32 v[24:25], v[16:17], v[24:25] op_sel_hi:[1,0]
	v_pk_add_f32 v[22:23], v[22:23], v[26:27]
	v_pk_fma_f32 v[26:27], v[16:17], v[20:21], v[24:25] op_sel:[0,0,1] op_sel_hi:[1,1,0] neg_lo:[0,0,1] neg_hi:[0,0,1]
	v_pk_fma_f32 v[16:17], v[16:17], v[20:21], v[24:25] op_sel:[0,0,1] op_sel_hi:[1,0,0]
	s_waitcnt vmcnt(13)
	v_mov_b32_e32 v20, v29
	ds_read_b128 v[4:7], v1 offset:784
	ds_read_b128 v[8:11], v1 offset:800
	;; [unrolled: 1-line block ×3, first 2 shown]
	v_mov_b32_e32 v27, v17
	v_pk_mul_f32 v[20:21], v[18:19], v[20:21] op_sel_hi:[1,0]
	v_pk_add_f32 v[16:17], v[22:23], v[26:27]
	s_waitcnt vmcnt(12)
	v_pk_fma_f32 v[22:23], v[18:19], v[28:29], v[20:21] op_sel:[0,0,1] op_sel_hi:[1,1,0] neg_lo:[0,0,1] neg_hi:[0,0,1]
	v_pk_fma_f32 v[18:19], v[18:19], v[28:29], v[20:21] op_sel:[0,0,1] op_sel_hi:[1,0,0]
	s_waitcnt vmcnt(11)
	v_mov_b32_e32 v18, v31
	v_mov_b32_e32 v23, v19
	s_waitcnt lgkmcnt(2)
	v_pk_mul_f32 v[18:19], v[4:5], v[18:19] op_sel_hi:[1,0]
	s_waitcnt vmcnt(10)
	v_pk_fma_f32 v[20:21], v[4:5], v[30:31], v[18:19] op_sel:[0,0,1] op_sel_hi:[1,1,0] neg_lo:[0,0,1] neg_hi:[0,0,1]
	v_pk_fma_f32 v[4:5], v[4:5], v[30:31], v[18:19] op_sel:[0,0,1] op_sel_hi:[1,0,0]
	v_pk_add_f32 v[16:17], v[16:17], v[22:23]
	v_mov_b32_e32 v21, v5
	v_pk_add_f32 v[4:5], v[16:17], v[20:21]
	s_waitcnt vmcnt(9)
	v_mov_b32_e32 v16, v33
	v_pk_mul_f32 v[16:17], v[6:7], v[16:17] op_sel_hi:[1,0]
	s_waitcnt vmcnt(8)
	v_pk_fma_f32 v[18:19], v[6:7], v[32:33], v[16:17] op_sel:[0,0,1] op_sel_hi:[1,1,0] neg_lo:[0,0,1] neg_hi:[0,0,1]
	v_pk_fma_f32 v[6:7], v[6:7], v[32:33], v[16:17] op_sel:[0,0,1] op_sel_hi:[1,0,0]
	s_waitcnt vmcnt(7)
	v_mov_b32_e32 v6, v35
	v_mov_b32_e32 v19, v7
	s_waitcnt lgkmcnt(1)
	v_pk_mul_f32 v[6:7], v[8:9], v[6:7] op_sel_hi:[1,0]
	s_waitcnt vmcnt(6)
	v_pk_fma_f32 v[16:17], v[8:9], v[34:35], v[6:7] op_sel:[0,0,1] op_sel_hi:[1,1,0] neg_lo:[0,0,1] neg_hi:[0,0,1]
	v_pk_fma_f32 v[6:7], v[8:9], v[34:35], v[6:7] op_sel:[0,0,1] op_sel_hi:[1,0,0]
	s_waitcnt vmcnt(5)
	v_mov_b32_e32 v6, v37
	v_mov_b32_e32 v17, v7
	v_pk_mul_f32 v[6:7], v[10:11], v[6:7] op_sel_hi:[1,0]
	s_waitcnt vmcnt(4)
	v_pk_fma_f32 v[8:9], v[10:11], v[36:37], v[6:7] op_sel:[0,0,1] op_sel_hi:[1,1,0] neg_lo:[0,0,1] neg_hi:[0,0,1]
	v_pk_fma_f32 v[6:7], v[10:11], v[36:37], v[6:7] op_sel:[0,0,1] op_sel_hi:[1,0,0]
	v_pk_add_f32 v[4:5], v[4:5], v[18:19]
	s_waitcnt vmcnt(3)
	v_mov_b32_e32 v6, v39
	v_pk_add_f32 v[4:5], v[4:5], v[16:17]
	v_mov_b32_e32 v9, v7
	s_waitcnt lgkmcnt(0)
	v_pk_mul_f32 v[6:7], v[12:13], v[6:7] op_sel_hi:[1,0]
	v_pk_add_f32 v[4:5], v[4:5], v[8:9]
	s_waitcnt vmcnt(2)
	v_pk_fma_f32 v[8:9], v[12:13], v[38:39], v[6:7] op_sel:[0,0,1] op_sel_hi:[1,1,0] neg_lo:[0,0,1] neg_hi:[0,0,1]
	v_pk_fma_f32 v[6:7], v[12:13], v[38:39], v[6:7] op_sel:[0,0,1] op_sel_hi:[1,0,0]
	s_waitcnt vmcnt(1)
	v_mov_b32_e32 v6, v41
	v_mov_b32_e32 v9, v7
	v_pk_mul_f32 v[6:7], v[14:15], v[6:7] op_sel_hi:[1,0]
	v_pk_add_f32 v[4:5], v[4:5], v[8:9]
	s_waitcnt vmcnt(0)
	v_pk_fma_f32 v[8:9], v[14:15], v[40:41], v[6:7] op_sel:[0,0,1] op_sel_hi:[1,1,0] neg_lo:[0,0,1] neg_hi:[0,0,1]
	v_pk_fma_f32 v[6:7], v[14:15], v[40:41], v[6:7] op_sel:[0,0,1] op_sel_hi:[1,0,0]
	v_mov_b32_e32 v9, v7
	v_pk_add_f32 v[4:5], v[4:5], v[8:9]
	v_pk_add_f32 v[2:3], v[2:3], v[4:5] neg_lo:[0,1] neg_hi:[0,1]
	buffer_store_dword v3, off, s[0:3], 0 offset:300
	buffer_store_dword v2, off, s[0:3], 0 offset:296
	s_and_saveexec_b64 s[4:5], vcc
	s_cbranch_execz .LBB115_253
; %bb.252:
	buffer_load_dword v2, off, s[0:3], 0 offset:288
	buffer_load_dword v3, off, s[0:3], 0 offset:292
	v_mov_b32_e32 v1, 0
	buffer_store_dword v1, off, s[0:3], 0 offset:288
	buffer_store_dword v1, off, s[0:3], 0 offset:292
	s_waitcnt vmcnt(2)
	ds_write_b64 v129, v[2:3]
.LBB115_253:
	s_or_b64 exec, exec, s[4:5]
	v_mov_b32_e32 v1, 0
	s_waitcnt lgkmcnt(0)
	; wave barrier
	s_waitcnt lgkmcnt(0)
	ds_read2_b64 v[4:7], v1 offset0:89 offset1:90
	buffer_load_dword v2, off, s[0:3], 0 offset:288
	buffer_load_dword v3, off, s[0:3], 0 offset:292
	;; [unrolled: 1-line block ×16, first 2 shown]
	v_cmp_lt_u32_e32 vcc, 35, v0
	s_waitcnt vmcnt(12) lgkmcnt(0)
	v_mul_f32_e32 v8, v4, v22
	v_fmac_f32_e32 v8, v5, v20
	s_waitcnt vmcnt(10)
	v_mul_f32_e32 v9, v6, v42
	v_add_f32_e32 v8, 0, v8
	v_fmac_f32_e32 v9, v7, v24
	v_add_f32_e32 v12, v8, v9
	ds_read2_b64 v[8:11], v1 offset0:91 offset1:92
	v_mul_f32_e32 v5, v5, v22
	v_fma_f32 v4, v4, v20, -v5
	v_mul_f32_e32 v5, v7, v42
	v_add_f32_e32 v4, 0, v4
	s_waitcnt vmcnt(8) lgkmcnt(0)
	v_mul_f32_e32 v13, v8, v44
	v_fmac_f32_e32 v13, v9, v43
	v_add_f32_e32 v12, v12, v13
	s_waitcnt vmcnt(6)
	v_mul_f32_e32 v13, v10, v46
	v_fmac_f32_e32 v13, v11, v45
	v_add_f32_e32 v16, v12, v13
	ds_read2_b64 v[12:15], v1 offset0:93 offset1:94
	v_fma_f32 v5, v6, v24, -v5
	v_add_f32_e32 v4, v4, v5
	v_mul_f32_e32 v5, v9, v44
	v_fma_f32 v5, v8, v43, -v5
	s_waitcnt vmcnt(4) lgkmcnt(0)
	v_mul_f32_e32 v17, v12, v48
	v_fmac_f32_e32 v17, v13, v47
	v_add_f32_e32 v21, v16, v17
	ds_read2_b64 v[16:19], v1 offset0:95 offset1:96
	buffer_load_dword v27, off, s[0:3], 0 offset:356
	buffer_load_dword v26, off, s[0:3], 0 offset:352
	;; [unrolled: 1-line block ×16, first 2 shown]
	v_add_f32_e32 v4, v4, v5
	v_mul_f32_e32 v5, v11, v46
	v_fma_f32 v5, v10, v45, -v5
	v_add_f32_e32 v4, v4, v5
	v_mul_f32_e32 v5, v13, v48
	v_fma_f32 v5, v12, v47, -v5
	s_waitcnt vmcnt(18)
	v_mul_f32_e32 v23, v14, v50
	v_add_f32_e32 v20, v4, v5
	v_mul_f32_e32 v4, v15, v50
	v_fmac_f32_e32 v23, v15, v49
	v_fma_f32 v22, v14, v49, -v4
	s_waitcnt vmcnt(16) lgkmcnt(0)
	v_mul_f32_e32 v25, v16, v52
	v_mul_f32_e32 v4, v17, v52
	v_pk_add_f32 v[20:21], v[20:21], v[22:23]
	v_fmac_f32_e32 v25, v17, v51
	v_fma_f32 v24, v16, v51, -v4
	v_pk_add_f32 v[20:21], v[20:21], v[24:25]
	ds_read2_b64 v[4:7], v1 offset0:97 offset1:98
	ds_read2_b64 v[8:11], v1 offset0:99 offset1:100
	;; [unrolled: 1-line block ×3, first 2 shown]
	ds_read_b64 v[16:17], v1 offset:824
	s_waitcnt vmcnt(15)
	v_mov_b32_e32 v22, v27
	v_pk_mul_f32 v[22:23], v[18:19], v[22:23] op_sel_hi:[1,0]
	s_waitcnt vmcnt(14)
	v_pk_fma_f32 v[24:25], v[18:19], v[26:27], v[22:23] op_sel:[0,0,1] op_sel_hi:[1,1,0] neg_lo:[0,0,1] neg_hi:[0,0,1]
	v_pk_fma_f32 v[18:19], v[18:19], v[26:27], v[22:23] op_sel:[0,0,1] op_sel_hi:[1,0,0]
	v_mov_b32_e32 v25, v19
	v_pk_add_f32 v[18:19], v[20:21], v[24:25]
	s_waitcnt vmcnt(13)
	v_mov_b32_e32 v20, v29
	s_waitcnt lgkmcnt(3)
	v_pk_mul_f32 v[20:21], v[4:5], v[20:21] op_sel_hi:[1,0]
	s_waitcnt vmcnt(12)
	v_pk_fma_f32 v[22:23], v[4:5], v[28:29], v[20:21] op_sel:[0,0,1] op_sel_hi:[1,1,0] neg_lo:[0,0,1] neg_hi:[0,0,1]
	v_pk_fma_f32 v[4:5], v[4:5], v[28:29], v[20:21] op_sel:[0,0,1] op_sel_hi:[1,0,0]
	v_mov_b32_e32 v23, v5
	v_pk_add_f32 v[4:5], v[18:19], v[22:23]
	s_waitcnt vmcnt(11)
	v_mov_b32_e32 v18, v31
	v_pk_mul_f32 v[18:19], v[6:7], v[18:19] op_sel_hi:[1,0]
	s_waitcnt vmcnt(10)
	v_pk_fma_f32 v[20:21], v[6:7], v[30:31], v[18:19] op_sel:[0,0,1] op_sel_hi:[1,1,0] neg_lo:[0,0,1] neg_hi:[0,0,1]
	v_pk_fma_f32 v[6:7], v[6:7], v[30:31], v[18:19] op_sel:[0,0,1] op_sel_hi:[1,0,0]
	s_waitcnt vmcnt(9)
	v_mov_b32_e32 v6, v33
	v_mov_b32_e32 v21, v7
	s_waitcnt lgkmcnt(2)
	v_pk_mul_f32 v[6:7], v[8:9], v[6:7] op_sel_hi:[1,0]
	s_waitcnt vmcnt(8)
	v_pk_fma_f32 v[18:19], v[8:9], v[32:33], v[6:7] op_sel:[0,0,1] op_sel_hi:[1,1,0] neg_lo:[0,0,1] neg_hi:[0,0,1]
	v_pk_fma_f32 v[6:7], v[8:9], v[32:33], v[6:7] op_sel:[0,0,1] op_sel_hi:[1,0,0]
	s_waitcnt vmcnt(7)
	v_mov_b32_e32 v6, v35
	v_mov_b32_e32 v19, v7
	v_pk_mul_f32 v[6:7], v[10:11], v[6:7] op_sel_hi:[1,0]
	s_waitcnt vmcnt(6)
	v_pk_fma_f32 v[8:9], v[10:11], v[34:35], v[6:7] op_sel:[0,0,1] op_sel_hi:[1,1,0] neg_lo:[0,0,1] neg_hi:[0,0,1]
	v_pk_fma_f32 v[6:7], v[10:11], v[34:35], v[6:7] op_sel:[0,0,1] op_sel_hi:[1,0,0]
	v_pk_add_f32 v[4:5], v[4:5], v[20:21]
	s_waitcnt vmcnt(5)
	v_mov_b32_e32 v6, v37
	v_pk_add_f32 v[4:5], v[4:5], v[18:19]
	v_mov_b32_e32 v9, v7
	s_waitcnt lgkmcnt(1)
	v_pk_mul_f32 v[6:7], v[12:13], v[6:7] op_sel_hi:[1,0]
	v_pk_add_f32 v[4:5], v[4:5], v[8:9]
	s_waitcnt vmcnt(4)
	v_pk_fma_f32 v[8:9], v[12:13], v[36:37], v[6:7] op_sel:[0,0,1] op_sel_hi:[1,1,0] neg_lo:[0,0,1] neg_hi:[0,0,1]
	v_pk_fma_f32 v[6:7], v[12:13], v[36:37], v[6:7] op_sel:[0,0,1] op_sel_hi:[1,0,0]
	s_waitcnt vmcnt(3)
	v_mov_b32_e32 v6, v39
	v_mov_b32_e32 v9, v7
	v_pk_mul_f32 v[6:7], v[14:15], v[6:7] op_sel_hi:[1,0]
	v_pk_add_f32 v[4:5], v[4:5], v[8:9]
	s_waitcnt vmcnt(2)
	v_pk_fma_f32 v[8:9], v[14:15], v[38:39], v[6:7] op_sel:[0,0,1] op_sel_hi:[1,1,0] neg_lo:[0,0,1] neg_hi:[0,0,1]
	v_pk_fma_f32 v[6:7], v[14:15], v[38:39], v[6:7] op_sel:[0,0,1] op_sel_hi:[1,0,0]
	s_waitcnt vmcnt(1)
	v_mov_b32_e32 v6, v41
	v_mov_b32_e32 v9, v7
	s_waitcnt lgkmcnt(0)
	v_pk_mul_f32 v[6:7], v[16:17], v[6:7] op_sel_hi:[1,0]
	v_pk_add_f32 v[4:5], v[4:5], v[8:9]
	s_waitcnt vmcnt(0)
	v_pk_fma_f32 v[8:9], v[16:17], v[40:41], v[6:7] op_sel:[0,0,1] op_sel_hi:[1,1,0] neg_lo:[0,0,1] neg_hi:[0,0,1]
	v_pk_fma_f32 v[6:7], v[16:17], v[40:41], v[6:7] op_sel:[0,0,1] op_sel_hi:[1,0,0]
	v_mov_b32_e32 v9, v7
	v_pk_add_f32 v[4:5], v[4:5], v[8:9]
	v_pk_add_f32 v[2:3], v[2:3], v[4:5] neg_lo:[0,1] neg_hi:[0,1]
	buffer_store_dword v3, off, s[0:3], 0 offset:292
	buffer_store_dword v2, off, s[0:3], 0 offset:288
	s_and_saveexec_b64 s[4:5], vcc
	s_cbranch_execz .LBB115_255
; %bb.254:
	buffer_load_dword v2, off, s[0:3], 0 offset:280
	buffer_load_dword v3, off, s[0:3], 0 offset:284
	s_waitcnt vmcnt(0)
	ds_write_b64 v129, v[2:3]
	buffer_store_dword v1, off, s[0:3], 0 offset:280
	buffer_store_dword v1, off, s[0:3], 0 offset:284
.LBB115_255:
	s_or_b64 exec, exec, s[4:5]
	s_waitcnt lgkmcnt(0)
	; wave barrier
	s_waitcnt lgkmcnt(0)
	ds_read_b128 v[4:7], v1 offset:704
	ds_read_b128 v[8:11], v1 offset:720
	;; [unrolled: 1-line block ×4, first 2 shown]
	buffer_load_dword v2, off, s[0:3], 0 offset:280
	buffer_load_dword v3, off, s[0:3], 0 offset:284
	;; [unrolled: 1-line block ×20, first 2 shown]
	v_cmp_lt_u32_e32 vcc, 34, v0
	s_waitcnt vmcnt(16) lgkmcnt(3)
	v_mul_f32_e32 v20, v4, v26
	v_fmac_f32_e32 v20, v5, v24
	s_waitcnt vmcnt(14)
	v_mul_f32_e32 v21, v6, v46
	v_add_f32_e32 v20, 0, v20
	v_fmac_f32_e32 v21, v7, v28
	v_add_f32_e32 v20, v20, v21
	s_waitcnt vmcnt(12) lgkmcnt(2)
	v_mul_f32_e32 v21, v8, v48
	v_fmac_f32_e32 v21, v9, v47
	v_add_f32_e32 v20, v20, v21
	s_waitcnt vmcnt(10)
	v_mul_f32_e32 v21, v10, v50
	v_fmac_f32_e32 v21, v11, v49
	v_add_f32_e32 v20, v20, v21
	s_waitcnt vmcnt(8) lgkmcnt(1)
	v_mul_f32_e32 v21, v12, v52
	v_fmac_f32_e32 v21, v13, v51
	v_add_f32_e32 v20, v20, v21
	s_waitcnt vmcnt(6)
	v_mul_f32_e32 v21, v14, v54
	v_fmac_f32_e32 v21, v15, v53
	v_add_f32_e32 v25, v20, v21
	ds_read_b128 v[20:23], v1 offset:768
	buffer_load_dword v33, off, s[0:3], 0 offset:364
	buffer_load_dword v32, off, s[0:3], 0 offset:360
	;; [unrolled: 1-line block ×14, first 2 shown]
	v_mul_f32_e32 v5, v5, v26
	v_fma_f32 v4, v4, v24, -v5
	v_mul_f32_e32 v5, v7, v46
	v_add_f32_e32 v4, 0, v4
	v_fma_f32 v5, v6, v28, -v5
	v_add_f32_e32 v4, v4, v5
	v_mul_f32_e32 v5, v9, v48
	v_fma_f32 v5, v8, v47, -v5
	v_add_f32_e32 v4, v4, v5
	v_mul_f32_e32 v5, v11, v50
	;; [unrolled: 3-line block ×4, first 2 shown]
	v_fma_f32 v5, v14, v53, -v5
	v_add_f32_e32 v24, v4, v5
	s_waitcnt vmcnt(18) lgkmcnt(1)
	v_mul_f32_e32 v4, v17, v56
	v_fma_f32 v26, v16, v55, -v4
	s_waitcnt vmcnt(16)
	v_mul_f32_e32 v4, v19, v58
	v_mul_f32_e32 v27, v16, v56
	;; [unrolled: 1-line block ×3, first 2 shown]
	v_fma_f32 v28, v18, v57, -v4
	s_waitcnt vmcnt(15)
	v_mov_b32_e32 v18, v31
	v_fmac_f32_e32 v27, v17, v55
	v_fmac_f32_e32 v29, v19, v57
	s_waitcnt lgkmcnt(0)
	v_pk_mul_f32 v[18:19], v[20:21], v[18:19] op_sel_hi:[1,0]
	v_pk_add_f32 v[16:17], v[24:25], v[26:27]
	s_waitcnt vmcnt(14)
	v_pk_fma_f32 v[24:25], v[20:21], v[30:31], v[18:19] op_sel:[0,0,1] op_sel_hi:[1,1,0] neg_lo:[0,0,1] neg_hi:[0,0,1]
	v_pk_fma_f32 v[18:19], v[20:21], v[30:31], v[18:19] op_sel:[0,0,1] op_sel_hi:[1,0,0]
	ds_read_b128 v[4:7], v1 offset:784
	ds_read_b128 v[8:11], v1 offset:800
	;; [unrolled: 1-line block ×3, first 2 shown]
	v_mov_b32_e32 v25, v19
	v_pk_add_f32 v[16:17], v[16:17], v[28:29]
	v_pk_add_f32 v[16:17], v[16:17], v[24:25]
	s_waitcnt vmcnt(13)
	v_mov_b32_e32 v18, v33
	v_pk_mul_f32 v[18:19], v[22:23], v[18:19] op_sel_hi:[1,0]
	s_waitcnt vmcnt(12)
	v_pk_fma_f32 v[20:21], v[22:23], v[32:33], v[18:19] op_sel:[0,0,1] op_sel_hi:[1,1,0] neg_lo:[0,0,1] neg_hi:[0,0,1]
	v_pk_fma_f32 v[18:19], v[22:23], v[32:33], v[18:19] op_sel:[0,0,1] op_sel_hi:[1,0,0]
	s_waitcnt vmcnt(11)
	v_mov_b32_e32 v18, v35
	v_mov_b32_e32 v21, v19
	s_waitcnt lgkmcnt(2)
	v_pk_mul_f32 v[18:19], v[4:5], v[18:19] op_sel_hi:[1,0]
	v_pk_add_f32 v[16:17], v[16:17], v[20:21]
	s_waitcnt vmcnt(10)
	v_pk_fma_f32 v[20:21], v[4:5], v[34:35], v[18:19] op_sel:[0,0,1] op_sel_hi:[1,1,0] neg_lo:[0,0,1] neg_hi:[0,0,1]
	v_pk_fma_f32 v[4:5], v[4:5], v[34:35], v[18:19] op_sel:[0,0,1] op_sel_hi:[1,0,0]
	v_mov_b32_e32 v21, v5
	v_pk_add_f32 v[4:5], v[16:17], v[20:21]
	s_waitcnt vmcnt(9)
	v_mov_b32_e32 v16, v37
	v_pk_mul_f32 v[16:17], v[6:7], v[16:17] op_sel_hi:[1,0]
	s_waitcnt vmcnt(8)
	v_pk_fma_f32 v[18:19], v[6:7], v[36:37], v[16:17] op_sel:[0,0,1] op_sel_hi:[1,1,0] neg_lo:[0,0,1] neg_hi:[0,0,1]
	v_pk_fma_f32 v[6:7], v[6:7], v[36:37], v[16:17] op_sel:[0,0,1] op_sel_hi:[1,0,0]
	s_waitcnt vmcnt(7)
	v_mov_b32_e32 v6, v39
	v_mov_b32_e32 v19, v7
	s_waitcnt lgkmcnt(1)
	v_pk_mul_f32 v[6:7], v[8:9], v[6:7] op_sel_hi:[1,0]
	s_waitcnt vmcnt(6)
	v_pk_fma_f32 v[16:17], v[8:9], v[38:39], v[6:7] op_sel:[0,0,1] op_sel_hi:[1,1,0] neg_lo:[0,0,1] neg_hi:[0,0,1]
	v_pk_fma_f32 v[6:7], v[8:9], v[38:39], v[6:7] op_sel:[0,0,1] op_sel_hi:[1,0,0]
	s_waitcnt vmcnt(5)
	v_mov_b32_e32 v6, v41
	v_mov_b32_e32 v17, v7
	v_pk_mul_f32 v[6:7], v[10:11], v[6:7] op_sel_hi:[1,0]
	s_waitcnt vmcnt(4)
	v_pk_fma_f32 v[8:9], v[10:11], v[40:41], v[6:7] op_sel:[0,0,1] op_sel_hi:[1,1,0] neg_lo:[0,0,1] neg_hi:[0,0,1]
	v_pk_fma_f32 v[6:7], v[10:11], v[40:41], v[6:7] op_sel:[0,0,1] op_sel_hi:[1,0,0]
	v_pk_add_f32 v[4:5], v[4:5], v[18:19]
	s_waitcnt vmcnt(3)
	v_mov_b32_e32 v6, v43
	v_pk_add_f32 v[4:5], v[4:5], v[16:17]
	v_mov_b32_e32 v9, v7
	s_waitcnt lgkmcnt(0)
	v_pk_mul_f32 v[6:7], v[12:13], v[6:7] op_sel_hi:[1,0]
	v_pk_add_f32 v[4:5], v[4:5], v[8:9]
	s_waitcnt vmcnt(2)
	v_pk_fma_f32 v[8:9], v[12:13], v[42:43], v[6:7] op_sel:[0,0,1] op_sel_hi:[1,1,0] neg_lo:[0,0,1] neg_hi:[0,0,1]
	v_pk_fma_f32 v[6:7], v[12:13], v[42:43], v[6:7] op_sel:[0,0,1] op_sel_hi:[1,0,0]
	s_waitcnt vmcnt(1)
	v_mov_b32_e32 v6, v45
	v_mov_b32_e32 v9, v7
	v_pk_mul_f32 v[6:7], v[14:15], v[6:7] op_sel_hi:[1,0]
	v_pk_add_f32 v[4:5], v[4:5], v[8:9]
	s_waitcnt vmcnt(0)
	v_pk_fma_f32 v[8:9], v[14:15], v[44:45], v[6:7] op_sel:[0,0,1] op_sel_hi:[1,1,0] neg_lo:[0,0,1] neg_hi:[0,0,1]
	v_pk_fma_f32 v[6:7], v[14:15], v[44:45], v[6:7] op_sel:[0,0,1] op_sel_hi:[1,0,0]
	v_mov_b32_e32 v9, v7
	v_pk_add_f32 v[4:5], v[4:5], v[8:9]
	v_pk_add_f32 v[2:3], v[2:3], v[4:5] neg_lo:[0,1] neg_hi:[0,1]
	buffer_store_dword v3, off, s[0:3], 0 offset:284
	buffer_store_dword v2, off, s[0:3], 0 offset:280
	s_and_saveexec_b64 s[4:5], vcc
	s_cbranch_execz .LBB115_257
; %bb.256:
	buffer_load_dword v2, off, s[0:3], 0 offset:272
	buffer_load_dword v3, off, s[0:3], 0 offset:276
	v_mov_b32_e32 v1, 0
	buffer_store_dword v1, off, s[0:3], 0 offset:272
	buffer_store_dword v1, off, s[0:3], 0 offset:276
	s_waitcnt vmcnt(2)
	ds_write_b64 v129, v[2:3]
.LBB115_257:
	s_or_b64 exec, exec, s[4:5]
	v_mov_b32_e32 v1, 0
	s_waitcnt lgkmcnt(0)
	; wave barrier
	s_waitcnt lgkmcnt(0)
	ds_read2_b64 v[4:7], v1 offset0:87 offset1:88
	buffer_load_dword v2, off, s[0:3], 0 offset:272
	buffer_load_dword v3, off, s[0:3], 0 offset:276
	;; [unrolled: 1-line block ×16, first 2 shown]
	v_cmp_lt_u32_e32 vcc, 33, v0
	s_waitcnt vmcnt(12) lgkmcnt(0)
	v_mul_f32_e32 v8, v4, v26
	v_fmac_f32_e32 v8, v5, v24
	s_waitcnt vmcnt(10)
	v_mul_f32_e32 v9, v6, v46
	v_add_f32_e32 v8, 0, v8
	v_fmac_f32_e32 v9, v7, v28
	v_add_f32_e32 v12, v8, v9
	ds_read2_b64 v[8:11], v1 offset0:89 offset1:90
	v_mul_f32_e32 v5, v5, v26
	v_fma_f32 v4, v4, v24, -v5
	v_mul_f32_e32 v5, v7, v46
	v_add_f32_e32 v4, 0, v4
	s_waitcnt vmcnt(8) lgkmcnt(0)
	v_mul_f32_e32 v13, v8, v48
	v_fmac_f32_e32 v13, v9, v47
	v_add_f32_e32 v12, v12, v13
	s_waitcnt vmcnt(6)
	v_mul_f32_e32 v13, v10, v50
	v_fmac_f32_e32 v13, v11, v49
	v_add_f32_e32 v16, v12, v13
	ds_read2_b64 v[12:15], v1 offset0:91 offset1:92
	v_fma_f32 v5, v6, v28, -v5
	v_add_f32_e32 v4, v4, v5
	v_mul_f32_e32 v5, v9, v48
	v_fma_f32 v5, v8, v47, -v5
	s_waitcnt vmcnt(4) lgkmcnt(0)
	v_mul_f32_e32 v17, v12, v52
	v_fmac_f32_e32 v17, v13, v51
	v_add_f32_e32 v16, v16, v17
	s_waitcnt vmcnt(2)
	v_mul_f32_e32 v17, v14, v54
	v_fmac_f32_e32 v17, v15, v53
	v_add_f32_e32 v20, v16, v17
	ds_read2_b64 v[16:19], v1 offset0:93 offset1:94
	buffer_load_dword v57, off, s[0:3], 0 offset:336
	buffer_load_dword v58, off, s[0:3], 0 offset:340
	v_add_f32_e32 v4, v4, v5
	v_mul_f32_e32 v5, v11, v50
	v_fma_f32 v5, v10, v49, -v5
	s_waitcnt vmcnt(2) lgkmcnt(0)
	v_mul_f32_e32 v21, v16, v56
	v_fmac_f32_e32 v21, v17, v55
	v_add_f32_e32 v25, v20, v21
	ds_read2_b64 v[20:23], v1 offset0:95 offset1:96
	buffer_load_dword v59, off, s[0:3], 0 offset:344
	buffer_load_dword v60, off, s[0:3], 0 offset:348
	;; [unrolled: 1-line block ×18, first 2 shown]
	v_add_f32_e32 v4, v4, v5
	v_mul_f32_e32 v5, v13, v52
	v_fma_f32 v5, v12, v51, -v5
	v_add_f32_e32 v4, v4, v5
	v_mul_f32_e32 v5, v15, v54
	v_fma_f32 v5, v14, v53, -v5
	v_add_f32_e32 v4, v4, v5
	v_mul_f32_e32 v5, v17, v56
	v_fma_f32 v5, v16, v55, -v5
	v_add_f32_e32 v24, v4, v5
	s_waitcnt vmcnt(18)
	v_mul_f32_e32 v4, v19, v58
	v_fma_f32 v26, v18, v57, -v4
	v_mul_f32_e32 v27, v18, v58
	v_fmac_f32_e32 v27, v19, v57
	v_pk_add_f32 v[18:19], v[24:25], v[26:27]
	s_waitcnt vmcnt(16) lgkmcnt(0)
	v_mul_f32_e32 v4, v21, v60
	v_mul_f32_e32 v29, v20, v60
	v_fma_f32 v28, v20, v59, -v4
	s_waitcnt vmcnt(15)
	v_mov_b32_e32 v20, v31
	v_fmac_f32_e32 v29, v21, v59
	v_pk_mul_f32 v[20:21], v[22:23], v[20:21] op_sel_hi:[1,0]
	ds_read2_b64 v[4:7], v1 offset0:97 offset1:98
	ds_read2_b64 v[8:11], v1 offset0:99 offset1:100
	;; [unrolled: 1-line block ×3, first 2 shown]
	ds_read_b64 v[16:17], v1 offset:824
	s_waitcnt vmcnt(14)
	v_pk_fma_f32 v[24:25], v[22:23], v[30:31], v[20:21] op_sel:[0,0,1] op_sel_hi:[1,1,0] neg_lo:[0,0,1] neg_hi:[0,0,1]
	v_pk_fma_f32 v[20:21], v[22:23], v[30:31], v[20:21] op_sel:[0,0,1] op_sel_hi:[1,0,0]
	s_waitcnt vmcnt(13)
	v_mov_b32_e32 v20, v33
	v_mov_b32_e32 v25, v21
	s_waitcnt lgkmcnt(3)
	v_pk_mul_f32 v[20:21], v[4:5], v[20:21] op_sel_hi:[1,0]
	v_pk_add_f32 v[18:19], v[18:19], v[28:29]
	s_waitcnt vmcnt(12)
	v_pk_fma_f32 v[22:23], v[4:5], v[32:33], v[20:21] op_sel:[0,0,1] op_sel_hi:[1,1,0] neg_lo:[0,0,1] neg_hi:[0,0,1]
	v_pk_fma_f32 v[4:5], v[4:5], v[32:33], v[20:21] op_sel:[0,0,1] op_sel_hi:[1,0,0]
	v_pk_add_f32 v[18:19], v[18:19], v[24:25]
	v_mov_b32_e32 v23, v5
	v_pk_add_f32 v[4:5], v[18:19], v[22:23]
	s_waitcnt vmcnt(11)
	v_mov_b32_e32 v18, v35
	v_pk_mul_f32 v[18:19], v[6:7], v[18:19] op_sel_hi:[1,0]
	s_waitcnt vmcnt(10)
	v_pk_fma_f32 v[20:21], v[6:7], v[34:35], v[18:19] op_sel:[0,0,1] op_sel_hi:[1,1,0] neg_lo:[0,0,1] neg_hi:[0,0,1]
	v_pk_fma_f32 v[6:7], v[6:7], v[34:35], v[18:19] op_sel:[0,0,1] op_sel_hi:[1,0,0]
	s_waitcnt vmcnt(9)
	v_mov_b32_e32 v6, v37
	v_mov_b32_e32 v21, v7
	s_waitcnt lgkmcnt(2)
	v_pk_mul_f32 v[6:7], v[8:9], v[6:7] op_sel_hi:[1,0]
	s_waitcnt vmcnt(8)
	v_pk_fma_f32 v[18:19], v[8:9], v[36:37], v[6:7] op_sel:[0,0,1] op_sel_hi:[1,1,0] neg_lo:[0,0,1] neg_hi:[0,0,1]
	v_pk_fma_f32 v[6:7], v[8:9], v[36:37], v[6:7] op_sel:[0,0,1] op_sel_hi:[1,0,0]
	s_waitcnt vmcnt(7)
	v_mov_b32_e32 v6, v39
	v_mov_b32_e32 v19, v7
	v_pk_mul_f32 v[6:7], v[10:11], v[6:7] op_sel_hi:[1,0]
	s_waitcnt vmcnt(6)
	v_pk_fma_f32 v[8:9], v[10:11], v[38:39], v[6:7] op_sel:[0,0,1] op_sel_hi:[1,1,0] neg_lo:[0,0,1] neg_hi:[0,0,1]
	v_pk_fma_f32 v[6:7], v[10:11], v[38:39], v[6:7] op_sel:[0,0,1] op_sel_hi:[1,0,0]
	v_pk_add_f32 v[4:5], v[4:5], v[20:21]
	s_waitcnt vmcnt(5)
	v_mov_b32_e32 v6, v41
	v_pk_add_f32 v[4:5], v[4:5], v[18:19]
	v_mov_b32_e32 v9, v7
	s_waitcnt lgkmcnt(1)
	v_pk_mul_f32 v[6:7], v[12:13], v[6:7] op_sel_hi:[1,0]
	v_pk_add_f32 v[4:5], v[4:5], v[8:9]
	s_waitcnt vmcnt(4)
	v_pk_fma_f32 v[8:9], v[12:13], v[40:41], v[6:7] op_sel:[0,0,1] op_sel_hi:[1,1,0] neg_lo:[0,0,1] neg_hi:[0,0,1]
	v_pk_fma_f32 v[6:7], v[12:13], v[40:41], v[6:7] op_sel:[0,0,1] op_sel_hi:[1,0,0]
	s_waitcnt vmcnt(3)
	v_mov_b32_e32 v6, v43
	v_mov_b32_e32 v9, v7
	v_pk_mul_f32 v[6:7], v[14:15], v[6:7] op_sel_hi:[1,0]
	v_pk_add_f32 v[4:5], v[4:5], v[8:9]
	s_waitcnt vmcnt(2)
	v_pk_fma_f32 v[8:9], v[14:15], v[42:43], v[6:7] op_sel:[0,0,1] op_sel_hi:[1,1,0] neg_lo:[0,0,1] neg_hi:[0,0,1]
	v_pk_fma_f32 v[6:7], v[14:15], v[42:43], v[6:7] op_sel:[0,0,1] op_sel_hi:[1,0,0]
	s_waitcnt vmcnt(1)
	v_mov_b32_e32 v6, v45
	v_mov_b32_e32 v9, v7
	s_waitcnt lgkmcnt(0)
	v_pk_mul_f32 v[6:7], v[16:17], v[6:7] op_sel_hi:[1,0]
	v_pk_add_f32 v[4:5], v[4:5], v[8:9]
	s_waitcnt vmcnt(0)
	v_pk_fma_f32 v[8:9], v[16:17], v[44:45], v[6:7] op_sel:[0,0,1] op_sel_hi:[1,1,0] neg_lo:[0,0,1] neg_hi:[0,0,1]
	v_pk_fma_f32 v[6:7], v[16:17], v[44:45], v[6:7] op_sel:[0,0,1] op_sel_hi:[1,0,0]
	v_mov_b32_e32 v9, v7
	v_pk_add_f32 v[4:5], v[4:5], v[8:9]
	v_pk_add_f32 v[2:3], v[2:3], v[4:5] neg_lo:[0,1] neg_hi:[0,1]
	buffer_store_dword v3, off, s[0:3], 0 offset:276
	buffer_store_dword v2, off, s[0:3], 0 offset:272
	s_and_saveexec_b64 s[4:5], vcc
	s_cbranch_execz .LBB115_259
; %bb.258:
	buffer_load_dword v2, off, s[0:3], 0 offset:264
	buffer_load_dword v3, off, s[0:3], 0 offset:268
	s_waitcnt vmcnt(0)
	ds_write_b64 v129, v[2:3]
	buffer_store_dword v1, off, s[0:3], 0 offset:264
	buffer_store_dword v1, off, s[0:3], 0 offset:268
.LBB115_259:
	s_or_b64 exec, exec, s[4:5]
	s_waitcnt lgkmcnt(0)
	; wave barrier
	s_waitcnt lgkmcnt(0)
	buffer_load_dword v44, off, s[0:3], 0 offset:276
	buffer_load_dword v46, off, s[0:3], 0 offset:284
	;; [unrolled: 1-line block ×22, first 2 shown]
	ds_read_b128 v[2:5], v1 offset:688
	ds_read_b128 v[6:9], v1 offset:704
	buffer_load_dword v29, off, s[0:3], 0 offset:356
	buffer_load_dword v28, off, s[0:3], 0 offset:352
	buffer_load_dword v31, off, s[0:3], 0 offset:364
	buffer_load_dword v33, off, s[0:3], 0 offset:388
	buffer_load_dword v32, off, s[0:3], 0 offset:384
	buffer_load_dword v35, off, s[0:3], 0 offset:380
	buffer_load_dword v34, off, s[0:3], 0 offset:376
	buffer_load_dword v37, off, s[0:3], 0 offset:372
	buffer_load_dword v36, off, s[0:3], 0 offset:368
	buffer_load_dword v30, off, s[0:3], 0 offset:360
	ds_read_b128 v[10:13], v1 offset:720
	ds_read_b128 v[14:17], v1 offset:736
	ds_read_b128 v[18:21], v1 offset:752
	ds_read_b128 v[22:25], v1 offset:768
	buffer_load_dword v39, off, s[0:3], 0 offset:412
	buffer_load_dword v38, off, s[0:3], 0 offset:408
	;; [unrolled: 1-line block ×6, first 2 shown]
	v_cmp_lt_u32_e32 vcc, 32, v0
	s_waitcnt vmcnt(37) lgkmcnt(5)
	v_mul_f32_e32 v66, v2, v44
	s_waitcnt vmcnt(36)
	v_mul_f32_e32 v67, v4, v46
	s_waitcnt vmcnt(35) lgkmcnt(4)
	v_mul_f32_e32 v68, v6, v48
	v_mul_f32_e32 v44, v3, v44
	;; [unrolled: 1-line block ×4, first 2 shown]
	s_waitcnt vmcnt(34)
	v_mul_f32_e32 v69, v8, v49
	s_waitcnt vmcnt(33) lgkmcnt(3)
	v_mul_f32_e32 v70, v10, v50
	s_waitcnt vmcnt(32)
	v_mul_f32_e32 v71, v12, v51
	s_waitcnt vmcnt(31) lgkmcnt(2)
	v_mul_f32_e32 v72, v14, v52
	s_waitcnt vmcnt(27)
	v_fmac_f32_e32 v66, v3, v56
	s_waitcnt vmcnt(26)
	v_fmac_f32_e32 v67, v5, v57
	s_waitcnt vmcnt(25)
	v_fmac_f32_e32 v68, v7, v58
	v_fma_f32 v2, v2, v56, -v44
	v_add_f32_e32 v7, 0, v66
	v_fma_f32 v3, v4, v57, -v46
	v_add_f32_e32 v2, 0, v2
	v_add_f32_e32 v7, v7, v67
	s_waitcnt vmcnt(24)
	v_fmac_f32_e32 v69, v9, v59
	v_add_f32_e32 v2, v2, v3
	v_add_f32_e32 v3, v7, v68
	s_waitcnt vmcnt(23)
	v_fmac_f32_e32 v70, v11, v60
	v_add_f32_e32 v3, v3, v69
	v_mul_f32_e32 v49, v9, v49
	s_waitcnt vmcnt(22)
	v_fmac_f32_e32 v71, v13, v61
	v_fma_f32 v4, v6, v58, -v48
	v_add_f32_e32 v3, v3, v70
	v_mul_f32_e32 v73, v16, v53
	v_mul_f32_e32 v50, v11, v50
	s_waitcnt vmcnt(21)
	v_fmac_f32_e32 v72, v15, v62
	v_fma_f32 v5, v8, v59, -v49
	v_add_f32_e32 v2, v2, v4
	v_add_f32_e32 v3, v3, v71
	v_mul_f32_e32 v51, v13, v51
	s_waitcnt vmcnt(20)
	v_fmac_f32_e32 v73, v17, v63
	v_fma_f32 v6, v10, v60, -v50
	v_add_f32_e32 v2, v2, v5
	v_add_f32_e32 v3, v3, v72
	;; [unrolled: 1-line block ×4, first 2 shown]
	v_fma_f32 v3, v12, v61, -v51
	v_add_f32_e32 v2, v2, v3
	v_mul_f32_e32 v3, v15, v52
	v_fma_f32 v3, v14, v62, -v3
	v_add_f32_e32 v2, v2, v3
	v_mul_f32_e32 v3, v17, v53
	v_fma_f32 v3, v16, v63, -v3
	s_waitcnt vmcnt(15)
	v_mov_b32_e32 v16, v29
	s_waitcnt lgkmcnt(1)
	v_mul_f32_e32 v45, v18, v54
	v_add_f32_e32 v48, v2, v3
	v_mul_f32_e32 v2, v19, v54
	s_waitcnt lgkmcnt(0)
	v_pk_mul_f32 v[16:17], v[22:23], v[16:17] op_sel_hi:[1,0]
	v_mul_f32_e32 v47, v20, v55
	v_fmac_f32_e32 v45, v19, v64
	v_fma_f32 v44, v18, v64, -v2
	v_mul_f32_e32 v2, v21, v55
	s_waitcnt vmcnt(14)
	v_pk_fma_f32 v[18:19], v[22:23], v[28:29], v[16:17] op_sel:[0,0,1] op_sel_hi:[1,1,0] neg_lo:[0,0,1] neg_hi:[0,0,1]
	v_pk_fma_f32 v[16:17], v[22:23], v[28:29], v[16:17] op_sel:[0,0,1] op_sel_hi:[1,0,0]
	v_fmac_f32_e32 v47, v21, v65
	v_fma_f32 v46, v20, v65, -v2
	v_pk_add_f32 v[14:15], v[48:49], v[44:45]
	s_waitcnt vmcnt(13)
	v_mov_b32_e32 v16, v31
	ds_read_b128 v[2:5], v1 offset:784
	ds_read_b128 v[6:9], v1 offset:800
	;; [unrolled: 1-line block ×3, first 2 shown]
	v_pk_add_f32 v[14:15], v[14:15], v[46:47]
	v_mov_b32_e32 v19, v17
	v_pk_mul_f32 v[16:17], v[24:25], v[16:17] op_sel_hi:[1,0]
	v_pk_add_f32 v[14:15], v[14:15], v[18:19]
	s_waitcnt vmcnt(6)
	v_pk_fma_f32 v[18:19], v[24:25], v[30:31], v[16:17] op_sel:[0,0,1] op_sel_hi:[1,1,0] neg_lo:[0,0,1] neg_hi:[0,0,1]
	v_pk_fma_f32 v[16:17], v[24:25], v[30:31], v[16:17] op_sel:[0,0,1] op_sel_hi:[1,0,0]
	v_mov_b32_e32 v16, v37
	v_mov_b32_e32 v19, v17
	s_waitcnt lgkmcnt(2)
	v_pk_mul_f32 v[16:17], v[2:3], v[16:17] op_sel_hi:[1,0]
	v_pk_add_f32 v[14:15], v[14:15], v[18:19]
	v_pk_fma_f32 v[18:19], v[2:3], v[36:37], v[16:17] op_sel:[0,0,1] op_sel_hi:[1,1,0] neg_lo:[0,0,1] neg_hi:[0,0,1]
	v_pk_fma_f32 v[2:3], v[2:3], v[36:37], v[16:17] op_sel:[0,0,1] op_sel_hi:[1,0,0]
	v_mov_b32_e32 v19, v3
	v_pk_add_f32 v[2:3], v[14:15], v[18:19]
	v_mov_b32_e32 v14, v35
	v_pk_mul_f32 v[14:15], v[4:5], v[14:15] op_sel_hi:[1,0]
	v_pk_fma_f32 v[16:17], v[4:5], v[34:35], v[14:15] op_sel:[0,0,1] op_sel_hi:[1,1,0] neg_lo:[0,0,1] neg_hi:[0,0,1]
	v_pk_fma_f32 v[4:5], v[4:5], v[34:35], v[14:15] op_sel:[0,0,1] op_sel_hi:[1,0,0]
	v_mov_b32_e32 v4, v33
	v_mov_b32_e32 v17, v5
	s_waitcnt lgkmcnt(1)
	v_pk_mul_f32 v[4:5], v[6:7], v[4:5] op_sel_hi:[1,0]
	v_pk_fma_f32 v[14:15], v[6:7], v[32:33], v[4:5] op_sel:[0,0,1] op_sel_hi:[1,1,0] neg_lo:[0,0,1] neg_hi:[0,0,1]
	v_pk_fma_f32 v[4:5], v[6:7], v[32:33], v[4:5] op_sel:[0,0,1] op_sel_hi:[1,0,0]
	s_waitcnt vmcnt(1)
	v_mov_b32_e32 v4, v43
	v_mov_b32_e32 v15, v5
	v_pk_mul_f32 v[4:5], v[8:9], v[4:5] op_sel_hi:[1,0]
	s_waitcnt vmcnt(0)
	v_pk_fma_f32 v[6:7], v[8:9], v[42:43], v[4:5] op_sel:[0,0,1] op_sel_hi:[1,1,0] neg_lo:[0,0,1] neg_hi:[0,0,1]
	v_pk_fma_f32 v[4:5], v[8:9], v[42:43], v[4:5] op_sel:[0,0,1] op_sel_hi:[1,0,0]
	v_pk_add_f32 v[2:3], v[2:3], v[16:17]
	v_mov_b32_e32 v4, v41
	v_pk_add_f32 v[2:3], v[2:3], v[14:15]
	v_mov_b32_e32 v7, v5
	s_waitcnt lgkmcnt(0)
	v_pk_mul_f32 v[4:5], v[10:11], v[4:5] op_sel_hi:[1,0]
	v_pk_add_f32 v[2:3], v[2:3], v[6:7]
	v_pk_fma_f32 v[6:7], v[10:11], v[40:41], v[4:5] op_sel:[0,0,1] op_sel_hi:[1,1,0] neg_lo:[0,0,1] neg_hi:[0,0,1]
	v_pk_fma_f32 v[4:5], v[10:11], v[40:41], v[4:5] op_sel:[0,0,1] op_sel_hi:[1,0,0]
	v_mov_b32_e32 v4, v39
	v_mov_b32_e32 v7, v5
	v_pk_mul_f32 v[4:5], v[12:13], v[4:5] op_sel_hi:[1,0]
	v_pk_add_f32 v[2:3], v[2:3], v[6:7]
	v_pk_fma_f32 v[6:7], v[12:13], v[38:39], v[4:5] op_sel:[0,0,1] op_sel_hi:[1,1,0] neg_lo:[0,0,1] neg_hi:[0,0,1]
	v_pk_fma_f32 v[4:5], v[12:13], v[38:39], v[4:5] op_sel:[0,0,1] op_sel_hi:[1,0,0]
	v_mov_b32_e32 v7, v5
	v_pk_add_f32 v[2:3], v[2:3], v[6:7]
	v_pk_add_f32 v[2:3], v[26:27], v[2:3] neg_lo:[0,1] neg_hi:[0,1]
	buffer_store_dword v3, off, s[0:3], 0 offset:268
	buffer_store_dword v2, off, s[0:3], 0 offset:264
	s_and_saveexec_b64 s[4:5], vcc
	s_cbranch_execz .LBB115_261
; %bb.260:
	buffer_load_dword v2, off, s[0:3], 0 offset:256
	buffer_load_dword v3, off, s[0:3], 0 offset:260
	v_mov_b32_e32 v1, 0
	buffer_store_dword v1, off, s[0:3], 0 offset:256
	buffer_store_dword v1, off, s[0:3], 0 offset:260
	s_waitcnt vmcnt(2)
	ds_write_b64 v129, v[2:3]
.LBB115_261:
	s_or_b64 exec, exec, s[4:5]
	s_waitcnt lgkmcnt(0)
	; wave barrier
	s_waitcnt lgkmcnt(0)
	buffer_load_dword v44, off, s[0:3], 0 offset:268
	buffer_load_dword v46, off, s[0:3], 0 offset:276
	;; [unrolled: 1-line block ×40, first 2 shown]
	v_mov_b32_e32 v1, 0
	ds_read2_b64 v[2:5], v1 offset0:85 offset1:86
	ds_read2_b64 v[6:9], v1 offset0:87 offset1:88
	;; [unrolled: 1-line block ×6, first 2 shown]
	v_cmp_lt_u32_e32 vcc, 31, v0
	s_waitcnt vmcnt(39) lgkmcnt(5)
	v_mul_f32_e32 v68, v2, v44
	s_waitcnt vmcnt(38)
	v_mul_f32_e32 v69, v4, v46
	s_waitcnt vmcnt(37) lgkmcnt(4)
	v_mul_f32_e32 v70, v6, v48
	v_mul_f32_e32 v44, v3, v44
	;; [unrolled: 1-line block ×4, first 2 shown]
	s_waitcnt vmcnt(36)
	v_mul_f32_e32 v71, v8, v49
	s_waitcnt vmcnt(35) lgkmcnt(3)
	v_mul_f32_e32 v72, v10, v50
	s_waitcnt vmcnt(34)
	v_mul_f32_e32 v73, v12, v51
	s_waitcnt vmcnt(33) lgkmcnt(2)
	v_mul_f32_e32 v74, v14, v52
	s_waitcnt vmcnt(32)
	v_mul_f32_e32 v75, v16, v53
	s_waitcnt vmcnt(28)
	v_fmac_f32_e32 v68, v3, v57
	s_waitcnt vmcnt(27)
	v_fmac_f32_e32 v69, v5, v58
	v_fma_f32 v2, v2, v57, -v44
	v_fma_f32 v3, v4, v58, -v46
	s_waitcnt vmcnt(26)
	v_fma_f32 v4, v6, v59, -v48
	v_add_f32_e32 v6, 0, v68
	v_fmac_f32_e32 v70, v7, v59
	v_add_f32_e32 v2, 0, v2
	v_add_f32_e32 v6, v6, v69
	s_waitcnt vmcnt(25)
	v_fmac_f32_e32 v71, v9, v60
	v_add_f32_e32 v2, v2, v3
	v_add_f32_e32 v3, v6, v70
	s_waitcnt vmcnt(24)
	v_fmac_f32_e32 v72, v11, v61
	v_add_f32_e32 v3, v3, v71
	s_waitcnt vmcnt(23)
	v_fmac_f32_e32 v73, v13, v62
	;; [unrolled: 3-line block ×3, first 2 shown]
	v_add_f32_e32 v3, v3, v73
	s_waitcnt lgkmcnt(1)
	v_mul_f32_e32 v76, v18, v54
	s_waitcnt vmcnt(21)
	v_fmac_f32_e32 v75, v17, v64
	v_add_f32_e32 v3, v3, v74
	v_mul_f32_e32 v49, v9, v49
	s_waitcnt vmcnt(20)
	v_fmac_f32_e32 v76, v19, v65
	v_add_f32_e32 v3, v3, v75
	v_fma_f32 v5, v8, v60, -v49
	v_add_f32_e32 v2, v2, v4
	v_add_f32_e32 v49, v3, v76
	v_mul_f32_e32 v3, v11, v50
	v_add_f32_e32 v2, v2, v5
	v_fma_f32 v3, v10, v61, -v3
	v_add_f32_e32 v2, v2, v3
	v_mul_f32_e32 v3, v13, v51
	v_fma_f32 v3, v12, v62, -v3
	v_add_f32_e32 v2, v2, v3
	v_mul_f32_e32 v3, v15, v52
	;; [unrolled: 3-line block ×5, first 2 shown]
	s_waitcnt vmcnt(9)
	v_mov_b32_e32 v18, v35
	v_mul_f32_e32 v45, v20, v55
	v_fma_f32 v44, v20, v66, -v2
	s_waitcnt lgkmcnt(0)
	v_mul_f32_e32 v2, v23, v56
	v_pk_mul_f32 v[18:19], v[24:25], v[18:19] op_sel_hi:[1,0]
	v_mul_f32_e32 v47, v22, v56
	v_fmac_f32_e32 v45, v21, v66
	v_fma_f32 v46, v22, v67, -v2
	ds_read2_b64 v[2:5], v1 offset0:97 offset1:98
	ds_read2_b64 v[6:9], v1 offset0:99 offset1:100
	;; [unrolled: 1-line block ×3, first 2 shown]
	ds_read_b64 v[14:15], v1 offset:824
	s_waitcnt vmcnt(8)
	v_pk_fma_f32 v[20:21], v[24:25], v[34:35], v[18:19] op_sel:[0,0,1] op_sel_hi:[1,1,0] neg_lo:[0,0,1] neg_hi:[0,0,1]
	v_pk_fma_f32 v[18:19], v[24:25], v[34:35], v[18:19] op_sel:[0,0,1] op_sel_hi:[1,0,0]
	v_fmac_f32_e32 v47, v23, v67
	v_pk_add_f32 v[16:17], v[48:49], v[44:45]
	v_mov_b32_e32 v18, v33
	v_pk_add_f32 v[16:17], v[16:17], v[46:47]
	v_mov_b32_e32 v21, v19
	s_waitcnt lgkmcnt(3)
	v_pk_mul_f32 v[18:19], v[2:3], v[18:19] op_sel_hi:[1,0]
	v_pk_add_f32 v[16:17], v[16:17], v[20:21]
	v_pk_fma_f32 v[20:21], v[2:3], v[32:33], v[18:19] op_sel:[0,0,1] op_sel_hi:[1,1,0] neg_lo:[0,0,1] neg_hi:[0,0,1]
	v_pk_fma_f32 v[2:3], v[2:3], v[32:33], v[18:19] op_sel:[0,0,1] op_sel_hi:[1,0,0]
	v_mov_b32_e32 v21, v3
	v_pk_add_f32 v[2:3], v[16:17], v[20:21]
	v_mov_b32_e32 v16, v31
	v_pk_mul_f32 v[16:17], v[4:5], v[16:17] op_sel_hi:[1,0]
	v_pk_fma_f32 v[18:19], v[4:5], v[30:31], v[16:17] op_sel:[0,0,1] op_sel_hi:[1,1,0] neg_lo:[0,0,1] neg_hi:[0,0,1]
	v_pk_fma_f32 v[4:5], v[4:5], v[30:31], v[16:17] op_sel:[0,0,1] op_sel_hi:[1,0,0]
	v_mov_b32_e32 v4, v29
	v_mov_b32_e32 v19, v5
	s_waitcnt lgkmcnt(2)
	v_pk_mul_f32 v[4:5], v[6:7], v[4:5] op_sel_hi:[1,0]
	v_pk_fma_f32 v[16:17], v[6:7], v[28:29], v[4:5] op_sel:[0,0,1] op_sel_hi:[1,1,0] neg_lo:[0,0,1] neg_hi:[0,0,1]
	v_pk_fma_f32 v[4:5], v[6:7], v[28:29], v[4:5] op_sel:[0,0,1] op_sel_hi:[1,0,0]
	s_waitcnt vmcnt(1)
	v_mov_b32_e32 v4, v43
	v_mov_b32_e32 v17, v5
	v_pk_mul_f32 v[4:5], v[8:9], v[4:5] op_sel_hi:[1,0]
	s_waitcnt vmcnt(0)
	v_pk_fma_f32 v[6:7], v[8:9], v[42:43], v[4:5] op_sel:[0,0,1] op_sel_hi:[1,1,0] neg_lo:[0,0,1] neg_hi:[0,0,1]
	v_pk_fma_f32 v[4:5], v[8:9], v[42:43], v[4:5] op_sel:[0,0,1] op_sel_hi:[1,0,0]
	v_pk_add_f32 v[2:3], v[2:3], v[18:19]
	v_mov_b32_e32 v4, v41
	v_pk_add_f32 v[2:3], v[2:3], v[16:17]
	v_mov_b32_e32 v7, v5
	s_waitcnt lgkmcnt(1)
	v_pk_mul_f32 v[4:5], v[10:11], v[4:5] op_sel_hi:[1,0]
	v_pk_add_f32 v[2:3], v[2:3], v[6:7]
	v_pk_fma_f32 v[6:7], v[10:11], v[40:41], v[4:5] op_sel:[0,0,1] op_sel_hi:[1,1,0] neg_lo:[0,0,1] neg_hi:[0,0,1]
	v_pk_fma_f32 v[4:5], v[10:11], v[40:41], v[4:5] op_sel:[0,0,1] op_sel_hi:[1,0,0]
	v_mov_b32_e32 v4, v39
	v_mov_b32_e32 v7, v5
	v_pk_mul_f32 v[4:5], v[12:13], v[4:5] op_sel_hi:[1,0]
	v_pk_add_f32 v[2:3], v[2:3], v[6:7]
	v_pk_fma_f32 v[6:7], v[12:13], v[38:39], v[4:5] op_sel:[0,0,1] op_sel_hi:[1,1,0] neg_lo:[0,0,1] neg_hi:[0,0,1]
	v_pk_fma_f32 v[4:5], v[12:13], v[38:39], v[4:5] op_sel:[0,0,1] op_sel_hi:[1,0,0]
	v_mov_b32_e32 v4, v37
	v_mov_b32_e32 v7, v5
	s_waitcnt lgkmcnt(0)
	v_pk_mul_f32 v[4:5], v[14:15], v[4:5] op_sel_hi:[1,0]
	v_pk_add_f32 v[2:3], v[2:3], v[6:7]
	v_pk_fma_f32 v[6:7], v[14:15], v[36:37], v[4:5] op_sel:[0,0,1] op_sel_hi:[1,1,0] neg_lo:[0,0,1] neg_hi:[0,0,1]
	v_pk_fma_f32 v[4:5], v[14:15], v[36:37], v[4:5] op_sel:[0,0,1] op_sel_hi:[1,0,0]
	v_mov_b32_e32 v7, v5
	v_pk_add_f32 v[2:3], v[2:3], v[6:7]
	v_pk_add_f32 v[2:3], v[26:27], v[2:3] neg_lo:[0,1] neg_hi:[0,1]
	buffer_store_dword v3, off, s[0:3], 0 offset:260
	buffer_store_dword v2, off, s[0:3], 0 offset:256
	s_and_saveexec_b64 s[4:5], vcc
	s_cbranch_execz .LBB115_263
; %bb.262:
	buffer_load_dword v2, off, s[0:3], 0 offset:248
	buffer_load_dword v3, off, s[0:3], 0 offset:252
	s_waitcnt vmcnt(0)
	ds_write_b64 v129, v[2:3]
	buffer_store_dword v1, off, s[0:3], 0 offset:248
	buffer_store_dword v1, off, s[0:3], 0 offset:252
.LBB115_263:
	s_or_b64 exec, exec, s[4:5]
	s_waitcnt lgkmcnt(0)
	; wave barrier
	s_waitcnt lgkmcnt(0)
	buffer_load_dword v44, off, s[0:3], 0 offset:260
	buffer_load_dword v46, off, s[0:3], 0 offset:268
	;; [unrolled: 1-line block ×26, first 2 shown]
	ds_read_b128 v[2:5], v1 offset:672
	ds_read_b128 v[6:9], v1 offset:688
	;; [unrolled: 1-line block ×6, first 2 shown]
	buffer_load_dword v29, off, s[0:3], 0 offset:372
	buffer_load_dword v28, off, s[0:3], 0 offset:368
	;; [unrolled: 1-line block ×16, first 2 shown]
	v_cmp_lt_u32_e32 vcc, 30, v0
	s_waitcnt vmcnt(41) lgkmcnt(5)
	v_mul_f32_e32 v70, v2, v44
	s_waitcnt vmcnt(40)
	v_mul_f32_e32 v71, v4, v46
	v_mul_f32_e32 v44, v3, v44
	s_waitcnt vmcnt(39) lgkmcnt(4)
	v_mul_f32_e32 v72, v6, v48
	v_mul_f32_e32 v46, v5, v46
	s_waitcnt vmcnt(38)
	v_mul_f32_e32 v73, v8, v50
	s_waitcnt vmcnt(37) lgkmcnt(3)
	v_mul_f32_e32 v74, v10, v51
	s_waitcnt vmcnt(36)
	v_mul_f32_e32 v75, v12, v52
	s_waitcnt vmcnt(35) lgkmcnt(2)
	;; [unrolled: 4-line block ×3, first 2 shown]
	v_mul_f32_e32 v78, v18, v55
	s_waitcnt vmcnt(32)
	v_mul_f32_e32 v79, v20, v56
	s_waitcnt vmcnt(29)
	v_fmac_f32_e32 v70, v3, v49
	s_waitcnt vmcnt(28)
	v_fmac_f32_e32 v71, v5, v59
	v_fma_f32 v2, v2, v49, -v44
	v_add_f32_e32 v5, 0, v70
	s_waitcnt vmcnt(27)
	v_fmac_f32_e32 v72, v7, v60
	v_fma_f32 v3, v4, v59, -v46
	v_add_f32_e32 v2, 0, v2
	v_add_f32_e32 v5, v5, v71
	s_waitcnt vmcnt(26)
	v_fmac_f32_e32 v73, v9, v61
	v_add_f32_e32 v2, v2, v3
	v_add_f32_e32 v3, v5, v72
	s_waitcnt vmcnt(25)
	v_fmac_f32_e32 v74, v11, v62
	v_add_f32_e32 v3, v3, v73
	s_waitcnt vmcnt(24)
	v_fmac_f32_e32 v75, v13, v63
	;; [unrolled: 3-line block ×5, first 2 shown]
	v_add_f32_e32 v3, v3, v77
	v_mul_f32_e32 v48, v7, v48
	s_waitcnt vmcnt(20)
	v_fmac_f32_e32 v79, v21, v67
	v_add_f32_e32 v3, v3, v78
	v_fma_f32 v4, v6, v60, -v48
	v_add_f32_e32 v49, v3, v79
	v_mul_f32_e32 v3, v9, v50
	v_add_f32_e32 v2, v2, v4
	v_fma_f32 v3, v8, v61, -v3
	v_add_f32_e32 v2, v2, v3
	v_mul_f32_e32 v3, v11, v51
	v_fma_f32 v3, v10, v62, -v3
	v_add_f32_e32 v2, v2, v3
	v_mul_f32_e32 v3, v13, v52
	;; [unrolled: 3-line block ×6, first 2 shown]
	v_fma_f32 v3, v20, v67, -v3
	v_add_f32_e32 v48, v2, v3
	s_waitcnt lgkmcnt(0)
	v_mul_f32_e32 v2, v23, v57
	s_waitcnt vmcnt(19)
	v_fma_f32 v44, v22, v68, -v2
	v_mul_f32_e32 v2, v25, v58
	s_waitcnt vmcnt(18)
	v_fma_f32 v46, v24, v69, -v2
	ds_read_b128 v[2:5], v1 offset:768
	ds_read_b128 v[6:9], v1 offset:784
	;; [unrolled: 1-line block ×4, first 2 shown]
	v_mul_f32_e32 v45, v22, v57
	s_waitcnt vmcnt(11)
	v_mov_b32_e32 v20, v33
	v_mul_f32_e32 v47, v24, v58
	v_fmac_f32_e32 v45, v23, v68
	s_waitcnt lgkmcnt(3)
	v_pk_mul_f32 v[20:21], v[2:3], v[20:21] op_sel_hi:[1,0]
	v_fmac_f32_e32 v47, v25, v69
	v_pk_add_f32 v[18:19], v[48:49], v[44:45]
	s_waitcnt vmcnt(10)
	v_pk_fma_f32 v[22:23], v[2:3], v[32:33], v[20:21] op_sel:[0,0,1] op_sel_hi:[1,1,0] neg_lo:[0,0,1] neg_hi:[0,0,1]
	v_pk_fma_f32 v[2:3], v[2:3], v[32:33], v[20:21] op_sel:[0,0,1] op_sel_hi:[1,0,0]
	v_pk_add_f32 v[18:19], v[18:19], v[46:47]
	v_mov_b32_e32 v23, v3
	v_pk_add_f32 v[2:3], v[18:19], v[22:23]
	v_mov_b32_e32 v18, v31
	v_pk_mul_f32 v[18:19], v[4:5], v[18:19] op_sel_hi:[1,0]
	v_pk_fma_f32 v[20:21], v[4:5], v[30:31], v[18:19] op_sel:[0,0,1] op_sel_hi:[1,1,0] neg_lo:[0,0,1] neg_hi:[0,0,1]
	v_pk_fma_f32 v[4:5], v[4:5], v[30:31], v[18:19] op_sel:[0,0,1] op_sel_hi:[1,0,0]
	v_mov_b32_e32 v4, v29
	v_mov_b32_e32 v21, v5
	s_waitcnt lgkmcnt(2)
	v_pk_mul_f32 v[4:5], v[6:7], v[4:5] op_sel_hi:[1,0]
	v_pk_fma_f32 v[18:19], v[6:7], v[28:29], v[4:5] op_sel:[0,0,1] op_sel_hi:[1,1,0] neg_lo:[0,0,1] neg_hi:[0,0,1]
	v_pk_fma_f32 v[4:5], v[6:7], v[28:29], v[4:5] op_sel:[0,0,1] op_sel_hi:[1,0,0]
	s_waitcnt vmcnt(3)
	v_mov_b32_e32 v4, v41
	v_mov_b32_e32 v19, v5
	v_pk_mul_f32 v[4:5], v[8:9], v[4:5] op_sel_hi:[1,0]
	s_waitcnt vmcnt(2)
	v_pk_fma_f32 v[6:7], v[8:9], v[40:41], v[4:5] op_sel:[0,0,1] op_sel_hi:[1,1,0] neg_lo:[0,0,1] neg_hi:[0,0,1]
	v_pk_fma_f32 v[4:5], v[8:9], v[40:41], v[4:5] op_sel:[0,0,1] op_sel_hi:[1,0,0]
	v_pk_add_f32 v[2:3], v[2:3], v[20:21]
	v_mov_b32_e32 v4, v39
	v_pk_add_f32 v[2:3], v[2:3], v[18:19]
	v_mov_b32_e32 v7, v5
	s_waitcnt lgkmcnt(1)
	v_pk_mul_f32 v[4:5], v[10:11], v[4:5] op_sel_hi:[1,0]
	v_pk_add_f32 v[2:3], v[2:3], v[6:7]
	v_pk_fma_f32 v[6:7], v[10:11], v[38:39], v[4:5] op_sel:[0,0,1] op_sel_hi:[1,1,0] neg_lo:[0,0,1] neg_hi:[0,0,1]
	v_pk_fma_f32 v[4:5], v[10:11], v[38:39], v[4:5] op_sel:[0,0,1] op_sel_hi:[1,0,0]
	v_mov_b32_e32 v4, v37
	v_mov_b32_e32 v7, v5
	v_pk_mul_f32 v[4:5], v[12:13], v[4:5] op_sel_hi:[1,0]
	v_pk_add_f32 v[2:3], v[2:3], v[6:7]
	v_pk_fma_f32 v[6:7], v[12:13], v[36:37], v[4:5] op_sel:[0,0,1] op_sel_hi:[1,1,0] neg_lo:[0,0,1] neg_hi:[0,0,1]
	v_pk_fma_f32 v[4:5], v[12:13], v[36:37], v[4:5] op_sel:[0,0,1] op_sel_hi:[1,0,0]
	v_mov_b32_e32 v4, v35
	v_mov_b32_e32 v7, v5
	s_waitcnt lgkmcnt(0)
	v_pk_mul_f32 v[4:5], v[14:15], v[4:5] op_sel_hi:[1,0]
	v_pk_add_f32 v[2:3], v[2:3], v[6:7]
	v_pk_fma_f32 v[6:7], v[14:15], v[34:35], v[4:5] op_sel:[0,0,1] op_sel_hi:[1,1,0] neg_lo:[0,0,1] neg_hi:[0,0,1]
	v_pk_fma_f32 v[4:5], v[14:15], v[34:35], v[4:5] op_sel:[0,0,1] op_sel_hi:[1,0,0]
	s_waitcnt vmcnt(1)
	v_mov_b32_e32 v4, v43
	v_mov_b32_e32 v7, v5
	v_pk_mul_f32 v[4:5], v[16:17], v[4:5] op_sel_hi:[1,0]
	v_pk_add_f32 v[2:3], v[2:3], v[6:7]
	s_waitcnt vmcnt(0)
	v_pk_fma_f32 v[6:7], v[16:17], v[42:43], v[4:5] op_sel:[0,0,1] op_sel_hi:[1,1,0] neg_lo:[0,0,1] neg_hi:[0,0,1]
	v_pk_fma_f32 v[4:5], v[16:17], v[42:43], v[4:5] op_sel:[0,0,1] op_sel_hi:[1,0,0]
	v_mov_b32_e32 v7, v5
	v_pk_add_f32 v[2:3], v[2:3], v[6:7]
	v_pk_add_f32 v[2:3], v[26:27], v[2:3] neg_lo:[0,1] neg_hi:[0,1]
	buffer_store_dword v3, off, s[0:3], 0 offset:252
	buffer_store_dword v2, off, s[0:3], 0 offset:248
	s_and_saveexec_b64 s[4:5], vcc
	s_cbranch_execz .LBB115_265
; %bb.264:
	buffer_load_dword v2, off, s[0:3], 0 offset:240
	buffer_load_dword v3, off, s[0:3], 0 offset:244
	v_mov_b32_e32 v1, 0
	buffer_store_dword v1, off, s[0:3], 0 offset:240
	buffer_store_dword v1, off, s[0:3], 0 offset:244
	s_waitcnt vmcnt(2)
	ds_write_b64 v129, v[2:3]
.LBB115_265:
	s_or_b64 exec, exec, s[4:5]
	s_waitcnt lgkmcnt(0)
	; wave barrier
	s_waitcnt lgkmcnt(0)
	buffer_load_dword v52, off, s[0:3], 0 offset:252
	buffer_load_dword v54, off, s[0:3], 0 offset:260
	buffer_load_dword v56, off, s[0:3], 0 offset:268
	buffer_load_dword v58, off, s[0:3], 0 offset:276
	buffer_load_dword v59, off, s[0:3], 0 offset:284
	buffer_load_dword v60, off, s[0:3], 0 offset:292
	buffer_load_dword v61, off, s[0:3], 0 offset:300
	buffer_load_dword v62, off, s[0:3], 0 offset:308
	buffer_load_dword v63, off, s[0:3], 0 offset:316
	buffer_load_dword v64, off, s[0:3], 0 offset:324
	buffer_load_dword v65, off, s[0:3], 0 offset:332
	buffer_load_dword v66, off, s[0:3], 0 offset:340
	buffer_load_dword v67, off, s[0:3], 0 offset:348
	buffer_load_dword v68, off, s[0:3], 0 offset:248
	buffer_load_dword v69, off, s[0:3], 0 offset:256
	buffer_load_dword v70, off, s[0:3], 0 offset:264
	buffer_load_dword v71, off, s[0:3], 0 offset:272
	buffer_load_dword v72, off, s[0:3], 0 offset:280
	buffer_load_dword v73, off, s[0:3], 0 offset:288
	buffer_load_dword v74, off, s[0:3], 0 offset:296
	buffer_load_dword v75, off, s[0:3], 0 offset:304
	buffer_load_dword v76, off, s[0:3], 0 offset:312
	buffer_load_dword v77, off, s[0:3], 0 offset:320
	buffer_load_dword v78, off, s[0:3], 0 offset:328
	buffer_load_dword v79, off, s[0:3], 0 offset:336
	buffer_load_dword v80, off, s[0:3], 0 offset:344
	buffer_load_dword v34, off, s[0:3], 0 offset:240
	buffer_load_dword v35, off, s[0:3], 0 offset:244
	buffer_load_dword v37, off, s[0:3], 0 offset:364
	buffer_load_dword v36, off, s[0:3], 0 offset:360
	buffer_load_dword v39, off, s[0:3], 0 offset:356
	buffer_load_dword v38, off, s[0:3], 0 offset:352
	buffer_load_dword v41, off, s[0:3], 0 offset:396
	buffer_load_dword v40, off, s[0:3], 0 offset:392
	buffer_load_dword v43, off, s[0:3], 0 offset:388
	buffer_load_dword v42, off, s[0:3], 0 offset:384
	buffer_load_dword v45, off, s[0:3], 0 offset:380
	buffer_load_dword v44, off, s[0:3], 0 offset:376
	buffer_load_dword v47, off, s[0:3], 0 offset:372
	buffer_load_dword v46, off, s[0:3], 0 offset:368
	buffer_load_dword v49, off, s[0:3], 0 offset:412
	buffer_load_dword v48, off, s[0:3], 0 offset:408
	buffer_load_dword v51, off, s[0:3], 0 offset:404
	buffer_load_dword v50, off, s[0:3], 0 offset:400
	v_mov_b32_e32 v1, 0
	ds_read2_b64 v[2:5], v1 offset0:83 offset1:84
	ds_read2_b64 v[6:9], v1 offset0:85 offset1:86
	;; [unrolled: 1-line block ×8, first 2 shown]
	v_cmp_lt_u32_e32 vcc, 29, v0
	s_waitcnt vmcnt(43) lgkmcnt(7)
	v_mul_f32_e32 v57, v2, v52
	s_waitcnt vmcnt(42)
	v_mul_f32_e32 v81, v4, v54
	s_waitcnt vmcnt(41) lgkmcnt(6)
	v_mul_f32_e32 v82, v6, v56
	v_mul_f32_e32 v52, v3, v52
	s_waitcnt vmcnt(40)
	v_mul_f32_e32 v83, v8, v58
	s_waitcnt vmcnt(39) lgkmcnt(5)
	v_mul_f32_e32 v84, v10, v59
	s_waitcnt vmcnt(38)
	v_mul_f32_e32 v85, v12, v60
	s_waitcnt vmcnt(37) lgkmcnt(4)
	;; [unrolled: 4-line block ×4, first 2 shown]
	v_mul_f32_e32 v90, v22, v65
	s_waitcnt vmcnt(32)
	v_mul_f32_e32 v53, v24, v66
	s_waitcnt vmcnt(30)
	v_fmac_f32_e32 v57, v3, v68
	s_waitcnt vmcnt(29)
	v_fmac_f32_e32 v81, v5, v69
	v_add_f32_e32 v3, 0, v57
	s_waitcnt vmcnt(28)
	v_fmac_f32_e32 v82, v7, v70
	v_add_f32_e32 v3, v3, v81
	;; [unrolled: 3-line block ×10, first 2 shown]
	v_add_f32_e32 v57, v3, v90
	v_fma_f32 v2, v2, v68, -v52
	v_mul_f32_e32 v3, v5, v54
	v_add_f32_e32 v2, 0, v2
	v_fma_f32 v3, v4, v69, -v3
	v_add_f32_e32 v2, v2, v3
	v_mul_f32_e32 v3, v7, v56
	v_fma_f32 v3, v6, v70, -v3
	v_add_f32_e32 v2, v2, v3
	v_mul_f32_e32 v3, v9, v58
	;; [unrolled: 3-line block ×9, first 2 shown]
	v_fma_f32 v3, v22, v78, -v3
	s_waitcnt vmcnt(13)
	v_mov_b32_e32 v14, v39
	v_add_f32_e32 v56, v2, v3
	v_mul_f32_e32 v2, v25, v66
	s_waitcnt lgkmcnt(1)
	v_pk_mul_f32 v[14:15], v[28:29], v[14:15] op_sel_hi:[1,0]
	v_mul_f32_e32 v55, v26, v67
	v_fmac_f32_e32 v53, v25, v79
	v_fma_f32 v52, v24, v79, -v2
	v_mul_f32_e32 v2, v27, v67
	s_waitcnt vmcnt(12)
	v_pk_fma_f32 v[16:17], v[28:29], v[38:39], v[14:15] op_sel:[0,0,1] op_sel_hi:[1,1,0] neg_lo:[0,0,1] neg_hi:[0,0,1]
	v_pk_fma_f32 v[14:15], v[28:29], v[38:39], v[14:15] op_sel:[0,0,1] op_sel_hi:[1,0,0]
	v_fmac_f32_e32 v55, v27, v80
	v_fma_f32 v54, v26, v80, -v2
	v_pk_add_f32 v[12:13], v[56:57], v[52:53]
	v_mov_b32_e32 v14, v37
	v_pk_add_f32 v[12:13], v[12:13], v[54:55]
	v_mov_b32_e32 v17, v15
	s_waitcnt lgkmcnt(0)
	v_pk_mul_f32 v[14:15], v[30:31], v[14:15] op_sel_hi:[1,0]
	v_pk_add_f32 v[12:13], v[12:13], v[16:17]
	v_pk_fma_f32 v[16:17], v[30:31], v[36:37], v[14:15] op_sel:[0,0,1] op_sel_hi:[1,1,0] neg_lo:[0,0,1] neg_hi:[0,0,1]
	v_pk_fma_f32 v[14:15], v[30:31], v[36:37], v[14:15] op_sel:[0,0,1] op_sel_hi:[1,0,0]
	s_waitcnt vmcnt(5)
	v_mov_b32_e32 v14, v47
	ds_read2_b64 v[2:5], v1 offset0:99 offset1:100
	ds_read2_b64 v[6:9], v1 offset0:101 offset1:102
	ds_read_b64 v[10:11], v1 offset:824
	v_mov_b32_e32 v17, v15
	v_pk_mul_f32 v[14:15], v[32:33], v[14:15] op_sel_hi:[1,0]
	v_pk_add_f32 v[12:13], v[12:13], v[16:17]
	s_waitcnt vmcnt(4)
	v_pk_fma_f32 v[16:17], v[32:33], v[46:47], v[14:15] op_sel:[0,0,1] op_sel_hi:[1,1,0] neg_lo:[0,0,1] neg_hi:[0,0,1]
	v_pk_fma_f32 v[14:15], v[32:33], v[46:47], v[14:15] op_sel:[0,0,1] op_sel_hi:[1,0,0]
	v_mov_b32_e32 v14, v45
	v_mov_b32_e32 v17, v15
	s_waitcnt lgkmcnt(2)
	v_pk_mul_f32 v[14:15], v[2:3], v[14:15] op_sel_hi:[1,0]
	v_pk_add_f32 v[12:13], v[12:13], v[16:17]
	v_pk_fma_f32 v[16:17], v[2:3], v[44:45], v[14:15] op_sel:[0,0,1] op_sel_hi:[1,1,0] neg_lo:[0,0,1] neg_hi:[0,0,1]
	v_pk_fma_f32 v[2:3], v[2:3], v[44:45], v[14:15] op_sel:[0,0,1] op_sel_hi:[1,0,0]
	v_mov_b32_e32 v17, v3
	v_pk_add_f32 v[2:3], v[12:13], v[16:17]
	v_mov_b32_e32 v12, v43
	v_pk_mul_f32 v[12:13], v[4:5], v[12:13] op_sel_hi:[1,0]
	v_pk_fma_f32 v[14:15], v[4:5], v[42:43], v[12:13] op_sel:[0,0,1] op_sel_hi:[1,1,0] neg_lo:[0,0,1] neg_hi:[0,0,1]
	v_pk_fma_f32 v[4:5], v[4:5], v[42:43], v[12:13] op_sel:[0,0,1] op_sel_hi:[1,0,0]
	v_mov_b32_e32 v4, v41
	v_mov_b32_e32 v15, v5
	s_waitcnt lgkmcnt(1)
	v_pk_mul_f32 v[4:5], v[6:7], v[4:5] op_sel_hi:[1,0]
	v_pk_fma_f32 v[12:13], v[6:7], v[40:41], v[4:5] op_sel:[0,0,1] op_sel_hi:[1,1,0] neg_lo:[0,0,1] neg_hi:[0,0,1]
	v_pk_fma_f32 v[4:5], v[6:7], v[40:41], v[4:5] op_sel:[0,0,1] op_sel_hi:[1,0,0]
	s_waitcnt vmcnt(1)
	v_mov_b32_e32 v4, v51
	v_mov_b32_e32 v13, v5
	v_pk_mul_f32 v[4:5], v[8:9], v[4:5] op_sel_hi:[1,0]
	s_waitcnt vmcnt(0)
	v_pk_fma_f32 v[6:7], v[8:9], v[50:51], v[4:5] op_sel:[0,0,1] op_sel_hi:[1,1,0] neg_lo:[0,0,1] neg_hi:[0,0,1]
	v_pk_fma_f32 v[4:5], v[8:9], v[50:51], v[4:5] op_sel:[0,0,1] op_sel_hi:[1,0,0]
	v_pk_add_f32 v[2:3], v[2:3], v[14:15]
	v_mov_b32_e32 v4, v49
	v_pk_add_f32 v[2:3], v[2:3], v[12:13]
	v_mov_b32_e32 v7, v5
	s_waitcnt lgkmcnt(0)
	v_pk_mul_f32 v[4:5], v[10:11], v[4:5] op_sel_hi:[1,0]
	v_pk_add_f32 v[2:3], v[2:3], v[6:7]
	v_pk_fma_f32 v[6:7], v[10:11], v[48:49], v[4:5] op_sel:[0,0,1] op_sel_hi:[1,1,0] neg_lo:[0,0,1] neg_hi:[0,0,1]
	v_pk_fma_f32 v[4:5], v[10:11], v[48:49], v[4:5] op_sel:[0,0,1] op_sel_hi:[1,0,0]
	v_mov_b32_e32 v7, v5
	v_pk_add_f32 v[2:3], v[2:3], v[6:7]
	v_pk_add_f32 v[2:3], v[34:35], v[2:3] neg_lo:[0,1] neg_hi:[0,1]
	buffer_store_dword v3, off, s[0:3], 0 offset:244
	buffer_store_dword v2, off, s[0:3], 0 offset:240
	s_and_saveexec_b64 s[4:5], vcc
	s_cbranch_execz .LBB115_267
; %bb.266:
	buffer_load_dword v2, off, s[0:3], 0 offset:232
	buffer_load_dword v3, off, s[0:3], 0 offset:236
	s_waitcnt vmcnt(0)
	ds_write_b64 v129, v[2:3]
	buffer_store_dword v1, off, s[0:3], 0 offset:232
	buffer_store_dword v1, off, s[0:3], 0 offset:236
.LBB115_267:
	s_or_b64 exec, exec, s[4:5]
	s_waitcnt lgkmcnt(0)
	; wave barrier
	s_waitcnt lgkmcnt(0)
	buffer_load_dword v52, off, s[0:3], 0 offset:244
	buffer_load_dword v54, off, s[0:3], 0 offset:252
	;; [unrolled: 1-line block ×30, first 2 shown]
	ds_read_b128 v[2:5], v1 offset:656
	ds_read_b128 v[6:9], v1 offset:672
	;; [unrolled: 1-line block ×6, first 2 shown]
	buffer_load_dword v37, off, s[0:3], 0 offset:356
	buffer_load_dword v36, off, s[0:3], 0 offset:352
	ds_read_b128 v[26:29], v1 offset:752
	ds_read_b128 v[30:33], v1 offset:768
	buffer_load_dword v39, off, s[0:3], 0 offset:388
	buffer_load_dword v38, off, s[0:3], 0 offset:384
	;; [unrolled: 1-line block ×14, first 2 shown]
	v_cmp_lt_u32_e32 vcc, 28, v0
	s_waitcnt vmcnt(45) lgkmcnt(7)
	v_mul_f32_e32 v55, v2, v52
	s_waitcnt vmcnt(44)
	v_mul_f32_e32 v57, v4, v54
	s_waitcnt vmcnt(43) lgkmcnt(6)
	v_mul_f32_e32 v83, v6, v56
	s_waitcnt vmcnt(42)
	v_mul_f32_e32 v84, v8, v58
	;; [unrolled: 4-line block ×6, first 2 shown]
	s_waitcnt vmcnt(33) lgkmcnt(1)
	v_mul_f32_e32 v53, v26, v67
	s_waitcnt vmcnt(32)
	v_fmac_f32_e32 v55, v3, v68
	v_mul_f32_e32 v3, v3, v52
	v_fma_f32 v2, v2, v68, -v3
	v_mul_f32_e32 v3, v5, v54
	v_add_f32_e32 v2, 0, v2
	s_waitcnt vmcnt(31)
	v_fma_f32 v3, v4, v69, -v3
	v_add_f32_e32 v2, v2, v3
	v_mul_f32_e32 v3, v7, v56
	s_waitcnt vmcnt(30)
	v_fma_f32 v3, v6, v70, -v3
	v_add_f32_e32 v2, v2, v3
	v_mul_f32_e32 v3, v9, v58
	;; [unrolled: 4-line block ×5, first 2 shown]
	s_waitcnt vmcnt(26)
	v_fma_f32 v3, v14, v74, -v3
	v_fmac_f32_e32 v57, v5, v69
	v_add_f32_e32 v55, 0, v55
	v_add_f32_e32 v2, v2, v3
	v_mul_f32_e32 v3, v17, v62
	v_fmac_f32_e32 v83, v7, v70
	v_add_f32_e32 v55, v55, v57
	s_waitcnt vmcnt(25)
	v_fma_f32 v3, v16, v75, -v3
	v_fmac_f32_e32 v84, v9, v71
	v_add_f32_e32 v55, v55, v83
	v_add_f32_e32 v2, v2, v3
	v_mul_f32_e32 v3, v19, v63
	v_fmac_f32_e32 v85, v11, v72
	v_add_f32_e32 v55, v55, v84
	;; [unrolled: 8-line block ×5, first 2 shown]
	s_waitcnt vmcnt(21)
	v_fma_f32 v3, v24, v79, -v3
	s_waitcnt vmcnt(15)
	v_mov_b32_e32 v16, v37
	v_fmac_f32_e32 v92, v25, v79
	v_add_f32_e32 v55, v55, v91
	v_add_f32_e32 v54, v2, v3
	v_mul_f32_e32 v2, v27, v67
	s_waitcnt lgkmcnt(0)
	v_pk_mul_f32 v[16:17], v[30:31], v[16:17] op_sel_hi:[1,0]
	v_fmac_f32_e32 v53, v27, v80
	v_add_f32_e32 v55, v55, v92
	v_mul_f32_e32 v57, v28, v81
	v_fma_f32 v52, v26, v80, -v2
	v_mul_f32_e32 v2, v29, v81
	s_waitcnt vmcnt(14)
	v_pk_fma_f32 v[18:19], v[30:31], v[36:37], v[16:17] op_sel:[0,0,1] op_sel_hi:[1,1,0] neg_lo:[0,0,1] neg_hi:[0,0,1]
	v_pk_fma_f32 v[16:17], v[30:31], v[36:37], v[16:17] op_sel:[0,0,1] op_sel_hi:[1,0,0]
	v_fmac_f32_e32 v57, v29, v82
	v_fma_f32 v56, v28, v82, -v2
	v_pk_add_f32 v[14:15], v[54:55], v[52:53]
	s_waitcnt vmcnt(7)
	v_mov_b32_e32 v16, v45
	ds_read_b128 v[2:5], v1 offset:784
	ds_read_b128 v[6:9], v1 offset:800
	;; [unrolled: 1-line block ×3, first 2 shown]
	v_pk_add_f32 v[14:15], v[14:15], v[56:57]
	v_mov_b32_e32 v19, v17
	v_pk_mul_f32 v[16:17], v[32:33], v[16:17] op_sel_hi:[1,0]
	v_pk_add_f32 v[14:15], v[14:15], v[18:19]
	s_waitcnt vmcnt(6)
	v_pk_fma_f32 v[18:19], v[32:33], v[44:45], v[16:17] op_sel:[0,0,1] op_sel_hi:[1,1,0] neg_lo:[0,0,1] neg_hi:[0,0,1]
	v_pk_fma_f32 v[16:17], v[32:33], v[44:45], v[16:17] op_sel:[0,0,1] op_sel_hi:[1,0,0]
	v_mov_b32_e32 v16, v43
	v_mov_b32_e32 v19, v17
	s_waitcnt lgkmcnt(2)
	v_pk_mul_f32 v[16:17], v[2:3], v[16:17] op_sel_hi:[1,0]
	v_pk_add_f32 v[14:15], v[14:15], v[18:19]
	v_pk_fma_f32 v[18:19], v[2:3], v[42:43], v[16:17] op_sel:[0,0,1] op_sel_hi:[1,1,0] neg_lo:[0,0,1] neg_hi:[0,0,1]
	v_pk_fma_f32 v[2:3], v[2:3], v[42:43], v[16:17] op_sel:[0,0,1] op_sel_hi:[1,0,0]
	v_mov_b32_e32 v19, v3
	v_pk_add_f32 v[2:3], v[14:15], v[18:19]
	v_mov_b32_e32 v14, v41
	v_pk_mul_f32 v[14:15], v[4:5], v[14:15] op_sel_hi:[1,0]
	v_pk_fma_f32 v[16:17], v[4:5], v[40:41], v[14:15] op_sel:[0,0,1] op_sel_hi:[1,1,0] neg_lo:[0,0,1] neg_hi:[0,0,1]
	v_pk_fma_f32 v[4:5], v[4:5], v[40:41], v[14:15] op_sel:[0,0,1] op_sel_hi:[1,0,0]
	v_mov_b32_e32 v4, v39
	v_mov_b32_e32 v17, v5
	s_waitcnt lgkmcnt(1)
	v_pk_mul_f32 v[4:5], v[6:7], v[4:5] op_sel_hi:[1,0]
	v_pk_fma_f32 v[14:15], v[6:7], v[38:39], v[4:5] op_sel:[0,0,1] op_sel_hi:[1,1,0] neg_lo:[0,0,1] neg_hi:[0,0,1]
	v_pk_fma_f32 v[4:5], v[6:7], v[38:39], v[4:5] op_sel:[0,0,1] op_sel_hi:[1,0,0]
	s_waitcnt vmcnt(1)
	v_mov_b32_e32 v4, v51
	v_mov_b32_e32 v15, v5
	v_pk_mul_f32 v[4:5], v[8:9], v[4:5] op_sel_hi:[1,0]
	s_waitcnt vmcnt(0)
	v_pk_fma_f32 v[6:7], v[8:9], v[50:51], v[4:5] op_sel:[0,0,1] op_sel_hi:[1,1,0] neg_lo:[0,0,1] neg_hi:[0,0,1]
	v_pk_fma_f32 v[4:5], v[8:9], v[50:51], v[4:5] op_sel:[0,0,1] op_sel_hi:[1,0,0]
	v_pk_add_f32 v[2:3], v[2:3], v[16:17]
	v_mov_b32_e32 v4, v49
	v_pk_add_f32 v[2:3], v[2:3], v[14:15]
	v_mov_b32_e32 v7, v5
	s_waitcnt lgkmcnt(0)
	v_pk_mul_f32 v[4:5], v[10:11], v[4:5] op_sel_hi:[1,0]
	v_pk_add_f32 v[2:3], v[2:3], v[6:7]
	v_pk_fma_f32 v[6:7], v[10:11], v[48:49], v[4:5] op_sel:[0,0,1] op_sel_hi:[1,1,0] neg_lo:[0,0,1] neg_hi:[0,0,1]
	v_pk_fma_f32 v[4:5], v[10:11], v[48:49], v[4:5] op_sel:[0,0,1] op_sel_hi:[1,0,0]
	v_mov_b32_e32 v4, v47
	v_mov_b32_e32 v7, v5
	v_pk_mul_f32 v[4:5], v[12:13], v[4:5] op_sel_hi:[1,0]
	v_pk_add_f32 v[2:3], v[2:3], v[6:7]
	v_pk_fma_f32 v[6:7], v[12:13], v[46:47], v[4:5] op_sel:[0,0,1] op_sel_hi:[1,1,0] neg_lo:[0,0,1] neg_hi:[0,0,1]
	v_pk_fma_f32 v[4:5], v[12:13], v[46:47], v[4:5] op_sel:[0,0,1] op_sel_hi:[1,0,0]
	v_mov_b32_e32 v7, v5
	v_pk_add_f32 v[2:3], v[2:3], v[6:7]
	v_pk_add_f32 v[2:3], v[34:35], v[2:3] neg_lo:[0,1] neg_hi:[0,1]
	buffer_store_dword v3, off, s[0:3], 0 offset:236
	buffer_store_dword v2, off, s[0:3], 0 offset:232
	s_and_saveexec_b64 s[4:5], vcc
	s_cbranch_execz .LBB115_269
; %bb.268:
	buffer_load_dword v2, off, s[0:3], 0 offset:224
	buffer_load_dword v3, off, s[0:3], 0 offset:228
	v_mov_b32_e32 v1, 0
	buffer_store_dword v1, off, s[0:3], 0 offset:224
	buffer_store_dword v1, off, s[0:3], 0 offset:228
	s_waitcnt vmcnt(2)
	ds_write_b64 v129, v[2:3]
.LBB115_269:
	s_or_b64 exec, exec, s[4:5]
	s_waitcnt lgkmcnt(0)
	; wave barrier
	s_waitcnt lgkmcnt(0)
	buffer_load_dword v50, off, s[0:3], 0 offset:236
	buffer_load_dword v54, off, s[0:3], 0 offset:244
	;; [unrolled: 1-line block ×32, first 2 shown]
	v_mov_b32_e32 v1, 0
	buffer_load_dword v37, off, s[0:3], 0 offset:380
	buffer_load_dword v36, off, s[0:3], 0 offset:376
	buffer_load_dword v39, off, s[0:3], 0 offset:372
	buffer_load_dword v38, off, s[0:3], 0 offset:368
	buffer_load_dword v41, off, s[0:3], 0 offset:364
	buffer_load_dword v40, off, s[0:3], 0 offset:360
	buffer_load_dword v43, off, s[0:3], 0 offset:356
	buffer_load_dword v42, off, s[0:3], 0 offset:352
	buffer_load_dword v45, off, s[0:3], 0 offset:388
	buffer_load_dword v47, off, s[0:3], 0 offset:412
	buffer_load_dword v46, off, s[0:3], 0 offset:408
	buffer_load_dword v49, off, s[0:3], 0 offset:404
	buffer_load_dword v48, off, s[0:3], 0 offset:400
	ds_read2_b64 v[2:5], v1 offset0:81 offset1:82
	ds_read2_b64 v[6:9], v1 offset0:83 offset1:84
	;; [unrolled: 1-line block ×8, first 2 shown]
	v_cmp_lt_u32_e32 vcc, 27, v0
	s_waitcnt vmcnt(44) lgkmcnt(7)
	v_mul_f32_e32 v44, v2, v50
	s_waitcnt vmcnt(43)
	v_mul_f32_e32 v51, v4, v54
	s_waitcnt vmcnt(42) lgkmcnt(6)
	v_mul_f32_e32 v52, v6, v56
	s_waitcnt vmcnt(41)
	v_mul_f32_e32 v53, v8, v58
	;; [unrolled: 4-line block ×6, first 2 shown]
	s_waitcnt vmcnt(32) lgkmcnt(1)
	v_mul_f32_e32 v91, v26, v67
	s_waitcnt vmcnt(31)
	v_fmac_f32_e32 v44, v3, v68
	s_waitcnt vmcnt(30)
	v_fmac_f32_e32 v51, v5, v69
	v_add_f32_e32 v44, 0, v44
	s_waitcnt vmcnt(29)
	v_fmac_f32_e32 v52, v7, v70
	v_add_f32_e32 v44, v44, v51
	;; [unrolled: 3-line block ×12, first 2 shown]
	v_add_f32_e32 v51, v44, v91
	buffer_load_dword v53, off, s[0:3], 0 offset:396
	buffer_load_dword v52, off, s[0:3], 0 offset:392
	;; [unrolled: 1-line block ×3, first 2 shown]
	v_mul_f32_e32 v3, v3, v50
	v_fma_f32 v2, v2, v68, -v3
	v_mul_f32_e32 v3, v5, v54
	v_add_f32_e32 v2, 0, v2
	v_fma_f32 v3, v4, v69, -v3
	v_add_f32_e32 v2, v2, v3
	v_mul_f32_e32 v3, v7, v56
	v_fma_f32 v3, v6, v70, -v3
	v_add_f32_e32 v2, v2, v3
	v_mul_f32_e32 v3, v9, v58
	;; [unrolled: 3-line block ×11, first 2 shown]
	v_fma_f32 v3, v26, v80, -v3
	v_add_f32_e32 v50, v2, v3
	s_waitcnt vmcnt(21)
	v_mul_f32_e32 v2, v29, v81
	s_waitcnt vmcnt(9)
	v_mov_b32_e32 v18, v43
	v_mul_f32_e32 v55, v28, v81
	v_fma_f32 v54, v28, v82, -v2
	s_waitcnt lgkmcnt(0)
	v_mul_f32_e32 v2, v31, v83
	v_pk_mul_f32 v[18:19], v[32:33], v[18:19] op_sel_hi:[1,0]
	v_fmac_f32_e32 v55, v29, v82
	v_mul_f32_e32 v57, v30, v83
	v_fma_f32 v56, v30, v84, -v2
	ds_read2_b64 v[2:5], v1 offset0:97 offset1:98
	ds_read2_b64 v[6:9], v1 offset0:99 offset1:100
	;; [unrolled: 1-line block ×3, first 2 shown]
	ds_read_b64 v[14:15], v1 offset:824
	s_waitcnt vmcnt(8)
	v_pk_fma_f32 v[20:21], v[32:33], v[42:43], v[18:19] op_sel:[0,0,1] op_sel_hi:[1,1,0] neg_lo:[0,0,1] neg_hi:[0,0,1]
	v_pk_fma_f32 v[18:19], v[32:33], v[42:43], v[18:19] op_sel:[0,0,1] op_sel_hi:[1,0,0]
	v_fmac_f32_e32 v57, v31, v84
	v_pk_add_f32 v[16:17], v[50:51], v[54:55]
	v_mov_b32_e32 v18, v41
	v_pk_add_f32 v[16:17], v[16:17], v[56:57]
	v_mov_b32_e32 v21, v19
	s_waitcnt lgkmcnt(3)
	v_pk_mul_f32 v[18:19], v[2:3], v[18:19] op_sel_hi:[1,0]
	v_pk_add_f32 v[16:17], v[16:17], v[20:21]
	v_pk_fma_f32 v[20:21], v[2:3], v[40:41], v[18:19] op_sel:[0,0,1] op_sel_hi:[1,1,0] neg_lo:[0,0,1] neg_hi:[0,0,1]
	v_pk_fma_f32 v[2:3], v[2:3], v[40:41], v[18:19] op_sel:[0,0,1] op_sel_hi:[1,0,0]
	v_mov_b32_e32 v21, v3
	v_pk_add_f32 v[2:3], v[16:17], v[20:21]
	v_mov_b32_e32 v16, v39
	v_pk_mul_f32 v[16:17], v[4:5], v[16:17] op_sel_hi:[1,0]
	v_pk_fma_f32 v[18:19], v[4:5], v[38:39], v[16:17] op_sel:[0,0,1] op_sel_hi:[1,1,0] neg_lo:[0,0,1] neg_hi:[0,0,1]
	v_pk_fma_f32 v[4:5], v[4:5], v[38:39], v[16:17] op_sel:[0,0,1] op_sel_hi:[1,0,0]
	v_mov_b32_e32 v4, v37
	v_mov_b32_e32 v19, v5
	s_waitcnt lgkmcnt(2)
	v_pk_mul_f32 v[4:5], v[6:7], v[4:5] op_sel_hi:[1,0]
	v_pk_fma_f32 v[16:17], v[6:7], v[36:37], v[4:5] op_sel:[0,0,1] op_sel_hi:[1,1,0] neg_lo:[0,0,1] neg_hi:[0,0,1]
	v_pk_fma_f32 v[4:5], v[6:7], v[36:37], v[4:5] op_sel:[0,0,1] op_sel_hi:[1,0,0]
	s_waitcnt vmcnt(7)
	v_mov_b32_e32 v4, v45
	v_mov_b32_e32 v17, v5
	v_pk_mul_f32 v[4:5], v[8:9], v[4:5] op_sel_hi:[1,0]
	v_pk_add_f32 v[2:3], v[2:3], v[18:19]
	v_pk_add_f32 v[2:3], v[2:3], v[16:17]
	s_waitcnt vmcnt(0)
	v_pk_fma_f32 v[6:7], v[8:9], v[44:45], v[4:5] op_sel:[0,0,1] op_sel_hi:[1,1,0] neg_lo:[0,0,1] neg_hi:[0,0,1]
	v_pk_fma_f32 v[4:5], v[8:9], v[44:45], v[4:5] op_sel:[0,0,1] op_sel_hi:[1,0,0]
	v_mov_b32_e32 v4, v53
	v_mov_b32_e32 v7, v5
	s_waitcnt lgkmcnt(1)
	v_pk_mul_f32 v[4:5], v[10:11], v[4:5] op_sel_hi:[1,0]
	v_pk_add_f32 v[2:3], v[2:3], v[6:7]
	v_pk_fma_f32 v[6:7], v[10:11], v[52:53], v[4:5] op_sel:[0,0,1] op_sel_hi:[1,1,0] neg_lo:[0,0,1] neg_hi:[0,0,1]
	v_pk_fma_f32 v[4:5], v[10:11], v[52:53], v[4:5] op_sel:[0,0,1] op_sel_hi:[1,0,0]
	v_mov_b32_e32 v4, v49
	v_mov_b32_e32 v7, v5
	v_pk_mul_f32 v[4:5], v[12:13], v[4:5] op_sel_hi:[1,0]
	v_pk_add_f32 v[2:3], v[2:3], v[6:7]
	v_pk_fma_f32 v[6:7], v[12:13], v[48:49], v[4:5] op_sel:[0,0,1] op_sel_hi:[1,1,0] neg_lo:[0,0,1] neg_hi:[0,0,1]
	v_pk_fma_f32 v[4:5], v[12:13], v[48:49], v[4:5] op_sel:[0,0,1] op_sel_hi:[1,0,0]
	v_mov_b32_e32 v4, v47
	v_mov_b32_e32 v7, v5
	s_waitcnt lgkmcnt(0)
	v_pk_mul_f32 v[4:5], v[14:15], v[4:5] op_sel_hi:[1,0]
	v_pk_add_f32 v[2:3], v[2:3], v[6:7]
	v_pk_fma_f32 v[6:7], v[14:15], v[46:47], v[4:5] op_sel:[0,0,1] op_sel_hi:[1,1,0] neg_lo:[0,0,1] neg_hi:[0,0,1]
	v_pk_fma_f32 v[4:5], v[14:15], v[46:47], v[4:5] op_sel:[0,0,1] op_sel_hi:[1,0,0]
	v_mov_b32_e32 v7, v5
	v_pk_add_f32 v[2:3], v[2:3], v[6:7]
	v_pk_add_f32 v[2:3], v[34:35], v[2:3] neg_lo:[0,1] neg_hi:[0,1]
	buffer_store_dword v3, off, s[0:3], 0 offset:228
	buffer_store_dword v2, off, s[0:3], 0 offset:224
	s_and_saveexec_b64 s[4:5], vcc
	s_cbranch_execz .LBB115_271
; %bb.270:
	buffer_load_dword v2, off, s[0:3], 0 offset:216
	buffer_load_dword v3, off, s[0:3], 0 offset:220
	s_waitcnt vmcnt(0)
	ds_write_b64 v129, v[2:3]
	buffer_store_dword v1, off, s[0:3], 0 offset:216
	buffer_store_dword v1, off, s[0:3], 0 offset:220
.LBB115_271:
	s_or_b64 exec, exec, s[4:5]
	s_waitcnt lgkmcnt(0)
	; wave barrier
	s_waitcnt lgkmcnt(0)
	buffer_load_dword v50, off, s[0:3], 0 offset:228
	buffer_load_dword v52, off, s[0:3], 0 offset:236
	;; [unrolled: 1-line block ×34, first 2 shown]
	ds_read_b128 v[2:5], v1 offset:640
	ds_read_b128 v[6:9], v1 offset:656
	;; [unrolled: 1-line block ×8, first 2 shown]
	buffer_load_dword v37, off, s[0:3], 0 offset:372
	buffer_load_dword v36, off, s[0:3], 0 offset:368
	;; [unrolled: 1-line block ×9, first 2 shown]
	v_cmp_lt_u32_e32 vcc, 26, v0
	s_waitcnt vmcnt(42) lgkmcnt(7)
	v_mul_f32_e32 v42, v2, v50
	s_waitcnt vmcnt(41)
	v_mul_f32_e32 v46, v4, v52
	s_waitcnt vmcnt(40) lgkmcnt(6)
	v_mul_f32_e32 v47, v6, v54
	s_waitcnt vmcnt(39)
	v_mul_f32_e32 v48, v8, v58
	;; [unrolled: 4-line block ×7, first 2 shown]
	s_waitcnt vmcnt(28)
	v_fmac_f32_e32 v42, v3, v69
	s_waitcnt vmcnt(27)
	v_fmac_f32_e32 v46, v5, v70
	v_add_f32_e32 v42, 0, v42
	s_waitcnt vmcnt(26)
	v_fmac_f32_e32 v47, v7, v71
	v_add_f32_e32 v42, v42, v46
	;; [unrolled: 3-line block ×12, first 2 shown]
	v_add_f32_e32 v51, v42, v89
	buffer_load_dword v47, off, s[0:3], 0 offset:396
	buffer_load_dword v46, off, s[0:3], 0 offset:392
	;; [unrolled: 1-line block ×7, first 2 shown]
	v_mul_f32_e32 v3, v3, v50
	v_fma_f32 v2, v2, v69, -v3
	v_mul_f32_e32 v3, v5, v52
	v_add_f32_e32 v2, 0, v2
	v_fma_f32 v3, v4, v70, -v3
	v_add_f32_e32 v2, v2, v3
	v_mul_f32_e32 v3, v7, v54
	v_fma_f32 v3, v6, v71, -v3
	v_add_f32_e32 v2, v2, v3
	v_mul_f32_e32 v3, v9, v58
	;; [unrolled: 3-line block ×12, first 2 shown]
	s_waitcnt vmcnt(22)
	v_fma_f32 v3, v28, v82, -v3
	v_add_f32_e32 v50, v2, v3
	s_waitcnt vmcnt(21) lgkmcnt(0)
	v_mul_f32_e32 v2, v31, v83
	s_waitcnt vmcnt(20)
	v_fma_f32 v52, v30, v84, -v2
	s_waitcnt vmcnt(19)
	v_mul_f32_e32 v2, v33, v85
	s_waitcnt vmcnt(18)
	v_fma_f32 v54, v32, v86, -v2
	ds_read_b128 v[2:5], v1 offset:768
	ds_read_b128 v[6:9], v1 offset:784
	;; [unrolled: 1-line block ×4, first 2 shown]
	v_fmac_f32_e32 v90, v29, v82
	v_mul_f32_e32 v53, v30, v83
	s_waitcnt vmcnt(11)
	v_mov_b32_e32 v20, v41
	v_add_f32_e32 v51, v51, v90
	v_fmac_f32_e32 v53, v31, v84
	v_mul_f32_e32 v55, v32, v85
	s_waitcnt lgkmcnt(3)
	v_pk_mul_f32 v[20:21], v[2:3], v[20:21] op_sel_hi:[1,0]
	v_fmac_f32_e32 v55, v33, v86
	v_pk_add_f32 v[18:19], v[50:51], v[52:53]
	s_waitcnt vmcnt(10)
	v_pk_fma_f32 v[22:23], v[2:3], v[40:41], v[20:21] op_sel:[0,0,1] op_sel_hi:[1,1,0] neg_lo:[0,0,1] neg_hi:[0,0,1]
	v_pk_fma_f32 v[2:3], v[2:3], v[40:41], v[20:21] op_sel:[0,0,1] op_sel_hi:[1,0,0]
	v_pk_add_f32 v[18:19], v[18:19], v[54:55]
	v_mov_b32_e32 v23, v3
	v_pk_add_f32 v[2:3], v[18:19], v[22:23]
	v_mov_b32_e32 v18, v39
	v_pk_mul_f32 v[18:19], v[4:5], v[18:19] op_sel_hi:[1,0]
	v_pk_fma_f32 v[20:21], v[4:5], v[38:39], v[18:19] op_sel:[0,0,1] op_sel_hi:[1,1,0] neg_lo:[0,0,1] neg_hi:[0,0,1]
	v_pk_fma_f32 v[4:5], v[4:5], v[38:39], v[18:19] op_sel:[0,0,1] op_sel_hi:[1,0,0]
	v_mov_b32_e32 v4, v37
	v_mov_b32_e32 v21, v5
	s_waitcnt lgkmcnt(2)
	v_pk_mul_f32 v[4:5], v[6:7], v[4:5] op_sel_hi:[1,0]
	v_pk_fma_f32 v[18:19], v[6:7], v[36:37], v[4:5] op_sel:[0,0,1] op_sel_hi:[1,1,0] neg_lo:[0,0,1] neg_hi:[0,0,1]
	v_pk_fma_f32 v[4:5], v[6:7], v[36:37], v[4:5] op_sel:[0,0,1] op_sel_hi:[1,0,0]
	s_waitcnt vmcnt(9)
	v_mov_b32_e32 v4, v43
	v_mov_b32_e32 v19, v5
	v_pk_mul_f32 v[4:5], v[8:9], v[4:5] op_sel_hi:[1,0]
	v_pk_add_f32 v[2:3], v[2:3], v[20:21]
	v_pk_add_f32 v[2:3], v[2:3], v[18:19]
	s_waitcnt vmcnt(2)
	v_pk_fma_f32 v[6:7], v[8:9], v[42:43], v[4:5] op_sel:[0,0,1] op_sel_hi:[1,1,0] neg_lo:[0,0,1] neg_hi:[0,0,1]
	v_pk_fma_f32 v[4:5], v[8:9], v[42:43], v[4:5] op_sel:[0,0,1] op_sel_hi:[1,0,0]
	v_mov_b32_e32 v4, v49
	v_mov_b32_e32 v7, v5
	s_waitcnt lgkmcnt(1)
	v_pk_mul_f32 v[4:5], v[10:11], v[4:5] op_sel_hi:[1,0]
	v_pk_add_f32 v[2:3], v[2:3], v[6:7]
	v_pk_fma_f32 v[6:7], v[10:11], v[48:49], v[4:5] op_sel:[0,0,1] op_sel_hi:[1,1,0] neg_lo:[0,0,1] neg_hi:[0,0,1]
	v_pk_fma_f32 v[4:5], v[10:11], v[48:49], v[4:5] op_sel:[0,0,1] op_sel_hi:[1,0,0]
	v_mov_b32_e32 v4, v47
	v_mov_b32_e32 v7, v5
	v_pk_mul_f32 v[4:5], v[12:13], v[4:5] op_sel_hi:[1,0]
	v_pk_add_f32 v[2:3], v[2:3], v[6:7]
	v_pk_fma_f32 v[6:7], v[12:13], v[46:47], v[4:5] op_sel:[0,0,1] op_sel_hi:[1,1,0] neg_lo:[0,0,1] neg_hi:[0,0,1]
	v_pk_fma_f32 v[4:5], v[12:13], v[46:47], v[4:5] op_sel:[0,0,1] op_sel_hi:[1,0,0]
	v_mov_b32_e32 v4, v45
	v_mov_b32_e32 v7, v5
	s_waitcnt lgkmcnt(0)
	v_pk_mul_f32 v[4:5], v[14:15], v[4:5] op_sel_hi:[1,0]
	v_pk_add_f32 v[2:3], v[2:3], v[6:7]
	v_pk_fma_f32 v[6:7], v[14:15], v[44:45], v[4:5] op_sel:[0,0,1] op_sel_hi:[1,1,0] neg_lo:[0,0,1] neg_hi:[0,0,1]
	v_pk_fma_f32 v[4:5], v[14:15], v[44:45], v[4:5] op_sel:[0,0,1] op_sel_hi:[1,0,0]
	s_waitcnt vmcnt(1)
	v_mov_b32_e32 v4, v57
	v_mov_b32_e32 v7, v5
	v_pk_mul_f32 v[4:5], v[16:17], v[4:5] op_sel_hi:[1,0]
	v_pk_add_f32 v[2:3], v[2:3], v[6:7]
	s_waitcnt vmcnt(0)
	v_pk_fma_f32 v[6:7], v[16:17], v[56:57], v[4:5] op_sel:[0,0,1] op_sel_hi:[1,1,0] neg_lo:[0,0,1] neg_hi:[0,0,1]
	v_pk_fma_f32 v[4:5], v[16:17], v[56:57], v[4:5] op_sel:[0,0,1] op_sel_hi:[1,0,0]
	v_mov_b32_e32 v7, v5
	v_pk_add_f32 v[2:3], v[2:3], v[6:7]
	v_pk_add_f32 v[2:3], v[34:35], v[2:3] neg_lo:[0,1] neg_hi:[0,1]
	buffer_store_dword v3, off, s[0:3], 0 offset:220
	buffer_store_dword v2, off, s[0:3], 0 offset:216
	s_and_saveexec_b64 s[4:5], vcc
	s_cbranch_execz .LBB115_273
; %bb.272:
	buffer_load_dword v2, off, s[0:3], 0 offset:208
	buffer_load_dword v3, off, s[0:3], 0 offset:212
	v_mov_b32_e32 v1, 0
	buffer_store_dword v1, off, s[0:3], 0 offset:208
	buffer_store_dword v1, off, s[0:3], 0 offset:212
	s_waitcnt vmcnt(2)
	ds_write_b64 v129, v[2:3]
.LBB115_273:
	s_or_b64 exec, exec, s[4:5]
	s_waitcnt lgkmcnt(0)
	; wave barrier
	s_waitcnt lgkmcnt(0)
	buffer_load_dword v56, off, s[0:3], 0 offset:220
	buffer_load_dword v58, off, s[0:3], 0 offset:228
	;; [unrolled: 1-line block ×36, first 2 shown]
	v_mov_b32_e32 v1, 0
	buffer_load_dword v45, off, s[0:3], 0 offset:364
	buffer_load_dword v44, off, s[0:3], 0 offset:360
	;; [unrolled: 1-line block ×5, first 2 shown]
	ds_read2_b64 v[4:7], v1 offset0:79 offset1:80
	ds_read2_b64 v[8:11], v1 offset0:81 offset1:82
	;; [unrolled: 1-line block ×8, first 2 shown]
	v_cmp_lt_u32_e32 vcc, 25, v0
	s_waitcnt vmcnt(40) lgkmcnt(7)
	v_mul_f32_e32 v36, v4, v56
	s_waitcnt vmcnt(39)
	v_mul_f32_e32 v37, v6, v58
	s_waitcnt vmcnt(38) lgkmcnt(6)
	v_mul_f32_e32 v38, v8, v60
	s_waitcnt vmcnt(37)
	v_mul_f32_e32 v39, v10, v66
	;; [unrolled: 4-line block ×7, first 2 shown]
	s_waitcnt vmcnt(26) lgkmcnt(0)
	v_mul_f32_e32 v57, v32, v77
	s_waitcnt vmcnt(25)
	v_fmac_f32_e32 v36, v5, v78
	s_waitcnt vmcnt(24)
	v_fmac_f32_e32 v37, v7, v79
	v_add_f32_e32 v36, 0, v36
	s_waitcnt vmcnt(23)
	v_fmac_f32_e32 v38, v9, v80
	v_add_f32_e32 v36, v36, v37
	;; [unrolled: 3-line block ×13, first 2 shown]
	v_add_f32_e32 v40, v36, v54
	buffer_load_dword v51, off, s[0:3], 0 offset:396
	buffer_load_dword v50, off, s[0:3], 0 offset:392
	;; [unrolled: 1-line block ×7, first 2 shown]
	s_waitcnt vmcnt(18)
	v_fmac_f32_e32 v57, v33, v92
	ds_read2_b64 v[36:39], v1 offset0:95 offset1:96
	v_add_f32_e32 v57, v40, v57
	ds_read2_b64 v[40:43], v1 offset0:97 offset1:98
	buffer_load_dword v63, off, s[0:3], 0 offset:412
	buffer_load_dword v62, off, s[0:3], 0 offset:408
	buffer_load_dword v65, off, s[0:3], 0 offset:404
	buffer_load_dword v64, off, s[0:3], 0 offset:400
	v_mul_f32_e32 v5, v5, v56
	v_fma_f32 v4, v4, v78, -v5
	v_mul_f32_e32 v5, v7, v58
	v_add_f32_e32 v4, 0, v4
	v_fma_f32 v5, v6, v79, -v5
	v_add_f32_e32 v4, v4, v5
	v_mul_f32_e32 v5, v9, v60
	v_fma_f32 v5, v8, v80, -v5
	v_add_f32_e32 v4, v4, v5
	v_mul_f32_e32 v5, v11, v66
	;; [unrolled: 3-line block ×13, first 2 shown]
	v_fma_f32 v5, v32, v92, -v5
	s_waitcnt vmcnt(13)
	v_mov_b32_e32 v16, v47
	v_mul_f32_e32 v59, v34, v93
	v_add_f32_e32 v56, v4, v5
	v_mul_f32_e32 v4, v35, v93
	s_waitcnt lgkmcnt(1)
	v_pk_mul_f32 v[16:17], v[38:39], v[16:17] op_sel_hi:[1,0]
	v_fmac_f32_e32 v59, v35, v94
	v_mul_f32_e32 v61, v36, v95
	v_fma_f32 v58, v34, v94, -v4
	v_mul_f32_e32 v4, v37, v95
	s_waitcnt vmcnt(12)
	v_pk_fma_f32 v[18:19], v[38:39], v[46:47], v[16:17] op_sel:[0,0,1] op_sel_hi:[1,1,0] neg_lo:[0,0,1] neg_hi:[0,0,1]
	v_pk_fma_f32 v[16:17], v[38:39], v[46:47], v[16:17] op_sel:[0,0,1] op_sel_hi:[1,0,0]
	v_fmac_f32_e32 v61, v37, v96
	v_fma_f32 v60, v36, v96, -v4
	v_pk_add_f32 v[14:15], v[56:57], v[58:59]
	v_mov_b32_e32 v16, v45
	v_pk_add_f32 v[14:15], v[14:15], v[60:61]
	v_mov_b32_e32 v19, v17
	s_waitcnt lgkmcnt(0)
	v_pk_mul_f32 v[16:17], v[40:41], v[16:17] op_sel_hi:[1,0]
	v_pk_add_f32 v[14:15], v[14:15], v[18:19]
	v_pk_fma_f32 v[18:19], v[40:41], v[44:45], v[16:17] op_sel:[0,0,1] op_sel_hi:[1,1,0] neg_lo:[0,0,1] neg_hi:[0,0,1]
	v_pk_fma_f32 v[16:17], v[40:41], v[44:45], v[16:17] op_sel:[0,0,1] op_sel_hi:[1,0,0]
	s_waitcnt vmcnt(11)
	v_mov_b32_e32 v16, v49
	ds_read2_b64 v[4:7], v1 offset0:99 offset1:100
	ds_read2_b64 v[8:11], v1 offset0:101 offset1:102
	ds_read_b64 v[12:13], v1 offset:824
	v_mov_b32_e32 v19, v17
	v_pk_mul_f32 v[16:17], v[42:43], v[16:17] op_sel_hi:[1,0]
	v_pk_add_f32 v[14:15], v[14:15], v[18:19]
	s_waitcnt vmcnt(4)
	v_pk_fma_f32 v[18:19], v[42:43], v[48:49], v[16:17] op_sel:[0,0,1] op_sel_hi:[1,1,0] neg_lo:[0,0,1] neg_hi:[0,0,1]
	v_pk_fma_f32 v[16:17], v[42:43], v[48:49], v[16:17] op_sel:[0,0,1] op_sel_hi:[1,0,0]
	v_mov_b32_e32 v16, v55
	v_mov_b32_e32 v19, v17
	s_waitcnt lgkmcnt(2)
	v_pk_mul_f32 v[16:17], v[4:5], v[16:17] op_sel_hi:[1,0]
	v_pk_add_f32 v[14:15], v[14:15], v[18:19]
	v_pk_fma_f32 v[18:19], v[4:5], v[54:55], v[16:17] op_sel:[0,0,1] op_sel_hi:[1,1,0] neg_lo:[0,0,1] neg_hi:[0,0,1]
	v_pk_fma_f32 v[4:5], v[4:5], v[54:55], v[16:17] op_sel:[0,0,1] op_sel_hi:[1,0,0]
	v_mov_b32_e32 v19, v5
	v_pk_add_f32 v[4:5], v[14:15], v[18:19]
	v_mov_b32_e32 v14, v53
	v_pk_mul_f32 v[14:15], v[6:7], v[14:15] op_sel_hi:[1,0]
	v_pk_fma_f32 v[16:17], v[6:7], v[52:53], v[14:15] op_sel:[0,0,1] op_sel_hi:[1,1,0] neg_lo:[0,0,1] neg_hi:[0,0,1]
	v_pk_fma_f32 v[6:7], v[6:7], v[52:53], v[14:15] op_sel:[0,0,1] op_sel_hi:[1,0,0]
	v_mov_b32_e32 v6, v51
	v_mov_b32_e32 v17, v7
	s_waitcnt lgkmcnt(1)
	v_pk_mul_f32 v[6:7], v[8:9], v[6:7] op_sel_hi:[1,0]
	v_pk_fma_f32 v[14:15], v[8:9], v[50:51], v[6:7] op_sel:[0,0,1] op_sel_hi:[1,1,0] neg_lo:[0,0,1] neg_hi:[0,0,1]
	v_pk_fma_f32 v[6:7], v[8:9], v[50:51], v[6:7] op_sel:[0,0,1] op_sel_hi:[1,0,0]
	s_waitcnt vmcnt(1)
	v_mov_b32_e32 v6, v65
	v_mov_b32_e32 v15, v7
	v_pk_mul_f32 v[6:7], v[10:11], v[6:7] op_sel_hi:[1,0]
	s_waitcnt vmcnt(0)
	v_pk_fma_f32 v[8:9], v[10:11], v[64:65], v[6:7] op_sel:[0,0,1] op_sel_hi:[1,1,0] neg_lo:[0,0,1] neg_hi:[0,0,1]
	v_pk_fma_f32 v[6:7], v[10:11], v[64:65], v[6:7] op_sel:[0,0,1] op_sel_hi:[1,0,0]
	v_pk_add_f32 v[4:5], v[4:5], v[16:17]
	v_mov_b32_e32 v6, v63
	v_pk_add_f32 v[4:5], v[4:5], v[14:15]
	v_mov_b32_e32 v9, v7
	s_waitcnt lgkmcnt(0)
	v_pk_mul_f32 v[6:7], v[12:13], v[6:7] op_sel_hi:[1,0]
	v_pk_add_f32 v[4:5], v[4:5], v[8:9]
	v_pk_fma_f32 v[8:9], v[12:13], v[62:63], v[6:7] op_sel:[0,0,1] op_sel_hi:[1,1,0] neg_lo:[0,0,1] neg_hi:[0,0,1]
	v_pk_fma_f32 v[6:7], v[12:13], v[62:63], v[6:7] op_sel:[0,0,1] op_sel_hi:[1,0,0]
	v_mov_b32_e32 v9, v7
	v_pk_add_f32 v[4:5], v[4:5], v[8:9]
	v_pk_add_f32 v[2:3], v[2:3], v[4:5] neg_lo:[0,1] neg_hi:[0,1]
	buffer_store_dword v3, off, s[0:3], 0 offset:212
	buffer_store_dword v2, off, s[0:3], 0 offset:208
	s_and_saveexec_b64 s[4:5], vcc
	s_cbranch_execz .LBB115_275
; %bb.274:
	buffer_load_dword v2, off, s[0:3], 0 offset:200
	buffer_load_dword v3, off, s[0:3], 0 offset:204
	s_waitcnt vmcnt(0)
	ds_write_b64 v129, v[2:3]
	buffer_store_dword v1, off, s[0:3], 0 offset:200
	buffer_store_dword v1, off, s[0:3], 0 offset:204
.LBB115_275:
	s_or_b64 exec, exec, s[4:5]
	s_waitcnt lgkmcnt(0)
	; wave barrier
	s_waitcnt lgkmcnt(0)
	buffer_load_dword v54, off, s[0:3], 0 offset:212
	buffer_load_dword v56, off, s[0:3], 0 offset:220
	;; [unrolled: 1-line block ×38, first 2 shown]
	ds_read_b128 v[2:5], v1 offset:624
	ds_read_b128 v[6:9], v1 offset:640
	ds_read_b128 v[10:13], v1 offset:656
	ds_read_b128 v[14:17], v1 offset:672
	ds_read_b128 v[18:21], v1 offset:688
	ds_read_b128 v[22:25], v1 offset:704
	ds_read_b128 v[26:29], v1 offset:720
	ds_read_b128 v[30:33], v1 offset:736
	buffer_load_dword v45, off, s[0:3], 0 offset:356
	buffer_load_dword v44, off, s[0:3], 0 offset:352
	buffer_load_dword v47, off, s[0:3], 0 offset:388
	buffer_load_dword v46, off, s[0:3], 0 offset:384
	v_cmp_lt_u32_e32 vcc, 24, v0
	s_waitcnt vmcnt(41) lgkmcnt(7)
	v_mul_f32_e32 v34, v2, v54
	s_waitcnt vmcnt(40)
	v_mul_f32_e32 v35, v4, v56
	s_waitcnt vmcnt(39) lgkmcnt(6)
	v_mul_f32_e32 v36, v6, v58
	s_waitcnt vmcnt(38)
	v_mul_f32_e32 v37, v8, v66
	;; [unrolled: 4-line block ×7, first 2 shown]
	s_waitcnt vmcnt(27) lgkmcnt(0)
	v_mul_f32_e32 v55, v30, v77
	s_waitcnt vmcnt(26)
	v_fmac_f32_e32 v34, v3, v78
	s_waitcnt vmcnt(25)
	v_fmac_f32_e32 v35, v5, v79
	v_add_f32_e32 v34, 0, v34
	s_waitcnt vmcnt(24)
	v_fmac_f32_e32 v36, v7, v80
	v_add_f32_e32 v34, v34, v35
	;; [unrolled: 3-line block ×13, first 2 shown]
	v_add_f32_e32 v34, v34, v53
	buffer_load_dword v49, off, s[0:3], 0 offset:380
	buffer_load_dword v48, off, s[0:3], 0 offset:376
	;; [unrolled: 1-line block ×6, first 2 shown]
	s_waitcnt vmcnt(18)
	v_fmac_f32_e32 v55, v31, v92
	s_waitcnt vmcnt(17)
	v_mul_f32_e32 v39, v32, v93
	v_add_f32_e32 v38, v34, v55
	s_waitcnt vmcnt(16)
	v_fmac_f32_e32 v39, v33, v94
	ds_read_b128 v[34:37], v1 offset:752
	v_add_f32_e32 v55, v38, v39
	ds_read_b128 v[38:41], v1 offset:768
	buffer_load_dword v61, off, s[0:3], 0 offset:412
	buffer_load_dword v60, off, s[0:3], 0 offset:408
	;; [unrolled: 1-line block ×6, first 2 shown]
	v_mul_f32_e32 v3, v3, v54
	v_fma_f32 v2, v2, v78, -v3
	v_mul_f32_e32 v3, v5, v56
	v_add_f32_e32 v2, 0, v2
	v_fma_f32 v3, v4, v79, -v3
	v_add_f32_e32 v2, v2, v3
	v_mul_f32_e32 v3, v7, v58
	v_fma_f32 v3, v6, v80, -v3
	v_add_f32_e32 v2, v2, v3
	v_mul_f32_e32 v3, v9, v66
	;; [unrolled: 3-line block ×14, first 2 shown]
	v_fma_f32 v3, v32, v94, -v3
	s_waitcnt vmcnt(15)
	v_mov_b32_e32 v16, v45
	s_waitcnt lgkmcnt(1)
	v_mul_f32_e32 v57, v34, v95
	v_add_f32_e32 v54, v2, v3
	v_mul_f32_e32 v2, v35, v95
	s_waitcnt lgkmcnt(0)
	v_pk_mul_f32 v[16:17], v[38:39], v[16:17] op_sel_hi:[1,0]
	v_fmac_f32_e32 v57, v35, v96
	v_mul_f32_e32 v59, v36, v97
	v_fma_f32 v56, v34, v96, -v2
	v_mul_f32_e32 v2, v37, v97
	s_waitcnt vmcnt(14)
	v_pk_fma_f32 v[18:19], v[38:39], v[44:45], v[16:17] op_sel:[0,0,1] op_sel_hi:[1,1,0] neg_lo:[0,0,1] neg_hi:[0,0,1]
	v_pk_fma_f32 v[16:17], v[38:39], v[44:45], v[16:17] op_sel:[0,0,1] op_sel_hi:[1,0,0]
	v_fmac_f32_e32 v59, v37, v98
	v_fma_f32 v58, v36, v98, -v2
	v_pk_add_f32 v[14:15], v[54:55], v[56:57]
	ds_read_b128 v[2:5], v1 offset:784
	ds_read_b128 v[6:9], v1 offset:800
	;; [unrolled: 1-line block ×3, first 2 shown]
	v_pk_add_f32 v[14:15], v[14:15], v[58:59]
	v_mov_b32_e32 v19, v17
	v_pk_add_f32 v[14:15], v[14:15], v[18:19]
	s_waitcnt vmcnt(7)
	v_mov_b32_e32 v16, v53
	v_pk_mul_f32 v[16:17], v[40:41], v[16:17] op_sel_hi:[1,0]
	s_waitcnt vmcnt(6)
	v_pk_fma_f32 v[18:19], v[40:41], v[52:53], v[16:17] op_sel:[0,0,1] op_sel_hi:[1,1,0] neg_lo:[0,0,1] neg_hi:[0,0,1]
	v_pk_fma_f32 v[16:17], v[40:41], v[52:53], v[16:17] op_sel:[0,0,1] op_sel_hi:[1,0,0]
	v_mov_b32_e32 v16, v51
	v_mov_b32_e32 v19, v17
	s_waitcnt lgkmcnt(2)
	v_pk_mul_f32 v[16:17], v[2:3], v[16:17] op_sel_hi:[1,0]
	v_pk_add_f32 v[14:15], v[14:15], v[18:19]
	v_pk_fma_f32 v[18:19], v[2:3], v[50:51], v[16:17] op_sel:[0,0,1] op_sel_hi:[1,1,0] neg_lo:[0,0,1] neg_hi:[0,0,1]
	v_pk_fma_f32 v[2:3], v[2:3], v[50:51], v[16:17] op_sel:[0,0,1] op_sel_hi:[1,0,0]
	v_mov_b32_e32 v19, v3
	v_pk_add_f32 v[2:3], v[14:15], v[18:19]
	v_mov_b32_e32 v14, v49
	v_pk_mul_f32 v[14:15], v[4:5], v[14:15] op_sel_hi:[1,0]
	v_pk_fma_f32 v[16:17], v[4:5], v[48:49], v[14:15] op_sel:[0,0,1] op_sel_hi:[1,1,0] neg_lo:[0,0,1] neg_hi:[0,0,1]
	v_pk_fma_f32 v[4:5], v[4:5], v[48:49], v[14:15] op_sel:[0,0,1] op_sel_hi:[1,0,0]
	v_mov_b32_e32 v4, v47
	v_mov_b32_e32 v17, v5
	s_waitcnt lgkmcnt(1)
	v_pk_mul_f32 v[4:5], v[6:7], v[4:5] op_sel_hi:[1,0]
	v_pk_fma_f32 v[14:15], v[6:7], v[46:47], v[4:5] op_sel:[0,0,1] op_sel_hi:[1,1,0] neg_lo:[0,0,1] neg_hi:[0,0,1]
	v_pk_fma_f32 v[4:5], v[6:7], v[46:47], v[4:5] op_sel:[0,0,1] op_sel_hi:[1,0,0]
	s_waitcnt vmcnt(1)
	v_mov_b32_e32 v4, v65
	v_mov_b32_e32 v15, v5
	v_pk_mul_f32 v[4:5], v[8:9], v[4:5] op_sel_hi:[1,0]
	s_waitcnt vmcnt(0)
	v_pk_fma_f32 v[6:7], v[8:9], v[64:65], v[4:5] op_sel:[0,0,1] op_sel_hi:[1,1,0] neg_lo:[0,0,1] neg_hi:[0,0,1]
	v_pk_fma_f32 v[4:5], v[8:9], v[64:65], v[4:5] op_sel:[0,0,1] op_sel_hi:[1,0,0]
	v_pk_add_f32 v[2:3], v[2:3], v[16:17]
	v_mov_b32_e32 v4, v63
	v_pk_add_f32 v[2:3], v[2:3], v[14:15]
	v_mov_b32_e32 v7, v5
	s_waitcnt lgkmcnt(0)
	v_pk_mul_f32 v[4:5], v[10:11], v[4:5] op_sel_hi:[1,0]
	v_pk_add_f32 v[2:3], v[2:3], v[6:7]
	v_pk_fma_f32 v[6:7], v[10:11], v[62:63], v[4:5] op_sel:[0,0,1] op_sel_hi:[1,1,0] neg_lo:[0,0,1] neg_hi:[0,0,1]
	v_pk_fma_f32 v[4:5], v[10:11], v[62:63], v[4:5] op_sel:[0,0,1] op_sel_hi:[1,0,0]
	v_mov_b32_e32 v4, v61
	v_mov_b32_e32 v7, v5
	v_pk_mul_f32 v[4:5], v[12:13], v[4:5] op_sel_hi:[1,0]
	v_pk_add_f32 v[2:3], v[2:3], v[6:7]
	v_pk_fma_f32 v[6:7], v[12:13], v[60:61], v[4:5] op_sel:[0,0,1] op_sel_hi:[1,1,0] neg_lo:[0,0,1] neg_hi:[0,0,1]
	v_pk_fma_f32 v[4:5], v[12:13], v[60:61], v[4:5] op_sel:[0,0,1] op_sel_hi:[1,0,0]
	v_mov_b32_e32 v7, v5
	v_pk_add_f32 v[2:3], v[2:3], v[6:7]
	v_pk_add_f32 v[2:3], v[42:43], v[2:3] neg_lo:[0,1] neg_hi:[0,1]
	buffer_store_dword v3, off, s[0:3], 0 offset:204
	buffer_store_dword v2, off, s[0:3], 0 offset:200
	s_and_saveexec_b64 s[4:5], vcc
	s_cbranch_execz .LBB115_277
; %bb.276:
	buffer_load_dword v2, off, s[0:3], 0 offset:192
	buffer_load_dword v3, off, s[0:3], 0 offset:196
	v_mov_b32_e32 v1, 0
	buffer_store_dword v1, off, s[0:3], 0 offset:192
	buffer_store_dword v1, off, s[0:3], 0 offset:196
	s_waitcnt vmcnt(2)
	ds_write_b64 v129, v[2:3]
.LBB115_277:
	s_or_b64 exec, exec, s[4:5]
	s_waitcnt lgkmcnt(0)
	; wave barrier
	s_waitcnt lgkmcnt(0)
	buffer_load_dword v52, off, s[0:3], 0 offset:204
	buffer_load_dword v54, off, s[0:3], 0 offset:212
	buffer_load_dword v56, off, s[0:3], 0 offset:220
	buffer_load_dword v66, off, s[0:3], 0 offset:228
	buffer_load_dword v67, off, s[0:3], 0 offset:236
	buffer_load_dword v68, off, s[0:3], 0 offset:244
	buffer_load_dword v69, off, s[0:3], 0 offset:252
	buffer_load_dword v70, off, s[0:3], 0 offset:260
	buffer_load_dword v71, off, s[0:3], 0 offset:268
	buffer_load_dword v72, off, s[0:3], 0 offset:276
	buffer_load_dword v73, off, s[0:3], 0 offset:284
	buffer_load_dword v74, off, s[0:3], 0 offset:292
	buffer_load_dword v75, off, s[0:3], 0 offset:300
	buffer_load_dword v76, off, s[0:3], 0 offset:308
	buffer_load_dword v77, off, s[0:3], 0 offset:316
	buffer_load_dword v78, off, s[0:3], 0 offset:324
	buffer_load_dword v79, off, s[0:3], 0 offset:200
	buffer_load_dword v80, off, s[0:3], 0 offset:208
	buffer_load_dword v81, off, s[0:3], 0 offset:216
	buffer_load_dword v82, off, s[0:3], 0 offset:224
	buffer_load_dword v83, off, s[0:3], 0 offset:232
	buffer_load_dword v84, off, s[0:3], 0 offset:240
	buffer_load_dword v85, off, s[0:3], 0 offset:248
	buffer_load_dword v86, off, s[0:3], 0 offset:256
	buffer_load_dword v87, off, s[0:3], 0 offset:264
	buffer_load_dword v88, off, s[0:3], 0 offset:272
	buffer_load_dword v89, off, s[0:3], 0 offset:280
	buffer_load_dword v90, off, s[0:3], 0 offset:288
	buffer_load_dword v91, off, s[0:3], 0 offset:296
	buffer_load_dword v92, off, s[0:3], 0 offset:304
	buffer_load_dword v93, off, s[0:3], 0 offset:312
	buffer_load_dword v94, off, s[0:3], 0 offset:320
	buffer_load_dword v95, off, s[0:3], 0 offset:332
	buffer_load_dword v96, off, s[0:3], 0 offset:328
	buffer_load_dword v97, off, s[0:3], 0 offset:340
	buffer_load_dword v98, off, s[0:3], 0 offset:336
	buffer_load_dword v99, off, s[0:3], 0 offset:348
	buffer_load_dword v100, off, s[0:3], 0 offset:344
	buffer_load_dword v2, off, s[0:3], 0 offset:192
	buffer_load_dword v3, off, s[0:3], 0 offset:196
	v_mov_b32_e32 v1, 0
	ds_read2_b64 v[4:7], v1 offset0:77 offset1:78
	ds_read2_b64 v[8:11], v1 offset0:79 offset1:80
	;; [unrolled: 1-line block ×8, first 2 shown]
	v_cmp_lt_u32_e32 vcc, 23, v0
	s_waitcnt vmcnt(39) lgkmcnt(7)
	v_mul_f32_e32 v36, v4, v52
	s_waitcnt vmcnt(38)
	v_mul_f32_e32 v37, v6, v54
	s_waitcnt vmcnt(37) lgkmcnt(6)
	v_mul_f32_e32 v38, v8, v56
	s_waitcnt vmcnt(36)
	v_mul_f32_e32 v39, v10, v66
	;; [unrolled: 4-line block ×8, first 2 shown]
	s_waitcnt vmcnt(23)
	v_fmac_f32_e32 v36, v5, v79
	s_waitcnt vmcnt(22)
	v_fmac_f32_e32 v37, v7, v80
	v_add_f32_e32 v36, 0, v36
	s_waitcnt vmcnt(21)
	v_fmac_f32_e32 v38, v9, v81
	v_add_f32_e32 v36, v36, v37
	;; [unrolled: 3-line block ×14, first 2 shown]
	v_add_f32_e32 v36, v36, v50
	s_waitcnt vmcnt(8)
	v_fmac_f32_e32 v51, v35, v94
	v_add_f32_e32 v53, v36, v51
	ds_read2_b64 v[36:39], v1 offset0:93 offset1:94
	buffer_load_dword v45, off, s[0:3], 0 offset:356
	buffer_load_dword v47, off, s[0:3], 0 offset:380
	;; [unrolled: 1-line block ×8, first 2 shown]
	ds_read2_b64 v[40:43], v1 offset0:95 offset1:96
	buffer_load_dword v59, off, s[0:3], 0 offset:412
	buffer_load_dword v58, off, s[0:3], 0 offset:408
	;; [unrolled: 1-line block ×8, first 2 shown]
	v_mul_f32_e32 v5, v5, v52
	v_fma_f32 v4, v4, v79, -v5
	v_mul_f32_e32 v5, v7, v54
	v_add_f32_e32 v4, 0, v4
	v_fma_f32 v5, v6, v80, -v5
	v_add_f32_e32 v4, v4, v5
	v_mul_f32_e32 v5, v9, v56
	v_fma_f32 v5, v8, v81, -v5
	v_add_f32_e32 v4, v4, v5
	v_mul_f32_e32 v5, v11, v66
	v_fma_f32 v5, v10, v82, -v5
	v_add_f32_e32 v4, v4, v5
	v_mul_f32_e32 v5, v13, v67
	v_fma_f32 v5, v12, v83, -v5
	v_add_f32_e32 v4, v4, v5
	v_mul_f32_e32 v5, v15, v68
	v_fma_f32 v5, v14, v84, -v5
	v_add_f32_e32 v4, v4, v5
	v_mul_f32_e32 v5, v17, v69
	v_fma_f32 v5, v16, v85, -v5
	v_add_f32_e32 v4, v4, v5
	v_mul_f32_e32 v5, v19, v70
	v_fma_f32 v5, v18, v86, -v5
	v_add_f32_e32 v4, v4, v5
	v_mul_f32_e32 v5, v21, v71
	v_fma_f32 v5, v20, v87, -v5
	v_add_f32_e32 v4, v4, v5
	v_mul_f32_e32 v5, v23, v72
	v_fma_f32 v5, v22, v88, -v5
	v_add_f32_e32 v4, v4, v5
	v_mul_f32_e32 v5, v25, v73
	v_fma_f32 v5, v24, v89, -v5
	v_add_f32_e32 v4, v4, v5
	v_mul_f32_e32 v5, v27, v74
	v_fma_f32 v5, v26, v90, -v5
	v_add_f32_e32 v4, v4, v5
	v_mul_f32_e32 v5, v29, v75
	v_fma_f32 v5, v28, v91, -v5
	v_add_f32_e32 v4, v4, v5
	v_mul_f32_e32 v5, v31, v76
	v_fma_f32 v5, v30, v92, -v5
	v_add_f32_e32 v4, v4, v5
	v_mul_f32_e32 v5, v33, v77
	v_fma_f32 v5, v32, v93, -v5
	v_add_f32_e32 v4, v4, v5
	v_mul_f32_e32 v5, v35, v78
	v_fma_f32 v5, v34, v94, -v5
	v_add_f32_e32 v4, v4, v5
	s_waitcnt vmcnt(23) lgkmcnt(1)
	v_mul_f32_e32 v5, v37, v95
	v_mul_f32_e32 v55, v36, v95
	s_waitcnt vmcnt(22)
	v_fma_f32 v5, v36, v96, -v5
	v_fmac_f32_e32 v55, v37, v96
	v_add_f32_e32 v52, v4, v5
	s_waitcnt vmcnt(21)
	v_mul_f32_e32 v4, v39, v97
	v_add_f32_e32 v53, v53, v55
	v_mul_f32_e32 v55, v38, v97
	s_waitcnt vmcnt(20)
	v_fma_f32 v54, v38, v98, -v4
	s_waitcnt vmcnt(19) lgkmcnt(0)
	v_mul_f32_e32 v4, v41, v99
	v_fmac_f32_e32 v55, v39, v98
	v_mul_f32_e32 v57, v40, v99
	s_waitcnt vmcnt(18)
	v_fma_f32 v56, v40, v100, -v4
	ds_read2_b64 v[4:7], v1 offset0:97 offset1:98
	ds_read2_b64 v[8:11], v1 offset0:99 offset1:100
	;; [unrolled: 1-line block ×3, first 2 shown]
	ds_read_b64 v[16:17], v1 offset:824
	v_fmac_f32_e32 v57, v41, v100
	v_pk_add_f32 v[18:19], v[52:53], v[54:55]
	v_pk_add_f32 v[18:19], v[18:19], v[56:57]
	s_waitcnt vmcnt(15)
	v_mov_b32_e32 v20, v45
	v_pk_mul_f32 v[20:21], v[42:43], v[20:21] op_sel_hi:[1,0]
	s_waitcnt vmcnt(8)
	v_pk_fma_f32 v[22:23], v[42:43], v[44:45], v[20:21] op_sel:[0,0,1] op_sel_hi:[1,1,0] neg_lo:[0,0,1] neg_hi:[0,0,1]
	v_pk_fma_f32 v[20:21], v[42:43], v[44:45], v[20:21] op_sel:[0,0,1] op_sel_hi:[1,0,0]
	v_mov_b32_e32 v20, v51
	v_mov_b32_e32 v23, v21
	s_waitcnt lgkmcnt(3)
	v_pk_mul_f32 v[20:21], v[4:5], v[20:21] op_sel_hi:[1,0]
	v_pk_add_f32 v[18:19], v[18:19], v[22:23]
	v_pk_fma_f32 v[22:23], v[4:5], v[50:51], v[20:21] op_sel:[0,0,1] op_sel_hi:[1,1,0] neg_lo:[0,0,1] neg_hi:[0,0,1]
	v_pk_fma_f32 v[4:5], v[4:5], v[50:51], v[20:21] op_sel:[0,0,1] op_sel_hi:[1,0,0]
	v_mov_b32_e32 v23, v5
	v_pk_add_f32 v[4:5], v[18:19], v[22:23]
	v_mov_b32_e32 v18, v49
	v_pk_mul_f32 v[18:19], v[6:7], v[18:19] op_sel_hi:[1,0]
	v_pk_fma_f32 v[20:21], v[6:7], v[48:49], v[18:19] op_sel:[0,0,1] op_sel_hi:[1,1,0] neg_lo:[0,0,1] neg_hi:[0,0,1]
	v_pk_fma_f32 v[6:7], v[6:7], v[48:49], v[18:19] op_sel:[0,0,1] op_sel_hi:[1,0,0]
	v_mov_b32_e32 v6, v47
	v_mov_b32_e32 v21, v7
	s_waitcnt lgkmcnt(2)
	v_pk_mul_f32 v[6:7], v[8:9], v[6:7] op_sel_hi:[1,0]
	v_pk_fma_f32 v[18:19], v[8:9], v[46:47], v[6:7] op_sel:[0,0,1] op_sel_hi:[1,1,0] neg_lo:[0,0,1] neg_hi:[0,0,1]
	v_pk_fma_f32 v[6:7], v[8:9], v[46:47], v[6:7] op_sel:[0,0,1] op_sel_hi:[1,0,0]
	s_waitcnt vmcnt(1)
	v_mov_b32_e32 v6, v65
	v_mov_b32_e32 v19, v7
	v_pk_mul_f32 v[6:7], v[10:11], v[6:7] op_sel_hi:[1,0]
	s_waitcnt vmcnt(0)
	v_pk_fma_f32 v[8:9], v[10:11], v[64:65], v[6:7] op_sel:[0,0,1] op_sel_hi:[1,1,0] neg_lo:[0,0,1] neg_hi:[0,0,1]
	v_pk_fma_f32 v[6:7], v[10:11], v[64:65], v[6:7] op_sel:[0,0,1] op_sel_hi:[1,0,0]
	v_pk_add_f32 v[4:5], v[4:5], v[20:21]
	v_mov_b32_e32 v6, v63
	v_pk_add_f32 v[4:5], v[4:5], v[18:19]
	v_mov_b32_e32 v9, v7
	s_waitcnt lgkmcnt(1)
	v_pk_mul_f32 v[6:7], v[12:13], v[6:7] op_sel_hi:[1,0]
	v_pk_add_f32 v[4:5], v[4:5], v[8:9]
	v_pk_fma_f32 v[8:9], v[12:13], v[62:63], v[6:7] op_sel:[0,0,1] op_sel_hi:[1,1,0] neg_lo:[0,0,1] neg_hi:[0,0,1]
	v_pk_fma_f32 v[6:7], v[12:13], v[62:63], v[6:7] op_sel:[0,0,1] op_sel_hi:[1,0,0]
	v_mov_b32_e32 v6, v61
	v_mov_b32_e32 v9, v7
	v_pk_mul_f32 v[6:7], v[14:15], v[6:7] op_sel_hi:[1,0]
	v_pk_add_f32 v[4:5], v[4:5], v[8:9]
	v_pk_fma_f32 v[8:9], v[14:15], v[60:61], v[6:7] op_sel:[0,0,1] op_sel_hi:[1,1,0] neg_lo:[0,0,1] neg_hi:[0,0,1]
	v_pk_fma_f32 v[6:7], v[14:15], v[60:61], v[6:7] op_sel:[0,0,1] op_sel_hi:[1,0,0]
	v_mov_b32_e32 v6, v59
	v_mov_b32_e32 v9, v7
	s_waitcnt lgkmcnt(0)
	v_pk_mul_f32 v[6:7], v[16:17], v[6:7] op_sel_hi:[1,0]
	v_pk_add_f32 v[4:5], v[4:5], v[8:9]
	v_pk_fma_f32 v[8:9], v[16:17], v[58:59], v[6:7] op_sel:[0,0,1] op_sel_hi:[1,1,0] neg_lo:[0,0,1] neg_hi:[0,0,1]
	v_pk_fma_f32 v[6:7], v[16:17], v[58:59], v[6:7] op_sel:[0,0,1] op_sel_hi:[1,0,0]
	v_mov_b32_e32 v9, v7
	v_pk_add_f32 v[4:5], v[4:5], v[8:9]
	v_pk_add_f32 v[2:3], v[2:3], v[4:5] neg_lo:[0,1] neg_hi:[0,1]
	buffer_store_dword v3, off, s[0:3], 0 offset:196
	buffer_store_dword v2, off, s[0:3], 0 offset:192
	s_and_saveexec_b64 s[4:5], vcc
	s_cbranch_execz .LBB115_279
; %bb.278:
	buffer_load_dword v2, off, s[0:3], 0 offset:184
	buffer_load_dword v3, off, s[0:3], 0 offset:188
	s_waitcnt vmcnt(0)
	ds_write_b64 v129, v[2:3]
	buffer_store_dword v1, off, s[0:3], 0 offset:184
	buffer_store_dword v1, off, s[0:3], 0 offset:188
.LBB115_279:
	s_or_b64 exec, exec, s[4:5]
	s_waitcnt lgkmcnt(0)
	; wave barrier
	s_waitcnt lgkmcnt(0)
	buffer_load_dword v44, off, s[0:3], 0 offset:196
	buffer_load_dword v46, off, s[0:3], 0 offset:204
	;; [unrolled: 1-line block ×42, first 2 shown]
	ds_read_b128 v[4:7], v1 offset:608
	ds_read_b128 v[8:11], v1 offset:624
	;; [unrolled: 1-line block ×8, first 2 shown]
	v_cmp_lt_u32_e32 vcc, 22, v0
	s_waitcnt vmcnt(41) lgkmcnt(7)
	v_mul_f32_e32 v36, v4, v44
	s_waitcnt vmcnt(40)
	v_mul_f32_e32 v37, v6, v46
	s_waitcnt vmcnt(39) lgkmcnt(6)
	v_mul_f32_e32 v38, v8, v54
	s_waitcnt vmcnt(38)
	v_mul_f32_e32 v39, v10, v66
	;; [unrolled: 4-line block ×7, first 2 shown]
	s_waitcnt vmcnt(27) lgkmcnt(0)
	v_mul_f32_e32 v52, v32, v77
	s_waitcnt vmcnt(26)
	v_fmac_f32_e32 v36, v5, v78
	s_waitcnt vmcnt(25)
	v_fmac_f32_e32 v37, v7, v79
	v_add_f32_e32 v36, 0, v36
	s_waitcnt vmcnt(24)
	v_fmac_f32_e32 v38, v9, v80
	v_add_f32_e32 v36, v36, v37
	;; [unrolled: 3-line block ×14, first 2 shown]
	s_waitcnt vmcnt(11)
	v_mul_f32_e32 v41, v34, v93
	v_add_f32_e32 v40, v36, v52
	s_waitcnt vmcnt(10)
	v_fmac_f32_e32 v41, v35, v94
	ds_read_b128 v[36:39], v1 offset:736
	v_add_f32_e32 v45, v40, v41
	ds_read_b128 v[40:43], v1 offset:752
	buffer_load_dword v49, off, s[0:3], 0 offset:356
	buffer_load_dword v51, off, s[0:3], 0 offset:372
	;; [unrolled: 1-line block ×16, first 2 shown]
	v_mul_f32_e32 v5, v5, v44
	v_fma_f32 v4, v4, v78, -v5
	v_mul_f32_e32 v5, v7, v46
	v_add_f32_e32 v4, 0, v4
	v_fma_f32 v5, v6, v79, -v5
	v_add_f32_e32 v4, v4, v5
	v_mul_f32_e32 v5, v9, v54
	v_fma_f32 v5, v8, v80, -v5
	v_add_f32_e32 v4, v4, v5
	v_mul_f32_e32 v5, v11, v66
	v_fma_f32 v5, v10, v81, -v5
	v_add_f32_e32 v4, v4, v5
	v_mul_f32_e32 v5, v13, v67
	v_fma_f32 v5, v12, v82, -v5
	v_add_f32_e32 v4, v4, v5
	v_mul_f32_e32 v5, v15, v68
	v_fma_f32 v5, v14, v83, -v5
	v_add_f32_e32 v4, v4, v5
	v_mul_f32_e32 v5, v17, v69
	v_fma_f32 v5, v16, v84, -v5
	v_add_f32_e32 v4, v4, v5
	v_mul_f32_e32 v5, v19, v70
	v_fma_f32 v5, v18, v85, -v5
	v_add_f32_e32 v4, v4, v5
	v_mul_f32_e32 v5, v21, v71
	v_fma_f32 v5, v20, v86, -v5
	v_add_f32_e32 v4, v4, v5
	v_mul_f32_e32 v5, v23, v72
	v_fma_f32 v5, v22, v87, -v5
	v_add_f32_e32 v4, v4, v5
	v_mul_f32_e32 v5, v25, v73
	v_fma_f32 v5, v24, v88, -v5
	v_add_f32_e32 v4, v4, v5
	v_mul_f32_e32 v5, v27, v74
	v_fma_f32 v5, v26, v89, -v5
	v_add_f32_e32 v4, v4, v5
	v_mul_f32_e32 v5, v29, v75
	v_fma_f32 v5, v28, v90, -v5
	v_add_f32_e32 v4, v4, v5
	v_mul_f32_e32 v5, v31, v76
	v_fma_f32 v5, v30, v91, -v5
	v_add_f32_e32 v4, v4, v5
	v_mul_f32_e32 v5, v33, v77
	v_fma_f32 v5, v32, v92, -v5
	v_add_f32_e32 v4, v4, v5
	v_mul_f32_e32 v5, v35, v93
	v_fma_f32 v5, v34, v94, -v5
	v_add_f32_e32 v4, v4, v5
	s_waitcnt vmcnt(25) lgkmcnt(1)
	v_mul_f32_e32 v5, v37, v95
	s_waitcnt vmcnt(24)
	v_fma_f32 v5, v36, v96, -v5
	v_add_f32_e32 v4, v4, v5
	s_waitcnt vmcnt(23)
	v_mul_f32_e32 v5, v39, v97
	v_mul_f32_e32 v47, v36, v95
	s_waitcnt vmcnt(22)
	v_fma_f32 v5, v38, v98, -v5
	v_fmac_f32_e32 v47, v37, v96
	v_add_f32_e32 v44, v4, v5
	s_waitcnt vmcnt(21) lgkmcnt(0)
	v_mul_f32_e32 v4, v41, v99
	v_add_f32_e32 v45, v45, v47
	v_mul_f32_e32 v47, v38, v97
	s_waitcnt vmcnt(20)
	v_fma_f32 v46, v40, v100, -v4
	s_waitcnt vmcnt(19)
	v_mul_f32_e32 v4, v43, v101
	v_fmac_f32_e32 v47, v39, v98
	s_waitcnt vmcnt(18)
	v_fma_f32 v54, v42, v102, -v4
	ds_read_b128 v[4:7], v1 offset:768
	ds_read_b128 v[8:11], v1 offset:784
	;; [unrolled: 1-line block ×4, first 2 shown]
	v_add_f32_e32 v45, v45, v47
	v_mul_f32_e32 v47, v40, v99
	v_fmac_f32_e32 v47, v41, v100
	v_mul_f32_e32 v55, v42, v101
	v_fmac_f32_e32 v55, v43, v102
	v_pk_add_f32 v[20:21], v[44:45], v[46:47]
	v_pk_add_f32 v[20:21], v[20:21], v[54:55]
	s_waitcnt vmcnt(15)
	v_mov_b32_e32 v22, v49
	s_waitcnt lgkmcnt(3)
	v_pk_mul_f32 v[22:23], v[4:5], v[22:23] op_sel_hi:[1,0]
	s_waitcnt vmcnt(10)
	v_pk_fma_f32 v[24:25], v[4:5], v[48:49], v[22:23] op_sel:[0,0,1] op_sel_hi:[1,1,0] neg_lo:[0,0,1] neg_hi:[0,0,1]
	v_pk_fma_f32 v[4:5], v[4:5], v[48:49], v[22:23] op_sel:[0,0,1] op_sel_hi:[1,0,0]
	v_mov_b32_e32 v25, v5
	v_pk_add_f32 v[4:5], v[20:21], v[24:25]
	v_mov_b32_e32 v20, v53
	v_pk_mul_f32 v[20:21], v[6:7], v[20:21] op_sel_hi:[1,0]
	v_pk_fma_f32 v[22:23], v[6:7], v[52:53], v[20:21] op_sel:[0,0,1] op_sel_hi:[1,1,0] neg_lo:[0,0,1] neg_hi:[0,0,1]
	v_pk_fma_f32 v[6:7], v[6:7], v[52:53], v[20:21] op_sel:[0,0,1] op_sel_hi:[1,0,0]
	v_mov_b32_e32 v6, v51
	v_mov_b32_e32 v23, v7
	s_waitcnt lgkmcnt(2)
	v_pk_mul_f32 v[6:7], v[8:9], v[6:7] op_sel_hi:[1,0]
	v_pk_fma_f32 v[20:21], v[8:9], v[50:51], v[6:7] op_sel:[0,0,1] op_sel_hi:[1,1,0] neg_lo:[0,0,1] neg_hi:[0,0,1]
	v_pk_fma_f32 v[6:7], v[8:9], v[50:51], v[6:7] op_sel:[0,0,1] op_sel_hi:[1,0,0]
	s_waitcnt vmcnt(3)
	v_mov_b32_e32 v6, v63
	v_mov_b32_e32 v21, v7
	v_pk_mul_f32 v[6:7], v[10:11], v[6:7] op_sel_hi:[1,0]
	s_waitcnt vmcnt(2)
	v_pk_fma_f32 v[8:9], v[10:11], v[62:63], v[6:7] op_sel:[0,0,1] op_sel_hi:[1,1,0] neg_lo:[0,0,1] neg_hi:[0,0,1]
	v_pk_fma_f32 v[6:7], v[10:11], v[62:63], v[6:7] op_sel:[0,0,1] op_sel_hi:[1,0,0]
	v_pk_add_f32 v[4:5], v[4:5], v[22:23]
	v_mov_b32_e32 v6, v61
	v_pk_add_f32 v[4:5], v[4:5], v[20:21]
	v_mov_b32_e32 v9, v7
	s_waitcnt lgkmcnt(1)
	v_pk_mul_f32 v[6:7], v[12:13], v[6:7] op_sel_hi:[1,0]
	v_pk_add_f32 v[4:5], v[4:5], v[8:9]
	v_pk_fma_f32 v[8:9], v[12:13], v[60:61], v[6:7] op_sel:[0,0,1] op_sel_hi:[1,1,0] neg_lo:[0,0,1] neg_hi:[0,0,1]
	v_pk_fma_f32 v[6:7], v[12:13], v[60:61], v[6:7] op_sel:[0,0,1] op_sel_hi:[1,0,0]
	v_mov_b32_e32 v6, v59
	v_mov_b32_e32 v9, v7
	v_pk_mul_f32 v[6:7], v[14:15], v[6:7] op_sel_hi:[1,0]
	v_pk_add_f32 v[4:5], v[4:5], v[8:9]
	v_pk_fma_f32 v[8:9], v[14:15], v[58:59], v[6:7] op_sel:[0,0,1] op_sel_hi:[1,1,0] neg_lo:[0,0,1] neg_hi:[0,0,1]
	v_pk_fma_f32 v[6:7], v[14:15], v[58:59], v[6:7] op_sel:[0,0,1] op_sel_hi:[1,0,0]
	v_mov_b32_e32 v6, v57
	v_mov_b32_e32 v9, v7
	s_waitcnt lgkmcnt(0)
	v_pk_mul_f32 v[6:7], v[16:17], v[6:7] op_sel_hi:[1,0]
	v_pk_add_f32 v[4:5], v[4:5], v[8:9]
	v_pk_fma_f32 v[8:9], v[16:17], v[56:57], v[6:7] op_sel:[0,0,1] op_sel_hi:[1,1,0] neg_lo:[0,0,1] neg_hi:[0,0,1]
	v_pk_fma_f32 v[6:7], v[16:17], v[56:57], v[6:7] op_sel:[0,0,1] op_sel_hi:[1,0,0]
	s_waitcnt vmcnt(1)
	v_mov_b32_e32 v6, v65
	v_mov_b32_e32 v9, v7
	v_pk_mul_f32 v[6:7], v[18:19], v[6:7] op_sel_hi:[1,0]
	v_pk_add_f32 v[4:5], v[4:5], v[8:9]
	s_waitcnt vmcnt(0)
	v_pk_fma_f32 v[8:9], v[18:19], v[64:65], v[6:7] op_sel:[0,0,1] op_sel_hi:[1,1,0] neg_lo:[0,0,1] neg_hi:[0,0,1]
	v_pk_fma_f32 v[6:7], v[18:19], v[64:65], v[6:7] op_sel:[0,0,1] op_sel_hi:[1,0,0]
	v_mov_b32_e32 v9, v7
	v_pk_add_f32 v[4:5], v[4:5], v[8:9]
	v_pk_add_f32 v[2:3], v[2:3], v[4:5] neg_lo:[0,1] neg_hi:[0,1]
	buffer_store_dword v3, off, s[0:3], 0 offset:188
	buffer_store_dword v2, off, s[0:3], 0 offset:184
	s_and_saveexec_b64 s[4:5], vcc
	s_cbranch_execz .LBB115_281
; %bb.280:
	buffer_load_dword v2, off, s[0:3], 0 offset:176
	buffer_load_dword v3, off, s[0:3], 0 offset:180
	v_mov_b32_e32 v1, 0
	buffer_store_dword v1, off, s[0:3], 0 offset:176
	buffer_store_dword v1, off, s[0:3], 0 offset:180
	s_waitcnt vmcnt(2)
	ds_write_b64 v129, v[2:3]
.LBB115_281:
	s_or_b64 exec, exec, s[4:5]
	s_waitcnt lgkmcnt(0)
	; wave barrier
	s_waitcnt lgkmcnt(0)
	buffer_load_dword v52, off, s[0:3], 0 offset:188
	buffer_load_dword v58, off, s[0:3], 0 offset:196
	;; [unrolled: 1-line block ×44, first 2 shown]
	v_mov_b32_e32 v1, 0
	ds_read2_b64 v[4:7], v1 offset0:75 offset1:76
	ds_read2_b64 v[8:11], v1 offset0:77 offset1:78
	;; [unrolled: 1-line block ×8, first 2 shown]
	v_cmp_lt_u32_e32 vcc, 21, v0
	s_waitcnt vmcnt(43) lgkmcnt(7)
	v_mul_f32_e32 v36, v4, v52
	s_waitcnt vmcnt(42)
	v_mul_f32_e32 v37, v6, v58
	s_waitcnt vmcnt(41) lgkmcnt(6)
	v_mul_f32_e32 v38, v8, v60
	s_waitcnt vmcnt(40)
	v_mul_f32_e32 v39, v10, v74
	;; [unrolled: 4-line block ×7, first 2 shown]
	s_waitcnt vmcnt(29)
	v_fmac_f32_e32 v36, v5, v85
	s_waitcnt vmcnt(28)
	v_fmac_f32_e32 v37, v7, v86
	v_add_f32_e32 v36, 0, v36
	s_waitcnt vmcnt(27)
	v_fmac_f32_e32 v38, v9, v87
	v_add_f32_e32 v36, v36, v37
	;; [unrolled: 3-line block ×12, first 2 shown]
	v_add_f32_e32 v36, v36, v48
	s_waitcnt vmcnt(16)
	v_fmac_f32_e32 v49, v31, v98
	s_waitcnt vmcnt(15) lgkmcnt(0)
	v_mul_f32_e32 v37, v32, v99
	v_add_f32_e32 v36, v36, v49
	s_waitcnt vmcnt(14)
	v_fmac_f32_e32 v37, v33, v100
	v_add_f32_e32 v40, v36, v37
	ds_read2_b64 v[36:39], v1 offset0:91 offset1:92
	s_waitcnt vmcnt(13)
	v_mul_f32_e32 v41, v34, v101
	s_waitcnt vmcnt(12)
	v_fmac_f32_e32 v41, v35, v102
	v_add_f32_e32 v44, v40, v41
	ds_read2_b64 v[40:43], v1 offset0:93 offset1:94
	s_waitcnt vmcnt(11) lgkmcnt(1)
	v_mul_f32_e32 v45, v36, v103
	s_waitcnt vmcnt(10)
	v_fmac_f32_e32 v45, v37, v104
	v_add_f32_e32 v44, v44, v45
	s_waitcnt vmcnt(9)
	v_mul_f32_e32 v45, v38, v105
	s_waitcnt vmcnt(8)
	v_fmac_f32_e32 v45, v39, v106
	v_add_f32_e32 v44, v44, v45
	s_waitcnt vmcnt(7) lgkmcnt(0)
	v_mul_f32_e32 v45, v40, v107
	s_waitcnt vmcnt(6)
	v_fmac_f32_e32 v45, v41, v108
	v_add_f32_e32 v53, v44, v45
	ds_read2_b64 v[44:47], v1 offset0:95 offset1:96
	buffer_load_dword v55, off, s[0:3], 0 offset:364
	buffer_load_dword v54, off, s[0:3], 0 offset:360
	;; [unrolled: 1-line block ×4, first 2 shown]
	ds_read2_b64 v[48:51], v1 offset0:97 offset1:98
	buffer_load_dword v63, off, s[0:3], 0 offset:396
	buffer_load_dword v62, off, s[0:3], 0 offset:392
	buffer_load_dword v65, off, s[0:3], 0 offset:388
	buffer_load_dword v64, off, s[0:3], 0 offset:384
	buffer_load_dword v67, off, s[0:3], 0 offset:380
	buffer_load_dword v66, off, s[0:3], 0 offset:376
	buffer_load_dword v69, off, s[0:3], 0 offset:372
	buffer_load_dword v68, off, s[0:3], 0 offset:368
	buffer_load_dword v71, off, s[0:3], 0 offset:412
	buffer_load_dword v70, off, s[0:3], 0 offset:408
	buffer_load_dword v73, off, s[0:3], 0 offset:404
	buffer_load_dword v72, off, s[0:3], 0 offset:400
	v_mul_f32_e32 v5, v5, v52
	v_fma_f32 v4, v4, v85, -v5
	v_mul_f32_e32 v5, v7, v58
	v_add_f32_e32 v4, 0, v4
	v_fma_f32 v5, v6, v86, -v5
	v_add_f32_e32 v4, v4, v5
	v_mul_f32_e32 v5, v9, v60
	v_fma_f32 v5, v8, v87, -v5
	v_add_f32_e32 v4, v4, v5
	v_mul_f32_e32 v5, v11, v74
	;; [unrolled: 3-line block ×17, first 2 shown]
	v_fma_f32 v5, v40, v108, -v5
	s_waitcnt vmcnt(21)
	v_mul_f32_e32 v59, v42, v109
	v_add_f32_e32 v52, v4, v5
	v_mul_f32_e32 v4, v43, v109
	s_waitcnt vmcnt(20)
	v_fmac_f32_e32 v59, v43, v190
	s_waitcnt vmcnt(19) lgkmcnt(1)
	v_mul_f32_e32 v61, v44, v191
	v_fma_f32 v58, v42, v190, -v4
	v_mul_f32_e32 v4, v45, v191
	s_waitcnt vmcnt(18)
	v_fmac_f32_e32 v61, v45, v192
	v_fma_f32 v60, v44, v192, -v4
	v_pk_add_f32 v[14:15], v[52:53], v[58:59]
	v_pk_add_f32 v[14:15], v[14:15], v[60:61]
	ds_read2_b64 v[4:7], v1 offset0:99 offset1:100
	ds_read2_b64 v[8:11], v1 offset0:101 offset1:102
	ds_read_b64 v[12:13], v1 offset:824
	s_waitcnt vmcnt(13)
	v_mov_b32_e32 v16, v57
	v_pk_mul_f32 v[16:17], v[46:47], v[16:17] op_sel_hi:[1,0]
	s_waitcnt vmcnt(12)
	v_pk_fma_f32 v[18:19], v[46:47], v[56:57], v[16:17] op_sel:[0,0,1] op_sel_hi:[1,1,0] neg_lo:[0,0,1] neg_hi:[0,0,1]
	v_pk_fma_f32 v[16:17], v[46:47], v[56:57], v[16:17] op_sel:[0,0,1] op_sel_hi:[1,0,0]
	v_mov_b32_e32 v16, v55
	v_mov_b32_e32 v19, v17
	s_waitcnt lgkmcnt(3)
	v_pk_mul_f32 v[16:17], v[48:49], v[16:17] op_sel_hi:[1,0]
	v_pk_add_f32 v[14:15], v[14:15], v[18:19]
	v_pk_fma_f32 v[18:19], v[48:49], v[54:55], v[16:17] op_sel:[0,0,1] op_sel_hi:[1,1,0] neg_lo:[0,0,1] neg_hi:[0,0,1]
	v_pk_fma_f32 v[16:17], v[48:49], v[54:55], v[16:17] op_sel:[0,0,1] op_sel_hi:[1,0,0]
	s_waitcnt vmcnt(5)
	v_mov_b32_e32 v16, v69
	v_mov_b32_e32 v19, v17
	v_pk_mul_f32 v[16:17], v[50:51], v[16:17] op_sel_hi:[1,0]
	v_pk_add_f32 v[14:15], v[14:15], v[18:19]
	s_waitcnt vmcnt(4)
	v_pk_fma_f32 v[18:19], v[50:51], v[68:69], v[16:17] op_sel:[0,0,1] op_sel_hi:[1,1,0] neg_lo:[0,0,1] neg_hi:[0,0,1]
	v_pk_fma_f32 v[16:17], v[50:51], v[68:69], v[16:17] op_sel:[0,0,1] op_sel_hi:[1,0,0]
	v_mov_b32_e32 v16, v67
	v_mov_b32_e32 v19, v17
	s_waitcnt lgkmcnt(2)
	v_pk_mul_f32 v[16:17], v[4:5], v[16:17] op_sel_hi:[1,0]
	v_pk_add_f32 v[14:15], v[14:15], v[18:19]
	v_pk_fma_f32 v[18:19], v[4:5], v[66:67], v[16:17] op_sel:[0,0,1] op_sel_hi:[1,1,0] neg_lo:[0,0,1] neg_hi:[0,0,1]
	v_pk_fma_f32 v[4:5], v[4:5], v[66:67], v[16:17] op_sel:[0,0,1] op_sel_hi:[1,0,0]
	v_mov_b32_e32 v19, v5
	v_pk_add_f32 v[4:5], v[14:15], v[18:19]
	v_mov_b32_e32 v14, v65
	v_pk_mul_f32 v[14:15], v[6:7], v[14:15] op_sel_hi:[1,0]
	v_pk_fma_f32 v[16:17], v[6:7], v[64:65], v[14:15] op_sel:[0,0,1] op_sel_hi:[1,1,0] neg_lo:[0,0,1] neg_hi:[0,0,1]
	v_pk_fma_f32 v[6:7], v[6:7], v[64:65], v[14:15] op_sel:[0,0,1] op_sel_hi:[1,0,0]
	v_mov_b32_e32 v6, v63
	v_mov_b32_e32 v17, v7
	s_waitcnt lgkmcnt(1)
	v_pk_mul_f32 v[6:7], v[8:9], v[6:7] op_sel_hi:[1,0]
	v_pk_fma_f32 v[14:15], v[8:9], v[62:63], v[6:7] op_sel:[0,0,1] op_sel_hi:[1,1,0] neg_lo:[0,0,1] neg_hi:[0,0,1]
	v_pk_fma_f32 v[6:7], v[8:9], v[62:63], v[6:7] op_sel:[0,0,1] op_sel_hi:[1,0,0]
	s_waitcnt vmcnt(1)
	v_mov_b32_e32 v6, v73
	v_mov_b32_e32 v15, v7
	v_pk_mul_f32 v[6:7], v[10:11], v[6:7] op_sel_hi:[1,0]
	s_waitcnt vmcnt(0)
	v_pk_fma_f32 v[8:9], v[10:11], v[72:73], v[6:7] op_sel:[0,0,1] op_sel_hi:[1,1,0] neg_lo:[0,0,1] neg_hi:[0,0,1]
	v_pk_fma_f32 v[6:7], v[10:11], v[72:73], v[6:7] op_sel:[0,0,1] op_sel_hi:[1,0,0]
	v_pk_add_f32 v[4:5], v[4:5], v[16:17]
	v_mov_b32_e32 v6, v71
	v_pk_add_f32 v[4:5], v[4:5], v[14:15]
	v_mov_b32_e32 v9, v7
	s_waitcnt lgkmcnt(0)
	v_pk_mul_f32 v[6:7], v[12:13], v[6:7] op_sel_hi:[1,0]
	v_pk_add_f32 v[4:5], v[4:5], v[8:9]
	v_pk_fma_f32 v[8:9], v[12:13], v[70:71], v[6:7] op_sel:[0,0,1] op_sel_hi:[1,1,0] neg_lo:[0,0,1] neg_hi:[0,0,1]
	v_pk_fma_f32 v[6:7], v[12:13], v[70:71], v[6:7] op_sel:[0,0,1] op_sel_hi:[1,0,0]
	v_mov_b32_e32 v9, v7
	v_pk_add_f32 v[4:5], v[4:5], v[8:9]
	v_pk_add_f32 v[2:3], v[2:3], v[4:5] neg_lo:[0,1] neg_hi:[0,1]
	buffer_store_dword v3, off, s[0:3], 0 offset:180
	buffer_store_dword v2, off, s[0:3], 0 offset:176
	s_and_saveexec_b64 s[4:5], vcc
	s_cbranch_execz .LBB115_283
; %bb.282:
	buffer_load_dword v2, off, s[0:3], 0 offset:168
	buffer_load_dword v3, off, s[0:3], 0 offset:172
	s_waitcnt vmcnt(0)
	ds_write_b64 v129, v[2:3]
	buffer_store_dword v1, off, s[0:3], 0 offset:168
	buffer_store_dword v1, off, s[0:3], 0 offset:172
.LBB115_283:
	s_or_b64 exec, exec, s[4:5]
	s_waitcnt lgkmcnt(0)
	; wave barrier
	s_waitcnt lgkmcnt(0)
	buffer_load_dword v54, off, s[0:3], 0 offset:180
	buffer_load_dword v56, off, s[0:3], 0 offset:188
	;; [unrolled: 1-line block ×46, first 2 shown]
	ds_read_b128 v[4:7], v1 offset:592
	ds_read_b128 v[8:11], v1 offset:608
	;; [unrolled: 1-line block ×8, first 2 shown]
	v_cmp_lt_u32_e32 vcc, 20, v0
	s_waitcnt vmcnt(45) lgkmcnt(7)
	v_mul_f32_e32 v36, v4, v54
	s_waitcnt vmcnt(44)
	v_mul_f32_e32 v37, v6, v56
	s_waitcnt vmcnt(43) lgkmcnt(6)
	v_mul_f32_e32 v38, v8, v58
	s_waitcnt vmcnt(42)
	v_mul_f32_e32 v39, v10, v74
	;; [unrolled: 4-line block ×6, first 2 shown]
	s_waitcnt vmcnt(33) lgkmcnt(1)
	v_mul_f32_e32 v48, v28, v83
	s_waitcnt vmcnt(32)
	v_fmac_f32_e32 v36, v5, v84
	s_waitcnt vmcnt(31)
	v_fmac_f32_e32 v37, v7, v85
	v_add_f32_e32 v36, 0, v36
	s_waitcnt vmcnt(30)
	v_fmac_f32_e32 v38, v9, v86
	v_add_f32_e32 v36, v36, v37
	;; [unrolled: 3-line block ×12, first 2 shown]
	s_waitcnt vmcnt(19)
	v_mul_f32_e32 v37, v30, v97
	v_add_f32_e32 v36, v36, v48
	s_waitcnt vmcnt(18)
	v_fmac_f32_e32 v37, v31, v98
	v_add_f32_e32 v36, v36, v37
	s_waitcnt vmcnt(17) lgkmcnt(0)
	v_mul_f32_e32 v37, v32, v99
	s_waitcnt vmcnt(16)
	v_fmac_f32_e32 v37, v33, v100
	v_add_f32_e32 v40, v36, v37
	ds_read_b128 v[36:39], v1 offset:720
	s_waitcnt vmcnt(15)
	v_mul_f32_e32 v41, v34, v101
	s_waitcnt vmcnt(14)
	v_fmac_f32_e32 v41, v35, v102
	v_add_f32_e32 v44, v40, v41
	ds_read_b128 v[40:43], v1 offset:736
	buffer_load_dword v53, off, s[0:3], 0 offset:356
	buffer_load_dword v52, off, s[0:3], 0 offset:352
	s_waitcnt vmcnt(15) lgkmcnt(1)
	v_mul_f32_e32 v45, v36, v103
	s_waitcnt vmcnt(14)
	v_fmac_f32_e32 v45, v37, v104
	v_add_f32_e32 v44, v44, v45
	s_waitcnt vmcnt(13)
	v_mul_f32_e32 v45, v38, v105
	s_waitcnt vmcnt(12)
	v_fmac_f32_e32 v45, v39, v106
	v_add_f32_e32 v44, v44, v45
	s_waitcnt vmcnt(11) lgkmcnt(0)
	v_mul_f32_e32 v45, v40, v107
	s_waitcnt vmcnt(10)
	v_fmac_f32_e32 v45, v41, v108
	s_waitcnt vmcnt(9)
	v_mul_f32_e32 v49, v42, v109
	v_add_f32_e32 v48, v44, v45
	s_waitcnt vmcnt(8)
	v_fmac_f32_e32 v49, v43, v190
	ds_read_b128 v[44:47], v1 offset:752
	v_add_f32_e32 v55, v48, v49
	ds_read_b128 v[48:51], v1 offset:768
	buffer_load_dword v61, off, s[0:3], 0 offset:388
	buffer_load_dword v60, off, s[0:3], 0 offset:384
	;; [unrolled: 1-line block ×14, first 2 shown]
	v_mul_f32_e32 v5, v5, v54
	v_fma_f32 v4, v4, v84, -v5
	v_mul_f32_e32 v5, v7, v56
	v_add_f32_e32 v4, 0, v4
	v_fma_f32 v5, v6, v85, -v5
	v_add_f32_e32 v4, v4, v5
	v_mul_f32_e32 v5, v9, v58
	v_fma_f32 v5, v8, v86, -v5
	v_add_f32_e32 v4, v4, v5
	v_mul_f32_e32 v5, v11, v74
	;; [unrolled: 3-line block ×18, first 2 shown]
	v_fma_f32 v5, v42, v190, -v5
	s_waitcnt vmcnt(21) lgkmcnt(1)
	v_mul_f32_e32 v57, v44, v191
	v_add_f32_e32 v54, v4, v5
	v_mul_f32_e32 v4, v45, v191
	s_waitcnt vmcnt(20)
	v_fmac_f32_e32 v57, v45, v192
	s_waitcnt vmcnt(15)
	v_mov_b32_e32 v18, v53
	s_waitcnt lgkmcnt(0)
	v_pk_mul_f32 v[18:19], v[48:49], v[18:19] op_sel_hi:[1,0]
	v_mul_f32_e32 v59, v46, v193
	v_fma_f32 v56, v44, v192, -v4
	v_mul_f32_e32 v4, v47, v193
	s_waitcnt vmcnt(14)
	v_pk_fma_f32 v[20:21], v[48:49], v[52:53], v[18:19] op_sel:[0,0,1] op_sel_hi:[1,1,0] neg_lo:[0,0,1] neg_hi:[0,0,1]
	v_pk_fma_f32 v[18:19], v[48:49], v[52:53], v[18:19] op_sel:[0,0,1] op_sel_hi:[1,0,0]
	v_fmac_f32_e32 v59, v47, v194
	v_fma_f32 v58, v46, v194, -v4
	v_pk_add_f32 v[16:17], v[54:55], v[56:57]
	s_waitcnt vmcnt(7)
	v_mov_b32_e32 v18, v67
	ds_read_b128 v[4:7], v1 offset:784
	ds_read_b128 v[8:11], v1 offset:800
	;; [unrolled: 1-line block ×3, first 2 shown]
	v_pk_add_f32 v[16:17], v[16:17], v[58:59]
	v_mov_b32_e32 v21, v19
	v_pk_mul_f32 v[18:19], v[50:51], v[18:19] op_sel_hi:[1,0]
	v_pk_add_f32 v[16:17], v[16:17], v[20:21]
	s_waitcnt vmcnt(6)
	v_pk_fma_f32 v[20:21], v[50:51], v[66:67], v[18:19] op_sel:[0,0,1] op_sel_hi:[1,1,0] neg_lo:[0,0,1] neg_hi:[0,0,1]
	v_pk_fma_f32 v[18:19], v[50:51], v[66:67], v[18:19] op_sel:[0,0,1] op_sel_hi:[1,0,0]
	v_mov_b32_e32 v18, v65
	v_mov_b32_e32 v21, v19
	s_waitcnt lgkmcnt(2)
	v_pk_mul_f32 v[18:19], v[4:5], v[18:19] op_sel_hi:[1,0]
	v_pk_add_f32 v[16:17], v[16:17], v[20:21]
	v_pk_fma_f32 v[20:21], v[4:5], v[64:65], v[18:19] op_sel:[0,0,1] op_sel_hi:[1,1,0] neg_lo:[0,0,1] neg_hi:[0,0,1]
	v_pk_fma_f32 v[4:5], v[4:5], v[64:65], v[18:19] op_sel:[0,0,1] op_sel_hi:[1,0,0]
	v_mov_b32_e32 v21, v5
	v_pk_add_f32 v[4:5], v[16:17], v[20:21]
	v_mov_b32_e32 v16, v63
	v_pk_mul_f32 v[16:17], v[6:7], v[16:17] op_sel_hi:[1,0]
	v_pk_fma_f32 v[18:19], v[6:7], v[62:63], v[16:17] op_sel:[0,0,1] op_sel_hi:[1,1,0] neg_lo:[0,0,1] neg_hi:[0,0,1]
	v_pk_fma_f32 v[6:7], v[6:7], v[62:63], v[16:17] op_sel:[0,0,1] op_sel_hi:[1,0,0]
	v_mov_b32_e32 v6, v61
	v_mov_b32_e32 v19, v7
	s_waitcnt lgkmcnt(1)
	v_pk_mul_f32 v[6:7], v[8:9], v[6:7] op_sel_hi:[1,0]
	v_pk_fma_f32 v[16:17], v[8:9], v[60:61], v[6:7] op_sel:[0,0,1] op_sel_hi:[1,1,0] neg_lo:[0,0,1] neg_hi:[0,0,1]
	v_pk_fma_f32 v[6:7], v[8:9], v[60:61], v[6:7] op_sel:[0,0,1] op_sel_hi:[1,0,0]
	s_waitcnt vmcnt(1)
	v_mov_b32_e32 v6, v73
	v_mov_b32_e32 v17, v7
	v_pk_mul_f32 v[6:7], v[10:11], v[6:7] op_sel_hi:[1,0]
	s_waitcnt vmcnt(0)
	v_pk_fma_f32 v[8:9], v[10:11], v[72:73], v[6:7] op_sel:[0,0,1] op_sel_hi:[1,1,0] neg_lo:[0,0,1] neg_hi:[0,0,1]
	v_pk_fma_f32 v[6:7], v[10:11], v[72:73], v[6:7] op_sel:[0,0,1] op_sel_hi:[1,0,0]
	v_pk_add_f32 v[4:5], v[4:5], v[18:19]
	v_mov_b32_e32 v6, v71
	v_pk_add_f32 v[4:5], v[4:5], v[16:17]
	v_mov_b32_e32 v9, v7
	s_waitcnt lgkmcnt(0)
	v_pk_mul_f32 v[6:7], v[12:13], v[6:7] op_sel_hi:[1,0]
	v_pk_add_f32 v[4:5], v[4:5], v[8:9]
	v_pk_fma_f32 v[8:9], v[12:13], v[70:71], v[6:7] op_sel:[0,0,1] op_sel_hi:[1,1,0] neg_lo:[0,0,1] neg_hi:[0,0,1]
	v_pk_fma_f32 v[6:7], v[12:13], v[70:71], v[6:7] op_sel:[0,0,1] op_sel_hi:[1,0,0]
	v_mov_b32_e32 v6, v69
	v_mov_b32_e32 v9, v7
	v_pk_mul_f32 v[6:7], v[14:15], v[6:7] op_sel_hi:[1,0]
	v_pk_add_f32 v[4:5], v[4:5], v[8:9]
	v_pk_fma_f32 v[8:9], v[14:15], v[68:69], v[6:7] op_sel:[0,0,1] op_sel_hi:[1,1,0] neg_lo:[0,0,1] neg_hi:[0,0,1]
	v_pk_fma_f32 v[6:7], v[14:15], v[68:69], v[6:7] op_sel:[0,0,1] op_sel_hi:[1,0,0]
	v_mov_b32_e32 v9, v7
	v_pk_add_f32 v[4:5], v[4:5], v[8:9]
	v_pk_add_f32 v[2:3], v[2:3], v[4:5] neg_lo:[0,1] neg_hi:[0,1]
	buffer_store_dword v3, off, s[0:3], 0 offset:172
	buffer_store_dword v2, off, s[0:3], 0 offset:168
	s_and_saveexec_b64 s[4:5], vcc
	s_cbranch_execz .LBB115_285
; %bb.284:
	buffer_load_dword v2, off, s[0:3], 0 offset:160
	buffer_load_dword v3, off, s[0:3], 0 offset:164
	v_mov_b32_e32 v1, 0
	buffer_store_dword v1, off, s[0:3], 0 offset:160
	buffer_store_dword v1, off, s[0:3], 0 offset:164
	s_waitcnt vmcnt(2)
	ds_write_b64 v129, v[2:3]
.LBB115_285:
	s_or_b64 exec, exec, s[4:5]
	s_waitcnt lgkmcnt(0)
	; wave barrier
	s_waitcnt lgkmcnt(0)
	buffer_load_dword v52, off, s[0:3], 0 offset:172
	buffer_load_dword v54, off, s[0:3], 0 offset:180
	;; [unrolled: 1-line block ×48, first 2 shown]
	v_mov_b32_e32 v1, 0
	ds_read2_b64 v[4:7], v1 offset0:73 offset1:74
	ds_read2_b64 v[8:11], v1 offset0:75 offset1:76
	;; [unrolled: 1-line block ×6, first 2 shown]
	v_cmp_lt_u32_e32 vcc, 19, v0
	s_waitcnt vmcnt(47) lgkmcnt(5)
	v_mul_f32_e32 v28, v4, v52
	s_waitcnt vmcnt(46)
	v_mul_f32_e32 v29, v6, v54
	s_waitcnt vmcnt(45) lgkmcnt(4)
	v_mul_f32_e32 v30, v8, v56
	s_waitcnt vmcnt(44)
	v_mul_f32_e32 v31, v10, v74
	;; [unrolled: 4-line block ×6, first 2 shown]
	s_waitcnt vmcnt(35)
	v_fmac_f32_e32 v28, v5, v83
	s_waitcnt vmcnt(34)
	v_fmac_f32_e32 v29, v7, v84
	v_add_f32_e32 v28, 0, v28
	s_waitcnt vmcnt(33)
	v_fmac_f32_e32 v30, v9, v85
	v_add_f32_e32 v28, v28, v29
	;; [unrolled: 3-line block ×8, first 2 shown]
	v_add_f32_e32 v32, v28, v36
	ds_read2_b64 v[28:31], v1 offset0:85 offset1:86
	s_waitcnt vmcnt(26)
	v_fmac_f32_e32 v37, v23, v92
	s_waitcnt vmcnt(25)
	v_fmac_f32_e32 v38, v25, v93
	v_add_f32_e32 v32, v32, v37
	s_waitcnt vmcnt(24)
	v_fmac_f32_e32 v39, v27, v94
	v_add_f32_e32 v32, v32, v38
	v_add_f32_e32 v36, v32, v39
	ds_read2_b64 v[32:35], v1 offset0:87 offset1:88
	s_waitcnt vmcnt(23) lgkmcnt(1)
	v_mul_f32_e32 v37, v28, v95
	s_waitcnt vmcnt(22)
	v_fmac_f32_e32 v37, v29, v96
	v_add_f32_e32 v36, v36, v37
	s_waitcnt vmcnt(21)
	v_mul_f32_e32 v37, v30, v97
	s_waitcnt vmcnt(20)
	v_fmac_f32_e32 v37, v31, v98
	v_add_f32_e32 v36, v36, v37
	s_waitcnt vmcnt(19) lgkmcnt(0)
	v_mul_f32_e32 v37, v32, v99
	s_waitcnt vmcnt(18)
	v_fmac_f32_e32 v37, v33, v100
	v_add_f32_e32 v40, v36, v37
	ds_read2_b64 v[36:39], v1 offset0:89 offset1:90
	s_waitcnt vmcnt(17)
	v_mul_f32_e32 v41, v34, v101
	s_waitcnt vmcnt(16)
	v_fmac_f32_e32 v41, v35, v102
	v_add_f32_e32 v44, v40, v41
	ds_read2_b64 v[40:43], v1 offset0:91 offset1:92
	s_waitcnt vmcnt(15) lgkmcnt(1)
	v_mul_f32_e32 v45, v36, v103
	s_waitcnt vmcnt(14)
	v_fmac_f32_e32 v45, v37, v104
	v_add_f32_e32 v44, v44, v45
	s_waitcnt vmcnt(13)
	v_mul_f32_e32 v45, v38, v105
	s_waitcnt vmcnt(12)
	v_fmac_f32_e32 v45, v39, v106
	v_add_f32_e32 v44, v44, v45
	s_waitcnt vmcnt(11) lgkmcnt(0)
	v_mul_f32_e32 v45, v40, v107
	s_waitcnt vmcnt(10)
	v_fmac_f32_e32 v45, v41, v108
	s_waitcnt vmcnt(9)
	v_mul_f32_e32 v49, v42, v109
	v_add_f32_e32 v48, v44, v45
	s_waitcnt vmcnt(8)
	v_fmac_f32_e32 v49, v43, v190
	ds_read2_b64 v[44:47], v1 offset0:93 offset1:94
	v_add_f32_e32 v53, v48, v49
	ds_read2_b64 v[48:51], v1 offset0:95 offset1:96
	buffer_load_dword v59, off, s[0:3], 0 offset:380
	buffer_load_dword v58, off, s[0:3], 0 offset:376
	;; [unrolled: 1-line block ×16, first 2 shown]
	v_mul_f32_e32 v5, v5, v52
	v_fma_f32 v4, v4, v83, -v5
	v_mul_f32_e32 v5, v7, v54
	v_add_f32_e32 v4, 0, v4
	v_fma_f32 v5, v6, v84, -v5
	v_add_f32_e32 v4, v4, v5
	v_mul_f32_e32 v5, v9, v56
	v_fma_f32 v5, v8, v85, -v5
	v_add_f32_e32 v4, v4, v5
	v_mul_f32_e32 v5, v11, v74
	;; [unrolled: 3-line block ×18, first 2 shown]
	v_fma_f32 v5, v42, v190, -v5
	v_add_f32_e32 v4, v4, v5
	s_waitcnt vmcnt(22) lgkmcnt(1)
	v_mul_f32_e32 v5, v45, v192
	v_mul_f32_e32 v55, v44, v192
	v_fma_f32 v5, v44, v191, -v5
	v_fmac_f32_e32 v55, v45, v191
	v_add_f32_e32 v52, v4, v5
	s_waitcnt vmcnt(19)
	v_mul_f32_e32 v4, v47, v193
	v_add_f32_e32 v53, v53, v55
	v_mul_f32_e32 v55, v46, v193
	s_waitcnt vmcnt(18)
	v_fma_f32 v54, v46, v194, -v4
	s_waitcnt vmcnt(17) lgkmcnt(0)
	v_mul_f32_e32 v4, v49, v195
	s_waitcnt vmcnt(9)
	v_mov_b32_e32 v20, v65
	v_pk_mul_f32 v[20:21], v[50:51], v[20:21] op_sel_hi:[1,0]
	v_fmac_f32_e32 v55, v47, v194
	v_mul_f32_e32 v57, v48, v195
	v_fma_f32 v56, v48, v196, -v4
	ds_read2_b64 v[4:7], v1 offset0:97 offset1:98
	ds_read2_b64 v[8:11], v1 offset0:99 offset1:100
	;; [unrolled: 1-line block ×3, first 2 shown]
	ds_read_b64 v[16:17], v1 offset:824
	s_waitcnt vmcnt(8)
	v_pk_fma_f32 v[22:23], v[50:51], v[64:65], v[20:21] op_sel:[0,0,1] op_sel_hi:[1,1,0] neg_lo:[0,0,1] neg_hi:[0,0,1]
	v_pk_fma_f32 v[20:21], v[50:51], v[64:65], v[20:21] op_sel:[0,0,1] op_sel_hi:[1,0,0]
	v_fmac_f32_e32 v57, v49, v196
	v_pk_add_f32 v[18:19], v[52:53], v[54:55]
	v_mov_b32_e32 v20, v63
	v_pk_add_f32 v[18:19], v[18:19], v[56:57]
	v_mov_b32_e32 v23, v21
	s_waitcnt lgkmcnt(3)
	v_pk_mul_f32 v[20:21], v[4:5], v[20:21] op_sel_hi:[1,0]
	v_pk_add_f32 v[18:19], v[18:19], v[22:23]
	v_pk_fma_f32 v[22:23], v[4:5], v[62:63], v[20:21] op_sel:[0,0,1] op_sel_hi:[1,1,0] neg_lo:[0,0,1] neg_hi:[0,0,1]
	v_pk_fma_f32 v[4:5], v[4:5], v[62:63], v[20:21] op_sel:[0,0,1] op_sel_hi:[1,0,0]
	v_mov_b32_e32 v23, v5
	v_pk_add_f32 v[4:5], v[18:19], v[22:23]
	v_mov_b32_e32 v18, v61
	v_pk_mul_f32 v[18:19], v[6:7], v[18:19] op_sel_hi:[1,0]
	v_pk_fma_f32 v[20:21], v[6:7], v[60:61], v[18:19] op_sel:[0,0,1] op_sel_hi:[1,1,0] neg_lo:[0,0,1] neg_hi:[0,0,1]
	v_pk_fma_f32 v[6:7], v[6:7], v[60:61], v[18:19] op_sel:[0,0,1] op_sel_hi:[1,0,0]
	v_mov_b32_e32 v6, v59
	v_mov_b32_e32 v21, v7
	s_waitcnt lgkmcnt(2)
	v_pk_mul_f32 v[6:7], v[8:9], v[6:7] op_sel_hi:[1,0]
	v_pk_fma_f32 v[18:19], v[8:9], v[58:59], v[6:7] op_sel:[0,0,1] op_sel_hi:[1,1,0] neg_lo:[0,0,1] neg_hi:[0,0,1]
	v_pk_fma_f32 v[6:7], v[8:9], v[58:59], v[6:7] op_sel:[0,0,1] op_sel_hi:[1,0,0]
	s_waitcnt vmcnt(1)
	v_mov_b32_e32 v6, v73
	v_mov_b32_e32 v19, v7
	v_pk_mul_f32 v[6:7], v[10:11], v[6:7] op_sel_hi:[1,0]
	s_waitcnt vmcnt(0)
	v_pk_fma_f32 v[8:9], v[10:11], v[72:73], v[6:7] op_sel:[0,0,1] op_sel_hi:[1,1,0] neg_lo:[0,0,1] neg_hi:[0,0,1]
	v_pk_fma_f32 v[6:7], v[10:11], v[72:73], v[6:7] op_sel:[0,0,1] op_sel_hi:[1,0,0]
	v_pk_add_f32 v[4:5], v[4:5], v[20:21]
	v_mov_b32_e32 v6, v71
	v_pk_add_f32 v[4:5], v[4:5], v[18:19]
	v_mov_b32_e32 v9, v7
	s_waitcnt lgkmcnt(1)
	v_pk_mul_f32 v[6:7], v[12:13], v[6:7] op_sel_hi:[1,0]
	v_pk_add_f32 v[4:5], v[4:5], v[8:9]
	v_pk_fma_f32 v[8:9], v[12:13], v[70:71], v[6:7] op_sel:[0,0,1] op_sel_hi:[1,1,0] neg_lo:[0,0,1] neg_hi:[0,0,1]
	v_pk_fma_f32 v[6:7], v[12:13], v[70:71], v[6:7] op_sel:[0,0,1] op_sel_hi:[1,0,0]
	v_mov_b32_e32 v6, v69
	v_mov_b32_e32 v9, v7
	v_pk_mul_f32 v[6:7], v[14:15], v[6:7] op_sel_hi:[1,0]
	v_pk_add_f32 v[4:5], v[4:5], v[8:9]
	v_pk_fma_f32 v[8:9], v[14:15], v[68:69], v[6:7] op_sel:[0,0,1] op_sel_hi:[1,1,0] neg_lo:[0,0,1] neg_hi:[0,0,1]
	v_pk_fma_f32 v[6:7], v[14:15], v[68:69], v[6:7] op_sel:[0,0,1] op_sel_hi:[1,0,0]
	v_mov_b32_e32 v6, v67
	v_mov_b32_e32 v9, v7
	s_waitcnt lgkmcnt(0)
	v_pk_mul_f32 v[6:7], v[16:17], v[6:7] op_sel_hi:[1,0]
	v_pk_add_f32 v[4:5], v[4:5], v[8:9]
	v_pk_fma_f32 v[8:9], v[16:17], v[66:67], v[6:7] op_sel:[0,0,1] op_sel_hi:[1,1,0] neg_lo:[0,0,1] neg_hi:[0,0,1]
	v_pk_fma_f32 v[6:7], v[16:17], v[66:67], v[6:7] op_sel:[0,0,1] op_sel_hi:[1,0,0]
	v_mov_b32_e32 v9, v7
	v_pk_add_f32 v[4:5], v[4:5], v[8:9]
	v_pk_add_f32 v[2:3], v[2:3], v[4:5] neg_lo:[0,1] neg_hi:[0,1]
	buffer_store_dword v3, off, s[0:3], 0 offset:164
	buffer_store_dword v2, off, s[0:3], 0 offset:160
	s_and_saveexec_b64 s[4:5], vcc
	s_cbranch_execz .LBB115_287
; %bb.286:
	buffer_load_dword v2, off, s[0:3], 0 offset:152
	buffer_load_dword v3, off, s[0:3], 0 offset:156
	s_waitcnt vmcnt(0)
	ds_write_b64 v129, v[2:3]
	buffer_store_dword v1, off, s[0:3], 0 offset:152
	buffer_store_dword v1, off, s[0:3], 0 offset:156
.LBB115_287:
	s_or_b64 exec, exec, s[4:5]
	s_waitcnt lgkmcnt(0)
	; wave barrier
	s_waitcnt lgkmcnt(0)
	buffer_load_dword v52, off, s[0:3], 0 offset:164
	buffer_load_dword v54, off, s[0:3], 0 offset:172
	;; [unrolled: 1-line block ×48, first 2 shown]
	ds_read_b128 v[4:7], v1 offset:576
	ds_read_b128 v[8:11], v1 offset:592
	;; [unrolled: 1-line block ×6, first 2 shown]
	buffer_load_dword v197, off, s[0:3], 0 offset:344
	buffer_load_dword v198, off, s[0:3], 0 offset:348
	v_cmp_lt_u32_e32 vcc, 18, v0
	s_waitcnt vmcnt(49) lgkmcnt(5)
	v_mul_f32_e32 v28, v4, v52
	s_waitcnt vmcnt(48)
	v_mul_f32_e32 v29, v6, v54
	s_waitcnt vmcnt(47) lgkmcnt(4)
	v_mul_f32_e32 v30, v8, v62
	s_waitcnt vmcnt(46)
	v_mul_f32_e32 v31, v10, v74
	;; [unrolled: 4-line block ×6, first 2 shown]
	s_waitcnt vmcnt(37)
	v_fmac_f32_e32 v28, v5, v83
	s_waitcnt vmcnt(36)
	v_fmac_f32_e32 v29, v7, v84
	v_add_f32_e32 v28, 0, v28
	s_waitcnt vmcnt(35)
	v_fmac_f32_e32 v30, v9, v85
	v_add_f32_e32 v28, v28, v29
	;; [unrolled: 3-line block ×9, first 2 shown]
	v_add_f32_e32 v32, v28, v37
	ds_read_b128 v[28:31], v1 offset:672
	s_waitcnt vmcnt(27)
	v_fmac_f32_e32 v38, v25, v93
	v_add_f32_e32 v32, v32, v38
	s_waitcnt vmcnt(26)
	v_fmac_f32_e32 v39, v27, v94
	v_add_f32_e32 v36, v32, v39
	ds_read_b128 v[32:35], v1 offset:688
	s_waitcnt vmcnt(25) lgkmcnt(1)
	v_mul_f32_e32 v37, v28, v95
	s_waitcnt vmcnt(24)
	v_fmac_f32_e32 v37, v29, v96
	v_add_f32_e32 v36, v36, v37
	s_waitcnt vmcnt(23)
	v_mul_f32_e32 v37, v30, v97
	s_waitcnt vmcnt(22)
	v_fmac_f32_e32 v37, v31, v98
	v_add_f32_e32 v36, v36, v37
	s_waitcnt vmcnt(21) lgkmcnt(0)
	v_mul_f32_e32 v37, v32, v99
	s_waitcnt vmcnt(20)
	v_fmac_f32_e32 v37, v33, v100
	v_add_f32_e32 v40, v36, v37
	ds_read_b128 v[36:39], v1 offset:704
	s_waitcnt vmcnt(19)
	v_mul_f32_e32 v41, v34, v101
	s_waitcnt vmcnt(18)
	v_fmac_f32_e32 v41, v35, v102
	v_add_f32_e32 v44, v40, v41
	ds_read_b128 v[40:43], v1 offset:720
	s_waitcnt vmcnt(17) lgkmcnt(1)
	v_mul_f32_e32 v45, v36, v103
	s_waitcnt vmcnt(16)
	v_fmac_f32_e32 v45, v37, v104
	v_add_f32_e32 v44, v44, v45
	s_waitcnt vmcnt(15)
	v_mul_f32_e32 v45, v38, v105
	s_waitcnt vmcnt(14)
	v_fmac_f32_e32 v45, v39, v106
	v_add_f32_e32 v44, v44, v45
	s_waitcnt vmcnt(13) lgkmcnt(0)
	v_mul_f32_e32 v45, v40, v107
	s_waitcnt vmcnt(12)
	v_fmac_f32_e32 v45, v41, v108
	s_waitcnt vmcnt(11)
	v_mul_f32_e32 v49, v42, v109
	v_add_f32_e32 v48, v44, v45
	s_waitcnt vmcnt(10)
	v_fmac_f32_e32 v49, v43, v190
	ds_read_b128 v[44:47], v1 offset:736
	v_add_f32_e32 v53, v48, v49
	ds_read_b128 v[48:51], v1 offset:752
	buffer_load_dword v57, off, s[0:3], 0 offset:372
	buffer_load_dword v56, off, s[0:3], 0 offset:368
	;; [unrolled: 1-line block ×16, first 2 shown]
	v_mul_f32_e32 v5, v5, v52
	v_fma_f32 v4, v4, v83, -v5
	v_mul_f32_e32 v5, v7, v54
	v_add_f32_e32 v4, 0, v4
	v_fma_f32 v5, v6, v84, -v5
	v_add_f32_e32 v4, v4, v5
	v_mul_f32_e32 v5, v9, v62
	v_fma_f32 v5, v8, v85, -v5
	v_add_f32_e32 v4, v4, v5
	v_mul_f32_e32 v5, v11, v74
	;; [unrolled: 3-line block ×18, first 2 shown]
	v_fma_f32 v5, v42, v190, -v5
	v_add_f32_e32 v4, v4, v5
	s_waitcnt vmcnt(23) lgkmcnt(1)
	v_mul_f32_e32 v5, v45, v191
	s_waitcnt vmcnt(22)
	v_fma_f32 v5, v44, v192, -v5
	v_add_f32_e32 v4, v4, v5
	s_waitcnt vmcnt(20)
	v_mul_f32_e32 v5, v47, v194
	v_mul_f32_e32 v55, v44, v191
	v_fma_f32 v5, v46, v193, -v5
	v_fmac_f32_e32 v55, v45, v192
	v_add_f32_e32 v52, v4, v5
	s_waitcnt vmcnt(18) lgkmcnt(0)
	v_mul_f32_e32 v4, v49, v196
	v_add_f32_e32 v53, v53, v55
	v_mul_f32_e32 v55, v46, v194
	v_fma_f32 v54, v48, v195, -v4
	s_waitcnt vmcnt(16)
	v_mul_f32_e32 v4, v51, v198
	v_fmac_f32_e32 v55, v47, v193
	v_fma_f32 v62, v50, v197, -v4
	ds_read_b128 v[4:7], v1 offset:768
	ds_read_b128 v[8:11], v1 offset:784
	;; [unrolled: 1-line block ×4, first 2 shown]
	v_add_f32_e32 v53, v53, v55
	v_mul_f32_e32 v55, v48, v196
	s_waitcnt vmcnt(11)
	v_mov_b32_e32 v22, v61
	v_fmac_f32_e32 v55, v49, v195
	v_mul_f32_e32 v63, v50, v198
	s_waitcnt lgkmcnt(3)
	v_pk_mul_f32 v[22:23], v[4:5], v[22:23] op_sel_hi:[1,0]
	v_fmac_f32_e32 v63, v51, v197
	v_pk_add_f32 v[20:21], v[52:53], v[54:55]
	s_waitcnt vmcnt(10)
	v_pk_fma_f32 v[24:25], v[4:5], v[60:61], v[22:23] op_sel:[0,0,1] op_sel_hi:[1,1,0] neg_lo:[0,0,1] neg_hi:[0,0,1]
	v_pk_fma_f32 v[4:5], v[4:5], v[60:61], v[22:23] op_sel:[0,0,1] op_sel_hi:[1,0,0]
	v_pk_add_f32 v[20:21], v[20:21], v[62:63]
	v_mov_b32_e32 v25, v5
	v_pk_add_f32 v[4:5], v[20:21], v[24:25]
	v_mov_b32_e32 v20, v59
	v_pk_mul_f32 v[20:21], v[6:7], v[20:21] op_sel_hi:[1,0]
	v_pk_fma_f32 v[22:23], v[6:7], v[58:59], v[20:21] op_sel:[0,0,1] op_sel_hi:[1,1,0] neg_lo:[0,0,1] neg_hi:[0,0,1]
	v_pk_fma_f32 v[6:7], v[6:7], v[58:59], v[20:21] op_sel:[0,0,1] op_sel_hi:[1,0,0]
	v_mov_b32_e32 v6, v57
	v_mov_b32_e32 v23, v7
	s_waitcnt lgkmcnt(2)
	v_pk_mul_f32 v[6:7], v[8:9], v[6:7] op_sel_hi:[1,0]
	v_pk_fma_f32 v[20:21], v[8:9], v[56:57], v[6:7] op_sel:[0,0,1] op_sel_hi:[1,1,0] neg_lo:[0,0,1] neg_hi:[0,0,1]
	v_pk_fma_f32 v[6:7], v[8:9], v[56:57], v[6:7] op_sel:[0,0,1] op_sel_hi:[1,0,0]
	s_waitcnt vmcnt(3)
	v_mov_b32_e32 v6, v71
	v_mov_b32_e32 v21, v7
	v_pk_mul_f32 v[6:7], v[10:11], v[6:7] op_sel_hi:[1,0]
	s_waitcnt vmcnt(2)
	v_pk_fma_f32 v[8:9], v[10:11], v[70:71], v[6:7] op_sel:[0,0,1] op_sel_hi:[1,1,0] neg_lo:[0,0,1] neg_hi:[0,0,1]
	v_pk_fma_f32 v[6:7], v[10:11], v[70:71], v[6:7] op_sel:[0,0,1] op_sel_hi:[1,0,0]
	v_pk_add_f32 v[4:5], v[4:5], v[22:23]
	v_mov_b32_e32 v6, v69
	v_pk_add_f32 v[4:5], v[4:5], v[20:21]
	v_mov_b32_e32 v9, v7
	s_waitcnt lgkmcnt(1)
	v_pk_mul_f32 v[6:7], v[12:13], v[6:7] op_sel_hi:[1,0]
	v_pk_add_f32 v[4:5], v[4:5], v[8:9]
	v_pk_fma_f32 v[8:9], v[12:13], v[68:69], v[6:7] op_sel:[0,0,1] op_sel_hi:[1,1,0] neg_lo:[0,0,1] neg_hi:[0,0,1]
	v_pk_fma_f32 v[6:7], v[12:13], v[68:69], v[6:7] op_sel:[0,0,1] op_sel_hi:[1,0,0]
	v_mov_b32_e32 v6, v67
	v_mov_b32_e32 v9, v7
	v_pk_mul_f32 v[6:7], v[14:15], v[6:7] op_sel_hi:[1,0]
	v_pk_add_f32 v[4:5], v[4:5], v[8:9]
	v_pk_fma_f32 v[8:9], v[14:15], v[66:67], v[6:7] op_sel:[0,0,1] op_sel_hi:[1,1,0] neg_lo:[0,0,1] neg_hi:[0,0,1]
	v_pk_fma_f32 v[6:7], v[14:15], v[66:67], v[6:7] op_sel:[0,0,1] op_sel_hi:[1,0,0]
	v_mov_b32_e32 v6, v65
	v_mov_b32_e32 v9, v7
	s_waitcnt lgkmcnt(0)
	v_pk_mul_f32 v[6:7], v[16:17], v[6:7] op_sel_hi:[1,0]
	v_pk_add_f32 v[4:5], v[4:5], v[8:9]
	v_pk_fma_f32 v[8:9], v[16:17], v[64:65], v[6:7] op_sel:[0,0,1] op_sel_hi:[1,1,0] neg_lo:[0,0,1] neg_hi:[0,0,1]
	v_pk_fma_f32 v[6:7], v[16:17], v[64:65], v[6:7] op_sel:[0,0,1] op_sel_hi:[1,0,0]
	s_waitcnt vmcnt(1)
	v_mov_b32_e32 v6, v73
	v_mov_b32_e32 v9, v7
	v_pk_mul_f32 v[6:7], v[18:19], v[6:7] op_sel_hi:[1,0]
	v_pk_add_f32 v[4:5], v[4:5], v[8:9]
	s_waitcnt vmcnt(0)
	v_pk_fma_f32 v[8:9], v[18:19], v[72:73], v[6:7] op_sel:[0,0,1] op_sel_hi:[1,1,0] neg_lo:[0,0,1] neg_hi:[0,0,1]
	v_pk_fma_f32 v[6:7], v[18:19], v[72:73], v[6:7] op_sel:[0,0,1] op_sel_hi:[1,0,0]
	v_mov_b32_e32 v9, v7
	v_pk_add_f32 v[4:5], v[4:5], v[8:9]
	v_pk_add_f32 v[2:3], v[2:3], v[4:5] neg_lo:[0,1] neg_hi:[0,1]
	buffer_store_dword v3, off, s[0:3], 0 offset:156
	buffer_store_dword v2, off, s[0:3], 0 offset:152
	s_and_saveexec_b64 s[4:5], vcc
	s_cbranch_execz .LBB115_289
; %bb.288:
	buffer_load_dword v2, off, s[0:3], 0 offset:144
	buffer_load_dword v3, off, s[0:3], 0 offset:148
	v_mov_b32_e32 v1, 0
	buffer_store_dword v1, off, s[0:3], 0 offset:144
	buffer_store_dword v1, off, s[0:3], 0 offset:148
	s_waitcnt vmcnt(2)
	ds_write_b64 v129, v[2:3]
.LBB115_289:
	s_or_b64 exec, exec, s[4:5]
	s_waitcnt lgkmcnt(0)
	; wave barrier
	s_waitcnt lgkmcnt(0)
	buffer_load_dword v60, off, s[0:3], 0 offset:156
	buffer_load_dword v66, off, s[0:3], 0 offset:164
	;; [unrolled: 1-line block ×52, first 2 shown]
	v_mov_b32_e32 v1, 0
	ds_read2_b64 v[4:7], v1 offset0:71 offset1:72
	ds_read2_b64 v[8:11], v1 offset0:73 offset1:74
	;; [unrolled: 1-line block ×6, first 2 shown]
	v_cmp_lt_u32_e32 vcc, 17, v0
	s_waitcnt vmcnt(51) lgkmcnt(5)
	v_mul_f32_e32 v28, v4, v60
	s_waitcnt vmcnt(50)
	v_mul_f32_e32 v29, v6, v66
	s_waitcnt vmcnt(49) lgkmcnt(4)
	v_mul_f32_e32 v30, v8, v68
	s_waitcnt vmcnt(48)
	v_mul_f32_e32 v31, v10, v82
	;; [unrolled: 4-line block ×5, first 2 shown]
	s_waitcnt vmcnt(41) lgkmcnt(0)
	v_mul_f32_e32 v38, v24, v89
	s_waitcnt vmcnt(40)
	v_fmac_f32_e32 v28, v5, v90
	s_waitcnt vmcnt(39)
	v_fmac_f32_e32 v29, v7, v91
	v_add_f32_e32 v28, 0, v28
	s_waitcnt vmcnt(38)
	v_fmac_f32_e32 v30, v9, v92
	v_add_f32_e32 v28, v28, v29
	;; [unrolled: 3-line block ×9, first 2 shown]
	v_add_f32_e32 v28, v28, v37
	s_waitcnt vmcnt(30)
	v_fmac_f32_e32 v38, v25, v100
	v_add_f32_e32 v32, v28, v38
	ds_read2_b64 v[28:31], v1 offset0:83 offset1:84
	s_waitcnt vmcnt(29)
	v_mul_f32_e32 v33, v26, v101
	s_waitcnt vmcnt(28)
	v_fmac_f32_e32 v33, v27, v102
	v_add_f32_e32 v36, v32, v33
	ds_read2_b64 v[32:35], v1 offset0:85 offset1:86
	s_waitcnt vmcnt(27) lgkmcnt(1)
	v_mul_f32_e32 v37, v28, v103
	s_waitcnt vmcnt(26)
	v_fmac_f32_e32 v37, v29, v104
	v_add_f32_e32 v36, v36, v37
	s_waitcnt vmcnt(25)
	v_mul_f32_e32 v37, v30, v105
	s_waitcnt vmcnt(24)
	v_fmac_f32_e32 v37, v31, v106
	v_add_f32_e32 v36, v36, v37
	s_waitcnt vmcnt(23) lgkmcnt(0)
	v_mul_f32_e32 v37, v32, v107
	s_waitcnt vmcnt(22)
	v_fmac_f32_e32 v37, v33, v108
	v_add_f32_e32 v40, v36, v37
	ds_read2_b64 v[36:39], v1 offset0:87 offset1:88
	s_waitcnt vmcnt(21)
	v_mul_f32_e32 v41, v34, v109
	s_waitcnt vmcnt(20)
	v_fmac_f32_e32 v41, v35, v190
	v_add_f32_e32 v44, v40, v41
	ds_read2_b64 v[40:43], v1 offset0:89 offset1:90
	s_waitcnt vmcnt(19) lgkmcnt(1)
	v_mul_f32_e32 v45, v36, v191
	s_waitcnt vmcnt(18)
	v_fmac_f32_e32 v45, v37, v192
	v_add_f32_e32 v44, v44, v45
	s_waitcnt vmcnt(17)
	v_mul_f32_e32 v45, v38, v193
	s_waitcnt vmcnt(16)
	v_fmac_f32_e32 v45, v39, v194
	v_add_f32_e32 v44, v44, v45
	s_waitcnt vmcnt(14) lgkmcnt(0)
	v_mul_f32_e32 v45, v40, v196
	v_fmac_f32_e32 v45, v41, v195
	v_add_f32_e32 v48, v44, v45
	ds_read2_b64 v[44:47], v1 offset0:91 offset1:92
	s_waitcnt vmcnt(10)
	v_mul_f32_e32 v49, v42, v198
	v_fmac_f32_e32 v49, v43, v197
	v_add_f32_e32 v52, v48, v49
	ds_read2_b64 v[48:51], v1 offset0:93 offset1:94
	s_waitcnt vmcnt(8) lgkmcnt(1)
	v_mul_f32_e32 v53, v44, v200
	v_fmac_f32_e32 v53, v45, v199
	v_add_f32_e32 v52, v52, v53
	s_waitcnt vmcnt(6)
	v_mul_f32_e32 v53, v46, v202
	v_fmac_f32_e32 v53, v47, v201
	v_add_f32_e32 v52, v52, v53
	s_waitcnt vmcnt(4) lgkmcnt(0)
	v_mul_f32_e32 v53, v48, v204
	v_fmac_f32_e32 v53, v49, v203
	v_add_f32_e32 v61, v52, v53
	ds_read2_b64 v[52:55], v1 offset0:95 offset1:96
	buffer_load_dword v63, off, s[0:3], 0 offset:364
	buffer_load_dword v62, off, s[0:3], 0 offset:360
	;; [unrolled: 1-line block ×4, first 2 shown]
	ds_read2_b64 v[56:59], v1 offset0:97 offset1:98
	buffer_load_dword v71, off, s[0:3], 0 offset:396
	buffer_load_dword v70, off, s[0:3], 0 offset:392
	;; [unrolled: 1-line block ×12, first 2 shown]
	v_mul_f32_e32 v5, v5, v60
	v_fma_f32 v4, v4, v90, -v5
	v_mul_f32_e32 v5, v7, v66
	v_add_f32_e32 v4, 0, v4
	v_fma_f32 v5, v6, v91, -v5
	v_add_f32_e32 v4, v4, v5
	v_mul_f32_e32 v5, v9, v68
	v_fma_f32 v5, v8, v92, -v5
	v_add_f32_e32 v4, v4, v5
	v_mul_f32_e32 v5, v11, v82
	;; [unrolled: 3-line block ×21, first 2 shown]
	v_fma_f32 v5, v48, v203, -v5
	s_waitcnt vmcnt(18)
	v_mul_f32_e32 v67, v50, v206
	v_add_f32_e32 v60, v4, v5
	v_mul_f32_e32 v4, v51, v206
	v_fmac_f32_e32 v67, v51, v205
	s_waitcnt vmcnt(16) lgkmcnt(1)
	v_mul_f32_e32 v69, v52, v208
	v_fma_f32 v66, v50, v205, -v4
	v_mul_f32_e32 v4, v53, v208
	v_fmac_f32_e32 v69, v53, v207
	s_waitcnt vmcnt(13)
	v_mov_b32_e32 v16, v65
	v_pk_mul_f32 v[16:17], v[54:55], v[16:17] op_sel_hi:[1,0]
	s_waitcnt vmcnt(12)
	v_pk_fma_f32 v[18:19], v[54:55], v[64:65], v[16:17] op_sel:[0,0,1] op_sel_hi:[1,1,0] neg_lo:[0,0,1] neg_hi:[0,0,1]
	v_pk_fma_f32 v[16:17], v[54:55], v[64:65], v[16:17] op_sel:[0,0,1] op_sel_hi:[1,0,0]
	v_fma_f32 v68, v52, v207, -v4
	v_pk_add_f32 v[14:15], v[60:61], v[66:67]
	v_mov_b32_e32 v16, v63
	v_pk_add_f32 v[14:15], v[14:15], v[68:69]
	v_mov_b32_e32 v19, v17
	s_waitcnt lgkmcnt(0)
	v_pk_mul_f32 v[16:17], v[56:57], v[16:17] op_sel_hi:[1,0]
	v_pk_add_f32 v[14:15], v[14:15], v[18:19]
	v_pk_fma_f32 v[18:19], v[56:57], v[62:63], v[16:17] op_sel:[0,0,1] op_sel_hi:[1,1,0] neg_lo:[0,0,1] neg_hi:[0,0,1]
	v_pk_fma_f32 v[16:17], v[56:57], v[62:63], v[16:17] op_sel:[0,0,1] op_sel_hi:[1,0,0]
	s_waitcnt vmcnt(5)
	v_mov_b32_e32 v16, v77
	ds_read2_b64 v[4:7], v1 offset0:99 offset1:100
	ds_read2_b64 v[8:11], v1 offset0:101 offset1:102
	ds_read_b64 v[12:13], v1 offset:824
	v_mov_b32_e32 v19, v17
	v_pk_mul_f32 v[16:17], v[58:59], v[16:17] op_sel_hi:[1,0]
	v_pk_add_f32 v[14:15], v[14:15], v[18:19]
	s_waitcnt vmcnt(4)
	v_pk_fma_f32 v[18:19], v[58:59], v[76:77], v[16:17] op_sel:[0,0,1] op_sel_hi:[1,1,0] neg_lo:[0,0,1] neg_hi:[0,0,1]
	v_pk_fma_f32 v[16:17], v[58:59], v[76:77], v[16:17] op_sel:[0,0,1] op_sel_hi:[1,0,0]
	v_mov_b32_e32 v16, v75
	v_mov_b32_e32 v19, v17
	s_waitcnt lgkmcnt(2)
	v_pk_mul_f32 v[16:17], v[4:5], v[16:17] op_sel_hi:[1,0]
	v_pk_add_f32 v[14:15], v[14:15], v[18:19]
	v_pk_fma_f32 v[18:19], v[4:5], v[74:75], v[16:17] op_sel:[0,0,1] op_sel_hi:[1,1,0] neg_lo:[0,0,1] neg_hi:[0,0,1]
	v_pk_fma_f32 v[4:5], v[4:5], v[74:75], v[16:17] op_sel:[0,0,1] op_sel_hi:[1,0,0]
	v_mov_b32_e32 v19, v5
	v_pk_add_f32 v[4:5], v[14:15], v[18:19]
	v_mov_b32_e32 v14, v73
	v_pk_mul_f32 v[14:15], v[6:7], v[14:15] op_sel_hi:[1,0]
	v_pk_fma_f32 v[16:17], v[6:7], v[72:73], v[14:15] op_sel:[0,0,1] op_sel_hi:[1,1,0] neg_lo:[0,0,1] neg_hi:[0,0,1]
	v_pk_fma_f32 v[6:7], v[6:7], v[72:73], v[14:15] op_sel:[0,0,1] op_sel_hi:[1,0,0]
	v_mov_b32_e32 v6, v71
	v_mov_b32_e32 v17, v7
	s_waitcnt lgkmcnt(1)
	v_pk_mul_f32 v[6:7], v[8:9], v[6:7] op_sel_hi:[1,0]
	v_pk_fma_f32 v[14:15], v[8:9], v[70:71], v[6:7] op_sel:[0,0,1] op_sel_hi:[1,1,0] neg_lo:[0,0,1] neg_hi:[0,0,1]
	v_pk_fma_f32 v[6:7], v[8:9], v[70:71], v[6:7] op_sel:[0,0,1] op_sel_hi:[1,0,0]
	s_waitcnt vmcnt(1)
	v_mov_b32_e32 v6, v81
	v_mov_b32_e32 v15, v7
	v_pk_mul_f32 v[6:7], v[10:11], v[6:7] op_sel_hi:[1,0]
	s_waitcnt vmcnt(0)
	v_pk_fma_f32 v[8:9], v[10:11], v[80:81], v[6:7] op_sel:[0,0,1] op_sel_hi:[1,1,0] neg_lo:[0,0,1] neg_hi:[0,0,1]
	v_pk_fma_f32 v[6:7], v[10:11], v[80:81], v[6:7] op_sel:[0,0,1] op_sel_hi:[1,0,0]
	v_pk_add_f32 v[4:5], v[4:5], v[16:17]
	v_mov_b32_e32 v6, v79
	v_pk_add_f32 v[4:5], v[4:5], v[14:15]
	v_mov_b32_e32 v9, v7
	s_waitcnt lgkmcnt(0)
	v_pk_mul_f32 v[6:7], v[12:13], v[6:7] op_sel_hi:[1,0]
	v_pk_add_f32 v[4:5], v[4:5], v[8:9]
	v_pk_fma_f32 v[8:9], v[12:13], v[78:79], v[6:7] op_sel:[0,0,1] op_sel_hi:[1,1,0] neg_lo:[0,0,1] neg_hi:[0,0,1]
	v_pk_fma_f32 v[6:7], v[12:13], v[78:79], v[6:7] op_sel:[0,0,1] op_sel_hi:[1,0,0]
	v_mov_b32_e32 v9, v7
	v_pk_add_f32 v[4:5], v[4:5], v[8:9]
	v_pk_add_f32 v[2:3], v[2:3], v[4:5] neg_lo:[0,1] neg_hi:[0,1]
	buffer_store_dword v3, off, s[0:3], 0 offset:148
	buffer_store_dword v2, off, s[0:3], 0 offset:144
	s_and_saveexec_b64 s[4:5], vcc
	s_cbranch_execz .LBB115_291
; %bb.290:
	buffer_load_dword v2, off, s[0:3], 0 offset:136
	buffer_load_dword v3, off, s[0:3], 0 offset:140
	s_waitcnt vmcnt(0)
	ds_write_b64 v129, v[2:3]
	buffer_store_dword v1, off, s[0:3], 0 offset:136
	buffer_store_dword v1, off, s[0:3], 0 offset:140
.LBB115_291:
	s_or_b64 exec, exec, s[4:5]
	s_waitcnt lgkmcnt(0)
	; wave barrier
	s_waitcnt lgkmcnt(0)
	buffer_load_dword v62, off, s[0:3], 0 offset:148
	buffer_load_dword v64, off, s[0:3], 0 offset:156
	buffer_load_dword v66, off, s[0:3], 0 offset:164
	buffer_load_dword v82, off, s[0:3], 0 offset:172
	buffer_load_dword v83, off, s[0:3], 0 offset:180
	buffer_load_dword v84, off, s[0:3], 0 offset:188
	buffer_load_dword v85, off, s[0:3], 0 offset:196
	buffer_load_dword v86, off, s[0:3], 0 offset:204
	buffer_load_dword v87, off, s[0:3], 0 offset:212
	buffer_load_dword v88, off, s[0:3], 0 offset:220
	buffer_load_dword v89, off, s[0:3], 0 offset:144
	buffer_load_dword v90, off, s[0:3], 0 offset:152
	buffer_load_dword v91, off, s[0:3], 0 offset:160
	buffer_load_dword v92, off, s[0:3], 0 offset:168
	buffer_load_dword v93, off, s[0:3], 0 offset:176
	buffer_load_dword v94, off, s[0:3], 0 offset:184
	buffer_load_dword v95, off, s[0:3], 0 offset:192
	buffer_load_dword v96, off, s[0:3], 0 offset:200
	buffer_load_dword v97, off, s[0:3], 0 offset:208
	buffer_load_dword v98, off, s[0:3], 0 offset:216
	buffer_load_dword v99, off, s[0:3], 0 offset:228
	buffer_load_dword v100, off, s[0:3], 0 offset:224
	buffer_load_dword v101, off, s[0:3], 0 offset:236
	buffer_load_dword v102, off, s[0:3], 0 offset:232
	buffer_load_dword v103, off, s[0:3], 0 offset:244
	buffer_load_dword v104, off, s[0:3], 0 offset:240
	buffer_load_dword v105, off, s[0:3], 0 offset:252
	buffer_load_dword v106, off, s[0:3], 0 offset:248
	buffer_load_dword v107, off, s[0:3], 0 offset:260
	buffer_load_dword v108, off, s[0:3], 0 offset:256
	buffer_load_dword v109, off, s[0:3], 0 offset:268
	buffer_load_dword v190, off, s[0:3], 0 offset:264
	buffer_load_dword v191, off, s[0:3], 0 offset:276
	buffer_load_dword v192, off, s[0:3], 0 offset:272
	buffer_load_dword v193, off, s[0:3], 0 offset:280
	buffer_load_dword v194, off, s[0:3], 0 offset:284
	buffer_load_dword v2, off, s[0:3], 0 offset:136
	buffer_load_dword v3, off, s[0:3], 0 offset:140
	buffer_load_dword v195, off, s[0:3], 0 offset:292
	buffer_load_dword v196, off, s[0:3], 0 offset:288
	buffer_load_dword v197, off, s[0:3], 0 offset:296
	buffer_load_dword v198, off, s[0:3], 0 offset:300
	ds_read_b128 v[4:7], v1 offset:560
	ds_read_b128 v[8:11], v1 offset:576
	buffer_load_dword v199, off, s[0:3], 0 offset:304
	buffer_load_dword v200, off, s[0:3], 0 offset:308
	ds_read_b128 v[12:15], v1 offset:592
	ds_read_b128 v[16:19], v1 offset:608
	buffer_load_dword v201, off, s[0:3], 0 offset:312
	buffer_load_dword v202, off, s[0:3], 0 offset:316
	;; [unrolled: 1-line block ×4, first 2 shown]
	ds_read_b128 v[20:23], v1 offset:624
	ds_read_b128 v[24:27], v1 offset:640
	buffer_load_dword v205, off, s[0:3], 0 offset:328
	buffer_load_dword v206, off, s[0:3], 0 offset:332
	;; [unrolled: 1-line block ×6, first 2 shown]
	v_cmp_lt_u32_e32 vcc, 16, v0
	s_waitcnt vmcnt(53) lgkmcnt(5)
	v_mul_f32_e32 v28, v4, v62
	s_waitcnt vmcnt(52)
	v_mul_f32_e32 v29, v6, v64
	s_waitcnt vmcnt(51) lgkmcnt(4)
	v_mul_f32_e32 v30, v8, v66
	s_waitcnt vmcnt(50)
	v_mul_f32_e32 v31, v10, v82
	;; [unrolled: 4-line block ×5, first 2 shown]
	s_waitcnt vmcnt(43)
	v_fmac_f32_e32 v28, v5, v89
	s_waitcnt vmcnt(42)
	v_fmac_f32_e32 v29, v7, v90
	v_add_f32_e32 v28, 0, v28
	s_waitcnt vmcnt(41)
	v_fmac_f32_e32 v30, v9, v91
	v_add_f32_e32 v28, v28, v29
	;; [unrolled: 3-line block ×9, first 2 shown]
	s_waitcnt vmcnt(33) lgkmcnt(0)
	v_mul_f32_e32 v29, v24, v99
	v_add_f32_e32 v28, v28, v37
	s_waitcnt vmcnt(32)
	v_fmac_f32_e32 v29, v25, v100
	v_add_f32_e32 v32, v28, v29
	ds_read_b128 v[28:31], v1 offset:656
	s_waitcnt vmcnt(31)
	v_mul_f32_e32 v33, v26, v101
	s_waitcnt vmcnt(30)
	v_fmac_f32_e32 v33, v27, v102
	v_add_f32_e32 v36, v32, v33
	ds_read_b128 v[32:35], v1 offset:672
	s_waitcnt vmcnt(29) lgkmcnt(1)
	v_mul_f32_e32 v37, v28, v103
	s_waitcnt vmcnt(28)
	v_fmac_f32_e32 v37, v29, v104
	v_add_f32_e32 v36, v36, v37
	s_waitcnt vmcnt(27)
	v_mul_f32_e32 v37, v30, v105
	s_waitcnt vmcnt(26)
	v_fmac_f32_e32 v37, v31, v106
	v_add_f32_e32 v36, v36, v37
	s_waitcnt vmcnt(25) lgkmcnt(0)
	v_mul_f32_e32 v37, v32, v107
	s_waitcnt vmcnt(24)
	v_fmac_f32_e32 v37, v33, v108
	v_add_f32_e32 v40, v36, v37
	ds_read_b128 v[36:39], v1 offset:688
	s_waitcnt vmcnt(23)
	v_mul_f32_e32 v41, v34, v109
	s_waitcnt vmcnt(22)
	v_fmac_f32_e32 v41, v35, v190
	v_add_f32_e32 v44, v40, v41
	ds_read_b128 v[40:43], v1 offset:704
	s_waitcnt vmcnt(21) lgkmcnt(1)
	v_mul_f32_e32 v45, v36, v191
	s_waitcnt vmcnt(20)
	v_fmac_f32_e32 v45, v37, v192
	v_add_f32_e32 v44, v44, v45
	s_waitcnt vmcnt(18)
	v_mul_f32_e32 v45, v38, v194
	v_fmac_f32_e32 v45, v39, v193
	v_add_f32_e32 v44, v44, v45
	s_waitcnt vmcnt(15) lgkmcnt(0)
	v_mul_f32_e32 v45, v40, v195
	s_waitcnt vmcnt(14)
	v_fmac_f32_e32 v45, v41, v196
	v_add_f32_e32 v48, v44, v45
	ds_read_b128 v[44:47], v1 offset:720
	s_waitcnt vmcnt(12)
	v_mul_f32_e32 v49, v42, v198
	v_fmac_f32_e32 v49, v43, v197
	v_add_f32_e32 v52, v48, v49
	ds_read_b128 v[48:51], v1 offset:736
	buffer_load_dword v61, off, s[0:3], 0 offset:356
	buffer_load_dword v60, off, s[0:3], 0 offset:352
	s_waitcnt vmcnt(12) lgkmcnt(1)
	v_mul_f32_e32 v53, v44, v200
	v_fmac_f32_e32 v53, v45, v199
	v_add_f32_e32 v52, v52, v53
	s_waitcnt vmcnt(10)
	v_mul_f32_e32 v53, v46, v202
	v_fmac_f32_e32 v53, v47, v201
	v_add_f32_e32 v52, v52, v53
	s_waitcnt vmcnt(8) lgkmcnt(0)
	v_mul_f32_e32 v53, v48, v204
	v_fmac_f32_e32 v53, v49, v203
	s_waitcnt vmcnt(6)
	v_mul_f32_e32 v57, v50, v206
	v_add_f32_e32 v56, v52, v53
	v_fmac_f32_e32 v57, v51, v205
	ds_read_b128 v[52:55], v1 offset:752
	v_add_f32_e32 v63, v56, v57
	ds_read_b128 v[56:59], v1 offset:768
	buffer_load_dword v69, off, s[0:3], 0 offset:388
	buffer_load_dword v68, off, s[0:3], 0 offset:384
	;; [unrolled: 1-line block ×14, first 2 shown]
	v_mul_f32_e32 v5, v5, v62
	v_fma_f32 v4, v4, v89, -v5
	v_mul_f32_e32 v5, v7, v64
	v_add_f32_e32 v4, 0, v4
	v_fma_f32 v5, v6, v90, -v5
	v_add_f32_e32 v4, v4, v5
	v_mul_f32_e32 v5, v9, v66
	v_fma_f32 v5, v8, v91, -v5
	v_add_f32_e32 v4, v4, v5
	v_mul_f32_e32 v5, v11, v82
	;; [unrolled: 3-line block ×22, first 2 shown]
	v_fma_f32 v5, v50, v205, -v5
	s_waitcnt vmcnt(15)
	v_mov_b32_e32 v18, v61
	s_waitcnt lgkmcnt(1)
	v_mul_f32_e32 v65, v52, v208
	v_add_f32_e32 v62, v4, v5
	v_mul_f32_e32 v4, v53, v208
	s_waitcnt lgkmcnt(0)
	v_pk_mul_f32 v[18:19], v[56:57], v[18:19] op_sel_hi:[1,0]
	v_fmac_f32_e32 v65, v53, v207
	v_mul_f32_e32 v67, v54, v210
	v_fma_f32 v64, v52, v207, -v4
	v_mul_f32_e32 v4, v55, v210
	s_waitcnt vmcnt(14)
	v_pk_fma_f32 v[20:21], v[56:57], v[60:61], v[18:19] op_sel:[0,0,1] op_sel_hi:[1,1,0] neg_lo:[0,0,1] neg_hi:[0,0,1]
	v_pk_fma_f32 v[18:19], v[56:57], v[60:61], v[18:19] op_sel:[0,0,1] op_sel_hi:[1,0,0]
	v_fmac_f32_e32 v67, v55, v209
	v_fma_f32 v66, v54, v209, -v4
	v_pk_add_f32 v[16:17], v[62:63], v[64:65]
	s_waitcnt vmcnt(7)
	v_mov_b32_e32 v18, v75
	ds_read_b128 v[4:7], v1 offset:784
	ds_read_b128 v[8:11], v1 offset:800
	;; [unrolled: 1-line block ×3, first 2 shown]
	v_pk_add_f32 v[16:17], v[16:17], v[66:67]
	v_mov_b32_e32 v21, v19
	v_pk_mul_f32 v[18:19], v[58:59], v[18:19] op_sel_hi:[1,0]
	v_pk_add_f32 v[16:17], v[16:17], v[20:21]
	s_waitcnt vmcnt(6)
	v_pk_fma_f32 v[20:21], v[58:59], v[74:75], v[18:19] op_sel:[0,0,1] op_sel_hi:[1,1,0] neg_lo:[0,0,1] neg_hi:[0,0,1]
	v_pk_fma_f32 v[18:19], v[58:59], v[74:75], v[18:19] op_sel:[0,0,1] op_sel_hi:[1,0,0]
	v_mov_b32_e32 v18, v73
	v_mov_b32_e32 v21, v19
	s_waitcnt lgkmcnt(2)
	v_pk_mul_f32 v[18:19], v[4:5], v[18:19] op_sel_hi:[1,0]
	v_pk_add_f32 v[16:17], v[16:17], v[20:21]
	v_pk_fma_f32 v[20:21], v[4:5], v[72:73], v[18:19] op_sel:[0,0,1] op_sel_hi:[1,1,0] neg_lo:[0,0,1] neg_hi:[0,0,1]
	v_pk_fma_f32 v[4:5], v[4:5], v[72:73], v[18:19] op_sel:[0,0,1] op_sel_hi:[1,0,0]
	v_mov_b32_e32 v21, v5
	v_pk_add_f32 v[4:5], v[16:17], v[20:21]
	v_mov_b32_e32 v16, v71
	v_pk_mul_f32 v[16:17], v[6:7], v[16:17] op_sel_hi:[1,0]
	v_pk_fma_f32 v[18:19], v[6:7], v[70:71], v[16:17] op_sel:[0,0,1] op_sel_hi:[1,1,0] neg_lo:[0,0,1] neg_hi:[0,0,1]
	v_pk_fma_f32 v[6:7], v[6:7], v[70:71], v[16:17] op_sel:[0,0,1] op_sel_hi:[1,0,0]
	v_mov_b32_e32 v6, v69
	v_mov_b32_e32 v19, v7
	s_waitcnt lgkmcnt(1)
	v_pk_mul_f32 v[6:7], v[8:9], v[6:7] op_sel_hi:[1,0]
	v_pk_fma_f32 v[16:17], v[8:9], v[68:69], v[6:7] op_sel:[0,0,1] op_sel_hi:[1,1,0] neg_lo:[0,0,1] neg_hi:[0,0,1]
	v_pk_fma_f32 v[6:7], v[8:9], v[68:69], v[6:7] op_sel:[0,0,1] op_sel_hi:[1,0,0]
	s_waitcnt vmcnt(1)
	v_mov_b32_e32 v6, v81
	v_mov_b32_e32 v17, v7
	v_pk_mul_f32 v[6:7], v[10:11], v[6:7] op_sel_hi:[1,0]
	s_waitcnt vmcnt(0)
	v_pk_fma_f32 v[8:9], v[10:11], v[80:81], v[6:7] op_sel:[0,0,1] op_sel_hi:[1,1,0] neg_lo:[0,0,1] neg_hi:[0,0,1]
	v_pk_fma_f32 v[6:7], v[10:11], v[80:81], v[6:7] op_sel:[0,0,1] op_sel_hi:[1,0,0]
	v_pk_add_f32 v[4:5], v[4:5], v[18:19]
	v_mov_b32_e32 v6, v79
	v_pk_add_f32 v[4:5], v[4:5], v[16:17]
	v_mov_b32_e32 v9, v7
	s_waitcnt lgkmcnt(0)
	v_pk_mul_f32 v[6:7], v[12:13], v[6:7] op_sel_hi:[1,0]
	v_pk_add_f32 v[4:5], v[4:5], v[8:9]
	v_pk_fma_f32 v[8:9], v[12:13], v[78:79], v[6:7] op_sel:[0,0,1] op_sel_hi:[1,1,0] neg_lo:[0,0,1] neg_hi:[0,0,1]
	v_pk_fma_f32 v[6:7], v[12:13], v[78:79], v[6:7] op_sel:[0,0,1] op_sel_hi:[1,0,0]
	v_mov_b32_e32 v6, v77
	v_mov_b32_e32 v9, v7
	v_pk_mul_f32 v[6:7], v[14:15], v[6:7] op_sel_hi:[1,0]
	v_pk_add_f32 v[4:5], v[4:5], v[8:9]
	v_pk_fma_f32 v[8:9], v[14:15], v[76:77], v[6:7] op_sel:[0,0,1] op_sel_hi:[1,1,0] neg_lo:[0,0,1] neg_hi:[0,0,1]
	v_pk_fma_f32 v[6:7], v[14:15], v[76:77], v[6:7] op_sel:[0,0,1] op_sel_hi:[1,0,0]
	v_mov_b32_e32 v9, v7
	v_pk_add_f32 v[4:5], v[4:5], v[8:9]
	v_pk_add_f32 v[2:3], v[2:3], v[4:5] neg_lo:[0,1] neg_hi:[0,1]
	buffer_store_dword v3, off, s[0:3], 0 offset:140
	buffer_store_dword v2, off, s[0:3], 0 offset:136
	s_and_saveexec_b64 s[4:5], vcc
	s_cbranch_execz .LBB115_293
; %bb.292:
	buffer_load_dword v2, off, s[0:3], 0 offset:128
	buffer_load_dword v3, off, s[0:3], 0 offset:132
	v_mov_b32_e32 v1, 0
	buffer_store_dword v1, off, s[0:3], 0 offset:128
	buffer_store_dword v1, off, s[0:3], 0 offset:132
	s_waitcnt vmcnt(2)
	ds_write_b64 v129, v[2:3]
.LBB115_293:
	s_or_b64 exec, exec, s[4:5]
	s_waitcnt lgkmcnt(0)
	; wave barrier
	s_waitcnt lgkmcnt(0)
	buffer_load_dword v60, off, s[0:3], 0 offset:140
	buffer_load_dword v62, off, s[0:3], 0 offset:148
	;; [unrolled: 1-line block ×56, first 2 shown]
	v_mov_b32_e32 v1, 0
	ds_read2_b64 v[4:7], v1 offset0:69 offset1:70
	ds_read2_b64 v[8:11], v1 offset0:71 offset1:72
	;; [unrolled: 1-line block ×6, first 2 shown]
	v_cmp_lt_u32_e32 vcc, 15, v0
	s_waitcnt vmcnt(55) lgkmcnt(5)
	v_mul_f32_e32 v28, v4, v60
	s_waitcnt vmcnt(54)
	v_mul_f32_e32 v29, v6, v62
	s_waitcnt vmcnt(53) lgkmcnt(4)
	v_mul_f32_e32 v30, v8, v64
	s_waitcnt vmcnt(52)
	v_mul_f32_e32 v31, v10, v82
	;; [unrolled: 4-line block ×4, first 2 shown]
	s_waitcnt vmcnt(47) lgkmcnt(1)
	v_mul_f32_e32 v36, v20, v87
	s_waitcnt vmcnt(46)
	v_fmac_f32_e32 v28, v5, v88
	s_waitcnt vmcnt(45)
	v_fmac_f32_e32 v29, v7, v89
	v_add_f32_e32 v28, 0, v28
	s_waitcnt vmcnt(44)
	v_fmac_f32_e32 v30, v9, v90
	v_add_f32_e32 v28, v28, v29
	;; [unrolled: 3-line block ×7, first 2 shown]
	v_add_f32_e32 v28, v28, v35
	s_waitcnt vmcnt(38)
	v_fmac_f32_e32 v36, v21, v96
	s_waitcnt vmcnt(37)
	v_mul_f32_e32 v29, v22, v97
	v_add_f32_e32 v28, v28, v36
	s_waitcnt vmcnt(36)
	v_fmac_f32_e32 v29, v23, v98
	v_add_f32_e32 v28, v28, v29
	s_waitcnt vmcnt(35) lgkmcnt(0)
	v_mul_f32_e32 v29, v24, v99
	s_waitcnt vmcnt(34)
	v_fmac_f32_e32 v29, v25, v100
	v_add_f32_e32 v32, v28, v29
	ds_read2_b64 v[28:31], v1 offset0:81 offset1:82
	s_waitcnt vmcnt(33)
	v_mul_f32_e32 v33, v26, v101
	s_waitcnt vmcnt(32)
	v_fmac_f32_e32 v33, v27, v102
	v_add_f32_e32 v36, v32, v33
	ds_read2_b64 v[32:35], v1 offset0:83 offset1:84
	s_waitcnt vmcnt(31) lgkmcnt(1)
	v_mul_f32_e32 v37, v28, v103
	s_waitcnt vmcnt(30)
	v_fmac_f32_e32 v37, v29, v104
	v_add_f32_e32 v36, v36, v37
	s_waitcnt vmcnt(29)
	v_mul_f32_e32 v37, v30, v105
	s_waitcnt vmcnt(28)
	v_fmac_f32_e32 v37, v31, v106
	v_add_f32_e32 v36, v36, v37
	s_waitcnt vmcnt(27) lgkmcnt(0)
	v_mul_f32_e32 v37, v32, v107
	s_waitcnt vmcnt(26)
	v_fmac_f32_e32 v37, v33, v108
	v_add_f32_e32 v40, v36, v37
	ds_read2_b64 v[36:39], v1 offset0:85 offset1:86
	s_waitcnt vmcnt(24)
	v_mul_f32_e32 v41, v34, v190
	v_fmac_f32_e32 v41, v35, v109
	v_add_f32_e32 v44, v40, v41
	ds_read2_b64 v[40:43], v1 offset0:87 offset1:88
	s_waitcnt vmcnt(20) lgkmcnt(1)
	v_mul_f32_e32 v45, v36, v192
	v_fmac_f32_e32 v45, v37, v191
	v_add_f32_e32 v44, v44, v45
	s_waitcnt vmcnt(18)
	v_mul_f32_e32 v45, v38, v194
	v_fmac_f32_e32 v45, v39, v193
	v_add_f32_e32 v44, v44, v45
	s_waitcnt vmcnt(16) lgkmcnt(0)
	v_mul_f32_e32 v45, v40, v196
	v_fmac_f32_e32 v45, v41, v195
	v_add_f32_e32 v48, v44, v45
	ds_read2_b64 v[44:47], v1 offset0:89 offset1:90
	s_waitcnt vmcnt(14)
	v_mul_f32_e32 v49, v42, v198
	v_fmac_f32_e32 v49, v43, v197
	v_add_f32_e32 v52, v48, v49
	ds_read2_b64 v[48:51], v1 offset0:91 offset1:92
	s_waitcnt vmcnt(12) lgkmcnt(1)
	v_mul_f32_e32 v53, v44, v200
	v_fmac_f32_e32 v53, v45, v199
	v_add_f32_e32 v52, v52, v53
	s_waitcnt vmcnt(10)
	v_mul_f32_e32 v53, v46, v202
	v_fmac_f32_e32 v53, v47, v201
	v_add_f32_e32 v52, v52, v53
	s_waitcnt vmcnt(8) lgkmcnt(0)
	v_mul_f32_e32 v53, v48, v204
	v_fmac_f32_e32 v53, v49, v203
	s_waitcnt vmcnt(6)
	v_mul_f32_e32 v57, v50, v206
	v_add_f32_e32 v56, v52, v53
	v_fmac_f32_e32 v57, v51, v205
	ds_read2_b64 v[52:55], v1 offset0:93 offset1:94
	v_add_f32_e32 v61, v56, v57
	ds_read2_b64 v[56:59], v1 offset0:95 offset1:96
	buffer_load_dword v67, off, s[0:3], 0 offset:380
	buffer_load_dword v66, off, s[0:3], 0 offset:376
	;; [unrolled: 1-line block ×16, first 2 shown]
	v_mul_f32_e32 v5, v5, v60
	v_fma_f32 v4, v4, v88, -v5
	v_mul_f32_e32 v5, v7, v62
	v_add_f32_e32 v4, 0, v4
	v_fma_f32 v5, v6, v89, -v5
	v_add_f32_e32 v4, v4, v5
	v_mul_f32_e32 v5, v9, v64
	v_fma_f32 v5, v8, v90, -v5
	v_add_f32_e32 v4, v4, v5
	v_mul_f32_e32 v5, v11, v82
	;; [unrolled: 3-line block ×22, first 2 shown]
	v_fma_f32 v5, v50, v205, -v5
	v_add_f32_e32 v4, v4, v5
	s_waitcnt vmcnt(20) lgkmcnt(1)
	v_mul_f32_e32 v5, v53, v208
	v_mul_f32_e32 v63, v52, v208
	v_fma_f32 v5, v52, v207, -v5
	v_fmac_f32_e32 v63, v53, v207
	v_add_f32_e32 v60, v4, v5
	s_waitcnt vmcnt(18)
	v_mul_f32_e32 v4, v55, v210
	s_waitcnt vmcnt(9)
	v_mov_b32_e32 v20, v73
	v_add_f32_e32 v61, v61, v63
	v_mul_f32_e32 v63, v54, v210
	v_fma_f32 v62, v54, v209, -v4
	s_waitcnt lgkmcnt(0)
	v_mul_f32_e32 v4, v57, v212
	v_pk_mul_f32 v[20:21], v[58:59], v[20:21] op_sel_hi:[1,0]
	v_fmac_f32_e32 v63, v55, v209
	v_mul_f32_e32 v65, v56, v212
	v_fma_f32 v64, v56, v211, -v4
	ds_read2_b64 v[4:7], v1 offset0:97 offset1:98
	ds_read2_b64 v[8:11], v1 offset0:99 offset1:100
	;; [unrolled: 1-line block ×3, first 2 shown]
	ds_read_b64 v[16:17], v1 offset:824
	s_waitcnt vmcnt(8)
	v_pk_fma_f32 v[22:23], v[58:59], v[72:73], v[20:21] op_sel:[0,0,1] op_sel_hi:[1,1,0] neg_lo:[0,0,1] neg_hi:[0,0,1]
	v_pk_fma_f32 v[20:21], v[58:59], v[72:73], v[20:21] op_sel:[0,0,1] op_sel_hi:[1,0,0]
	v_fmac_f32_e32 v65, v57, v211
	v_pk_add_f32 v[18:19], v[60:61], v[62:63]
	v_mov_b32_e32 v20, v71
	v_pk_add_f32 v[18:19], v[18:19], v[64:65]
	v_mov_b32_e32 v23, v21
	s_waitcnt lgkmcnt(3)
	v_pk_mul_f32 v[20:21], v[4:5], v[20:21] op_sel_hi:[1,0]
	v_pk_add_f32 v[18:19], v[18:19], v[22:23]
	v_pk_fma_f32 v[22:23], v[4:5], v[70:71], v[20:21] op_sel:[0,0,1] op_sel_hi:[1,1,0] neg_lo:[0,0,1] neg_hi:[0,0,1]
	v_pk_fma_f32 v[4:5], v[4:5], v[70:71], v[20:21] op_sel:[0,0,1] op_sel_hi:[1,0,0]
	v_mov_b32_e32 v23, v5
	v_pk_add_f32 v[4:5], v[18:19], v[22:23]
	v_mov_b32_e32 v18, v69
	v_pk_mul_f32 v[18:19], v[6:7], v[18:19] op_sel_hi:[1,0]
	v_pk_fma_f32 v[20:21], v[6:7], v[68:69], v[18:19] op_sel:[0,0,1] op_sel_hi:[1,1,0] neg_lo:[0,0,1] neg_hi:[0,0,1]
	v_pk_fma_f32 v[6:7], v[6:7], v[68:69], v[18:19] op_sel:[0,0,1] op_sel_hi:[1,0,0]
	v_mov_b32_e32 v6, v67
	v_mov_b32_e32 v21, v7
	s_waitcnt lgkmcnt(2)
	v_pk_mul_f32 v[6:7], v[8:9], v[6:7] op_sel_hi:[1,0]
	v_pk_fma_f32 v[18:19], v[8:9], v[66:67], v[6:7] op_sel:[0,0,1] op_sel_hi:[1,1,0] neg_lo:[0,0,1] neg_hi:[0,0,1]
	v_pk_fma_f32 v[6:7], v[8:9], v[66:67], v[6:7] op_sel:[0,0,1] op_sel_hi:[1,0,0]
	s_waitcnt vmcnt(1)
	v_mov_b32_e32 v6, v81
	v_mov_b32_e32 v19, v7
	v_pk_mul_f32 v[6:7], v[10:11], v[6:7] op_sel_hi:[1,0]
	s_waitcnt vmcnt(0)
	v_pk_fma_f32 v[8:9], v[10:11], v[80:81], v[6:7] op_sel:[0,0,1] op_sel_hi:[1,1,0] neg_lo:[0,0,1] neg_hi:[0,0,1]
	v_pk_fma_f32 v[6:7], v[10:11], v[80:81], v[6:7] op_sel:[0,0,1] op_sel_hi:[1,0,0]
	v_pk_add_f32 v[4:5], v[4:5], v[20:21]
	v_mov_b32_e32 v6, v79
	v_pk_add_f32 v[4:5], v[4:5], v[18:19]
	v_mov_b32_e32 v9, v7
	s_waitcnt lgkmcnt(1)
	v_pk_mul_f32 v[6:7], v[12:13], v[6:7] op_sel_hi:[1,0]
	v_pk_add_f32 v[4:5], v[4:5], v[8:9]
	v_pk_fma_f32 v[8:9], v[12:13], v[78:79], v[6:7] op_sel:[0,0,1] op_sel_hi:[1,1,0] neg_lo:[0,0,1] neg_hi:[0,0,1]
	v_pk_fma_f32 v[6:7], v[12:13], v[78:79], v[6:7] op_sel:[0,0,1] op_sel_hi:[1,0,0]
	v_mov_b32_e32 v6, v77
	v_mov_b32_e32 v9, v7
	v_pk_mul_f32 v[6:7], v[14:15], v[6:7] op_sel_hi:[1,0]
	v_pk_add_f32 v[4:5], v[4:5], v[8:9]
	v_pk_fma_f32 v[8:9], v[14:15], v[76:77], v[6:7] op_sel:[0,0,1] op_sel_hi:[1,1,0] neg_lo:[0,0,1] neg_hi:[0,0,1]
	v_pk_fma_f32 v[6:7], v[14:15], v[76:77], v[6:7] op_sel:[0,0,1] op_sel_hi:[1,0,0]
	v_mov_b32_e32 v6, v75
	v_mov_b32_e32 v9, v7
	s_waitcnt lgkmcnt(0)
	v_pk_mul_f32 v[6:7], v[16:17], v[6:7] op_sel_hi:[1,0]
	v_pk_add_f32 v[4:5], v[4:5], v[8:9]
	v_pk_fma_f32 v[8:9], v[16:17], v[74:75], v[6:7] op_sel:[0,0,1] op_sel_hi:[1,1,0] neg_lo:[0,0,1] neg_hi:[0,0,1]
	v_pk_fma_f32 v[6:7], v[16:17], v[74:75], v[6:7] op_sel:[0,0,1] op_sel_hi:[1,0,0]
	v_mov_b32_e32 v9, v7
	v_pk_add_f32 v[4:5], v[4:5], v[8:9]
	v_pk_add_f32 v[2:3], v[2:3], v[4:5] neg_lo:[0,1] neg_hi:[0,1]
	buffer_store_dword v3, off, s[0:3], 0 offset:132
	buffer_store_dword v2, off, s[0:3], 0 offset:128
	s_and_saveexec_b64 s[4:5], vcc
	s_cbranch_execz .LBB115_295
; %bb.294:
	buffer_load_dword v2, off, s[0:3], 0 offset:120
	buffer_load_dword v3, off, s[0:3], 0 offset:124
	s_waitcnt vmcnt(0)
	ds_write_b64 v129, v[2:3]
	buffer_store_dword v1, off, s[0:3], 0 offset:120
	buffer_store_dword v1, off, s[0:3], 0 offset:124
.LBB115_295:
	s_or_b64 exec, exec, s[4:5]
	s_waitcnt lgkmcnt(0)
	; wave barrier
	s_waitcnt lgkmcnt(0)
	buffer_load_dword v60, off, s[0:3], 0 offset:132
	buffer_load_dword v62, off, s[0:3], 0 offset:140
	;; [unrolled: 1-line block ×36, first 2 shown]
	ds_read_b128 v[4:7], v1 offset:544
	ds_read_b128 v[8:11], v1 offset:560
	buffer_load_dword v193, off, s[0:3], 0 offset:264
	buffer_load_dword v194, off, s[0:3], 0 offset:268
	buffer_load_dword v195, off, s[0:3], 0 offset:272
	buffer_load_dword v196, off, s[0:3], 0 offset:276
	ds_read_b128 v[12:15], v1 offset:576
	ds_read_b128 v[16:19], v1 offset:592
	buffer_load_dword v197, off, s[0:3], 0 offset:280
	buffer_load_dword v198, off, s[0:3], 0 offset:284
	ds_read_b128 v[20:23], v1 offset:608
	ds_read_b128 v[24:27], v1 offset:624
	buffer_load_dword v199, off, s[0:3], 0 offset:288
	buffer_load_dword v200, off, s[0:3], 0 offset:292
	;; [unrolled: 1-line block ×16, first 2 shown]
	v_cmp_lt_u32_e32 vcc, 14, v0
	s_waitcnt vmcnt(57) lgkmcnt(5)
	v_mul_f32_e32 v28, v4, v60
	s_waitcnt vmcnt(56)
	v_mul_f32_e32 v29, v6, v62
	s_waitcnt vmcnt(55) lgkmcnt(4)
	v_mul_f32_e32 v30, v8, v70
	s_waitcnt vmcnt(54)
	v_mul_f32_e32 v31, v10, v82
	;; [unrolled: 4-line block ×4, first 2 shown]
	s_waitcnt vmcnt(49)
	v_fmac_f32_e32 v28, v5, v87
	s_waitcnt vmcnt(48)
	v_fmac_f32_e32 v29, v7, v88
	v_add_f32_e32 v28, 0, v28
	s_waitcnt vmcnt(47)
	v_fmac_f32_e32 v30, v9, v89
	v_add_f32_e32 v28, v28, v29
	;; [unrolled: 3-line block ×7, first 2 shown]
	s_waitcnt vmcnt(41) lgkmcnt(1)
	v_mul_f32_e32 v29, v20, v95
	v_add_f32_e32 v28, v28, v35
	s_waitcnt vmcnt(40)
	v_fmac_f32_e32 v29, v21, v96
	v_add_f32_e32 v28, v28, v29
	s_waitcnt vmcnt(39)
	v_mul_f32_e32 v29, v22, v97
	s_waitcnt vmcnt(38)
	v_fmac_f32_e32 v29, v23, v98
	v_add_f32_e32 v28, v28, v29
	s_waitcnt vmcnt(37) lgkmcnt(0)
	v_mul_f32_e32 v29, v24, v99
	s_waitcnt vmcnt(36)
	v_fmac_f32_e32 v29, v25, v100
	v_add_f32_e32 v32, v28, v29
	ds_read_b128 v[28:31], v1 offset:640
	s_waitcnt vmcnt(35)
	v_mul_f32_e32 v33, v26, v101
	s_waitcnt vmcnt(34)
	v_fmac_f32_e32 v33, v27, v102
	v_add_f32_e32 v36, v32, v33
	ds_read_b128 v[32:35], v1 offset:656
	s_waitcnt vmcnt(33) lgkmcnt(1)
	v_mul_f32_e32 v37, v28, v103
	s_waitcnt vmcnt(32)
	v_fmac_f32_e32 v37, v29, v104
	v_add_f32_e32 v36, v36, v37
	s_waitcnt vmcnt(31)
	v_mul_f32_e32 v37, v30, v105
	s_waitcnt vmcnt(30)
	v_fmac_f32_e32 v37, v31, v106
	v_add_f32_e32 v36, v36, v37
	s_waitcnt vmcnt(29) lgkmcnt(0)
	v_mul_f32_e32 v37, v32, v107
	s_waitcnt vmcnt(28)
	v_fmac_f32_e32 v37, v33, v108
	v_add_f32_e32 v40, v36, v37
	ds_read_b128 v[36:39], v1 offset:672
	s_waitcnt vmcnt(25)
	v_mul_f32_e32 v41, v34, v109
	s_waitcnt vmcnt(24)
	v_fmac_f32_e32 v41, v35, v190
	v_add_f32_e32 v44, v40, v41
	ds_read_b128 v[40:43], v1 offset:688
	s_waitcnt vmcnt(22) lgkmcnt(1)
	v_mul_f32_e32 v45, v36, v192
	v_fmac_f32_e32 v45, v37, v191
	v_add_f32_e32 v44, v44, v45
	s_waitcnt vmcnt(20)
	v_mul_f32_e32 v45, v38, v194
	v_fmac_f32_e32 v45, v39, v193
	v_add_f32_e32 v44, v44, v45
	s_waitcnt vmcnt(18) lgkmcnt(0)
	v_mul_f32_e32 v45, v40, v196
	v_fmac_f32_e32 v45, v41, v195
	v_add_f32_e32 v48, v44, v45
	ds_read_b128 v[44:47], v1 offset:704
	s_waitcnt vmcnt(16)
	v_mul_f32_e32 v49, v42, v198
	v_fmac_f32_e32 v49, v43, v197
	v_add_f32_e32 v52, v48, v49
	ds_read_b128 v[48:51], v1 offset:720
	s_waitcnt vmcnt(14) lgkmcnt(1)
	v_mul_f32_e32 v53, v44, v200
	v_fmac_f32_e32 v53, v45, v199
	v_add_f32_e32 v52, v52, v53
	s_waitcnt vmcnt(12)
	v_mul_f32_e32 v53, v46, v202
	v_fmac_f32_e32 v53, v47, v201
	v_add_f32_e32 v52, v52, v53
	s_waitcnt vmcnt(10) lgkmcnt(0)
	v_mul_f32_e32 v53, v48, v204
	v_fmac_f32_e32 v53, v49, v203
	s_waitcnt vmcnt(8)
	v_mul_f32_e32 v57, v50, v206
	v_add_f32_e32 v56, v52, v53
	v_fmac_f32_e32 v57, v51, v205
	ds_read_b128 v[52:55], v1 offset:736
	v_add_f32_e32 v61, v56, v57
	ds_read_b128 v[56:59], v1 offset:752
	buffer_load_dword v65, off, s[0:3], 0 offset:372
	buffer_load_dword v64, off, s[0:3], 0 offset:368
	;; [unrolled: 1-line block ×16, first 2 shown]
	v_mul_f32_e32 v5, v5, v60
	v_fma_f32 v4, v4, v87, -v5
	v_mul_f32_e32 v5, v7, v62
	v_add_f32_e32 v4, 0, v4
	v_fma_f32 v5, v6, v88, -v5
	v_add_f32_e32 v4, v4, v5
	v_mul_f32_e32 v5, v9, v70
	v_fma_f32 v5, v8, v89, -v5
	v_add_f32_e32 v4, v4, v5
	v_mul_f32_e32 v5, v11, v82
	;; [unrolled: 3-line block ×22, first 2 shown]
	v_fma_f32 v5, v50, v205, -v5
	v_add_f32_e32 v4, v4, v5
	s_waitcnt vmcnt(22) lgkmcnt(1)
	v_mul_f32_e32 v5, v53, v208
	v_fma_f32 v5, v52, v207, -v5
	v_add_f32_e32 v4, v4, v5
	s_waitcnt vmcnt(20)
	v_mul_f32_e32 v5, v55, v210
	v_mul_f32_e32 v63, v52, v208
	v_fma_f32 v5, v54, v209, -v5
	v_fmac_f32_e32 v63, v53, v207
	v_add_f32_e32 v60, v4, v5
	s_waitcnt vmcnt(18) lgkmcnt(0)
	v_mul_f32_e32 v4, v57, v212
	v_add_f32_e32 v61, v61, v63
	v_mul_f32_e32 v63, v54, v210
	v_fma_f32 v62, v56, v211, -v4
	s_waitcnt vmcnt(16)
	v_mul_f32_e32 v4, v59, v214
	v_fmac_f32_e32 v63, v55, v209
	v_fma_f32 v70, v58, v213, -v4
	ds_read_b128 v[4:7], v1 offset:768
	ds_read_b128 v[8:11], v1 offset:784
	ds_read_b128 v[12:15], v1 offset:800
	ds_read_b128 v[16:19], v1 offset:816
	v_add_f32_e32 v61, v61, v63
	v_mul_f32_e32 v63, v56, v212
	s_waitcnt vmcnt(11)
	v_mov_b32_e32 v22, v69
	v_fmac_f32_e32 v63, v57, v211
	v_mul_f32_e32 v71, v58, v214
	s_waitcnt lgkmcnt(3)
	v_pk_mul_f32 v[22:23], v[4:5], v[22:23] op_sel_hi:[1,0]
	v_fmac_f32_e32 v71, v59, v213
	v_pk_add_f32 v[20:21], v[60:61], v[62:63]
	s_waitcnt vmcnt(10)
	v_pk_fma_f32 v[24:25], v[4:5], v[68:69], v[22:23] op_sel:[0,0,1] op_sel_hi:[1,1,0] neg_lo:[0,0,1] neg_hi:[0,0,1]
	v_pk_fma_f32 v[4:5], v[4:5], v[68:69], v[22:23] op_sel:[0,0,1] op_sel_hi:[1,0,0]
	v_pk_add_f32 v[20:21], v[20:21], v[70:71]
	v_mov_b32_e32 v25, v5
	v_pk_add_f32 v[4:5], v[20:21], v[24:25]
	v_mov_b32_e32 v20, v67
	v_pk_mul_f32 v[20:21], v[6:7], v[20:21] op_sel_hi:[1,0]
	v_pk_fma_f32 v[22:23], v[6:7], v[66:67], v[20:21] op_sel:[0,0,1] op_sel_hi:[1,1,0] neg_lo:[0,0,1] neg_hi:[0,0,1]
	v_pk_fma_f32 v[6:7], v[6:7], v[66:67], v[20:21] op_sel:[0,0,1] op_sel_hi:[1,0,0]
	v_mov_b32_e32 v6, v65
	v_mov_b32_e32 v23, v7
	s_waitcnt lgkmcnt(2)
	v_pk_mul_f32 v[6:7], v[8:9], v[6:7] op_sel_hi:[1,0]
	v_pk_fma_f32 v[20:21], v[8:9], v[64:65], v[6:7] op_sel:[0,0,1] op_sel_hi:[1,1,0] neg_lo:[0,0,1] neg_hi:[0,0,1]
	v_pk_fma_f32 v[6:7], v[8:9], v[64:65], v[6:7] op_sel:[0,0,1] op_sel_hi:[1,0,0]
	s_waitcnt vmcnt(3)
	v_mov_b32_e32 v6, v79
	v_mov_b32_e32 v21, v7
	v_pk_mul_f32 v[6:7], v[10:11], v[6:7] op_sel_hi:[1,0]
	s_waitcnt vmcnt(2)
	v_pk_fma_f32 v[8:9], v[10:11], v[78:79], v[6:7] op_sel:[0,0,1] op_sel_hi:[1,1,0] neg_lo:[0,0,1] neg_hi:[0,0,1]
	v_pk_fma_f32 v[6:7], v[10:11], v[78:79], v[6:7] op_sel:[0,0,1] op_sel_hi:[1,0,0]
	v_pk_add_f32 v[4:5], v[4:5], v[22:23]
	v_mov_b32_e32 v6, v77
	v_pk_add_f32 v[4:5], v[4:5], v[20:21]
	v_mov_b32_e32 v9, v7
	s_waitcnt lgkmcnt(1)
	v_pk_mul_f32 v[6:7], v[12:13], v[6:7] op_sel_hi:[1,0]
	v_pk_add_f32 v[4:5], v[4:5], v[8:9]
	v_pk_fma_f32 v[8:9], v[12:13], v[76:77], v[6:7] op_sel:[0,0,1] op_sel_hi:[1,1,0] neg_lo:[0,0,1] neg_hi:[0,0,1]
	v_pk_fma_f32 v[6:7], v[12:13], v[76:77], v[6:7] op_sel:[0,0,1] op_sel_hi:[1,0,0]
	v_mov_b32_e32 v6, v75
	v_mov_b32_e32 v9, v7
	v_pk_mul_f32 v[6:7], v[14:15], v[6:7] op_sel_hi:[1,0]
	v_pk_add_f32 v[4:5], v[4:5], v[8:9]
	v_pk_fma_f32 v[8:9], v[14:15], v[74:75], v[6:7] op_sel:[0,0,1] op_sel_hi:[1,1,0] neg_lo:[0,0,1] neg_hi:[0,0,1]
	v_pk_fma_f32 v[6:7], v[14:15], v[74:75], v[6:7] op_sel:[0,0,1] op_sel_hi:[1,0,0]
	v_mov_b32_e32 v6, v73
	v_mov_b32_e32 v9, v7
	s_waitcnt lgkmcnt(0)
	v_pk_mul_f32 v[6:7], v[16:17], v[6:7] op_sel_hi:[1,0]
	v_pk_add_f32 v[4:5], v[4:5], v[8:9]
	v_pk_fma_f32 v[8:9], v[16:17], v[72:73], v[6:7] op_sel:[0,0,1] op_sel_hi:[1,1,0] neg_lo:[0,0,1] neg_hi:[0,0,1]
	v_pk_fma_f32 v[6:7], v[16:17], v[72:73], v[6:7] op_sel:[0,0,1] op_sel_hi:[1,0,0]
	s_waitcnt vmcnt(1)
	v_mov_b32_e32 v6, v81
	v_mov_b32_e32 v9, v7
	v_pk_mul_f32 v[6:7], v[18:19], v[6:7] op_sel_hi:[1,0]
	v_pk_add_f32 v[4:5], v[4:5], v[8:9]
	s_waitcnt vmcnt(0)
	v_pk_fma_f32 v[8:9], v[18:19], v[80:81], v[6:7] op_sel:[0,0,1] op_sel_hi:[1,1,0] neg_lo:[0,0,1] neg_hi:[0,0,1]
	v_pk_fma_f32 v[6:7], v[18:19], v[80:81], v[6:7] op_sel:[0,0,1] op_sel_hi:[1,0,0]
	v_mov_b32_e32 v9, v7
	v_pk_add_f32 v[4:5], v[4:5], v[8:9]
	v_pk_add_f32 v[2:3], v[2:3], v[4:5] neg_lo:[0,1] neg_hi:[0,1]
	buffer_store_dword v3, off, s[0:3], 0 offset:124
	buffer_store_dword v2, off, s[0:3], 0 offset:120
	s_and_saveexec_b64 s[4:5], vcc
	s_cbranch_execz .LBB115_297
; %bb.296:
	buffer_load_dword v2, off, s[0:3], 0 offset:112
	buffer_load_dword v3, off, s[0:3], 0 offset:116
	v_mov_b32_e32 v1, 0
	buffer_store_dword v1, off, s[0:3], 0 offset:112
	buffer_store_dword v1, off, s[0:3], 0 offset:116
	s_waitcnt vmcnt(2)
	ds_write_b64 v129, v[2:3]
.LBB115_297:
	s_or_b64 exec, exec, s[4:5]
	s_waitcnt lgkmcnt(0)
	; wave barrier
	s_waitcnt lgkmcnt(0)
	buffer_load_dword v1, off, s[0:3], 0 offset:124
	buffer_load_dword v17, off, s[0:3], 0 offset:132
	;; [unrolled: 1-line block ×56, first 2 shown]
	v_mov_b32_e32 v16, 0
	ds_read2_b64 v[2:5], v16 offset0:67 offset1:68
	buffer_load_dword v221, off, s[0:3], 0 offset:336
	buffer_load_dword v222, off, s[0:3], 0 offset:340
	;; [unrolled: 1-line block ×4, first 2 shown]
	ds_read2_b64 v[8:11], v16 offset0:69 offset1:70
	ds_read2_b64 v[12:15], v16 offset0:71 offset1:72
	;; [unrolled: 1-line block ×3, first 2 shown]
	v_cmp_lt_u32_e32 vcc, 13, v0
	s_waitcnt vmcnt(59) lgkmcnt(3)
	v_mul_f32_e32 v22, v2, v1
	s_waitcnt vmcnt(58)
	v_mul_f32_e32 v23, v4, v17
	s_waitcnt vmcnt(57) lgkmcnt(2)
	v_mul_f32_e32 v24, v8, v70
	s_waitcnt vmcnt(56)
	v_mul_f32_e32 v25, v10, v76
	;; [unrolled: 4-line block ×3, first 2 shown]
	s_waitcnt vmcnt(53) lgkmcnt(0)
	v_mul_f32_e32 v28, v18, v93
	s_waitcnt vmcnt(52)
	v_fmac_f32_e32 v22, v3, v94
	s_waitcnt vmcnt(51)
	v_fmac_f32_e32 v23, v5, v95
	v_add_f32_e32 v22, 0, v22
	s_waitcnt vmcnt(50)
	v_fmac_f32_e32 v24, v9, v96
	v_add_f32_e32 v22, v22, v23
	;; [unrolled: 3-line block ×6, first 2 shown]
	v_add_f32_e32 v26, v22, v28
	ds_read2_b64 v[22:25], v16 offset0:75 offset1:76
	s_waitcnt vmcnt(45)
	v_mul_f32_e32 v27, v20, v101
	s_waitcnt vmcnt(44)
	v_fmac_f32_e32 v27, v21, v102
	v_add_f32_e32 v30, v26, v27
	ds_read2_b64 v[26:29], v16 offset0:77 offset1:78
	s_waitcnt vmcnt(43) lgkmcnt(1)
	v_mul_f32_e32 v31, v22, v103
	s_waitcnt vmcnt(42)
	v_fmac_f32_e32 v31, v23, v104
	v_add_f32_e32 v30, v30, v31
	s_waitcnt vmcnt(41)
	v_mul_f32_e32 v31, v24, v105
	s_waitcnt vmcnt(40)
	v_fmac_f32_e32 v31, v25, v106
	v_add_f32_e32 v30, v30, v31
	s_waitcnt vmcnt(39) lgkmcnt(0)
	v_mul_f32_e32 v31, v26, v107
	s_waitcnt vmcnt(38)
	v_fmac_f32_e32 v31, v27, v108
	v_add_f32_e32 v34, v30, v31
	ds_read2_b64 v[30:33], v16 offset0:79 offset1:80
	s_waitcnt vmcnt(37)
	v_mul_f32_e32 v35, v28, v109
	s_waitcnt vmcnt(36)
	v_fmac_f32_e32 v35, v29, v190
	v_add_f32_e32 v38, v34, v35
	ds_read2_b64 v[34:37], v16 offset0:81 offset1:82
	s_waitcnt vmcnt(34) lgkmcnt(1)
	v_mul_f32_e32 v39, v30, v192
	v_fmac_f32_e32 v39, v31, v191
	v_add_f32_e32 v38, v38, v39
	s_waitcnt vmcnt(31)
	v_mul_f32_e32 v39, v32, v193
	s_waitcnt vmcnt(30)
	v_fmac_f32_e32 v39, v33, v194
	v_add_f32_e32 v38, v38, v39
	s_waitcnt vmcnt(28) lgkmcnt(0)
	v_mul_f32_e32 v39, v34, v196
	v_fmac_f32_e32 v39, v35, v195
	v_add_f32_e32 v42, v38, v39
	ds_read2_b64 v[38:41], v16 offset0:83 offset1:84
	s_waitcnt vmcnt(26)
	v_mul_f32_e32 v43, v36, v198
	v_fmac_f32_e32 v43, v37, v197
	v_add_f32_e32 v46, v42, v43
	ds_read2_b64 v[42:45], v16 offset0:85 offset1:86
	s_waitcnt vmcnt(24) lgkmcnt(1)
	v_mul_f32_e32 v47, v38, v200
	v_fmac_f32_e32 v47, v39, v199
	v_add_f32_e32 v46, v46, v47
	s_waitcnt vmcnt(22)
	v_mul_f32_e32 v47, v40, v202
	v_fmac_f32_e32 v47, v41, v201
	v_add_f32_e32 v46, v46, v47
	s_waitcnt vmcnt(20) lgkmcnt(0)
	v_mul_f32_e32 v47, v42, v204
	v_fmac_f32_e32 v47, v43, v203
	v_add_f32_e32 v50, v46, v47
	ds_read2_b64 v[46:49], v16 offset0:87 offset1:88
	s_waitcnt vmcnt(18)
	v_mul_f32_e32 v51, v44, v206
	v_fmac_f32_e32 v51, v45, v205
	v_add_f32_e32 v54, v50, v51
	ds_read2_b64 v[50:53], v16 offset0:89 offset1:90
	s_waitcnt vmcnt(16) lgkmcnt(1)
	v_mul_f32_e32 v55, v46, v208
	v_fmac_f32_e32 v55, v47, v207
	v_add_f32_e32 v54, v54, v55
	s_waitcnt vmcnt(14)
	v_mul_f32_e32 v55, v48, v210
	v_fmac_f32_e32 v55, v49, v209
	v_add_f32_e32 v54, v54, v55
	s_waitcnt vmcnt(12) lgkmcnt(0)
	v_mul_f32_e32 v55, v50, v212
	v_fmac_f32_e32 v55, v51, v211
	v_add_f32_e32 v58, v54, v55
	ds_read2_b64 v[54:57], v16 offset0:91 offset1:92
	s_waitcnt vmcnt(10)
	v_mul_f32_e32 v59, v52, v214
	v_fmac_f32_e32 v59, v53, v213
	v_add_f32_e32 v62, v58, v59
	ds_read2_b64 v[58:61], v16 offset0:93 offset1:94
	s_waitcnt vmcnt(8) lgkmcnt(1)
	v_mul_f32_e32 v63, v54, v216
	v_fmac_f32_e32 v63, v55, v215
	v_add_f32_e32 v62, v62, v63
	s_waitcnt vmcnt(6)
	v_mul_f32_e32 v63, v56, v218
	v_fmac_f32_e32 v63, v57, v217
	v_add_f32_e32 v62, v62, v63
	s_waitcnt vmcnt(4) lgkmcnt(0)
	v_mul_f32_e32 v63, v58, v220
	v_fmac_f32_e32 v63, v59, v219
	v_add_f32_e32 v71, v62, v63
	ds_read2_b64 v[62:65], v16 offset0:95 offset1:96
	buffer_load_dword v73, off, s[0:3], 0 offset:364
	buffer_load_dword v72, off, s[0:3], 0 offset:360
	;; [unrolled: 1-line block ×4, first 2 shown]
	ds_read2_b64 v[66:69], v16 offset0:97 offset1:98
	buffer_load_dword v81, off, s[0:3], 0 offset:396
	buffer_load_dword v80, off, s[0:3], 0 offset:392
	;; [unrolled: 1-line block ×12, first 2 shown]
	v_mul_f32_e32 v1, v3, v1
	v_fma_f32 v1, v2, v94, -v1
	v_mul_f32_e32 v2, v5, v17
	v_add_f32_e32 v1, 0, v1
	v_fma_f32 v2, v4, v95, -v2
	v_add_f32_e32 v1, v1, v2
	v_mul_f32_e32 v2, v9, v70
	v_fma_f32 v2, v8, v96, -v2
	v_add_f32_e32 v1, v1, v2
	v_mul_f32_e32 v2, v11, v76
	;; [unrolled: 3-line block ×25, first 2 shown]
	v_fma_f32 v2, v58, v219, -v2
	s_waitcnt vmcnt(13)
	v_mov_b32_e32 v18, v75
	v_mul_f32_e32 v77, v60, v222
	v_add_f32_e32 v70, v1, v2
	v_mul_f32_e32 v1, v61, v222
	s_waitcnt lgkmcnt(1)
	v_pk_mul_f32 v[18:19], v[64:65], v[18:19] op_sel_hi:[1,0]
	v_fmac_f32_e32 v77, v61, v221
	v_mul_f32_e32 v79, v62, v224
	v_fma_f32 v76, v60, v221, -v1
	v_mul_f32_e32 v1, v63, v224
	s_waitcnt vmcnt(12)
	v_pk_fma_f32 v[20:21], v[64:65], v[74:75], v[18:19] op_sel:[0,0,1] op_sel_hi:[1,1,0] neg_lo:[0,0,1] neg_hi:[0,0,1]
	v_pk_fma_f32 v[18:19], v[64:65], v[74:75], v[18:19] op_sel:[0,0,1] op_sel_hi:[1,0,0]
	v_fmac_f32_e32 v79, v63, v223
	v_fma_f32 v78, v62, v223, -v1
	v_pk_add_f32 v[14:15], v[70:71], v[76:77]
	v_mov_b32_e32 v18, v73
	v_pk_add_f32 v[14:15], v[14:15], v[78:79]
	v_mov_b32_e32 v21, v19
	s_waitcnt lgkmcnt(0)
	v_pk_mul_f32 v[18:19], v[66:67], v[18:19] op_sel_hi:[1,0]
	v_pk_add_f32 v[14:15], v[14:15], v[20:21]
	v_pk_fma_f32 v[20:21], v[66:67], v[72:73], v[18:19] op_sel:[0,0,1] op_sel_hi:[1,1,0] neg_lo:[0,0,1] neg_hi:[0,0,1]
	v_pk_fma_f32 v[18:19], v[66:67], v[72:73], v[18:19] op_sel:[0,0,1] op_sel_hi:[1,0,0]
	s_waitcnt vmcnt(5)
	v_mov_b32_e32 v18, v87
	ds_read2_b64 v[2:5], v16 offset0:99 offset1:100
	ds_read2_b64 v[8:11], v16 offset0:101 offset1:102
	ds_read_b64 v[12:13], v16 offset:824
	v_mov_b32_e32 v21, v19
	v_pk_mul_f32 v[18:19], v[68:69], v[18:19] op_sel_hi:[1,0]
	v_pk_add_f32 v[14:15], v[14:15], v[20:21]
	s_waitcnt vmcnt(4)
	v_pk_fma_f32 v[20:21], v[68:69], v[86:87], v[18:19] op_sel:[0,0,1] op_sel_hi:[1,1,0] neg_lo:[0,0,1] neg_hi:[0,0,1]
	v_pk_fma_f32 v[18:19], v[68:69], v[86:87], v[18:19] op_sel:[0,0,1] op_sel_hi:[1,0,0]
	v_mov_b32_e32 v18, v85
	v_mov_b32_e32 v21, v19
	s_waitcnt lgkmcnt(2)
	v_pk_mul_f32 v[18:19], v[2:3], v[18:19] op_sel_hi:[1,0]
	v_pk_add_f32 v[14:15], v[14:15], v[20:21]
	v_pk_fma_f32 v[20:21], v[2:3], v[84:85], v[18:19] op_sel:[0,0,1] op_sel_hi:[1,1,0] neg_lo:[0,0,1] neg_hi:[0,0,1]
	v_pk_fma_f32 v[2:3], v[2:3], v[84:85], v[18:19] op_sel:[0,0,1] op_sel_hi:[1,0,0]
	v_mov_b32_e32 v21, v3
	v_pk_add_f32 v[2:3], v[14:15], v[20:21]
	v_mov_b32_e32 v14, v83
	v_pk_mul_f32 v[14:15], v[4:5], v[14:15] op_sel_hi:[1,0]
	v_pk_fma_f32 v[18:19], v[4:5], v[82:83], v[14:15] op_sel:[0,0,1] op_sel_hi:[1,1,0] neg_lo:[0,0,1] neg_hi:[0,0,1]
	v_pk_fma_f32 v[4:5], v[4:5], v[82:83], v[14:15] op_sel:[0,0,1] op_sel_hi:[1,0,0]
	v_mov_b32_e32 v4, v81
	v_mov_b32_e32 v19, v5
	s_waitcnt lgkmcnt(1)
	v_pk_mul_f32 v[4:5], v[8:9], v[4:5] op_sel_hi:[1,0]
	v_pk_fma_f32 v[14:15], v[8:9], v[80:81], v[4:5] op_sel:[0,0,1] op_sel_hi:[1,1,0] neg_lo:[0,0,1] neg_hi:[0,0,1]
	v_pk_fma_f32 v[4:5], v[8:9], v[80:81], v[4:5] op_sel:[0,0,1] op_sel_hi:[1,0,0]
	s_waitcnt vmcnt(1)
	v_mov_b32_e32 v4, v91
	v_mov_b32_e32 v15, v5
	v_pk_mul_f32 v[4:5], v[10:11], v[4:5] op_sel_hi:[1,0]
	s_waitcnt vmcnt(0)
	v_pk_fma_f32 v[8:9], v[10:11], v[90:91], v[4:5] op_sel:[0,0,1] op_sel_hi:[1,1,0] neg_lo:[0,0,1] neg_hi:[0,0,1]
	v_pk_fma_f32 v[4:5], v[10:11], v[90:91], v[4:5] op_sel:[0,0,1] op_sel_hi:[1,0,0]
	v_pk_add_f32 v[2:3], v[2:3], v[18:19]
	v_mov_b32_e32 v4, v89
	v_pk_add_f32 v[2:3], v[2:3], v[14:15]
	v_mov_b32_e32 v9, v5
	s_waitcnt lgkmcnt(0)
	v_pk_mul_f32 v[4:5], v[12:13], v[4:5] op_sel_hi:[1,0]
	v_pk_add_f32 v[2:3], v[2:3], v[8:9]
	v_pk_fma_f32 v[8:9], v[12:13], v[88:89], v[4:5] op_sel:[0,0,1] op_sel_hi:[1,1,0] neg_lo:[0,0,1] neg_hi:[0,0,1]
	v_pk_fma_f32 v[4:5], v[12:13], v[88:89], v[4:5] op_sel:[0,0,1] op_sel_hi:[1,0,0]
	v_mov_b32_e32 v9, v5
	v_pk_add_f32 v[2:3], v[2:3], v[8:9]
	v_pk_add_f32 v[2:3], v[6:7], v[2:3] neg_lo:[0,1] neg_hi:[0,1]
	buffer_store_dword v3, off, s[0:3], 0 offset:116
	buffer_store_dword v2, off, s[0:3], 0 offset:112
	s_and_saveexec_b64 s[4:5], vcc
	s_cbranch_execz .LBB115_299
; %bb.298:
	buffer_load_dword v2, off, s[0:3], 0 offset:104
	buffer_load_dword v3, off, s[0:3], 0 offset:108
	s_waitcnt vmcnt(0)
	ds_write_b64 v129, v[2:3]
	buffer_store_dword v16, off, s[0:3], 0 offset:104
	buffer_store_dword v16, off, s[0:3], 0 offset:108
.LBB115_299:
	s_or_b64 exec, exec, s[4:5]
	s_waitcnt lgkmcnt(0)
	; wave barrier
	s_waitcnt lgkmcnt(0)
	buffer_load_dword v1, off, s[0:3], 0 offset:116
	buffer_load_dword v17, off, s[0:3], 0 offset:124
	;; [unrolled: 1-line block ×32, first 2 shown]
	ds_read_b128 v[18:21], v16 offset:528
	ds_read_b128 v[6:9], v16 offset:544
	buffer_load_dword v197, off, s[0:3], 0 offset:232
	buffer_load_dword v198, off, s[0:3], 0 offset:236
	ds_read_b128 v[10:13], v16 offset:560
	ds_read_b128 v[2:5], v16 offset:576
	buffer_load_dword v199, off, s[0:3], 0 offset:240
	buffer_load_dword v200, off, s[0:3], 0 offset:244
	;; [unrolled: 1-line block ×28, first 2 shown]
	v_cmp_lt_u32_e32 vcc, 12, v0
	s_waitcnt vmcnt(61) lgkmcnt(3)
	v_mul_f32_e32 v22, v18, v1
	s_waitcnt vmcnt(60)
	v_mul_f32_e32 v23, v20, v17
	s_waitcnt vmcnt(59) lgkmcnt(2)
	v_mul_f32_e32 v24, v6, v72
	s_waitcnt vmcnt(58)
	v_mul_f32_e32 v25, v8, v74
	;; [unrolled: 4-line block ×3, first 2 shown]
	s_waitcnt vmcnt(55) lgkmcnt(0)
	v_mul_f32_e32 v28, v2, v93
	s_waitcnt vmcnt(54)
	v_fmac_f32_e32 v22, v19, v94
	s_waitcnt vmcnt(53)
	v_fmac_f32_e32 v23, v21, v95
	v_add_f32_e32 v22, 0, v22
	s_waitcnt vmcnt(52)
	v_fmac_f32_e32 v24, v7, v96
	v_add_f32_e32 v22, v22, v23
	;; [unrolled: 3-line block ×6, first 2 shown]
	v_add_f32_e32 v26, v22, v28
	ds_read_b128 v[22:25], v16 offset:592
	s_waitcnt vmcnt(47)
	v_mul_f32_e32 v27, v4, v101
	s_waitcnt vmcnt(46)
	v_fmac_f32_e32 v27, v5, v102
	v_add_f32_e32 v30, v26, v27
	ds_read_b128 v[26:29], v16 offset:608
	s_waitcnt vmcnt(45) lgkmcnt(1)
	v_mul_f32_e32 v31, v22, v103
	s_waitcnt vmcnt(44)
	v_fmac_f32_e32 v31, v23, v104
	v_add_f32_e32 v30, v30, v31
	s_waitcnt vmcnt(43)
	v_mul_f32_e32 v31, v24, v105
	s_waitcnt vmcnt(42)
	v_fmac_f32_e32 v31, v25, v106
	v_add_f32_e32 v30, v30, v31
	s_waitcnt vmcnt(41) lgkmcnt(0)
	v_mul_f32_e32 v31, v26, v107
	s_waitcnt vmcnt(40)
	v_fmac_f32_e32 v31, v27, v108
	v_add_f32_e32 v34, v30, v31
	ds_read_b128 v[30:33], v16 offset:624
	s_waitcnt vmcnt(39)
	v_mul_f32_e32 v35, v28, v109
	s_waitcnt vmcnt(38)
	v_fmac_f32_e32 v35, v29, v190
	v_add_f32_e32 v38, v34, v35
	ds_read_b128 v[34:37], v16 offset:640
	s_waitcnt vmcnt(35) lgkmcnt(1)
	v_mul_f32_e32 v39, v30, v191
	s_waitcnt vmcnt(34)
	v_fmac_f32_e32 v39, v31, v192
	v_add_f32_e32 v38, v38, v39
	s_waitcnt vmcnt(32)
	v_mul_f32_e32 v39, v32, v194
	v_fmac_f32_e32 v39, v33, v193
	v_add_f32_e32 v38, v38, v39
	s_waitcnt vmcnt(30) lgkmcnt(0)
	v_mul_f32_e32 v39, v34, v196
	v_fmac_f32_e32 v39, v35, v195
	v_add_f32_e32 v42, v38, v39
	ds_read_b128 v[38:41], v16 offset:656
	s_waitcnt vmcnt(28)
	v_mul_f32_e32 v43, v36, v198
	v_fmac_f32_e32 v43, v37, v197
	v_add_f32_e32 v46, v42, v43
	ds_read_b128 v[42:45], v16 offset:672
	s_waitcnt vmcnt(26) lgkmcnt(1)
	v_mul_f32_e32 v47, v38, v200
	v_fmac_f32_e32 v47, v39, v199
	v_add_f32_e32 v46, v46, v47
	s_waitcnt vmcnt(24)
	v_mul_f32_e32 v47, v40, v202
	v_fmac_f32_e32 v47, v41, v201
	v_add_f32_e32 v46, v46, v47
	s_waitcnt vmcnt(22) lgkmcnt(0)
	v_mul_f32_e32 v47, v42, v204
	v_fmac_f32_e32 v47, v43, v203
	v_add_f32_e32 v50, v46, v47
	ds_read_b128 v[46:49], v16 offset:688
	s_waitcnt vmcnt(20)
	v_mul_f32_e32 v51, v44, v206
	v_fmac_f32_e32 v51, v45, v205
	v_add_f32_e32 v54, v50, v51
	ds_read_b128 v[50:53], v16 offset:704
	s_waitcnt vmcnt(18) lgkmcnt(1)
	v_mul_f32_e32 v55, v46, v208
	v_fmac_f32_e32 v55, v47, v207
	v_add_f32_e32 v54, v54, v55
	s_waitcnt vmcnt(16)
	v_mul_f32_e32 v55, v48, v210
	v_fmac_f32_e32 v55, v49, v209
	v_add_f32_e32 v54, v54, v55
	s_waitcnt vmcnt(14) lgkmcnt(0)
	v_mul_f32_e32 v55, v50, v212
	v_fmac_f32_e32 v55, v51, v211
	v_add_f32_e32 v58, v54, v55
	ds_read_b128 v[54:57], v16 offset:720
	s_waitcnt vmcnt(12)
	v_mul_f32_e32 v59, v52, v214
	v_fmac_f32_e32 v59, v53, v213
	v_add_f32_e32 v62, v58, v59
	ds_read_b128 v[58:61], v16 offset:736
	buffer_load_dword v71, off, s[0:3], 0 offset:356
	buffer_load_dword v70, off, s[0:3], 0 offset:352
	s_waitcnt vmcnt(12) lgkmcnt(1)
	v_mul_f32_e32 v63, v54, v216
	v_fmac_f32_e32 v63, v55, v215
	v_add_f32_e32 v62, v62, v63
	s_waitcnt vmcnt(10)
	v_mul_f32_e32 v63, v56, v218
	v_fmac_f32_e32 v63, v57, v217
	v_add_f32_e32 v62, v62, v63
	s_waitcnt vmcnt(8) lgkmcnt(0)
	v_mul_f32_e32 v63, v58, v220
	v_fmac_f32_e32 v63, v59, v219
	s_waitcnt vmcnt(6)
	v_mul_f32_e32 v67, v60, v222
	v_add_f32_e32 v66, v62, v63
	v_fmac_f32_e32 v67, v61, v221
	ds_read_b128 v[62:65], v16 offset:752
	v_add_f32_e32 v73, v66, v67
	ds_read_b128 v[66:69], v16 offset:768
	buffer_load_dword v79, off, s[0:3], 0 offset:388
	buffer_load_dword v78, off, s[0:3], 0 offset:384
	;; [unrolled: 1-line block ×14, first 2 shown]
	v_mul_f32_e32 v1, v19, v1
	v_fma_f32 v1, v18, v94, -v1
	v_mul_f32_e32 v17, v21, v17
	v_add_f32_e32 v1, 0, v1
	v_fma_f32 v17, v20, v95, -v17
	v_mul_f32_e32 v7, v7, v72
	v_add_f32_e32 v1, v1, v17
	v_fma_f32 v6, v6, v96, -v7
	v_add_f32_e32 v1, v1, v6
	v_mul_f32_e32 v6, v9, v74
	v_fma_f32 v6, v8, v97, -v6
	v_add_f32_e32 v1, v1, v6
	v_mul_f32_e32 v6, v11, v76
	;; [unrolled: 3-line block ×3, first 2 shown]
	v_fma_f32 v6, v12, v99, -v6
	v_mul_f32_e32 v3, v3, v93
	v_add_f32_e32 v1, v1, v6
	v_fma_f32 v2, v2, v100, -v3
	v_add_f32_e32 v1, v1, v2
	v_mul_f32_e32 v2, v5, v101
	v_fma_f32 v2, v4, v102, -v2
	v_add_f32_e32 v1, v1, v2
	v_mul_f32_e32 v2, v23, v103
	;; [unrolled: 3-line block ×21, first 2 shown]
	v_fma_f32 v2, v60, v221, -v2
	s_waitcnt vmcnt(15)
	v_mov_b32_e32 v18, v71
	s_waitcnt lgkmcnt(1)
	v_mul_f32_e32 v75, v62, v224
	v_add_f32_e32 v72, v1, v2
	v_mul_f32_e32 v1, v63, v224
	s_waitcnt lgkmcnt(0)
	v_pk_mul_f32 v[18:19], v[66:67], v[18:19] op_sel_hi:[1,0]
	v_fmac_f32_e32 v75, v63, v223
	v_mul_f32_e32 v77, v64, v226
	v_fma_f32 v74, v62, v223, -v1
	v_mul_f32_e32 v1, v65, v226
	s_waitcnt vmcnt(14)
	v_pk_fma_f32 v[20:21], v[66:67], v[70:71], v[18:19] op_sel:[0,0,1] op_sel_hi:[1,1,0] neg_lo:[0,0,1] neg_hi:[0,0,1]
	v_pk_fma_f32 v[18:19], v[66:67], v[70:71], v[18:19] op_sel:[0,0,1] op_sel_hi:[1,0,0]
	v_fmac_f32_e32 v77, v65, v225
	v_fma_f32 v76, v64, v225, -v1
	ds_read_b128 v[2:5], v16 offset:784
	ds_read_b128 v[6:9], v16 offset:800
	;; [unrolled: 1-line block ×3, first 2 shown]
	v_pk_add_f32 v[16:17], v[72:73], v[74:75]
	s_waitcnt vmcnt(7)
	v_mov_b32_e32 v18, v85
	v_pk_add_f32 v[16:17], v[16:17], v[76:77]
	v_mov_b32_e32 v21, v19
	v_pk_mul_f32 v[18:19], v[68:69], v[18:19] op_sel_hi:[1,0]
	v_pk_add_f32 v[16:17], v[16:17], v[20:21]
	s_waitcnt vmcnt(6)
	v_pk_fma_f32 v[20:21], v[68:69], v[84:85], v[18:19] op_sel:[0,0,1] op_sel_hi:[1,1,0] neg_lo:[0,0,1] neg_hi:[0,0,1]
	v_pk_fma_f32 v[18:19], v[68:69], v[84:85], v[18:19] op_sel:[0,0,1] op_sel_hi:[1,0,0]
	v_mov_b32_e32 v18, v83
	v_mov_b32_e32 v21, v19
	s_waitcnt lgkmcnt(2)
	v_pk_mul_f32 v[18:19], v[2:3], v[18:19] op_sel_hi:[1,0]
	v_pk_add_f32 v[16:17], v[16:17], v[20:21]
	v_pk_fma_f32 v[20:21], v[2:3], v[82:83], v[18:19] op_sel:[0,0,1] op_sel_hi:[1,1,0] neg_lo:[0,0,1] neg_hi:[0,0,1]
	v_pk_fma_f32 v[2:3], v[2:3], v[82:83], v[18:19] op_sel:[0,0,1] op_sel_hi:[1,0,0]
	v_mov_b32_e32 v21, v3
	v_pk_add_f32 v[2:3], v[16:17], v[20:21]
	v_mov_b32_e32 v16, v81
	v_pk_mul_f32 v[16:17], v[4:5], v[16:17] op_sel_hi:[1,0]
	v_pk_fma_f32 v[18:19], v[4:5], v[80:81], v[16:17] op_sel:[0,0,1] op_sel_hi:[1,1,0] neg_lo:[0,0,1] neg_hi:[0,0,1]
	v_pk_fma_f32 v[4:5], v[4:5], v[80:81], v[16:17] op_sel:[0,0,1] op_sel_hi:[1,0,0]
	v_mov_b32_e32 v4, v79
	v_mov_b32_e32 v19, v5
	s_waitcnt lgkmcnt(1)
	v_pk_mul_f32 v[4:5], v[6:7], v[4:5] op_sel_hi:[1,0]
	v_pk_fma_f32 v[16:17], v[6:7], v[78:79], v[4:5] op_sel:[0,0,1] op_sel_hi:[1,1,0] neg_lo:[0,0,1] neg_hi:[0,0,1]
	v_pk_fma_f32 v[4:5], v[6:7], v[78:79], v[4:5] op_sel:[0,0,1] op_sel_hi:[1,0,0]
	s_waitcnt vmcnt(1)
	v_mov_b32_e32 v4, v91
	v_mov_b32_e32 v17, v5
	v_pk_mul_f32 v[4:5], v[8:9], v[4:5] op_sel_hi:[1,0]
	s_waitcnt vmcnt(0)
	v_pk_fma_f32 v[6:7], v[8:9], v[90:91], v[4:5] op_sel:[0,0,1] op_sel_hi:[1,1,0] neg_lo:[0,0,1] neg_hi:[0,0,1]
	v_pk_fma_f32 v[4:5], v[8:9], v[90:91], v[4:5] op_sel:[0,0,1] op_sel_hi:[1,0,0]
	v_pk_add_f32 v[2:3], v[2:3], v[18:19]
	v_mov_b32_e32 v4, v89
	v_pk_add_f32 v[2:3], v[2:3], v[16:17]
	v_mov_b32_e32 v7, v5
	s_waitcnt lgkmcnt(0)
	v_pk_mul_f32 v[4:5], v[10:11], v[4:5] op_sel_hi:[1,0]
	v_pk_add_f32 v[2:3], v[2:3], v[6:7]
	v_pk_fma_f32 v[6:7], v[10:11], v[88:89], v[4:5] op_sel:[0,0,1] op_sel_hi:[1,1,0] neg_lo:[0,0,1] neg_hi:[0,0,1]
	v_pk_fma_f32 v[4:5], v[10:11], v[88:89], v[4:5] op_sel:[0,0,1] op_sel_hi:[1,0,0]
	v_mov_b32_e32 v4, v87
	v_mov_b32_e32 v7, v5
	v_pk_mul_f32 v[4:5], v[12:13], v[4:5] op_sel_hi:[1,0]
	v_pk_add_f32 v[2:3], v[2:3], v[6:7]
	v_pk_fma_f32 v[6:7], v[12:13], v[86:87], v[4:5] op_sel:[0,0,1] op_sel_hi:[1,1,0] neg_lo:[0,0,1] neg_hi:[0,0,1]
	v_pk_fma_f32 v[4:5], v[12:13], v[86:87], v[4:5] op_sel:[0,0,1] op_sel_hi:[1,0,0]
	v_mov_b32_e32 v7, v5
	v_pk_add_f32 v[2:3], v[2:3], v[6:7]
	v_pk_add_f32 v[2:3], v[14:15], v[2:3] neg_lo:[0,1] neg_hi:[0,1]
	buffer_store_dword v3, off, s[0:3], 0 offset:108
	buffer_store_dword v2, off, s[0:3], 0 offset:104
	s_and_saveexec_b64 s[4:5], vcc
	s_cbranch_execz .LBB115_301
; %bb.300:
	buffer_load_dword v2, off, s[0:3], 0 offset:96
	buffer_load_dword v3, off, s[0:3], 0 offset:100
	v_mov_b32_e32 v1, 0
	buffer_store_dword v1, off, s[0:3], 0 offset:96
	buffer_store_dword v1, off, s[0:3], 0 offset:100
	s_waitcnt vmcnt(2)
	ds_write_b64 v129, v[2:3]
.LBB115_301:
	s_or_b64 exec, exec, s[4:5]
	s_waitcnt lgkmcnt(0)
	; wave barrier
	s_waitcnt lgkmcnt(0)
	buffer_load_dword v1, off, s[0:3], 0 offset:108
	buffer_load_dword v21, off, s[0:3], 0 offset:116
	;; [unrolled: 1-line block ×48, first 2 shown]
	v_mov_b32_e32 v20, 0
	ds_read2_b64 v[4:7], v20 offset0:65 offset1:66
	buffer_load_dword v213, off, s[0:3], 0 offset:288
	buffer_load_dword v214, off, s[0:3], 0 offset:292
	;; [unrolled: 1-line block ×8, first 2 shown]
	ds_read2_b64 v[8:11], v20 offset0:67 offset1:68
	ds_read2_b64 v[12:15], v20 offset0:69 offset1:70
	;; [unrolled: 1-line block ×3, first 2 shown]
	buffer_load_dword v221, off, s[0:3], 0 offset:320
	buffer_load_dword v222, off, s[0:3], 0 offset:324
	;; [unrolled: 1-line block ×8, first 2 shown]
	v_cmp_lt_u32_e32 vcc, 11, v0
	s_waitcnt vmcnt(62) lgkmcnt(3)
	v_mul_f32_e32 v22, v4, v1
	v_mul_f32_e32 v23, v6, v21
	s_waitcnt vmcnt(61) lgkmcnt(2)
	v_mul_f32_e32 v24, v8, v70
	s_waitcnt vmcnt(60)
	v_mul_f32_e32 v25, v10, v72
	s_waitcnt vmcnt(59) lgkmcnt(1)
	v_mul_f32_e32 v26, v12, v74
	s_waitcnt vmcnt(58)
	;; [unrolled: 4-line block ×3, first 2 shown]
	v_fmac_f32_e32 v22, v5, v94
	s_waitcnt vmcnt(55)
	v_fmac_f32_e32 v23, v7, v95
	v_add_f32_e32 v22, 0, v22
	s_waitcnt vmcnt(54)
	v_fmac_f32_e32 v24, v9, v96
	v_add_f32_e32 v22, v22, v23
	;; [unrolled: 3-line block ×6, first 2 shown]
	v_add_f32_e32 v26, v22, v28
	ds_read2_b64 v[22:25], v20 offset0:73 offset1:74
	s_waitcnt vmcnt(49)
	v_mul_f32_e32 v27, v18, v101
	s_waitcnt vmcnt(48)
	v_fmac_f32_e32 v27, v19, v102
	v_add_f32_e32 v30, v26, v27
	ds_read2_b64 v[26:29], v20 offset0:75 offset1:76
	s_waitcnt vmcnt(47) lgkmcnt(1)
	v_mul_f32_e32 v31, v22, v103
	s_waitcnt vmcnt(46)
	v_fmac_f32_e32 v31, v23, v104
	v_add_f32_e32 v30, v30, v31
	s_waitcnt vmcnt(45)
	v_mul_f32_e32 v31, v24, v105
	s_waitcnt vmcnt(44)
	v_fmac_f32_e32 v31, v25, v106
	v_add_f32_e32 v30, v30, v31
	s_waitcnt vmcnt(42) lgkmcnt(0)
	v_mul_f32_e32 v31, v26, v108
	v_fmac_f32_e32 v31, v27, v107
	v_add_f32_e32 v34, v30, v31
	ds_read2_b64 v[30:33], v20 offset0:77 offset1:78
	s_waitcnt vmcnt(38)
	v_mul_f32_e32 v35, v28, v190
	v_fmac_f32_e32 v35, v29, v109
	v_add_f32_e32 v38, v34, v35
	ds_read2_b64 v[34:37], v20 offset0:79 offset1:80
	s_waitcnt vmcnt(36) lgkmcnt(1)
	v_mul_f32_e32 v39, v30, v192
	v_fmac_f32_e32 v39, v31, v191
	v_add_f32_e32 v38, v38, v39
	s_waitcnt vmcnt(34)
	v_mul_f32_e32 v39, v32, v194
	v_fmac_f32_e32 v39, v33, v193
	v_add_f32_e32 v38, v38, v39
	s_waitcnt vmcnt(32) lgkmcnt(0)
	v_mul_f32_e32 v39, v34, v196
	v_fmac_f32_e32 v39, v35, v195
	v_add_f32_e32 v42, v38, v39
	ds_read2_b64 v[38:41], v20 offset0:81 offset1:82
	s_waitcnt vmcnt(30)
	v_mul_f32_e32 v43, v36, v198
	v_fmac_f32_e32 v43, v37, v197
	v_add_f32_e32 v46, v42, v43
	ds_read2_b64 v[42:45], v20 offset0:83 offset1:84
	s_waitcnt vmcnt(28) lgkmcnt(1)
	v_mul_f32_e32 v47, v38, v200
	v_fmac_f32_e32 v47, v39, v199
	v_add_f32_e32 v46, v46, v47
	s_waitcnt vmcnt(26)
	v_mul_f32_e32 v47, v40, v202
	;; [unrolled: 18-line block ×4, first 2 shown]
	v_fmac_f32_e32 v63, v57, v217
	v_add_f32_e32 v62, v62, v63
	s_waitcnt vmcnt(8) lgkmcnt(0)
	v_mul_f32_e32 v63, v58, v220
	v_fmac_f32_e32 v63, v59, v219
	s_waitcnt vmcnt(6)
	v_mul_f32_e32 v67, v60, v222
	v_add_f32_e32 v66, v62, v63
	v_fmac_f32_e32 v67, v61, v221
	ds_read2_b64 v[62:65], v20 offset0:93 offset1:94
	v_add_f32_e32 v71, v66, v67
	ds_read2_b64 v[66:69], v20 offset0:95 offset1:96
	buffer_load_dword v77, off, s[0:3], 0 offset:380
	buffer_load_dword v76, off, s[0:3], 0 offset:376
	;; [unrolled: 1-line block ×16, first 2 shown]
	v_mul_f32_e32 v1, v5, v1
	v_fma_f32 v1, v4, v94, -v1
	v_mul_f32_e32 v4, v7, v21
	v_add_f32_e32 v1, 0, v1
	v_fma_f32 v4, v6, v95, -v4
	v_add_f32_e32 v1, v1, v4
	v_mul_f32_e32 v4, v9, v70
	v_fma_f32 v4, v8, v96, -v4
	v_add_f32_e32 v1, v1, v4
	v_mul_f32_e32 v4, v11, v72
	;; [unrolled: 3-line block ×26, first 2 shown]
	v_fma_f32 v4, v60, v221, -v4
	s_waitcnt vmcnt(20) lgkmcnt(1)
	v_mul_f32_e32 v73, v62, v224
	v_add_f32_e32 v1, v1, v4
	v_mul_f32_e32 v4, v63, v224
	v_fmac_f32_e32 v73, v63, v223
	v_fma_f32 v4, v62, v223, -v4
	s_waitcnt vmcnt(9)
	v_mov_b32_e32 v22, v83
	v_add_f32_e32 v71, v71, v73
	v_mul_f32_e32 v73, v64, v226
	v_add_f32_e32 v70, v1, v4
	v_mul_f32_e32 v1, v65, v226
	s_waitcnt lgkmcnt(0)
	v_pk_mul_f32 v[22:23], v[68:69], v[22:23] op_sel_hi:[1,0]
	v_fmac_f32_e32 v73, v65, v225
	v_mul_f32_e32 v75, v66, v228
	v_fma_f32 v72, v64, v225, -v1
	v_mul_f32_e32 v1, v67, v228
	ds_read2_b64 v[4:7], v20 offset0:97 offset1:98
	ds_read2_b64 v[8:11], v20 offset0:99 offset1:100
	;; [unrolled: 1-line block ×3, first 2 shown]
	ds_read_b64 v[16:17], v20 offset:824
	s_waitcnt vmcnt(8)
	v_pk_fma_f32 v[24:25], v[68:69], v[82:83], v[22:23] op_sel:[0,0,1] op_sel_hi:[1,1,0] neg_lo:[0,0,1] neg_hi:[0,0,1]
	v_pk_fma_f32 v[22:23], v[68:69], v[82:83], v[22:23] op_sel:[0,0,1] op_sel_hi:[1,0,0]
	v_fmac_f32_e32 v75, v67, v227
	v_fma_f32 v74, v66, v227, -v1
	v_pk_add_f32 v[18:19], v[70:71], v[72:73]
	v_mov_b32_e32 v22, v81
	v_pk_add_f32 v[18:19], v[18:19], v[74:75]
	v_mov_b32_e32 v25, v23
	s_waitcnt lgkmcnt(3)
	v_pk_mul_f32 v[22:23], v[4:5], v[22:23] op_sel_hi:[1,0]
	v_pk_add_f32 v[18:19], v[18:19], v[24:25]
	v_pk_fma_f32 v[24:25], v[4:5], v[80:81], v[22:23] op_sel:[0,0,1] op_sel_hi:[1,1,0] neg_lo:[0,0,1] neg_hi:[0,0,1]
	v_pk_fma_f32 v[4:5], v[4:5], v[80:81], v[22:23] op_sel:[0,0,1] op_sel_hi:[1,0,0]
	v_mov_b32_e32 v25, v5
	v_pk_add_f32 v[4:5], v[18:19], v[24:25]
	v_mov_b32_e32 v18, v79
	v_pk_mul_f32 v[18:19], v[6:7], v[18:19] op_sel_hi:[1,0]
	v_pk_fma_f32 v[22:23], v[6:7], v[78:79], v[18:19] op_sel:[0,0,1] op_sel_hi:[1,1,0] neg_lo:[0,0,1] neg_hi:[0,0,1]
	v_pk_fma_f32 v[6:7], v[6:7], v[78:79], v[18:19] op_sel:[0,0,1] op_sel_hi:[1,0,0]
	v_mov_b32_e32 v6, v77
	v_mov_b32_e32 v23, v7
	s_waitcnt lgkmcnt(2)
	v_pk_mul_f32 v[6:7], v[8:9], v[6:7] op_sel_hi:[1,0]
	v_pk_fma_f32 v[18:19], v[8:9], v[76:77], v[6:7] op_sel:[0,0,1] op_sel_hi:[1,1,0] neg_lo:[0,0,1] neg_hi:[0,0,1]
	v_pk_fma_f32 v[6:7], v[8:9], v[76:77], v[6:7] op_sel:[0,0,1] op_sel_hi:[1,0,0]
	s_waitcnt vmcnt(1)
	v_mov_b32_e32 v6, v91
	v_mov_b32_e32 v19, v7
	v_pk_mul_f32 v[6:7], v[10:11], v[6:7] op_sel_hi:[1,0]
	s_waitcnt vmcnt(0)
	v_pk_fma_f32 v[8:9], v[10:11], v[90:91], v[6:7] op_sel:[0,0,1] op_sel_hi:[1,1,0] neg_lo:[0,0,1] neg_hi:[0,0,1]
	v_pk_fma_f32 v[6:7], v[10:11], v[90:91], v[6:7] op_sel:[0,0,1] op_sel_hi:[1,0,0]
	v_pk_add_f32 v[4:5], v[4:5], v[22:23]
	v_mov_b32_e32 v6, v89
	v_pk_add_f32 v[4:5], v[4:5], v[18:19]
	v_mov_b32_e32 v9, v7
	s_waitcnt lgkmcnt(1)
	v_pk_mul_f32 v[6:7], v[12:13], v[6:7] op_sel_hi:[1,0]
	v_pk_add_f32 v[4:5], v[4:5], v[8:9]
	v_pk_fma_f32 v[8:9], v[12:13], v[88:89], v[6:7] op_sel:[0,0,1] op_sel_hi:[1,1,0] neg_lo:[0,0,1] neg_hi:[0,0,1]
	v_pk_fma_f32 v[6:7], v[12:13], v[88:89], v[6:7] op_sel:[0,0,1] op_sel_hi:[1,0,0]
	v_mov_b32_e32 v6, v87
	v_mov_b32_e32 v9, v7
	v_pk_mul_f32 v[6:7], v[14:15], v[6:7] op_sel_hi:[1,0]
	v_pk_add_f32 v[4:5], v[4:5], v[8:9]
	v_pk_fma_f32 v[8:9], v[14:15], v[86:87], v[6:7] op_sel:[0,0,1] op_sel_hi:[1,1,0] neg_lo:[0,0,1] neg_hi:[0,0,1]
	v_pk_fma_f32 v[6:7], v[14:15], v[86:87], v[6:7] op_sel:[0,0,1] op_sel_hi:[1,0,0]
	v_mov_b32_e32 v6, v85
	v_mov_b32_e32 v9, v7
	s_waitcnt lgkmcnt(0)
	v_pk_mul_f32 v[6:7], v[16:17], v[6:7] op_sel_hi:[1,0]
	v_pk_add_f32 v[4:5], v[4:5], v[8:9]
	v_pk_fma_f32 v[8:9], v[16:17], v[84:85], v[6:7] op_sel:[0,0,1] op_sel_hi:[1,1,0] neg_lo:[0,0,1] neg_hi:[0,0,1]
	v_pk_fma_f32 v[6:7], v[16:17], v[84:85], v[6:7] op_sel:[0,0,1] op_sel_hi:[1,0,0]
	v_mov_b32_e32 v9, v7
	v_pk_add_f32 v[4:5], v[4:5], v[8:9]
	v_pk_add_f32 v[2:3], v[2:3], v[4:5] neg_lo:[0,1] neg_hi:[0,1]
	buffer_store_dword v3, off, s[0:3], 0 offset:100
	buffer_store_dword v2, off, s[0:3], 0 offset:96
	s_and_saveexec_b64 s[4:5], vcc
	s_cbranch_execz .LBB115_303
; %bb.302:
	buffer_load_dword v2, off, s[0:3], 0 offset:88
	buffer_load_dword v3, off, s[0:3], 0 offset:92
	s_waitcnt vmcnt(0)
	ds_write_b64 v129, v[2:3]
	buffer_store_dword v20, off, s[0:3], 0 offset:88
	buffer_store_dword v20, off, s[0:3], 0 offset:92
.LBB115_303:
	s_or_b64 exec, exec, s[4:5]
	s_waitcnt lgkmcnt(0)
	; wave barrier
	s_waitcnt lgkmcnt(0)
	buffer_load_dword v1, off, s[0:3], 0 offset:100
	buffer_load_dword v21, off, s[0:3], 0 offset:108
	;; [unrolled: 1-line block ×26, first 2 shown]
	ds_read_b128 v[14:17], v20 offset:512
	ds_read_b128 v[6:9], v20 offset:528
	buffer_load_dword v191, off, s[0:3], 0 offset:192
	buffer_load_dword v192, off, s[0:3], 0 offset:196
	ds_read_b128 v[10:13], v20 offset:544
	ds_read_b128 v[2:5], v20 offset:560
	buffer_load_dword v193, off, s[0:3], 0 offset:200
	buffer_load_dword v194, off, s[0:3], 0 offset:204
	;; [unrolled: 1-line block ×32, first 2 shown]
	v_cmp_lt_u32_e32 vcc, 10, v0
	s_waitcnt vmcnt(59) lgkmcnt(3)
	v_mul_f32_e32 v22, v14, v1
	s_waitcnt vmcnt(58)
	v_mul_f32_e32 v23, v16, v21
	s_waitcnt vmcnt(57) lgkmcnt(2)
	v_mul_f32_e32 v25, v8, v70
	s_waitcnt vmcnt(56) lgkmcnt(1)
	v_mul_f32_e32 v26, v10, v72
	s_waitcnt vmcnt(55)
	v_mul_f32_e32 v27, v12, v80
	s_waitcnt vmcnt(54)
	v_mul_f32_e32 v24, v6, v92
	s_waitcnt vmcnt(53) lgkmcnt(0)
	v_mul_f32_e32 v28, v2, v93
	s_waitcnt vmcnt(52)
	v_mul_f32_e32 v29, v4, v94
	s_waitcnt vmcnt(51)
	v_fmac_f32_e32 v24, v7, v95
	s_waitcnt vmcnt(50)
	v_fmac_f32_e32 v23, v17, v96
	;; [unrolled: 2-line block ×3, first 2 shown]
	v_add_f32_e32 v22, 0, v22
	v_add_f32_e32 v22, v22, v23
	;; [unrolled: 1-line block ×3, first 2 shown]
	s_waitcnt vmcnt(45)
	v_fmac_f32_e32 v25, v9, v101
	v_fmac_f32_e32 v26, v11, v100
	v_add_f32_e32 v22, v22, v25
	v_fmac_f32_e32 v27, v13, v99
	v_add_f32_e32 v22, v22, v26
	v_fmac_f32_e32 v28, v3, v98
	v_add_f32_e32 v22, v22, v27
	v_add_f32_e32 v26, v22, v28
	ds_read_b128 v[22:25], v20 offset:576
	s_waitcnt vmcnt(41)
	v_fmac_f32_e32 v29, v5, v105
	buffer_load_dword v225, off, s[0:3], 0 offset:328
	buffer_load_dword v226, off, s[0:3], 0 offset:332
	v_add_f32_e32 v30, v26, v29
	buffer_load_dword v227, off, s[0:3], 0 offset:336
	buffer_load_dword v228, off, s[0:3], 0 offset:340
	ds_read_b128 v[26:29], v20 offset:592
	s_waitcnt vmcnt(44) lgkmcnt(1)
	v_mul_f32_e32 v31, v22, v106
	v_fmac_f32_e32 v31, v23, v104
	v_add_f32_e32 v30, v30, v31
	s_waitcnt vmcnt(43)
	v_mul_f32_e32 v31, v24, v107
	v_fmac_f32_e32 v31, v25, v103
	v_add_f32_e32 v30, v30, v31
	s_waitcnt vmcnt(42) lgkmcnt(0)
	v_mul_f32_e32 v31, v26, v108
	v_fmac_f32_e32 v31, v27, v102
	buffer_load_dword v229, off, s[0:3], 0 offset:344
	buffer_load_dword v230, off, s[0:3], 0 offset:348
	v_add_f32_e32 v34, v30, v31
	ds_read_b128 v[30:33], v20 offset:608
	s_waitcnt vmcnt(40)
	v_mul_f32_e32 v35, v28, v190
	v_fmac_f32_e32 v35, v29, v109
	v_add_f32_e32 v38, v34, v35
	ds_read_b128 v[34:37], v20 offset:624
	s_waitcnt vmcnt(38) lgkmcnt(1)
	v_mul_f32_e32 v39, v30, v192
	v_fmac_f32_e32 v39, v31, v191
	v_add_f32_e32 v38, v38, v39
	s_waitcnt vmcnt(36)
	v_mul_f32_e32 v39, v32, v194
	v_fmac_f32_e32 v39, v33, v193
	v_add_f32_e32 v38, v38, v39
	s_waitcnt vmcnt(34) lgkmcnt(0)
	v_mul_f32_e32 v39, v34, v196
	v_fmac_f32_e32 v39, v35, v195
	v_add_f32_e32 v42, v38, v39
	ds_read_b128 v[38:41], v20 offset:640
	s_waitcnt vmcnt(32)
	v_mul_f32_e32 v43, v36, v198
	v_fmac_f32_e32 v43, v37, v197
	v_add_f32_e32 v46, v42, v43
	ds_read_b128 v[42:45], v20 offset:656
	s_waitcnt vmcnt(30) lgkmcnt(1)
	v_mul_f32_e32 v47, v38, v200
	v_fmac_f32_e32 v47, v39, v199
	v_add_f32_e32 v46, v46, v47
	s_waitcnt vmcnt(28)
	v_mul_f32_e32 v47, v40, v202
	v_fmac_f32_e32 v47, v41, v201
	v_add_f32_e32 v46, v46, v47
	s_waitcnt vmcnt(26) lgkmcnt(0)
	v_mul_f32_e32 v47, v42, v204
	v_fmac_f32_e32 v47, v43, v203
	;; [unrolled: 18-line block ×4, first 2 shown]
	s_waitcnt vmcnt(8)
	v_mul_f32_e32 v67, v60, v222
	v_add_f32_e32 v66, v62, v63
	v_fmac_f32_e32 v67, v61, v221
	ds_read_b128 v[62:65], v20 offset:736
	v_add_f32_e32 v71, v66, v67
	ds_read_b128 v[66:69], v20 offset:752
	buffer_load_dword v75, off, s[0:3], 0 offset:372
	buffer_load_dword v74, off, s[0:3], 0 offset:368
	;; [unrolled: 1-line block ×16, first 2 shown]
	v_mul_f32_e32 v1, v15, v1
	v_fma_f32 v1, v14, v97, -v1
	v_mul_f32_e32 v14, v17, v21
	v_add_f32_e32 v1, 0, v1
	v_fma_f32 v14, v16, v96, -v14
	v_mul_f32_e32 v7, v7, v92
	v_add_f32_e32 v1, v1, v14
	v_fma_f32 v6, v6, v95, -v7
	v_add_f32_e32 v1, v1, v6
	v_mul_f32_e32 v6, v9, v70
	v_fma_f32 v6, v8, v101, -v6
	v_add_f32_e32 v1, v1, v6
	v_mul_f32_e32 v6, v11, v72
	;; [unrolled: 3-line block ×3, first 2 shown]
	v_fma_f32 v6, v12, v99, -v6
	v_mul_f32_e32 v3, v3, v93
	v_add_f32_e32 v1, v1, v6
	v_fma_f32 v2, v2, v98, -v3
	v_add_f32_e32 v1, v1, v2
	v_mul_f32_e32 v2, v5, v94
	v_fma_f32 v2, v4, v105, -v2
	v_add_f32_e32 v1, v1, v2
	v_mul_f32_e32 v2, v23, v106
	;; [unrolled: 3-line block ×21, first 2 shown]
	v_fma_f32 v2, v60, v221, -v2
	v_add_f32_e32 v1, v1, v2
	s_waitcnt vmcnt(22) lgkmcnt(1)
	v_mul_f32_e32 v2, v63, v224
	v_mul_f32_e32 v73, v62, v224
	v_fma_f32 v2, v62, v223, -v2
	v_fmac_f32_e32 v73, v63, v223
	v_add_f32_e32 v1, v1, v2
	s_waitcnt vmcnt(20)
	v_mul_f32_e32 v2, v65, v226
	v_add_f32_e32 v71, v71, v73
	v_mul_f32_e32 v73, v64, v226
	v_fma_f32 v2, v64, v225, -v2
	v_fmac_f32_e32 v73, v65, v225
	v_add_f32_e32 v70, v1, v2
	ds_read_b128 v[2:5], v20 offset:768
	ds_read_b128 v[6:9], v20 offset:784
	;; [unrolled: 1-line block ×4, first 2 shown]
	v_add_f32_e32 v71, v71, v73
	s_waitcnt vmcnt(18) lgkmcnt(4)
	v_mul_f32_e32 v73, v66, v228
	v_mul_f32_e32 v1, v67, v228
	s_waitcnt vmcnt(11)
	v_mov_b32_e32 v22, v79
	v_fmac_f32_e32 v73, v67, v227
	v_mul_f32_e32 v81, v68, v230
	v_fma_f32 v72, v66, v227, -v1
	v_mul_f32_e32 v1, v69, v230
	s_waitcnt lgkmcnt(3)
	v_pk_mul_f32 v[22:23], v[2:3], v[22:23] op_sel_hi:[1,0]
	v_fmac_f32_e32 v81, v69, v229
	v_fma_f32 v80, v68, v229, -v1
	v_pk_add_f32 v[20:21], v[70:71], v[72:73]
	s_waitcnt vmcnt(10)
	v_pk_fma_f32 v[24:25], v[2:3], v[78:79], v[22:23] op_sel:[0,0,1] op_sel_hi:[1,1,0] neg_lo:[0,0,1] neg_hi:[0,0,1]
	v_pk_fma_f32 v[2:3], v[2:3], v[78:79], v[22:23] op_sel:[0,0,1] op_sel_hi:[1,0,0]
	v_pk_add_f32 v[20:21], v[20:21], v[80:81]
	v_mov_b32_e32 v25, v3
	v_pk_add_f32 v[2:3], v[20:21], v[24:25]
	v_mov_b32_e32 v20, v77
	v_pk_mul_f32 v[20:21], v[4:5], v[20:21] op_sel_hi:[1,0]
	v_pk_fma_f32 v[22:23], v[4:5], v[76:77], v[20:21] op_sel:[0,0,1] op_sel_hi:[1,1,0] neg_lo:[0,0,1] neg_hi:[0,0,1]
	v_pk_fma_f32 v[4:5], v[4:5], v[76:77], v[20:21] op_sel:[0,0,1] op_sel_hi:[1,0,0]
	v_mov_b32_e32 v4, v75
	v_mov_b32_e32 v23, v5
	s_waitcnt lgkmcnt(2)
	v_pk_mul_f32 v[4:5], v[6:7], v[4:5] op_sel_hi:[1,0]
	v_pk_fma_f32 v[20:21], v[6:7], v[74:75], v[4:5] op_sel:[0,0,1] op_sel_hi:[1,1,0] neg_lo:[0,0,1] neg_hi:[0,0,1]
	v_pk_fma_f32 v[4:5], v[6:7], v[74:75], v[4:5] op_sel:[0,0,1] op_sel_hi:[1,0,0]
	s_waitcnt vmcnt(3)
	v_mov_b32_e32 v4, v89
	v_mov_b32_e32 v21, v5
	v_pk_mul_f32 v[4:5], v[8:9], v[4:5] op_sel_hi:[1,0]
	s_waitcnt vmcnt(2)
	v_pk_fma_f32 v[6:7], v[8:9], v[88:89], v[4:5] op_sel:[0,0,1] op_sel_hi:[1,1,0] neg_lo:[0,0,1] neg_hi:[0,0,1]
	v_pk_fma_f32 v[4:5], v[8:9], v[88:89], v[4:5] op_sel:[0,0,1] op_sel_hi:[1,0,0]
	v_pk_add_f32 v[2:3], v[2:3], v[22:23]
	v_mov_b32_e32 v4, v87
	v_pk_add_f32 v[2:3], v[2:3], v[20:21]
	v_mov_b32_e32 v7, v5
	s_waitcnt lgkmcnt(1)
	v_pk_mul_f32 v[4:5], v[10:11], v[4:5] op_sel_hi:[1,0]
	v_pk_add_f32 v[2:3], v[2:3], v[6:7]
	v_pk_fma_f32 v[6:7], v[10:11], v[86:87], v[4:5] op_sel:[0,0,1] op_sel_hi:[1,1,0] neg_lo:[0,0,1] neg_hi:[0,0,1]
	v_pk_fma_f32 v[4:5], v[10:11], v[86:87], v[4:5] op_sel:[0,0,1] op_sel_hi:[1,0,0]
	v_mov_b32_e32 v4, v85
	v_mov_b32_e32 v7, v5
	v_pk_mul_f32 v[4:5], v[12:13], v[4:5] op_sel_hi:[1,0]
	v_pk_add_f32 v[2:3], v[2:3], v[6:7]
	v_pk_fma_f32 v[6:7], v[12:13], v[84:85], v[4:5] op_sel:[0,0,1] op_sel_hi:[1,1,0] neg_lo:[0,0,1] neg_hi:[0,0,1]
	v_pk_fma_f32 v[4:5], v[12:13], v[84:85], v[4:5] op_sel:[0,0,1] op_sel_hi:[1,0,0]
	v_mov_b32_e32 v4, v83
	v_mov_b32_e32 v7, v5
	s_waitcnt lgkmcnt(0)
	v_pk_mul_f32 v[4:5], v[14:15], v[4:5] op_sel_hi:[1,0]
	v_pk_add_f32 v[2:3], v[2:3], v[6:7]
	v_pk_fma_f32 v[6:7], v[14:15], v[82:83], v[4:5] op_sel:[0,0,1] op_sel_hi:[1,1,0] neg_lo:[0,0,1] neg_hi:[0,0,1]
	v_pk_fma_f32 v[4:5], v[14:15], v[82:83], v[4:5] op_sel:[0,0,1] op_sel_hi:[1,0,0]
	s_waitcnt vmcnt(1)
	v_mov_b32_e32 v4, v91
	v_mov_b32_e32 v7, v5
	v_pk_mul_f32 v[4:5], v[16:17], v[4:5] op_sel_hi:[1,0]
	v_pk_add_f32 v[2:3], v[2:3], v[6:7]
	s_waitcnt vmcnt(0)
	v_pk_fma_f32 v[6:7], v[16:17], v[90:91], v[4:5] op_sel:[0,0,1] op_sel_hi:[1,1,0] neg_lo:[0,0,1] neg_hi:[0,0,1]
	v_pk_fma_f32 v[4:5], v[16:17], v[90:91], v[4:5] op_sel:[0,0,1] op_sel_hi:[1,0,0]
	v_mov_b32_e32 v7, v5
	v_pk_add_f32 v[2:3], v[2:3], v[6:7]
	v_pk_add_f32 v[2:3], v[18:19], v[2:3] neg_lo:[0,1] neg_hi:[0,1]
	buffer_store_dword v3, off, s[0:3], 0 offset:92
	buffer_store_dword v2, off, s[0:3], 0 offset:88
	s_and_saveexec_b64 s[4:5], vcc
	s_cbranch_execz .LBB115_305
; %bb.304:
	buffer_load_dword v2, off, s[0:3], 0 offset:80
	buffer_load_dword v3, off, s[0:3], 0 offset:84
	v_mov_b32_e32 v1, 0
	buffer_store_dword v1, off, s[0:3], 0 offset:80
	buffer_store_dword v1, off, s[0:3], 0 offset:84
	s_waitcnt vmcnt(2)
	ds_write_b64 v129, v[2:3]
.LBB115_305:
	s_or_b64 exec, exec, s[4:5]
	v_mov_b32_e32 v198, 0
	s_waitcnt lgkmcnt(0)
	; wave barrier
	s_waitcnt lgkmcnt(0)
	ds_read2_b64 v[2:5], v198 offset0:63 offset1:64
	buffer_load_dword v70, off, s[0:3], 0 offset:80
	buffer_load_dword v71, off, s[0:3], 0 offset:84
	;; [unrolled: 1-line block ×16, first 2 shown]
	v_cmp_lt_u32_e32 vcc, 9, v0
	s_waitcnt vmcnt(12) lgkmcnt(0)
	v_mul_f32_e32 v1, v2, v199
	v_fmac_f32_e32 v1, v3, v72
	s_waitcnt vmcnt(10)
	v_mul_f32_e32 v6, v4, v201
	v_add_f32_e32 v1, 0, v1
	v_fmac_f32_e32 v6, v5, v74
	v_add_f32_e32 v1, v1, v6
	ds_read2_b64 v[6:9], v198 offset0:65 offset1:66
	v_mul_f32_e32 v3, v3, v199
	v_fma_f32 v2, v2, v72, -v3
	v_mul_f32_e32 v3, v5, v201
	v_add_f32_e32 v2, 0, v2
	s_waitcnt vmcnt(8) lgkmcnt(0)
	v_mul_f32_e32 v10, v6, v203
	v_fmac_f32_e32 v10, v7, v78
	v_add_f32_e32 v1, v1, v10
	s_waitcnt vmcnt(6)
	v_mul_f32_e32 v10, v8, v205
	v_fmac_f32_e32 v10, v9, v200
	v_add_f32_e32 v1, v1, v10
	ds_read2_b64 v[10:13], v198 offset0:67 offset1:68
	v_fma_f32 v3, v4, v74, -v3
	v_add_f32_e32 v2, v2, v3
	v_mul_f32_e32 v3, v7, v203
	v_fma_f32 v3, v6, v78, -v3
	s_waitcnt vmcnt(4) lgkmcnt(0)
	v_mul_f32_e32 v14, v10, v207
	v_fmac_f32_e32 v14, v11, v202
	v_add_f32_e32 v1, v1, v14
	s_waitcnt vmcnt(2)
	v_mul_f32_e32 v14, v12, v208
	v_fmac_f32_e32 v14, v13, v204
	v_add_f32_e32 v1, v1, v14
	ds_read2_b64 v[14:17], v198 offset0:69 offset1:70
	buffer_load_dword v210, off, s[0:3], 0 offset:144
	buffer_load_dword v211, off, s[0:3], 0 offset:148
	v_add_f32_e32 v2, v2, v3
	v_mul_f32_e32 v3, v9, v205
	v_fma_f32 v3, v8, v200, -v3
	s_waitcnt vmcnt(2) lgkmcnt(0)
	v_mul_f32_e32 v18, v14, v209
	v_fmac_f32_e32 v18, v15, v206
	v_add_f32_e32 v1, v1, v18
	v_add_f32_e32 v2, v2, v3
	v_mul_f32_e32 v3, v11, v207
	v_fma_f32 v3, v10, v202, -v3
	v_add_f32_e32 v2, v2, v3
	v_mul_f32_e32 v3, v13, v208
	v_fma_f32 v3, v12, v204, -v3
	;; [unrolled: 3-line block ×3, first 2 shown]
	v_add_f32_e32 v2, v2, v3
	s_waitcnt vmcnt(0)
	v_mul_f32_e32 v18, v16, v211
	v_fmac_f32_e32 v18, v17, v210
	v_add_f32_e32 v22, v1, v18
	ds_read2_b64 v[18:21], v198 offset0:71 offset1:72
	buffer_load_dword v212, off, s[0:3], 0 offset:152
	buffer_load_dword v1, off, s[0:3], 0 offset:156
	buffer_load_dword v86, off, s[0:3], 0 offset:160
	buffer_load_dword v87, off, s[0:3], 0 offset:164
	ds_read2_b64 v[26:29], v198 offset0:73 offset1:74
	buffer_load_dword v213, off, s[0:3], 0 offset:168
	buffer_load_dword v214, off, s[0:3], 0 offset:172
	buffer_load_dword v215, off, s[0:3], 0 offset:176
	buffer_load_dword v88, off, s[0:3], 0 offset:180
	;; [unrolled: 5-line block ×12, first 2 shown]
	v_mul_f32_e32 v3, v17, v211
	v_fma_f32 v3, v16, v210, -v3
	v_add_f32_e32 v2, v2, v3
	s_waitcnt vmcnt(46) lgkmcnt(11)
	v_mul_f32_e32 v23, v18, v1
	v_fmac_f32_e32 v23, v19, v212
	v_add_f32_e32 v22, v22, v23
	s_waitcnt vmcnt(44)
	v_mul_f32_e32 v23, v20, v87
	v_fmac_f32_e32 v23, v21, v86
	v_add_f32_e32 v22, v22, v23
	s_waitcnt vmcnt(42) lgkmcnt(10)
	v_mul_f32_e32 v23, v26, v214
	v_fmac_f32_e32 v23, v27, v213
	v_add_f32_e32 v22, v22, v23
	s_waitcnt vmcnt(40)
	v_mul_f32_e32 v23, v28, v88
	v_fmac_f32_e32 v23, v29, v215
	;; [unrolled: 8-line block ×11, first 2 shown]
	v_add_f32_e32 v22, v22, v23
	s_waitcnt vmcnt(2) lgkmcnt(0)
	v_mul_f32_e32 v23, v66, v232
	v_fmac_f32_e32 v23, v67, v231
	v_add_f32_e32 v73, v22, v23
	ds_read2_b64 v[22:25], v198 offset0:95 offset1:96
	buffer_load_dword v235, off, s[0:3], 0 offset:344
	buffer_load_dword v236, off, s[0:3], 0 offset:348
	;; [unrolled: 1-line block ×18, first 2 shown]
	v_mul_f32_e32 v1, v19, v1
	v_fma_f32 v1, v18, v212, -v1
	v_add_f32_e32 v1, v2, v1
	v_mul_f32_e32 v2, v21, v87
	v_fma_f32 v2, v20, v86, -v2
	v_add_f32_e32 v1, v1, v2
	;; [unrolled: 3-line block ×22, first 2 shown]
	v_mul_f32_e32 v2, v67, v232
	v_fma_f32 v2, v66, v231, -v2
	s_waitcnt vmcnt(15)
	v_mov_b32_e32 v18, v77
	v_mul_f32_e32 v75, v68, v234
	v_add_f32_e32 v72, v1, v2
	v_mul_f32_e32 v1, v69, v234
	s_waitcnt lgkmcnt(0)
	v_pk_mul_f32 v[18:19], v[24:25], v[18:19] op_sel_hi:[1,0]
	v_fmac_f32_e32 v75, v69, v233
	v_fma_f32 v74, v68, v233, -v1
	ds_read2_b64 v[2:5], v198 offset0:97 offset1:98
	ds_read2_b64 v[6:9], v198 offset0:99 offset1:100
	;; [unrolled: 1-line block ×3, first 2 shown]
	ds_read_b64 v[14:15], v198 offset:824
	s_waitcnt vmcnt(14)
	v_pk_fma_f32 v[20:21], v[24:25], v[76:77], v[18:19] op_sel:[0,0,1] op_sel_hi:[1,1,0] neg_lo:[0,0,1] neg_hi:[0,0,1]
	v_pk_fma_f32 v[18:19], v[24:25], v[76:77], v[18:19] op_sel:[0,0,1] op_sel_hi:[1,0,0]
	v_mul_f32_e32 v79, v22, v236
	v_mul_f32_e32 v1, v23, v236
	v_fmac_f32_e32 v79, v23, v235
	v_fma_f32 v78, v22, v235, -v1
	v_pk_add_f32 v[16:17], v[72:73], v[74:75]
	s_waitcnt vmcnt(13)
	v_mov_b32_e32 v18, v197
	v_pk_add_f32 v[16:17], v[16:17], v[78:79]
	v_mov_b32_e32 v21, v19
	s_waitcnt lgkmcnt(3)
	v_pk_mul_f32 v[18:19], v[2:3], v[18:19] op_sel_hi:[1,0]
	v_pk_add_f32 v[16:17], v[16:17], v[20:21]
	s_waitcnt vmcnt(12)
	v_pk_fma_f32 v[20:21], v[2:3], v[196:197], v[18:19] op_sel:[0,0,1] op_sel_hi:[1,1,0] neg_lo:[0,0,1] neg_hi:[0,0,1]
	v_pk_fma_f32 v[2:3], v[2:3], v[196:197], v[18:19] op_sel:[0,0,1] op_sel_hi:[1,0,0]
	v_mov_b32_e32 v21, v3
	v_pk_add_f32 v[2:3], v[16:17], v[20:21]
	s_waitcnt vmcnt(11)
	v_mov_b32_e32 v16, v195
	v_pk_mul_f32 v[16:17], v[4:5], v[16:17] op_sel_hi:[1,0]
	s_waitcnt vmcnt(10)
	v_pk_fma_f32 v[18:19], v[4:5], v[194:195], v[16:17] op_sel:[0,0,1] op_sel_hi:[1,1,0] neg_lo:[0,0,1] neg_hi:[0,0,1]
	v_pk_fma_f32 v[4:5], v[4:5], v[194:195], v[16:17] op_sel:[0,0,1] op_sel_hi:[1,0,0]
	s_waitcnt vmcnt(9)
	v_mov_b32_e32 v4, v193
	v_mov_b32_e32 v19, v5
	s_waitcnt lgkmcnt(2)
	v_pk_mul_f32 v[4:5], v[6:7], v[4:5] op_sel_hi:[1,0]
	s_waitcnt vmcnt(8)
	v_pk_fma_f32 v[16:17], v[6:7], v[192:193], v[4:5] op_sel:[0,0,1] op_sel_hi:[1,1,0] neg_lo:[0,0,1] neg_hi:[0,0,1]
	v_pk_fma_f32 v[4:5], v[6:7], v[192:193], v[4:5] op_sel:[0,0,1] op_sel_hi:[1,0,0]
	s_waitcnt vmcnt(7)
	v_mov_b32_e32 v4, v191
	v_mov_b32_e32 v17, v5
	v_pk_mul_f32 v[4:5], v[8:9], v[4:5] op_sel_hi:[1,0]
	s_waitcnt vmcnt(6)
	v_pk_fma_f32 v[6:7], v[8:9], v[190:191], v[4:5] op_sel:[0,0,1] op_sel_hi:[1,1,0] neg_lo:[0,0,1] neg_hi:[0,0,1]
	v_pk_fma_f32 v[4:5], v[8:9], v[190:191], v[4:5] op_sel:[0,0,1] op_sel_hi:[1,0,0]
	v_pk_add_f32 v[2:3], v[2:3], v[18:19]
	s_waitcnt vmcnt(5)
	v_mov_b32_e32 v4, v85
	v_pk_add_f32 v[2:3], v[2:3], v[16:17]
	v_mov_b32_e32 v7, v5
	s_waitcnt lgkmcnt(1)
	v_pk_mul_f32 v[4:5], v[10:11], v[4:5] op_sel_hi:[1,0]
	v_pk_add_f32 v[2:3], v[2:3], v[6:7]
	s_waitcnt vmcnt(4)
	v_pk_fma_f32 v[6:7], v[10:11], v[84:85], v[4:5] op_sel:[0,0,1] op_sel_hi:[1,1,0] neg_lo:[0,0,1] neg_hi:[0,0,1]
	v_pk_fma_f32 v[4:5], v[10:11], v[84:85], v[4:5] op_sel:[0,0,1] op_sel_hi:[1,0,0]
	s_waitcnt vmcnt(3)
	v_mov_b32_e32 v4, v83
	v_mov_b32_e32 v7, v5
	v_pk_mul_f32 v[4:5], v[12:13], v[4:5] op_sel_hi:[1,0]
	v_pk_add_f32 v[2:3], v[2:3], v[6:7]
	s_waitcnt vmcnt(2)
	v_pk_fma_f32 v[6:7], v[12:13], v[82:83], v[4:5] op_sel:[0,0,1] op_sel_hi:[1,1,0] neg_lo:[0,0,1] neg_hi:[0,0,1]
	v_pk_fma_f32 v[4:5], v[12:13], v[82:83], v[4:5] op_sel:[0,0,1] op_sel_hi:[1,0,0]
	s_waitcnt vmcnt(1)
	v_mov_b32_e32 v4, v81
	v_mov_b32_e32 v7, v5
	s_waitcnt lgkmcnt(0)
	v_pk_mul_f32 v[4:5], v[14:15], v[4:5] op_sel_hi:[1,0]
	v_pk_add_f32 v[2:3], v[2:3], v[6:7]
	s_waitcnt vmcnt(0)
	v_pk_fma_f32 v[6:7], v[14:15], v[80:81], v[4:5] op_sel:[0,0,1] op_sel_hi:[1,1,0] neg_lo:[0,0,1] neg_hi:[0,0,1]
	v_pk_fma_f32 v[4:5], v[14:15], v[80:81], v[4:5] op_sel:[0,0,1] op_sel_hi:[1,0,0]
	v_mov_b32_e32 v7, v5
	v_pk_add_f32 v[2:3], v[2:3], v[6:7]
	v_pk_add_f32 v[2:3], v[70:71], v[2:3] neg_lo:[0,1] neg_hi:[0,1]
	buffer_store_dword v3, off, s[0:3], 0 offset:84
	buffer_store_dword v2, off, s[0:3], 0 offset:80
	s_and_saveexec_b64 s[4:5], vcc
	s_cbranch_execz .LBB115_307
; %bb.306:
	buffer_load_dword v2, off, s[0:3], 0 offset:72
	buffer_load_dword v3, off, s[0:3], 0 offset:76
	s_waitcnt vmcnt(0)
	ds_write_b64 v129, v[2:3]
	buffer_store_dword v198, off, s[0:3], 0 offset:72
	buffer_store_dword v198, off, s[0:3], 0 offset:76
.LBB115_307:
	s_or_b64 exec, exec, s[4:5]
	s_waitcnt lgkmcnt(0)
	; wave barrier
	s_waitcnt lgkmcnt(0)
	buffer_load_dword v1, off, s[0:3], 0 offset:84
	buffer_load_dword v78, off, s[0:3], 0 offset:92
	;; [unrolled: 1-line block ×24, first 2 shown]
	ds_read_b128 v[22:25], v198 offset:496
	ds_read_b128 v[18:21], v198 offset:512
	;; [unrolled: 1-line block ×4, first 2 shown]
	buffer_load_dword v196, off, s[0:3], 0 offset:168
	buffer_load_dword v197, off, s[0:3], 0 offset:172
	ds_read_b128 v[10:13], v198 offset:560
	ds_read_b128 v[2:5], v198 offset:576
	buffer_load_dword v199, off, s[0:3], 0 offset:176
	buffer_load_dword v200, off, s[0:3], 0 offset:180
	;; [unrolled: 1-line block ×44, first 2 shown]
	v_cmp_lt_u32_e32 vcc, 8, v0
	s_waitcnt vmcnt(62) lgkmcnt(5)
	v_mul_f32_e32 v28, v22, v1
	v_mul_f32_e32 v29, v24, v78
	s_waitcnt lgkmcnt(4)
	v_mul_f32_e32 v31, v20, v80
	s_waitcnt lgkmcnt(3)
	v_mul_f32_e32 v32, v14, v82
	v_mul_f32_e32 v33, v16, v98
	v_mul_f32_e32 v30, v18, v99
	s_waitcnt lgkmcnt(2)
	v_mul_f32_e32 v34, v6, v100
	v_mul_f32_e32 v35, v8, v101
	s_waitcnt vmcnt(61)
	v_fmac_f32_e32 v30, v19, v102
	s_waitcnt vmcnt(60)
	v_fmac_f32_e32 v29, v25, v103
	;; [unrolled: 2-line block ×3, first 2 shown]
	v_add_f32_e32 v28, 0, v28
	v_add_f32_e32 v28, v28, v29
	;; [unrolled: 1-line block ×3, first 2 shown]
	s_waitcnt vmcnt(55)
	v_fmac_f32_e32 v31, v21, v108
	v_fmac_f32_e32 v32, v15, v107
	v_add_f32_e32 v28, v28, v31
	v_fmac_f32_e32 v33, v17, v106
	v_add_f32_e32 v28, v28, v32
	;; [unrolled: 2-line block ×3, first 2 shown]
	s_waitcnt vmcnt(51)
	v_fmac_f32_e32 v35, v9, v192
	v_add_f32_e32 v28, v28, v34
	s_waitcnt vmcnt(50) lgkmcnt(1)
	v_mul_f32_e32 v29, v10, v193
	v_add_f32_e32 v28, v28, v35
	v_fmac_f32_e32 v29, v11, v191
	v_add_f32_e32 v28, v28, v29
	s_waitcnt vmcnt(49)
	v_mul_f32_e32 v29, v12, v194
	v_fmac_f32_e32 v29, v13, v190
	v_add_f32_e32 v28, v28, v29
	s_waitcnt vmcnt(48) lgkmcnt(0)
	v_mul_f32_e32 v29, v2, v195
	v_fmac_f32_e32 v29, v3, v109
	v_add_f32_e32 v32, v28, v29
	ds_read_b128 v[28:31], v198 offset:592
	s_waitcnt vmcnt(44)
	v_mul_f32_e32 v33, v4, v197
	v_fmac_f32_e32 v33, v5, v196
	v_add_f32_e32 v36, v32, v33
	ds_read_b128 v[32:35], v198 offset:608
	s_waitcnt vmcnt(42) lgkmcnt(1)
	v_mul_f32_e32 v37, v28, v200
	v_fmac_f32_e32 v37, v29, v199
	v_add_f32_e32 v36, v36, v37
	s_waitcnt vmcnt(40)
	v_mul_f32_e32 v37, v30, v202
	v_fmac_f32_e32 v37, v31, v201
	v_add_f32_e32 v36, v36, v37
	s_waitcnt vmcnt(38) lgkmcnt(0)
	v_mul_f32_e32 v37, v32, v204
	v_fmac_f32_e32 v37, v33, v203
	v_add_f32_e32 v40, v36, v37
	ds_read_b128 v[36:39], v198 offset:624
	s_waitcnt vmcnt(36)
	v_mul_f32_e32 v41, v34, v206
	v_fmac_f32_e32 v41, v35, v205
	v_add_f32_e32 v44, v40, v41
	ds_read_b128 v[40:43], v198 offset:640
	s_waitcnt vmcnt(34) lgkmcnt(1)
	v_mul_f32_e32 v45, v36, v208
	;; [unrolled: 18-line block ×4, first 2 shown]
	v_fmac_f32_e32 v61, v53, v223
	v_add_f32_e32 v60, v60, v61
	s_waitcnt vmcnt(16)
	v_mul_f32_e32 v61, v54, v226
	v_fmac_f32_e32 v61, v55, v225
	v_add_f32_e32 v60, v60, v61
	s_waitcnt vmcnt(14) lgkmcnt(0)
	v_mul_f32_e32 v61, v56, v228
	v_fmac_f32_e32 v61, v57, v227
	v_add_f32_e32 v64, v60, v61
	ds_read_b128 v[60:63], v198 offset:720
	s_waitcnt vmcnt(12)
	v_mul_f32_e32 v65, v58, v230
	v_fmac_f32_e32 v65, v59, v229
	v_add_f32_e32 v68, v64, v65
	ds_read_b128 v[64:67], v198 offset:736
	buffer_load_dword v77, off, s[0:3], 0 offset:356
	buffer_load_dword v76, off, s[0:3], 0 offset:352
	s_waitcnt vmcnt(12) lgkmcnt(1)
	v_mul_f32_e32 v69, v60, v232
	v_fmac_f32_e32 v69, v61, v231
	v_add_f32_e32 v68, v68, v69
	s_waitcnt vmcnt(10)
	v_mul_f32_e32 v69, v62, v234
	v_fmac_f32_e32 v69, v63, v233
	v_add_f32_e32 v68, v68, v69
	s_waitcnt vmcnt(8) lgkmcnt(0)
	v_mul_f32_e32 v69, v64, v236
	v_fmac_f32_e32 v69, v65, v235
	s_waitcnt vmcnt(6)
	v_mul_f32_e32 v73, v66, v238
	v_add_f32_e32 v72, v68, v69
	v_fmac_f32_e32 v73, v67, v237
	ds_read_b128 v[68:71], v198 offset:752
	v_add_f32_e32 v79, v72, v73
	ds_read_b128 v[72:75], v198 offset:768
	buffer_load_dword v85, off, s[0:3], 0 offset:388
	buffer_load_dword v84, off, s[0:3], 0 offset:384
	;; [unrolled: 1-line block ×14, first 2 shown]
	v_mul_f32_e32 v1, v23, v1
	v_fma_f32 v1, v22, v104, -v1
	v_mul_f32_e32 v22, v25, v78
	v_add_f32_e32 v1, 0, v1
	v_fma_f32 v22, v24, v103, -v22
	v_mul_f32_e32 v19, v19, v99
	v_add_f32_e32 v1, v1, v22
	v_fma_f32 v18, v18, v102, -v19
	v_add_f32_e32 v1, v1, v18
	v_mul_f32_e32 v18, v21, v80
	v_fma_f32 v18, v20, v108, -v18
	v_mul_f32_e32 v15, v15, v82
	v_add_f32_e32 v1, v1, v18
	v_fma_f32 v14, v14, v107, -v15
	v_add_f32_e32 v1, v1, v14
	v_mul_f32_e32 v14, v17, v98
	;; [unrolled: 6-line block ×3, first 2 shown]
	v_fma_f32 v6, v8, v192, -v6
	v_add_f32_e32 v1, v1, v6
	v_mul_f32_e32 v6, v11, v193
	v_fma_f32 v6, v10, v191, -v6
	v_add_f32_e32 v1, v1, v6
	v_mul_f32_e32 v6, v13, v194
	v_fma_f32 v6, v12, v190, -v6
	v_mul_f32_e32 v3, v3, v195
	v_add_f32_e32 v1, v1, v6
	v_fma_f32 v2, v2, v109, -v3
	v_add_f32_e32 v1, v1, v2
	v_mul_f32_e32 v2, v5, v197
	v_fma_f32 v2, v4, v196, -v2
	v_add_f32_e32 v1, v1, v2
	v_mul_f32_e32 v2, v29, v200
	;; [unrolled: 3-line block ×21, first 2 shown]
	v_fma_f32 v2, v66, v237, -v2
	s_waitcnt vmcnt(15)
	v_mov_b32_e32 v16, v77
	s_waitcnt lgkmcnt(1)
	v_mul_f32_e32 v81, v68, v240
	v_add_f32_e32 v78, v1, v2
	v_mul_f32_e32 v1, v69, v240
	s_waitcnt lgkmcnt(0)
	v_pk_mul_f32 v[16:17], v[72:73], v[16:17] op_sel_hi:[1,0]
	v_fmac_f32_e32 v81, v69, v239
	v_mul_f32_e32 v83, v70, v242
	v_fma_f32 v80, v68, v239, -v1
	v_mul_f32_e32 v1, v71, v242
	s_waitcnt vmcnt(14)
	v_pk_fma_f32 v[18:19], v[72:73], v[76:77], v[16:17] op_sel:[0,0,1] op_sel_hi:[1,1,0] neg_lo:[0,0,1] neg_hi:[0,0,1]
	v_pk_fma_f32 v[16:17], v[72:73], v[76:77], v[16:17] op_sel:[0,0,1] op_sel_hi:[1,0,0]
	v_fmac_f32_e32 v83, v71, v241
	v_fma_f32 v82, v70, v241, -v1
	v_pk_add_f32 v[14:15], v[78:79], v[80:81]
	s_waitcnt vmcnt(7)
	v_mov_b32_e32 v16, v91
	ds_read_b128 v[2:5], v198 offset:784
	ds_read_b128 v[6:9], v198 offset:800
	ds_read_b128 v[10:13], v198 offset:816
	v_pk_add_f32 v[14:15], v[14:15], v[82:83]
	v_mov_b32_e32 v19, v17
	v_pk_mul_f32 v[16:17], v[74:75], v[16:17] op_sel_hi:[1,0]
	v_pk_add_f32 v[14:15], v[14:15], v[18:19]
	s_waitcnt vmcnt(6)
	v_pk_fma_f32 v[18:19], v[74:75], v[90:91], v[16:17] op_sel:[0,0,1] op_sel_hi:[1,1,0] neg_lo:[0,0,1] neg_hi:[0,0,1]
	v_pk_fma_f32 v[16:17], v[74:75], v[90:91], v[16:17] op_sel:[0,0,1] op_sel_hi:[1,0,0]
	v_mov_b32_e32 v16, v89
	v_mov_b32_e32 v19, v17
	s_waitcnt lgkmcnt(2)
	v_pk_mul_f32 v[16:17], v[2:3], v[16:17] op_sel_hi:[1,0]
	v_pk_add_f32 v[14:15], v[14:15], v[18:19]
	v_pk_fma_f32 v[18:19], v[2:3], v[88:89], v[16:17] op_sel:[0,0,1] op_sel_hi:[1,1,0] neg_lo:[0,0,1] neg_hi:[0,0,1]
	v_pk_fma_f32 v[2:3], v[2:3], v[88:89], v[16:17] op_sel:[0,0,1] op_sel_hi:[1,0,0]
	v_mov_b32_e32 v19, v3
	v_pk_add_f32 v[2:3], v[14:15], v[18:19]
	v_mov_b32_e32 v14, v87
	v_pk_mul_f32 v[14:15], v[4:5], v[14:15] op_sel_hi:[1,0]
	v_pk_fma_f32 v[16:17], v[4:5], v[86:87], v[14:15] op_sel:[0,0,1] op_sel_hi:[1,1,0] neg_lo:[0,0,1] neg_hi:[0,0,1]
	v_pk_fma_f32 v[4:5], v[4:5], v[86:87], v[14:15] op_sel:[0,0,1] op_sel_hi:[1,0,0]
	v_mov_b32_e32 v4, v85
	v_mov_b32_e32 v17, v5
	s_waitcnt lgkmcnt(1)
	v_pk_mul_f32 v[4:5], v[6:7], v[4:5] op_sel_hi:[1,0]
	v_pk_fma_f32 v[14:15], v[6:7], v[84:85], v[4:5] op_sel:[0,0,1] op_sel_hi:[1,1,0] neg_lo:[0,0,1] neg_hi:[0,0,1]
	v_pk_fma_f32 v[4:5], v[6:7], v[84:85], v[4:5] op_sel:[0,0,1] op_sel_hi:[1,0,0]
	s_waitcnt vmcnt(1)
	v_mov_b32_e32 v4, v97
	v_mov_b32_e32 v15, v5
	v_pk_mul_f32 v[4:5], v[8:9], v[4:5] op_sel_hi:[1,0]
	s_waitcnt vmcnt(0)
	v_pk_fma_f32 v[6:7], v[8:9], v[96:97], v[4:5] op_sel:[0,0,1] op_sel_hi:[1,1,0] neg_lo:[0,0,1] neg_hi:[0,0,1]
	v_pk_fma_f32 v[4:5], v[8:9], v[96:97], v[4:5] op_sel:[0,0,1] op_sel_hi:[1,0,0]
	v_pk_add_f32 v[2:3], v[2:3], v[16:17]
	v_mov_b32_e32 v4, v95
	v_pk_add_f32 v[2:3], v[2:3], v[14:15]
	v_mov_b32_e32 v7, v5
	s_waitcnt lgkmcnt(0)
	v_pk_mul_f32 v[4:5], v[10:11], v[4:5] op_sel_hi:[1,0]
	v_pk_add_f32 v[2:3], v[2:3], v[6:7]
	v_pk_fma_f32 v[6:7], v[10:11], v[94:95], v[4:5] op_sel:[0,0,1] op_sel_hi:[1,1,0] neg_lo:[0,0,1] neg_hi:[0,0,1]
	v_pk_fma_f32 v[4:5], v[10:11], v[94:95], v[4:5] op_sel:[0,0,1] op_sel_hi:[1,0,0]
	v_mov_b32_e32 v4, v93
	v_mov_b32_e32 v7, v5
	v_pk_mul_f32 v[4:5], v[12:13], v[4:5] op_sel_hi:[1,0]
	v_pk_add_f32 v[2:3], v[2:3], v[6:7]
	v_pk_fma_f32 v[6:7], v[12:13], v[92:93], v[4:5] op_sel:[0,0,1] op_sel_hi:[1,1,0] neg_lo:[0,0,1] neg_hi:[0,0,1]
	v_pk_fma_f32 v[4:5], v[12:13], v[92:93], v[4:5] op_sel:[0,0,1] op_sel_hi:[1,0,0]
	v_mov_b32_e32 v7, v5
	v_pk_add_f32 v[2:3], v[2:3], v[6:7]
	v_pk_add_f32 v[2:3], v[26:27], v[2:3] neg_lo:[0,1] neg_hi:[0,1]
	buffer_store_dword v3, off, s[0:3], 0 offset:76
	buffer_store_dword v2, off, s[0:3], 0 offset:72
	s_and_saveexec_b64 s[4:5], vcc
	s_cbranch_execz .LBB115_309
; %bb.308:
	buffer_load_dword v2, off, s[0:3], 0 offset:64
	buffer_load_dword v3, off, s[0:3], 0 offset:68
	v_mov_b32_e32 v1, 0
	buffer_store_dword v1, off, s[0:3], 0 offset:64
	buffer_store_dword v1, off, s[0:3], 0 offset:68
	s_waitcnt vmcnt(2)
	ds_write_b64 v129, v[2:3]
.LBB115_309:
	s_or_b64 exec, exec, s[4:5]
	s_waitcnt lgkmcnt(0)
	; wave barrier
	s_waitcnt lgkmcnt(0)
	buffer_load_dword v1, off, s[0:3], 0 offset:76
	buffer_load_dword v29, off, s[0:3], 0 offset:84
	;; [unrolled: 1-line block ×56, first 2 shown]
	v_mov_b32_e32 v28, 0
	ds_read2_b64 v[4:7], v28 offset0:61 offset1:62
	ds_read2_b64 v[8:11], v28 offset0:63 offset1:64
	;; [unrolled: 1-line block ×6, first 2 shown]
	buffer_load_dword v229, off, s[0:3], 0 offset:288
	buffer_load_dword v230, off, s[0:3], 0 offset:292
	;; [unrolled: 1-line block ×16, first 2 shown]
	v_cmp_lt_u32_e32 vcc, 7, v0
	s_waitcnt vmcnt(62) lgkmcnt(5)
	v_mul_f32_e32 v30, v4, v1
	v_mul_f32_e32 v31, v6, v29
	s_waitcnt lgkmcnt(4)
	v_mul_f32_e32 v33, v10, v78
	s_waitcnt lgkmcnt(3)
	v_mul_f32_e32 v34, v12, v80
	v_mul_f32_e32 v35, v14, v82
	v_mul_f32_e32 v32, v8, v100
	s_waitcnt lgkmcnt(2)
	v_mul_f32_e32 v36, v16, v101
	v_mul_f32_e32 v37, v18, v102
	s_waitcnt lgkmcnt(1)
	v_mul_f32_e32 v38, v20, v103
	v_fmac_f32_e32 v32, v9, v104
	s_waitcnt vmcnt(61)
	v_fmac_f32_e32 v31, v7, v105
	s_waitcnt vmcnt(60)
	v_fmac_f32_e32 v30, v5, v106
	v_add_f32_e32 v30, 0, v30
	v_add_f32_e32 v30, v30, v31
	;; [unrolled: 1-line block ×3, first 2 shown]
	s_waitcnt vmcnt(56)
	v_fmac_f32_e32 v33, v11, v190
	v_fmac_f32_e32 v34, v13, v109
	v_add_f32_e32 v30, v30, v33
	v_fmac_f32_e32 v35, v15, v108
	v_add_f32_e32 v30, v30, v34
	v_fmac_f32_e32 v36, v17, v107
	v_add_f32_e32 v30, v30, v35
	s_waitcnt vmcnt(52)
	v_fmac_f32_e32 v37, v19, v194
	v_add_f32_e32 v30, v30, v36
	v_add_f32_e32 v30, v30, v37
	v_fmac_f32_e32 v38, v21, v193
	s_waitcnt vmcnt(51)
	v_mul_f32_e32 v31, v22, v195
	v_add_f32_e32 v30, v30, v38
	v_fmac_f32_e32 v31, v23, v192
	v_add_f32_e32 v30, v30, v31
	s_waitcnt vmcnt(50) lgkmcnt(0)
	v_mul_f32_e32 v31, v24, v196
	v_fmac_f32_e32 v31, v25, v191
	v_add_f32_e32 v34, v30, v31
	ds_read2_b64 v[30:33], v28 offset0:73 offset1:74
	s_waitcnt vmcnt(46)
	v_mul_f32_e32 v35, v26, v198
	v_fmac_f32_e32 v35, v27, v197
	v_add_f32_e32 v38, v34, v35
	ds_read2_b64 v[34:37], v28 offset0:75 offset1:76
	s_waitcnt vmcnt(44) lgkmcnt(1)
	v_mul_f32_e32 v39, v30, v200
	v_fmac_f32_e32 v39, v31, v199
	v_add_f32_e32 v38, v38, v39
	s_waitcnt vmcnt(42)
	v_mul_f32_e32 v39, v32, v202
	v_fmac_f32_e32 v39, v33, v201
	v_add_f32_e32 v38, v38, v39
	s_waitcnt vmcnt(40) lgkmcnt(0)
	v_mul_f32_e32 v39, v34, v204
	v_fmac_f32_e32 v39, v35, v203
	v_add_f32_e32 v42, v38, v39
	ds_read2_b64 v[38:41], v28 offset0:77 offset1:78
	s_waitcnt vmcnt(38)
	v_mul_f32_e32 v43, v36, v206
	v_fmac_f32_e32 v43, v37, v205
	v_add_f32_e32 v46, v42, v43
	ds_read2_b64 v[42:45], v28 offset0:79 offset1:80
	s_waitcnt vmcnt(36) lgkmcnt(1)
	v_mul_f32_e32 v47, v38, v208
	v_fmac_f32_e32 v47, v39, v207
	v_add_f32_e32 v46, v46, v47
	s_waitcnt vmcnt(34)
	v_mul_f32_e32 v47, v40, v210
	v_fmac_f32_e32 v47, v41, v209
	v_add_f32_e32 v46, v46, v47
	s_waitcnt vmcnt(32) lgkmcnt(0)
	v_mul_f32_e32 v47, v42, v212
	v_fmac_f32_e32 v47, v43, v211
	v_add_f32_e32 v50, v46, v47
	ds_read2_b64 v[46:49], v28 offset0:81 offset1:82
	s_waitcnt vmcnt(30)
	v_mul_f32_e32 v51, v44, v214
	v_fmac_f32_e32 v51, v45, v213
	v_add_f32_e32 v54, v50, v51
	ds_read2_b64 v[50:53], v28 offset0:83 offset1:84
	s_waitcnt vmcnt(28) lgkmcnt(1)
	v_mul_f32_e32 v55, v46, v216
	v_fmac_f32_e32 v55, v47, v215
	v_add_f32_e32 v54, v54, v55
	s_waitcnt vmcnt(26)
	v_mul_f32_e32 v55, v48, v218
	v_fmac_f32_e32 v55, v49, v217
	v_add_f32_e32 v54, v54, v55
	s_waitcnt vmcnt(24) lgkmcnt(0)
	v_mul_f32_e32 v55, v50, v220
	v_fmac_f32_e32 v55, v51, v219
	v_add_f32_e32 v58, v54, v55
	ds_read2_b64 v[54:57], v28 offset0:85 offset1:86
	s_waitcnt vmcnt(22)
	v_mul_f32_e32 v59, v52, v222
	v_fmac_f32_e32 v59, v53, v221
	v_add_f32_e32 v62, v58, v59
	ds_read2_b64 v[58:61], v28 offset0:87 offset1:88
	s_waitcnt vmcnt(20) lgkmcnt(1)
	v_mul_f32_e32 v63, v54, v224
	v_fmac_f32_e32 v63, v55, v223
	v_add_f32_e32 v62, v62, v63
	s_waitcnt vmcnt(18)
	v_mul_f32_e32 v63, v56, v226
	v_fmac_f32_e32 v63, v57, v225
	v_add_f32_e32 v62, v62, v63
	s_waitcnt vmcnt(16) lgkmcnt(0)
	v_mul_f32_e32 v63, v58, v228
	v_fmac_f32_e32 v63, v59, v227
	v_add_f32_e32 v66, v62, v63
	ds_read2_b64 v[62:65], v28 offset0:89 offset1:90
	s_waitcnt vmcnt(14)
	v_mul_f32_e32 v67, v60, v230
	v_fmac_f32_e32 v67, v61, v229
	v_add_f32_e32 v70, v66, v67
	ds_read2_b64 v[66:69], v28 offset0:91 offset1:92
	s_waitcnt vmcnt(12) lgkmcnt(1)
	v_mul_f32_e32 v71, v62, v232
	v_fmac_f32_e32 v71, v63, v231
	v_add_f32_e32 v70, v70, v71
	s_waitcnt vmcnt(10)
	v_mul_f32_e32 v71, v64, v234
	v_fmac_f32_e32 v71, v65, v233
	v_add_f32_e32 v70, v70, v71
	s_waitcnt vmcnt(8) lgkmcnt(0)
	v_mul_f32_e32 v71, v66, v236
	v_fmac_f32_e32 v71, v67, v235
	s_waitcnt vmcnt(6)
	v_mul_f32_e32 v75, v68, v238
	v_add_f32_e32 v74, v70, v71
	v_fmac_f32_e32 v75, v69, v237
	ds_read2_b64 v[70:73], v28 offset0:93 offset1:94
	v_add_f32_e32 v79, v74, v75
	ds_read2_b64 v[74:77], v28 offset0:95 offset1:96
	buffer_load_dword v85, off, s[0:3], 0 offset:380
	buffer_load_dword v84, off, s[0:3], 0 offset:376
	;; [unrolled: 1-line block ×16, first 2 shown]
	v_mul_f32_e32 v1, v5, v1
	v_fma_f32 v1, v4, v106, -v1
	v_mul_f32_e32 v4, v7, v29
	v_add_f32_e32 v1, 0, v1
	v_fma_f32 v4, v6, v105, -v4
	v_add_f32_e32 v1, v1, v4
	v_mul_f32_e32 v4, v9, v100
	v_fma_f32 v4, v8, v104, -v4
	v_add_f32_e32 v1, v1, v4
	v_mul_f32_e32 v4, v11, v78
	;; [unrolled: 3-line block ×30, first 2 shown]
	v_fma_f32 v4, v68, v237, -v4
	s_waitcnt vmcnt(20) lgkmcnt(1)
	v_mul_f32_e32 v81, v70, v240
	v_add_f32_e32 v1, v1, v4
	v_mul_f32_e32 v4, v71, v240
	v_fmac_f32_e32 v81, v71, v239
	v_fma_f32 v4, v70, v239, -v4
	s_waitcnt vmcnt(9)
	v_mov_b32_e32 v20, v91
	v_add_f32_e32 v79, v79, v81
	v_mul_f32_e32 v81, v72, v242
	v_add_f32_e32 v78, v1, v4
	v_mul_f32_e32 v1, v73, v242
	s_waitcnt lgkmcnt(0)
	v_pk_mul_f32 v[20:21], v[76:77], v[20:21] op_sel_hi:[1,0]
	v_fmac_f32_e32 v81, v73, v241
	v_mul_f32_e32 v83, v74, v244
	v_fma_f32 v80, v72, v241, -v1
	v_mul_f32_e32 v1, v75, v244
	ds_read2_b64 v[4:7], v28 offset0:97 offset1:98
	ds_read2_b64 v[8:11], v28 offset0:99 offset1:100
	;; [unrolled: 1-line block ×3, first 2 shown]
	ds_read_b64 v[16:17], v28 offset:824
	s_waitcnt vmcnt(8)
	v_pk_fma_f32 v[22:23], v[76:77], v[90:91], v[20:21] op_sel:[0,0,1] op_sel_hi:[1,1,0] neg_lo:[0,0,1] neg_hi:[0,0,1]
	v_pk_fma_f32 v[20:21], v[76:77], v[90:91], v[20:21] op_sel:[0,0,1] op_sel_hi:[1,0,0]
	v_fmac_f32_e32 v83, v75, v243
	v_fma_f32 v82, v74, v243, -v1
	v_pk_add_f32 v[18:19], v[78:79], v[80:81]
	v_mov_b32_e32 v20, v89
	v_pk_add_f32 v[18:19], v[18:19], v[82:83]
	v_mov_b32_e32 v23, v21
	s_waitcnt lgkmcnt(3)
	v_pk_mul_f32 v[20:21], v[4:5], v[20:21] op_sel_hi:[1,0]
	v_pk_add_f32 v[18:19], v[18:19], v[22:23]
	v_pk_fma_f32 v[22:23], v[4:5], v[88:89], v[20:21] op_sel:[0,0,1] op_sel_hi:[1,1,0] neg_lo:[0,0,1] neg_hi:[0,0,1]
	v_pk_fma_f32 v[4:5], v[4:5], v[88:89], v[20:21] op_sel:[0,0,1] op_sel_hi:[1,0,0]
	v_mov_b32_e32 v23, v5
	v_pk_add_f32 v[4:5], v[18:19], v[22:23]
	v_mov_b32_e32 v18, v87
	v_pk_mul_f32 v[18:19], v[6:7], v[18:19] op_sel_hi:[1,0]
	v_pk_fma_f32 v[20:21], v[6:7], v[86:87], v[18:19] op_sel:[0,0,1] op_sel_hi:[1,1,0] neg_lo:[0,0,1] neg_hi:[0,0,1]
	v_pk_fma_f32 v[6:7], v[6:7], v[86:87], v[18:19] op_sel:[0,0,1] op_sel_hi:[1,0,0]
	v_mov_b32_e32 v6, v85
	v_mov_b32_e32 v21, v7
	s_waitcnt lgkmcnt(2)
	v_pk_mul_f32 v[6:7], v[8:9], v[6:7] op_sel_hi:[1,0]
	v_pk_fma_f32 v[18:19], v[8:9], v[84:85], v[6:7] op_sel:[0,0,1] op_sel_hi:[1,1,0] neg_lo:[0,0,1] neg_hi:[0,0,1]
	v_pk_fma_f32 v[6:7], v[8:9], v[84:85], v[6:7] op_sel:[0,0,1] op_sel_hi:[1,0,0]
	s_waitcnt vmcnt(1)
	v_mov_b32_e32 v6, v99
	v_mov_b32_e32 v19, v7
	v_pk_mul_f32 v[6:7], v[10:11], v[6:7] op_sel_hi:[1,0]
	s_waitcnt vmcnt(0)
	v_pk_fma_f32 v[8:9], v[10:11], v[98:99], v[6:7] op_sel:[0,0,1] op_sel_hi:[1,1,0] neg_lo:[0,0,1] neg_hi:[0,0,1]
	v_pk_fma_f32 v[6:7], v[10:11], v[98:99], v[6:7] op_sel:[0,0,1] op_sel_hi:[1,0,0]
	v_pk_add_f32 v[4:5], v[4:5], v[20:21]
	v_mov_b32_e32 v6, v97
	v_pk_add_f32 v[4:5], v[4:5], v[18:19]
	v_mov_b32_e32 v9, v7
	s_waitcnt lgkmcnt(1)
	v_pk_mul_f32 v[6:7], v[12:13], v[6:7] op_sel_hi:[1,0]
	v_pk_add_f32 v[4:5], v[4:5], v[8:9]
	v_pk_fma_f32 v[8:9], v[12:13], v[96:97], v[6:7] op_sel:[0,0,1] op_sel_hi:[1,1,0] neg_lo:[0,0,1] neg_hi:[0,0,1]
	v_pk_fma_f32 v[6:7], v[12:13], v[96:97], v[6:7] op_sel:[0,0,1] op_sel_hi:[1,0,0]
	v_mov_b32_e32 v6, v95
	v_mov_b32_e32 v9, v7
	v_pk_mul_f32 v[6:7], v[14:15], v[6:7] op_sel_hi:[1,0]
	v_pk_add_f32 v[4:5], v[4:5], v[8:9]
	v_pk_fma_f32 v[8:9], v[14:15], v[94:95], v[6:7] op_sel:[0,0,1] op_sel_hi:[1,1,0] neg_lo:[0,0,1] neg_hi:[0,0,1]
	v_pk_fma_f32 v[6:7], v[14:15], v[94:95], v[6:7] op_sel:[0,0,1] op_sel_hi:[1,0,0]
	v_mov_b32_e32 v6, v93
	v_mov_b32_e32 v9, v7
	s_waitcnt lgkmcnt(0)
	v_pk_mul_f32 v[6:7], v[16:17], v[6:7] op_sel_hi:[1,0]
	v_pk_add_f32 v[4:5], v[4:5], v[8:9]
	v_pk_fma_f32 v[8:9], v[16:17], v[92:93], v[6:7] op_sel:[0,0,1] op_sel_hi:[1,1,0] neg_lo:[0,0,1] neg_hi:[0,0,1]
	v_pk_fma_f32 v[6:7], v[16:17], v[92:93], v[6:7] op_sel:[0,0,1] op_sel_hi:[1,0,0]
	v_mov_b32_e32 v9, v7
	v_pk_add_f32 v[4:5], v[4:5], v[8:9]
	v_pk_add_f32 v[2:3], v[2:3], v[4:5] neg_lo:[0,1] neg_hi:[0,1]
	buffer_store_dword v3, off, s[0:3], 0 offset:68
	buffer_store_dword v2, off, s[0:3], 0 offset:64
	s_and_saveexec_b64 s[4:5], vcc
	s_cbranch_execz .LBB115_311
; %bb.310:
	buffer_load_dword v2, off, s[0:3], 0 offset:56
	buffer_load_dword v3, off, s[0:3], 0 offset:60
	s_waitcnt vmcnt(0)
	ds_write_b64 v129, v[2:3]
	buffer_store_dword v28, off, s[0:3], 0 offset:56
	buffer_store_dword v28, off, s[0:3], 0 offset:60
.LBB115_311:
	s_or_b64 exec, exec, s[4:5]
	s_waitcnt lgkmcnt(0)
	; wave barrier
	s_waitcnt lgkmcnt(0)
	buffer_load_dword v1, off, s[0:3], 0 offset:68
	buffer_load_dword v29, off, s[0:3], 0 offset:76
	;; [unrolled: 1-line block ×26, first 2 shown]
	ds_read_b128 v[22:25], v28 offset:480
	ds_read_b128 v[18:21], v28 offset:496
	;; [unrolled: 1-line block ×6, first 2 shown]
	buffer_load_dword v199, off, s[0:3], 0 offset:160
	buffer_load_dword v200, off, s[0:3], 0 offset:164
	;; [unrolled: 1-line block ×42, first 2 shown]
	v_cmp_lt_u32_e32 vcc, 6, v0
	s_waitcnt vmcnt(62) lgkmcnt(5)
	v_mul_f32_e32 v30, v22, v1
	v_mul_f32_e32 v31, v24, v29
	s_waitcnt lgkmcnt(4)
	v_mul_f32_e32 v33, v20, v78
	s_waitcnt lgkmcnt(3)
	v_mul_f32_e32 v34, v14, v80
	v_mul_f32_e32 v35, v16, v88
	;; [unrolled: 1-line block ×3, first 2 shown]
	s_waitcnt vmcnt(61) lgkmcnt(2)
	v_mul_f32_e32 v36, v10, v101
	s_waitcnt vmcnt(60)
	v_mul_f32_e32 v37, v12, v102
	s_waitcnt vmcnt(59) lgkmcnt(1)
	v_mul_f32_e32 v38, v6, v103
	s_waitcnt vmcnt(58)
	v_fmac_f32_e32 v32, v19, v104
	s_waitcnt vmcnt(57)
	v_fmac_f32_e32 v31, v25, v105
	;; [unrolled: 2-line block ×3, first 2 shown]
	v_add_f32_e32 v30, 0, v30
	v_add_f32_e32 v30, v30, v31
	;; [unrolled: 1-line block ×3, first 2 shown]
	s_waitcnt vmcnt(52)
	v_fmac_f32_e32 v33, v21, v190
	v_fmac_f32_e32 v34, v15, v109
	v_add_f32_e32 v30, v30, v33
	v_fmac_f32_e32 v35, v17, v108
	v_add_f32_e32 v30, v30, v34
	;; [unrolled: 2-line block ×3, first 2 shown]
	s_waitcnt vmcnt(48)
	v_fmac_f32_e32 v37, v13, v194
	v_add_f32_e32 v30, v30, v36
	v_fmac_f32_e32 v38, v7, v193
	v_add_f32_e32 v30, v30, v37
	s_waitcnt vmcnt(47)
	v_mul_f32_e32 v31, v8, v195
	v_add_f32_e32 v30, v30, v38
	v_fmac_f32_e32 v31, v9, v192
	v_add_f32_e32 v30, v30, v31
	s_waitcnt vmcnt(46) lgkmcnt(0)
	v_mul_f32_e32 v31, v2, v196
	v_fmac_f32_e32 v31, v3, v191
	v_add_f32_e32 v34, v30, v31
	ds_read_b128 v[30:33], v28 offset:576
	s_waitcnt vmcnt(42)
	v_mul_f32_e32 v35, v4, v198
	v_fmac_f32_e32 v35, v5, v197
	buffer_load_dword v241, off, s[0:3], 0 offset:328
	buffer_load_dword v242, off, s[0:3], 0 offset:332
	v_add_f32_e32 v38, v34, v35
	buffer_load_dword v243, off, s[0:3], 0 offset:336
	buffer_load_dword v244, off, s[0:3], 0 offset:340
	ds_read_b128 v[34:37], v28 offset:592
	s_waitcnt vmcnt(44) lgkmcnt(1)
	v_mul_f32_e32 v39, v30, v200
	v_fmac_f32_e32 v39, v31, v199
	v_add_f32_e32 v38, v38, v39
	s_waitcnt vmcnt(42)
	v_mul_f32_e32 v39, v32, v202
	v_fmac_f32_e32 v39, v33, v201
	v_add_f32_e32 v38, v38, v39
	s_waitcnt vmcnt(40) lgkmcnt(0)
	v_mul_f32_e32 v39, v34, v204
	v_fmac_f32_e32 v39, v35, v203
	buffer_load_dword v245, off, s[0:3], 0 offset:344
	buffer_load_dword v246, off, s[0:3], 0 offset:348
	v_add_f32_e32 v42, v38, v39
	ds_read_b128 v[38:41], v28 offset:608
	s_waitcnt vmcnt(40)
	v_mul_f32_e32 v43, v36, v206
	v_fmac_f32_e32 v43, v37, v205
	v_add_f32_e32 v46, v42, v43
	ds_read_b128 v[42:45], v28 offset:624
	s_waitcnt vmcnt(38) lgkmcnt(1)
	v_mul_f32_e32 v47, v38, v208
	v_fmac_f32_e32 v47, v39, v207
	v_add_f32_e32 v46, v46, v47
	s_waitcnt vmcnt(36)
	v_mul_f32_e32 v47, v40, v210
	v_fmac_f32_e32 v47, v41, v209
	v_add_f32_e32 v46, v46, v47
	s_waitcnt vmcnt(34) lgkmcnt(0)
	v_mul_f32_e32 v47, v42, v212
	v_fmac_f32_e32 v47, v43, v211
	v_add_f32_e32 v50, v46, v47
	ds_read_b128 v[46:49], v28 offset:640
	s_waitcnt vmcnt(32)
	v_mul_f32_e32 v51, v44, v214
	v_fmac_f32_e32 v51, v45, v213
	v_add_f32_e32 v54, v50, v51
	ds_read_b128 v[50:53], v28 offset:656
	s_waitcnt vmcnt(30) lgkmcnt(1)
	v_mul_f32_e32 v55, v46, v216
	v_fmac_f32_e32 v55, v47, v215
	v_add_f32_e32 v54, v54, v55
	s_waitcnt vmcnt(28)
	v_mul_f32_e32 v55, v48, v218
	v_fmac_f32_e32 v55, v49, v217
	v_add_f32_e32 v54, v54, v55
	s_waitcnt vmcnt(26) lgkmcnt(0)
	v_mul_f32_e32 v55, v50, v220
	v_fmac_f32_e32 v55, v51, v219
	;; [unrolled: 18-line block ×4, first 2 shown]
	s_waitcnt vmcnt(8)
	v_mul_f32_e32 v75, v68, v238
	v_add_f32_e32 v74, v70, v71
	v_fmac_f32_e32 v75, v69, v237
	ds_read_b128 v[70:73], v28 offset:736
	v_add_f32_e32 v79, v74, v75
	ds_read_b128 v[74:77], v28 offset:752
	buffer_load_dword v83, off, s[0:3], 0 offset:372
	buffer_load_dword v82, off, s[0:3], 0 offset:368
	;; [unrolled: 1-line block ×16, first 2 shown]
	v_mul_f32_e32 v1, v23, v1
	v_fma_f32 v1, v22, v106, -v1
	v_mul_f32_e32 v22, v25, v29
	v_add_f32_e32 v1, 0, v1
	v_fma_f32 v22, v24, v105, -v22
	v_mul_f32_e32 v19, v19, v100
	v_add_f32_e32 v1, v1, v22
	v_fma_f32 v18, v18, v104, -v19
	v_add_f32_e32 v1, v1, v18
	v_mul_f32_e32 v18, v21, v78
	v_fma_f32 v18, v20, v190, -v18
	v_mul_f32_e32 v15, v15, v80
	v_add_f32_e32 v1, v1, v18
	v_fma_f32 v14, v14, v109, -v15
	v_add_f32_e32 v1, v1, v14
	v_mul_f32_e32 v14, v17, v88
	;; [unrolled: 6-line block ×5, first 2 shown]
	v_fma_f32 v2, v4, v197, -v2
	v_add_f32_e32 v1, v1, v2
	v_mul_f32_e32 v2, v31, v200
	v_fma_f32 v2, v30, v199, -v2
	v_add_f32_e32 v1, v1, v2
	v_mul_f32_e32 v2, v33, v202
	;; [unrolled: 3-line block ×20, first 2 shown]
	v_fma_f32 v2, v68, v237, -v2
	v_add_f32_e32 v1, v1, v2
	s_waitcnt vmcnt(22) lgkmcnt(1)
	v_mul_f32_e32 v2, v71, v240
	v_mul_f32_e32 v81, v70, v240
	v_fma_f32 v2, v70, v239, -v2
	v_fmac_f32_e32 v81, v71, v239
	v_add_f32_e32 v1, v1, v2
	s_waitcnt vmcnt(20)
	v_mul_f32_e32 v2, v73, v242
	v_add_f32_e32 v79, v79, v81
	v_mul_f32_e32 v81, v72, v242
	v_fma_f32 v2, v72, v241, -v2
	v_fmac_f32_e32 v81, v73, v241
	v_add_f32_e32 v78, v1, v2
	ds_read_b128 v[2:5], v28 offset:768
	ds_read_b128 v[6:9], v28 offset:784
	;; [unrolled: 1-line block ×4, first 2 shown]
	v_add_f32_e32 v79, v79, v81
	s_waitcnt vmcnt(18) lgkmcnt(4)
	v_mul_f32_e32 v81, v74, v244
	v_mul_f32_e32 v1, v75, v244
	s_waitcnt vmcnt(11)
	v_mov_b32_e32 v20, v87
	v_fmac_f32_e32 v81, v75, v243
	v_mul_f32_e32 v89, v76, v246
	v_fma_f32 v80, v74, v243, -v1
	v_mul_f32_e32 v1, v77, v246
	s_waitcnt lgkmcnt(3)
	v_pk_mul_f32 v[20:21], v[2:3], v[20:21] op_sel_hi:[1,0]
	v_fmac_f32_e32 v89, v77, v245
	v_fma_f32 v88, v76, v245, -v1
	v_pk_add_f32 v[18:19], v[78:79], v[80:81]
	s_waitcnt vmcnt(10)
	v_pk_fma_f32 v[22:23], v[2:3], v[86:87], v[20:21] op_sel:[0,0,1] op_sel_hi:[1,1,0] neg_lo:[0,0,1] neg_hi:[0,0,1]
	v_pk_fma_f32 v[2:3], v[2:3], v[86:87], v[20:21] op_sel:[0,0,1] op_sel_hi:[1,0,0]
	v_pk_add_f32 v[18:19], v[18:19], v[88:89]
	v_mov_b32_e32 v23, v3
	v_pk_add_f32 v[2:3], v[18:19], v[22:23]
	v_mov_b32_e32 v18, v85
	v_pk_mul_f32 v[18:19], v[4:5], v[18:19] op_sel_hi:[1,0]
	v_pk_fma_f32 v[20:21], v[4:5], v[84:85], v[18:19] op_sel:[0,0,1] op_sel_hi:[1,1,0] neg_lo:[0,0,1] neg_hi:[0,0,1]
	v_pk_fma_f32 v[4:5], v[4:5], v[84:85], v[18:19] op_sel:[0,0,1] op_sel_hi:[1,0,0]
	v_mov_b32_e32 v4, v83
	v_mov_b32_e32 v21, v5
	s_waitcnt lgkmcnt(2)
	v_pk_mul_f32 v[4:5], v[6:7], v[4:5] op_sel_hi:[1,0]
	v_pk_fma_f32 v[18:19], v[6:7], v[82:83], v[4:5] op_sel:[0,0,1] op_sel_hi:[1,1,0] neg_lo:[0,0,1] neg_hi:[0,0,1]
	v_pk_fma_f32 v[4:5], v[6:7], v[82:83], v[4:5] op_sel:[0,0,1] op_sel_hi:[1,0,0]
	s_waitcnt vmcnt(3)
	v_mov_b32_e32 v4, v97
	v_mov_b32_e32 v19, v5
	v_pk_mul_f32 v[4:5], v[8:9], v[4:5] op_sel_hi:[1,0]
	s_waitcnt vmcnt(2)
	v_pk_fma_f32 v[6:7], v[8:9], v[96:97], v[4:5] op_sel:[0,0,1] op_sel_hi:[1,1,0] neg_lo:[0,0,1] neg_hi:[0,0,1]
	v_pk_fma_f32 v[4:5], v[8:9], v[96:97], v[4:5] op_sel:[0,0,1] op_sel_hi:[1,0,0]
	v_pk_add_f32 v[2:3], v[2:3], v[20:21]
	v_mov_b32_e32 v4, v95
	v_pk_add_f32 v[2:3], v[2:3], v[18:19]
	v_mov_b32_e32 v7, v5
	s_waitcnt lgkmcnt(1)
	v_pk_mul_f32 v[4:5], v[10:11], v[4:5] op_sel_hi:[1,0]
	v_pk_add_f32 v[2:3], v[2:3], v[6:7]
	v_pk_fma_f32 v[6:7], v[10:11], v[94:95], v[4:5] op_sel:[0,0,1] op_sel_hi:[1,1,0] neg_lo:[0,0,1] neg_hi:[0,0,1]
	v_pk_fma_f32 v[4:5], v[10:11], v[94:95], v[4:5] op_sel:[0,0,1] op_sel_hi:[1,0,0]
	v_mov_b32_e32 v4, v93
	v_mov_b32_e32 v7, v5
	v_pk_mul_f32 v[4:5], v[12:13], v[4:5] op_sel_hi:[1,0]
	v_pk_add_f32 v[2:3], v[2:3], v[6:7]
	v_pk_fma_f32 v[6:7], v[12:13], v[92:93], v[4:5] op_sel:[0,0,1] op_sel_hi:[1,1,0] neg_lo:[0,0,1] neg_hi:[0,0,1]
	v_pk_fma_f32 v[4:5], v[12:13], v[92:93], v[4:5] op_sel:[0,0,1] op_sel_hi:[1,0,0]
	v_mov_b32_e32 v4, v91
	v_mov_b32_e32 v7, v5
	s_waitcnt lgkmcnt(0)
	v_pk_mul_f32 v[4:5], v[14:15], v[4:5] op_sel_hi:[1,0]
	v_pk_add_f32 v[2:3], v[2:3], v[6:7]
	v_pk_fma_f32 v[6:7], v[14:15], v[90:91], v[4:5] op_sel:[0,0,1] op_sel_hi:[1,1,0] neg_lo:[0,0,1] neg_hi:[0,0,1]
	v_pk_fma_f32 v[4:5], v[14:15], v[90:91], v[4:5] op_sel:[0,0,1] op_sel_hi:[1,0,0]
	s_waitcnt vmcnt(1)
	v_mov_b32_e32 v4, v99
	v_mov_b32_e32 v7, v5
	v_pk_mul_f32 v[4:5], v[16:17], v[4:5] op_sel_hi:[1,0]
	v_pk_add_f32 v[2:3], v[2:3], v[6:7]
	s_waitcnt vmcnt(0)
	v_pk_fma_f32 v[6:7], v[16:17], v[98:99], v[4:5] op_sel:[0,0,1] op_sel_hi:[1,1,0] neg_lo:[0,0,1] neg_hi:[0,0,1]
	v_pk_fma_f32 v[4:5], v[16:17], v[98:99], v[4:5] op_sel:[0,0,1] op_sel_hi:[1,0,0]
	v_mov_b32_e32 v7, v5
	v_pk_add_f32 v[2:3], v[2:3], v[6:7]
	v_pk_add_f32 v[2:3], v[26:27], v[2:3] neg_lo:[0,1] neg_hi:[0,1]
	buffer_store_dword v3, off, s[0:3], 0 offset:60
	buffer_store_dword v2, off, s[0:3], 0 offset:56
	s_and_saveexec_b64 s[4:5], vcc
	s_cbranch_execz .LBB115_313
; %bb.312:
	buffer_load_dword v2, off, s[0:3], 0 offset:48
	buffer_load_dword v3, off, s[0:3], 0 offset:52
	v_mov_b32_e32 v1, 0
	buffer_store_dword v1, off, s[0:3], 0 offset:48
	buffer_store_dword v1, off, s[0:3], 0 offset:52
	s_waitcnt vmcnt(2)
	ds_write_b64 v129, v[2:3]
.LBB115_313:
	s_or_b64 exec, exec, s[4:5]
	v_mov_b32_e32 v206, 0
	s_waitcnt lgkmcnt(0)
	; wave barrier
	s_waitcnt lgkmcnt(0)
	ds_read2_b64 v[2:5], v206 offset0:59 offset1:60
	buffer_load_dword v78, off, s[0:3], 0 offset:48
	buffer_load_dword v79, off, s[0:3], 0 offset:52
	;; [unrolled: 1-line block ×16, first 2 shown]
	v_cmp_lt_u32_e32 vcc, 5, v0
	s_waitcnt vmcnt(12) lgkmcnt(0)
	v_mul_f32_e32 v1, v2, v207
	v_fmac_f32_e32 v1, v3, v80
	s_waitcnt vmcnt(10)
	v_mul_f32_e32 v6, v4, v209
	v_add_f32_e32 v1, 0, v1
	v_fmac_f32_e32 v6, v5, v82
	v_add_f32_e32 v1, v1, v6
	ds_read2_b64 v[6:9], v206 offset0:61 offset1:62
	v_mul_f32_e32 v3, v3, v207
	v_fma_f32 v2, v2, v80, -v3
	v_mul_f32_e32 v3, v5, v209
	v_add_f32_e32 v2, 0, v2
	s_waitcnt vmcnt(8) lgkmcnt(0)
	v_mul_f32_e32 v10, v6, v211
	v_fmac_f32_e32 v10, v7, v190
	v_add_f32_e32 v1, v1, v10
	s_waitcnt vmcnt(6)
	v_mul_f32_e32 v10, v8, v213
	v_fmac_f32_e32 v10, v9, v208
	v_add_f32_e32 v1, v1, v10
	ds_read2_b64 v[10:13], v206 offset0:63 offset1:64
	v_fma_f32 v3, v4, v82, -v3
	v_add_f32_e32 v2, v2, v3
	v_mul_f32_e32 v3, v7, v211
	v_fma_f32 v3, v6, v190, -v3
	s_waitcnt vmcnt(4) lgkmcnt(0)
	v_mul_f32_e32 v14, v10, v215
	v_fmac_f32_e32 v14, v11, v210
	v_add_f32_e32 v1, v1, v14
	s_waitcnt vmcnt(2)
	v_mul_f32_e32 v14, v12, v216
	v_fmac_f32_e32 v14, v13, v212
	v_add_f32_e32 v1, v1, v14
	ds_read2_b64 v[14:17], v206 offset0:65 offset1:66
	buffer_load_dword v218, off, s[0:3], 0 offset:112
	buffer_load_dword v219, off, s[0:3], 0 offset:116
	v_add_f32_e32 v2, v2, v3
	v_mul_f32_e32 v3, v9, v213
	v_fma_f32 v3, v8, v208, -v3
	s_waitcnt vmcnt(2) lgkmcnt(0)
	v_mul_f32_e32 v18, v14, v217
	v_fmac_f32_e32 v18, v15, v214
	v_add_f32_e32 v1, v1, v18
	v_add_f32_e32 v2, v2, v3
	v_mul_f32_e32 v3, v11, v215
	v_fma_f32 v3, v10, v210, -v3
	v_add_f32_e32 v2, v2, v3
	v_mul_f32_e32 v3, v13, v216
	v_fma_f32 v3, v12, v212, -v3
	;; [unrolled: 3-line block ×3, first 2 shown]
	v_add_f32_e32 v2, v2, v3
	s_waitcnt vmcnt(0)
	v_mul_f32_e32 v18, v16, v219
	v_fmac_f32_e32 v18, v17, v218
	v_add_f32_e32 v1, v1, v18
	ds_read2_b64 v[18:21], v206 offset0:67 offset1:68
	buffer_load_dword v220, off, s[0:3], 0 offset:120
	buffer_load_dword v221, off, s[0:3], 0 offset:124
	;; [unrolled: 1-line block ×4, first 2 shown]
	v_mul_f32_e32 v3, v17, v219
	v_fma_f32 v3, v16, v218, -v3
	v_add_f32_e32 v2, v2, v3
	s_waitcnt vmcnt(2) lgkmcnt(0)
	v_mul_f32_e32 v22, v18, v221
	v_fmac_f32_e32 v22, v19, v220
	v_add_f32_e32 v1, v1, v22
	s_waitcnt vmcnt(0)
	v_mul_f32_e32 v22, v20, v223
	v_fmac_f32_e32 v22, v21, v222
	v_add_f32_e32 v1, v1, v22
	ds_read2_b64 v[22:25], v206 offset0:69 offset1:70
	buffer_load_dword v224, off, s[0:3], 0 offset:136
	buffer_load_dword v225, off, s[0:3], 0 offset:140
	;; [unrolled: 1-line block ×4, first 2 shown]
	ds_read2_b64 v[30:33], v206 offset0:71 offset1:72
	buffer_load_dword v228, off, s[0:3], 0 offset:152
	buffer_load_dword v229, off, s[0:3], 0 offset:156
	;; [unrolled: 1-line block ×4, first 2 shown]
	ds_read2_b64 v[34:37], v206 offset0:73 offset1:74
	v_mul_f32_e32 v3, v19, v221
	v_fma_f32 v3, v18, v220, -v3
	v_add_f32_e32 v2, v2, v3
	v_mul_f32_e32 v3, v21, v223
	v_fma_f32 v3, v20, v222, -v3
	v_add_f32_e32 v2, v2, v3
	s_waitcnt vmcnt(6) lgkmcnt(2)
	v_mul_f32_e32 v26, v22, v225
	v_fmac_f32_e32 v26, v23, v224
	v_add_f32_e32 v1, v1, v26
	s_waitcnt vmcnt(4)
	v_mul_f32_e32 v26, v24, v227
	v_fmac_f32_e32 v26, v25, v226
	v_add_f32_e32 v1, v1, v26
	s_waitcnt vmcnt(2) lgkmcnt(1)
	v_mul_f32_e32 v26, v30, v229
	v_fmac_f32_e32 v26, v31, v228
	v_add_f32_e32 v1, v1, v26
	s_waitcnt vmcnt(0)
	v_mul_f32_e32 v26, v32, v231
	v_fmac_f32_e32 v26, v33, v230
	v_add_f32_e32 v26, v1, v26
	buffer_load_dword v1, off, s[0:3], 0 offset:168
	buffer_load_dword v86, off, s[0:3], 0 offset:172
	buffer_load_dword v87, off, s[0:3], 0 offset:176
	buffer_load_dword v232, off, s[0:3], 0 offset:180
	ds_read2_b64 v[38:41], v206 offset0:75 offset1:76
	buffer_load_dword v233, off, s[0:3], 0 offset:184
	buffer_load_dword v234, off, s[0:3], 0 offset:188
	buffer_load_dword v235, off, s[0:3], 0 offset:192
	buffer_load_dword v236, off, s[0:3], 0 offset:196
	ds_read2_b64 v[42:45], v206 offset0:77 offset1:78
	;; [unrolled: 5-line block ×10, first 2 shown]
	buffer_load_dword v247, off, s[0:3], 0 offset:328
	buffer_load_dword v248, off, s[0:3], 0 offset:332
	;; [unrolled: 1-line block ×4, first 2 shown]
	v_mul_f32_e32 v3, v23, v225
	v_fma_f32 v3, v22, v224, -v3
	v_add_f32_e32 v2, v2, v3
	v_mul_f32_e32 v3, v25, v227
	v_fma_f32 v3, v24, v226, -v3
	v_add_f32_e32 v2, v2, v3
	;; [unrolled: 3-line block ×4, first 2 shown]
	s_waitcnt vmcnt(42) lgkmcnt(10)
	v_mul_f32_e32 v27, v34, v86
	v_fmac_f32_e32 v27, v35, v1
	v_add_f32_e32 v26, v26, v27
	s_waitcnt vmcnt(40)
	v_mul_f32_e32 v27, v36, v232
	v_fmac_f32_e32 v27, v37, v87
	v_add_f32_e32 v26, v26, v27
	s_waitcnt vmcnt(38) lgkmcnt(9)
	v_mul_f32_e32 v27, v38, v234
	v_fmac_f32_e32 v27, v39, v233
	v_add_f32_e32 v26, v26, v27
	s_waitcnt vmcnt(36)
	v_mul_f32_e32 v27, v40, v236
	v_fmac_f32_e32 v27, v41, v235
	v_add_f32_e32 v26, v26, v27
	;; [unrolled: 8-line block ×10, first 2 shown]
	s_waitcnt vmcnt(2) lgkmcnt(0)
	v_mul_f32_e32 v27, v74, v248
	v_fmac_f32_e32 v27, v75, v247
	v_add_f32_e32 v81, v26, v27
	ds_read2_b64 v[26:29], v206 offset0:95 offset1:96
	buffer_load_dword v251, off, s[0:3], 0 offset:344
	buffer_load_dword v252, off, s[0:3], 0 offset:348
	;; [unrolled: 1-line block ×18, first 2 shown]
	v_mul_f32_e32 v3, v35, v86
	v_fma_f32 v1, v34, v1, -v3
	v_add_f32_e32 v1, v2, v1
	v_mul_f32_e32 v2, v37, v232
	v_fma_f32 v2, v36, v87, -v2
	v_add_f32_e32 v1, v1, v2
	v_mul_f32_e32 v2, v39, v234
	v_fma_f32 v2, v38, v233, -v2
	v_add_f32_e32 v1, v1, v2
	v_mul_f32_e32 v2, v41, v236
	v_fma_f32 v2, v40, v235, -v2
	v_add_f32_e32 v1, v1, v2
	v_mul_f32_e32 v2, v43, v238
	v_fma_f32 v2, v42, v237, -v2
	v_add_f32_e32 v1, v1, v2
	v_mul_f32_e32 v2, v45, v240
	v_fma_f32 v2, v44, v239, -v2
	v_add_f32_e32 v1, v1, v2
	v_mul_f32_e32 v2, v47, v89
	v_fma_f32 v2, v46, v88, -v2
	v_add_f32_e32 v1, v1, v2
	v_mul_f32_e32 v2, v49, v242
	v_fma_f32 v2, v48, v241, -v2
	v_add_f32_e32 v1, v1, v2
	v_mul_f32_e32 v2, v51, v91
	v_fma_f32 v2, v50, v90, -v2
	v_add_f32_e32 v1, v1, v2
	v_mul_f32_e32 v2, v53, v93
	v_fma_f32 v2, v52, v92, -v2
	v_add_f32_e32 v1, v1, v2
	v_mul_f32_e32 v2, v55, v95
	v_fma_f32 v2, v54, v94, -v2
	v_add_f32_e32 v1, v1, v2
	v_mul_f32_e32 v2, v57, v97
	v_fma_f32 v2, v56, v96, -v2
	v_add_f32_e32 v1, v1, v2
	v_mul_f32_e32 v2, v59, v99
	v_fma_f32 v2, v58, v98, -v2
	v_add_f32_e32 v1, v1, v2
	v_mul_f32_e32 v2, v61, v101
	v_fma_f32 v2, v60, v100, -v2
	v_add_f32_e32 v1, v1, v2
	v_mul_f32_e32 v2, v63, v103
	v_fma_f32 v2, v62, v102, -v2
	v_add_f32_e32 v1, v1, v2
	v_mul_f32_e32 v2, v65, v105
	v_fma_f32 v2, v64, v104, -v2
	v_add_f32_e32 v1, v1, v2
	v_mul_f32_e32 v2, v67, v107
	v_fma_f32 v2, v66, v106, -v2
	v_add_f32_e32 v1, v1, v2
	v_mul_f32_e32 v2, v69, v109
	v_fma_f32 v2, v68, v108, -v2
	v_add_f32_e32 v1, v1, v2
	v_mul_f32_e32 v2, v71, v244
	v_fma_f32 v2, v70, v243, -v2
	v_add_f32_e32 v1, v1, v2
	v_mul_f32_e32 v2, v73, v246
	v_fma_f32 v2, v72, v245, -v2
	v_add_f32_e32 v1, v1, v2
	v_mul_f32_e32 v2, v75, v248
	v_fma_f32 v2, v74, v247, -v2
	s_waitcnt vmcnt(18)
	v_mul_f32_e32 v83, v76, v250
	v_add_f32_e32 v80, v1, v2
	s_waitcnt vmcnt(15)
	v_mov_b32_e32 v18, v85
	v_mul_f32_e32 v1, v77, v250
	s_waitcnt lgkmcnt(0)
	v_pk_mul_f32 v[18:19], v[28:29], v[18:19] op_sel_hi:[1,0]
	v_fmac_f32_e32 v83, v77, v249
	v_fma_f32 v82, v76, v249, -v1
	ds_read2_b64 v[2:5], v206 offset0:97 offset1:98
	ds_read2_b64 v[6:9], v206 offset0:99 offset1:100
	;; [unrolled: 1-line block ×3, first 2 shown]
	ds_read_b64 v[14:15], v206 offset:824
	s_waitcnt vmcnt(14)
	v_pk_fma_f32 v[20:21], v[28:29], v[84:85], v[18:19] op_sel:[0,0,1] op_sel_hi:[1,1,0] neg_lo:[0,0,1] neg_hi:[0,0,1]
	v_pk_fma_f32 v[18:19], v[28:29], v[84:85], v[18:19] op_sel:[0,0,1] op_sel_hi:[1,0,0]
	v_pk_add_f32 v[16:17], v[80:81], v[82:83]
	s_waitcnt vmcnt(13)
	v_mov_b32_e32 v18, v205
	v_mov_b32_e32 v21, v19
	s_waitcnt lgkmcnt(3)
	v_pk_mul_f32 v[18:19], v[2:3], v[18:19] op_sel_hi:[1,0]
	v_mul_f32_e32 v191, v26, v252
	v_mul_f32_e32 v1, v27, v252
	v_fmac_f32_e32 v191, v27, v251
	v_fma_f32 v190, v26, v251, -v1
	v_pk_add_f32 v[16:17], v[16:17], v[190:191]
	v_pk_add_f32 v[16:17], v[16:17], v[20:21]
	s_waitcnt vmcnt(12)
	v_pk_fma_f32 v[20:21], v[2:3], v[204:205], v[18:19] op_sel:[0,0,1] op_sel_hi:[1,1,0] neg_lo:[0,0,1] neg_hi:[0,0,1]
	v_pk_fma_f32 v[2:3], v[2:3], v[204:205], v[18:19] op_sel:[0,0,1] op_sel_hi:[1,0,0]
	v_mov_b32_e32 v21, v3
	v_pk_add_f32 v[2:3], v[16:17], v[20:21]
	s_waitcnt vmcnt(11)
	v_mov_b32_e32 v16, v203
	v_pk_mul_f32 v[16:17], v[4:5], v[16:17] op_sel_hi:[1,0]
	s_waitcnt vmcnt(10)
	v_pk_fma_f32 v[18:19], v[4:5], v[202:203], v[16:17] op_sel:[0,0,1] op_sel_hi:[1,1,0] neg_lo:[0,0,1] neg_hi:[0,0,1]
	v_pk_fma_f32 v[4:5], v[4:5], v[202:203], v[16:17] op_sel:[0,0,1] op_sel_hi:[1,0,0]
	s_waitcnt vmcnt(9)
	v_mov_b32_e32 v4, v201
	v_mov_b32_e32 v19, v5
	s_waitcnt lgkmcnt(2)
	v_pk_mul_f32 v[4:5], v[6:7], v[4:5] op_sel_hi:[1,0]
	s_waitcnt vmcnt(8)
	v_pk_fma_f32 v[16:17], v[6:7], v[200:201], v[4:5] op_sel:[0,0,1] op_sel_hi:[1,1,0] neg_lo:[0,0,1] neg_hi:[0,0,1]
	v_pk_fma_f32 v[4:5], v[6:7], v[200:201], v[4:5] op_sel:[0,0,1] op_sel_hi:[1,0,0]
	s_waitcnt vmcnt(7)
	v_mov_b32_e32 v4, v199
	v_mov_b32_e32 v17, v5
	v_pk_mul_f32 v[4:5], v[8:9], v[4:5] op_sel_hi:[1,0]
	s_waitcnt vmcnt(6)
	v_pk_fma_f32 v[6:7], v[8:9], v[198:199], v[4:5] op_sel:[0,0,1] op_sel_hi:[1,1,0] neg_lo:[0,0,1] neg_hi:[0,0,1]
	v_pk_fma_f32 v[4:5], v[8:9], v[198:199], v[4:5] op_sel:[0,0,1] op_sel_hi:[1,0,0]
	v_pk_add_f32 v[2:3], v[2:3], v[18:19]
	s_waitcnt vmcnt(5)
	v_mov_b32_e32 v4, v197
	v_pk_add_f32 v[2:3], v[2:3], v[16:17]
	v_mov_b32_e32 v7, v5
	s_waitcnt lgkmcnt(1)
	v_pk_mul_f32 v[4:5], v[10:11], v[4:5] op_sel_hi:[1,0]
	v_pk_add_f32 v[2:3], v[2:3], v[6:7]
	s_waitcnt vmcnt(4)
	v_pk_fma_f32 v[6:7], v[10:11], v[196:197], v[4:5] op_sel:[0,0,1] op_sel_hi:[1,1,0] neg_lo:[0,0,1] neg_hi:[0,0,1]
	v_pk_fma_f32 v[4:5], v[10:11], v[196:197], v[4:5] op_sel:[0,0,1] op_sel_hi:[1,0,0]
	s_waitcnt vmcnt(3)
	v_mov_b32_e32 v4, v195
	v_mov_b32_e32 v7, v5
	v_pk_mul_f32 v[4:5], v[12:13], v[4:5] op_sel_hi:[1,0]
	v_pk_add_f32 v[2:3], v[2:3], v[6:7]
	s_waitcnt vmcnt(2)
	v_pk_fma_f32 v[6:7], v[12:13], v[194:195], v[4:5] op_sel:[0,0,1] op_sel_hi:[1,1,0] neg_lo:[0,0,1] neg_hi:[0,0,1]
	v_pk_fma_f32 v[4:5], v[12:13], v[194:195], v[4:5] op_sel:[0,0,1] op_sel_hi:[1,0,0]
	s_waitcnt vmcnt(1)
	v_mov_b32_e32 v4, v193
	v_mov_b32_e32 v7, v5
	s_waitcnt lgkmcnt(0)
	v_pk_mul_f32 v[4:5], v[14:15], v[4:5] op_sel_hi:[1,0]
	v_pk_add_f32 v[2:3], v[2:3], v[6:7]
	s_waitcnt vmcnt(0)
	v_pk_fma_f32 v[6:7], v[14:15], v[192:193], v[4:5] op_sel:[0,0,1] op_sel_hi:[1,1,0] neg_lo:[0,0,1] neg_hi:[0,0,1]
	v_pk_fma_f32 v[4:5], v[14:15], v[192:193], v[4:5] op_sel:[0,0,1] op_sel_hi:[1,0,0]
	v_mov_b32_e32 v7, v5
	v_pk_add_f32 v[2:3], v[2:3], v[6:7]
	v_pk_add_f32 v[2:3], v[78:79], v[2:3] neg_lo:[0,1] neg_hi:[0,1]
	buffer_store_dword v3, off, s[0:3], 0 offset:52
	buffer_store_dword v2, off, s[0:3], 0 offset:48
	s_and_saveexec_b64 s[4:5], vcc
	s_cbranch_execz .LBB115_315
; %bb.314:
	buffer_load_dword v2, off, s[0:3], 0 offset:40
	buffer_load_dword v3, off, s[0:3], 0 offset:44
	s_waitcnt vmcnt(0)
	ds_write_b64 v129, v[2:3]
	buffer_store_dword v206, off, s[0:3], 0 offset:40
	buffer_store_dword v206, off, s[0:3], 0 offset:44
.LBB115_315:
	s_or_b64 exec, exec, s[4:5]
	s_waitcnt lgkmcnt(0)
	; wave barrier
	s_waitcnt lgkmcnt(0)
	buffer_load_dword v1, off, s[0:3], 0 offset:52
	buffer_load_dword v86, off, s[0:3], 0 offset:60
	;; [unrolled: 1-line block ×32, first 2 shown]
	ds_read_b128 v[22:25], v206 offset:464
	ds_read_b128 v[18:21], v206 offset:480
	;; [unrolled: 1-line block ×6, first 2 shown]
	buffer_load_dword v213, off, s[0:3], 0 offset:168
	buffer_load_dword v214, off, s[0:3], 0 offset:172
	;; [unrolled: 1-line block ×32, first 2 shown]
	v_cmp_lt_u32_e32 vcc, 4, v0
	s_waitcnt vmcnt(62) lgkmcnt(5)
	v_mul_f32_e32 v28, v22, v1
	v_mul_f32_e32 v29, v24, v86
	s_waitcnt vmcnt(61) lgkmcnt(4)
	v_mul_f32_e32 v31, v20, v88
	s_waitcnt vmcnt(60) lgkmcnt(3)
	v_mul_f32_e32 v32, v14, v90
	s_waitcnt vmcnt(59)
	v_mul_f32_e32 v33, v16, v106
	s_waitcnt vmcnt(58)
	v_mul_f32_e32 v30, v18, v107
	s_waitcnt vmcnt(57) lgkmcnt(2)
	v_mul_f32_e32 v34, v10, v108
	s_waitcnt vmcnt(56)
	v_mul_f32_e32 v35, v12, v109
	s_waitcnt vmcnt(55) lgkmcnt(1)
	v_mul_f32_e32 v36, v6, v190
	s_waitcnt vmcnt(54)
	v_mul_f32_e32 v37, v8, v191
	s_waitcnt vmcnt(53)
	v_fmac_f32_e32 v30, v19, v192
	s_waitcnt vmcnt(52)
	v_fmac_f32_e32 v29, v25, v193
	;; [unrolled: 2-line block ×3, first 2 shown]
	v_add_f32_e32 v28, 0, v28
	v_add_f32_e32 v28, v28, v29
	;; [unrolled: 1-line block ×3, first 2 shown]
	s_waitcnt vmcnt(47)
	v_fmac_f32_e32 v31, v21, v198
	v_fmac_f32_e32 v32, v15, v197
	v_add_f32_e32 v28, v28, v31
	v_fmac_f32_e32 v33, v17, v196
	v_add_f32_e32 v28, v28, v32
	v_fmac_f32_e32 v34, v11, v195
	v_add_f32_e32 v28, v28, v33
	s_waitcnt vmcnt(43)
	v_fmac_f32_e32 v35, v13, v202
	v_add_f32_e32 v28, v28, v34
	v_fmac_f32_e32 v36, v7, v201
	v_add_f32_e32 v28, v28, v35
	v_fmac_f32_e32 v37, v9, v200
	v_add_f32_e32 v28, v28, v36
	s_waitcnt vmcnt(42) lgkmcnt(0)
	v_mul_f32_e32 v29, v2, v203
	v_add_f32_e32 v28, v28, v37
	v_fmac_f32_e32 v29, v3, v199
	v_add_f32_e32 v32, v28, v29
	ds_read_b128 v[28:31], v206 offset:560
	buffer_load_dword v245, off, s[0:3], 0 offset:296
	buffer_load_dword v246, off, s[0:3], 0 offset:300
	s_waitcnt vmcnt(43)
	v_mul_f32_e32 v33, v4, v204
	s_waitcnt vmcnt(36)
	v_fmac_f32_e32 v33, v5, v212
	v_add_f32_e32 v36, v32, v33
	ds_read_b128 v[32:35], v206 offset:576
	buffer_load_dword v247, off, s[0:3], 0 offset:304
	buffer_load_dword v248, off, s[0:3], 0 offset:308
	;; [unrolled: 1-line block ×8, first 2 shown]
	s_waitcnt lgkmcnt(1)
	v_mul_f32_e32 v37, v28, v207
	v_fmac_f32_e32 v37, v29, v205
	v_add_f32_e32 v36, v36, v37
	v_mul_f32_e32 v37, v30, v209
	v_fmac_f32_e32 v37, v31, v208
	v_add_f32_e32 v36, v36, v37
	s_waitcnt lgkmcnt(0)
	v_mul_f32_e32 v37, v32, v211
	v_fmac_f32_e32 v37, v33, v210
	v_add_f32_e32 v40, v36, v37
	buffer_load_dword v255, off, s[0:3], 0 offset:336
	buffer_load_dword v110, off, s[0:3], 0 offset:340
	;; [unrolled: 1-line block ×4, first 2 shown]
	ds_read_b128 v[36:39], v206 offset:592
	s_waitcnt vmcnt(44)
	v_mul_f32_e32 v41, v34, v214
	v_fmac_f32_e32 v41, v35, v213
	v_add_f32_e32 v44, v40, v41
	ds_read_b128 v[40:43], v206 offset:608
	s_waitcnt vmcnt(42) lgkmcnt(1)
	v_mul_f32_e32 v45, v36, v216
	v_fmac_f32_e32 v45, v37, v215
	v_add_f32_e32 v44, v44, v45
	s_waitcnt vmcnt(40)
	v_mul_f32_e32 v45, v38, v218
	v_fmac_f32_e32 v45, v39, v217
	v_add_f32_e32 v44, v44, v45
	s_waitcnt vmcnt(38) lgkmcnt(0)
	v_mul_f32_e32 v45, v40, v220
	v_fmac_f32_e32 v45, v41, v219
	v_add_f32_e32 v48, v44, v45
	ds_read_b128 v[44:47], v206 offset:624
	s_waitcnt vmcnt(36)
	v_mul_f32_e32 v49, v42, v222
	v_fmac_f32_e32 v49, v43, v221
	v_add_f32_e32 v52, v48, v49
	ds_read_b128 v[48:51], v206 offset:640
	s_waitcnt vmcnt(34) lgkmcnt(1)
	v_mul_f32_e32 v53, v44, v224
	v_fmac_f32_e32 v53, v45, v223
	v_add_f32_e32 v52, v52, v53
	s_waitcnt vmcnt(32)
	v_mul_f32_e32 v53, v46, v226
	v_fmac_f32_e32 v53, v47, v225
	v_add_f32_e32 v52, v52, v53
	s_waitcnt vmcnt(30) lgkmcnt(0)
	v_mul_f32_e32 v53, v48, v228
	v_fmac_f32_e32 v53, v49, v227
	v_add_f32_e32 v56, v52, v53
	;; [unrolled: 18-line block ×4, first 2 shown]
	ds_read_b128 v[68:71], v206 offset:720
	v_mul_f32_e32 v1, v23, v1
	v_fma_f32 v1, v22, v194, -v1
	v_mul_f32_e32 v22, v25, v86
	v_add_f32_e32 v1, 0, v1
	s_waitcnt vmcnt(12)
	v_mul_f32_e32 v73, v66, v246
	v_fmac_f32_e32 v73, v67, v245
	v_add_f32_e32 v76, v72, v73
	ds_read_b128 v[72:75], v206 offset:736
	buffer_load_dword v85, off, s[0:3], 0 offset:356
	buffer_load_dword v84, off, s[0:3], 0 offset:352
	s_waitcnt vmcnt(12) lgkmcnt(1)
	v_mul_f32_e32 v77, v68, v248
	v_fmac_f32_e32 v77, v69, v247
	v_add_f32_e32 v76, v76, v77
	s_waitcnt vmcnt(10)
	v_mul_f32_e32 v77, v70, v250
	v_fmac_f32_e32 v77, v71, v249
	v_add_f32_e32 v76, v76, v77
	s_waitcnt vmcnt(8) lgkmcnt(0)
	v_mul_f32_e32 v77, v72, v252
	v_fmac_f32_e32 v77, v73, v251
	s_waitcnt vmcnt(6)
	v_mul_f32_e32 v81, v74, v254
	v_add_f32_e32 v80, v76, v77
	v_fmac_f32_e32 v81, v75, v253
	ds_read_b128 v[76:79], v206 offset:752
	v_add_f32_e32 v87, v80, v81
	ds_read_b128 v[80:83], v206 offset:768
	buffer_load_dword v93, off, s[0:3], 0 offset:388
	buffer_load_dword v92, off, s[0:3], 0 offset:384
	;; [unrolled: 1-line block ×14, first 2 shown]
	v_fma_f32 v22, v24, v193, -v22
	v_mul_f32_e32 v19, v19, v107
	v_add_f32_e32 v1, v1, v22
	v_fma_f32 v18, v18, v192, -v19
	v_add_f32_e32 v1, v1, v18
	v_mul_f32_e32 v18, v21, v88
	v_fma_f32 v18, v20, v198, -v18
	v_mul_f32_e32 v15, v15, v90
	v_add_f32_e32 v1, v1, v18
	v_fma_f32 v14, v14, v197, -v15
	v_add_f32_e32 v1, v1, v14
	v_mul_f32_e32 v14, v17, v106
	v_fma_f32 v14, v16, v196, -v14
	v_mul_f32_e32 v11, v11, v108
	v_add_f32_e32 v1, v1, v14
	v_fma_f32 v10, v10, v195, -v11
	v_add_f32_e32 v1, v1, v10
	v_mul_f32_e32 v10, v13, v109
	v_fma_f32 v10, v12, v202, -v10
	v_mul_f32_e32 v7, v7, v190
	v_add_f32_e32 v1, v1, v10
	v_fma_f32 v6, v6, v201, -v7
	v_add_f32_e32 v1, v1, v6
	v_mul_f32_e32 v6, v9, v191
	v_fma_f32 v6, v8, v200, -v6
	v_mul_f32_e32 v3, v3, v203
	v_add_f32_e32 v1, v1, v6
	v_fma_f32 v2, v2, v199, -v3
	v_add_f32_e32 v1, v1, v2
	v_mul_f32_e32 v2, v5, v204
	v_fma_f32 v2, v4, v212, -v2
	v_add_f32_e32 v1, v1, v2
	v_mul_f32_e32 v2, v29, v207
	v_fma_f32 v2, v28, v205, -v2
	v_add_f32_e32 v1, v1, v2
	v_mul_f32_e32 v2, v31, v209
	;; [unrolled: 3-line block ×24, first 2 shown]
	v_fma_f32 v2, v74, v253, -v2
	s_waitcnt vmcnt(15)
	v_mov_b32_e32 v16, v85
	s_waitcnt lgkmcnt(1)
	v_mul_f32_e32 v89, v76, v110
	v_add_f32_e32 v86, v1, v2
	v_mul_f32_e32 v1, v77, v110
	s_waitcnt lgkmcnt(0)
	v_pk_mul_f32 v[16:17], v[80:81], v[16:17] op_sel_hi:[1,0]
	v_fmac_f32_e32 v89, v77, v255
	v_mul_f32_e32 v91, v78, v112
	v_fma_f32 v88, v76, v255, -v1
	v_mul_f32_e32 v1, v79, v112
	s_waitcnt vmcnt(14)
	v_pk_fma_f32 v[18:19], v[80:81], v[84:85], v[16:17] op_sel:[0,0,1] op_sel_hi:[1,1,0] neg_lo:[0,0,1] neg_hi:[0,0,1]
	v_pk_fma_f32 v[16:17], v[80:81], v[84:85], v[16:17] op_sel:[0,0,1] op_sel_hi:[1,0,0]
	v_fmac_f32_e32 v91, v79, v111
	v_fma_f32 v90, v78, v111, -v1
	v_pk_add_f32 v[14:15], v[86:87], v[88:89]
	s_waitcnt vmcnt(7)
	v_mov_b32_e32 v16, v99
	ds_read_b128 v[2:5], v206 offset:784
	ds_read_b128 v[6:9], v206 offset:800
	;; [unrolled: 1-line block ×3, first 2 shown]
	v_pk_add_f32 v[14:15], v[14:15], v[90:91]
	v_mov_b32_e32 v19, v17
	v_pk_mul_f32 v[16:17], v[82:83], v[16:17] op_sel_hi:[1,0]
	v_pk_add_f32 v[14:15], v[14:15], v[18:19]
	s_waitcnt vmcnt(6)
	v_pk_fma_f32 v[18:19], v[82:83], v[98:99], v[16:17] op_sel:[0,0,1] op_sel_hi:[1,1,0] neg_lo:[0,0,1] neg_hi:[0,0,1]
	v_pk_fma_f32 v[16:17], v[82:83], v[98:99], v[16:17] op_sel:[0,0,1] op_sel_hi:[1,0,0]
	v_mov_b32_e32 v16, v97
	v_mov_b32_e32 v19, v17
	s_waitcnt lgkmcnt(2)
	v_pk_mul_f32 v[16:17], v[2:3], v[16:17] op_sel_hi:[1,0]
	v_pk_add_f32 v[14:15], v[14:15], v[18:19]
	v_pk_fma_f32 v[18:19], v[2:3], v[96:97], v[16:17] op_sel:[0,0,1] op_sel_hi:[1,1,0] neg_lo:[0,0,1] neg_hi:[0,0,1]
	v_pk_fma_f32 v[2:3], v[2:3], v[96:97], v[16:17] op_sel:[0,0,1] op_sel_hi:[1,0,0]
	v_mov_b32_e32 v19, v3
	v_pk_add_f32 v[2:3], v[14:15], v[18:19]
	v_mov_b32_e32 v14, v95
	v_pk_mul_f32 v[14:15], v[4:5], v[14:15] op_sel_hi:[1,0]
	v_pk_fma_f32 v[16:17], v[4:5], v[94:95], v[14:15] op_sel:[0,0,1] op_sel_hi:[1,1,0] neg_lo:[0,0,1] neg_hi:[0,0,1]
	v_pk_fma_f32 v[4:5], v[4:5], v[94:95], v[14:15] op_sel:[0,0,1] op_sel_hi:[1,0,0]
	v_mov_b32_e32 v4, v93
	v_mov_b32_e32 v17, v5
	s_waitcnt lgkmcnt(1)
	v_pk_mul_f32 v[4:5], v[6:7], v[4:5] op_sel_hi:[1,0]
	v_pk_fma_f32 v[14:15], v[6:7], v[92:93], v[4:5] op_sel:[0,0,1] op_sel_hi:[1,1,0] neg_lo:[0,0,1] neg_hi:[0,0,1]
	v_pk_fma_f32 v[4:5], v[6:7], v[92:93], v[4:5] op_sel:[0,0,1] op_sel_hi:[1,0,0]
	s_waitcnt vmcnt(1)
	v_mov_b32_e32 v4, v105
	v_mov_b32_e32 v15, v5
	v_pk_mul_f32 v[4:5], v[8:9], v[4:5] op_sel_hi:[1,0]
	s_waitcnt vmcnt(0)
	v_pk_fma_f32 v[6:7], v[8:9], v[104:105], v[4:5] op_sel:[0,0,1] op_sel_hi:[1,1,0] neg_lo:[0,0,1] neg_hi:[0,0,1]
	v_pk_fma_f32 v[4:5], v[8:9], v[104:105], v[4:5] op_sel:[0,0,1] op_sel_hi:[1,0,0]
	v_pk_add_f32 v[2:3], v[2:3], v[16:17]
	v_mov_b32_e32 v4, v103
	v_pk_add_f32 v[2:3], v[2:3], v[14:15]
	v_mov_b32_e32 v7, v5
	s_waitcnt lgkmcnt(0)
	v_pk_mul_f32 v[4:5], v[10:11], v[4:5] op_sel_hi:[1,0]
	v_pk_add_f32 v[2:3], v[2:3], v[6:7]
	v_pk_fma_f32 v[6:7], v[10:11], v[102:103], v[4:5] op_sel:[0,0,1] op_sel_hi:[1,1,0] neg_lo:[0,0,1] neg_hi:[0,0,1]
	v_pk_fma_f32 v[4:5], v[10:11], v[102:103], v[4:5] op_sel:[0,0,1] op_sel_hi:[1,0,0]
	v_mov_b32_e32 v4, v101
	v_mov_b32_e32 v7, v5
	v_pk_mul_f32 v[4:5], v[12:13], v[4:5] op_sel_hi:[1,0]
	v_pk_add_f32 v[2:3], v[2:3], v[6:7]
	v_pk_fma_f32 v[6:7], v[12:13], v[100:101], v[4:5] op_sel:[0,0,1] op_sel_hi:[1,1,0] neg_lo:[0,0,1] neg_hi:[0,0,1]
	v_pk_fma_f32 v[4:5], v[12:13], v[100:101], v[4:5] op_sel:[0,0,1] op_sel_hi:[1,0,0]
	v_mov_b32_e32 v7, v5
	v_pk_add_f32 v[2:3], v[2:3], v[6:7]
	v_pk_add_f32 v[2:3], v[26:27], v[2:3] neg_lo:[0,1] neg_hi:[0,1]
	buffer_store_dword v3, off, s[0:3], 0 offset:44
	buffer_store_dword v2, off, s[0:3], 0 offset:40
	s_and_saveexec_b64 s[4:5], vcc
	s_cbranch_execz .LBB115_317
; %bb.316:
	buffer_load_dword v2, off, s[0:3], 0 offset:32
	buffer_load_dword v3, off, s[0:3], 0 offset:36
	v_mov_b32_e32 v1, 0
	buffer_store_dword v1, off, s[0:3], 0 offset:32
	buffer_store_dword v1, off, s[0:3], 0 offset:36
	s_waitcnt vmcnt(2)
	ds_write_b64 v129, v[2:3]
.LBB115_317:
	s_or_b64 exec, exec, s[4:5]
	s_waitcnt lgkmcnt(0)
	; wave barrier
	s_waitcnt lgkmcnt(0)
	buffer_load_dword v32, off, s[0:3], 0 offset:44
	buffer_load_dword v31, off, s[0:3], 0 offset:52
	;; [unrolled: 1-line block ×48, first 2 shown]
	v_mov_b32_e32 v36, 0
	ds_read2_b64 v[22:25], v36 offset0:57 offset1:58
	ds_read2_b64 v[18:21], v36 offset0:59 offset1:60
	;; [unrolled: 1-line block ×6, first 2 shown]
	buffer_load_dword v225, off, s[0:3], 0 offset:224
	buffer_load_dword v226, off, s[0:3], 0 offset:228
	;; [unrolled: 1-line block ×12, first 2 shown]
	v_cmp_lt_u32_e32 vcc, 3, v0
	s_waitcnt vmcnt(59) lgkmcnt(5)
	v_mul_f32_e32 v35, v22, v32
	s_waitcnt vmcnt(58)
	v_mul_f32_e32 v38, v24, v31
	s_waitcnt vmcnt(57) lgkmcnt(4)
	v_mul_f32_e32 v40, v20, v30
	s_waitcnt vmcnt(56) lgkmcnt(3)
	v_mul_f32_e32 v41, v14, v29
	s_waitcnt vmcnt(55)
	v_mul_f32_e32 v42, v16, v1
	s_waitcnt vmcnt(54)
	v_mul_f32_e32 v39, v18, v33
	s_waitcnt vmcnt(53) lgkmcnt(2)
	v_mul_f32_e32 v43, v10, v28
	s_waitcnt vmcnt(52)
	v_mul_f32_e32 v44, v12, v34
	s_waitcnt vmcnt(51) lgkmcnt(1)
	v_mul_f32_e32 v45, v6, v37
	s_waitcnt vmcnt(50)
	v_mul_f32_e32 v46, v8, v94
	s_waitcnt vmcnt(49)
	v_fmac_f32_e32 v39, v19, v96
	s_waitcnt vmcnt(48)
	v_fmac_f32_e32 v38, v25, v110
	;; [unrolled: 2-line block ×3, first 2 shown]
	v_add_f32_e32 v35, 0, v35
	v_add_f32_e32 v35, v35, v38
	;; [unrolled: 1-line block ×3, first 2 shown]
	s_waitcnt vmcnt(43)
	v_fmac_f32_e32 v40, v21, v195
	v_fmac_f32_e32 v41, v15, v194
	v_add_f32_e32 v35, v35, v40
	v_fmac_f32_e32 v42, v17, v113
	v_add_f32_e32 v35, v35, v41
	;; [unrolled: 2-line block ×3, first 2 shown]
	s_waitcnt vmcnt(39)
	v_fmac_f32_e32 v44, v13, v199
	v_add_f32_e32 v35, v35, v43
	v_fmac_f32_e32 v45, v7, v198
	v_add_f32_e32 v35, v35, v44
	;; [unrolled: 2-line block ×3, first 2 shown]
	s_waitcnt vmcnt(38) lgkmcnt(0)
	v_mul_f32_e32 v38, v2, v200
	v_add_f32_e32 v35, v35, v46
	v_fmac_f32_e32 v38, v3, v196
	v_add_f32_e32 v35, v35, v38
	ds_read2_b64 v[38:41], v36 offset0:69 offset1:70
	buffer_load_dword v237, off, s[0:3], 0 offset:272
	buffer_load_dword v238, off, s[0:3], 0 offset:276
	;; [unrolled: 1-line block ×4, first 2 shown]
	s_waitcnt vmcnt(35)
	v_mul_f32_e32 v42, v4, v207
	s_waitcnt vmcnt(34)
	v_fmac_f32_e32 v42, v5, v208
	v_add_f32_e32 v35, v35, v42
	ds_read2_b64 v[42:45], v36 offset0:71 offset1:72
	buffer_load_dword v241, off, s[0:3], 0 offset:288
	buffer_load_dword v242, off, s[0:3], 0 offset:292
	;; [unrolled: 1-line block ×10, first 2 shown]
	s_waitcnt lgkmcnt(1)
	v_mul_f32_e32 v46, v38, v202
	v_fmac_f32_e32 v46, v39, v201
	v_add_f32_e32 v35, v35, v46
	v_mul_f32_e32 v46, v40, v204
	v_fmac_f32_e32 v46, v41, v203
	v_add_f32_e32 v35, v35, v46
	s_waitcnt lgkmcnt(0)
	v_mul_f32_e32 v46, v42, v206
	v_fmac_f32_e32 v46, v43, v205
	v_add_f32_e32 v35, v35, v46
	buffer_load_dword v251, off, s[0:3], 0 offset:328
	buffer_load_dword v252, off, s[0:3], 0 offset:332
	;; [unrolled: 1-line block ×6, first 2 shown]
	ds_read2_b64 v[46:49], v36 offset0:73 offset1:74
	s_waitcnt vmcnt(46)
	v_mul_f32_e32 v50, v44, v210
	v_fmac_f32_e32 v50, v45, v209
	v_add_f32_e32 v35, v35, v50
	ds_read2_b64 v[50:53], v36 offset0:75 offset1:76
	s_waitcnt vmcnt(44) lgkmcnt(1)
	v_mul_f32_e32 v54, v46, v212
	v_fmac_f32_e32 v54, v47, v211
	v_add_f32_e32 v35, v35, v54
	s_waitcnt vmcnt(42)
	v_mul_f32_e32 v54, v48, v214
	v_fmac_f32_e32 v54, v49, v213
	v_add_f32_e32 v35, v35, v54
	s_waitcnt vmcnt(40) lgkmcnt(0)
	v_mul_f32_e32 v54, v50, v216
	v_fmac_f32_e32 v54, v51, v215
	v_add_f32_e32 v35, v35, v54
	ds_read2_b64 v[54:57], v36 offset0:77 offset1:78
	s_waitcnt vmcnt(38)
	v_mul_f32_e32 v58, v52, v218
	v_fmac_f32_e32 v58, v53, v217
	v_add_f32_e32 v35, v35, v58
	ds_read2_b64 v[58:61], v36 offset0:79 offset1:80
	s_waitcnt vmcnt(36) lgkmcnt(1)
	v_mul_f32_e32 v62, v54, v220
	v_fmac_f32_e32 v62, v55, v219
	v_add_f32_e32 v35, v35, v62
	s_waitcnt vmcnt(34)
	v_mul_f32_e32 v62, v56, v222
	v_fmac_f32_e32 v62, v57, v221
	v_add_f32_e32 v35, v35, v62
	s_waitcnt vmcnt(32) lgkmcnt(0)
	v_mul_f32_e32 v62, v58, v224
	v_fmac_f32_e32 v62, v59, v223
	v_add_f32_e32 v35, v35, v62
	;; [unrolled: 18-line block ×3, first 2 shown]
	ds_read2_b64 v[70:73], v36 offset0:85 offset1:86
	s_waitcnt vmcnt(22)
	v_mul_f32_e32 v74, v68, v234
	v_fmac_f32_e32 v74, v69, v233
	v_add_f32_e32 v35, v35, v74
	ds_read2_b64 v[74:77], v36 offset0:87 offset1:88
	s_waitcnt vmcnt(20) lgkmcnt(1)
	v_mul_f32_e32 v78, v70, v236
	v_fmac_f32_e32 v78, v71, v235
	v_add_f32_e32 v35, v35, v78
	v_mul_f32_e32 v23, v23, v32
	v_fma_f32 v22, v22, v111, -v23
	v_mul_f32_e32 v23, v25, v31
	v_add_f32_e32 v22, 0, v22
	v_fma_f32 v23, v24, v110, -v23
	v_mul_f32_e32 v19, v19, v33
	v_add_f32_e32 v22, v22, v23
	v_fma_f32 v18, v18, v96, -v19
	v_mul_f32_e32 v19, v21, v30
	s_waitcnt vmcnt(18)
	v_mul_f32_e32 v78, v72, v238
	v_fmac_f32_e32 v78, v73, v237
	v_add_f32_e32 v35, v35, v78
	s_waitcnt vmcnt(16) lgkmcnt(0)
	v_mul_f32_e32 v78, v74, v240
	v_fmac_f32_e32 v78, v75, v239
	v_add_f32_e32 v35, v35, v78
	ds_read2_b64 v[78:81], v36 offset0:89 offset1:90
	s_waitcnt vmcnt(14)
	v_mul_f32_e32 v82, v76, v242
	v_fmac_f32_e32 v82, v77, v241
	v_add_f32_e32 v35, v35, v82
	ds_read2_b64 v[82:85], v36 offset0:91 offset1:92
	s_waitcnt vmcnt(12) lgkmcnt(1)
	v_mul_f32_e32 v86, v78, v244
	v_fmac_f32_e32 v86, v79, v243
	v_add_f32_e32 v35, v35, v86
	s_waitcnt vmcnt(10)
	v_mul_f32_e32 v86, v80, v246
	v_fmac_f32_e32 v86, v81, v245
	v_add_f32_e32 v35, v35, v86
	s_waitcnt vmcnt(8) lgkmcnt(0)
	v_mul_f32_e32 v86, v82, v248
	v_fmac_f32_e32 v86, v83, v247
	s_waitcnt vmcnt(6)
	v_mul_f32_e32 v90, v84, v250
	v_add_f32_e32 v35, v35, v86
	v_fmac_f32_e32 v90, v85, v249
	ds_read2_b64 v[86:89], v36 offset0:93 offset1:94
	v_add_f32_e32 v35, v35, v90
	ds_read2_b64 v[90:93], v36 offset0:95 offset1:96
	buffer_load_dword v99, off, s[0:3], 0 offset:380
	buffer_load_dword v98, off, s[0:3], 0 offset:376
	;; [unrolled: 1-line block ×16, first 2 shown]
	v_add_f32_e32 v18, v22, v18
	v_fma_f32 v19, v20, v195, -v19
	v_mul_f32_e32 v15, v15, v29
	v_add_f32_e32 v18, v18, v19
	v_fma_f32 v14, v14, v194, -v15
	v_mul_f32_e32 v1, v17, v1
	;; [unrolled: 3-line block ×3, first 2 shown]
	v_add_f32_e32 v1, v14, v1
	v_fma_f32 v10, v10, v112, -v11
	v_add_f32_e32 v1, v1, v10
	v_mul_f32_e32 v10, v13, v34
	v_fma_f32 v10, v12, v199, -v10
	v_mul_f32_e32 v7, v7, v37
	v_add_f32_e32 v1, v1, v10
	v_fma_f32 v6, v6, v198, -v7
	v_add_f32_e32 v1, v1, v6
	v_mul_f32_e32 v6, v9, v94
	v_fma_f32 v6, v8, v197, -v6
	v_mul_f32_e32 v3, v3, v200
	v_add_f32_e32 v1, v1, v6
	v_fma_f32 v2, v2, v196, -v3
	v_add_f32_e32 v1, v1, v2
	v_mul_f32_e32 v2, v5, v207
	v_fma_f32 v2, v4, v208, -v2
	v_add_f32_e32 v1, v1, v2
	v_mul_f32_e32 v2, v39, v202
	;; [unrolled: 3-line block ×25, first 2 shown]
	v_fma_f32 v2, v84, v249, -v2
	s_waitcnt vmcnt(20) lgkmcnt(1)
	v_mul_f32_e32 v95, v86, v252
	v_add_f32_e32 v1, v1, v2
	v_mul_f32_e32 v2, v87, v252
	v_fmac_f32_e32 v95, v87, v251
	v_fma_f32 v2, v86, v251, -v2
	s_waitcnt vmcnt(9)
	v_mov_b32_e32 v18, v105
	v_add_f32_e32 v35, v35, v95
	v_mul_f32_e32 v95, v88, v254
	v_add_f32_e32 v34, v1, v2
	v_mul_f32_e32 v1, v89, v254
	s_waitcnt lgkmcnt(0)
	v_pk_mul_f32 v[18:19], v[92:93], v[18:19] op_sel_hi:[1,0]
	v_fmac_f32_e32 v95, v89, v253
	v_mul_f32_e32 v97, v90, v114
	v_fma_f32 v94, v88, v253, -v1
	v_mul_f32_e32 v1, v91, v114
	ds_read2_b64 v[2:5], v36 offset0:97 offset1:98
	ds_read2_b64 v[6:9], v36 offset0:99 offset1:100
	;; [unrolled: 1-line block ×3, first 2 shown]
	ds_read_b64 v[14:15], v36 offset:824
	s_waitcnt vmcnt(8)
	v_pk_fma_f32 v[20:21], v[92:93], v[104:105], v[18:19] op_sel:[0,0,1] op_sel_hi:[1,1,0] neg_lo:[0,0,1] neg_hi:[0,0,1]
	v_pk_fma_f32 v[18:19], v[92:93], v[104:105], v[18:19] op_sel:[0,0,1] op_sel_hi:[1,0,0]
	v_fmac_f32_e32 v97, v91, v255
	v_fma_f32 v96, v90, v255, -v1
	v_pk_add_f32 v[16:17], v[34:35], v[94:95]
	v_mov_b32_e32 v18, v103
	v_pk_add_f32 v[16:17], v[16:17], v[96:97]
	v_mov_b32_e32 v21, v19
	s_waitcnt lgkmcnt(3)
	v_pk_mul_f32 v[18:19], v[2:3], v[18:19] op_sel_hi:[1,0]
	v_pk_add_f32 v[16:17], v[16:17], v[20:21]
	v_pk_fma_f32 v[20:21], v[2:3], v[102:103], v[18:19] op_sel:[0,0,1] op_sel_hi:[1,1,0] neg_lo:[0,0,1] neg_hi:[0,0,1]
	v_pk_fma_f32 v[2:3], v[2:3], v[102:103], v[18:19] op_sel:[0,0,1] op_sel_hi:[1,0,0]
	v_mov_b32_e32 v21, v3
	v_pk_add_f32 v[2:3], v[16:17], v[20:21]
	v_mov_b32_e32 v16, v101
	v_pk_mul_f32 v[16:17], v[4:5], v[16:17] op_sel_hi:[1,0]
	v_pk_fma_f32 v[18:19], v[4:5], v[100:101], v[16:17] op_sel:[0,0,1] op_sel_hi:[1,1,0] neg_lo:[0,0,1] neg_hi:[0,0,1]
	v_pk_fma_f32 v[4:5], v[4:5], v[100:101], v[16:17] op_sel:[0,0,1] op_sel_hi:[1,0,0]
	v_mov_b32_e32 v4, v99
	v_mov_b32_e32 v19, v5
	s_waitcnt lgkmcnt(2)
	v_pk_mul_f32 v[4:5], v[6:7], v[4:5] op_sel_hi:[1,0]
	v_pk_fma_f32 v[16:17], v[6:7], v[98:99], v[4:5] op_sel:[0,0,1] op_sel_hi:[1,1,0] neg_lo:[0,0,1] neg_hi:[0,0,1]
	v_pk_fma_f32 v[4:5], v[6:7], v[98:99], v[4:5] op_sel:[0,0,1] op_sel_hi:[1,0,0]
	s_waitcnt vmcnt(1)
	v_mov_b32_e32 v4, v193
	v_mov_b32_e32 v17, v5
	v_pk_mul_f32 v[4:5], v[8:9], v[4:5] op_sel_hi:[1,0]
	s_waitcnt vmcnt(0)
	v_pk_fma_f32 v[6:7], v[8:9], v[192:193], v[4:5] op_sel:[0,0,1] op_sel_hi:[1,1,0] neg_lo:[0,0,1] neg_hi:[0,0,1]
	v_pk_fma_f32 v[4:5], v[8:9], v[192:193], v[4:5] op_sel:[0,0,1] op_sel_hi:[1,0,0]
	v_pk_add_f32 v[2:3], v[2:3], v[18:19]
	v_mov_b32_e32 v4, v191
	v_pk_add_f32 v[2:3], v[2:3], v[16:17]
	v_mov_b32_e32 v7, v5
	s_waitcnt lgkmcnt(1)
	v_pk_mul_f32 v[4:5], v[10:11], v[4:5] op_sel_hi:[1,0]
	v_pk_add_f32 v[2:3], v[2:3], v[6:7]
	v_pk_fma_f32 v[6:7], v[10:11], v[190:191], v[4:5] op_sel:[0,0,1] op_sel_hi:[1,1,0] neg_lo:[0,0,1] neg_hi:[0,0,1]
	v_pk_fma_f32 v[4:5], v[10:11], v[190:191], v[4:5] op_sel:[0,0,1] op_sel_hi:[1,0,0]
	v_mov_b32_e32 v4, v109
	v_mov_b32_e32 v7, v5
	v_pk_mul_f32 v[4:5], v[12:13], v[4:5] op_sel_hi:[1,0]
	v_pk_add_f32 v[2:3], v[2:3], v[6:7]
	v_pk_fma_f32 v[6:7], v[12:13], v[108:109], v[4:5] op_sel:[0,0,1] op_sel_hi:[1,1,0] neg_lo:[0,0,1] neg_hi:[0,0,1]
	v_pk_fma_f32 v[4:5], v[12:13], v[108:109], v[4:5] op_sel:[0,0,1] op_sel_hi:[1,0,0]
	v_mov_b32_e32 v4, v107
	v_mov_b32_e32 v7, v5
	s_waitcnt lgkmcnt(0)
	v_pk_mul_f32 v[4:5], v[14:15], v[4:5] op_sel_hi:[1,0]
	v_pk_add_f32 v[2:3], v[2:3], v[6:7]
	v_pk_fma_f32 v[6:7], v[14:15], v[106:107], v[4:5] op_sel:[0,0,1] op_sel_hi:[1,1,0] neg_lo:[0,0,1] neg_hi:[0,0,1]
	v_pk_fma_f32 v[4:5], v[14:15], v[106:107], v[4:5] op_sel:[0,0,1] op_sel_hi:[1,0,0]
	v_mov_b32_e32 v7, v5
	v_pk_add_f32 v[2:3], v[2:3], v[6:7]
	v_pk_add_f32 v[2:3], v[26:27], v[2:3] neg_lo:[0,1] neg_hi:[0,1]
	buffer_store_dword v3, off, s[0:3], 0 offset:36
	buffer_store_dword v2, off, s[0:3], 0 offset:32
	s_and_saveexec_b64 s[4:5], vcc
	s_cbranch_execz .LBB115_319
; %bb.318:
	buffer_load_dword v2, off, s[0:3], 0 offset:24
	buffer_load_dword v3, off, s[0:3], 0 offset:28
	s_waitcnt vmcnt(0)
	ds_write_b64 v129, v[2:3]
	buffer_store_dword v36, off, s[0:3], 0 offset:24
	buffer_store_dword v36, off, s[0:3], 0 offset:28
.LBB115_319:
	s_or_b64 exec, exec, s[4:5]
	s_waitcnt lgkmcnt(0)
	; wave barrier
	s_waitcnt lgkmcnt(0)
	buffer_load_dword v41, off, s[0:3], 0 offset:36
	buffer_load_dword v40, off, s[0:3], 0 offset:44
	;; [unrolled: 1-line block ×32, first 2 shown]
	ds_read_b128 v[22:25], v36 offset:448
	ds_read_b128 v[18:21], v36 offset:464
	ds_read_b128 v[14:17], v36 offset:480
	ds_read_b128 v[10:13], v36 offset:496
	ds_read_b128 v[6:9], v36 offset:512
	ds_read_b128 v[2:5], v36 offset:528
	buffer_load_dword v207, off, s[0:3], 0 offset:152
	buffer_load_dword v208, off, s[0:3], 0 offset:156
	;; [unrolled: 1-line block ×26, first 2 shown]
	v_cmp_lt_u32_e32 vcc, 2, v0
	s_waitcnt vmcnt(57) lgkmcnt(5)
	v_mul_f32_e32 v26, v22, v41
	s_waitcnt vmcnt(56)
	v_mul_f32_e32 v27, v24, v40
	s_waitcnt vmcnt(55) lgkmcnt(4)
	v_mul_f32_e32 v29, v20, v39
	s_waitcnt vmcnt(54) lgkmcnt(3)
	v_mul_f32_e32 v30, v14, v38
	s_waitcnt vmcnt(53)
	v_mul_f32_e32 v31, v16, v1
	s_waitcnt vmcnt(52)
	v_mul_f32_e32 v28, v18, v42
	s_waitcnt vmcnt(51) lgkmcnt(2)
	v_mul_f32_e32 v32, v10, v37
	s_waitcnt vmcnt(50)
	v_mul_f32_e32 v33, v12, v43
	s_waitcnt vmcnt(49) lgkmcnt(1)
	;; [unrolled: 4-line block ×3, first 2 shown]
	v_mul_f32_e32 v46, v2, v102
	s_waitcnt vmcnt(46)
	v_fmac_f32_e32 v28, v19, v110
	s_waitcnt vmcnt(45)
	v_fmac_f32_e32 v27, v25, v111
	;; [unrolled: 2-line block ×3, first 2 shown]
	v_add_f32_e32 v26, 0, v26
	v_add_f32_e32 v26, v26, v27
	;; [unrolled: 1-line block ×3, first 2 shown]
	s_waitcnt vmcnt(40)
	v_fmac_f32_e32 v29, v21, v194
	v_fmac_f32_e32 v30, v15, v115
	v_add_f32_e32 v26, v26, v29
	v_fmac_f32_e32 v31, v17, v114
	v_add_f32_e32 v26, v26, v30
	;; [unrolled: 2-line block ×3, first 2 shown]
	s_waitcnt vmcnt(36)
	v_fmac_f32_e32 v33, v13, v198
	v_add_f32_e32 v26, v26, v32
	v_fmac_f32_e32 v44, v7, v197
	v_add_f32_e32 v26, v26, v33
	;; [unrolled: 2-line block ×4, first 2 shown]
	s_waitcnt vmcnt(30)
	v_mul_f32_e32 v27, v4, v204
	v_add_f32_e32 v26, v26, v46
	s_waitcnt vmcnt(29)
	v_fmac_f32_e32 v27, v5, v205
	v_add_f32_e32 v44, v26, v27
	ds_read_b128 v[26:29], v36 offset:544
	buffer_load_dword v233, off, s[0:3], 0 offset:256
	buffer_load_dword v234, off, s[0:3], 0 offset:260
	ds_read_b128 v[30:33], v36 offset:560
	buffer_load_dword v235, off, s[0:3], 0 offset:264
	buffer_load_dword v236, off, s[0:3], 0 offset:268
	;; [unrolled: 1-line block ×14, first 2 shown]
	s_waitcnt vmcnt(44) lgkmcnt(1)
	v_mul_f32_e32 v45, v26, v206
	v_fmac_f32_e32 v45, v27, v203
	v_add_f32_e32 v44, v44, v45
	v_mul_f32_e32 v45, v28, v200
	v_fmac_f32_e32 v45, v29, v199
	v_add_f32_e32 v44, v44, v45
	s_waitcnt lgkmcnt(0)
	v_mul_f32_e32 v45, v30, v202
	v_fmac_f32_e32 v45, v31, v201
	v_add_f32_e32 v48, v44, v45
	buffer_load_dword v249, off, s[0:3], 0 offset:320
	buffer_load_dword v250, off, s[0:3], 0 offset:324
	ds_read_b128 v[44:47], v36 offset:576
	s_waitcnt vmcnt(42)
	v_mul_f32_e32 v49, v32, v208
	v_fmac_f32_e32 v49, v33, v207
	buffer_load_dword v251, off, s[0:3], 0 offset:328
	buffer_load_dword v252, off, s[0:3], 0 offset:332
	v_add_f32_e32 v52, v48, v49
	buffer_load_dword v253, off, s[0:3], 0 offset:336
	buffer_load_dword v254, off, s[0:3], 0 offset:340
	ds_read_b128 v[48:51], v36 offset:592
	s_waitcnt vmcnt(44) lgkmcnt(1)
	v_mul_f32_e32 v53, v44, v210
	v_fmac_f32_e32 v53, v45, v209
	v_add_f32_e32 v52, v52, v53
	s_waitcnt vmcnt(42)
	v_mul_f32_e32 v53, v46, v212
	v_fmac_f32_e32 v53, v47, v211
	v_add_f32_e32 v52, v52, v53
	s_waitcnt vmcnt(40) lgkmcnt(0)
	v_mul_f32_e32 v53, v48, v214
	v_fmac_f32_e32 v53, v49, v213
	buffer_load_dword v255, off, s[0:3], 0 offset:344
	buffer_load_dword v116, off, s[0:3], 0 offset:348
	v_add_f32_e32 v56, v52, v53
	ds_read_b128 v[52:55], v36 offset:608
	s_waitcnt vmcnt(40)
	v_mul_f32_e32 v57, v50, v216
	v_fmac_f32_e32 v57, v51, v215
	v_add_f32_e32 v60, v56, v57
	ds_read_b128 v[56:59], v36 offset:624
	s_waitcnt vmcnt(38) lgkmcnt(1)
	v_mul_f32_e32 v61, v52, v218
	v_fmac_f32_e32 v61, v53, v217
	v_add_f32_e32 v60, v60, v61
	s_waitcnt vmcnt(36)
	v_mul_f32_e32 v61, v54, v220
	v_fmac_f32_e32 v61, v55, v219
	v_add_f32_e32 v60, v60, v61
	s_waitcnt vmcnt(34) lgkmcnt(0)
	v_mul_f32_e32 v61, v56, v222
	v_fmac_f32_e32 v61, v57, v221
	v_add_f32_e32 v64, v60, v61
	ds_read_b128 v[60:63], v36 offset:640
	s_waitcnt vmcnt(32)
	v_mul_f32_e32 v65, v58, v224
	v_fmac_f32_e32 v65, v59, v223
	v_add_f32_e32 v68, v64, v65
	ds_read_b128 v[64:67], v36 offset:656
	s_waitcnt vmcnt(30) lgkmcnt(1)
	v_mul_f32_e32 v69, v60, v226
	v_fmac_f32_e32 v69, v61, v225
	v_add_f32_e32 v68, v68, v69
	s_waitcnt vmcnt(28)
	v_mul_f32_e32 v69, v62, v228
	v_fmac_f32_e32 v69, v63, v227
	v_add_f32_e32 v68, v68, v69
	s_waitcnt vmcnt(26) lgkmcnt(0)
	v_mul_f32_e32 v69, v64, v230
	v_fmac_f32_e32 v69, v65, v229
	v_add_f32_e32 v72, v68, v69
	ds_read_b128 v[68:71], v36 offset:672
	s_waitcnt vmcnt(24)
	v_mul_f32_e32 v73, v66, v232
	v_fmac_f32_e32 v73, v67, v231
	v_add_f32_e32 v76, v72, v73
	ds_read_b128 v[72:75], v36 offset:688
	v_mul_f32_e32 v23, v23, v41
	v_fma_f32 v22, v22, v112, -v23
	v_mul_f32_e32 v23, v25, v40
	v_add_f32_e32 v22, 0, v22
	v_fma_f32 v23, v24, v111, -v23
	v_mul_f32_e32 v19, v19, v42
	v_add_f32_e32 v22, v22, v23
	;; [unrolled: 3-line block ×3, first 2 shown]
	v_fma_f32 v19, v20, v194, -v19
	s_waitcnt vmcnt(22) lgkmcnt(1)
	v_mul_f32_e32 v77, v68, v234
	v_fmac_f32_e32 v77, v69, v233
	v_add_f32_e32 v76, v76, v77
	s_waitcnt vmcnt(20)
	v_mul_f32_e32 v77, v70, v236
	v_fmac_f32_e32 v77, v71, v235
	v_add_f32_e32 v76, v76, v77
	s_waitcnt vmcnt(18) lgkmcnt(0)
	v_mul_f32_e32 v77, v72, v238
	v_fmac_f32_e32 v77, v73, v237
	v_add_f32_e32 v80, v76, v77
	ds_read_b128 v[76:79], v36 offset:704
	s_waitcnt vmcnt(16)
	v_mul_f32_e32 v81, v74, v240
	v_fmac_f32_e32 v81, v75, v239
	v_add_f32_e32 v84, v80, v81
	ds_read_b128 v[80:83], v36 offset:720
	s_waitcnt vmcnt(14) lgkmcnt(1)
	v_mul_f32_e32 v85, v76, v242
	v_fmac_f32_e32 v85, v77, v241
	v_add_f32_e32 v84, v84, v85
	s_waitcnt vmcnt(12)
	v_mul_f32_e32 v85, v78, v244
	v_fmac_f32_e32 v85, v79, v243
	v_add_f32_e32 v84, v84, v85
	s_waitcnt vmcnt(10) lgkmcnt(0)
	v_mul_f32_e32 v85, v80, v246
	v_fmac_f32_e32 v85, v81, v245
	s_waitcnt vmcnt(8)
	v_mul_f32_e32 v89, v82, v248
	v_add_f32_e32 v88, v84, v85
	v_fmac_f32_e32 v89, v83, v247
	ds_read_b128 v[84:87], v36 offset:736
	v_add_f32_e32 v93, v88, v89
	ds_read_b128 v[88:91], v36 offset:752
	buffer_load_dword v97, off, s[0:3], 0 offset:372
	buffer_load_dword v96, off, s[0:3], 0 offset:368
	;; [unrolled: 1-line block ×16, first 2 shown]
	v_mul_f32_e32 v15, v15, v38
	v_add_f32_e32 v18, v18, v19
	v_fma_f32 v14, v14, v115, -v15
	v_mul_f32_e32 v1, v17, v1
	v_add_f32_e32 v14, v18, v14
	v_fma_f32 v1, v16, v114, -v1
	;; [unrolled: 3-line block ×3, first 2 shown]
	v_add_f32_e32 v1, v1, v10
	v_mul_f32_e32 v10, v13, v43
	v_fma_f32 v10, v12, v198, -v10
	v_mul_f32_e32 v7, v7, v92
	v_add_f32_e32 v1, v1, v10
	v_fma_f32 v6, v6, v197, -v7
	v_add_f32_e32 v1, v1, v6
	v_mul_f32_e32 v6, v9, v94
	v_fma_f32 v6, v8, v196, -v6
	v_mul_f32_e32 v3, v3, v102
	v_add_f32_e32 v1, v1, v6
	v_fma_f32 v2, v2, v195, -v3
	v_add_f32_e32 v1, v1, v2
	v_mul_f32_e32 v2, v5, v204
	v_fma_f32 v2, v4, v205, -v2
	v_add_f32_e32 v1, v1, v2
	v_mul_f32_e32 v2, v27, v206
	;; [unrolled: 3-line block ×25, first 2 shown]
	v_fma_f32 v2, v82, v247, -v2
	v_add_f32_e32 v1, v1, v2
	s_waitcnt vmcnt(22) lgkmcnt(1)
	v_mul_f32_e32 v2, v85, v250
	v_mul_f32_e32 v95, v84, v250
	v_fma_f32 v2, v84, v249, -v2
	v_fmac_f32_e32 v95, v85, v249
	v_add_f32_e32 v1, v1, v2
	s_waitcnt vmcnt(20)
	v_mul_f32_e32 v2, v87, v252
	v_add_f32_e32 v93, v93, v95
	v_mul_f32_e32 v95, v86, v252
	v_fma_f32 v2, v86, v251, -v2
	v_fmac_f32_e32 v95, v87, v251
	v_add_f32_e32 v92, v1, v2
	ds_read_b128 v[2:5], v36 offset:768
	ds_read_b128 v[6:9], v36 offset:784
	;; [unrolled: 1-line block ×4, first 2 shown]
	v_add_f32_e32 v93, v93, v95
	s_waitcnt vmcnt(18) lgkmcnt(4)
	v_mul_f32_e32 v95, v88, v254
	v_mul_f32_e32 v1, v89, v254
	s_waitcnt vmcnt(11)
	v_mov_b32_e32 v20, v101
	v_fmac_f32_e32 v95, v89, v253
	v_mul_f32_e32 v103, v90, v116
	v_fma_f32 v94, v88, v253, -v1
	v_mul_f32_e32 v1, v91, v116
	s_waitcnt lgkmcnt(3)
	v_pk_mul_f32 v[20:21], v[2:3], v[20:21] op_sel_hi:[1,0]
	v_fmac_f32_e32 v103, v91, v255
	v_fma_f32 v102, v90, v255, -v1
	v_pk_add_f32 v[18:19], v[92:93], v[94:95]
	s_waitcnt vmcnt(10)
	v_pk_fma_f32 v[22:23], v[2:3], v[100:101], v[20:21] op_sel:[0,0,1] op_sel_hi:[1,1,0] neg_lo:[0,0,1] neg_hi:[0,0,1]
	v_pk_fma_f32 v[2:3], v[2:3], v[100:101], v[20:21] op_sel:[0,0,1] op_sel_hi:[1,0,0]
	v_pk_add_f32 v[18:19], v[18:19], v[102:103]
	v_mov_b32_e32 v23, v3
	v_pk_add_f32 v[2:3], v[18:19], v[22:23]
	v_mov_b32_e32 v18, v99
	v_pk_mul_f32 v[18:19], v[4:5], v[18:19] op_sel_hi:[1,0]
	v_pk_fma_f32 v[20:21], v[4:5], v[98:99], v[18:19] op_sel:[0,0,1] op_sel_hi:[1,1,0] neg_lo:[0,0,1] neg_hi:[0,0,1]
	v_pk_fma_f32 v[4:5], v[4:5], v[98:99], v[18:19] op_sel:[0,0,1] op_sel_hi:[1,0,0]
	v_mov_b32_e32 v4, v97
	v_mov_b32_e32 v21, v5
	s_waitcnt lgkmcnt(2)
	v_pk_mul_f32 v[4:5], v[6:7], v[4:5] op_sel_hi:[1,0]
	v_pk_fma_f32 v[18:19], v[6:7], v[96:97], v[4:5] op_sel:[0,0,1] op_sel_hi:[1,1,0] neg_lo:[0,0,1] neg_hi:[0,0,1]
	v_pk_fma_f32 v[4:5], v[6:7], v[96:97], v[4:5] op_sel:[0,0,1] op_sel_hi:[1,0,0]
	s_waitcnt vmcnt(3)
	v_mov_b32_e32 v4, v191
	v_mov_b32_e32 v19, v5
	v_pk_mul_f32 v[4:5], v[8:9], v[4:5] op_sel_hi:[1,0]
	s_waitcnt vmcnt(2)
	v_pk_fma_f32 v[6:7], v[8:9], v[190:191], v[4:5] op_sel:[0,0,1] op_sel_hi:[1,1,0] neg_lo:[0,0,1] neg_hi:[0,0,1]
	v_pk_fma_f32 v[4:5], v[8:9], v[190:191], v[4:5] op_sel:[0,0,1] op_sel_hi:[1,0,0]
	v_pk_add_f32 v[2:3], v[2:3], v[20:21]
	v_mov_b32_e32 v4, v109
	v_pk_add_f32 v[2:3], v[2:3], v[18:19]
	v_mov_b32_e32 v7, v5
	s_waitcnt lgkmcnt(1)
	v_pk_mul_f32 v[4:5], v[10:11], v[4:5] op_sel_hi:[1,0]
	v_pk_add_f32 v[2:3], v[2:3], v[6:7]
	v_pk_fma_f32 v[6:7], v[10:11], v[108:109], v[4:5] op_sel:[0,0,1] op_sel_hi:[1,1,0] neg_lo:[0,0,1] neg_hi:[0,0,1]
	v_pk_fma_f32 v[4:5], v[10:11], v[108:109], v[4:5] op_sel:[0,0,1] op_sel_hi:[1,0,0]
	v_mov_b32_e32 v4, v107
	v_mov_b32_e32 v7, v5
	v_pk_mul_f32 v[4:5], v[12:13], v[4:5] op_sel_hi:[1,0]
	v_pk_add_f32 v[2:3], v[2:3], v[6:7]
	v_pk_fma_f32 v[6:7], v[12:13], v[106:107], v[4:5] op_sel:[0,0,1] op_sel_hi:[1,1,0] neg_lo:[0,0,1] neg_hi:[0,0,1]
	v_pk_fma_f32 v[4:5], v[12:13], v[106:107], v[4:5] op_sel:[0,0,1] op_sel_hi:[1,0,0]
	v_mov_b32_e32 v4, v105
	v_mov_b32_e32 v7, v5
	s_waitcnt lgkmcnt(0)
	v_pk_mul_f32 v[4:5], v[14:15], v[4:5] op_sel_hi:[1,0]
	v_pk_add_f32 v[2:3], v[2:3], v[6:7]
	v_pk_fma_f32 v[6:7], v[14:15], v[104:105], v[4:5] op_sel:[0,0,1] op_sel_hi:[1,1,0] neg_lo:[0,0,1] neg_hi:[0,0,1]
	v_pk_fma_f32 v[4:5], v[14:15], v[104:105], v[4:5] op_sel:[0,0,1] op_sel_hi:[1,0,0]
	s_waitcnt vmcnt(1)
	v_mov_b32_e32 v4, v193
	v_mov_b32_e32 v7, v5
	v_pk_mul_f32 v[4:5], v[16:17], v[4:5] op_sel_hi:[1,0]
	v_pk_add_f32 v[2:3], v[2:3], v[6:7]
	s_waitcnt vmcnt(0)
	v_pk_fma_f32 v[6:7], v[16:17], v[192:193], v[4:5] op_sel:[0,0,1] op_sel_hi:[1,1,0] neg_lo:[0,0,1] neg_hi:[0,0,1]
	v_pk_fma_f32 v[4:5], v[16:17], v[192:193], v[4:5] op_sel:[0,0,1] op_sel_hi:[1,0,0]
	v_mov_b32_e32 v7, v5
	v_pk_add_f32 v[2:3], v[2:3], v[6:7]
	v_pk_add_f32 v[2:3], v[34:35], v[2:3] neg_lo:[0,1] neg_hi:[0,1]
	buffer_store_dword v3, off, s[0:3], 0 offset:28
	buffer_store_dword v2, off, s[0:3], 0 offset:24
	s_and_saveexec_b64 s[4:5], vcc
	s_cbranch_execz .LBB115_321
; %bb.320:
	buffer_load_dword v2, off, s[0:3], 0 offset:16
	buffer_load_dword v3, off, s[0:3], 0 offset:20
	v_mov_b32_e32 v1, 0
	buffer_store_dword v1, off, s[0:3], 0 offset:16
	buffer_store_dword v1, off, s[0:3], 0 offset:20
	s_waitcnt vmcnt(2)
	ds_write_b64 v129, v[2:3]
.LBB115_321:
	s_or_b64 exec, exec, s[4:5]
	v_mov_b32_e32 v214, 0
	s_waitcnt lgkmcnt(0)
	; wave barrier
	s_waitcnt lgkmcnt(0)
	ds_read2_b64 v[2:5], v214 offset0:55 offset1:56
	buffer_load_dword v190, off, s[0:3], 0 offset:16
	buffer_load_dword v191, off, s[0:3], 0 offset:20
	;; [unrolled: 1-line block ×16, first 2 shown]
	v_cmp_lt_u32_e32 vcc, 1, v0
	s_waitcnt vmcnt(12) lgkmcnt(0)
	v_mul_f32_e32 v1, v2, v215
	v_fmac_f32_e32 v1, v3, v192
	s_waitcnt vmcnt(10)
	v_mul_f32_e32 v6, v4, v217
	v_add_f32_e32 v1, 0, v1
	v_fmac_f32_e32 v6, v5, v194
	v_add_f32_e32 v1, v1, v6
	ds_read2_b64 v[6:9], v214 offset0:57 offset1:58
	v_mul_f32_e32 v3, v3, v215
	v_fma_f32 v2, v2, v192, -v3
	v_mul_f32_e32 v3, v5, v217
	v_add_f32_e32 v2, 0, v2
	s_waitcnt vmcnt(8) lgkmcnt(0)
	v_mul_f32_e32 v10, v6, v219
	v_fmac_f32_e32 v10, v7, v198
	v_add_f32_e32 v1, v1, v10
	s_waitcnt vmcnt(6)
	v_mul_f32_e32 v10, v8, v221
	v_fmac_f32_e32 v10, v9, v216
	v_add_f32_e32 v1, v1, v10
	ds_read2_b64 v[10:13], v214 offset0:59 offset1:60
	v_fma_f32 v3, v4, v194, -v3
	v_add_f32_e32 v2, v2, v3
	v_mul_f32_e32 v3, v7, v219
	v_fma_f32 v3, v6, v198, -v3
	s_waitcnt vmcnt(4) lgkmcnt(0)
	v_mul_f32_e32 v14, v10, v223
	v_fmac_f32_e32 v14, v11, v218
	v_add_f32_e32 v1, v1, v14
	s_waitcnt vmcnt(2)
	v_mul_f32_e32 v14, v12, v224
	v_fmac_f32_e32 v14, v13, v220
	v_add_f32_e32 v1, v1, v14
	ds_read2_b64 v[14:17], v214 offset0:61 offset1:62
	buffer_load_dword v226, off, s[0:3], 0 offset:80
	buffer_load_dword v227, off, s[0:3], 0 offset:84
	v_add_f32_e32 v2, v2, v3
	v_mul_f32_e32 v3, v9, v221
	v_fma_f32 v3, v8, v216, -v3
	s_waitcnt vmcnt(2) lgkmcnt(0)
	v_mul_f32_e32 v18, v14, v225
	v_fmac_f32_e32 v18, v15, v222
	v_add_f32_e32 v1, v1, v18
	v_add_f32_e32 v2, v2, v3
	v_mul_f32_e32 v3, v11, v223
	v_fma_f32 v3, v10, v218, -v3
	v_add_f32_e32 v2, v2, v3
	v_mul_f32_e32 v3, v13, v224
	v_fma_f32 v3, v12, v220, -v3
	;; [unrolled: 3-line block ×3, first 2 shown]
	v_add_f32_e32 v2, v2, v3
	s_waitcnt vmcnt(0)
	v_mul_f32_e32 v18, v16, v227
	v_fmac_f32_e32 v18, v17, v226
	v_add_f32_e32 v1, v1, v18
	ds_read2_b64 v[18:21], v214 offset0:63 offset1:64
	buffer_load_dword v228, off, s[0:3], 0 offset:88
	buffer_load_dword v229, off, s[0:3], 0 offset:92
	;; [unrolled: 1-line block ×4, first 2 shown]
	v_mul_f32_e32 v3, v17, v227
	v_fma_f32 v3, v16, v226, -v3
	v_add_f32_e32 v2, v2, v3
	s_waitcnt vmcnt(2) lgkmcnt(0)
	v_mul_f32_e32 v22, v18, v229
	v_fmac_f32_e32 v22, v19, v228
	v_add_f32_e32 v1, v1, v22
	s_waitcnt vmcnt(0)
	v_mul_f32_e32 v22, v20, v231
	v_fmac_f32_e32 v22, v21, v230
	v_add_f32_e32 v1, v1, v22
	ds_read2_b64 v[22:25], v214 offset0:65 offset1:66
	buffer_load_dword v232, off, s[0:3], 0 offset:104
	buffer_load_dword v233, off, s[0:3], 0 offset:108
	;; [unrolled: 1-line block ×4, first 2 shown]
	v_mul_f32_e32 v3, v19, v229
	v_fma_f32 v3, v18, v228, -v3
	v_add_f32_e32 v2, v2, v3
	v_mul_f32_e32 v3, v21, v231
	v_fma_f32 v3, v20, v230, -v3
	v_add_f32_e32 v2, v2, v3
	s_waitcnt vmcnt(2) lgkmcnt(0)
	v_mul_f32_e32 v26, v22, v233
	v_fmac_f32_e32 v26, v23, v232
	v_add_f32_e32 v1, v1, v26
	s_waitcnt vmcnt(0)
	v_mul_f32_e32 v26, v24, v235
	v_fmac_f32_e32 v26, v25, v234
	v_add_f32_e32 v1, v1, v26
	ds_read2_b64 v[26:29], v214 offset0:67 offset1:68
	buffer_load_dword v236, off, s[0:3], 0 offset:120
	buffer_load_dword v237, off, s[0:3], 0 offset:124
	;; [unrolled: 1-line block ×4, first 2 shown]
	v_mul_f32_e32 v3, v23, v233
	v_fma_f32 v3, v22, v232, -v3
	v_add_f32_e32 v2, v2, v3
	v_mul_f32_e32 v3, v25, v235
	v_fma_f32 v3, v24, v234, -v3
	v_add_f32_e32 v2, v2, v3
	s_waitcnt vmcnt(2) lgkmcnt(0)
	v_mul_f32_e32 v30, v26, v237
	v_fmac_f32_e32 v30, v27, v236
	v_add_f32_e32 v1, v1, v30
	s_waitcnt vmcnt(0)
	v_mul_f32_e32 v30, v28, v239
	v_fmac_f32_e32 v30, v29, v238
	v_add_f32_e32 v1, v1, v30
	ds_read2_b64 v[30:33], v214 offset0:69 offset1:70
	buffer_load_dword v240, off, s[0:3], 0 offset:136
	buffer_load_dword v241, off, s[0:3], 0 offset:140
	buffer_load_dword v242, off, s[0:3], 0 offset:144
	buffer_load_dword v243, off, s[0:3], 0 offset:148
	ds_read2_b64 v[38:41], v214 offset0:71 offset1:72
	buffer_load_dword v244, off, s[0:3], 0 offset:152
	buffer_load_dword v245, off, s[0:3], 0 offset:156
	buffer_load_dword v246, off, s[0:3], 0 offset:160
	buffer_load_dword v247, off, s[0:3], 0 offset:164
	;; [unrolled: 5-line block ×4, first 2 shown]
	ds_read2_b64 v[50:53], v214 offset0:77 offset1:78
	v_mul_f32_e32 v3, v27, v237
	v_fma_f32 v3, v26, v236, -v3
	v_add_f32_e32 v2, v2, v3
	v_mul_f32_e32 v3, v29, v239
	v_fma_f32 v3, v28, v238, -v3
	v_add_f32_e32 v2, v2, v3
	s_waitcnt vmcnt(14) lgkmcnt(4)
	v_mul_f32_e32 v34, v30, v241
	v_fmac_f32_e32 v34, v31, v240
	v_add_f32_e32 v1, v1, v34
	s_waitcnt vmcnt(12)
	v_mul_f32_e32 v34, v32, v243
	v_fmac_f32_e32 v34, v33, v242
	v_add_f32_e32 v1, v1, v34
	s_waitcnt vmcnt(10) lgkmcnt(3)
	v_mul_f32_e32 v34, v38, v245
	v_fmac_f32_e32 v34, v39, v244
	v_add_f32_e32 v1, v1, v34
	s_waitcnt vmcnt(8)
	v_mul_f32_e32 v34, v40, v247
	v_fmac_f32_e32 v34, v41, v246
	;; [unrolled: 8-line block ×4, first 2 shown]
	v_add_f32_e32 v34, v1, v34
	buffer_load_dword v1, off, s[0:3], 0 offset:200
	buffer_load_dword v86, off, s[0:3], 0 offset:204
	buffer_load_dword v87, off, s[0:3], 0 offset:208
	buffer_load_dword v88, off, s[0:3], 0 offset:212
	ds_read2_b64 v[54:57], v214 offset0:79 offset1:80
	buffer_load_dword v89, off, s[0:3], 0 offset:216
	buffer_load_dword v90, off, s[0:3], 0 offset:220
	buffer_load_dword v91, off, s[0:3], 0 offset:224
	buffer_load_dword v92, off, s[0:3], 0 offset:228
	ds_read2_b64 v[58:61], v214 offset0:81 offset1:82
	;; [unrolled: 5-line block ×8, first 2 shown]
	buffer_load_dword v117, off, s[0:3], 0 offset:328
	buffer_load_dword v118, off, s[0:3], 0 offset:332
	;; [unrolled: 1-line block ×4, first 2 shown]
	v_mul_f32_e32 v3, v31, v241
	v_fma_f32 v3, v30, v240, -v3
	v_add_f32_e32 v2, v2, v3
	v_mul_f32_e32 v3, v33, v243
	v_fma_f32 v3, v32, v242, -v3
	v_add_f32_e32 v2, v2, v3
	;; [unrolled: 3-line block ×8, first 2 shown]
	s_waitcnt vmcnt(34) lgkmcnt(8)
	v_mul_f32_e32 v35, v50, v86
	v_fmac_f32_e32 v35, v51, v1
	v_add_f32_e32 v34, v34, v35
	s_waitcnt vmcnt(32)
	v_mul_f32_e32 v35, v52, v88
	v_fmac_f32_e32 v35, v53, v87
	v_add_f32_e32 v34, v34, v35
	s_waitcnt vmcnt(30) lgkmcnt(7)
	v_mul_f32_e32 v35, v54, v90
	v_fmac_f32_e32 v35, v55, v89
	v_add_f32_e32 v34, v34, v35
	s_waitcnt vmcnt(28)
	v_mul_f32_e32 v35, v56, v92
	v_fmac_f32_e32 v35, v57, v91
	v_add_f32_e32 v34, v34, v35
	;; [unrolled: 8-line block ×8, first 2 shown]
	s_waitcnt vmcnt(2) lgkmcnt(0)
	v_mul_f32_e32 v35, v82, v118
	v_fmac_f32_e32 v35, v83, v117
	v_add_f32_e32 v193, v34, v35
	ds_read2_b64 v[34:37], v214 offset0:95 offset1:96
	buffer_load_dword v121, off, s[0:3], 0 offset:344
	buffer_load_dword v122, off, s[0:3], 0 offset:348
	;; [unrolled: 1-line block ×18, first 2 shown]
	v_mul_f32_e32 v3, v51, v86
	v_fma_f32 v1, v50, v1, -v3
	v_add_f32_e32 v1, v2, v1
	v_mul_f32_e32 v2, v53, v88
	v_fma_f32 v2, v52, v87, -v2
	v_add_f32_e32 v1, v1, v2
	;; [unrolled: 3-line block ×16, first 2 shown]
	v_mul_f32_e32 v2, v83, v118
	v_fma_f32 v2, v82, v117, -v2
	s_waitcnt vmcnt(18)
	v_mul_f32_e32 v195, v84, v120
	v_add_f32_e32 v192, v1, v2
	v_mul_f32_e32 v1, v85, v120
	v_fmac_f32_e32 v195, v85, v119
	v_fma_f32 v194, v84, v119, -v1
	ds_read2_b64 v[2:5], v214 offset0:97 offset1:98
	ds_read2_b64 v[6:9], v214 offset0:99 offset1:100
	;; [unrolled: 1-line block ×3, first 2 shown]
	ds_read_b64 v[14:15], v214 offset:824
	v_pk_add_f32 v[16:17], v[192:193], v[194:195]
	s_waitcnt vmcnt(15)
	v_mov_b32_e32 v18, v197
	s_waitcnt lgkmcnt(4)
	v_pk_mul_f32 v[18:19], v[36:37], v[18:19] op_sel_hi:[1,0]
	s_waitcnt vmcnt(14)
	v_pk_fma_f32 v[20:21], v[36:37], v[196:197], v[18:19] op_sel:[0,0,1] op_sel_hi:[1,1,0] neg_lo:[0,0,1] neg_hi:[0,0,1]
	v_pk_fma_f32 v[18:19], v[36:37], v[196:197], v[18:19] op_sel:[0,0,1] op_sel_hi:[1,0,0]
	s_waitcnt vmcnt(13)
	v_mov_b32_e32 v18, v213
	v_mov_b32_e32 v21, v19
	s_waitcnt lgkmcnt(3)
	v_pk_mul_f32 v[18:19], v[2:3], v[18:19] op_sel_hi:[1,0]
	v_mul_f32_e32 v199, v34, v122
	v_mul_f32_e32 v1, v35, v122
	v_fmac_f32_e32 v199, v35, v121
	v_fma_f32 v198, v34, v121, -v1
	v_pk_add_f32 v[16:17], v[16:17], v[198:199]
	v_pk_add_f32 v[16:17], v[16:17], v[20:21]
	s_waitcnt vmcnt(12)
	v_pk_fma_f32 v[20:21], v[2:3], v[212:213], v[18:19] op_sel:[0,0,1] op_sel_hi:[1,1,0] neg_lo:[0,0,1] neg_hi:[0,0,1]
	v_pk_fma_f32 v[2:3], v[2:3], v[212:213], v[18:19] op_sel:[0,0,1] op_sel_hi:[1,0,0]
	v_mov_b32_e32 v21, v3
	v_pk_add_f32 v[2:3], v[16:17], v[20:21]
	s_waitcnt vmcnt(11)
	v_mov_b32_e32 v16, v211
	v_pk_mul_f32 v[16:17], v[4:5], v[16:17] op_sel_hi:[1,0]
	s_waitcnt vmcnt(10)
	v_pk_fma_f32 v[18:19], v[4:5], v[210:211], v[16:17] op_sel:[0,0,1] op_sel_hi:[1,1,0] neg_lo:[0,0,1] neg_hi:[0,0,1]
	v_pk_fma_f32 v[4:5], v[4:5], v[210:211], v[16:17] op_sel:[0,0,1] op_sel_hi:[1,0,0]
	s_waitcnt vmcnt(9)
	v_mov_b32_e32 v4, v209
	v_mov_b32_e32 v19, v5
	s_waitcnt lgkmcnt(2)
	v_pk_mul_f32 v[4:5], v[6:7], v[4:5] op_sel_hi:[1,0]
	s_waitcnt vmcnt(8)
	v_pk_fma_f32 v[16:17], v[6:7], v[208:209], v[4:5] op_sel:[0,0,1] op_sel_hi:[1,1,0] neg_lo:[0,0,1] neg_hi:[0,0,1]
	v_pk_fma_f32 v[4:5], v[6:7], v[208:209], v[4:5] op_sel:[0,0,1] op_sel_hi:[1,0,0]
	s_waitcnt vmcnt(7)
	v_mov_b32_e32 v4, v207
	v_mov_b32_e32 v17, v5
	v_pk_mul_f32 v[4:5], v[8:9], v[4:5] op_sel_hi:[1,0]
	s_waitcnt vmcnt(6)
	v_pk_fma_f32 v[6:7], v[8:9], v[206:207], v[4:5] op_sel:[0,0,1] op_sel_hi:[1,1,0] neg_lo:[0,0,1] neg_hi:[0,0,1]
	v_pk_fma_f32 v[4:5], v[8:9], v[206:207], v[4:5] op_sel:[0,0,1] op_sel_hi:[1,0,0]
	v_pk_add_f32 v[2:3], v[2:3], v[18:19]
	s_waitcnt vmcnt(5)
	v_mov_b32_e32 v4, v205
	v_pk_add_f32 v[2:3], v[2:3], v[16:17]
	v_mov_b32_e32 v7, v5
	s_waitcnt lgkmcnt(1)
	v_pk_mul_f32 v[4:5], v[10:11], v[4:5] op_sel_hi:[1,0]
	v_pk_add_f32 v[2:3], v[2:3], v[6:7]
	s_waitcnt vmcnt(4)
	v_pk_fma_f32 v[6:7], v[10:11], v[204:205], v[4:5] op_sel:[0,0,1] op_sel_hi:[1,1,0] neg_lo:[0,0,1] neg_hi:[0,0,1]
	v_pk_fma_f32 v[4:5], v[10:11], v[204:205], v[4:5] op_sel:[0,0,1] op_sel_hi:[1,0,0]
	s_waitcnt vmcnt(3)
	v_mov_b32_e32 v4, v203
	v_mov_b32_e32 v7, v5
	v_pk_mul_f32 v[4:5], v[12:13], v[4:5] op_sel_hi:[1,0]
	v_pk_add_f32 v[2:3], v[2:3], v[6:7]
	s_waitcnt vmcnt(2)
	v_pk_fma_f32 v[6:7], v[12:13], v[202:203], v[4:5] op_sel:[0,0,1] op_sel_hi:[1,1,0] neg_lo:[0,0,1] neg_hi:[0,0,1]
	v_pk_fma_f32 v[4:5], v[12:13], v[202:203], v[4:5] op_sel:[0,0,1] op_sel_hi:[1,0,0]
	s_waitcnt vmcnt(1)
	v_mov_b32_e32 v4, v201
	v_mov_b32_e32 v7, v5
	s_waitcnt lgkmcnt(0)
	v_pk_mul_f32 v[4:5], v[14:15], v[4:5] op_sel_hi:[1,0]
	v_pk_add_f32 v[2:3], v[2:3], v[6:7]
	s_waitcnt vmcnt(0)
	v_pk_fma_f32 v[6:7], v[14:15], v[200:201], v[4:5] op_sel:[0,0,1] op_sel_hi:[1,1,0] neg_lo:[0,0,1] neg_hi:[0,0,1]
	v_pk_fma_f32 v[4:5], v[14:15], v[200:201], v[4:5] op_sel:[0,0,1] op_sel_hi:[1,0,0]
	v_mov_b32_e32 v7, v5
	v_pk_add_f32 v[2:3], v[2:3], v[6:7]
	v_pk_add_f32 v[2:3], v[190:191], v[2:3] neg_lo:[0,1] neg_hi:[0,1]
	buffer_store_dword v3, off, s[0:3], 0 offset:20
	buffer_store_dword v2, off, s[0:3], 0 offset:16
	s_and_saveexec_b64 s[4:5], vcc
	s_cbranch_execz .LBB115_323
; %bb.322:
	buffer_load_dword v2, off, s[0:3], 0 offset:8
	buffer_load_dword v3, off, s[0:3], 0 offset:12
	s_waitcnt vmcnt(0)
	ds_write_b64 v129, v[2:3]
	buffer_store_dword v214, off, s[0:3], 0 offset:8
	buffer_store_dword v214, off, s[0:3], 0 offset:12
.LBB115_323:
	s_or_b64 exec, exec, s[4:5]
	s_waitcnt lgkmcnt(0)
	; wave barrier
	s_waitcnt lgkmcnt(0)
	buffer_load_dword v40, off, s[0:3], 0 offset:20
	buffer_load_dword v39, off, s[0:3], 0 offset:28
	;; [unrolled: 1-line block ×32, first 2 shown]
	ds_read_b128 v[22:25], v214 offset:432
	ds_read_b128 v[18:21], v214 offset:448
	;; [unrolled: 1-line block ×6, first 2 shown]
	buffer_load_dword v206, off, s[0:3], 0 offset:136
	buffer_load_dword v207, off, s[0:3], 0 offset:140
	;; [unrolled: 1-line block ×20, first 2 shown]
	v_cmp_ne_u32_e32 vcc, 0, v0
	s_waitcnt vmcnt(51) lgkmcnt(5)
	v_mul_f32_e32 v26, v22, v40
	s_waitcnt vmcnt(50)
	v_mul_f32_e32 v27, v24, v39
	s_waitcnt vmcnt(49) lgkmcnt(4)
	v_mul_f32_e32 v29, v20, v38
	s_waitcnt vmcnt(48) lgkmcnt(3)
	v_mul_f32_e32 v30, v14, v37
	s_waitcnt vmcnt(47)
	v_mul_f32_e32 v31, v16, v36
	s_waitcnt vmcnt(46) lgkmcnt(2)
	v_mul_f32_e32 v32, v10, v1
	s_waitcnt vmcnt(45)
	v_mul_f32_e32 v28, v18, v41
	s_waitcnt vmcnt(44)
	v_mul_f32_e32 v33, v12, v42
	s_waitcnt vmcnt(43) lgkmcnt(1)
	v_mul_f32_e32 v47, v6, v43
	s_waitcnt vmcnt(42)
	v_mul_f32_e32 v48, v8, v44
	s_waitcnt vmcnt(41) lgkmcnt(0)
	v_mul_f32_e32 v49, v2, v45
	s_waitcnt vmcnt(40)
	v_mul_f32_e32 v50, v4, v46
	s_waitcnt vmcnt(39)
	v_fmac_f32_e32 v28, v19, v106
	s_waitcnt vmcnt(38)
	v_fmac_f32_e32 v27, v25, v108
	;; [unrolled: 2-line block ×3, first 2 shown]
	v_add_f32_e32 v26, 0, v26
	v_add_f32_e32 v26, v26, v27
	;; [unrolled: 1-line block ×3, first 2 shown]
	s_waitcnt vmcnt(33)
	v_fmac_f32_e32 v29, v21, v114
	v_fmac_f32_e32 v30, v15, v113
	v_add_f32_e32 v26, v26, v29
	v_fmac_f32_e32 v31, v17, v112
	v_add_f32_e32 v26, v26, v30
	;; [unrolled: 2-line block ×3, first 2 shown]
	s_waitcnt vmcnt(29)
	v_fmac_f32_e32 v33, v13, v118
	v_add_f32_e32 v26, v26, v32
	v_fmac_f32_e32 v47, v7, v117
	v_add_f32_e32 v26, v26, v33
	;; [unrolled: 2-line block ×4, first 2 shown]
	v_add_f32_e32 v30, v26, v49
	ds_read_b128 v[26:29], v214 offset:528
	buffer_load_dword v227, off, s[0:3], 0 offset:216
	buffer_load_dword v228, off, s[0:3], 0 offset:220
	;; [unrolled: 1-line block ×4, first 2 shown]
	s_waitcnt vmcnt(28)
	v_fmac_f32_e32 v50, v5, v123
	v_add_f32_e32 v47, v30, v50
	ds_read_b128 v[30:33], v214 offset:544
	buffer_load_dword v231, off, s[0:3], 0 offset:232
	buffer_load_dword v232, off, s[0:3], 0 offset:236
	;; [unrolled: 1-line block ×12, first 2 shown]
	s_waitcnt vmcnt(39) lgkmcnt(1)
	v_mul_f32_e32 v48, v26, v204
	v_fmac_f32_e32 v48, v27, v122
	buffer_load_dword v243, off, s[0:3], 0 offset:280
	buffer_load_dword v244, off, s[0:3], 0 offset:284
	v_add_f32_e32 v47, v47, v48
	s_waitcnt vmcnt(40)
	v_mul_f32_e32 v48, v28, v205
	v_fmac_f32_e32 v48, v29, v121
	buffer_load_dword v245, off, s[0:3], 0 offset:288
	buffer_load_dword v246, off, s[0:3], 0 offset:292
	v_add_f32_e32 v47, v47, v48
	s_waitcnt lgkmcnt(0)
	v_mul_f32_e32 v48, v30, v120
	v_fmac_f32_e32 v48, v31, v119
	v_add_f32_e32 v47, v47, v48
	ds_read_b128 v[48:51], v214 offset:560
	buffer_load_dword v247, off, s[0:3], 0 offset:296
	buffer_load_dword v248, off, s[0:3], 0 offset:300
	s_waitcnt vmcnt(40)
	v_mul_f32_e32 v52, v32, v207
	v_fmac_f32_e32 v52, v33, v206
	v_add_f32_e32 v47, v47, v52
	ds_read_b128 v[52:55], v214 offset:576
	buffer_load_dword v249, off, s[0:3], 0 offset:304
	buffer_load_dword v250, off, s[0:3], 0 offset:308
	;; [unrolled: 1-line block ×8, first 2 shown]
	s_waitcnt vmcnt(46) lgkmcnt(1)
	v_mul_f32_e32 v56, v48, v209
	v_fmac_f32_e32 v56, v49, v208
	v_add_f32_e32 v47, v47, v56
	s_waitcnt vmcnt(44)
	v_mul_f32_e32 v56, v50, v211
	v_fmac_f32_e32 v56, v51, v210
	v_add_f32_e32 v47, v47, v56
	s_waitcnt vmcnt(42) lgkmcnt(0)
	v_mul_f32_e32 v56, v52, v213
	v_fmac_f32_e32 v56, v53, v212
	v_add_f32_e32 v47, v47, v56
	buffer_load_dword v125, off, s[0:3], 0 offset:336
	buffer_load_dword v126, off, s[0:3], 0 offset:340
	;; [unrolled: 1-line block ×4, first 2 shown]
	ds_read_b128 v[56:59], v214 offset:592
	s_waitcnt vmcnt(44)
	v_mul_f32_e32 v60, v54, v216
	v_fmac_f32_e32 v60, v55, v215
	v_add_f32_e32 v47, v47, v60
	ds_read_b128 v[60:63], v214 offset:608
	s_waitcnt vmcnt(42) lgkmcnt(1)
	v_mul_f32_e32 v64, v56, v218
	v_fmac_f32_e32 v64, v57, v217
	v_add_f32_e32 v47, v47, v64
	s_waitcnt vmcnt(40)
	v_mul_f32_e32 v64, v58, v220
	v_fmac_f32_e32 v64, v59, v219
	v_add_f32_e32 v47, v47, v64
	s_waitcnt vmcnt(38) lgkmcnt(0)
	v_mul_f32_e32 v64, v60, v222
	v_fmac_f32_e32 v64, v61, v221
	v_add_f32_e32 v47, v47, v64
	ds_read_b128 v[64:67], v214 offset:624
	s_waitcnt vmcnt(36)
	v_mul_f32_e32 v68, v62, v224
	v_fmac_f32_e32 v68, v63, v223
	v_add_f32_e32 v47, v47, v68
	ds_read_b128 v[68:71], v214 offset:640
	s_waitcnt vmcnt(34) lgkmcnt(1)
	v_mul_f32_e32 v72, v64, v226
	v_fmac_f32_e32 v72, v65, v225
	v_add_f32_e32 v47, v47, v72
	v_mul_f32_e32 v23, v23, v40
	v_fma_f32 v22, v22, v110, -v23
	v_mul_f32_e32 v23, v25, v39
	v_add_f32_e32 v22, 0, v22
	v_fma_f32 v23, v24, v108, -v23
	v_mul_f32_e32 v19, v19, v41
	v_add_f32_e32 v22, v22, v23
	;; [unrolled: 3-line block ×5, first 2 shown]
	s_waitcnt vmcnt(32)
	v_mul_f32_e32 v72, v66, v228
	v_fmac_f32_e32 v72, v67, v227
	v_add_f32_e32 v47, v47, v72
	s_waitcnt vmcnt(30) lgkmcnt(0)
	v_mul_f32_e32 v72, v68, v230
	v_fmac_f32_e32 v72, v69, v229
	v_add_f32_e32 v47, v47, v72
	ds_read_b128 v[72:75], v214 offset:656
	s_waitcnt vmcnt(28)
	v_mul_f32_e32 v76, v70, v232
	v_fmac_f32_e32 v76, v71, v231
	v_add_f32_e32 v47, v47, v76
	ds_read_b128 v[76:79], v214 offset:672
	s_waitcnt vmcnt(26) lgkmcnt(1)
	v_mul_f32_e32 v80, v72, v234
	v_fmac_f32_e32 v80, v73, v233
	v_add_f32_e32 v47, v47, v80
	s_waitcnt vmcnt(24)
	v_mul_f32_e32 v80, v74, v236
	v_fmac_f32_e32 v80, v75, v235
	v_add_f32_e32 v47, v47, v80
	s_waitcnt vmcnt(22) lgkmcnt(0)
	v_mul_f32_e32 v80, v76, v238
	v_fmac_f32_e32 v80, v77, v237
	v_add_f32_e32 v47, v47, v80
	ds_read_b128 v[80:83], v214 offset:688
	s_waitcnt vmcnt(20)
	v_mul_f32_e32 v84, v78, v240
	v_fmac_f32_e32 v84, v79, v239
	v_add_f32_e32 v47, v47, v84
	ds_read_b128 v[84:87], v214 offset:704
	s_waitcnt vmcnt(18) lgkmcnt(1)
	v_mul_f32_e32 v88, v80, v242
	v_fmac_f32_e32 v88, v81, v241
	v_add_f32_e32 v47, v47, v88
	s_waitcnt vmcnt(16)
	v_mul_f32_e32 v88, v82, v244
	v_fmac_f32_e32 v88, v83, v243
	v_add_f32_e32 v47, v47, v88
	s_waitcnt vmcnt(14) lgkmcnt(0)
	v_mul_f32_e32 v88, v84, v246
	v_fmac_f32_e32 v88, v85, v245
	v_add_f32_e32 v47, v47, v88
	ds_read_b128 v[88:91], v214 offset:720
	s_waitcnt vmcnt(12)
	v_mul_f32_e32 v92, v86, v248
	v_fmac_f32_e32 v92, v87, v247
	v_add_f32_e32 v47, v47, v92
	ds_read_b128 v[92:95], v214 offset:736
	buffer_load_dword v105, off, s[0:3], 0 offset:356
	buffer_load_dword v104, off, s[0:3], 0 offset:352
	s_waitcnt vmcnt(12) lgkmcnt(1)
	v_mul_f32_e32 v96, v88, v250
	v_fmac_f32_e32 v96, v89, v249
	v_add_f32_e32 v47, v47, v96
	s_waitcnt vmcnt(10)
	v_mul_f32_e32 v96, v90, v252
	v_fmac_f32_e32 v96, v91, v251
	v_add_f32_e32 v47, v47, v96
	s_waitcnt vmcnt(8) lgkmcnt(0)
	v_mul_f32_e32 v96, v92, v254
	v_fmac_f32_e32 v96, v93, v253
	s_waitcnt vmcnt(6)
	v_mul_f32_e32 v100, v94, v124
	v_add_f32_e32 v47, v47, v96
	v_fmac_f32_e32 v100, v95, v255
	ds_read_b128 v[96:99], v214 offset:752
	v_add_f32_e32 v47, v47, v100
	ds_read_b128 v[100:103], v214 offset:768
	buffer_load_dword v191, off, s[0:3], 0 offset:388
	buffer_load_dword v190, off, s[0:3], 0 offset:384
	buffer_load_dword v193, off, s[0:3], 0 offset:380
	buffer_load_dword v192, off, s[0:3], 0 offset:376
	buffer_load_dword v195, off, s[0:3], 0 offset:372
	buffer_load_dword v194, off, s[0:3], 0 offset:368
	buffer_load_dword v197, off, s[0:3], 0 offset:364
	buffer_load_dword v196, off, s[0:3], 0 offset:360
	buffer_load_dword v199, off, s[0:3], 0 offset:412
	buffer_load_dword v198, off, s[0:3], 0 offset:408
	buffer_load_dword v201, off, s[0:3], 0 offset:404
	buffer_load_dword v200, off, s[0:3], 0 offset:400
	buffer_load_dword v203, off, s[0:3], 0 offset:396
	buffer_load_dword v202, off, s[0:3], 0 offset:392
	v_fma_f32 v15, v16, v112, -v15
	v_mul_f32_e32 v1, v11, v1
	v_add_f32_e32 v14, v14, v15
	v_fma_f32 v1, v10, v111, -v1
	v_mul_f32_e32 v10, v13, v42
	v_add_f32_e32 v1, v14, v1
	;; [unrolled: 3-line block ×3, first 2 shown]
	v_fma_f32 v6, v6, v117, -v7
	v_add_f32_e32 v1, v1, v6
	v_mul_f32_e32 v6, v9, v44
	v_fma_f32 v6, v8, v116, -v6
	v_mul_f32_e32 v3, v3, v45
	v_add_f32_e32 v1, v1, v6
	v_fma_f32 v2, v2, v115, -v3
	v_add_f32_e32 v1, v1, v2
	v_mul_f32_e32 v2, v5, v46
	v_fma_f32 v2, v4, v123, -v2
	v_add_f32_e32 v1, v1, v2
	v_mul_f32_e32 v2, v27, v204
	;; [unrolled: 3-line block ×29, first 2 shown]
	v_fma_f32 v2, v94, v255, -v2
	s_waitcnt vmcnt(15)
	v_mov_b32_e32 v16, v105
	s_waitcnt lgkmcnt(1)
	v_mul_f32_e32 v107, v96, v126
	v_add_f32_e32 v46, v1, v2
	v_mul_f32_e32 v1, v97, v126
	s_waitcnt lgkmcnt(0)
	v_pk_mul_f32 v[16:17], v[100:101], v[16:17] op_sel_hi:[1,0]
	v_fmac_f32_e32 v107, v97, v125
	v_mul_f32_e32 v109, v98, v128
	v_fma_f32 v106, v96, v125, -v1
	v_mul_f32_e32 v1, v99, v128
	s_waitcnt vmcnt(14)
	v_pk_fma_f32 v[18:19], v[100:101], v[104:105], v[16:17] op_sel:[0,0,1] op_sel_hi:[1,1,0] neg_lo:[0,0,1] neg_hi:[0,0,1]
	v_pk_fma_f32 v[16:17], v[100:101], v[104:105], v[16:17] op_sel:[0,0,1] op_sel_hi:[1,0,0]
	v_fmac_f32_e32 v109, v99, v127
	v_fma_f32 v108, v98, v127, -v1
	v_pk_add_f32 v[14:15], v[46:47], v[106:107]
	s_waitcnt vmcnt(7)
	v_mov_b32_e32 v16, v197
	ds_read_b128 v[2:5], v214 offset:784
	ds_read_b128 v[6:9], v214 offset:800
	;; [unrolled: 1-line block ×3, first 2 shown]
	v_pk_add_f32 v[14:15], v[14:15], v[108:109]
	v_mov_b32_e32 v19, v17
	v_pk_mul_f32 v[16:17], v[102:103], v[16:17] op_sel_hi:[1,0]
	v_pk_add_f32 v[14:15], v[14:15], v[18:19]
	s_waitcnt vmcnt(6)
	v_pk_fma_f32 v[18:19], v[102:103], v[196:197], v[16:17] op_sel:[0,0,1] op_sel_hi:[1,1,0] neg_lo:[0,0,1] neg_hi:[0,0,1]
	v_pk_fma_f32 v[16:17], v[102:103], v[196:197], v[16:17] op_sel:[0,0,1] op_sel_hi:[1,0,0]
	v_mov_b32_e32 v16, v195
	v_mov_b32_e32 v19, v17
	s_waitcnt lgkmcnt(2)
	v_pk_mul_f32 v[16:17], v[2:3], v[16:17] op_sel_hi:[1,0]
	v_pk_add_f32 v[14:15], v[14:15], v[18:19]
	v_pk_fma_f32 v[18:19], v[2:3], v[194:195], v[16:17] op_sel:[0,0,1] op_sel_hi:[1,1,0] neg_lo:[0,0,1] neg_hi:[0,0,1]
	v_pk_fma_f32 v[2:3], v[2:3], v[194:195], v[16:17] op_sel:[0,0,1] op_sel_hi:[1,0,0]
	v_mov_b32_e32 v19, v3
	v_pk_add_f32 v[2:3], v[14:15], v[18:19]
	v_mov_b32_e32 v14, v193
	v_pk_mul_f32 v[14:15], v[4:5], v[14:15] op_sel_hi:[1,0]
	v_pk_fma_f32 v[16:17], v[4:5], v[192:193], v[14:15] op_sel:[0,0,1] op_sel_hi:[1,1,0] neg_lo:[0,0,1] neg_hi:[0,0,1]
	v_pk_fma_f32 v[4:5], v[4:5], v[192:193], v[14:15] op_sel:[0,0,1] op_sel_hi:[1,0,0]
	v_mov_b32_e32 v4, v191
	v_mov_b32_e32 v17, v5
	s_waitcnt lgkmcnt(1)
	v_pk_mul_f32 v[4:5], v[6:7], v[4:5] op_sel_hi:[1,0]
	v_pk_fma_f32 v[14:15], v[6:7], v[190:191], v[4:5] op_sel:[0,0,1] op_sel_hi:[1,1,0] neg_lo:[0,0,1] neg_hi:[0,0,1]
	v_pk_fma_f32 v[4:5], v[6:7], v[190:191], v[4:5] op_sel:[0,0,1] op_sel_hi:[1,0,0]
	s_waitcnt vmcnt(1)
	v_mov_b32_e32 v4, v203
	v_mov_b32_e32 v15, v5
	v_pk_mul_f32 v[4:5], v[8:9], v[4:5] op_sel_hi:[1,0]
	s_waitcnt vmcnt(0)
	v_pk_fma_f32 v[6:7], v[8:9], v[202:203], v[4:5] op_sel:[0,0,1] op_sel_hi:[1,1,0] neg_lo:[0,0,1] neg_hi:[0,0,1]
	v_pk_fma_f32 v[4:5], v[8:9], v[202:203], v[4:5] op_sel:[0,0,1] op_sel_hi:[1,0,0]
	v_pk_add_f32 v[2:3], v[2:3], v[16:17]
	v_mov_b32_e32 v4, v201
	v_pk_add_f32 v[2:3], v[2:3], v[14:15]
	v_mov_b32_e32 v7, v5
	s_waitcnt lgkmcnt(0)
	v_pk_mul_f32 v[4:5], v[10:11], v[4:5] op_sel_hi:[1,0]
	v_pk_add_f32 v[2:3], v[2:3], v[6:7]
	v_pk_fma_f32 v[6:7], v[10:11], v[200:201], v[4:5] op_sel:[0,0,1] op_sel_hi:[1,1,0] neg_lo:[0,0,1] neg_hi:[0,0,1]
	v_pk_fma_f32 v[4:5], v[10:11], v[200:201], v[4:5] op_sel:[0,0,1] op_sel_hi:[1,0,0]
	v_mov_b32_e32 v4, v199
	v_mov_b32_e32 v7, v5
	v_pk_mul_f32 v[4:5], v[12:13], v[4:5] op_sel_hi:[1,0]
	v_pk_add_f32 v[2:3], v[2:3], v[6:7]
	v_pk_fma_f32 v[6:7], v[12:13], v[198:199], v[4:5] op_sel:[0,0,1] op_sel_hi:[1,1,0] neg_lo:[0,0,1] neg_hi:[0,0,1]
	v_pk_fma_f32 v[4:5], v[12:13], v[198:199], v[4:5] op_sel:[0,0,1] op_sel_hi:[1,0,0]
	v_mov_b32_e32 v7, v5
	v_pk_add_f32 v[2:3], v[2:3], v[6:7]
	v_pk_add_f32 v[2:3], v[34:35], v[2:3] neg_lo:[0,1] neg_hi:[0,1]
	buffer_store_dword v3, off, s[0:3], 0 offset:12
	buffer_store_dword v2, off, s[0:3], 0 offset:8
	s_and_saveexec_b64 s[4:5], vcc
	s_cbranch_execz .LBB115_325
; %bb.324:
	buffer_load_dword v0, off, s[0:3], 0
	buffer_load_dword v1, off, s[0:3], 0 offset:4
	v_mov_b32_e32 v2, 0
	buffer_store_dword v2, off, s[0:3], 0
	buffer_store_dword v2, off, s[0:3], 0 offset:4
	s_waitcnt vmcnt(2)
	ds_write_b64 v129, v[0:1]
.LBB115_325:
	s_or_b64 exec, exec, s[4:5]
	s_waitcnt lgkmcnt(0)
	; wave barrier
	s_waitcnt lgkmcnt(0)
	buffer_load_dword v44, off, s[0:3], 0 offset:12
	buffer_load_dword v43, off, s[0:3], 0 offset:20
	;; [unrolled: 1-line block ×30, first 2 shown]
	buffer_load_dword v36, off, s[0:3], 0
	buffer_load_dword v37, off, s[0:3], 0 offset:4
	buffer_load_dword v117, off, s[0:3], 0 offset:128
	;; [unrolled: 1-line block ×17, first 2 shown]
	v_mov_b32_e32 v38, 0
	ds_read2_b64 v[20:23], v38 offset0:53 offset1:54
	ds_read2_b64 v[16:19], v38 offset0:55 offset1:56
	;; [unrolled: 1-line block ×6, first 2 shown]
	buffer_load_dword v216, off, s[0:3], 0 offset:192
	buffer_load_dword v217, off, s[0:3], 0 offset:196
	s_and_b64 vcc, exec, s[16:17]
	s_waitcnt vmcnt(49) lgkmcnt(5)
	v_mul_f32_e32 v24, v20, v44
	s_waitcnt vmcnt(48)
	v_mul_f32_e32 v25, v22, v43
	s_waitcnt vmcnt(47) lgkmcnt(4)
	v_mul_f32_e32 v27, v18, v42
	s_waitcnt vmcnt(46) lgkmcnt(3)
	v_mul_f32_e32 v28, v12, v41
	s_waitcnt vmcnt(45)
	v_mul_f32_e32 v29, v14, v40
	s_waitcnt vmcnt(44) lgkmcnt(2)
	v_mul_f32_e32 v30, v8, v39
	s_waitcnt vmcnt(43)
	v_mul_f32_e32 v26, v16, v45
	s_waitcnt vmcnt(42)
	v_mul_f32_e32 v31, v10, v46
	s_waitcnt vmcnt(41) lgkmcnt(1)
	v_mul_f32_e32 v32, v4, v47
	s_waitcnt vmcnt(40)
	v_mul_f32_e32 v33, v6, v48
	s_waitcnt vmcnt(39) lgkmcnt(0)
	v_mul_f32_e32 v34, v0, v49
	s_waitcnt vmcnt(38)
	v_mul_f32_e32 v35, v2, v50
	s_waitcnt vmcnt(37)
	v_fmac_f32_e32 v26, v17, v56
	s_waitcnt vmcnt(36)
	v_fmac_f32_e32 v25, v23, v59
	;; [unrolled: 2-line block ×3, first 2 shown]
	v_add_f32_e32 v24, 0, v24
	v_add_f32_e32 v24, v24, v25
	;; [unrolled: 1-line block ×3, first 2 shown]
	s_waitcnt vmcnt(31)
	v_fmac_f32_e32 v27, v19, v61
	v_fmac_f32_e32 v28, v13, v58
	v_add_f32_e32 v24, v24, v27
	v_fmac_f32_e32 v29, v15, v55
	v_add_f32_e32 v24, v24, v28
	;; [unrolled: 2-line block ×3, first 2 shown]
	s_waitcnt vmcnt(27)
	v_fmac_f32_e32 v31, v11, v57
	v_add_f32_e32 v24, v24, v30
	v_fmac_f32_e32 v32, v5, v54
	v_add_f32_e32 v24, v24, v31
	;; [unrolled: 2-line block ×4, first 2 shown]
	s_waitcnt vmcnt(22)
	v_fmac_f32_e32 v35, v3, v114
	v_add_f32_e32 v24, v24, v34
	v_add_f32_e32 v32, v24, v35
	ds_read2_b64 v[24:27], v38 offset0:65 offset1:66
	buffer_load_dword v218, off, s[0:3], 0 offset:200
	buffer_load_dword v219, off, s[0:3], 0 offset:204
	ds_read2_b64 v[28:31], v38 offset0:67 offset1:68
	buffer_load_dword v220, off, s[0:3], 0 offset:208
	buffer_load_dword v221, off, s[0:3], 0 offset:212
	;; [unrolled: 1-line block ×12, first 2 shown]
	s_waitcnt vmcnt(35) lgkmcnt(1)
	v_mul_f32_e32 v33, v24, v115
	v_fmac_f32_e32 v33, v25, v113
	buffer_load_dword v232, off, s[0:3], 0 offset:256
	buffer_load_dword v233, off, s[0:3], 0 offset:260
	v_add_f32_e32 v32, v32, v33
	s_waitcnt vmcnt(36)
	v_mul_f32_e32 v33, v26, v116
	v_fmac_f32_e32 v33, v27, v112
	v_add_f32_e32 v32, v32, v33
	s_waitcnt lgkmcnt(0)
	v_mul_f32_e32 v33, v28, v111
	buffer_load_dword v234, off, s[0:3], 0 offset:264
	buffer_load_dword v235, off, s[0:3], 0 offset:268
	v_fmac_f32_e32 v33, v29, v60
	v_add_f32_e32 v62, v32, v33
	ds_read2_b64 v[32:35], v38 offset0:69 offset1:70
	buffer_load_dword v236, off, s[0:3], 0 offset:272
	buffer_load_dword v237, off, s[0:3], 0 offset:276
	;; [unrolled: 1-line block ×4, first 2 shown]
	s_waitcnt vmcnt(38)
	v_mul_f32_e32 v63, v30, v118
	v_fmac_f32_e32 v63, v31, v117
	v_add_f32_e32 v66, v62, v63
	ds_read2_b64 v[62:65], v38 offset0:71 offset1:72
	buffer_load_dword v240, off, s[0:3], 0 offset:288
	buffer_load_dword v241, off, s[0:3], 0 offset:292
	;; [unrolled: 1-line block ×10, first 2 shown]
	s_waitcnt vmcnt(46) lgkmcnt(1)
	v_mul_f32_e32 v67, v32, v120
	v_fmac_f32_e32 v67, v33, v119
	v_add_f32_e32 v66, v66, v67
	s_waitcnt vmcnt(44)
	v_mul_f32_e32 v67, v34, v122
	v_fmac_f32_e32 v67, v35, v121
	v_add_f32_e32 v66, v66, v67
	s_waitcnt vmcnt(42) lgkmcnt(0)
	v_mul_f32_e32 v67, v62, v124
	v_fmac_f32_e32 v67, v63, v123
	v_add_f32_e32 v70, v66, v67
	buffer_load_dword v250, off, s[0:3], 0 offset:328
	buffer_load_dword v251, off, s[0:3], 0 offset:332
	;; [unrolled: 1-line block ×6, first 2 shown]
	ds_read2_b64 v[66:69], v38 offset0:73 offset1:74
	s_waitcnt vmcnt(46)
	v_mul_f32_e32 v71, v64, v126
	v_fmac_f32_e32 v71, v65, v125
	v_add_f32_e32 v74, v70, v71
	ds_read2_b64 v[70:73], v38 offset0:75 offset1:76
	s_waitcnt vmcnt(44) lgkmcnt(1)
	v_mul_f32_e32 v75, v66, v128
	v_fmac_f32_e32 v75, v67, v127
	v_add_f32_e32 v74, v74, v75
	s_waitcnt vmcnt(42)
	v_mul_f32_e32 v75, v68, v194
	v_fmac_f32_e32 v75, v69, v129
	v_add_f32_e32 v74, v74, v75
	s_waitcnt vmcnt(40) lgkmcnt(0)
	v_mul_f32_e32 v75, v70, v198
	v_fmac_f32_e32 v75, v71, v196
	v_add_f32_e32 v78, v74, v75
	ds_read2_b64 v[74:77], v38 offset0:77 offset1:78
	s_waitcnt vmcnt(38)
	v_mul_f32_e32 v79, v72, v217
	v_fmac_f32_e32 v79, v73, v216
	v_add_f32_e32 v82, v78, v79
	ds_read2_b64 v[78:81], v38 offset0:79 offset1:80
	v_mul_f32_e32 v21, v21, v44
	v_fma_f32 v20, v20, v110, -v21
	v_mul_f32_e32 v21, v23, v43
	v_add_f32_e32 v20, 0, v20
	v_fma_f32 v21, v22, v59, -v21
	v_mul_f32_e32 v17, v17, v45
	v_add_f32_e32 v20, v20, v21
	;; [unrolled: 3-line block ×6, first 2 shown]
	v_fma_f32 v8, v8, v53, -v9
	s_waitcnt vmcnt(36) lgkmcnt(1)
	v_mul_f32_e32 v83, v74, v219
	v_fmac_f32_e32 v83, v75, v218
	v_add_f32_e32 v82, v82, v83
	s_waitcnt vmcnt(34)
	v_mul_f32_e32 v83, v76, v221
	v_fmac_f32_e32 v83, v77, v220
	v_add_f32_e32 v82, v82, v83
	s_waitcnt vmcnt(32) lgkmcnt(0)
	v_mul_f32_e32 v83, v78, v223
	v_fmac_f32_e32 v83, v79, v222
	v_add_f32_e32 v86, v82, v83
	ds_read2_b64 v[82:85], v38 offset0:81 offset1:82
	s_waitcnt vmcnt(30)
	v_mul_f32_e32 v87, v80, v225
	v_fmac_f32_e32 v87, v81, v224
	v_add_f32_e32 v90, v86, v87
	ds_read2_b64 v[86:89], v38 offset0:83 offset1:84
	s_waitcnt vmcnt(28) lgkmcnt(1)
	v_mul_f32_e32 v91, v82, v227
	v_fmac_f32_e32 v91, v83, v226
	v_add_f32_e32 v90, v90, v91
	s_waitcnt vmcnt(26)
	v_mul_f32_e32 v91, v84, v229
	v_fmac_f32_e32 v91, v85, v228
	v_add_f32_e32 v90, v90, v91
	s_waitcnt vmcnt(24) lgkmcnt(0)
	v_mul_f32_e32 v91, v86, v231
	v_fmac_f32_e32 v91, v87, v230
	v_add_f32_e32 v94, v90, v91
	ds_read2_b64 v[90:93], v38 offset0:85 offset1:86
	s_waitcnt vmcnt(22)
	v_mul_f32_e32 v95, v88, v233
	v_fmac_f32_e32 v95, v89, v232
	v_add_f32_e32 v98, v94, v95
	ds_read2_b64 v[94:97], v38 offset0:87 offset1:88
	;; [unrolled: 18-line block ×3, first 2 shown]
	s_waitcnt vmcnt(12) lgkmcnt(1)
	v_mul_f32_e32 v107, v98, v243
	v_fmac_f32_e32 v107, v99, v242
	v_add_f32_e32 v106, v106, v107
	s_waitcnt vmcnt(10)
	v_mul_f32_e32 v107, v100, v245
	v_fmac_f32_e32 v107, v101, v244
	v_add_f32_e32 v106, v106, v107
	s_waitcnt vmcnt(8) lgkmcnt(0)
	v_mul_f32_e32 v107, v102, v247
	v_fmac_f32_e32 v107, v103, v246
	s_waitcnt vmcnt(6)
	v_mul_f32_e32 v191, v104, v249
	v_add_f32_e32 v190, v106, v107
	v_fmac_f32_e32 v191, v105, v248
	ds_read2_b64 v[106:109], v38 offset0:93 offset1:94
	v_add_f32_e32 v195, v190, v191
	ds_read2_b64 v[190:193], v38 offset0:95 offset1:96
	buffer_load_dword v201, off, s[0:3], 0 offset:380
	buffer_load_dword v200, off, s[0:3], 0 offset:376
	;; [unrolled: 1-line block ×16, first 2 shown]
	v_mul_f32_e32 v9, v11, v46
	v_add_f32_e32 v8, v12, v8
	v_fma_f32 v9, v10, v57, -v9
	v_mul_f32_e32 v5, v5, v47
	v_add_f32_e32 v8, v8, v9
	v_fma_f32 v4, v4, v54, -v5
	v_mul_f32_e32 v5, v7, v48
	v_add_f32_e32 v4, v8, v4
	v_fma_f32 v5, v6, v52, -v5
	v_mul_f32_e32 v1, v1, v49
	v_add_f32_e32 v4, v4, v5
	v_fma_f32 v0, v0, v51, -v1
	v_mul_f32_e32 v1, v3, v50
	v_add_f32_e32 v0, v4, v0
	v_fma_f32 v1, v2, v114, -v1
	v_add_f32_e32 v0, v0, v1
	v_mul_f32_e32 v1, v25, v115
	v_fma_f32 v1, v24, v113, -v1
	v_add_f32_e32 v0, v0, v1
	v_mul_f32_e32 v1, v27, v116
	v_fma_f32 v1, v26, v112, -v1
	;; [unrolled: 3-line block ×28, first 2 shown]
	v_add_f32_e32 v0, v0, v1
	s_waitcnt vmcnt(20) lgkmcnt(1)
	v_mul_f32_e32 v1, v107, v251
	v_mul_f32_e32 v197, v106, v251
	v_fma_f32 v1, v106, v250, -v1
	v_fmac_f32_e32 v197, v107, v250
	v_add_f32_e32 v194, v0, v1
	s_waitcnt vmcnt(18)
	v_mul_f32_e32 v0, v109, v253
	s_waitcnt vmcnt(9)
	v_mov_b32_e32 v16, v207
	v_add_f32_e32 v195, v195, v197
	v_mul_f32_e32 v197, v108, v253
	v_fma_f32 v196, v108, v252, -v0
	s_waitcnt lgkmcnt(0)
	v_mul_f32_e32 v0, v191, v255
	v_pk_mul_f32 v[16:17], v[192:193], v[16:17] op_sel_hi:[1,0]
	v_fmac_f32_e32 v197, v109, v252
	v_mul_f32_e32 v199, v190, v255
	v_fma_f32 v198, v190, v254, -v0
	ds_read2_b64 v[0:3], v38 offset0:97 offset1:98
	ds_read2_b64 v[4:7], v38 offset0:99 offset1:100
	ds_read2_b64 v[8:11], v38 offset0:101 offset1:102
	ds_read_b64 v[12:13], v38 offset:824
	s_waitcnt vmcnt(8)
	v_pk_fma_f32 v[18:19], v[192:193], v[206:207], v[16:17] op_sel:[0,0,1] op_sel_hi:[1,1,0] neg_lo:[0,0,1] neg_hi:[0,0,1]
	v_pk_fma_f32 v[16:17], v[192:193], v[206:207], v[16:17] op_sel:[0,0,1] op_sel_hi:[1,0,0]
	v_fmac_f32_e32 v199, v191, v254
	v_pk_add_f32 v[14:15], v[194:195], v[196:197]
	v_mov_b32_e32 v16, v205
	v_pk_add_f32 v[14:15], v[14:15], v[198:199]
	v_mov_b32_e32 v19, v17
	s_waitcnt lgkmcnt(3)
	v_pk_mul_f32 v[16:17], v[0:1], v[16:17] op_sel_hi:[1,0]
	v_pk_add_f32 v[14:15], v[14:15], v[18:19]
	v_pk_fma_f32 v[18:19], v[0:1], v[204:205], v[16:17] op_sel:[0,0,1] op_sel_hi:[1,1,0] neg_lo:[0,0,1] neg_hi:[0,0,1]
	v_pk_fma_f32 v[0:1], v[0:1], v[204:205], v[16:17] op_sel:[0,0,1] op_sel_hi:[1,0,0]
	v_mov_b32_e32 v19, v1
	v_pk_add_f32 v[0:1], v[14:15], v[18:19]
	v_mov_b32_e32 v14, v203
	v_pk_mul_f32 v[14:15], v[2:3], v[14:15] op_sel_hi:[1,0]
	v_pk_fma_f32 v[16:17], v[2:3], v[202:203], v[14:15] op_sel:[0,0,1] op_sel_hi:[1,1,0] neg_lo:[0,0,1] neg_hi:[0,0,1]
	v_pk_fma_f32 v[2:3], v[2:3], v[202:203], v[14:15] op_sel:[0,0,1] op_sel_hi:[1,0,0]
	v_mov_b32_e32 v2, v201
	v_mov_b32_e32 v17, v3
	s_waitcnt lgkmcnt(2)
	v_pk_mul_f32 v[2:3], v[4:5], v[2:3] op_sel_hi:[1,0]
	v_pk_fma_f32 v[14:15], v[4:5], v[200:201], v[2:3] op_sel:[0,0,1] op_sel_hi:[1,1,0] neg_lo:[0,0,1] neg_hi:[0,0,1]
	v_pk_fma_f32 v[2:3], v[4:5], v[200:201], v[2:3] op_sel:[0,0,1] op_sel_hi:[1,0,0]
	s_waitcnt vmcnt(1)
	v_mov_b32_e32 v2, v215
	v_mov_b32_e32 v15, v3
	v_pk_mul_f32 v[2:3], v[6:7], v[2:3] op_sel_hi:[1,0]
	s_waitcnt vmcnt(0)
	v_pk_fma_f32 v[4:5], v[6:7], v[214:215], v[2:3] op_sel:[0,0,1] op_sel_hi:[1,1,0] neg_lo:[0,0,1] neg_hi:[0,0,1]
	v_pk_fma_f32 v[2:3], v[6:7], v[214:215], v[2:3] op_sel:[0,0,1] op_sel_hi:[1,0,0]
	v_pk_add_f32 v[0:1], v[0:1], v[16:17]
	v_mov_b32_e32 v2, v213
	v_pk_add_f32 v[0:1], v[0:1], v[14:15]
	v_mov_b32_e32 v5, v3
	s_waitcnt lgkmcnt(1)
	v_pk_mul_f32 v[2:3], v[8:9], v[2:3] op_sel_hi:[1,0]
	v_pk_add_f32 v[0:1], v[0:1], v[4:5]
	v_pk_fma_f32 v[4:5], v[8:9], v[212:213], v[2:3] op_sel:[0,0,1] op_sel_hi:[1,1,0] neg_lo:[0,0,1] neg_hi:[0,0,1]
	v_pk_fma_f32 v[2:3], v[8:9], v[212:213], v[2:3] op_sel:[0,0,1] op_sel_hi:[1,0,0]
	v_mov_b32_e32 v2, v211
	v_mov_b32_e32 v5, v3
	v_pk_mul_f32 v[2:3], v[10:11], v[2:3] op_sel_hi:[1,0]
	v_pk_add_f32 v[0:1], v[0:1], v[4:5]
	v_pk_fma_f32 v[4:5], v[10:11], v[210:211], v[2:3] op_sel:[0,0,1] op_sel_hi:[1,1,0] neg_lo:[0,0,1] neg_hi:[0,0,1]
	v_pk_fma_f32 v[2:3], v[10:11], v[210:211], v[2:3] op_sel:[0,0,1] op_sel_hi:[1,0,0]
	v_mov_b32_e32 v2, v209
	v_mov_b32_e32 v5, v3
	s_waitcnt lgkmcnt(0)
	v_pk_mul_f32 v[2:3], v[12:13], v[2:3] op_sel_hi:[1,0]
	v_pk_add_f32 v[0:1], v[0:1], v[4:5]
	v_pk_fma_f32 v[4:5], v[12:13], v[208:209], v[2:3] op_sel:[0,0,1] op_sel_hi:[1,1,0] neg_lo:[0,0,1] neg_hi:[0,0,1]
	v_pk_fma_f32 v[2:3], v[12:13], v[208:209], v[2:3] op_sel:[0,0,1] op_sel_hi:[1,0,0]
	v_mov_b32_e32 v5, v3
	v_pk_add_f32 v[0:1], v[0:1], v[4:5]
	v_pk_add_f32 v[0:1], v[36:37], v[0:1] neg_lo:[0,1] neg_hi:[0,1]
	buffer_store_dword v1, off, s[0:3], 0 offset:4
	buffer_store_dword v0, off, s[0:3], 0
	s_cbranch_vccz .LBB115_429
; %bb.326:
	v_pk_mov_b32 v[0:1], s[10:11], s[10:11] op_sel:[0,1]
	flat_load_dword v0, v[0:1] offset:200
	s_waitcnt vmcnt(0) lgkmcnt(0)
	v_add_u32_e32 v0, -1, v0
	v_cmp_ne_u32_e32 vcc, 50, v0
	s_and_saveexec_b64 s[4:5], vcc
	s_cbranch_execz .LBB115_328
; %bb.327:
	v_mov_b32_e32 v1, 0
	v_lshl_add_u32 v0, v0, 3, v1
	buffer_load_dword v1, v0, s[0:3], 0 offen
	buffer_load_dword v2, v0, s[0:3], 0 offen offset:4
	buffer_load_dword v3, off, s[0:3], 0 offset:404
	buffer_load_dword v4, off, s[0:3], 0 offset:400
	s_waitcnt vmcnt(3)
	buffer_store_dword v1, off, s[0:3], 0 offset:400
	s_waitcnt vmcnt(3)
	buffer_store_dword v2, off, s[0:3], 0 offset:404
	s_waitcnt vmcnt(3)
	buffer_store_dword v3, v0, s[0:3], 0 offen offset:4
	s_waitcnt vmcnt(3)
	buffer_store_dword v4, v0, s[0:3], 0 offen
.LBB115_328:
	s_or_b64 exec, exec, s[4:5]
	v_pk_mov_b32 v[0:1], s[10:11], s[10:11] op_sel:[0,1]
	flat_load_dword v0, v[0:1] offset:196
	s_waitcnt vmcnt(0) lgkmcnt(0)
	v_add_u32_e32 v0, -1, v0
	v_cmp_ne_u32_e32 vcc, 49, v0
	s_and_saveexec_b64 s[4:5], vcc
	s_cbranch_execz .LBB115_330
; %bb.329:
	v_mov_b32_e32 v1, 0
	v_lshl_add_u32 v0, v0, 3, v1
	buffer_load_dword v1, v0, s[0:3], 0 offen
	buffer_load_dword v2, v0, s[0:3], 0 offen offset:4
	buffer_load_dword v3, off, s[0:3], 0 offset:392
	buffer_load_dword v4, off, s[0:3], 0 offset:396
	s_waitcnt vmcnt(3)
	buffer_store_dword v1, off, s[0:3], 0 offset:392
	s_waitcnt vmcnt(3)
	buffer_store_dword v2, off, s[0:3], 0 offset:396
	s_waitcnt vmcnt(3)
	buffer_store_dword v3, v0, s[0:3], 0 offen
	s_waitcnt vmcnt(3)
	buffer_store_dword v4, v0, s[0:3], 0 offen offset:4
.LBB115_330:
	s_or_b64 exec, exec, s[4:5]
	v_pk_mov_b32 v[0:1], s[10:11], s[10:11] op_sel:[0,1]
	flat_load_dword v0, v[0:1] offset:192
	s_waitcnt vmcnt(0) lgkmcnt(0)
	v_add_u32_e32 v0, -1, v0
	v_cmp_ne_u32_e32 vcc, 48, v0
	s_and_saveexec_b64 s[4:5], vcc
	s_cbranch_execz .LBB115_332
; %bb.331:
	v_mov_b32_e32 v1, 0
	v_lshl_add_u32 v0, v0, 3, v1
	buffer_load_dword v1, v0, s[0:3], 0 offen
	buffer_load_dword v2, v0, s[0:3], 0 offen offset:4
	buffer_load_dword v3, off, s[0:3], 0 offset:388
	buffer_load_dword v4, off, s[0:3], 0 offset:384
	s_waitcnt vmcnt(3)
	buffer_store_dword v1, off, s[0:3], 0 offset:384
	s_waitcnt vmcnt(3)
	buffer_store_dword v2, off, s[0:3], 0 offset:388
	s_waitcnt vmcnt(3)
	buffer_store_dword v3, v0, s[0:3], 0 offen offset:4
	s_waitcnt vmcnt(3)
	buffer_store_dword v4, v0, s[0:3], 0 offen
.LBB115_332:
	s_or_b64 exec, exec, s[4:5]
	v_pk_mov_b32 v[0:1], s[10:11], s[10:11] op_sel:[0,1]
	flat_load_dword v0, v[0:1] offset:188
	s_waitcnt vmcnt(0) lgkmcnt(0)
	v_add_u32_e32 v0, -1, v0
	v_cmp_ne_u32_e32 vcc, 47, v0
	s_and_saveexec_b64 s[4:5], vcc
	s_cbranch_execz .LBB115_334
; %bb.333:
	v_mov_b32_e32 v1, 0
	v_lshl_add_u32 v0, v0, 3, v1
	buffer_load_dword v1, v0, s[0:3], 0 offen
	buffer_load_dword v2, v0, s[0:3], 0 offen offset:4
	buffer_load_dword v3, off, s[0:3], 0 offset:376
	buffer_load_dword v4, off, s[0:3], 0 offset:380
	s_waitcnt vmcnt(3)
	buffer_store_dword v1, off, s[0:3], 0 offset:376
	s_waitcnt vmcnt(3)
	buffer_store_dword v2, off, s[0:3], 0 offset:380
	s_waitcnt vmcnt(3)
	buffer_store_dword v3, v0, s[0:3], 0 offen
	s_waitcnt vmcnt(3)
	buffer_store_dword v4, v0, s[0:3], 0 offen offset:4
.LBB115_334:
	s_or_b64 exec, exec, s[4:5]
	;; [unrolled: 48-line block ×25, first 2 shown]
	v_pk_mov_b32 v[0:1], s[10:11], s[10:11] op_sel:[0,1]
	flat_load_dword v2, v[0:1]
	s_nop 0
	buffer_load_dword v0, off, s[0:3], 0
	buffer_load_dword v1, off, s[0:3], 0 offset:4
	s_waitcnt vmcnt(0) lgkmcnt(0)
	v_add_u32_e32 v2, -1, v2
	v_cmp_ne_u32_e32 vcc, 0, v2
	s_and_saveexec_b64 s[4:5], vcc
	s_cbranch_execz .LBB115_428
; %bb.427:
	v_mov_b32_e32 v3, 0
	v_lshl_add_u32 v2, v2, 3, v3
	buffer_load_dword v3, v2, s[0:3], 0 offen offset:4
	buffer_load_dword v4, v2, s[0:3], 0 offen
	s_waitcnt vmcnt(1)
	buffer_store_dword v3, off, s[0:3], 0 offset:4
	s_waitcnt vmcnt(1)
	buffer_store_dword v4, off, s[0:3], 0
	buffer_store_dword v1, v2, s[0:3], 0 offen offset:4
	buffer_store_dword v0, v2, s[0:3], 0 offen
	buffer_load_dword v0, off, s[0:3], 0
	s_nop 0
	buffer_load_dword v1, off, s[0:3], 0 offset:4
.LBB115_428:
	s_or_b64 exec, exec, s[4:5]
.LBB115_429:
	buffer_load_dword v2, off, s[0:3], 0 offset:8
	buffer_load_dword v3, off, s[0:3], 0 offset:12
	buffer_load_dword v4, off, s[0:3], 0 offset:16
	buffer_load_dword v5, off, s[0:3], 0 offset:20
	buffer_load_dword v6, off, s[0:3], 0 offset:24
	buffer_load_dword v7, off, s[0:3], 0 offset:28
	buffer_load_dword v8, off, s[0:3], 0 offset:32
	buffer_load_dword v9, off, s[0:3], 0 offset:36
	buffer_load_dword v10, off, s[0:3], 0 offset:40
	buffer_load_dword v11, off, s[0:3], 0 offset:44
	buffer_load_dword v12, off, s[0:3], 0 offset:48
	buffer_load_dword v13, off, s[0:3], 0 offset:52
	buffer_load_dword v14, off, s[0:3], 0 offset:56
	buffer_load_dword v15, off, s[0:3], 0 offset:60
	buffer_load_dword v16, off, s[0:3], 0 offset:64
	buffer_load_dword v17, off, s[0:3], 0 offset:68
	buffer_load_dword v18, off, s[0:3], 0 offset:72
	buffer_load_dword v19, off, s[0:3], 0 offset:76
	buffer_load_dword v20, off, s[0:3], 0 offset:80
	buffer_load_dword v21, off, s[0:3], 0 offset:84
	buffer_load_dword v22, off, s[0:3], 0 offset:88
	buffer_load_dword v23, off, s[0:3], 0 offset:92
	buffer_load_dword v24, off, s[0:3], 0 offset:96
	buffer_load_dword v25, off, s[0:3], 0 offset:100
	buffer_load_dword v26, off, s[0:3], 0 offset:104
	buffer_load_dword v27, off, s[0:3], 0 offset:108
	buffer_load_dword v28, off, s[0:3], 0 offset:112
	buffer_load_dword v29, off, s[0:3], 0 offset:116
	buffer_load_dword v30, off, s[0:3], 0 offset:120
	buffer_load_dword v31, off, s[0:3], 0 offset:124
	buffer_load_dword v32, off, s[0:3], 0 offset:128
	buffer_load_dword v33, off, s[0:3], 0 offset:132
	buffer_load_dword v34, off, s[0:3], 0 offset:136
	buffer_load_dword v35, off, s[0:3], 0 offset:140
	buffer_load_dword v36, off, s[0:3], 0 offset:144
	buffer_load_dword v37, off, s[0:3], 0 offset:148
	buffer_load_dword v38, off, s[0:3], 0 offset:152
	buffer_load_dword v39, off, s[0:3], 0 offset:156
	buffer_load_dword v40, off, s[0:3], 0 offset:160
	buffer_load_dword v41, off, s[0:3], 0 offset:164
	buffer_load_dword v42, off, s[0:3], 0 offset:168
	buffer_load_dword v43, off, s[0:3], 0 offset:172
	buffer_load_dword v44, off, s[0:3], 0 offset:176
	buffer_load_dword v45, off, s[0:3], 0 offset:180
	buffer_load_dword v46, off, s[0:3], 0 offset:184
	buffer_load_dword v47, off, s[0:3], 0 offset:188
	buffer_load_dword v48, off, s[0:3], 0 offset:192
	buffer_load_dword v49, off, s[0:3], 0 offset:196
	buffer_load_dword v50, off, s[0:3], 0 offset:200
	buffer_load_dword v51, off, s[0:3], 0 offset:204
	buffer_load_dword v52, off, s[0:3], 0 offset:208
	buffer_load_dword v53, off, s[0:3], 0 offset:212
	buffer_load_dword v54, off, s[0:3], 0 offset:216
	buffer_load_dword v55, off, s[0:3], 0 offset:220
	buffer_load_dword v56, off, s[0:3], 0 offset:224
	buffer_load_dword v57, off, s[0:3], 0 offset:228
	buffer_load_dword v58, off, s[0:3], 0 offset:232
	buffer_load_dword v59, off, s[0:3], 0 offset:236
	buffer_load_dword v60, off, s[0:3], 0 offset:240
	buffer_load_dword v61, off, s[0:3], 0 offset:244
	buffer_load_dword v62, off, s[0:3], 0 offset:248
	buffer_load_dword v63, off, s[0:3], 0 offset:252
	buffer_load_dword v64, off, s[0:3], 0 offset:256
	buffer_load_dword v65, off, s[0:3], 0 offset:260
	buffer_load_dword v66, off, s[0:3], 0 offset:264
	buffer_load_dword v67, off, s[0:3], 0 offset:268
	buffer_load_dword v68, off, s[0:3], 0 offset:272
	buffer_load_dword v69, off, s[0:3], 0 offset:276
	buffer_load_dword v70, off, s[0:3], 0 offset:280
	buffer_load_dword v71, off, s[0:3], 0 offset:284
	buffer_load_dword v72, off, s[0:3], 0 offset:288
	buffer_load_dword v73, off, s[0:3], 0 offset:292
	buffer_load_dword v74, off, s[0:3], 0 offset:296
	buffer_load_dword v75, off, s[0:3], 0 offset:300
	buffer_load_dword v76, off, s[0:3], 0 offset:304
	buffer_load_dword v77, off, s[0:3], 0 offset:308
	buffer_load_dword v78, off, s[0:3], 0 offset:312
	buffer_load_dword v79, off, s[0:3], 0 offset:316
	buffer_load_dword v80, off, s[0:3], 0 offset:320
	buffer_load_dword v81, off, s[0:3], 0 offset:324
	buffer_load_dword v82, off, s[0:3], 0 offset:328
	buffer_load_dword v83, off, s[0:3], 0 offset:332
	buffer_load_dword v84, off, s[0:3], 0 offset:336
	buffer_load_dword v85, off, s[0:3], 0 offset:340
	buffer_load_dword v86, off, s[0:3], 0 offset:344
	buffer_load_dword v87, off, s[0:3], 0 offset:348
	buffer_load_dword v88, off, s[0:3], 0 offset:352
	buffer_load_dword v89, off, s[0:3], 0 offset:356
	buffer_load_dword v90, off, s[0:3], 0 offset:360
	buffer_load_dword v91, off, s[0:3], 0 offset:364
	buffer_load_dword v92, off, s[0:3], 0 offset:368
	buffer_load_dword v93, off, s[0:3], 0 offset:372
	buffer_load_dword v94, off, s[0:3], 0 offset:376
	buffer_load_dword v95, off, s[0:3], 0 offset:380
	buffer_load_dword v96, off, s[0:3], 0 offset:384
	buffer_load_dword v97, off, s[0:3], 0 offset:388
	buffer_load_dword v98, off, s[0:3], 0 offset:392
	buffer_load_dword v99, off, s[0:3], 0 offset:396
	buffer_load_dword v100, off, s[0:3], 0 offset:400
	buffer_load_dword v101, off, s[0:3], 0 offset:404
	buffer_load_dword v102, off, s[0:3], 0 offset:408
	buffer_load_dword v103, off, s[0:3], 0 offset:412
	s_waitcnt vmcnt(62)
	global_store_dwordx2 v[180:181], v[0:1], off
	global_store_dwordx2 v[182:183], v[2:3], off
	v_accvgpr_read_b32 v0, a0
	v_accvgpr_read_b32 v1, a1
	global_store_dwordx2 v[0:1], v[4:5], off
	v_accvgpr_read_b32 v0, a2
	v_accvgpr_read_b32 v1, a3
	;; [unrolled: 3-line block ×20, first 2 shown]
	s_waitcnt vmcnt(62)
	global_store_dwordx2 v[0:1], v[42:43], off
	v_accvgpr_read_b32 v0, a40
	v_accvgpr_read_b32 v1, a41
	global_store_dwordx2 v[0:1], v[44:45], off
	v_accvgpr_read_b32 v0, a42
	v_accvgpr_read_b32 v1, a43
	global_store_dwordx2 v[0:1], v[46:47], off
	global_store_dwordx2 v[130:131], v[48:49], off
	;; [unrolled: 1-line block ×8, first 2 shown]
	s_waitcnt vmcnt(62)
	global_store_dwordx2 v[144:145], v[62:63], off
	global_store_dwordx2 v[146:147], v[64:65], off
	;; [unrolled: 1-line block ×5, first 2 shown]
	s_waitcnt vmcnt(62)
	global_store_dwordx2 v[154:155], v[72:73], off
	global_store_dwordx2 v[156:157], v[74:75], off
	;; [unrolled: 1-line block ×3, first 2 shown]
	s_waitcnt vmcnt(62)
	global_store_dwordx2 v[160:161], v[78:79], off
	s_waitcnt vmcnt(62)
	global_store_dwordx2 v[162:163], v[80:81], off
	;; [unrolled: 2-line block ×13, first 2 shown]
	s_endpgm
	.section	.rodata,"a",@progbits
	.p2align	6, 0x0
	.amdhsa_kernel _ZN9rocsolver6v33100L18getri_kernel_smallILi52E19rocblas_complex_numIfEPKPS3_EEvT1_iilPiilS8_bb
		.amdhsa_group_segment_fixed_size 836
		.amdhsa_private_segment_fixed_size 432
		.amdhsa_kernarg_size 60
		.amdhsa_user_sgpr_count 8
		.amdhsa_user_sgpr_private_segment_buffer 1
		.amdhsa_user_sgpr_dispatch_ptr 0
		.amdhsa_user_sgpr_queue_ptr 0
		.amdhsa_user_sgpr_kernarg_segment_ptr 1
		.amdhsa_user_sgpr_dispatch_id 0
		.amdhsa_user_sgpr_flat_scratch_init 1
		.amdhsa_user_sgpr_kernarg_preload_length 0
		.amdhsa_user_sgpr_kernarg_preload_offset 0
		.amdhsa_user_sgpr_private_segment_size 0
		.amdhsa_uses_dynamic_stack 0
		.amdhsa_system_sgpr_private_segment_wavefront_offset 1
		.amdhsa_system_sgpr_workgroup_id_x 1
		.amdhsa_system_sgpr_workgroup_id_y 0
		.amdhsa_system_sgpr_workgroup_id_z 0
		.amdhsa_system_sgpr_workgroup_info 0
		.amdhsa_system_vgpr_workitem_id 0
		.amdhsa_next_free_vgpr 300
		.amdhsa_next_free_sgpr 22
		.amdhsa_accum_offset 256
		.amdhsa_reserve_vcc 1
		.amdhsa_reserve_flat_scratch 1
		.amdhsa_float_round_mode_32 0
		.amdhsa_float_round_mode_16_64 0
		.amdhsa_float_denorm_mode_32 3
		.amdhsa_float_denorm_mode_16_64 3
		.amdhsa_dx10_clamp 1
		.amdhsa_ieee_mode 1
		.amdhsa_fp16_overflow 0
		.amdhsa_tg_split 0
		.amdhsa_exception_fp_ieee_invalid_op 0
		.amdhsa_exception_fp_denorm_src 0
		.amdhsa_exception_fp_ieee_div_zero 0
		.amdhsa_exception_fp_ieee_overflow 0
		.amdhsa_exception_fp_ieee_underflow 0
		.amdhsa_exception_fp_ieee_inexact 0
		.amdhsa_exception_int_div_zero 0
	.end_amdhsa_kernel
	.section	.text._ZN9rocsolver6v33100L18getri_kernel_smallILi52E19rocblas_complex_numIfEPKPS3_EEvT1_iilPiilS8_bb,"axG",@progbits,_ZN9rocsolver6v33100L18getri_kernel_smallILi52E19rocblas_complex_numIfEPKPS3_EEvT1_iilPiilS8_bb,comdat
.Lfunc_end115:
	.size	_ZN9rocsolver6v33100L18getri_kernel_smallILi52E19rocblas_complex_numIfEPKPS3_EEvT1_iilPiilS8_bb, .Lfunc_end115-_ZN9rocsolver6v33100L18getri_kernel_smallILi52E19rocblas_complex_numIfEPKPS3_EEvT1_iilPiilS8_bb
                                        ; -- End function
	.section	.AMDGPU.csdata,"",@progbits
; Kernel info:
; codeLenInByte = 105544
; NumSgprs: 28
; NumVgprs: 256
; NumAgprs: 44
; TotalNumVgprs: 300
; ScratchSize: 432
; MemoryBound: 0
; FloatMode: 240
; IeeeMode: 1
; LDSByteSize: 836 bytes/workgroup (compile time only)
; SGPRBlocks: 3
; VGPRBlocks: 37
; NumSGPRsForWavesPerEU: 28
; NumVGPRsForWavesPerEU: 300
; AccumOffset: 256
; Occupancy: 1
; WaveLimiterHint : 1
; COMPUTE_PGM_RSRC2:SCRATCH_EN: 1
; COMPUTE_PGM_RSRC2:USER_SGPR: 8
; COMPUTE_PGM_RSRC2:TRAP_HANDLER: 0
; COMPUTE_PGM_RSRC2:TGID_X_EN: 1
; COMPUTE_PGM_RSRC2:TGID_Y_EN: 0
; COMPUTE_PGM_RSRC2:TGID_Z_EN: 0
; COMPUTE_PGM_RSRC2:TIDIG_COMP_CNT: 0
; COMPUTE_PGM_RSRC3_GFX90A:ACCUM_OFFSET: 63
; COMPUTE_PGM_RSRC3_GFX90A:TG_SPLIT: 0
	.section	.text._ZN9rocsolver6v33100L18getri_kernel_smallILi53E19rocblas_complex_numIfEPKPS3_EEvT1_iilPiilS8_bb,"axG",@progbits,_ZN9rocsolver6v33100L18getri_kernel_smallILi53E19rocblas_complex_numIfEPKPS3_EEvT1_iilPiilS8_bb,comdat
	.globl	_ZN9rocsolver6v33100L18getri_kernel_smallILi53E19rocblas_complex_numIfEPKPS3_EEvT1_iilPiilS8_bb ; -- Begin function _ZN9rocsolver6v33100L18getri_kernel_smallILi53E19rocblas_complex_numIfEPKPS3_EEvT1_iilPiilS8_bb
	.p2align	8
	.type	_ZN9rocsolver6v33100L18getri_kernel_smallILi53E19rocblas_complex_numIfEPKPS3_EEvT1_iilPiilS8_bb,@function
_ZN9rocsolver6v33100L18getri_kernel_smallILi53E19rocblas_complex_numIfEPKPS3_EEvT1_iilPiilS8_bb: ; @_ZN9rocsolver6v33100L18getri_kernel_smallILi53E19rocblas_complex_numIfEPKPS3_EEvT1_iilPiilS8_bb
; %bb.0:
	s_add_u32 flat_scratch_lo, s6, s9
	s_addc_u32 flat_scratch_hi, s7, 0
	s_add_u32 s0, s0, s9
	s_addc_u32 s1, s1, 0
	v_cmp_gt_u32_e32 vcc, 53, v0
	s_and_saveexec_b64 s[6:7], vcc
	s_cbranch_execz .LBB116_226
; %bb.1:
	s_load_dword s20, s[4:5], 0x38
	s_load_dwordx2 s[6:7], s[4:5], 0x0
	s_load_dwordx4 s[12:15], s[4:5], 0x28
	s_waitcnt lgkmcnt(0)
	s_bitcmp1_b32 s20, 8
	s_cselect_b64 s[16:17], -1, 0
	s_ashr_i32 s9, s8, 31
	s_lshl_b64 s[10:11], s[8:9], 3
	s_add_u32 s6, s6, s10
	s_addc_u32 s7, s7, s11
	s_load_dwordx2 s[18:19], s[6:7], 0x0
	s_bfe_u32 s6, s20, 0x10008
	s_cmp_eq_u32 s6, 0
                                        ; implicit-def: $sgpr10_sgpr11
	s_cbranch_scc1 .LBB116_3
; %bb.2:
	s_load_dword s6, s[4:5], 0x20
	s_load_dwordx2 s[10:11], s[4:5], 0x18
	s_mul_i32 s7, s8, s13
	s_mul_hi_u32 s13, s8, s12
	s_add_i32 s13, s13, s7
	s_mul_i32 s21, s9, s12
	s_add_i32 s13, s13, s21
	s_mul_i32 s12, s8, s12
	s_waitcnt lgkmcnt(0)
	s_ashr_i32 s7, s6, 31
	s_lshl_b64 s[12:13], s[12:13], 2
	s_add_u32 s10, s10, s12
	s_addc_u32 s11, s11, s13
	s_lshl_b64 s[6:7], s[6:7], 2
	s_add_u32 s10, s10, s6
	s_addc_u32 s11, s11, s7
.LBB116_3:
	s_load_dwordx2 s[6:7], s[4:5], 0x8
	v_lshlrev_b32_e32 v6, 3, v0
	s_waitcnt lgkmcnt(0)
	s_ashr_i32 s5, s6, 31
	s_mov_b32 s4, s6
	s_lshl_b64 s[4:5], s[4:5], 3
	s_add_u32 s4, s18, s4
	s_addc_u32 s5, s19, s5
	s_add_i32 s6, s7, s7
	v_add_u32_e32 v2, s6, v0
	v_ashrrev_i32_e32 v3, 31, v2
	v_lshlrev_b64 v[4:5], 3, v[2:3]
	v_add_u32_e32 v2, s7, v2
	v_mov_b32_e32 v1, s5
	v_add_co_u32_e32 v12, vcc, s4, v4
	v_ashrrev_i32_e32 v3, 31, v2
	v_addc_co_u32_e32 v13, vcc, v1, v5, vcc
	v_lshlrev_b64 v[4:5], 3, v[2:3]
	v_add_u32_e32 v2, s7, v2
	v_add_co_u32_e32 v14, vcc, s4, v4
	v_ashrrev_i32_e32 v3, 31, v2
	v_addc_co_u32_e32 v15, vcc, v1, v5, vcc
	v_lshlrev_b64 v[4:5], 3, v[2:3]
	v_add_u32_e32 v2, s7, v2
	;; [unrolled: 5-line block ×42, first 2 shown]
	v_add_co_u32_e32 v170, vcc, s4, v4
	v_ashrrev_i32_e32 v3, 31, v2
	v_addc_co_u32_e32 v171, vcc, v1, v5, vcc
	v_lshlrev_b64 v[4:5], 3, v[2:3]
	v_add_co_u32_e32 v172, vcc, s4, v4
	v_add_u32_e32 v2, s7, v2
	v_addc_co_u32_e32 v173, vcc, v1, v5, vcc
	v_ashrrev_i32_e32 v3, 31, v2
	v_lshlrev_b64 v[4:5], 3, v[2:3]
	global_load_dwordx2 v[8:9], v6, s[4:5]
	v_mov_b32_e32 v3, s5
	v_add_co_u32_e32 v180, vcc, s4, v6
	s_ashr_i32 s13, s7, 31
	s_mov_b32 s12, s7
	v_addc_co_u32_e32 v181, vcc, 0, v3, vcc
	s_lshl_b64 s[12:13], s[12:13], 3
	v_mov_b32_e32 v3, s13
	v_add_co_u32_e32 v184, vcc, s12, v180
	v_addc_co_u32_e32 v185, vcc, v181, v3, vcc
	global_load_dwordx2 v[10:11], v[184:185], off
	v_add_co_u32_e32 v174, vcc, s4, v4
	v_addc_co_u32_e32 v175, vcc, v1, v5, vcc
	global_load_dwordx2 v[4:5], v[12:13], off
	v_accvgpr_write_b32 a2, v14
	v_add_u32_e32 v2, s7, v2
	v_accvgpr_write_b32 a3, v15
	global_load_dwordx2 v[14:15], v[14:15], off
	v_ashrrev_i32_e32 v3, 31, v2
	v_accvgpr_write_b32 a0, v12
	v_accvgpr_write_b32 a8, v20
	;; [unrolled: 1-line block ×4, first 2 shown]
	global_load_dwordx2 v[20:21], v[20:21], off
	v_lshlrev_b64 v[12:13], 3, v[2:3]
	v_add_co_u32_e32 v176, vcc, s4, v12
	v_addc_co_u32_e32 v177, vcc, v1, v13, vcc
	global_load_dwordx2 v[12:13], v[16:17], off
	v_accvgpr_write_b32 a4, v16
	v_accvgpr_write_b32 a12, v24
	;; [unrolled: 1-line block ×5, first 2 shown]
	global_load_dwordx2 v[24:25], v[24:25], off
	v_accvgpr_write_b32 a27, v39
	global_load_dwordx2 v[38:39], v[38:39], off
	v_add_u32_e32 v2, s7, v2
	global_load_dwordx2 v[16:17], v[18:19], off
	v_ashrrev_i32_e32 v3, 31, v2
	v_accvgpr_write_b32 a6, v18
	v_accvgpr_write_b32 a14, v26
	;; [unrolled: 1-line block ×5, first 2 shown]
	global_load_dwordx2 v[26:27], v[26:27], off
	v_accvgpr_write_b32 a29, v41
	global_load_dwordx2 v[40:41], v[40:41], off
	v_lshlrev_b64 v[18:19], 3, v[2:3]
	v_add_co_u32_e32 v178, vcc, s4, v18
	v_addc_co_u32_e32 v179, vcc, v1, v19, vcc
	global_load_dwordx2 v[18:19], v[22:23], off
	v_add_u32_e32 v2, s7, v2
	v_accvgpr_write_b32 a10, v22
	v_ashrrev_i32_e32 v3, 31, v2
	v_accvgpr_write_b32 a18, v30
	v_accvgpr_write_b32 a32, v44
	;; [unrolled: 1-line block ×4, first 2 shown]
	global_load_dwordx2 v[30:31], v[30:31], off
	v_accvgpr_write_b32 a33, v45
	global_load_dwordx2 v[44:45], v[44:45], off
	v_lshlrev_b64 v[22:23], 3, v[2:3]
	v_add_co_u32_e32 v182, vcc, s4, v22
	v_addc_co_u32_e32 v183, vcc, v1, v23, vcc
	global_load_dwordx2 v[22:23], v[28:29], off
	v_add_u32_e32 v2, s7, v2
	v_ashrrev_i32_e32 v3, 31, v2
	v_accvgpr_write_b32 a16, v28
	v_accvgpr_write_b32 a30, v42
	;; [unrolled: 1-line block ×4, first 2 shown]
	global_load_dwordx2 v[42:43], v[42:43], off
	v_lshlrev_b64 v[28:29], 3, v[2:3]
	v_add_u32_e32 v2, s7, v2
	v_add_co_u32_e32 v186, vcc, s4, v28
	v_accvgpr_write_b32 a20, v32
	v_ashrrev_i32_e32 v3, 31, v2
	v_accvgpr_write_b32 a22, v34
	v_accvgpr_write_b32 a24, v36
	v_addc_co_u32_e32 v187, vcc, v1, v29, vcc
	v_accvgpr_write_b32 a21, v33
	global_load_dwordx2 v[28:29], v[32:33], off
	v_accvgpr_write_b32 a23, v35
	global_load_dwordx2 v[32:33], v[34:35], off
	;; [unrolled: 2-line block ×3, first 2 shown]
	v_lshlrev_b64 v[36:37], 3, v[2:3]
	v_add_co_u32_e32 v188, vcc, s4, v36
	v_accvgpr_write_b32 a34, v46
	v_accvgpr_write_b32 a36, v48
	;; [unrolled: 1-line block ×7, first 2 shown]
	v_addc_co_u32_e32 v189, vcc, v1, v37, vcc
	v_accvgpr_write_b32 a35, v47
	global_load_dwordx2 v[36:37], v[46:47], off
	v_accvgpr_write_b32 a37, v49
	global_load_dwordx2 v[46:47], v[48:49], off
	;; [unrolled: 2-line block ×7, first 2 shown]
	s_nop 0
	global_load_dwordx2 v[58:59], v[134:135], off
	v_add_u32_e32 v2, s7, v2
	v_ashrrev_i32_e32 v3, 31, v2
	v_lshlrev_b64 v[2:3], 3, v[2:3]
	v_add_co_u32_e32 v190, vcc, s4, v2
	v_addc_co_u32_e32 v191, vcc, v1, v3, vcc
	global_load_dwordx2 v[2:3], v[136:137], off
	global_load_dwordx2 v[60:61], v[138:139], off
	;; [unrolled: 1-line block ×14, first 2 shown]
	s_bitcmp0_b32 s20, 0
	s_waitcnt vmcnt(40)
	buffer_store_dword v9, off, s[0:3], 0 offset:4
	buffer_store_dword v8, off, s[0:3], 0
	global_load_dwordx2 v[8:9], v[140:141], off
	s_mov_b64 s[6:7], -1
	s_waitcnt vmcnt(42)
	buffer_store_dword v11, off, s[0:3], 0 offset:12
	buffer_store_dword v10, off, s[0:3], 0 offset:8
	global_load_dwordx2 v[10:11], v[144:145], off
	s_waitcnt vmcnt(44)
	buffer_store_dword v5, off, s[0:3], 0 offset:20
	buffer_store_dword v4, off, s[0:3], 0 offset:16
	global_load_dwordx2 v[4:5], v[148:149], off
	s_waitcnt vmcnt(46)
	buffer_store_dword v15, off, s[0:3], 0 offset:28
	buffer_store_dword v14, off, s[0:3], 0 offset:24
	global_load_dwordx2 v[14:15], v[152:153], off
	s_waitcnt vmcnt(47)
	buffer_store_dword v13, off, s[0:3], 0 offset:36
	buffer_store_dword v12, off, s[0:3], 0 offset:32
	global_load_dwordx2 v[12:13], v[156:157], off
	s_waitcnt vmcnt(47)
	buffer_store_dword v17, off, s[0:3], 0 offset:44
	buffer_store_dword v16, off, s[0:3], 0 offset:40
	global_load_dwordx2 v[16:17], v[160:161], off
	s_nop 0
	buffer_store_dword v21, off, s[0:3], 0 offset:52
	buffer_store_dword v20, off, s[0:3], 0 offset:48
	global_load_dwordx2 v[20:21], v[164:165], off
	s_waitcnt vmcnt(50)
	buffer_store_dword v19, off, s[0:3], 0 offset:60
	buffer_store_dword v18, off, s[0:3], 0 offset:56
	global_load_dwordx2 v[18:19], v[168:169], off
	s_nop 0
	buffer_store_dword v25, off, s[0:3], 0 offset:68
	buffer_store_dword v24, off, s[0:3], 0 offset:64
	global_load_dwordx2 v[24:25], v[172:173], off
	s_nop 0
	buffer_store_dword v26, off, s[0:3], 0 offset:72
	buffer_store_dword v27, off, s[0:3], 0 offset:76
	global_load_dwordx2 v[26:27], v[176:177], off
	s_waitcnt vmcnt(56)
	buffer_store_dword v22, off, s[0:3], 0 offset:80
	buffer_store_dword v23, off, s[0:3], 0 offset:84
	global_load_dwordx2 v[22:23], v[182:183], off
	s_nop 0
	buffer_store_dword v30, off, s[0:3], 0 offset:88
	buffer_store_dword v31, off, s[0:3], 0 offset:92
	global_load_dwordx2 v[30:31], v[188:189], off
	s_waitcnt vmcnt(60)
	buffer_store_dword v28, off, s[0:3], 0 offset:96
	buffer_store_dword v29, off, s[0:3], 0 offset:100
	s_waitcnt vmcnt(61)
	buffer_store_dword v32, off, s[0:3], 0 offset:104
	buffer_store_dword v33, off, s[0:3], 0 offset:108
	;; [unrolled: 3-line block ×3, first 2 shown]
	buffer_store_dword v38, off, s[0:3], 0 offset:120
	buffer_store_dword v39, off, s[0:3], 0 offset:124
	;; [unrolled: 1-line block ×8, first 2 shown]
	s_waitcnt vmcnt(62)
	buffer_store_dword v37, off, s[0:3], 0 offset:156
	buffer_store_dword v36, off, s[0:3], 0 offset:152
	;; [unrolled: 1-line block ×20, first 2 shown]
	s_waitcnt vmcnt(62)
	buffer_store_dword v8, off, s[0:3], 0 offset:232
	buffer_store_dword v9, off, s[0:3], 0 offset:236
	;; [unrolled: 1-line block ×8, first 2 shown]
	s_waitcnt vmcnt(62)
	buffer_store_dword v4, off, s[0:3], 0 offset:264
	buffer_store_dword v5, off, s[0:3], 0 offset:268
	;; [unrolled: 1-line block ×12, first 2 shown]
	s_waitcnt vmcnt(62)
	buffer_store_dword v16, off, s[0:3], 0 offset:312
	buffer_store_dword v17, off, s[0:3], 0 offset:316
	;; [unrolled: 1-line block ×16, first 2 shown]
	s_waitcnt vmcnt(62)
	buffer_store_dword v26, off, s[0:3], 0 offset:376
	buffer_store_dword v27, off, s[0:3], 0 offset:380
	;; [unrolled: 1-line block ×12, first 2 shown]
	s_cbranch_scc1 .LBB116_224
; %bb.4:
	v_cmp_eq_u32_e64 s[4:5], 0, v0
	s_and_saveexec_b64 s[6:7], s[4:5]
	s_cbranch_execz .LBB116_6
; %bb.5:
	v_mov_b32_e32 v1, 0
	ds_write_b32 v1, v1 offset:424
.LBB116_6:
	s_or_b64 exec, exec, s[6:7]
	v_mov_b32_e32 v1, 0
	v_lshl_add_u32 v7, v0, 3, v1
	s_waitcnt lgkmcnt(0)
	; wave barrier
	s_waitcnt lgkmcnt(0)
	buffer_load_dword v1, v7, s[0:3], 0 offen
	buffer_load_dword v2, v7, s[0:3], 0 offen offset:4
	s_waitcnt vmcnt(1)
	v_cmp_eq_f32_e32 vcc, 0, v1
	s_waitcnt vmcnt(0)
	v_cmp_eq_f32_e64 s[6:7], 0, v2
	s_and_b64 s[6:7], vcc, s[6:7]
	s_and_saveexec_b64 s[12:13], s[6:7]
	s_cbranch_execz .LBB116_10
; %bb.7:
	v_mov_b32_e32 v1, 0
	ds_read_b32 v3, v1 offset:424
	v_add_u32_e32 v2, 1, v0
	s_waitcnt lgkmcnt(0)
	v_readfirstlane_b32 s6, v3
	s_cmp_eq_u32 s6, 0
	s_cselect_b64 s[18:19], -1, 0
	v_cmp_gt_i32_e32 vcc, s6, v2
	s_or_b64 s[18:19], s[18:19], vcc
	s_and_b64 exec, exec, s[18:19]
	s_cbranch_execz .LBB116_10
; %bb.8:
	s_mov_b64 s[18:19], 0
	v_mov_b32_e32 v3, s6
.LBB116_9:                              ; =>This Inner Loop Header: Depth=1
	ds_cmpst_rtn_b32 v3, v1, v3, v2 offset:424
	s_waitcnt lgkmcnt(0)
	v_cmp_ne_u32_e32 vcc, 0, v3
	v_cmp_le_i32_e64 s[6:7], v3, v2
	s_and_b64 s[6:7], vcc, s[6:7]
	s_and_b64 s[6:7], exec, s[6:7]
	s_or_b64 s[18:19], s[6:7], s[18:19]
	s_andn2_b64 exec, exec, s[18:19]
	s_cbranch_execnz .LBB116_9
.LBB116_10:
	s_or_b64 exec, exec, s[12:13]
	v_mov_b32_e32 v2, 0
	s_waitcnt lgkmcnt(0)
	; wave barrier
	ds_read_b32 v1, v2 offset:424
	s_and_saveexec_b64 s[6:7], s[4:5]
	s_cbranch_execz .LBB116_12
; %bb.11:
	s_lshl_b64 s[12:13], s[8:9], 2
	s_add_u32 s12, s14, s12
	s_addc_u32 s13, s15, s13
	s_waitcnt lgkmcnt(0)
	global_store_dword v2, v1, s[12:13]
.LBB116_12:
	s_or_b64 exec, exec, s[6:7]
	s_waitcnt lgkmcnt(0)
	v_cmp_ne_u32_e32 vcc, 0, v1
	s_mov_b64 s[6:7], 0
	s_cbranch_vccnz .LBB116_224
; %bb.13:
	buffer_load_dword v8, v7, s[0:3], 0 offen offset:4
	buffer_load_dword v3, v7, s[0:3], 0 offen
	s_waitcnt vmcnt(1)
	v_cmp_gt_f32_e32 vcc, 0, v8
	v_cndmask_b32_e64 v1, v8, -v8, vcc
	s_waitcnt vmcnt(0)
	v_cmp_gt_f32_e32 vcc, 0, v3
	v_cndmask_b32_e64 v2, v3, -v3, vcc
	v_cmp_ngt_f32_e32 vcc, v2, v1
                                        ; implicit-def: $vgpr1
                                        ; implicit-def: $vgpr2
	s_and_saveexec_b64 s[6:7], vcc
	s_xor_b64 s[6:7], exec, s[6:7]
                                        ; implicit-def: $vgpr4_vgpr5
	s_cbranch_execz .LBB116_15
; %bb.14:
	v_div_scale_f32 v1, s[12:13], v8, v8, v3
	v_rcp_f32_e32 v2, v1
	v_div_scale_f32 v4, vcc, v3, v8, v3
	v_fma_f32 v5, -v1, v2, 1.0
	v_fmac_f32_e32 v2, v5, v2
	v_mul_f32_e32 v5, v4, v2
	v_fma_f32 v9, -v1, v5, v4
	v_fmac_f32_e32 v5, v9, v2
	v_fma_f32 v1, -v1, v5, v4
	v_div_fmas_f32 v1, v1, v2, v5
	v_div_fixup_f32 v2, v1, v8, v3
	v_fmac_f32_e32 v8, v3, v2
	v_div_scale_f32 v1, s[12:13], v8, v8, -1.0
	v_rcp_f32_e32 v3, v1
	v_fma_f32 v4, -v1, v3, 1.0
	v_fmac_f32_e32 v3, v4, v3
	v_div_scale_f32 v4, vcc, -1.0, v8, -1.0
	v_mul_f32_e32 v5, v4, v3
	v_fma_f32 v9, -v1, v5, v4
	v_fmac_f32_e32 v5, v9, v3
	v_fma_f32 v1, -v1, v5, v4
	v_div_fmas_f32 v1, v1, v3, v5
	v_div_fixup_f32 v1, v1, v8, -1.0
	v_mul_f32_e32 v2, v2, v1
	v_xor_b32_e32 v4, 0x80000000, v2
                                        ; implicit-def: $vgpr3
                                        ; implicit-def: $vgpr8
.LBB116_15:
	s_andn2_saveexec_b64 s[6:7], s[6:7]
	s_cbranch_execz .LBB116_17
; %bb.16:
	v_div_scale_f32 v1, s[12:13], v3, v3, v8
	v_rcp_f32_e32 v2, v1
	v_div_scale_f32 v4, vcc, v8, v3, v8
	v_fma_f32 v5, -v1, v2, 1.0
	v_fmac_f32_e32 v2, v5, v2
	v_mul_f32_e32 v5, v4, v2
	v_fma_f32 v9, -v1, v5, v4
	v_fmac_f32_e32 v5, v9, v2
	v_fma_f32 v1, -v1, v5, v4
	v_div_fmas_f32 v1, v1, v2, v5
	v_div_fixup_f32 v1, v1, v3, v8
	v_fmac_f32_e32 v3, v8, v1
	v_div_scale_f32 v2, s[12:13], v3, v3, 1.0
	v_rcp_f32_e32 v4, v2
	v_fma_f32 v5, -v2, v4, 1.0
	v_fmac_f32_e32 v4, v5, v4
	v_div_scale_f32 v5, vcc, 1.0, v3, 1.0
	v_mul_f32_e32 v8, v5, v4
	v_fma_f32 v9, -v2, v8, v5
	v_fmac_f32_e32 v8, v9, v4
	v_fma_f32 v2, -v2, v8, v5
	v_div_fmas_f32 v2, v2, v4, v8
	v_div_fixup_f32 v4, v2, v3, 1.0
	v_xor_b32_e32 v2, 0x80000000, v4
	v_mul_f32_e64 v1, v1, -v4
.LBB116_17:
	s_or_b64 exec, exec, s[6:7]
	buffer_store_dword v1, v7, s[0:3], 0 offen offset:4
	buffer_store_dword v4, v7, s[0:3], 0 offen
	buffer_load_dword v5, off, s[0:3], 0 offset:12
	s_nop 0
	buffer_load_dword v4, off, s[0:3], 0 offset:8
	v_xor_b32_e32 v3, 0x80000000, v1
	v_add_u32_e32 v1, 0x1b0, v6
	s_waitcnt vmcnt(0)
	ds_write2_b64 v6, v[2:3], v[4:5] offset1:54
	s_waitcnt lgkmcnt(0)
	; wave barrier
	s_waitcnt lgkmcnt(0)
	s_and_saveexec_b64 s[6:7], s[4:5]
	s_cbranch_execz .LBB116_19
; %bb.18:
	buffer_load_dword v8, v7, s[0:3], 0 offen offset:4
	buffer_load_dword v9, v7, s[0:3], 0 offen
	ds_read_b64 v[2:3], v1
	v_mov_b32_e32 v4, 0
	ds_read_b64 v[4:5], v4 offset:8
	s_waitcnt vmcnt(1) lgkmcnt(1)
	v_mul_f32_e32 v10, v3, v8
	v_mul_f32_e32 v8, v2, v8
	s_waitcnt vmcnt(0)
	v_fmac_f32_e32 v8, v3, v9
	v_fma_f32 v2, v2, v9, -v10
	v_add_f32_e32 v3, 0, v8
	v_add_f32_e32 v2, 0, v2
	s_waitcnt lgkmcnt(0)
	v_mul_f32_e32 v8, v3, v5
	v_mul_f32_e32 v5, v2, v5
	v_fma_f32 v2, v2, v4, -v8
	v_fmac_f32_e32 v5, v3, v4
	buffer_store_dword v2, off, s[0:3], 0 offset:8
	buffer_store_dword v5, off, s[0:3], 0 offset:12
.LBB116_19:
	s_or_b64 exec, exec, s[6:7]
	s_waitcnt lgkmcnt(0)
	; wave barrier
	buffer_load_dword v2, off, s[0:3], 0 offset:16
	buffer_load_dword v3, off, s[0:3], 0 offset:20
	v_cmp_gt_u32_e32 vcc, 2, v0
	s_waitcnt vmcnt(0)
	ds_write_b64 v1, v[2:3]
	s_waitcnt lgkmcnt(0)
	; wave barrier
	s_waitcnt lgkmcnt(0)
	s_and_saveexec_b64 s[6:7], vcc
	s_cbranch_execz .LBB116_23
; %bb.20:
	buffer_load_dword v4, v7, s[0:3], 0 offen offset:4
	buffer_load_dword v5, v7, s[0:3], 0 offen
	ds_read_b64 v[2:3], v1
	s_waitcnt vmcnt(1) lgkmcnt(0)
	v_mul_f32_e32 v7, v3, v4
	v_mul_f32_e32 v4, v2, v4
	s_waitcnt vmcnt(0)
	v_fma_f32 v2, v2, v5, -v7
	v_fmac_f32_e32 v4, v3, v5
	v_add_f32_e32 v3, 0, v2
	v_add_f32_e32 v2, 0, v4
	s_and_saveexec_b64 s[12:13], s[4:5]
	s_cbranch_execz .LBB116_22
; %bb.21:
	buffer_load_dword v7, off, s[0:3], 0 offset:12
	buffer_load_dword v8, off, s[0:3], 0 offset:8
	v_mov_b32_e32 v4, 0
	ds_read_b64 v[4:5], v4 offset:440
	s_waitcnt vmcnt(1) lgkmcnt(0)
	v_mul_f32_e32 v9, v4, v7
	v_mul_f32_e32 v7, v5, v7
	s_waitcnt vmcnt(0)
	v_fmac_f32_e32 v9, v5, v8
	v_fma_f32 v4, v4, v8, -v7
	v_add_f32_e32 v2, v2, v9
	v_add_f32_e32 v3, v3, v4
.LBB116_22:
	s_or_b64 exec, exec, s[12:13]
	v_mov_b32_e32 v4, 0
	ds_read_b64 v[4:5], v4 offset:16
	s_waitcnt lgkmcnt(0)
	v_mul_f32_e32 v7, v2, v5
	v_mul_f32_e32 v5, v3, v5
	v_fma_f32 v3, v3, v4, -v7
	v_fmac_f32_e32 v5, v2, v4
	buffer_store_dword v3, off, s[0:3], 0 offset:16
	buffer_store_dword v5, off, s[0:3], 0 offset:20
.LBB116_23:
	s_or_b64 exec, exec, s[6:7]
	s_waitcnt lgkmcnt(0)
	; wave barrier
	buffer_load_dword v2, off, s[0:3], 0 offset:24
	buffer_load_dword v3, off, s[0:3], 0 offset:28
	v_cmp_gt_u32_e32 vcc, 3, v0
	s_waitcnt vmcnt(0)
	ds_write_b64 v1, v[2:3]
	v_add_u32_e32 v2, -1, v0
	s_waitcnt lgkmcnt(0)
	; wave barrier
	s_waitcnt lgkmcnt(0)
	s_and_saveexec_b64 s[4:5], vcc
	s_cbranch_execz .LBB116_27
; %bb.24:
	v_add_u32_e32 v4, -1, v0
	v_add_u32_e32 v5, 0x1b0, v6
	v_add_u32_e32 v7, 0, v6
	s_mov_b64 s[6:7], 0
	v_mov_b32_e32 v3, 0
	v_mov_b32_e32 v8, 0
.LBB116_25:                             ; =>This Inner Loop Header: Depth=1
	buffer_load_dword v9, v7, s[0:3], 0 offen offset:4
	buffer_load_dword v12, v7, s[0:3], 0 offen
	ds_read_b64 v[10:11], v5
	v_add_u32_e32 v4, 1, v4
	v_cmp_lt_u32_e32 vcc, 1, v4
	v_add_u32_e32 v5, 8, v5
	v_add_u32_e32 v7, 8, v7
	s_or_b64 s[6:7], vcc, s[6:7]
	s_waitcnt vmcnt(1) lgkmcnt(0)
	v_mul_f32_e32 v13, v11, v9
	v_mul_f32_e32 v9, v10, v9
	s_waitcnt vmcnt(0)
	v_fma_f32 v10, v10, v12, -v13
	v_fmac_f32_e32 v9, v11, v12
	v_add_f32_e32 v8, v8, v10
	v_add_f32_e32 v3, v3, v9
	s_andn2_b64 exec, exec, s[6:7]
	s_cbranch_execnz .LBB116_25
; %bb.26:
	s_or_b64 exec, exec, s[6:7]
	v_mov_b32_e32 v4, 0
	ds_read_b64 v[4:5], v4 offset:24
	s_waitcnt lgkmcnt(0)
	v_mul_f32_e32 v7, v3, v5
	v_mul_f32_e32 v5, v8, v5
	v_fma_f32 v7, v8, v4, -v7
	v_fmac_f32_e32 v5, v3, v4
	buffer_store_dword v7, off, s[0:3], 0 offset:24
	buffer_store_dword v5, off, s[0:3], 0 offset:28
.LBB116_27:
	s_or_b64 exec, exec, s[4:5]
	s_waitcnt lgkmcnt(0)
	; wave barrier
	buffer_load_dword v4, off, s[0:3], 0 offset:32
	buffer_load_dword v5, off, s[0:3], 0 offset:36
	v_cmp_gt_u32_e32 vcc, 4, v0
	s_waitcnt vmcnt(0)
	ds_write_b64 v1, v[4:5]
	s_waitcnt lgkmcnt(0)
	; wave barrier
	s_waitcnt lgkmcnt(0)
	s_and_saveexec_b64 s[4:5], vcc
	s_cbranch_execz .LBB116_31
; %bb.28:
	v_add_u32_e32 v4, -1, v0
	v_add_u32_e32 v5, 0x1b0, v6
	v_add_u32_e32 v7, 0, v6
	s_mov_b64 s[6:7], 0
	v_mov_b32_e32 v3, 0
	v_mov_b32_e32 v8, 0
.LBB116_29:                             ; =>This Inner Loop Header: Depth=1
	buffer_load_dword v9, v7, s[0:3], 0 offen offset:4
	buffer_load_dword v12, v7, s[0:3], 0 offen
	ds_read_b64 v[10:11], v5
	v_add_u32_e32 v4, 1, v4
	v_cmp_lt_u32_e32 vcc, 2, v4
	v_add_u32_e32 v5, 8, v5
	v_add_u32_e32 v7, 8, v7
	s_or_b64 s[6:7], vcc, s[6:7]
	s_waitcnt vmcnt(1) lgkmcnt(0)
	v_mul_f32_e32 v13, v11, v9
	v_mul_f32_e32 v9, v10, v9
	s_waitcnt vmcnt(0)
	v_fma_f32 v10, v10, v12, -v13
	v_fmac_f32_e32 v9, v11, v12
	v_add_f32_e32 v8, v8, v10
	v_add_f32_e32 v3, v3, v9
	s_andn2_b64 exec, exec, s[6:7]
	s_cbranch_execnz .LBB116_29
; %bb.30:
	s_or_b64 exec, exec, s[6:7]
	v_mov_b32_e32 v4, 0
	ds_read_b64 v[4:5], v4 offset:32
	s_waitcnt lgkmcnt(0)
	v_mul_f32_e32 v7, v3, v5
	v_mul_f32_e32 v5, v8, v5
	v_fma_f32 v7, v8, v4, -v7
	v_fmac_f32_e32 v5, v3, v4
	buffer_store_dword v7, off, s[0:3], 0 offset:32
	buffer_store_dword v5, off, s[0:3], 0 offset:36
.LBB116_31:
	s_or_b64 exec, exec, s[4:5]
	s_waitcnt lgkmcnt(0)
	; wave barrier
	buffer_load_dword v4, off, s[0:3], 0 offset:40
	buffer_load_dword v5, off, s[0:3], 0 offset:44
	v_cmp_gt_u32_e32 vcc, 5, v0
	s_waitcnt vmcnt(0)
	ds_write_b64 v1, v[4:5]
	;; [unrolled: 51-line block ×19, first 2 shown]
	s_waitcnt lgkmcnt(0)
	; wave barrier
	s_waitcnt lgkmcnt(0)
	s_and_saveexec_b64 s[4:5], vcc
	s_cbranch_execz .LBB116_103
; %bb.100:
	v_add_u32_e32 v4, -1, v0
	v_add_u32_e32 v5, 0x1b0, v6
	v_add_u32_e32 v7, 0, v6
	s_mov_b64 s[6:7], 0
	v_mov_b32_e32 v3, 0
	v_mov_b32_e32 v8, 0
.LBB116_101:                            ; =>This Inner Loop Header: Depth=1
	buffer_load_dword v9, v7, s[0:3], 0 offen offset:4
	buffer_load_dword v12, v7, s[0:3], 0 offen
	ds_read_b64 v[10:11], v5
	v_add_u32_e32 v4, 1, v4
	v_cmp_lt_u32_e32 vcc, 20, v4
	v_add_u32_e32 v5, 8, v5
	v_add_u32_e32 v7, 8, v7
	s_or_b64 s[6:7], vcc, s[6:7]
	s_waitcnt vmcnt(1) lgkmcnt(0)
	v_mul_f32_e32 v13, v11, v9
	v_mul_f32_e32 v9, v10, v9
	s_waitcnt vmcnt(0)
	v_fma_f32 v10, v10, v12, -v13
	v_fmac_f32_e32 v9, v11, v12
	v_add_f32_e32 v8, v8, v10
	v_add_f32_e32 v3, v3, v9
	s_andn2_b64 exec, exec, s[6:7]
	s_cbranch_execnz .LBB116_101
; %bb.102:
	s_or_b64 exec, exec, s[6:7]
	v_mov_b32_e32 v4, 0
	ds_read_b64 v[4:5], v4 offset:176
	s_waitcnt lgkmcnt(0)
	v_mul_f32_e32 v7, v3, v5
	v_mul_f32_e32 v5, v8, v5
	v_fma_f32 v7, v8, v4, -v7
	v_fmac_f32_e32 v5, v3, v4
	buffer_store_dword v7, off, s[0:3], 0 offset:176
	buffer_store_dword v5, off, s[0:3], 0 offset:180
.LBB116_103:
	s_or_b64 exec, exec, s[4:5]
	s_waitcnt lgkmcnt(0)
	; wave barrier
	buffer_load_dword v4, off, s[0:3], 0 offset:184
	buffer_load_dword v5, off, s[0:3], 0 offset:188
	v_cmp_gt_u32_e32 vcc, 23, v0
	s_waitcnt vmcnt(0)
	ds_write_b64 v1, v[4:5]
	s_waitcnt lgkmcnt(0)
	; wave barrier
	s_waitcnt lgkmcnt(0)
	s_and_saveexec_b64 s[4:5], vcc
	s_cbranch_execz .LBB116_107
; %bb.104:
	v_add_u32_e32 v4, -1, v0
	v_add_u32_e32 v5, 0x1b0, v6
	v_add_u32_e32 v7, 0, v6
	s_mov_b64 s[6:7], 0
	v_mov_b32_e32 v3, 0
	v_mov_b32_e32 v8, 0
.LBB116_105:                            ; =>This Inner Loop Header: Depth=1
	buffer_load_dword v9, v7, s[0:3], 0 offen offset:4
	buffer_load_dword v12, v7, s[0:3], 0 offen
	ds_read_b64 v[10:11], v5
	v_add_u32_e32 v4, 1, v4
	v_cmp_lt_u32_e32 vcc, 21, v4
	v_add_u32_e32 v5, 8, v5
	v_add_u32_e32 v7, 8, v7
	s_or_b64 s[6:7], vcc, s[6:7]
	s_waitcnt vmcnt(1) lgkmcnt(0)
	v_mul_f32_e32 v13, v11, v9
	v_mul_f32_e32 v9, v10, v9
	s_waitcnt vmcnt(0)
	v_fma_f32 v10, v10, v12, -v13
	v_fmac_f32_e32 v9, v11, v12
	v_add_f32_e32 v8, v8, v10
	v_add_f32_e32 v3, v3, v9
	s_andn2_b64 exec, exec, s[6:7]
	s_cbranch_execnz .LBB116_105
; %bb.106:
	s_or_b64 exec, exec, s[6:7]
	v_mov_b32_e32 v4, 0
	ds_read_b64 v[4:5], v4 offset:184
	s_waitcnt lgkmcnt(0)
	v_mul_f32_e32 v7, v3, v5
	v_mul_f32_e32 v5, v8, v5
	v_fma_f32 v7, v8, v4, -v7
	v_fmac_f32_e32 v5, v3, v4
	buffer_store_dword v7, off, s[0:3], 0 offset:184
	buffer_store_dword v5, off, s[0:3], 0 offset:188
.LBB116_107:
	s_or_b64 exec, exec, s[4:5]
	s_waitcnt lgkmcnt(0)
	; wave barrier
	buffer_load_dword v4, off, s[0:3], 0 offset:192
	buffer_load_dword v5, off, s[0:3], 0 offset:196
	v_cmp_gt_u32_e32 vcc, 24, v0
	s_waitcnt vmcnt(0)
	ds_write_b64 v1, v[4:5]
	;; [unrolled: 51-line block ×29, first 2 shown]
	s_waitcnt lgkmcnt(0)
	; wave barrier
	s_waitcnt lgkmcnt(0)
	s_and_saveexec_b64 s[4:5], vcc
	s_cbranch_execz .LBB116_219
; %bb.216:
	v_add_u32_e32 v4, -1, v0
	v_add_u32_e32 v5, 0x1b0, v6
	v_add_u32_e32 v7, 0, v6
	s_mov_b64 s[6:7], 0
	v_mov_b32_e32 v3, 0
	v_mov_b32_e32 v8, 0
.LBB116_217:                            ; =>This Inner Loop Header: Depth=1
	buffer_load_dword v9, v7, s[0:3], 0 offen offset:4
	buffer_load_dword v12, v7, s[0:3], 0 offen
	ds_read_b64 v[10:11], v5
	v_add_u32_e32 v4, 1, v4
	v_cmp_lt_u32_e32 vcc, 49, v4
	v_add_u32_e32 v5, 8, v5
	v_add_u32_e32 v7, 8, v7
	s_or_b64 s[6:7], vcc, s[6:7]
	s_waitcnt vmcnt(1) lgkmcnt(0)
	v_mul_f32_e32 v13, v11, v9
	v_mul_f32_e32 v9, v10, v9
	s_waitcnt vmcnt(0)
	v_fma_f32 v10, v10, v12, -v13
	v_fmac_f32_e32 v9, v11, v12
	v_add_f32_e32 v8, v8, v10
	v_add_f32_e32 v3, v3, v9
	s_andn2_b64 exec, exec, s[6:7]
	s_cbranch_execnz .LBB116_217
; %bb.218:
	s_or_b64 exec, exec, s[6:7]
	v_mov_b32_e32 v4, 0
	ds_read_b64 v[4:5], v4 offset:408
	s_waitcnt lgkmcnt(0)
	v_mul_f32_e32 v7, v3, v5
	v_mul_f32_e32 v5, v8, v5
	v_fma_f32 v7, v8, v4, -v7
	v_fmac_f32_e32 v5, v3, v4
	buffer_store_dword v7, off, s[0:3], 0 offset:408
	buffer_store_dword v5, off, s[0:3], 0 offset:412
.LBB116_219:
	s_or_b64 exec, exec, s[4:5]
	s_waitcnt lgkmcnt(0)
	; wave barrier
	buffer_load_dword v4, off, s[0:3], 0 offset:416
	buffer_load_dword v5, off, s[0:3], 0 offset:420
	v_cmp_ne_u32_e32 vcc, 52, v0
	s_waitcnt vmcnt(0)
	ds_write_b64 v1, v[4:5]
	s_waitcnt lgkmcnt(0)
	; wave barrier
	s_waitcnt lgkmcnt(0)
	s_and_saveexec_b64 s[4:5], vcc
	s_cbranch_execz .LBB116_223
; %bb.220:
	v_add_u32_e32 v3, 0x1b0, v6
	v_add_u32_e32 v4, 0, v6
	s_mov_b64 s[6:7], 0
	v_mov_b32_e32 v1, 0
	v_mov_b32_e32 v5, 0
.LBB116_221:                            ; =>This Inner Loop Header: Depth=1
	buffer_load_dword v8, v4, s[0:3], 0 offen offset:4
	buffer_load_dword v9, v4, s[0:3], 0 offen
	ds_read_b64 v[6:7], v3
	v_add_u32_e32 v2, 1, v2
	v_cmp_lt_u32_e32 vcc, 50, v2
	v_add_u32_e32 v3, 8, v3
	v_add_u32_e32 v4, 8, v4
	s_or_b64 s[6:7], vcc, s[6:7]
	s_waitcnt vmcnt(1) lgkmcnt(0)
	v_mul_f32_e32 v10, v7, v8
	v_mul_f32_e32 v8, v6, v8
	s_waitcnt vmcnt(0)
	v_fma_f32 v6, v6, v9, -v10
	v_fmac_f32_e32 v8, v7, v9
	v_add_f32_e32 v5, v5, v6
	v_add_f32_e32 v1, v1, v8
	s_andn2_b64 exec, exec, s[6:7]
	s_cbranch_execnz .LBB116_221
; %bb.222:
	s_or_b64 exec, exec, s[6:7]
	v_mov_b32_e32 v2, 0
	ds_read_b64 v[2:3], v2 offset:416
	s_waitcnt lgkmcnt(0)
	v_mul_f32_e32 v4, v1, v3
	v_mul_f32_e32 v3, v5, v3
	v_fma_f32 v4, v5, v2, -v4
	v_fmac_f32_e32 v3, v1, v2
	buffer_store_dword v4, off, s[0:3], 0 offset:416
	buffer_store_dword v3, off, s[0:3], 0 offset:420
.LBB116_223:
	s_or_b64 exec, exec, s[4:5]
	s_mov_b64 s[6:7], -1
	s_waitcnt lgkmcnt(0)
	; wave barrier
.LBB116_224:
	s_and_b64 vcc, exec, s[6:7]
	s_cbranch_vccz .LBB116_226
; %bb.225:
	s_lshl_b64 s[4:5], s[8:9], 2
	s_add_u32 s4, s14, s4
	s_addc_u32 s5, s15, s5
	v_mov_b32_e32 v1, 0
	global_load_dword v1, v1, s[4:5]
	s_waitcnt vmcnt(0)
	v_cmp_ne_u32_e32 vcc, 0, v1
	s_cbranch_vccz .LBB116_227
.LBB116_226:
	s_endpgm
.LBB116_227:
	v_mov_b32_e32 v1, 0x1b0
	v_lshl_add_u32 v1, v0, 3, v1
	v_accvgpr_write_b32 a48, v1
	v_cmp_eq_u32_e32 vcc, 52, v0
	s_and_saveexec_b64 s[4:5], vcc
	s_cbranch_execz .LBB116_229
; %bb.228:
	buffer_load_dword v2, off, s[0:3], 0 offset:408
	buffer_load_dword v3, off, s[0:3], 0 offset:412
	v_mov_b32_e32 v1, 0
	v_accvgpr_read_b32 v4, a48
	buffer_store_dword v1, off, s[0:3], 0 offset:408
	buffer_store_dword v1, off, s[0:3], 0 offset:412
	s_waitcnt vmcnt(2)
	ds_write_b64 v4, v[2:3]
.LBB116_229:
	s_or_b64 exec, exec, s[4:5]
	s_waitcnt lgkmcnt(0)
	; wave barrier
	s_waitcnt lgkmcnt(0)
	buffer_load_dword v3, off, s[0:3], 0 offset:420
	buffer_load_dword v2, off, s[0:3], 0 offset:416
	;; [unrolled: 1-line block ×4, first 2 shown]
	v_mov_b32_e32 v1, 0
	ds_read_b64 v[6:7], v1 offset:848
	v_cmp_lt_u32_e32 vcc, 50, v0
	s_waitcnt vmcnt(3)
	v_mov_b32_e32 v8, v3
	s_waitcnt lgkmcnt(0)
	v_pk_mul_f32 v[8:9], v[6:7], v[8:9] op_sel_hi:[1,0]
	s_waitcnt vmcnt(2)
	v_pk_fma_f32 v[10:11], v[6:7], v[2:3], v[8:9] op_sel:[0,0,1] op_sel_hi:[1,1,0] neg_lo:[0,0,1] neg_hi:[0,0,1]
	v_pk_fma_f32 v[2:3], v[6:7], v[2:3], v[8:9] op_sel:[0,0,1] op_sel_hi:[1,0,0]
	v_mov_b32_e32 v11, v3
	v_pk_add_f32 v[2:3], v[10:11], 0 op_sel_hi:[1,0]
	s_waitcnt vmcnt(0)
	v_pk_add_f32 v[2:3], v[4:5], v[2:3] neg_lo:[0,1] neg_hi:[0,1]
	buffer_store_dword v2, off, s[0:3], 0 offset:408
	buffer_store_dword v3, off, s[0:3], 0 offset:412
	s_and_saveexec_b64 s[4:5], vcc
	s_cbranch_execz .LBB116_231
; %bb.230:
	buffer_load_dword v2, off, s[0:3], 0 offset:400
	buffer_load_dword v3, off, s[0:3], 0 offset:404
	v_accvgpr_read_b32 v4, a48
	buffer_store_dword v1, off, s[0:3], 0 offset:400
	buffer_store_dword v1, off, s[0:3], 0 offset:404
	s_waitcnt vmcnt(2)
	ds_write_b64 v4, v[2:3]
.LBB116_231:
	s_or_b64 exec, exec, s[4:5]
	s_waitcnt lgkmcnt(0)
	; wave barrier
	s_waitcnt lgkmcnt(0)
	buffer_load_dword v7, off, s[0:3], 0 offset:412
	buffer_load_dword v9, off, s[0:3], 0 offset:420
	;; [unrolled: 1-line block ×6, first 2 shown]
	ds_read2_b64 v[2:5], v1 offset0:105 offset1:106
	v_cmp_lt_u32_e32 vcc, 49, v0
	s_waitcnt vmcnt(5)
	v_mov_b32_e32 v12, v7
	s_waitcnt vmcnt(4)
	v_mov_b32_e32 v14, v9
	s_waitcnt lgkmcnt(0)
	v_pk_mul_f32 v[12:13], v[2:3], v[12:13] op_sel_hi:[1,0]
	v_pk_mul_f32 v[14:15], v[4:5], v[14:15] op_sel_hi:[1,0]
	s_waitcnt vmcnt(3)
	v_pk_fma_f32 v[16:17], v[2:3], v[6:7], v[12:13] op_sel:[0,0,1] op_sel_hi:[1,1,0] neg_lo:[0,0,1] neg_hi:[0,0,1]
	v_pk_fma_f32 v[2:3], v[2:3], v[6:7], v[12:13] op_sel:[0,0,1] op_sel_hi:[1,0,0]
	s_waitcnt vmcnt(2)
	v_pk_fma_f32 v[6:7], v[4:5], v[8:9], v[14:15] op_sel:[0,0,1] op_sel_hi:[1,1,0] neg_lo:[0,0,1] neg_hi:[0,0,1]
	v_pk_fma_f32 v[4:5], v[4:5], v[8:9], v[14:15] op_sel:[0,0,1] op_sel_hi:[1,0,0]
	v_mov_b32_e32 v17, v3
	v_mov_b32_e32 v7, v5
	v_pk_add_f32 v[2:3], v[16:17], 0 op_sel_hi:[1,0]
	v_pk_add_f32 v[2:3], v[2:3], v[6:7]
	s_waitcnt vmcnt(0)
	v_pk_add_f32 v[2:3], v[10:11], v[2:3] neg_lo:[0,1] neg_hi:[0,1]
	buffer_store_dword v2, off, s[0:3], 0 offset:400
	buffer_store_dword v3, off, s[0:3], 0 offset:404
	s_and_saveexec_b64 s[4:5], vcc
	s_cbranch_execz .LBB116_233
; %bb.232:
	buffer_load_dword v2, off, s[0:3], 0 offset:392
	buffer_load_dword v3, off, s[0:3], 0 offset:396
	v_mov_b32_e32 v1, 0
	v_accvgpr_read_b32 v4, a48
	buffer_store_dword v1, off, s[0:3], 0 offset:392
	buffer_store_dword v1, off, s[0:3], 0 offset:396
	s_waitcnt vmcnt(2)
	ds_write_b64 v4, v[2:3]
.LBB116_233:
	s_or_b64 exec, exec, s[4:5]
	s_waitcnt lgkmcnt(0)
	; wave barrier
	s_waitcnt lgkmcnt(0)
	buffer_load_dword v6, off, s[0:3], 0 offset:392
	buffer_load_dword v7, off, s[0:3], 0 offset:396
	;; [unrolled: 1-line block ×8, first 2 shown]
	v_mov_b32_e32 v1, 0
	ds_read_b128 v[2:5], v1 offset:832
	ds_read_b64 v[14:15], v1 offset:848
	v_cmp_lt_u32_e32 vcc, 48, v0
	s_waitcnt vmcnt(4)
	v_mov_b32_e32 v16, v9
	s_waitcnt lgkmcnt(1)
	v_pk_mul_f32 v[16:17], v[2:3], v[16:17] op_sel_hi:[1,0]
	v_pk_fma_f32 v[18:19], v[2:3], v[8:9], v[16:17] op_sel:[0,0,1] op_sel_hi:[1,1,0] neg_lo:[0,0,1] neg_hi:[0,0,1]
	v_pk_fma_f32 v[2:3], v[2:3], v[8:9], v[16:17] op_sel:[0,0,1] op_sel_hi:[1,0,0]
	s_waitcnt vmcnt(2)
	v_mov_b32_e32 v8, v11
	v_pk_mul_f32 v[8:9], v[4:5], v[8:9] op_sel_hi:[1,0]
	v_pk_fma_f32 v[16:17], v[4:5], v[10:11], v[8:9] op_sel:[0,0,1] op_sel_hi:[1,1,0] neg_lo:[0,0,1] neg_hi:[0,0,1]
	v_pk_fma_f32 v[4:5], v[4:5], v[10:11], v[8:9] op_sel:[0,0,1] op_sel_hi:[1,0,0]
	s_waitcnt vmcnt(0)
	v_mov_b32_e32 v4, v13
	v_mov_b32_e32 v19, v3
	;; [unrolled: 1-line block ×3, first 2 shown]
	s_waitcnt lgkmcnt(0)
	v_pk_mul_f32 v[4:5], v[14:15], v[4:5] op_sel_hi:[1,0]
	v_pk_add_f32 v[2:3], v[18:19], 0 op_sel_hi:[1,0]
	v_pk_fma_f32 v[8:9], v[14:15], v[12:13], v[4:5] op_sel:[0,0,1] op_sel_hi:[1,1,0] neg_lo:[0,0,1] neg_hi:[0,0,1]
	v_pk_fma_f32 v[4:5], v[14:15], v[12:13], v[4:5] op_sel:[0,0,1] op_sel_hi:[1,0,0]
	v_pk_add_f32 v[2:3], v[2:3], v[16:17]
	v_mov_b32_e32 v9, v5
	v_pk_add_f32 v[2:3], v[2:3], v[8:9]
	v_pk_add_f32 v[2:3], v[6:7], v[2:3] neg_lo:[0,1] neg_hi:[0,1]
	buffer_store_dword v2, off, s[0:3], 0 offset:392
	buffer_store_dword v3, off, s[0:3], 0 offset:396
	s_and_saveexec_b64 s[4:5], vcc
	s_cbranch_execz .LBB116_235
; %bb.234:
	buffer_load_dword v2, off, s[0:3], 0 offset:384
	buffer_load_dword v3, off, s[0:3], 0 offset:388
	v_accvgpr_read_b32 v4, a48
	buffer_store_dword v1, off, s[0:3], 0 offset:384
	buffer_store_dword v1, off, s[0:3], 0 offset:388
	s_waitcnt vmcnt(2)
	ds_write_b64 v4, v[2:3]
.LBB116_235:
	s_or_b64 exec, exec, s[4:5]
	s_waitcnt lgkmcnt(0)
	; wave barrier
	s_waitcnt lgkmcnt(0)
	buffer_load_dword v11, off, s[0:3], 0 offset:396
	buffer_load_dword v13, off, s[0:3], 0 offset:404
	;; [unrolled: 1-line block ×10, first 2 shown]
	ds_read2_b64 v[2:5], v1 offset0:103 offset1:104
	ds_read2_b64 v[6:9], v1 offset0:105 offset1:106
	v_cmp_lt_u32_e32 vcc, 47, v0
	s_waitcnt vmcnt(9)
	v_mov_b32_e32 v20, v11
	s_waitcnt vmcnt(8)
	v_mov_b32_e32 v22, v13
	s_waitcnt lgkmcnt(1)
	v_pk_mul_f32 v[20:21], v[2:3], v[20:21] op_sel_hi:[1,0]
	s_waitcnt vmcnt(7)
	v_mov_b32_e32 v24, v15
	v_pk_mul_f32 v[22:23], v[4:5], v[22:23] op_sel_hi:[1,0]
	s_waitcnt vmcnt(5)
	v_pk_fma_f32 v[28:29], v[2:3], v[10:11], v[20:21] op_sel:[0,0,1] op_sel_hi:[1,1,0] neg_lo:[0,0,1] neg_hi:[0,0,1]
	v_pk_fma_f32 v[2:3], v[2:3], v[10:11], v[20:21] op_sel:[0,0,1] op_sel_hi:[1,0,0]
	v_mov_b32_e32 v26, v17
	s_waitcnt lgkmcnt(0)
	v_pk_mul_f32 v[24:25], v[6:7], v[24:25] op_sel_hi:[1,0]
	s_waitcnt vmcnt(4)
	v_pk_fma_f32 v[10:11], v[4:5], v[12:13], v[22:23] op_sel:[0,0,1] op_sel_hi:[1,1,0] neg_lo:[0,0,1] neg_hi:[0,0,1]
	v_pk_fma_f32 v[4:5], v[4:5], v[12:13], v[22:23] op_sel:[0,0,1] op_sel_hi:[1,0,0]
	v_mov_b32_e32 v29, v3
	v_pk_mul_f32 v[26:27], v[8:9], v[26:27] op_sel_hi:[1,0]
	s_waitcnt vmcnt(3)
	v_pk_fma_f32 v[12:13], v[6:7], v[14:15], v[24:25] op_sel:[0,0,1] op_sel_hi:[1,1,0] neg_lo:[0,0,1] neg_hi:[0,0,1]
	v_pk_fma_f32 v[6:7], v[6:7], v[14:15], v[24:25] op_sel:[0,0,1] op_sel_hi:[1,0,0]
	v_mov_b32_e32 v11, v5
	v_pk_add_f32 v[2:3], v[28:29], 0 op_sel_hi:[1,0]
	s_waitcnt vmcnt(2)
	v_pk_fma_f32 v[14:15], v[8:9], v[16:17], v[26:27] op_sel:[0,0,1] op_sel_hi:[1,1,0] neg_lo:[0,0,1] neg_hi:[0,0,1]
	v_pk_fma_f32 v[8:9], v[8:9], v[16:17], v[26:27] op_sel:[0,0,1] op_sel_hi:[1,0,0]
	v_mov_b32_e32 v13, v7
	v_pk_add_f32 v[2:3], v[2:3], v[10:11]
	v_mov_b32_e32 v15, v9
	v_pk_add_f32 v[2:3], v[2:3], v[12:13]
	v_pk_add_f32 v[2:3], v[2:3], v[14:15]
	s_waitcnt vmcnt(0)
	v_pk_add_f32 v[2:3], v[18:19], v[2:3] neg_lo:[0,1] neg_hi:[0,1]
	buffer_store_dword v2, off, s[0:3], 0 offset:384
	buffer_store_dword v3, off, s[0:3], 0 offset:388
	s_and_saveexec_b64 s[4:5], vcc
	s_cbranch_execz .LBB116_237
; %bb.236:
	buffer_load_dword v2, off, s[0:3], 0 offset:376
	buffer_load_dword v3, off, s[0:3], 0 offset:380
	v_mov_b32_e32 v1, 0
	v_accvgpr_read_b32 v4, a48
	buffer_store_dword v1, off, s[0:3], 0 offset:376
	buffer_store_dword v1, off, s[0:3], 0 offset:380
	s_waitcnt vmcnt(2)
	ds_write_b64 v4, v[2:3]
.LBB116_237:
	s_or_b64 exec, exec, s[4:5]
	s_waitcnt lgkmcnt(0)
	; wave barrier
	s_waitcnt lgkmcnt(0)
	buffer_load_dword v11, off, s[0:3], 0 offset:388
	buffer_load_dword v13, off, s[0:3], 0 offset:396
	;; [unrolled: 1-line block ×12, first 2 shown]
	v_mov_b32_e32 v1, 0
	ds_read_b128 v[2:5], v1 offset:816
	ds_read_b128 v[6:9], v1 offset:832
	ds_read_b64 v[22:23], v1 offset:848
	v_cmp_lt_u32_e32 vcc, 46, v0
	s_waitcnt vmcnt(11)
	v_mov_b32_e32 v24, v11
	s_waitcnt vmcnt(10)
	v_mov_b32_e32 v26, v13
	s_waitcnt lgkmcnt(2)
	v_pk_mul_f32 v[24:25], v[2:3], v[24:25] op_sel_hi:[1,0]
	s_waitcnt vmcnt(9)
	v_mov_b32_e32 v28, v15
	v_pk_mul_f32 v[26:27], v[4:5], v[26:27] op_sel_hi:[1,0]
	s_waitcnt vmcnt(6)
	v_pk_fma_f32 v[34:35], v[2:3], v[10:11], v[24:25] op_sel:[0,0,1] op_sel_hi:[1,1,0] neg_lo:[0,0,1] neg_hi:[0,0,1]
	v_pk_fma_f32 v[2:3], v[2:3], v[10:11], v[24:25] op_sel:[0,0,1] op_sel_hi:[1,0,0]
	v_mov_b32_e32 v30, v17
	s_waitcnt lgkmcnt(1)
	v_pk_mul_f32 v[28:29], v[6:7], v[28:29] op_sel_hi:[1,0]
	s_waitcnt vmcnt(5)
	v_pk_fma_f32 v[10:11], v[4:5], v[12:13], v[26:27] op_sel:[0,0,1] op_sel_hi:[1,1,0] neg_lo:[0,0,1] neg_hi:[0,0,1]
	v_pk_fma_f32 v[4:5], v[4:5], v[12:13], v[26:27] op_sel:[0,0,1] op_sel_hi:[1,0,0]
	v_mov_b32_e32 v35, v3
	v_mov_b32_e32 v32, v19
	v_pk_mul_f32 v[30:31], v[8:9], v[30:31] op_sel_hi:[1,0]
	s_waitcnt vmcnt(4)
	v_pk_fma_f32 v[12:13], v[6:7], v[14:15], v[28:29] op_sel:[0,0,1] op_sel_hi:[1,1,0] neg_lo:[0,0,1] neg_hi:[0,0,1]
	v_pk_fma_f32 v[6:7], v[6:7], v[14:15], v[28:29] op_sel:[0,0,1] op_sel_hi:[1,0,0]
	v_mov_b32_e32 v11, v5
	v_pk_add_f32 v[2:3], v[34:35], 0 op_sel_hi:[1,0]
	s_waitcnt lgkmcnt(0)
	v_pk_mul_f32 v[32:33], v[22:23], v[32:33] op_sel_hi:[1,0]
	s_waitcnt vmcnt(3)
	v_pk_fma_f32 v[14:15], v[8:9], v[16:17], v[30:31] op_sel:[0,0,1] op_sel_hi:[1,1,0] neg_lo:[0,0,1] neg_hi:[0,0,1]
	v_pk_fma_f32 v[8:9], v[8:9], v[16:17], v[30:31] op_sel:[0,0,1] op_sel_hi:[1,0,0]
	v_mov_b32_e32 v13, v7
	v_pk_add_f32 v[2:3], v[2:3], v[10:11]
	s_waitcnt vmcnt(2)
	v_pk_fma_f32 v[16:17], v[22:23], v[18:19], v[32:33] op_sel:[0,0,1] op_sel_hi:[1,1,0] neg_lo:[0,0,1] neg_hi:[0,0,1]
	v_pk_fma_f32 v[18:19], v[22:23], v[18:19], v[32:33] op_sel:[0,0,1] op_sel_hi:[1,0,0]
	v_mov_b32_e32 v15, v9
	v_pk_add_f32 v[2:3], v[2:3], v[12:13]
	v_mov_b32_e32 v17, v19
	v_pk_add_f32 v[2:3], v[2:3], v[14:15]
	v_pk_add_f32 v[2:3], v[2:3], v[16:17]
	s_waitcnt vmcnt(0)
	v_pk_add_f32 v[2:3], v[20:21], v[2:3] neg_lo:[0,1] neg_hi:[0,1]
	buffer_store_dword v2, off, s[0:3], 0 offset:376
	buffer_store_dword v3, off, s[0:3], 0 offset:380
	s_and_saveexec_b64 s[4:5], vcc
	s_cbranch_execz .LBB116_239
; %bb.238:
	buffer_load_dword v2, off, s[0:3], 0 offset:368
	buffer_load_dword v3, off, s[0:3], 0 offset:372
	v_accvgpr_read_b32 v4, a48
	buffer_store_dword v1, off, s[0:3], 0 offset:368
	buffer_store_dword v1, off, s[0:3], 0 offset:372
	s_waitcnt vmcnt(2)
	ds_write_b64 v4, v[2:3]
.LBB116_239:
	s_or_b64 exec, exec, s[4:5]
	s_waitcnt lgkmcnt(0)
	; wave barrier
	s_waitcnt lgkmcnt(0)
	buffer_load_dword v15, off, s[0:3], 0 offset:380
	buffer_load_dword v17, off, s[0:3], 0 offset:388
	;; [unrolled: 1-line block ×14, first 2 shown]
	ds_read2_b64 v[2:5], v1 offset0:101 offset1:102
	ds_read2_b64 v[6:9], v1 offset0:103 offset1:104
	;; [unrolled: 1-line block ×3, first 2 shown]
	v_cmp_lt_u32_e32 vcc, 45, v0
	s_waitcnt vmcnt(13)
	v_mov_b32_e32 v28, v15
	s_waitcnt vmcnt(12)
	v_mov_b32_e32 v30, v17
	s_waitcnt lgkmcnt(2)
	v_pk_mul_f32 v[28:29], v[2:3], v[28:29] op_sel_hi:[1,0]
	s_waitcnt vmcnt(11)
	v_mov_b32_e32 v32, v19
	v_pk_mul_f32 v[30:31], v[4:5], v[30:31] op_sel_hi:[1,0]
	s_waitcnt vmcnt(10)
	v_mov_b32_e32 v34, v21
	s_waitcnt vmcnt(7)
	v_pk_fma_f32 v[40:41], v[2:3], v[14:15], v[28:29] op_sel:[0,0,1] op_sel_hi:[1,1,0] neg_lo:[0,0,1] neg_hi:[0,0,1]
	v_pk_fma_f32 v[2:3], v[2:3], v[14:15], v[28:29] op_sel:[0,0,1] op_sel_hi:[1,0,0]
	s_waitcnt lgkmcnt(1)
	v_pk_mul_f32 v[32:33], v[6:7], v[32:33] op_sel_hi:[1,0]
	s_waitcnt vmcnt(6)
	v_pk_fma_f32 v[14:15], v[4:5], v[16:17], v[30:31] op_sel:[0,0,1] op_sel_hi:[1,1,0] neg_lo:[0,0,1] neg_hi:[0,0,1]
	v_pk_fma_f32 v[4:5], v[4:5], v[16:17], v[30:31] op_sel:[0,0,1] op_sel_hi:[1,0,0]
	v_mov_b32_e32 v41, v3
	v_mov_b32_e32 v36, v23
	v_pk_mul_f32 v[34:35], v[8:9], v[34:35] op_sel_hi:[1,0]
	s_waitcnt vmcnt(5)
	v_pk_fma_f32 v[16:17], v[6:7], v[18:19], v[32:33] op_sel:[0,0,1] op_sel_hi:[1,1,0] neg_lo:[0,0,1] neg_hi:[0,0,1]
	v_pk_fma_f32 v[6:7], v[6:7], v[18:19], v[32:33] op_sel:[0,0,1] op_sel_hi:[1,0,0]
	v_mov_b32_e32 v15, v5
	v_pk_add_f32 v[2:3], v[40:41], 0 op_sel_hi:[1,0]
	v_mov_b32_e32 v38, v25
	s_waitcnt lgkmcnt(0)
	v_pk_mul_f32 v[36:37], v[10:11], v[36:37] op_sel_hi:[1,0]
	s_waitcnt vmcnt(4)
	v_pk_fma_f32 v[18:19], v[8:9], v[20:21], v[34:35] op_sel:[0,0,1] op_sel_hi:[1,1,0] neg_lo:[0,0,1] neg_hi:[0,0,1]
	v_pk_fma_f32 v[8:9], v[8:9], v[20:21], v[34:35] op_sel:[0,0,1] op_sel_hi:[1,0,0]
	v_mov_b32_e32 v17, v7
	v_pk_add_f32 v[2:3], v[2:3], v[14:15]
	v_pk_mul_f32 v[38:39], v[12:13], v[38:39] op_sel_hi:[1,0]
	s_waitcnt vmcnt(3)
	v_pk_fma_f32 v[20:21], v[10:11], v[22:23], v[36:37] op_sel:[0,0,1] op_sel_hi:[1,1,0] neg_lo:[0,0,1] neg_hi:[0,0,1]
	v_pk_fma_f32 v[10:11], v[10:11], v[22:23], v[36:37] op_sel:[0,0,1] op_sel_hi:[1,0,0]
	v_mov_b32_e32 v19, v9
	v_pk_add_f32 v[2:3], v[2:3], v[16:17]
	s_waitcnt vmcnt(2)
	v_pk_fma_f32 v[22:23], v[12:13], v[24:25], v[38:39] op_sel:[0,0,1] op_sel_hi:[1,1,0] neg_lo:[0,0,1] neg_hi:[0,0,1]
	v_pk_fma_f32 v[12:13], v[12:13], v[24:25], v[38:39] op_sel:[0,0,1] op_sel_hi:[1,0,0]
	v_mov_b32_e32 v21, v11
	v_pk_add_f32 v[2:3], v[2:3], v[18:19]
	v_mov_b32_e32 v23, v13
	v_pk_add_f32 v[2:3], v[2:3], v[20:21]
	v_pk_add_f32 v[2:3], v[2:3], v[22:23]
	s_waitcnt vmcnt(0)
	v_pk_add_f32 v[2:3], v[26:27], v[2:3] neg_lo:[0,1] neg_hi:[0,1]
	buffer_store_dword v2, off, s[0:3], 0 offset:368
	buffer_store_dword v3, off, s[0:3], 0 offset:372
	s_and_saveexec_b64 s[4:5], vcc
	s_cbranch_execz .LBB116_241
; %bb.240:
	buffer_load_dword v2, off, s[0:3], 0 offset:360
	buffer_load_dword v3, off, s[0:3], 0 offset:364
	v_mov_b32_e32 v1, 0
	v_accvgpr_read_b32 v4, a48
	buffer_store_dword v1, off, s[0:3], 0 offset:360
	buffer_store_dword v1, off, s[0:3], 0 offset:364
	s_waitcnt vmcnt(2)
	ds_write_b64 v4, v[2:3]
.LBB116_241:
	s_or_b64 exec, exec, s[4:5]
	s_waitcnt lgkmcnt(0)
	; wave barrier
	s_waitcnt lgkmcnt(0)
	buffer_load_dword v15, off, s[0:3], 0 offset:372
	buffer_load_dword v17, off, s[0:3], 0 offset:380
	;; [unrolled: 1-line block ×16, first 2 shown]
	v_mov_b32_e32 v1, 0
	ds_read_b128 v[2:5], v1 offset:800
	ds_read_b128 v[6:9], v1 offset:816
	ds_read_b128 v[10:13], v1 offset:832
	ds_read_b64 v[30:31], v1 offset:848
	v_cmp_lt_u32_e32 vcc, 44, v0
	s_waitcnt vmcnt(15)
	v_mov_b32_e32 v32, v15
	s_waitcnt vmcnt(14)
	v_mov_b32_e32 v34, v17
	s_waitcnt lgkmcnt(3)
	v_pk_mul_f32 v[32:33], v[2:3], v[32:33] op_sel_hi:[1,0]
	s_waitcnt vmcnt(13)
	v_mov_b32_e32 v36, v19
	v_pk_mul_f32 v[34:35], v[4:5], v[34:35] op_sel_hi:[1,0]
	s_waitcnt vmcnt(12)
	v_mov_b32_e32 v38, v21
	s_waitcnt lgkmcnt(2)
	v_pk_mul_f32 v[36:37], v[6:7], v[36:37] op_sel_hi:[1,0]
	s_waitcnt vmcnt(8)
	v_pk_fma_f32 v[46:47], v[2:3], v[14:15], v[32:33] op_sel:[0,0,1] op_sel_hi:[1,1,0] neg_lo:[0,0,1] neg_hi:[0,0,1]
	v_pk_fma_f32 v[2:3], v[2:3], v[14:15], v[32:33] op_sel:[0,0,1] op_sel_hi:[1,0,0]
	s_waitcnt vmcnt(7)
	v_pk_fma_f32 v[14:15], v[4:5], v[16:17], v[34:35] op_sel:[0,0,1] op_sel_hi:[1,1,0] neg_lo:[0,0,1] neg_hi:[0,0,1]
	v_pk_fma_f32 v[4:5], v[4:5], v[16:17], v[34:35] op_sel:[0,0,1] op_sel_hi:[1,0,0]
	v_mov_b32_e32 v47, v3
	v_mov_b32_e32 v40, v23
	v_pk_mul_f32 v[38:39], v[8:9], v[38:39] op_sel_hi:[1,0]
	s_waitcnt vmcnt(6)
	v_pk_fma_f32 v[16:17], v[6:7], v[18:19], v[36:37] op_sel:[0,0,1] op_sel_hi:[1,1,0] neg_lo:[0,0,1] neg_hi:[0,0,1]
	v_pk_fma_f32 v[6:7], v[6:7], v[18:19], v[36:37] op_sel:[0,0,1] op_sel_hi:[1,0,0]
	v_mov_b32_e32 v15, v5
	v_pk_add_f32 v[2:3], v[46:47], 0 op_sel_hi:[1,0]
	v_mov_b32_e32 v42, v25
	s_waitcnt lgkmcnt(1)
	v_pk_mul_f32 v[40:41], v[10:11], v[40:41] op_sel_hi:[1,0]
	s_waitcnt vmcnt(5)
	v_pk_fma_f32 v[18:19], v[8:9], v[20:21], v[38:39] op_sel:[0,0,1] op_sel_hi:[1,1,0] neg_lo:[0,0,1] neg_hi:[0,0,1]
	v_pk_fma_f32 v[8:9], v[8:9], v[20:21], v[38:39] op_sel:[0,0,1] op_sel_hi:[1,0,0]
	v_mov_b32_e32 v17, v7
	v_pk_add_f32 v[2:3], v[2:3], v[14:15]
	v_mov_b32_e32 v44, v27
	v_pk_mul_f32 v[42:43], v[12:13], v[42:43] op_sel_hi:[1,0]
	s_waitcnt vmcnt(4)
	v_pk_fma_f32 v[20:21], v[10:11], v[22:23], v[40:41] op_sel:[0,0,1] op_sel_hi:[1,1,0] neg_lo:[0,0,1] neg_hi:[0,0,1]
	v_pk_fma_f32 v[10:11], v[10:11], v[22:23], v[40:41] op_sel:[0,0,1] op_sel_hi:[1,0,0]
	v_mov_b32_e32 v19, v9
	v_pk_add_f32 v[2:3], v[2:3], v[16:17]
	s_waitcnt lgkmcnt(0)
	v_pk_mul_f32 v[44:45], v[30:31], v[44:45] op_sel_hi:[1,0]
	s_waitcnt vmcnt(3)
	v_pk_fma_f32 v[22:23], v[12:13], v[24:25], v[42:43] op_sel:[0,0,1] op_sel_hi:[1,1,0] neg_lo:[0,0,1] neg_hi:[0,0,1]
	v_pk_fma_f32 v[12:13], v[12:13], v[24:25], v[42:43] op_sel:[0,0,1] op_sel_hi:[1,0,0]
	v_mov_b32_e32 v21, v11
	v_pk_add_f32 v[2:3], v[2:3], v[18:19]
	s_waitcnt vmcnt(2)
	v_pk_fma_f32 v[24:25], v[30:31], v[26:27], v[44:45] op_sel:[0,0,1] op_sel_hi:[1,1,0] neg_lo:[0,0,1] neg_hi:[0,0,1]
	v_pk_fma_f32 v[26:27], v[30:31], v[26:27], v[44:45] op_sel:[0,0,1] op_sel_hi:[1,0,0]
	v_mov_b32_e32 v23, v13
	v_pk_add_f32 v[2:3], v[2:3], v[20:21]
	v_mov_b32_e32 v25, v27
	v_pk_add_f32 v[2:3], v[2:3], v[22:23]
	v_pk_add_f32 v[2:3], v[2:3], v[24:25]
	s_waitcnt vmcnt(0)
	v_pk_add_f32 v[2:3], v[28:29], v[2:3] neg_lo:[0,1] neg_hi:[0,1]
	buffer_store_dword v2, off, s[0:3], 0 offset:360
	buffer_store_dword v3, off, s[0:3], 0 offset:364
	s_and_saveexec_b64 s[4:5], vcc
	s_cbranch_execz .LBB116_243
; %bb.242:
	buffer_load_dword v2, off, s[0:3], 0 offset:352
	buffer_load_dword v3, off, s[0:3], 0 offset:356
	v_accvgpr_read_b32 v4, a48
	buffer_store_dword v1, off, s[0:3], 0 offset:352
	buffer_store_dword v1, off, s[0:3], 0 offset:356
	s_waitcnt vmcnt(2)
	ds_write_b64 v4, v[2:3]
.LBB116_243:
	s_or_b64 exec, exec, s[4:5]
	s_waitcnt lgkmcnt(0)
	; wave barrier
	s_waitcnt lgkmcnt(0)
	buffer_load_dword v19, off, s[0:3], 0 offset:364
	buffer_load_dword v21, off, s[0:3], 0 offset:372
	;; [unrolled: 1-line block ×18, first 2 shown]
	ds_read2_b64 v[2:5], v1 offset0:99 offset1:100
	ds_read2_b64 v[6:9], v1 offset0:101 offset1:102
	;; [unrolled: 1-line block ×4, first 2 shown]
	v_cmp_lt_u32_e32 vcc, 43, v0
	s_waitcnt vmcnt(17)
	v_mov_b32_e32 v36, v19
	s_waitcnt vmcnt(16)
	v_mov_b32_e32 v38, v21
	s_waitcnt lgkmcnt(3)
	v_pk_mul_f32 v[36:37], v[2:3], v[36:37] op_sel_hi:[1,0]
	s_waitcnt vmcnt(15)
	v_mov_b32_e32 v40, v23
	v_pk_mul_f32 v[38:39], v[4:5], v[38:39] op_sel_hi:[1,0]
	s_waitcnt vmcnt(14)
	v_mov_b32_e32 v42, v25
	s_waitcnt lgkmcnt(2)
	v_pk_mul_f32 v[40:41], v[6:7], v[40:41] op_sel_hi:[1,0]
	s_waitcnt vmcnt(13)
	v_mov_b32_e32 v44, v27
	s_waitcnt vmcnt(9)
	v_pk_fma_f32 v[52:53], v[2:3], v[18:19], v[36:37] op_sel:[0,0,1] op_sel_hi:[1,1,0] neg_lo:[0,0,1] neg_hi:[0,0,1]
	v_pk_fma_f32 v[2:3], v[2:3], v[18:19], v[36:37] op_sel:[0,0,1] op_sel_hi:[1,0,0]
	s_waitcnt vmcnt(8)
	v_pk_fma_f32 v[18:19], v[4:5], v[20:21], v[38:39] op_sel:[0,0,1] op_sel_hi:[1,1,0] neg_lo:[0,0,1] neg_hi:[0,0,1]
	v_pk_fma_f32 v[4:5], v[4:5], v[20:21], v[38:39] op_sel:[0,0,1] op_sel_hi:[1,0,0]
	v_mov_b32_e32 v53, v3
	v_pk_mul_f32 v[42:43], v[8:9], v[42:43] op_sel_hi:[1,0]
	s_waitcnt vmcnt(7)
	v_pk_fma_f32 v[20:21], v[6:7], v[22:23], v[40:41] op_sel:[0,0,1] op_sel_hi:[1,1,0] neg_lo:[0,0,1] neg_hi:[0,0,1]
	v_pk_fma_f32 v[6:7], v[6:7], v[22:23], v[40:41] op_sel:[0,0,1] op_sel_hi:[1,0,0]
	v_mov_b32_e32 v19, v5
	v_pk_add_f32 v[2:3], v[52:53], 0 op_sel_hi:[1,0]
	v_mov_b32_e32 v46, v29
	s_waitcnt lgkmcnt(1)
	v_pk_mul_f32 v[44:45], v[10:11], v[44:45] op_sel_hi:[1,0]
	s_waitcnt vmcnt(6)
	v_pk_fma_f32 v[22:23], v[8:9], v[24:25], v[42:43] op_sel:[0,0,1] op_sel_hi:[1,1,0] neg_lo:[0,0,1] neg_hi:[0,0,1]
	v_pk_fma_f32 v[8:9], v[8:9], v[24:25], v[42:43] op_sel:[0,0,1] op_sel_hi:[1,0,0]
	v_mov_b32_e32 v21, v7
	v_pk_add_f32 v[2:3], v[2:3], v[18:19]
	v_mov_b32_e32 v48, v31
	v_pk_mul_f32 v[46:47], v[12:13], v[46:47] op_sel_hi:[1,0]
	s_waitcnt vmcnt(5)
	v_pk_fma_f32 v[24:25], v[10:11], v[26:27], v[44:45] op_sel:[0,0,1] op_sel_hi:[1,1,0] neg_lo:[0,0,1] neg_hi:[0,0,1]
	v_pk_fma_f32 v[10:11], v[10:11], v[26:27], v[44:45] op_sel:[0,0,1] op_sel_hi:[1,0,0]
	v_mov_b32_e32 v23, v9
	v_pk_add_f32 v[2:3], v[2:3], v[20:21]
	v_mov_b32_e32 v50, v33
	s_waitcnt lgkmcnt(0)
	v_pk_mul_f32 v[48:49], v[14:15], v[48:49] op_sel_hi:[1,0]
	s_waitcnt vmcnt(4)
	v_pk_fma_f32 v[26:27], v[12:13], v[28:29], v[46:47] op_sel:[0,0,1] op_sel_hi:[1,1,0] neg_lo:[0,0,1] neg_hi:[0,0,1]
	v_pk_fma_f32 v[12:13], v[12:13], v[28:29], v[46:47] op_sel:[0,0,1] op_sel_hi:[1,0,0]
	v_mov_b32_e32 v25, v11
	v_pk_add_f32 v[2:3], v[2:3], v[22:23]
	v_pk_mul_f32 v[50:51], v[16:17], v[50:51] op_sel_hi:[1,0]
	s_waitcnt vmcnt(3)
	v_pk_fma_f32 v[28:29], v[14:15], v[30:31], v[48:49] op_sel:[0,0,1] op_sel_hi:[1,1,0] neg_lo:[0,0,1] neg_hi:[0,0,1]
	v_pk_fma_f32 v[14:15], v[14:15], v[30:31], v[48:49] op_sel:[0,0,1] op_sel_hi:[1,0,0]
	v_mov_b32_e32 v27, v13
	v_pk_add_f32 v[2:3], v[2:3], v[24:25]
	s_waitcnt vmcnt(2)
	v_pk_fma_f32 v[30:31], v[16:17], v[32:33], v[50:51] op_sel:[0,0,1] op_sel_hi:[1,1,0] neg_lo:[0,0,1] neg_hi:[0,0,1]
	v_pk_fma_f32 v[16:17], v[16:17], v[32:33], v[50:51] op_sel:[0,0,1] op_sel_hi:[1,0,0]
	v_mov_b32_e32 v29, v15
	v_pk_add_f32 v[2:3], v[2:3], v[26:27]
	v_mov_b32_e32 v31, v17
	v_pk_add_f32 v[2:3], v[2:3], v[28:29]
	v_pk_add_f32 v[2:3], v[2:3], v[30:31]
	s_waitcnt vmcnt(0)
	v_pk_add_f32 v[2:3], v[34:35], v[2:3] neg_lo:[0,1] neg_hi:[0,1]
	buffer_store_dword v2, off, s[0:3], 0 offset:352
	buffer_store_dword v3, off, s[0:3], 0 offset:356
	s_and_saveexec_b64 s[4:5], vcc
	s_cbranch_execz .LBB116_245
; %bb.244:
	buffer_load_dword v2, off, s[0:3], 0 offset:344
	buffer_load_dword v3, off, s[0:3], 0 offset:348
	v_mov_b32_e32 v1, 0
	v_accvgpr_read_b32 v4, a48
	buffer_store_dword v1, off, s[0:3], 0 offset:344
	buffer_store_dword v1, off, s[0:3], 0 offset:348
	s_waitcnt vmcnt(2)
	ds_write_b64 v4, v[2:3]
.LBB116_245:
	s_or_b64 exec, exec, s[4:5]
	s_waitcnt lgkmcnt(0)
	; wave barrier
	s_waitcnt lgkmcnt(0)
	buffer_load_dword v38, off, s[0:3], 0 offset:356
	buffer_load_dword v19, off, s[0:3], 0 offset:364
	;; [unrolled: 1-line block ×20, first 2 shown]
	v_mov_b32_e32 v1, 0
	ds_read_b128 v[2:5], v1 offset:784
	ds_read_b128 v[6:9], v1 offset:800
	;; [unrolled: 1-line block ×4, first 2 shown]
	ds_read_b64 v[36:37], v1 offset:848
	v_cmp_lt_u32_e32 vcc, 42, v0
	s_waitcnt vmcnt(19) lgkmcnt(4)
	v_mul_f32_e32 v39, v2, v38
	v_mul_f32_e32 v38, v3, v38
	s_waitcnt vmcnt(18)
	v_mov_b32_e32 v40, v19
	s_waitcnt vmcnt(17)
	v_mov_b32_e32 v42, v21
	;; [unrolled: 2-line block ×8, first 2 shown]
	s_waitcnt vmcnt(10)
	v_fmac_f32_e32 v39, v3, v41
	v_fma_f32 v38, v2, v41, -v38
	v_pk_mul_f32 v[2:3], v[4:5], v[40:41] op_sel_hi:[1,0]
	s_waitcnt lgkmcnt(3)
	v_pk_mul_f32 v[40:41], v[6:7], v[42:43] op_sel_hi:[1,0]
	v_pk_mul_f32 v[42:43], v[8:9], v[44:45] op_sel_hi:[1,0]
	s_waitcnt lgkmcnt(2)
	v_pk_mul_f32 v[44:45], v[10:11], v[46:47] op_sel_hi:[1,0]
	;; [unrolled: 3-line block ×4, first 2 shown]
	s_waitcnt vmcnt(9)
	v_pk_fma_f32 v[54:55], v[4:5], v[18:19], v[2:3] op_sel:[0,0,1] op_sel_hi:[1,1,0] neg_lo:[0,0,1] neg_hi:[0,0,1]
	v_pk_fma_f32 v[2:3], v[4:5], v[18:19], v[2:3] op_sel:[0,0,1] op_sel_hi:[1,0,0]
	v_pk_add_f32 v[38:39], v[38:39], 0 op_sel_hi:[1,0]
	s_waitcnt vmcnt(8)
	v_pk_fma_f32 v[4:5], v[6:7], v[20:21], v[40:41] op_sel:[0,0,1] op_sel_hi:[1,1,0] neg_lo:[0,0,1] neg_hi:[0,0,1]
	v_pk_fma_f32 v[6:7], v[6:7], v[20:21], v[40:41] op_sel:[0,0,1] op_sel_hi:[1,0,0]
	v_mov_b32_e32 v55, v3
	s_waitcnt vmcnt(7)
	v_pk_fma_f32 v[18:19], v[8:9], v[22:23], v[42:43] op_sel:[0,0,1] op_sel_hi:[1,1,0] neg_lo:[0,0,1] neg_hi:[0,0,1]
	v_pk_fma_f32 v[8:9], v[8:9], v[22:23], v[42:43] op_sel:[0,0,1] op_sel_hi:[1,0,0]
	v_mov_b32_e32 v5, v7
	v_pk_add_f32 v[2:3], v[38:39], v[54:55]
	s_waitcnt vmcnt(6)
	v_pk_fma_f32 v[20:21], v[10:11], v[24:25], v[44:45] op_sel:[0,0,1] op_sel_hi:[1,1,0] neg_lo:[0,0,1] neg_hi:[0,0,1]
	v_pk_fma_f32 v[10:11], v[10:11], v[24:25], v[44:45] op_sel:[0,0,1] op_sel_hi:[1,0,0]
	v_mov_b32_e32 v19, v9
	v_pk_add_f32 v[2:3], v[2:3], v[4:5]
	;; [unrolled: 5-line block ×5, first 2 shown]
	v_pk_fma_f32 v[28:29], v[36:37], v[32:33], v[52:53] op_sel:[0,0,1] op_sel_hi:[1,1,0] neg_lo:[0,0,1] neg_hi:[0,0,1]
	v_pk_fma_f32 v[30:31], v[36:37], v[32:33], v[52:53] op_sel:[0,0,1] op_sel_hi:[1,0,0]
	v_mov_b32_e32 v27, v17
	v_pk_add_f32 v[2:3], v[2:3], v[24:25]
	v_mov_b32_e32 v29, v31
	v_pk_add_f32 v[2:3], v[2:3], v[26:27]
	v_pk_add_f32 v[2:3], v[2:3], v[28:29]
	s_waitcnt vmcnt(0)
	v_pk_add_f32 v[2:3], v[34:35], v[2:3] neg_lo:[0,1] neg_hi:[0,1]
	buffer_store_dword v2, off, s[0:3], 0 offset:344
	buffer_store_dword v3, off, s[0:3], 0 offset:348
	s_and_saveexec_b64 s[4:5], vcc
	s_cbranch_execz .LBB116_247
; %bb.246:
	buffer_load_dword v2, off, s[0:3], 0 offset:336
	buffer_load_dword v3, off, s[0:3], 0 offset:340
	v_accvgpr_read_b32 v4, a48
	buffer_store_dword v1, off, s[0:3], 0 offset:336
	buffer_store_dword v1, off, s[0:3], 0 offset:340
	s_waitcnt vmcnt(2)
	ds_write_b64 v4, v[2:3]
.LBB116_247:
	s_or_b64 exec, exec, s[4:5]
	s_waitcnt lgkmcnt(0)
	; wave barrier
	s_waitcnt lgkmcnt(0)
	buffer_load_dword v40, off, s[0:3], 0 offset:348
	buffer_load_dword v42, off, s[0:3], 0 offset:356
	;; [unrolled: 1-line block ×22, first 2 shown]
	ds_read2_b64 v[2:5], v1 offset0:97 offset1:98
	ds_read2_b64 v[6:9], v1 offset0:99 offset1:100
	ds_read2_b64 v[10:13], v1 offset0:101 offset1:102
	ds_read2_b64 v[14:17], v1 offset0:103 offset1:104
	ds_read2_b64 v[18:21], v1 offset0:105 offset1:106
	v_cmp_lt_u32_e32 vcc, 41, v0
	s_waitcnt vmcnt(21) lgkmcnt(4)
	v_mul_f32_e32 v41, v2, v40
	v_mul_f32_e32 v1, v3, v40
	s_waitcnt vmcnt(19)
	v_mov_b32_e32 v44, v23
	v_mul_f32_e32 v43, v4, v42
	v_mul_f32_e32 v42, v5, v42
	s_waitcnt vmcnt(18)
	v_mov_b32_e32 v46, v25
	s_waitcnt vmcnt(17)
	v_mov_b32_e32 v48, v27
	;; [unrolled: 2-line block ×6, first 2 shown]
	s_waitcnt vmcnt(11)
	v_fmac_f32_e32 v41, v3, v45
	v_fma_f32 v40, v2, v45, -v1
	s_waitcnt lgkmcnt(3)
	v_pk_mul_f32 v[2:3], v[6:7], v[44:45] op_sel_hi:[1,0]
	s_waitcnt vmcnt(10)
	v_fmac_f32_e32 v43, v5, v47
	v_fma_f32 v42, v4, v47, -v42
	v_pk_mul_f32 v[4:5], v[8:9], v[46:47] op_sel_hi:[1,0]
	s_waitcnt lgkmcnt(2)
	v_pk_mul_f32 v[44:45], v[10:11], v[48:49] op_sel_hi:[1,0]
	v_pk_mul_f32 v[46:47], v[12:13], v[50:51] op_sel_hi:[1,0]
	s_waitcnt lgkmcnt(1)
	v_pk_mul_f32 v[48:49], v[14:15], v[52:53] op_sel_hi:[1,0]
	;; [unrolled: 3-line block ×3, first 2 shown]
	v_pk_add_f32 v[40:41], v[40:41], 0 op_sel_hi:[1,0]
	s_waitcnt vmcnt(9)
	v_pk_fma_f32 v[56:57], v[6:7], v[22:23], v[2:3] op_sel:[0,0,1] op_sel_hi:[1,1,0] neg_lo:[0,0,1] neg_hi:[0,0,1]
	v_pk_fma_f32 v[2:3], v[6:7], v[22:23], v[2:3] op_sel:[0,0,1] op_sel_hi:[1,0,0]
	s_waitcnt vmcnt(8)
	v_pk_fma_f32 v[6:7], v[8:9], v[24:25], v[4:5] op_sel:[0,0,1] op_sel_hi:[1,1,0] neg_lo:[0,0,1] neg_hi:[0,0,1]
	v_pk_fma_f32 v[4:5], v[8:9], v[24:25], v[4:5] op_sel:[0,0,1] op_sel_hi:[1,0,0]
	s_waitcnt vmcnt(7)
	v_pk_fma_f32 v[8:9], v[10:11], v[26:27], v[44:45] op_sel:[0,0,1] op_sel_hi:[1,1,0] neg_lo:[0,0,1] neg_hi:[0,0,1]
	v_pk_fma_f32 v[10:11], v[10:11], v[26:27], v[44:45] op_sel:[0,0,1] op_sel_hi:[1,0,0]
	s_waitcnt vmcnt(2)
	v_pk_fma_f32 v[26:27], v[16:17], v[32:33], v[50:51] op_sel:[0,0,1] op_sel_hi:[1,1,0] neg_lo:[0,0,1] neg_hi:[0,0,1]
	v_pk_fma_f32 v[16:17], v[16:17], v[32:33], v[50:51] op_sel:[0,0,1] op_sel_hi:[1,0,0]
	v_pk_add_f32 v[32:33], v[40:41], v[42:43]
	v_mov_b32_e32 v57, v3
	v_mov_b32_e32 v7, v5
	v_pk_add_f32 v[2:3], v[32:33], v[56:57]
	v_pk_fma_f32 v[22:23], v[12:13], v[28:29], v[46:47] op_sel:[0,0,1] op_sel_hi:[1,1,0] neg_lo:[0,0,1] neg_hi:[0,0,1]
	v_pk_fma_f32 v[12:13], v[12:13], v[28:29], v[46:47] op_sel:[0,0,1] op_sel_hi:[1,0,0]
	v_mov_b32_e32 v9, v11
	v_pk_add_f32 v[2:3], v[2:3], v[6:7]
	v_pk_fma_f32 v[24:25], v[14:15], v[30:31], v[48:49] op_sel:[0,0,1] op_sel_hi:[1,1,0] neg_lo:[0,0,1] neg_hi:[0,0,1]
	v_pk_fma_f32 v[14:15], v[14:15], v[30:31], v[48:49] op_sel:[0,0,1] op_sel_hi:[1,0,0]
	v_mov_b32_e32 v23, v13
	v_pk_add_f32 v[2:3], v[2:3], v[8:9]
	v_mov_b32_e32 v58, v37
	v_mov_b32_e32 v25, v15
	v_pk_add_f32 v[2:3], v[2:3], v[22:23]
	v_pk_mul_f32 v[54:55], v[20:21], v[58:59] op_sel_hi:[1,0]
	v_pk_fma_f32 v[28:29], v[18:19], v[34:35], v[52:53] op_sel:[0,0,1] op_sel_hi:[1,1,0] neg_lo:[0,0,1] neg_hi:[0,0,1]
	v_pk_fma_f32 v[18:19], v[18:19], v[34:35], v[52:53] op_sel:[0,0,1] op_sel_hi:[1,0,0]
	v_mov_b32_e32 v27, v17
	v_pk_add_f32 v[2:3], v[2:3], v[24:25]
	v_pk_fma_f32 v[30:31], v[20:21], v[36:37], v[54:55] op_sel:[0,0,1] op_sel_hi:[1,1,0] neg_lo:[0,0,1] neg_hi:[0,0,1]
	v_pk_fma_f32 v[20:21], v[20:21], v[36:37], v[54:55] op_sel:[0,0,1] op_sel_hi:[1,0,0]
	v_mov_b32_e32 v29, v19
	v_pk_add_f32 v[2:3], v[2:3], v[26:27]
	v_mov_b32_e32 v31, v21
	v_pk_add_f32 v[2:3], v[2:3], v[28:29]
	v_pk_add_f32 v[2:3], v[2:3], v[30:31]
	s_waitcnt vmcnt(0)
	v_pk_add_f32 v[2:3], v[38:39], v[2:3] neg_lo:[0,1] neg_hi:[0,1]
	buffer_store_dword v2, off, s[0:3], 0 offset:336
	buffer_store_dword v3, off, s[0:3], 0 offset:340
	s_and_saveexec_b64 s[4:5], vcc
	s_cbranch_execz .LBB116_249
; %bb.248:
	buffer_load_dword v2, off, s[0:3], 0 offset:328
	buffer_load_dword v3, off, s[0:3], 0 offset:332
	v_mov_b32_e32 v1, 0
	v_accvgpr_read_b32 v4, a48
	buffer_store_dword v1, off, s[0:3], 0 offset:328
	buffer_store_dword v1, off, s[0:3], 0 offset:332
	s_waitcnt vmcnt(2)
	ds_write_b64 v4, v[2:3]
.LBB116_249:
	s_or_b64 exec, exec, s[4:5]
	s_waitcnt lgkmcnt(0)
	; wave barrier
	s_waitcnt lgkmcnt(0)
	buffer_load_dword v42, off, s[0:3], 0 offset:340
	buffer_load_dword v44, off, s[0:3], 0 offset:348
	;; [unrolled: 1-line block ×24, first 2 shown]
	v_mov_b32_e32 v1, 0
	ds_read_b128 v[2:5], v1 offset:768
	ds_read_b128 v[6:9], v1 offset:784
	;; [unrolled: 1-line block ×5, first 2 shown]
	ds_read_b64 v[40:41], v1 offset:848
	v_cmp_lt_u32_e32 vcc, 40, v0
	s_waitcnt vmcnt(23) lgkmcnt(5)
	v_mul_f32_e32 v55, v2, v42
	v_mul_f32_e32 v42, v3, v42
	s_waitcnt vmcnt(22)
	v_mul_f32_e32 v43, v4, v44
	s_waitcnt vmcnt(21) lgkmcnt(4)
	v_mul_f32_e32 v45, v6, v46
	v_mul_f32_e32 v44, v5, v44
	;; [unrolled: 1-line block ×3, first 2 shown]
	s_waitcnt vmcnt(20)
	v_mov_b32_e32 v46, v23
	s_waitcnt vmcnt(19)
	v_mov_b32_e32 v48, v25
	;; [unrolled: 2-line block ×5, first 2 shown]
	s_waitcnt vmcnt(12)
	v_fmac_f32_e32 v55, v3, v47
	v_fma_f32 v57, v2, v47, -v42
	v_mov_b32_e32 v56, v33
	s_waitcnt vmcnt(11)
	v_fmac_f32_e32 v43, v5, v49
	s_waitcnt vmcnt(10)
	v_fmac_f32_e32 v45, v7, v51
	v_fma_f32 v42, v4, v49, -v44
	v_fma_f32 v44, v6, v51, -v53
	v_pk_mul_f32 v[2:3], v[8:9], v[46:47] op_sel_hi:[1,0]
	s_waitcnt lgkmcnt(3)
	v_pk_mul_f32 v[4:5], v[10:11], v[48:49] op_sel_hi:[1,0]
	v_pk_mul_f32 v[6:7], v[12:13], v[50:51] op_sel_hi:[1,0]
	s_waitcnt lgkmcnt(2)
	v_pk_mul_f32 v[46:47], v[14:15], v[52:53] op_sel_hi:[1,0]
	v_pk_mul_f32 v[48:49], v[16:17], v[54:55] op_sel_hi:[1,0]
	v_add_f32_e32 v55, 0, v55
	v_add_f32_e32 v54, 0, v57
	s_waitcnt lgkmcnt(1)
	v_pk_mul_f32 v[50:51], v[18:19], v[56:57] op_sel_hi:[1,0]
	s_waitcnt vmcnt(9)
	v_pk_fma_f32 v[56:57], v[8:9], v[22:23], v[2:3] op_sel:[0,0,1] op_sel_hi:[1,1,0] neg_lo:[0,0,1] neg_hi:[0,0,1]
	v_pk_fma_f32 v[2:3], v[8:9], v[22:23], v[2:3] op_sel:[0,0,1] op_sel_hi:[1,0,0]
	s_waitcnt vmcnt(8)
	v_pk_fma_f32 v[8:9], v[10:11], v[24:25], v[4:5] op_sel:[0,0,1] op_sel_hi:[1,1,0] neg_lo:[0,0,1] neg_hi:[0,0,1]
	v_pk_fma_f32 v[4:5], v[10:11], v[24:25], v[4:5] op_sel:[0,0,1] op_sel_hi:[1,0,0]
	;; [unrolled: 3-line block ×4, first 2 shown]
	v_pk_add_f32 v[28:29], v[54:55], v[42:43]
	v_mov_b32_e32 v57, v3
	v_pk_add_f32 v[2:3], v[28:29], v[44:45]
	v_mov_b32_e32 v9, v5
	;; [unrolled: 2-line block ×4, first 2 shown]
	s_waitcnt vmcnt(2)
	v_pk_fma_f32 v[22:23], v[16:17], v[30:31], v[48:49] op_sel:[0,0,1] op_sel_hi:[1,1,0] neg_lo:[0,0,1] neg_hi:[0,0,1]
	v_pk_fma_f32 v[16:17], v[16:17], v[30:31], v[48:49] op_sel:[0,0,1] op_sel_hi:[1,0,0]
	v_mov_b32_e32 v13, v15
	v_pk_add_f32 v[2:3], v[2:3], v[10:11]
	v_mov_b32_e32 v60, v37
	v_pk_mul_f32 v[52:53], v[20:21], v[58:59] op_sel_hi:[1,0]
	v_pk_fma_f32 v[24:25], v[18:19], v[32:33], v[50:51] op_sel:[0,0,1] op_sel_hi:[1,1,0] neg_lo:[0,0,1] neg_hi:[0,0,1]
	v_pk_fma_f32 v[18:19], v[18:19], v[32:33], v[50:51] op_sel:[0,0,1] op_sel_hi:[1,0,0]
	v_mov_b32_e32 v23, v17
	v_pk_add_f32 v[2:3], v[2:3], v[12:13]
	v_pk_fma_f32 v[26:27], v[20:21], v[34:35], v[52:53] op_sel:[0,0,1] op_sel_hi:[1,1,0] neg_lo:[0,0,1] neg_hi:[0,0,1]
	v_pk_fma_f32 v[20:21], v[20:21], v[34:35], v[52:53] op_sel:[0,0,1] op_sel_hi:[1,0,0]
	v_mov_b32_e32 v25, v19
	v_pk_add_f32 v[2:3], v[2:3], v[22:23]
	s_waitcnt lgkmcnt(0)
	v_pk_mul_f32 v[4:5], v[40:41], v[60:61] op_sel_hi:[1,0]
	v_mov_b32_e32 v27, v21
	v_pk_add_f32 v[2:3], v[2:3], v[24:25]
	v_pk_fma_f32 v[6:7], v[40:41], v[36:37], v[4:5] op_sel:[0,0,1] op_sel_hi:[1,1,0] neg_lo:[0,0,1] neg_hi:[0,0,1]
	v_pk_fma_f32 v[4:5], v[40:41], v[36:37], v[4:5] op_sel:[0,0,1] op_sel_hi:[1,0,0]
	v_pk_add_f32 v[2:3], v[2:3], v[26:27]
	v_mov_b32_e32 v7, v5
	v_pk_add_f32 v[2:3], v[2:3], v[6:7]
	s_waitcnt vmcnt(0)
	v_pk_add_f32 v[2:3], v[38:39], v[2:3] neg_lo:[0,1] neg_hi:[0,1]
	buffer_store_dword v3, off, s[0:3], 0 offset:332
	buffer_store_dword v2, off, s[0:3], 0 offset:328
	s_and_saveexec_b64 s[4:5], vcc
	s_cbranch_execz .LBB116_251
; %bb.250:
	buffer_load_dword v2, off, s[0:3], 0 offset:320
	buffer_load_dword v3, off, s[0:3], 0 offset:324
	v_accvgpr_read_b32 v4, a48
	buffer_store_dword v1, off, s[0:3], 0 offset:320
	buffer_store_dword v1, off, s[0:3], 0 offset:324
	s_waitcnt vmcnt(2)
	ds_write_b64 v4, v[2:3]
.LBB116_251:
	s_or_b64 exec, exec, s[4:5]
	s_waitcnt lgkmcnt(0)
	; wave barrier
	s_waitcnt lgkmcnt(0)
	buffer_load_dword v44, off, s[0:3], 0 offset:332
	buffer_load_dword v46, off, s[0:3], 0 offset:340
	;; [unrolled: 1-line block ×26, first 2 shown]
	ds_read2_b64 v[2:5], v1 offset0:95 offset1:96
	ds_read2_b64 v[6:9], v1 offset0:97 offset1:98
	;; [unrolled: 1-line block ×6, first 2 shown]
	v_cmp_lt_u32_e32 vcc, 39, v0
	s_waitcnt vmcnt(25) lgkmcnt(5)
	v_mul_f32_e32 v1, v2, v44
	v_mul_f32_e32 v44, v3, v44
	s_waitcnt vmcnt(24)
	v_mul_f32_e32 v59, v4, v46
	s_waitcnt vmcnt(23) lgkmcnt(4)
	v_mul_f32_e32 v45, v6, v48
	s_waitcnt vmcnt(22)
	v_mul_f32_e32 v47, v8, v49
	v_mul_f32_e32 v46, v5, v46
	;; [unrolled: 1-line block ×4, first 2 shown]
	s_waitcnt vmcnt(21)
	v_mov_b32_e32 v48, v27
	s_waitcnt vmcnt(20)
	v_mov_b32_e32 v50, v29
	;; [unrolled: 2-line block ×3, first 2 shown]
	s_waitcnt vmcnt(15)
	v_fmac_f32_e32 v1, v3, v51
	v_fma_f32 v61, v2, v51, -v44
	v_mov_b32_e32 v52, v31
	s_waitcnt vmcnt(14)
	v_fmac_f32_e32 v59, v5, v53
	s_waitcnt vmcnt(12)
	v_fmac_f32_e32 v47, v9, v57
	v_fma_f32 v62, v4, v53, -v46
	v_fma_f32 v46, v8, v57, -v49
	s_waitcnt lgkmcnt(3)
	v_pk_mul_f32 v[2:3], v[10:11], v[48:49] op_sel_hi:[1,0]
	v_pk_mul_f32 v[4:5], v[12:13], v[50:51] op_sel_hi:[1,0]
	s_waitcnt lgkmcnt(2)
	v_pk_mul_f32 v[8:9], v[16:17], v[54:55] op_sel_hi:[1,0]
	v_add_f32_e32 v1, 0, v1
	v_add_f32_e32 v54, 0, v61
	v_fmac_f32_e32 v45, v7, v55
	v_fma_f32 v44, v6, v55, -v60
	v_pk_mul_f32 v[6:7], v[14:15], v[52:53] op_sel_hi:[1,0]
	s_waitcnt vmcnt(11)
	v_pk_fma_f32 v[52:53], v[10:11], v[26:27], v[2:3] op_sel:[0,0,1] op_sel_hi:[1,1,0] neg_lo:[0,0,1] neg_hi:[0,0,1]
	v_pk_fma_f32 v[2:3], v[10:11], v[26:27], v[2:3] op_sel:[0,0,1] op_sel_hi:[1,0,0]
	s_waitcnt vmcnt(10)
	v_pk_fma_f32 v[10:11], v[12:13], v[28:29], v[4:5] op_sel:[0,0,1] op_sel_hi:[1,1,0] neg_lo:[0,0,1] neg_hi:[0,0,1]
	v_pk_fma_f32 v[4:5], v[12:13], v[28:29], v[4:5] op_sel:[0,0,1] op_sel_hi:[1,0,0]
	v_add_f32_e32 v29, v1, v59
	v_add_f32_e32 v28, v54, v62
	v_mov_b32_e32 v53, v3
	v_pk_add_f32 v[2:3], v[28:29], v[44:45]
	v_pk_add_f32 v[2:3], v[2:3], v[46:47]
	v_mov_b32_e32 v56, v35
	s_waitcnt vmcnt(9)
	v_pk_fma_f32 v[12:13], v[14:15], v[30:31], v[6:7] op_sel:[0,0,1] op_sel_hi:[1,1,0] neg_lo:[0,0,1] neg_hi:[0,0,1]
	v_pk_fma_f32 v[6:7], v[14:15], v[30:31], v[6:7] op_sel:[0,0,1] op_sel_hi:[1,0,0]
	v_mov_b32_e32 v11, v5
	v_pk_add_f32 v[2:3], v[2:3], v[52:53]
	v_mov_b32_e32 v58, v37
	s_waitcnt lgkmcnt(1)
	v_pk_mul_f32 v[48:49], v[18:19], v[56:57] op_sel_hi:[1,0]
	s_waitcnt vmcnt(5)
	v_pk_fma_f32 v[14:15], v[16:17], v[32:33], v[8:9] op_sel:[0,0,1] op_sel_hi:[1,1,0] neg_lo:[0,0,1] neg_hi:[0,0,1]
	v_pk_fma_f32 v[8:9], v[16:17], v[32:33], v[8:9] op_sel:[0,0,1] op_sel_hi:[1,0,0]
	v_mov_b32_e32 v13, v7
	v_pk_add_f32 v[2:3], v[2:3], v[10:11]
	s_waitcnt vmcnt(4)
	v_mov_b32_e32 v4, v39
	v_pk_mul_f32 v[50:51], v[20:21], v[58:59] op_sel_hi:[1,0]
	v_pk_fma_f32 v[16:17], v[18:19], v[34:35], v[48:49] op_sel:[0,0,1] op_sel_hi:[1,1,0] neg_lo:[0,0,1] neg_hi:[0,0,1]
	v_pk_fma_f32 v[18:19], v[18:19], v[34:35], v[48:49] op_sel:[0,0,1] op_sel_hi:[1,0,0]
	v_mov_b32_e32 v15, v9
	v_pk_add_f32 v[2:3], v[2:3], v[12:13]
	s_waitcnt lgkmcnt(0)
	v_pk_mul_f32 v[4:5], v[22:23], v[4:5] op_sel_hi:[1,0]
	v_pk_fma_f32 v[26:27], v[20:21], v[36:37], v[50:51] op_sel:[0,0,1] op_sel_hi:[1,1,0] neg_lo:[0,0,1] neg_hi:[0,0,1]
	v_pk_fma_f32 v[20:21], v[20:21], v[36:37], v[50:51] op_sel:[0,0,1] op_sel_hi:[1,0,0]
	v_mov_b32_e32 v17, v19
	v_pk_add_f32 v[2:3], v[2:3], v[14:15]
	v_pk_fma_f32 v[6:7], v[22:23], v[38:39], v[4:5] op_sel:[0,0,1] op_sel_hi:[1,1,0] neg_lo:[0,0,1] neg_hi:[0,0,1]
	v_pk_fma_f32 v[4:5], v[22:23], v[38:39], v[4:5] op_sel:[0,0,1] op_sel_hi:[1,0,0]
	v_mov_b32_e32 v27, v21
	v_pk_add_f32 v[2:3], v[2:3], v[16:17]
	s_waitcnt vmcnt(3)
	v_mov_b32_e32 v4, v41
	v_pk_add_f32 v[2:3], v[2:3], v[26:27]
	v_mov_b32_e32 v7, v5
	v_pk_mul_f32 v[4:5], v[24:25], v[4:5] op_sel_hi:[1,0]
	v_pk_add_f32 v[2:3], v[2:3], v[6:7]
	s_waitcnt vmcnt(2)
	v_pk_fma_f32 v[6:7], v[24:25], v[40:41], v[4:5] op_sel:[0,0,1] op_sel_hi:[1,1,0] neg_lo:[0,0,1] neg_hi:[0,0,1]
	v_pk_fma_f32 v[4:5], v[24:25], v[40:41], v[4:5] op_sel:[0,0,1] op_sel_hi:[1,0,0]
	v_mov_b32_e32 v7, v5
	v_pk_add_f32 v[2:3], v[2:3], v[6:7]
	s_waitcnt vmcnt(0)
	v_pk_add_f32 v[2:3], v[42:43], v[2:3] neg_lo:[0,1] neg_hi:[0,1]
	buffer_store_dword v3, off, s[0:3], 0 offset:324
	buffer_store_dword v2, off, s[0:3], 0 offset:320
	s_and_saveexec_b64 s[4:5], vcc
	s_cbranch_execz .LBB116_253
; %bb.252:
	buffer_load_dword v2, off, s[0:3], 0 offset:312
	buffer_load_dword v3, off, s[0:3], 0 offset:316
	v_mov_b32_e32 v1, 0
	v_accvgpr_read_b32 v4, a48
	buffer_store_dword v1, off, s[0:3], 0 offset:312
	buffer_store_dword v1, off, s[0:3], 0 offset:316
	s_waitcnt vmcnt(2)
	ds_write_b64 v4, v[2:3]
.LBB116_253:
	s_or_b64 exec, exec, s[4:5]
	v_mov_b32_e32 v1, 0
	s_waitcnt lgkmcnt(0)
	; wave barrier
	s_waitcnt lgkmcnt(0)
	ds_read_b128 v[4:7], v1 offset:752
	ds_read_b128 v[8:11], v1 offset:768
	;; [unrolled: 1-line block ×4, first 2 shown]
	buffer_load_dword v2, off, s[0:3], 0 offset:312
	buffer_load_dword v3, off, s[0:3], 0 offset:316
	;; [unrolled: 1-line block ×28, first 2 shown]
	v_cmp_lt_u32_e32 vcc, 38, v0
	s_waitcnt vmcnt(24) lgkmcnt(3)
	v_mul_f32_e32 v25, v4, v26
	v_fmac_f32_e32 v25, v5, v24
	v_mul_f32_e32 v5, v5, v26
	s_waitcnt vmcnt(22)
	v_mul_f32_e32 v27, v6, v42
	v_fma_f32 v4, v4, v24, -v5
	v_mul_f32_e32 v5, v7, v42
	v_add_f32_e32 v25, 0, v25
	v_fmac_f32_e32 v27, v7, v28
	v_add_f32_e32 v4, 0, v4
	v_fma_f32 v5, v6, v28, -v5
	v_add_f32_e32 v25, v25, v27
	s_waitcnt vmcnt(20) lgkmcnt(2)
	v_mul_f32_e32 v27, v8, v44
	v_add_f32_e32 v4, v4, v5
	v_mul_f32_e32 v5, v9, v44
	v_fmac_f32_e32 v27, v9, v43
	v_fma_f32 v5, v8, v43, -v5
	v_add_f32_e32 v25, v25, v27
	s_waitcnt vmcnt(18)
	v_mul_f32_e32 v27, v10, v46
	v_add_f32_e32 v24, v4, v5
	v_mul_f32_e32 v4, v11, v46
	v_fmac_f32_e32 v27, v11, v45
	v_fma_f32 v26, v10, v45, -v4
	s_waitcnt vmcnt(16) lgkmcnt(1)
	v_mul_f32_e32 v29, v12, v48
	v_mul_f32_e32 v4, v13, v48
	v_pk_add_f32 v[24:25], v[24:25], v[26:27]
	s_waitcnt vmcnt(14)
	v_mov_b32_e32 v26, v21
	v_fmac_f32_e32 v29, v13, v47
	v_fma_f32 v28, v12, v47, -v4
	v_pk_mul_f32 v[26:27], v[14:15], v[26:27] op_sel_hi:[1,0]
	v_pk_add_f32 v[24:25], v[24:25], v[28:29]
	v_pk_fma_f32 v[28:29], v[14:15], v[20:21], v[26:27] op_sel:[0,0,1] op_sel_hi:[1,1,0] neg_lo:[0,0,1] neg_hi:[0,0,1]
	v_pk_fma_f32 v[14:15], v[14:15], v[20:21], v[26:27] op_sel:[0,0,1] op_sel_hi:[1,0,0]
	s_waitcnt vmcnt(12)
	v_mov_b32_e32 v20, v23
	v_mov_b32_e32 v29, v15
	s_waitcnt lgkmcnt(0)
	v_pk_mul_f32 v[20:21], v[16:17], v[20:21] op_sel_hi:[1,0]
	v_pk_add_f32 v[14:15], v[24:25], v[28:29]
	v_pk_fma_f32 v[24:25], v[16:17], v[22:23], v[20:21] op_sel:[0,0,1] op_sel_hi:[1,1,0] neg_lo:[0,0,1] neg_hi:[0,0,1]
	v_pk_fma_f32 v[16:17], v[16:17], v[22:23], v[20:21] op_sel:[0,0,1] op_sel_hi:[1,0,0]
	s_waitcnt vmcnt(11)
	v_mov_b32_e32 v16, v31
	ds_read_b128 v[4:7], v1 offset:816
	ds_read_b128 v[8:11], v1 offset:832
	ds_read_b64 v[12:13], v1 offset:848
	v_mov_b32_e32 v25, v17
	v_pk_mul_f32 v[16:17], v[18:19], v[16:17] op_sel_hi:[1,0]
	s_waitcnt vmcnt(10)
	v_pk_fma_f32 v[20:21], v[18:19], v[30:31], v[16:17] op_sel:[0,0,1] op_sel_hi:[1,1,0] neg_lo:[0,0,1] neg_hi:[0,0,1]
	v_pk_fma_f32 v[16:17], v[18:19], v[30:31], v[16:17] op_sel:[0,0,1] op_sel_hi:[1,0,0]
	s_waitcnt vmcnt(9)
	v_mov_b32_e32 v16, v33
	v_mov_b32_e32 v21, v17
	s_waitcnt lgkmcnt(2)
	v_pk_mul_f32 v[16:17], v[4:5], v[16:17] op_sel_hi:[1,0]
	v_pk_add_f32 v[14:15], v[14:15], v[24:25]
	s_waitcnt vmcnt(8)
	v_pk_fma_f32 v[18:19], v[4:5], v[32:33], v[16:17] op_sel:[0,0,1] op_sel_hi:[1,1,0] neg_lo:[0,0,1] neg_hi:[0,0,1]
	v_pk_fma_f32 v[4:5], v[4:5], v[32:33], v[16:17] op_sel:[0,0,1] op_sel_hi:[1,0,0]
	v_pk_add_f32 v[14:15], v[14:15], v[20:21]
	v_mov_b32_e32 v19, v5
	v_pk_add_f32 v[4:5], v[14:15], v[18:19]
	s_waitcnt vmcnt(7)
	v_mov_b32_e32 v14, v35
	v_pk_mul_f32 v[14:15], v[6:7], v[14:15] op_sel_hi:[1,0]
	s_waitcnt vmcnt(6)
	v_pk_fma_f32 v[16:17], v[6:7], v[34:35], v[14:15] op_sel:[0,0,1] op_sel_hi:[1,1,0] neg_lo:[0,0,1] neg_hi:[0,0,1]
	v_pk_fma_f32 v[6:7], v[6:7], v[34:35], v[14:15] op_sel:[0,0,1] op_sel_hi:[1,0,0]
	s_waitcnt vmcnt(5)
	v_mov_b32_e32 v6, v37
	v_mov_b32_e32 v17, v7
	s_waitcnt lgkmcnt(1)
	v_pk_mul_f32 v[6:7], v[8:9], v[6:7] op_sel_hi:[1,0]
	s_waitcnt vmcnt(4)
	v_pk_fma_f32 v[14:15], v[8:9], v[36:37], v[6:7] op_sel:[0,0,1] op_sel_hi:[1,1,0] neg_lo:[0,0,1] neg_hi:[0,0,1]
	v_pk_fma_f32 v[6:7], v[8:9], v[36:37], v[6:7] op_sel:[0,0,1] op_sel_hi:[1,0,0]
	s_waitcnt vmcnt(3)
	v_mov_b32_e32 v6, v39
	v_mov_b32_e32 v15, v7
	v_pk_mul_f32 v[6:7], v[10:11], v[6:7] op_sel_hi:[1,0]
	s_waitcnt vmcnt(2)
	v_pk_fma_f32 v[8:9], v[10:11], v[38:39], v[6:7] op_sel:[0,0,1] op_sel_hi:[1,1,0] neg_lo:[0,0,1] neg_hi:[0,0,1]
	v_pk_fma_f32 v[6:7], v[10:11], v[38:39], v[6:7] op_sel:[0,0,1] op_sel_hi:[1,0,0]
	v_pk_add_f32 v[4:5], v[4:5], v[16:17]
	s_waitcnt vmcnt(1)
	v_mov_b32_e32 v6, v41
	v_pk_add_f32 v[4:5], v[4:5], v[14:15]
	v_mov_b32_e32 v9, v7
	s_waitcnt lgkmcnt(0)
	v_pk_mul_f32 v[6:7], v[12:13], v[6:7] op_sel_hi:[1,0]
	v_pk_add_f32 v[4:5], v[4:5], v[8:9]
	s_waitcnt vmcnt(0)
	v_pk_fma_f32 v[8:9], v[12:13], v[40:41], v[6:7] op_sel:[0,0,1] op_sel_hi:[1,1,0] neg_lo:[0,0,1] neg_hi:[0,0,1]
	v_pk_fma_f32 v[6:7], v[12:13], v[40:41], v[6:7] op_sel:[0,0,1] op_sel_hi:[1,0,0]
	v_mov_b32_e32 v9, v7
	v_pk_add_f32 v[4:5], v[4:5], v[8:9]
	v_pk_add_f32 v[2:3], v[2:3], v[4:5] neg_lo:[0,1] neg_hi:[0,1]
	buffer_store_dword v3, off, s[0:3], 0 offset:316
	buffer_store_dword v2, off, s[0:3], 0 offset:312
	s_and_saveexec_b64 s[4:5], vcc
	s_cbranch_execz .LBB116_255
; %bb.254:
	buffer_load_dword v2, off, s[0:3], 0 offset:304
	buffer_load_dword v3, off, s[0:3], 0 offset:308
	v_accvgpr_read_b32 v4, a48
	buffer_store_dword v1, off, s[0:3], 0 offset:304
	buffer_store_dword v1, off, s[0:3], 0 offset:308
	s_waitcnt vmcnt(2)
	ds_write_b64 v4, v[2:3]
.LBB116_255:
	s_or_b64 exec, exec, s[4:5]
	s_waitcnt lgkmcnt(0)
	; wave barrier
	s_waitcnt lgkmcnt(0)
	ds_read2_b64 v[4:7], v1 offset0:93 offset1:94
	buffer_load_dword v2, off, s[0:3], 0 offset:304
	buffer_load_dword v3, off, s[0:3], 0 offset:308
	;; [unrolled: 1-line block ×16, first 2 shown]
	v_cmp_lt_u32_e32 vcc, 37, v0
	ds_read2_b64 v[16:19], v1 offset0:99 offset1:100
	s_waitcnt vmcnt(12) lgkmcnt(1)
	v_mul_f32_e32 v8, v4, v24
	v_fmac_f32_e32 v8, v5, v22
	s_waitcnt vmcnt(10)
	v_mul_f32_e32 v9, v6, v42
	v_add_f32_e32 v8, 0, v8
	v_fmac_f32_e32 v9, v7, v26
	v_add_f32_e32 v12, v8, v9
	ds_read2_b64 v[8:11], v1 offset0:95 offset1:96
	v_mul_f32_e32 v5, v5, v24
	v_fma_f32 v4, v4, v22, -v5
	v_mul_f32_e32 v5, v7, v42
	v_add_f32_e32 v4, 0, v4
	s_waitcnt vmcnt(8) lgkmcnt(0)
	v_mul_f32_e32 v13, v8, v44
	v_fmac_f32_e32 v13, v9, v43
	v_add_f32_e32 v12, v12, v13
	s_waitcnt vmcnt(6)
	v_mul_f32_e32 v13, v10, v46
	v_fmac_f32_e32 v13, v11, v45
	v_add_f32_e32 v23, v12, v13
	ds_read2_b64 v[12:15], v1 offset0:97 offset1:98
	buffer_load_dword v29, off, s[0:3], 0 offset:372
	buffer_load_dword v28, off, s[0:3], 0 offset:368
	;; [unrolled: 1-line block ×14, first 2 shown]
	v_fma_f32 v5, v6, v26, -v5
	v_add_f32_e32 v4, v4, v5
	v_mul_f32_e32 v5, v9, v44
	v_fma_f32 v5, v8, v43, -v5
	v_add_f32_e32 v4, v4, v5
	v_mul_f32_e32 v5, v11, v46
	v_fma_f32 v5, v10, v45, -v5
	s_waitcnt vmcnt(18) lgkmcnt(0)
	v_mul_f32_e32 v25, v12, v48
	v_add_f32_e32 v22, v4, v5
	v_mul_f32_e32 v4, v13, v48
	v_fmac_f32_e32 v25, v13, v47
	v_fma_f32 v24, v12, v47, -v4
	s_waitcnt vmcnt(16)
	v_mul_f32_e32 v27, v14, v50
	v_mul_f32_e32 v4, v15, v50
	v_pk_add_f32 v[22:23], v[22:23], v[24:25]
	s_waitcnt vmcnt(14)
	v_mov_b32_e32 v24, v21
	v_fmac_f32_e32 v27, v15, v49
	v_fma_f32 v26, v14, v49, -v4
	v_pk_mul_f32 v[24:25], v[16:17], v[24:25] op_sel_hi:[1,0]
	v_pk_add_f32 v[22:23], v[22:23], v[26:27]
	v_pk_fma_f32 v[26:27], v[16:17], v[20:21], v[24:25] op_sel:[0,0,1] op_sel_hi:[1,1,0] neg_lo:[0,0,1] neg_hi:[0,0,1]
	v_pk_fma_f32 v[16:17], v[16:17], v[20:21], v[24:25] op_sel:[0,0,1] op_sel_hi:[1,0,0]
	ds_read2_b64 v[4:7], v1 offset0:101 offset1:102
	ds_read2_b64 v[8:11], v1 offset0:103 offset1:104
	;; [unrolled: 1-line block ×3, first 2 shown]
	v_mov_b32_e32 v27, v17
	v_pk_add_f32 v[16:17], v[22:23], v[26:27]
	s_waitcnt vmcnt(13)
	v_mov_b32_e32 v20, v29
	v_pk_mul_f32 v[20:21], v[18:19], v[20:21] op_sel_hi:[1,0]
	s_waitcnt vmcnt(12)
	v_pk_fma_f32 v[22:23], v[18:19], v[28:29], v[20:21] op_sel:[0,0,1] op_sel_hi:[1,1,0] neg_lo:[0,0,1] neg_hi:[0,0,1]
	v_pk_fma_f32 v[18:19], v[18:19], v[28:29], v[20:21] op_sel:[0,0,1] op_sel_hi:[1,0,0]
	s_waitcnt vmcnt(11)
	v_mov_b32_e32 v18, v31
	v_mov_b32_e32 v23, v19
	s_waitcnt lgkmcnt(2)
	v_pk_mul_f32 v[18:19], v[4:5], v[18:19] op_sel_hi:[1,0]
	s_waitcnt vmcnt(10)
	v_pk_fma_f32 v[20:21], v[4:5], v[30:31], v[18:19] op_sel:[0,0,1] op_sel_hi:[1,1,0] neg_lo:[0,0,1] neg_hi:[0,0,1]
	v_pk_fma_f32 v[4:5], v[4:5], v[30:31], v[18:19] op_sel:[0,0,1] op_sel_hi:[1,0,0]
	v_pk_add_f32 v[16:17], v[16:17], v[22:23]
	v_mov_b32_e32 v21, v5
	v_pk_add_f32 v[4:5], v[16:17], v[20:21]
	s_waitcnt vmcnt(9)
	v_mov_b32_e32 v16, v33
	v_pk_mul_f32 v[16:17], v[6:7], v[16:17] op_sel_hi:[1,0]
	s_waitcnt vmcnt(8)
	v_pk_fma_f32 v[18:19], v[6:7], v[32:33], v[16:17] op_sel:[0,0,1] op_sel_hi:[1,1,0] neg_lo:[0,0,1] neg_hi:[0,0,1]
	v_pk_fma_f32 v[6:7], v[6:7], v[32:33], v[16:17] op_sel:[0,0,1] op_sel_hi:[1,0,0]
	s_waitcnt vmcnt(7)
	v_mov_b32_e32 v6, v35
	v_mov_b32_e32 v19, v7
	s_waitcnt lgkmcnt(1)
	v_pk_mul_f32 v[6:7], v[8:9], v[6:7] op_sel_hi:[1,0]
	s_waitcnt vmcnt(6)
	v_pk_fma_f32 v[16:17], v[8:9], v[34:35], v[6:7] op_sel:[0,0,1] op_sel_hi:[1,1,0] neg_lo:[0,0,1] neg_hi:[0,0,1]
	v_pk_fma_f32 v[6:7], v[8:9], v[34:35], v[6:7] op_sel:[0,0,1] op_sel_hi:[1,0,0]
	s_waitcnt vmcnt(5)
	v_mov_b32_e32 v6, v37
	v_mov_b32_e32 v17, v7
	v_pk_mul_f32 v[6:7], v[10:11], v[6:7] op_sel_hi:[1,0]
	s_waitcnt vmcnt(4)
	v_pk_fma_f32 v[8:9], v[10:11], v[36:37], v[6:7] op_sel:[0,0,1] op_sel_hi:[1,1,0] neg_lo:[0,0,1] neg_hi:[0,0,1]
	v_pk_fma_f32 v[6:7], v[10:11], v[36:37], v[6:7] op_sel:[0,0,1] op_sel_hi:[1,0,0]
	v_pk_add_f32 v[4:5], v[4:5], v[18:19]
	s_waitcnt vmcnt(3)
	v_mov_b32_e32 v6, v39
	v_pk_add_f32 v[4:5], v[4:5], v[16:17]
	v_mov_b32_e32 v9, v7
	s_waitcnt lgkmcnt(0)
	v_pk_mul_f32 v[6:7], v[12:13], v[6:7] op_sel_hi:[1,0]
	v_pk_add_f32 v[4:5], v[4:5], v[8:9]
	s_waitcnt vmcnt(2)
	v_pk_fma_f32 v[8:9], v[12:13], v[38:39], v[6:7] op_sel:[0,0,1] op_sel_hi:[1,1,0] neg_lo:[0,0,1] neg_hi:[0,0,1]
	v_pk_fma_f32 v[6:7], v[12:13], v[38:39], v[6:7] op_sel:[0,0,1] op_sel_hi:[1,0,0]
	s_waitcnt vmcnt(1)
	v_mov_b32_e32 v6, v41
	v_mov_b32_e32 v9, v7
	v_pk_mul_f32 v[6:7], v[14:15], v[6:7] op_sel_hi:[1,0]
	v_pk_add_f32 v[4:5], v[4:5], v[8:9]
	s_waitcnt vmcnt(0)
	v_pk_fma_f32 v[8:9], v[14:15], v[40:41], v[6:7] op_sel:[0,0,1] op_sel_hi:[1,1,0] neg_lo:[0,0,1] neg_hi:[0,0,1]
	v_pk_fma_f32 v[6:7], v[14:15], v[40:41], v[6:7] op_sel:[0,0,1] op_sel_hi:[1,0,0]
	v_mov_b32_e32 v9, v7
	v_pk_add_f32 v[4:5], v[4:5], v[8:9]
	v_pk_add_f32 v[2:3], v[2:3], v[4:5] neg_lo:[0,1] neg_hi:[0,1]
	buffer_store_dword v3, off, s[0:3], 0 offset:308
	buffer_store_dword v2, off, s[0:3], 0 offset:304
	s_and_saveexec_b64 s[4:5], vcc
	s_cbranch_execz .LBB116_257
; %bb.256:
	buffer_load_dword v2, off, s[0:3], 0 offset:296
	buffer_load_dword v3, off, s[0:3], 0 offset:300
	v_mov_b32_e32 v1, 0
	v_accvgpr_read_b32 v4, a48
	buffer_store_dword v1, off, s[0:3], 0 offset:296
	buffer_store_dword v1, off, s[0:3], 0 offset:300
	s_waitcnt vmcnt(2)
	ds_write_b64 v4, v[2:3]
.LBB116_257:
	s_or_b64 exec, exec, s[4:5]
	v_mov_b32_e32 v1, 0
	s_waitcnt lgkmcnt(0)
	; wave barrier
	s_waitcnt lgkmcnt(0)
	ds_read_b128 v[4:7], v1 offset:736
	ds_read_b128 v[8:11], v1 offset:752
	;; [unrolled: 1-line block ×4, first 2 shown]
	buffer_load_dword v2, off, s[0:3], 0 offset:296
	buffer_load_dword v3, off, s[0:3], 0 offset:300
	;; [unrolled: 1-line block ×32, first 2 shown]
	v_cmp_lt_u32_e32 vcc, 36, v0
	s_waitcnt vmcnt(28) lgkmcnt(3)
	v_mul_f32_e32 v21, v4, v22
	v_fmac_f32_e32 v21, v5, v20
	v_mul_f32_e32 v5, v5, v22
	s_waitcnt vmcnt(26)
	v_mul_f32_e32 v23, v6, v42
	v_fma_f32 v4, v4, v20, -v5
	v_mul_f32_e32 v5, v7, v42
	v_add_f32_e32 v21, 0, v21
	v_fmac_f32_e32 v23, v7, v24
	v_add_f32_e32 v4, 0, v4
	v_fma_f32 v5, v6, v24, -v5
	v_add_f32_e32 v21, v21, v23
	s_waitcnt vmcnt(24) lgkmcnt(2)
	v_mul_f32_e32 v23, v8, v44
	v_add_f32_e32 v4, v4, v5
	v_mul_f32_e32 v5, v9, v44
	v_fmac_f32_e32 v23, v9, v43
	v_fma_f32 v5, v8, v43, -v5
	v_add_f32_e32 v21, v21, v23
	s_waitcnt vmcnt(22)
	v_mul_f32_e32 v23, v10, v46
	v_add_f32_e32 v4, v4, v5
	v_mul_f32_e32 v5, v11, v46
	v_fmac_f32_e32 v23, v11, v45
	v_fma_f32 v5, v10, v45, -v5
	v_add_f32_e32 v21, v21, v23
	s_waitcnt vmcnt(20) lgkmcnt(1)
	v_mul_f32_e32 v23, v12, v48
	v_add_f32_e32 v4, v4, v5
	v_mul_f32_e32 v5, v13, v48
	v_fmac_f32_e32 v23, v13, v47
	v_fma_f32 v5, v12, v47, -v5
	v_add_f32_e32 v21, v21, v23
	s_waitcnt vmcnt(18)
	v_mul_f32_e32 v23, v14, v50
	v_add_f32_e32 v20, v4, v5
	v_mul_f32_e32 v4, v15, v50
	v_fmac_f32_e32 v23, v15, v49
	v_fma_f32 v22, v14, v49, -v4
	s_waitcnt vmcnt(16) lgkmcnt(0)
	v_mul_f32_e32 v25, v16, v52
	v_mul_f32_e32 v4, v17, v52
	v_pk_add_f32 v[20:21], v[20:21], v[22:23]
	s_waitcnt vmcnt(15)
	v_mov_b32_e32 v22, v27
	v_fmac_f32_e32 v25, v17, v51
	v_fma_f32 v24, v16, v51, -v4
	v_pk_mul_f32 v[22:23], v[18:19], v[22:23] op_sel_hi:[1,0]
	v_pk_add_f32 v[20:21], v[20:21], v[24:25]
	s_waitcnt vmcnt(14)
	v_pk_fma_f32 v[24:25], v[18:19], v[26:27], v[22:23] op_sel:[0,0,1] op_sel_hi:[1,1,0] neg_lo:[0,0,1] neg_hi:[0,0,1]
	v_pk_fma_f32 v[18:19], v[18:19], v[26:27], v[22:23] op_sel:[0,0,1] op_sel_hi:[1,0,0]
	ds_read_b128 v[4:7], v1 offset:800
	ds_read_b128 v[8:11], v1 offset:816
	;; [unrolled: 1-line block ×3, first 2 shown]
	ds_read_b64 v[16:17], v1 offset:848
	v_mov_b32_e32 v25, v19
	v_pk_add_f32 v[18:19], v[20:21], v[24:25]
	s_waitcnt vmcnt(13)
	v_mov_b32_e32 v20, v29
	s_waitcnt lgkmcnt(3)
	v_pk_mul_f32 v[20:21], v[4:5], v[20:21] op_sel_hi:[1,0]
	s_waitcnt vmcnt(12)
	v_pk_fma_f32 v[22:23], v[4:5], v[28:29], v[20:21] op_sel:[0,0,1] op_sel_hi:[1,1,0] neg_lo:[0,0,1] neg_hi:[0,0,1]
	v_pk_fma_f32 v[4:5], v[4:5], v[28:29], v[20:21] op_sel:[0,0,1] op_sel_hi:[1,0,0]
	v_mov_b32_e32 v23, v5
	v_pk_add_f32 v[4:5], v[18:19], v[22:23]
	s_waitcnt vmcnt(11)
	v_mov_b32_e32 v18, v31
	v_pk_mul_f32 v[18:19], v[6:7], v[18:19] op_sel_hi:[1,0]
	s_waitcnt vmcnt(10)
	v_pk_fma_f32 v[20:21], v[6:7], v[30:31], v[18:19] op_sel:[0,0,1] op_sel_hi:[1,1,0] neg_lo:[0,0,1] neg_hi:[0,0,1]
	v_pk_fma_f32 v[6:7], v[6:7], v[30:31], v[18:19] op_sel:[0,0,1] op_sel_hi:[1,0,0]
	s_waitcnt vmcnt(9)
	v_mov_b32_e32 v6, v33
	v_mov_b32_e32 v21, v7
	s_waitcnt lgkmcnt(2)
	v_pk_mul_f32 v[6:7], v[8:9], v[6:7] op_sel_hi:[1,0]
	s_waitcnt vmcnt(8)
	v_pk_fma_f32 v[18:19], v[8:9], v[32:33], v[6:7] op_sel:[0,0,1] op_sel_hi:[1,1,0] neg_lo:[0,0,1] neg_hi:[0,0,1]
	v_pk_fma_f32 v[6:7], v[8:9], v[32:33], v[6:7] op_sel:[0,0,1] op_sel_hi:[1,0,0]
	s_waitcnt vmcnt(7)
	v_mov_b32_e32 v6, v35
	v_mov_b32_e32 v19, v7
	v_pk_mul_f32 v[6:7], v[10:11], v[6:7] op_sel_hi:[1,0]
	s_waitcnt vmcnt(6)
	v_pk_fma_f32 v[8:9], v[10:11], v[34:35], v[6:7] op_sel:[0,0,1] op_sel_hi:[1,1,0] neg_lo:[0,0,1] neg_hi:[0,0,1]
	v_pk_fma_f32 v[6:7], v[10:11], v[34:35], v[6:7] op_sel:[0,0,1] op_sel_hi:[1,0,0]
	v_pk_add_f32 v[4:5], v[4:5], v[20:21]
	s_waitcnt vmcnt(5)
	v_mov_b32_e32 v6, v37
	v_pk_add_f32 v[4:5], v[4:5], v[18:19]
	v_mov_b32_e32 v9, v7
	s_waitcnt lgkmcnt(1)
	v_pk_mul_f32 v[6:7], v[12:13], v[6:7] op_sel_hi:[1,0]
	v_pk_add_f32 v[4:5], v[4:5], v[8:9]
	s_waitcnt vmcnt(4)
	v_pk_fma_f32 v[8:9], v[12:13], v[36:37], v[6:7] op_sel:[0,0,1] op_sel_hi:[1,1,0] neg_lo:[0,0,1] neg_hi:[0,0,1]
	v_pk_fma_f32 v[6:7], v[12:13], v[36:37], v[6:7] op_sel:[0,0,1] op_sel_hi:[1,0,0]
	s_waitcnt vmcnt(3)
	v_mov_b32_e32 v6, v39
	v_mov_b32_e32 v9, v7
	v_pk_mul_f32 v[6:7], v[14:15], v[6:7] op_sel_hi:[1,0]
	v_pk_add_f32 v[4:5], v[4:5], v[8:9]
	s_waitcnt vmcnt(2)
	v_pk_fma_f32 v[8:9], v[14:15], v[38:39], v[6:7] op_sel:[0,0,1] op_sel_hi:[1,1,0] neg_lo:[0,0,1] neg_hi:[0,0,1]
	v_pk_fma_f32 v[6:7], v[14:15], v[38:39], v[6:7] op_sel:[0,0,1] op_sel_hi:[1,0,0]
	s_waitcnt vmcnt(1)
	v_mov_b32_e32 v6, v41
	v_mov_b32_e32 v9, v7
	s_waitcnt lgkmcnt(0)
	v_pk_mul_f32 v[6:7], v[16:17], v[6:7] op_sel_hi:[1,0]
	v_pk_add_f32 v[4:5], v[4:5], v[8:9]
	s_waitcnt vmcnt(0)
	v_pk_fma_f32 v[8:9], v[16:17], v[40:41], v[6:7] op_sel:[0,0,1] op_sel_hi:[1,1,0] neg_lo:[0,0,1] neg_hi:[0,0,1]
	v_pk_fma_f32 v[6:7], v[16:17], v[40:41], v[6:7] op_sel:[0,0,1] op_sel_hi:[1,0,0]
	v_mov_b32_e32 v9, v7
	v_pk_add_f32 v[4:5], v[4:5], v[8:9]
	v_pk_add_f32 v[2:3], v[2:3], v[4:5] neg_lo:[0,1] neg_hi:[0,1]
	buffer_store_dword v3, off, s[0:3], 0 offset:300
	buffer_store_dword v2, off, s[0:3], 0 offset:296
	s_and_saveexec_b64 s[4:5], vcc
	s_cbranch_execz .LBB116_259
; %bb.258:
	buffer_load_dword v2, off, s[0:3], 0 offset:288
	buffer_load_dword v3, off, s[0:3], 0 offset:292
	v_accvgpr_read_b32 v4, a48
	buffer_store_dword v1, off, s[0:3], 0 offset:288
	buffer_store_dword v1, off, s[0:3], 0 offset:292
	s_waitcnt vmcnt(2)
	ds_write_b64 v4, v[2:3]
.LBB116_259:
	s_or_b64 exec, exec, s[4:5]
	s_waitcnt lgkmcnt(0)
	; wave barrier
	s_waitcnt lgkmcnt(0)
	ds_read2_b64 v[4:7], v1 offset0:91 offset1:92
	buffer_load_dword v2, off, s[0:3], 0 offset:288
	buffer_load_dword v3, off, s[0:3], 0 offset:292
	;; [unrolled: 1-line block ×16, first 2 shown]
	v_cmp_lt_u32_e32 vcc, 35, v0
	s_waitcnt vmcnt(12) lgkmcnt(0)
	v_mul_f32_e32 v8, v4, v26
	v_fmac_f32_e32 v8, v5, v24
	s_waitcnt vmcnt(10)
	v_mul_f32_e32 v9, v6, v46
	v_add_f32_e32 v8, 0, v8
	v_fmac_f32_e32 v9, v7, v28
	v_add_f32_e32 v12, v8, v9
	ds_read2_b64 v[8:11], v1 offset0:93 offset1:94
	v_mul_f32_e32 v5, v5, v26
	v_fma_f32 v4, v4, v24, -v5
	v_mul_f32_e32 v5, v7, v46
	v_add_f32_e32 v4, 0, v4
	s_waitcnt vmcnt(8) lgkmcnt(0)
	v_mul_f32_e32 v13, v8, v48
	v_fmac_f32_e32 v13, v9, v47
	v_add_f32_e32 v12, v12, v13
	s_waitcnt vmcnt(6)
	v_mul_f32_e32 v13, v10, v50
	v_fmac_f32_e32 v13, v11, v49
	v_add_f32_e32 v16, v12, v13
	ds_read2_b64 v[12:15], v1 offset0:95 offset1:96
	v_fma_f32 v5, v6, v28, -v5
	v_add_f32_e32 v4, v4, v5
	v_mul_f32_e32 v5, v9, v48
	v_fma_f32 v5, v8, v47, -v5
	s_waitcnt vmcnt(4) lgkmcnt(0)
	v_mul_f32_e32 v17, v12, v52
	v_fmac_f32_e32 v17, v13, v51
	v_add_f32_e32 v16, v16, v17
	s_waitcnt vmcnt(2)
	v_mul_f32_e32 v17, v14, v54
	v_fmac_f32_e32 v17, v15, v53
	v_add_f32_e32 v25, v16, v17
	ds_read2_b64 v[16:19], v1 offset0:97 offset1:98
	buffer_load_dword v57, off, s[0:3], 0 offset:352
	buffer_load_dword v58, off, s[0:3], 0 offset:356
	;; [unrolled: 1-line block ×4, first 2 shown]
	ds_read2_b64 v[20:23], v1 offset0:99 offset1:100
	buffer_load_dword v33, off, s[0:3], 0 offset:372
	buffer_load_dword v32, off, s[0:3], 0 offset:368
	;; [unrolled: 1-line block ×14, first 2 shown]
	v_add_f32_e32 v4, v4, v5
	v_mul_f32_e32 v5, v11, v50
	v_fma_f32 v5, v10, v49, -v5
	v_add_f32_e32 v4, v4, v5
	v_mul_f32_e32 v5, v13, v52
	v_fma_f32 v5, v12, v51, -v5
	;; [unrolled: 3-line block ×3, first 2 shown]
	v_add_f32_e32 v24, v4, v5
	s_waitcnt vmcnt(18) lgkmcnt(1)
	v_mul_f32_e32 v4, v17, v56
	v_fma_f32 v26, v16, v55, -v4
	v_mul_f32_e32 v27, v16, v56
	v_fmac_f32_e32 v27, v17, v55
	v_pk_add_f32 v[16:17], v[24:25], v[26:27]
	s_waitcnt vmcnt(16)
	v_mul_f32_e32 v4, v19, v58
	v_mul_f32_e32 v29, v18, v58
	v_fma_f32 v28, v18, v57, -v4
	s_waitcnt vmcnt(15)
	v_mov_b32_e32 v18, v31
	v_fmac_f32_e32 v29, v19, v57
	s_waitcnt lgkmcnt(0)
	v_pk_mul_f32 v[18:19], v[20:21], v[18:19] op_sel_hi:[1,0]
	s_waitcnt vmcnt(14)
	v_pk_fma_f32 v[24:25], v[20:21], v[30:31], v[18:19] op_sel:[0,0,1] op_sel_hi:[1,1,0] neg_lo:[0,0,1] neg_hi:[0,0,1]
	v_pk_fma_f32 v[18:19], v[20:21], v[30:31], v[18:19] op_sel:[0,0,1] op_sel_hi:[1,0,0]
	s_waitcnt vmcnt(13)
	v_mov_b32_e32 v18, v33
	ds_read2_b64 v[4:7], v1 offset0:101 offset1:102
	ds_read2_b64 v[8:11], v1 offset0:103 offset1:104
	;; [unrolled: 1-line block ×3, first 2 shown]
	v_mov_b32_e32 v25, v19
	v_pk_mul_f32 v[18:19], v[22:23], v[18:19] op_sel_hi:[1,0]
	s_waitcnt vmcnt(12)
	v_pk_fma_f32 v[20:21], v[22:23], v[32:33], v[18:19] op_sel:[0,0,1] op_sel_hi:[1,1,0] neg_lo:[0,0,1] neg_hi:[0,0,1]
	v_pk_fma_f32 v[18:19], v[22:23], v[32:33], v[18:19] op_sel:[0,0,1] op_sel_hi:[1,0,0]
	v_pk_add_f32 v[16:17], v[16:17], v[28:29]
	s_waitcnt vmcnt(11)
	v_mov_b32_e32 v18, v35
	v_pk_add_f32 v[16:17], v[16:17], v[24:25]
	v_mov_b32_e32 v21, v19
	s_waitcnt lgkmcnt(2)
	v_pk_mul_f32 v[18:19], v[4:5], v[18:19] op_sel_hi:[1,0]
	v_pk_add_f32 v[16:17], v[16:17], v[20:21]
	s_waitcnt vmcnt(10)
	v_pk_fma_f32 v[20:21], v[4:5], v[34:35], v[18:19] op_sel:[0,0,1] op_sel_hi:[1,1,0] neg_lo:[0,0,1] neg_hi:[0,0,1]
	v_pk_fma_f32 v[4:5], v[4:5], v[34:35], v[18:19] op_sel:[0,0,1] op_sel_hi:[1,0,0]
	v_mov_b32_e32 v21, v5
	v_pk_add_f32 v[4:5], v[16:17], v[20:21]
	s_waitcnt vmcnt(9)
	v_mov_b32_e32 v16, v37
	v_pk_mul_f32 v[16:17], v[6:7], v[16:17] op_sel_hi:[1,0]
	s_waitcnt vmcnt(8)
	v_pk_fma_f32 v[18:19], v[6:7], v[36:37], v[16:17] op_sel:[0,0,1] op_sel_hi:[1,1,0] neg_lo:[0,0,1] neg_hi:[0,0,1]
	v_pk_fma_f32 v[6:7], v[6:7], v[36:37], v[16:17] op_sel:[0,0,1] op_sel_hi:[1,0,0]
	s_waitcnt vmcnt(7)
	v_mov_b32_e32 v6, v39
	v_mov_b32_e32 v19, v7
	s_waitcnt lgkmcnt(1)
	v_pk_mul_f32 v[6:7], v[8:9], v[6:7] op_sel_hi:[1,0]
	s_waitcnt vmcnt(6)
	v_pk_fma_f32 v[16:17], v[8:9], v[38:39], v[6:7] op_sel:[0,0,1] op_sel_hi:[1,1,0] neg_lo:[0,0,1] neg_hi:[0,0,1]
	v_pk_fma_f32 v[6:7], v[8:9], v[38:39], v[6:7] op_sel:[0,0,1] op_sel_hi:[1,0,0]
	s_waitcnt vmcnt(5)
	v_mov_b32_e32 v6, v41
	v_mov_b32_e32 v17, v7
	v_pk_mul_f32 v[6:7], v[10:11], v[6:7] op_sel_hi:[1,0]
	s_waitcnt vmcnt(4)
	v_pk_fma_f32 v[8:9], v[10:11], v[40:41], v[6:7] op_sel:[0,0,1] op_sel_hi:[1,1,0] neg_lo:[0,0,1] neg_hi:[0,0,1]
	v_pk_fma_f32 v[6:7], v[10:11], v[40:41], v[6:7] op_sel:[0,0,1] op_sel_hi:[1,0,0]
	v_pk_add_f32 v[4:5], v[4:5], v[18:19]
	s_waitcnt vmcnt(3)
	v_mov_b32_e32 v6, v43
	v_pk_add_f32 v[4:5], v[4:5], v[16:17]
	v_mov_b32_e32 v9, v7
	s_waitcnt lgkmcnt(0)
	v_pk_mul_f32 v[6:7], v[12:13], v[6:7] op_sel_hi:[1,0]
	v_pk_add_f32 v[4:5], v[4:5], v[8:9]
	s_waitcnt vmcnt(2)
	v_pk_fma_f32 v[8:9], v[12:13], v[42:43], v[6:7] op_sel:[0,0,1] op_sel_hi:[1,1,0] neg_lo:[0,0,1] neg_hi:[0,0,1]
	v_pk_fma_f32 v[6:7], v[12:13], v[42:43], v[6:7] op_sel:[0,0,1] op_sel_hi:[1,0,0]
	s_waitcnt vmcnt(1)
	v_mov_b32_e32 v6, v45
	v_mov_b32_e32 v9, v7
	v_pk_mul_f32 v[6:7], v[14:15], v[6:7] op_sel_hi:[1,0]
	v_pk_add_f32 v[4:5], v[4:5], v[8:9]
	s_waitcnt vmcnt(0)
	v_pk_fma_f32 v[8:9], v[14:15], v[44:45], v[6:7] op_sel:[0,0,1] op_sel_hi:[1,1,0] neg_lo:[0,0,1] neg_hi:[0,0,1]
	v_pk_fma_f32 v[6:7], v[14:15], v[44:45], v[6:7] op_sel:[0,0,1] op_sel_hi:[1,0,0]
	v_mov_b32_e32 v9, v7
	v_pk_add_f32 v[4:5], v[4:5], v[8:9]
	v_pk_add_f32 v[2:3], v[2:3], v[4:5] neg_lo:[0,1] neg_hi:[0,1]
	buffer_store_dword v3, off, s[0:3], 0 offset:292
	buffer_store_dword v2, off, s[0:3], 0 offset:288
	s_and_saveexec_b64 s[4:5], vcc
	s_cbranch_execz .LBB116_261
; %bb.260:
	buffer_load_dword v2, off, s[0:3], 0 offset:280
	buffer_load_dword v3, off, s[0:3], 0 offset:284
	v_mov_b32_e32 v1, 0
	v_accvgpr_read_b32 v4, a48
	buffer_store_dword v1, off, s[0:3], 0 offset:280
	buffer_store_dword v1, off, s[0:3], 0 offset:284
	s_waitcnt vmcnt(2)
	ds_write_b64 v4, v[2:3]
.LBB116_261:
	s_or_b64 exec, exec, s[4:5]
	s_waitcnt lgkmcnt(0)
	; wave barrier
	s_waitcnt lgkmcnt(0)
	buffer_load_dword v44, off, s[0:3], 0 offset:292
	buffer_load_dword v46, off, s[0:3], 0 offset:300
	;; [unrolled: 1-line block ×36, first 2 shown]
	v_mov_b32_e32 v1, 0
	ds_read_b128 v[2:5], v1 offset:720
	ds_read_b128 v[6:9], v1 offset:736
	;; [unrolled: 1-line block ×6, first 2 shown]
	v_cmp_lt_u32_e32 vcc, 34, v0
	s_waitcnt vmcnt(35) lgkmcnt(5)
	v_mul_f32_e32 v64, v2, v44
	s_waitcnt vmcnt(34)
	v_mul_f32_e32 v65, v4, v46
	v_mul_f32_e32 v44, v3, v44
	s_waitcnt vmcnt(32) lgkmcnt(4)
	v_mul_f32_e32 v67, v8, v49
	v_mul_f32_e32 v49, v9, v49
	;; [unrolled: 1-line block ×5, first 2 shown]
	s_waitcnt vmcnt(31) lgkmcnt(3)
	v_mul_f32_e32 v68, v10, v50
	s_waitcnt vmcnt(26)
	v_fmac_f32_e32 v64, v3, v55
	s_waitcnt vmcnt(25)
	v_fmac_f32_e32 v65, v5, v56
	v_fma_f32 v2, v2, v55, -v44
	s_waitcnt vmcnt(23)
	v_fma_f32 v5, v8, v58, -v49
	v_add_f32_e32 v8, 0, v64
	v_fmac_f32_e32 v66, v7, v57
	v_fma_f32 v3, v4, v56, -v46
	v_add_f32_e32 v2, 0, v2
	v_add_f32_e32 v8, v8, v65
	v_fmac_f32_e32 v67, v9, v58
	v_fma_f32 v4, v6, v57, -v48
	v_add_f32_e32 v2, v2, v3
	v_add_f32_e32 v3, v8, v66
	v_mul_f32_e32 v69, v12, v51
	v_mul_f32_e32 v50, v11, v50
	s_waitcnt vmcnt(22)
	v_fmac_f32_e32 v68, v11, v59
	v_add_f32_e32 v2, v2, v4
	v_add_f32_e32 v3, v3, v67
	s_waitcnt lgkmcnt(2)
	v_mul_f32_e32 v70, v14, v52
	v_mul_f32_e32 v51, v13, v51
	s_waitcnt vmcnt(21)
	v_fmac_f32_e32 v69, v13, v60
	v_fma_f32 v6, v10, v59, -v50
	v_add_f32_e32 v2, v2, v5
	v_add_f32_e32 v3, v3, v68
	v_mul_f32_e32 v52, v15, v52
	s_waitcnt vmcnt(20)
	v_fmac_f32_e32 v70, v15, v61
	v_fma_f32 v7, v12, v60, -v51
	v_add_f32_e32 v2, v2, v6
	v_add_f32_e32 v3, v3, v69
	;; [unrolled: 1-line block ×4, first 2 shown]
	v_fma_f32 v3, v14, v61, -v52
	s_waitcnt vmcnt(17)
	v_mov_b32_e32 v14, v27
	v_mul_f32_e32 v45, v16, v53
	v_add_f32_e32 v10, v2, v3
	v_mul_f32_e32 v2, v17, v53
	s_waitcnt lgkmcnt(1)
	v_pk_mul_f32 v[14:15], v[20:21], v[14:15] op_sel_hi:[1,0]
	v_mul_f32_e32 v47, v18, v54
	v_fmac_f32_e32 v45, v17, v62
	v_fma_f32 v44, v16, v62, -v2
	v_mul_f32_e32 v2, v19, v54
	s_waitcnt vmcnt(15)
	v_pk_fma_f32 v[16:17], v[20:21], v[26:27], v[14:15] op_sel:[0,0,1] op_sel_hi:[1,1,0] neg_lo:[0,0,1] neg_hi:[0,0,1]
	v_pk_fma_f32 v[14:15], v[20:21], v[26:27], v[14:15] op_sel:[0,0,1] op_sel_hi:[1,0,0]
	v_fmac_f32_e32 v47, v19, v63
	v_fma_f32 v46, v18, v63, -v2
	v_pk_add_f32 v[10:11], v[10:11], v[44:45]
	s_waitcnt vmcnt(12)
	v_mov_b32_e32 v14, v29
	v_pk_add_f32 v[10:11], v[10:11], v[46:47]
	v_mov_b32_e32 v17, v15
	s_waitcnt lgkmcnt(0)
	v_pk_mul_f32 v[14:15], v[22:23], v[14:15] op_sel_hi:[1,0]
	v_pk_add_f32 v[10:11], v[10:11], v[16:17]
	v_pk_fma_f32 v[16:17], v[22:23], v[28:29], v[14:15] op_sel:[0,0,1] op_sel_hi:[1,1,0] neg_lo:[0,0,1] neg_hi:[0,0,1]
	v_pk_fma_f32 v[14:15], v[22:23], v[28:29], v[14:15] op_sel:[0,0,1] op_sel_hi:[1,0,0]
	s_waitcnt vmcnt(11)
	v_mov_b32_e32 v14, v33
	ds_read_b128 v[2:5], v1 offset:816
	ds_read_b128 v[6:9], v1 offset:832
	ds_read_b64 v[12:13], v1 offset:848
	v_mov_b32_e32 v17, v15
	v_pk_mul_f32 v[14:15], v[24:25], v[14:15] op_sel_hi:[1,0]
	v_pk_add_f32 v[10:11], v[10:11], v[16:17]
	s_waitcnt vmcnt(4)
	v_pk_fma_f32 v[16:17], v[24:25], v[32:33], v[14:15] op_sel:[0,0,1] op_sel_hi:[1,1,0] neg_lo:[0,0,1] neg_hi:[0,0,1]
	v_pk_fma_f32 v[14:15], v[24:25], v[32:33], v[14:15] op_sel:[0,0,1] op_sel_hi:[1,0,0]
	v_mov_b32_e32 v14, v39
	v_mov_b32_e32 v17, v15
	s_waitcnt lgkmcnt(2)
	v_pk_mul_f32 v[14:15], v[2:3], v[14:15] op_sel_hi:[1,0]
	v_pk_add_f32 v[10:11], v[10:11], v[16:17]
	v_pk_fma_f32 v[16:17], v[2:3], v[38:39], v[14:15] op_sel:[0,0,1] op_sel_hi:[1,1,0] neg_lo:[0,0,1] neg_hi:[0,0,1]
	v_pk_fma_f32 v[2:3], v[2:3], v[38:39], v[14:15] op_sel:[0,0,1] op_sel_hi:[1,0,0]
	v_mov_b32_e32 v17, v3
	v_pk_add_f32 v[2:3], v[10:11], v[16:17]
	v_mov_b32_e32 v10, v37
	v_pk_mul_f32 v[10:11], v[4:5], v[10:11] op_sel_hi:[1,0]
	v_pk_fma_f32 v[14:15], v[4:5], v[36:37], v[10:11] op_sel:[0,0,1] op_sel_hi:[1,1,0] neg_lo:[0,0,1] neg_hi:[0,0,1]
	v_pk_fma_f32 v[4:5], v[4:5], v[36:37], v[10:11] op_sel:[0,0,1] op_sel_hi:[1,0,0]
	v_mov_b32_e32 v4, v35
	v_mov_b32_e32 v15, v5
	s_waitcnt lgkmcnt(1)
	v_pk_mul_f32 v[4:5], v[6:7], v[4:5] op_sel_hi:[1,0]
	v_pk_fma_f32 v[10:11], v[6:7], v[34:35], v[4:5] op_sel:[0,0,1] op_sel_hi:[1,1,0] neg_lo:[0,0,1] neg_hi:[0,0,1]
	v_pk_fma_f32 v[4:5], v[6:7], v[34:35], v[4:5] op_sel:[0,0,1] op_sel_hi:[1,0,0]
	s_waitcnt vmcnt(1)
	v_mov_b32_e32 v4, v43
	v_mov_b32_e32 v11, v5
	v_pk_mul_f32 v[4:5], v[8:9], v[4:5] op_sel_hi:[1,0]
	s_waitcnt vmcnt(0)
	v_pk_fma_f32 v[6:7], v[8:9], v[42:43], v[4:5] op_sel:[0,0,1] op_sel_hi:[1,1,0] neg_lo:[0,0,1] neg_hi:[0,0,1]
	v_pk_fma_f32 v[4:5], v[8:9], v[42:43], v[4:5] op_sel:[0,0,1] op_sel_hi:[1,0,0]
	v_pk_add_f32 v[2:3], v[2:3], v[14:15]
	v_mov_b32_e32 v4, v41
	v_pk_add_f32 v[2:3], v[2:3], v[10:11]
	v_mov_b32_e32 v7, v5
	s_waitcnt lgkmcnt(0)
	v_pk_mul_f32 v[4:5], v[12:13], v[4:5] op_sel_hi:[1,0]
	v_pk_add_f32 v[2:3], v[2:3], v[6:7]
	v_pk_fma_f32 v[6:7], v[12:13], v[40:41], v[4:5] op_sel:[0,0,1] op_sel_hi:[1,1,0] neg_lo:[0,0,1] neg_hi:[0,0,1]
	v_pk_fma_f32 v[4:5], v[12:13], v[40:41], v[4:5] op_sel:[0,0,1] op_sel_hi:[1,0,0]
	v_mov_b32_e32 v7, v5
	v_pk_add_f32 v[2:3], v[2:3], v[6:7]
	v_pk_add_f32 v[2:3], v[30:31], v[2:3] neg_lo:[0,1] neg_hi:[0,1]
	buffer_store_dword v3, off, s[0:3], 0 offset:284
	buffer_store_dword v2, off, s[0:3], 0 offset:280
	s_and_saveexec_b64 s[4:5], vcc
	s_cbranch_execz .LBB116_263
; %bb.262:
	buffer_load_dword v2, off, s[0:3], 0 offset:272
	buffer_load_dword v3, off, s[0:3], 0 offset:276
	v_accvgpr_read_b32 v4, a48
	buffer_store_dword v1, off, s[0:3], 0 offset:272
	buffer_store_dword v1, off, s[0:3], 0 offset:276
	s_waitcnt vmcnt(2)
	ds_write_b64 v4, v[2:3]
.LBB116_263:
	s_or_b64 exec, exec, s[4:5]
	s_waitcnt lgkmcnt(0)
	; wave barrier
	s_waitcnt lgkmcnt(0)
	buffer_load_dword v44, off, s[0:3], 0 offset:284
	buffer_load_dword v46, off, s[0:3], 0 offset:292
	;; [unrolled: 1-line block ×22, first 2 shown]
	ds_read2_b64 v[2:5], v1 offset0:89 offset1:90
	ds_read2_b64 v[6:9], v1 offset0:91 offset1:92
	buffer_load_dword v29, off, s[0:3], 0 offset:364
	buffer_load_dword v28, off, s[0:3], 0 offset:360
	;; [unrolled: 1-line block ×10, first 2 shown]
	ds_read2_b64 v[10:13], v1 offset0:93 offset1:94
	ds_read2_b64 v[14:17], v1 offset0:95 offset1:96
	;; [unrolled: 1-line block ×4, first 2 shown]
	buffer_load_dword v39, off, s[0:3], 0 offset:420
	buffer_load_dword v38, off, s[0:3], 0 offset:416
	;; [unrolled: 1-line block ×6, first 2 shown]
	v_cmp_lt_u32_e32 vcc, 33, v0
	s_waitcnt vmcnt(37) lgkmcnt(5)
	v_mul_f32_e32 v66, v2, v44
	s_waitcnt vmcnt(36)
	v_mul_f32_e32 v67, v4, v46
	s_waitcnt vmcnt(35) lgkmcnt(4)
	v_mul_f32_e32 v68, v6, v48
	v_mul_f32_e32 v44, v3, v44
	;; [unrolled: 1-line block ×4, first 2 shown]
	s_waitcnt vmcnt(34)
	v_mul_f32_e32 v69, v8, v49
	s_waitcnt vmcnt(33) lgkmcnt(3)
	v_mul_f32_e32 v70, v10, v50
	s_waitcnt vmcnt(32)
	v_mul_f32_e32 v71, v12, v51
	s_waitcnt vmcnt(31) lgkmcnt(2)
	v_mul_f32_e32 v72, v14, v52
	s_waitcnt vmcnt(27)
	v_fmac_f32_e32 v66, v3, v56
	s_waitcnt vmcnt(26)
	v_fmac_f32_e32 v67, v5, v57
	s_waitcnt vmcnt(25)
	v_fmac_f32_e32 v68, v7, v58
	v_fma_f32 v2, v2, v56, -v44
	v_add_f32_e32 v7, 0, v66
	v_fma_f32 v3, v4, v57, -v46
	v_add_f32_e32 v2, 0, v2
	v_add_f32_e32 v7, v7, v67
	s_waitcnt vmcnt(24)
	v_fmac_f32_e32 v69, v9, v59
	v_add_f32_e32 v2, v2, v3
	v_add_f32_e32 v3, v7, v68
	s_waitcnt vmcnt(23)
	v_fmac_f32_e32 v70, v11, v60
	v_add_f32_e32 v3, v3, v69
	v_mul_f32_e32 v49, v9, v49
	s_waitcnt vmcnt(22)
	v_fmac_f32_e32 v71, v13, v61
	v_fma_f32 v4, v6, v58, -v48
	v_add_f32_e32 v3, v3, v70
	v_mul_f32_e32 v73, v16, v53
	v_mul_f32_e32 v50, v11, v50
	s_waitcnt vmcnt(21)
	v_fmac_f32_e32 v72, v15, v62
	v_fma_f32 v5, v8, v59, -v49
	v_add_f32_e32 v2, v2, v4
	v_add_f32_e32 v3, v3, v71
	v_mul_f32_e32 v51, v13, v51
	s_waitcnt vmcnt(20)
	v_fmac_f32_e32 v73, v17, v63
	v_fma_f32 v6, v10, v60, -v50
	v_add_f32_e32 v2, v2, v5
	v_add_f32_e32 v3, v3, v72
	;; [unrolled: 1-line block ×4, first 2 shown]
	v_fma_f32 v3, v12, v61, -v51
	v_add_f32_e32 v2, v2, v3
	v_mul_f32_e32 v3, v15, v52
	v_fma_f32 v3, v14, v62, -v3
	v_add_f32_e32 v2, v2, v3
	v_mul_f32_e32 v3, v17, v53
	v_fma_f32 v3, v16, v63, -v3
	s_waitcnt vmcnt(15)
	v_mov_b32_e32 v16, v29
	s_waitcnt lgkmcnt(1)
	v_mul_f32_e32 v45, v18, v54
	v_add_f32_e32 v48, v2, v3
	v_mul_f32_e32 v2, v19, v54
	s_waitcnt lgkmcnt(0)
	v_pk_mul_f32 v[16:17], v[22:23], v[16:17] op_sel_hi:[1,0]
	v_mul_f32_e32 v47, v20, v55
	v_fmac_f32_e32 v45, v19, v64
	v_fma_f32 v44, v18, v64, -v2
	v_mul_f32_e32 v2, v21, v55
	s_waitcnt vmcnt(14)
	v_pk_fma_f32 v[18:19], v[22:23], v[28:29], v[16:17] op_sel:[0,0,1] op_sel_hi:[1,1,0] neg_lo:[0,0,1] neg_hi:[0,0,1]
	v_pk_fma_f32 v[16:17], v[22:23], v[28:29], v[16:17] op_sel:[0,0,1] op_sel_hi:[1,0,0]
	v_fmac_f32_e32 v47, v21, v65
	v_fma_f32 v46, v20, v65, -v2
	v_pk_add_f32 v[14:15], v[48:49], v[44:45]
	s_waitcnt vmcnt(13)
	v_mov_b32_e32 v16, v31
	ds_read2_b64 v[2:5], v1 offset0:101 offset1:102
	ds_read2_b64 v[6:9], v1 offset0:103 offset1:104
	;; [unrolled: 1-line block ×3, first 2 shown]
	v_pk_add_f32 v[14:15], v[14:15], v[46:47]
	v_mov_b32_e32 v19, v17
	v_pk_mul_f32 v[16:17], v[24:25], v[16:17] op_sel_hi:[1,0]
	v_pk_add_f32 v[14:15], v[14:15], v[18:19]
	s_waitcnt vmcnt(6)
	v_pk_fma_f32 v[18:19], v[24:25], v[30:31], v[16:17] op_sel:[0,0,1] op_sel_hi:[1,1,0] neg_lo:[0,0,1] neg_hi:[0,0,1]
	v_pk_fma_f32 v[16:17], v[24:25], v[30:31], v[16:17] op_sel:[0,0,1] op_sel_hi:[1,0,0]
	v_mov_b32_e32 v16, v37
	v_mov_b32_e32 v19, v17
	s_waitcnt lgkmcnt(2)
	v_pk_mul_f32 v[16:17], v[2:3], v[16:17] op_sel_hi:[1,0]
	v_pk_add_f32 v[14:15], v[14:15], v[18:19]
	v_pk_fma_f32 v[18:19], v[2:3], v[36:37], v[16:17] op_sel:[0,0,1] op_sel_hi:[1,1,0] neg_lo:[0,0,1] neg_hi:[0,0,1]
	v_pk_fma_f32 v[2:3], v[2:3], v[36:37], v[16:17] op_sel:[0,0,1] op_sel_hi:[1,0,0]
	v_mov_b32_e32 v19, v3
	v_pk_add_f32 v[2:3], v[14:15], v[18:19]
	v_mov_b32_e32 v14, v35
	v_pk_mul_f32 v[14:15], v[4:5], v[14:15] op_sel_hi:[1,0]
	v_pk_fma_f32 v[16:17], v[4:5], v[34:35], v[14:15] op_sel:[0,0,1] op_sel_hi:[1,1,0] neg_lo:[0,0,1] neg_hi:[0,0,1]
	v_pk_fma_f32 v[4:5], v[4:5], v[34:35], v[14:15] op_sel:[0,0,1] op_sel_hi:[1,0,0]
	v_mov_b32_e32 v4, v33
	v_mov_b32_e32 v17, v5
	s_waitcnt lgkmcnt(1)
	v_pk_mul_f32 v[4:5], v[6:7], v[4:5] op_sel_hi:[1,0]
	v_pk_fma_f32 v[14:15], v[6:7], v[32:33], v[4:5] op_sel:[0,0,1] op_sel_hi:[1,1,0] neg_lo:[0,0,1] neg_hi:[0,0,1]
	v_pk_fma_f32 v[4:5], v[6:7], v[32:33], v[4:5] op_sel:[0,0,1] op_sel_hi:[1,0,0]
	s_waitcnt vmcnt(1)
	v_mov_b32_e32 v4, v43
	v_mov_b32_e32 v15, v5
	v_pk_mul_f32 v[4:5], v[8:9], v[4:5] op_sel_hi:[1,0]
	s_waitcnt vmcnt(0)
	v_pk_fma_f32 v[6:7], v[8:9], v[42:43], v[4:5] op_sel:[0,0,1] op_sel_hi:[1,1,0] neg_lo:[0,0,1] neg_hi:[0,0,1]
	v_pk_fma_f32 v[4:5], v[8:9], v[42:43], v[4:5] op_sel:[0,0,1] op_sel_hi:[1,0,0]
	v_pk_add_f32 v[2:3], v[2:3], v[16:17]
	v_mov_b32_e32 v4, v41
	v_pk_add_f32 v[2:3], v[2:3], v[14:15]
	v_mov_b32_e32 v7, v5
	s_waitcnt lgkmcnt(0)
	v_pk_mul_f32 v[4:5], v[10:11], v[4:5] op_sel_hi:[1,0]
	v_pk_add_f32 v[2:3], v[2:3], v[6:7]
	v_pk_fma_f32 v[6:7], v[10:11], v[40:41], v[4:5] op_sel:[0,0,1] op_sel_hi:[1,1,0] neg_lo:[0,0,1] neg_hi:[0,0,1]
	v_pk_fma_f32 v[4:5], v[10:11], v[40:41], v[4:5] op_sel:[0,0,1] op_sel_hi:[1,0,0]
	v_mov_b32_e32 v4, v39
	v_mov_b32_e32 v7, v5
	v_pk_mul_f32 v[4:5], v[12:13], v[4:5] op_sel_hi:[1,0]
	v_pk_add_f32 v[2:3], v[2:3], v[6:7]
	v_pk_fma_f32 v[6:7], v[12:13], v[38:39], v[4:5] op_sel:[0,0,1] op_sel_hi:[1,1,0] neg_lo:[0,0,1] neg_hi:[0,0,1]
	v_pk_fma_f32 v[4:5], v[12:13], v[38:39], v[4:5] op_sel:[0,0,1] op_sel_hi:[1,0,0]
	v_mov_b32_e32 v7, v5
	v_pk_add_f32 v[2:3], v[2:3], v[6:7]
	v_pk_add_f32 v[2:3], v[26:27], v[2:3] neg_lo:[0,1] neg_hi:[0,1]
	buffer_store_dword v3, off, s[0:3], 0 offset:276
	buffer_store_dword v2, off, s[0:3], 0 offset:272
	s_and_saveexec_b64 s[4:5], vcc
	s_cbranch_execz .LBB116_265
; %bb.264:
	buffer_load_dword v2, off, s[0:3], 0 offset:264
	buffer_load_dword v3, off, s[0:3], 0 offset:268
	v_mov_b32_e32 v1, 0
	v_accvgpr_read_b32 v4, a48
	buffer_store_dword v1, off, s[0:3], 0 offset:264
	buffer_store_dword v1, off, s[0:3], 0 offset:268
	s_waitcnt vmcnt(2)
	ds_write_b64 v4, v[2:3]
.LBB116_265:
	s_or_b64 exec, exec, s[4:5]
	s_waitcnt lgkmcnt(0)
	; wave barrier
	s_waitcnt lgkmcnt(0)
	buffer_load_dword v44, off, s[0:3], 0 offset:276
	buffer_load_dword v46, off, s[0:3], 0 offset:284
	;; [unrolled: 1-line block ×40, first 2 shown]
	v_mov_b32_e32 v1, 0
	ds_read_b128 v[2:5], v1 offset:704
	ds_read_b128 v[6:9], v1 offset:720
	;; [unrolled: 1-line block ×6, first 2 shown]
	v_cmp_lt_u32_e32 vcc, 32, v0
	s_waitcnt vmcnt(39) lgkmcnt(5)
	v_mul_f32_e32 v68, v2, v44
	s_waitcnt vmcnt(38)
	v_mul_f32_e32 v69, v4, v46
	s_waitcnt vmcnt(37) lgkmcnt(4)
	v_mul_f32_e32 v70, v6, v48
	v_mul_f32_e32 v44, v3, v44
	;; [unrolled: 1-line block ×4, first 2 shown]
	s_waitcnt vmcnt(36)
	v_mul_f32_e32 v71, v8, v49
	s_waitcnt vmcnt(35) lgkmcnt(3)
	v_mul_f32_e32 v72, v10, v50
	s_waitcnt vmcnt(34)
	v_mul_f32_e32 v73, v12, v51
	s_waitcnt vmcnt(33) lgkmcnt(2)
	v_mul_f32_e32 v74, v14, v52
	s_waitcnt vmcnt(32)
	v_mul_f32_e32 v75, v16, v53
	s_waitcnt vmcnt(28)
	v_fmac_f32_e32 v68, v3, v57
	s_waitcnt vmcnt(27)
	v_fmac_f32_e32 v69, v5, v58
	v_fma_f32 v2, v2, v57, -v44
	v_fma_f32 v3, v4, v58, -v46
	s_waitcnt vmcnt(26)
	v_fma_f32 v4, v6, v59, -v48
	v_add_f32_e32 v6, 0, v68
	v_fmac_f32_e32 v70, v7, v59
	v_add_f32_e32 v2, 0, v2
	v_add_f32_e32 v6, v6, v69
	s_waitcnt vmcnt(25)
	v_fmac_f32_e32 v71, v9, v60
	v_add_f32_e32 v2, v2, v3
	v_add_f32_e32 v3, v6, v70
	s_waitcnt vmcnt(24)
	v_fmac_f32_e32 v72, v11, v61
	v_add_f32_e32 v3, v3, v71
	s_waitcnt vmcnt(23)
	v_fmac_f32_e32 v73, v13, v62
	v_add_f32_e32 v3, v3, v72
	s_waitcnt vmcnt(22)
	v_fmac_f32_e32 v74, v15, v63
	v_add_f32_e32 v3, v3, v73
	s_waitcnt lgkmcnt(1)
	v_mul_f32_e32 v76, v18, v54
	s_waitcnt vmcnt(21)
	v_fmac_f32_e32 v75, v17, v64
	v_add_f32_e32 v3, v3, v74
	v_mul_f32_e32 v49, v9, v49
	s_waitcnt vmcnt(20)
	v_fmac_f32_e32 v76, v19, v65
	v_add_f32_e32 v3, v3, v75
	v_fma_f32 v5, v8, v60, -v49
	v_add_f32_e32 v2, v2, v4
	v_add_f32_e32 v49, v3, v76
	v_mul_f32_e32 v3, v11, v50
	v_add_f32_e32 v2, v2, v5
	v_fma_f32 v3, v10, v61, -v3
	v_add_f32_e32 v2, v2, v3
	v_mul_f32_e32 v3, v13, v51
	v_fma_f32 v3, v12, v62, -v3
	v_add_f32_e32 v2, v2, v3
	v_mul_f32_e32 v3, v15, v52
	;; [unrolled: 3-line block ×5, first 2 shown]
	s_waitcnt vmcnt(9)
	v_mov_b32_e32 v18, v35
	v_mul_f32_e32 v45, v20, v55
	v_fma_f32 v44, v20, v66, -v2
	s_waitcnt lgkmcnt(0)
	v_mul_f32_e32 v2, v23, v56
	v_pk_mul_f32 v[18:19], v[24:25], v[18:19] op_sel_hi:[1,0]
	v_mul_f32_e32 v47, v22, v56
	v_fmac_f32_e32 v45, v21, v66
	v_fma_f32 v46, v22, v67, -v2
	ds_read_b128 v[2:5], v1 offset:800
	ds_read_b128 v[6:9], v1 offset:816
	;; [unrolled: 1-line block ×3, first 2 shown]
	ds_read_b64 v[14:15], v1 offset:848
	s_waitcnt vmcnt(8)
	v_pk_fma_f32 v[20:21], v[24:25], v[34:35], v[18:19] op_sel:[0,0,1] op_sel_hi:[1,1,0] neg_lo:[0,0,1] neg_hi:[0,0,1]
	v_pk_fma_f32 v[18:19], v[24:25], v[34:35], v[18:19] op_sel:[0,0,1] op_sel_hi:[1,0,0]
	v_fmac_f32_e32 v47, v23, v67
	v_pk_add_f32 v[16:17], v[48:49], v[44:45]
	v_mov_b32_e32 v18, v33
	v_pk_add_f32 v[16:17], v[16:17], v[46:47]
	v_mov_b32_e32 v21, v19
	s_waitcnt lgkmcnt(3)
	v_pk_mul_f32 v[18:19], v[2:3], v[18:19] op_sel_hi:[1,0]
	v_pk_add_f32 v[16:17], v[16:17], v[20:21]
	v_pk_fma_f32 v[20:21], v[2:3], v[32:33], v[18:19] op_sel:[0,0,1] op_sel_hi:[1,1,0] neg_lo:[0,0,1] neg_hi:[0,0,1]
	v_pk_fma_f32 v[2:3], v[2:3], v[32:33], v[18:19] op_sel:[0,0,1] op_sel_hi:[1,0,0]
	v_mov_b32_e32 v21, v3
	v_pk_add_f32 v[2:3], v[16:17], v[20:21]
	v_mov_b32_e32 v16, v31
	v_pk_mul_f32 v[16:17], v[4:5], v[16:17] op_sel_hi:[1,0]
	v_pk_fma_f32 v[18:19], v[4:5], v[30:31], v[16:17] op_sel:[0,0,1] op_sel_hi:[1,1,0] neg_lo:[0,0,1] neg_hi:[0,0,1]
	v_pk_fma_f32 v[4:5], v[4:5], v[30:31], v[16:17] op_sel:[0,0,1] op_sel_hi:[1,0,0]
	v_mov_b32_e32 v4, v29
	v_mov_b32_e32 v19, v5
	s_waitcnt lgkmcnt(2)
	v_pk_mul_f32 v[4:5], v[6:7], v[4:5] op_sel_hi:[1,0]
	v_pk_fma_f32 v[16:17], v[6:7], v[28:29], v[4:5] op_sel:[0,0,1] op_sel_hi:[1,1,0] neg_lo:[0,0,1] neg_hi:[0,0,1]
	v_pk_fma_f32 v[4:5], v[6:7], v[28:29], v[4:5] op_sel:[0,0,1] op_sel_hi:[1,0,0]
	s_waitcnt vmcnt(1)
	v_mov_b32_e32 v4, v43
	v_mov_b32_e32 v17, v5
	v_pk_mul_f32 v[4:5], v[8:9], v[4:5] op_sel_hi:[1,0]
	s_waitcnt vmcnt(0)
	v_pk_fma_f32 v[6:7], v[8:9], v[42:43], v[4:5] op_sel:[0,0,1] op_sel_hi:[1,1,0] neg_lo:[0,0,1] neg_hi:[0,0,1]
	v_pk_fma_f32 v[4:5], v[8:9], v[42:43], v[4:5] op_sel:[0,0,1] op_sel_hi:[1,0,0]
	v_pk_add_f32 v[2:3], v[2:3], v[18:19]
	v_mov_b32_e32 v4, v41
	v_pk_add_f32 v[2:3], v[2:3], v[16:17]
	v_mov_b32_e32 v7, v5
	s_waitcnt lgkmcnt(1)
	v_pk_mul_f32 v[4:5], v[10:11], v[4:5] op_sel_hi:[1,0]
	v_pk_add_f32 v[2:3], v[2:3], v[6:7]
	v_pk_fma_f32 v[6:7], v[10:11], v[40:41], v[4:5] op_sel:[0,0,1] op_sel_hi:[1,1,0] neg_lo:[0,0,1] neg_hi:[0,0,1]
	v_pk_fma_f32 v[4:5], v[10:11], v[40:41], v[4:5] op_sel:[0,0,1] op_sel_hi:[1,0,0]
	v_mov_b32_e32 v4, v39
	v_mov_b32_e32 v7, v5
	v_pk_mul_f32 v[4:5], v[12:13], v[4:5] op_sel_hi:[1,0]
	v_pk_add_f32 v[2:3], v[2:3], v[6:7]
	v_pk_fma_f32 v[6:7], v[12:13], v[38:39], v[4:5] op_sel:[0,0,1] op_sel_hi:[1,1,0] neg_lo:[0,0,1] neg_hi:[0,0,1]
	v_pk_fma_f32 v[4:5], v[12:13], v[38:39], v[4:5] op_sel:[0,0,1] op_sel_hi:[1,0,0]
	v_mov_b32_e32 v4, v37
	v_mov_b32_e32 v7, v5
	s_waitcnt lgkmcnt(0)
	v_pk_mul_f32 v[4:5], v[14:15], v[4:5] op_sel_hi:[1,0]
	v_pk_add_f32 v[2:3], v[2:3], v[6:7]
	v_pk_fma_f32 v[6:7], v[14:15], v[36:37], v[4:5] op_sel:[0,0,1] op_sel_hi:[1,1,0] neg_lo:[0,0,1] neg_hi:[0,0,1]
	v_pk_fma_f32 v[4:5], v[14:15], v[36:37], v[4:5] op_sel:[0,0,1] op_sel_hi:[1,0,0]
	v_mov_b32_e32 v7, v5
	v_pk_add_f32 v[2:3], v[2:3], v[6:7]
	v_pk_add_f32 v[2:3], v[26:27], v[2:3] neg_lo:[0,1] neg_hi:[0,1]
	buffer_store_dword v3, off, s[0:3], 0 offset:268
	buffer_store_dword v2, off, s[0:3], 0 offset:264
	s_and_saveexec_b64 s[4:5], vcc
	s_cbranch_execz .LBB116_267
; %bb.266:
	buffer_load_dword v2, off, s[0:3], 0 offset:256
	buffer_load_dword v3, off, s[0:3], 0 offset:260
	v_accvgpr_read_b32 v4, a48
	buffer_store_dword v1, off, s[0:3], 0 offset:256
	buffer_store_dword v1, off, s[0:3], 0 offset:260
	s_waitcnt vmcnt(2)
	ds_write_b64 v4, v[2:3]
.LBB116_267:
	s_or_b64 exec, exec, s[4:5]
	s_waitcnt lgkmcnt(0)
	; wave barrier
	s_waitcnt lgkmcnt(0)
	buffer_load_dword v44, off, s[0:3], 0 offset:268
	buffer_load_dword v46, off, s[0:3], 0 offset:276
	;; [unrolled: 1-line block ×26, first 2 shown]
	ds_read2_b64 v[2:5], v1 offset0:87 offset1:88
	ds_read2_b64 v[6:9], v1 offset0:89 offset1:90
	;; [unrolled: 1-line block ×6, first 2 shown]
	buffer_load_dword v29, off, s[0:3], 0 offset:380
	buffer_load_dword v28, off, s[0:3], 0 offset:376
	;; [unrolled: 1-line block ×16, first 2 shown]
	v_cmp_lt_u32_e32 vcc, 31, v0
	s_waitcnt vmcnt(41) lgkmcnt(5)
	v_mul_f32_e32 v70, v2, v44
	s_waitcnt vmcnt(40)
	v_mul_f32_e32 v71, v4, v46
	v_mul_f32_e32 v44, v3, v44
	s_waitcnt vmcnt(39) lgkmcnt(4)
	v_mul_f32_e32 v72, v6, v48
	v_mul_f32_e32 v46, v5, v46
	s_waitcnt vmcnt(38)
	v_mul_f32_e32 v73, v8, v50
	s_waitcnt vmcnt(37) lgkmcnt(3)
	v_mul_f32_e32 v74, v10, v51
	s_waitcnt vmcnt(36)
	v_mul_f32_e32 v75, v12, v52
	s_waitcnt vmcnt(35) lgkmcnt(2)
	;; [unrolled: 4-line block ×3, first 2 shown]
	v_mul_f32_e32 v78, v18, v55
	s_waitcnt vmcnt(32)
	v_mul_f32_e32 v79, v20, v56
	s_waitcnt vmcnt(29)
	v_fmac_f32_e32 v70, v3, v49
	s_waitcnt vmcnt(28)
	v_fmac_f32_e32 v71, v5, v59
	v_fma_f32 v2, v2, v49, -v44
	v_add_f32_e32 v5, 0, v70
	s_waitcnt vmcnt(27)
	v_fmac_f32_e32 v72, v7, v60
	v_fma_f32 v3, v4, v59, -v46
	v_add_f32_e32 v2, 0, v2
	v_add_f32_e32 v5, v5, v71
	s_waitcnt vmcnt(26)
	v_fmac_f32_e32 v73, v9, v61
	v_add_f32_e32 v2, v2, v3
	v_add_f32_e32 v3, v5, v72
	s_waitcnt vmcnt(25)
	v_fmac_f32_e32 v74, v11, v62
	v_add_f32_e32 v3, v3, v73
	s_waitcnt vmcnt(24)
	v_fmac_f32_e32 v75, v13, v63
	;; [unrolled: 3-line block ×5, first 2 shown]
	v_add_f32_e32 v3, v3, v77
	v_mul_f32_e32 v48, v7, v48
	s_waitcnt vmcnt(20)
	v_fmac_f32_e32 v79, v21, v67
	v_add_f32_e32 v3, v3, v78
	v_fma_f32 v4, v6, v60, -v48
	v_add_f32_e32 v49, v3, v79
	v_mul_f32_e32 v3, v9, v50
	v_add_f32_e32 v2, v2, v4
	v_fma_f32 v3, v8, v61, -v3
	v_add_f32_e32 v2, v2, v3
	v_mul_f32_e32 v3, v11, v51
	v_fma_f32 v3, v10, v62, -v3
	v_add_f32_e32 v2, v2, v3
	v_mul_f32_e32 v3, v13, v52
	;; [unrolled: 3-line block ×6, first 2 shown]
	v_fma_f32 v3, v20, v67, -v3
	v_add_f32_e32 v48, v2, v3
	s_waitcnt lgkmcnt(0)
	v_mul_f32_e32 v2, v23, v57
	s_waitcnt vmcnt(19)
	v_fma_f32 v44, v22, v68, -v2
	v_mul_f32_e32 v2, v25, v58
	s_waitcnt vmcnt(18)
	v_fma_f32 v46, v24, v69, -v2
	ds_read2_b64 v[2:5], v1 offset0:99 offset1:100
	ds_read2_b64 v[6:9], v1 offset0:101 offset1:102
	;; [unrolled: 1-line block ×4, first 2 shown]
	v_mul_f32_e32 v45, v22, v57
	s_waitcnt vmcnt(11)
	v_mov_b32_e32 v20, v33
	v_mul_f32_e32 v47, v24, v58
	v_fmac_f32_e32 v45, v23, v68
	s_waitcnt lgkmcnt(3)
	v_pk_mul_f32 v[20:21], v[2:3], v[20:21] op_sel_hi:[1,0]
	v_fmac_f32_e32 v47, v25, v69
	v_pk_add_f32 v[18:19], v[48:49], v[44:45]
	s_waitcnt vmcnt(10)
	v_pk_fma_f32 v[22:23], v[2:3], v[32:33], v[20:21] op_sel:[0,0,1] op_sel_hi:[1,1,0] neg_lo:[0,0,1] neg_hi:[0,0,1]
	v_pk_fma_f32 v[2:3], v[2:3], v[32:33], v[20:21] op_sel:[0,0,1] op_sel_hi:[1,0,0]
	v_pk_add_f32 v[18:19], v[18:19], v[46:47]
	v_mov_b32_e32 v23, v3
	v_pk_add_f32 v[2:3], v[18:19], v[22:23]
	v_mov_b32_e32 v18, v31
	v_pk_mul_f32 v[18:19], v[4:5], v[18:19] op_sel_hi:[1,0]
	v_pk_fma_f32 v[20:21], v[4:5], v[30:31], v[18:19] op_sel:[0,0,1] op_sel_hi:[1,1,0] neg_lo:[0,0,1] neg_hi:[0,0,1]
	v_pk_fma_f32 v[4:5], v[4:5], v[30:31], v[18:19] op_sel:[0,0,1] op_sel_hi:[1,0,0]
	v_mov_b32_e32 v4, v29
	v_mov_b32_e32 v21, v5
	s_waitcnt lgkmcnt(2)
	v_pk_mul_f32 v[4:5], v[6:7], v[4:5] op_sel_hi:[1,0]
	v_pk_fma_f32 v[18:19], v[6:7], v[28:29], v[4:5] op_sel:[0,0,1] op_sel_hi:[1,1,0] neg_lo:[0,0,1] neg_hi:[0,0,1]
	v_pk_fma_f32 v[4:5], v[6:7], v[28:29], v[4:5] op_sel:[0,0,1] op_sel_hi:[1,0,0]
	s_waitcnt vmcnt(3)
	v_mov_b32_e32 v4, v41
	v_mov_b32_e32 v19, v5
	v_pk_mul_f32 v[4:5], v[8:9], v[4:5] op_sel_hi:[1,0]
	s_waitcnt vmcnt(2)
	v_pk_fma_f32 v[6:7], v[8:9], v[40:41], v[4:5] op_sel:[0,0,1] op_sel_hi:[1,1,0] neg_lo:[0,0,1] neg_hi:[0,0,1]
	v_pk_fma_f32 v[4:5], v[8:9], v[40:41], v[4:5] op_sel:[0,0,1] op_sel_hi:[1,0,0]
	v_pk_add_f32 v[2:3], v[2:3], v[20:21]
	v_mov_b32_e32 v4, v39
	v_pk_add_f32 v[2:3], v[2:3], v[18:19]
	v_mov_b32_e32 v7, v5
	s_waitcnt lgkmcnt(1)
	v_pk_mul_f32 v[4:5], v[10:11], v[4:5] op_sel_hi:[1,0]
	v_pk_add_f32 v[2:3], v[2:3], v[6:7]
	v_pk_fma_f32 v[6:7], v[10:11], v[38:39], v[4:5] op_sel:[0,0,1] op_sel_hi:[1,1,0] neg_lo:[0,0,1] neg_hi:[0,0,1]
	v_pk_fma_f32 v[4:5], v[10:11], v[38:39], v[4:5] op_sel:[0,0,1] op_sel_hi:[1,0,0]
	v_mov_b32_e32 v4, v37
	v_mov_b32_e32 v7, v5
	v_pk_mul_f32 v[4:5], v[12:13], v[4:5] op_sel_hi:[1,0]
	v_pk_add_f32 v[2:3], v[2:3], v[6:7]
	v_pk_fma_f32 v[6:7], v[12:13], v[36:37], v[4:5] op_sel:[0,0,1] op_sel_hi:[1,1,0] neg_lo:[0,0,1] neg_hi:[0,0,1]
	v_pk_fma_f32 v[4:5], v[12:13], v[36:37], v[4:5] op_sel:[0,0,1] op_sel_hi:[1,0,0]
	v_mov_b32_e32 v4, v35
	v_mov_b32_e32 v7, v5
	s_waitcnt lgkmcnt(0)
	v_pk_mul_f32 v[4:5], v[14:15], v[4:5] op_sel_hi:[1,0]
	v_pk_add_f32 v[2:3], v[2:3], v[6:7]
	v_pk_fma_f32 v[6:7], v[14:15], v[34:35], v[4:5] op_sel:[0,0,1] op_sel_hi:[1,1,0] neg_lo:[0,0,1] neg_hi:[0,0,1]
	v_pk_fma_f32 v[4:5], v[14:15], v[34:35], v[4:5] op_sel:[0,0,1] op_sel_hi:[1,0,0]
	s_waitcnt vmcnt(1)
	v_mov_b32_e32 v4, v43
	v_mov_b32_e32 v7, v5
	v_pk_mul_f32 v[4:5], v[16:17], v[4:5] op_sel_hi:[1,0]
	v_pk_add_f32 v[2:3], v[2:3], v[6:7]
	s_waitcnt vmcnt(0)
	v_pk_fma_f32 v[6:7], v[16:17], v[42:43], v[4:5] op_sel:[0,0,1] op_sel_hi:[1,1,0] neg_lo:[0,0,1] neg_hi:[0,0,1]
	v_pk_fma_f32 v[4:5], v[16:17], v[42:43], v[4:5] op_sel:[0,0,1] op_sel_hi:[1,0,0]
	v_mov_b32_e32 v7, v5
	v_pk_add_f32 v[2:3], v[2:3], v[6:7]
	v_pk_add_f32 v[2:3], v[26:27], v[2:3] neg_lo:[0,1] neg_hi:[0,1]
	buffer_store_dword v3, off, s[0:3], 0 offset:260
	buffer_store_dword v2, off, s[0:3], 0 offset:256
	s_and_saveexec_b64 s[4:5], vcc
	s_cbranch_execz .LBB116_269
; %bb.268:
	buffer_load_dword v2, off, s[0:3], 0 offset:248
	buffer_load_dword v3, off, s[0:3], 0 offset:252
	v_mov_b32_e32 v1, 0
	v_accvgpr_read_b32 v4, a48
	buffer_store_dword v1, off, s[0:3], 0 offset:248
	buffer_store_dword v1, off, s[0:3], 0 offset:252
	s_waitcnt vmcnt(2)
	ds_write_b64 v4, v[2:3]
.LBB116_269:
	s_or_b64 exec, exec, s[4:5]
	s_waitcnt lgkmcnt(0)
	; wave barrier
	s_waitcnt lgkmcnt(0)
	buffer_load_dword v52, off, s[0:3], 0 offset:260
	buffer_load_dword v54, off, s[0:3], 0 offset:268
	;; [unrolled: 1-line block ×44, first 2 shown]
	v_mov_b32_e32 v1, 0
	ds_read_b128 v[2:5], v1 offset:688
	ds_read_b128 v[6:9], v1 offset:704
	;; [unrolled: 1-line block ×8, first 2 shown]
	v_cmp_lt_u32_e32 vcc, 30, v0
	s_waitcnt vmcnt(43) lgkmcnt(7)
	v_mul_f32_e32 v57, v2, v52
	s_waitcnt vmcnt(42)
	v_mul_f32_e32 v81, v4, v54
	s_waitcnt vmcnt(41) lgkmcnt(6)
	v_mul_f32_e32 v82, v6, v56
	v_mul_f32_e32 v52, v3, v52
	s_waitcnt vmcnt(40)
	v_mul_f32_e32 v83, v8, v58
	s_waitcnt vmcnt(39) lgkmcnt(5)
	v_mul_f32_e32 v84, v10, v59
	s_waitcnt vmcnt(38)
	v_mul_f32_e32 v85, v12, v60
	s_waitcnt vmcnt(37) lgkmcnt(4)
	;; [unrolled: 4-line block ×4, first 2 shown]
	v_mul_f32_e32 v90, v22, v65
	s_waitcnt vmcnt(32)
	v_mul_f32_e32 v53, v24, v66
	s_waitcnt vmcnt(30)
	v_fmac_f32_e32 v57, v3, v68
	s_waitcnt vmcnt(29)
	v_fmac_f32_e32 v81, v5, v69
	v_add_f32_e32 v3, 0, v57
	s_waitcnt vmcnt(28)
	v_fmac_f32_e32 v82, v7, v70
	v_add_f32_e32 v3, v3, v81
	;; [unrolled: 3-line block ×10, first 2 shown]
	v_add_f32_e32 v57, v3, v90
	v_fma_f32 v2, v2, v68, -v52
	v_mul_f32_e32 v3, v5, v54
	v_add_f32_e32 v2, 0, v2
	v_fma_f32 v3, v4, v69, -v3
	v_add_f32_e32 v2, v2, v3
	v_mul_f32_e32 v3, v7, v56
	v_fma_f32 v3, v6, v70, -v3
	v_add_f32_e32 v2, v2, v3
	v_mul_f32_e32 v3, v9, v58
	;; [unrolled: 3-line block ×9, first 2 shown]
	v_fma_f32 v3, v22, v78, -v3
	s_waitcnt vmcnt(13)
	v_mov_b32_e32 v14, v39
	v_add_f32_e32 v56, v2, v3
	v_mul_f32_e32 v2, v25, v66
	s_waitcnt lgkmcnt(1)
	v_pk_mul_f32 v[14:15], v[28:29], v[14:15] op_sel_hi:[1,0]
	v_mul_f32_e32 v55, v26, v67
	v_fmac_f32_e32 v53, v25, v79
	v_fma_f32 v52, v24, v79, -v2
	v_mul_f32_e32 v2, v27, v67
	s_waitcnt vmcnt(12)
	v_pk_fma_f32 v[16:17], v[28:29], v[38:39], v[14:15] op_sel:[0,0,1] op_sel_hi:[1,1,0] neg_lo:[0,0,1] neg_hi:[0,0,1]
	v_pk_fma_f32 v[14:15], v[28:29], v[38:39], v[14:15] op_sel:[0,0,1] op_sel_hi:[1,0,0]
	v_fmac_f32_e32 v55, v27, v80
	v_fma_f32 v54, v26, v80, -v2
	v_pk_add_f32 v[12:13], v[56:57], v[52:53]
	v_mov_b32_e32 v14, v37
	v_pk_add_f32 v[12:13], v[12:13], v[54:55]
	v_mov_b32_e32 v17, v15
	s_waitcnt lgkmcnt(0)
	v_pk_mul_f32 v[14:15], v[30:31], v[14:15] op_sel_hi:[1,0]
	v_pk_add_f32 v[12:13], v[12:13], v[16:17]
	v_pk_fma_f32 v[16:17], v[30:31], v[36:37], v[14:15] op_sel:[0,0,1] op_sel_hi:[1,1,0] neg_lo:[0,0,1] neg_hi:[0,0,1]
	v_pk_fma_f32 v[14:15], v[30:31], v[36:37], v[14:15] op_sel:[0,0,1] op_sel_hi:[1,0,0]
	s_waitcnt vmcnt(5)
	v_mov_b32_e32 v14, v47
	ds_read_b128 v[2:5], v1 offset:816
	ds_read_b128 v[6:9], v1 offset:832
	ds_read_b64 v[10:11], v1 offset:848
	v_mov_b32_e32 v17, v15
	v_pk_mul_f32 v[14:15], v[32:33], v[14:15] op_sel_hi:[1,0]
	v_pk_add_f32 v[12:13], v[12:13], v[16:17]
	s_waitcnt vmcnt(4)
	v_pk_fma_f32 v[16:17], v[32:33], v[46:47], v[14:15] op_sel:[0,0,1] op_sel_hi:[1,1,0] neg_lo:[0,0,1] neg_hi:[0,0,1]
	v_pk_fma_f32 v[14:15], v[32:33], v[46:47], v[14:15] op_sel:[0,0,1] op_sel_hi:[1,0,0]
	v_mov_b32_e32 v14, v45
	v_mov_b32_e32 v17, v15
	s_waitcnt lgkmcnt(2)
	v_pk_mul_f32 v[14:15], v[2:3], v[14:15] op_sel_hi:[1,0]
	v_pk_add_f32 v[12:13], v[12:13], v[16:17]
	v_pk_fma_f32 v[16:17], v[2:3], v[44:45], v[14:15] op_sel:[0,0,1] op_sel_hi:[1,1,0] neg_lo:[0,0,1] neg_hi:[0,0,1]
	v_pk_fma_f32 v[2:3], v[2:3], v[44:45], v[14:15] op_sel:[0,0,1] op_sel_hi:[1,0,0]
	v_mov_b32_e32 v17, v3
	v_pk_add_f32 v[2:3], v[12:13], v[16:17]
	v_mov_b32_e32 v12, v43
	v_pk_mul_f32 v[12:13], v[4:5], v[12:13] op_sel_hi:[1,0]
	v_pk_fma_f32 v[14:15], v[4:5], v[42:43], v[12:13] op_sel:[0,0,1] op_sel_hi:[1,1,0] neg_lo:[0,0,1] neg_hi:[0,0,1]
	v_pk_fma_f32 v[4:5], v[4:5], v[42:43], v[12:13] op_sel:[0,0,1] op_sel_hi:[1,0,0]
	v_mov_b32_e32 v4, v41
	v_mov_b32_e32 v15, v5
	s_waitcnt lgkmcnt(1)
	v_pk_mul_f32 v[4:5], v[6:7], v[4:5] op_sel_hi:[1,0]
	v_pk_fma_f32 v[12:13], v[6:7], v[40:41], v[4:5] op_sel:[0,0,1] op_sel_hi:[1,1,0] neg_lo:[0,0,1] neg_hi:[0,0,1]
	v_pk_fma_f32 v[4:5], v[6:7], v[40:41], v[4:5] op_sel:[0,0,1] op_sel_hi:[1,0,0]
	s_waitcnt vmcnt(1)
	v_mov_b32_e32 v4, v51
	v_mov_b32_e32 v13, v5
	v_pk_mul_f32 v[4:5], v[8:9], v[4:5] op_sel_hi:[1,0]
	s_waitcnt vmcnt(0)
	v_pk_fma_f32 v[6:7], v[8:9], v[50:51], v[4:5] op_sel:[0,0,1] op_sel_hi:[1,1,0] neg_lo:[0,0,1] neg_hi:[0,0,1]
	v_pk_fma_f32 v[4:5], v[8:9], v[50:51], v[4:5] op_sel:[0,0,1] op_sel_hi:[1,0,0]
	v_pk_add_f32 v[2:3], v[2:3], v[14:15]
	v_mov_b32_e32 v4, v49
	v_pk_add_f32 v[2:3], v[2:3], v[12:13]
	v_mov_b32_e32 v7, v5
	s_waitcnt lgkmcnt(0)
	v_pk_mul_f32 v[4:5], v[10:11], v[4:5] op_sel_hi:[1,0]
	v_pk_add_f32 v[2:3], v[2:3], v[6:7]
	v_pk_fma_f32 v[6:7], v[10:11], v[48:49], v[4:5] op_sel:[0,0,1] op_sel_hi:[1,1,0] neg_lo:[0,0,1] neg_hi:[0,0,1]
	v_pk_fma_f32 v[4:5], v[10:11], v[48:49], v[4:5] op_sel:[0,0,1] op_sel_hi:[1,0,0]
	v_mov_b32_e32 v7, v5
	v_pk_add_f32 v[2:3], v[2:3], v[6:7]
	v_pk_add_f32 v[2:3], v[34:35], v[2:3] neg_lo:[0,1] neg_hi:[0,1]
	buffer_store_dword v3, off, s[0:3], 0 offset:252
	buffer_store_dword v2, off, s[0:3], 0 offset:248
	s_and_saveexec_b64 s[4:5], vcc
	s_cbranch_execz .LBB116_271
; %bb.270:
	buffer_load_dword v2, off, s[0:3], 0 offset:240
	buffer_load_dword v3, off, s[0:3], 0 offset:244
	v_accvgpr_read_b32 v4, a48
	buffer_store_dword v1, off, s[0:3], 0 offset:240
	buffer_store_dword v1, off, s[0:3], 0 offset:244
	s_waitcnt vmcnt(2)
	ds_write_b64 v4, v[2:3]
.LBB116_271:
	s_or_b64 exec, exec, s[4:5]
	s_waitcnt lgkmcnt(0)
	; wave barrier
	s_waitcnt lgkmcnt(0)
	buffer_load_dword v52, off, s[0:3], 0 offset:252
	buffer_load_dword v54, off, s[0:3], 0 offset:260
	buffer_load_dword v56, off, s[0:3], 0 offset:268
	buffer_load_dword v58, off, s[0:3], 0 offset:276
	buffer_load_dword v59, off, s[0:3], 0 offset:284
	buffer_load_dword v60, off, s[0:3], 0 offset:292
	buffer_load_dword v61, off, s[0:3], 0 offset:300
	buffer_load_dword v62, off, s[0:3], 0 offset:308
	buffer_load_dword v63, off, s[0:3], 0 offset:316
	buffer_load_dword v64, off, s[0:3], 0 offset:324
	buffer_load_dword v65, off, s[0:3], 0 offset:332
	buffer_load_dword v66, off, s[0:3], 0 offset:340
	buffer_load_dword v67, off, s[0:3], 0 offset:348
	buffer_load_dword v68, off, s[0:3], 0 offset:248
	buffer_load_dword v69, off, s[0:3], 0 offset:256
	buffer_load_dword v70, off, s[0:3], 0 offset:264
	buffer_load_dword v71, off, s[0:3], 0 offset:272
	buffer_load_dword v72, off, s[0:3], 0 offset:280
	buffer_load_dword v73, off, s[0:3], 0 offset:288
	buffer_load_dword v74, off, s[0:3], 0 offset:296
	buffer_load_dword v75, off, s[0:3], 0 offset:304
	buffer_load_dword v76, off, s[0:3], 0 offset:312
	buffer_load_dword v77, off, s[0:3], 0 offset:320
	buffer_load_dword v78, off, s[0:3], 0 offset:328
	buffer_load_dword v79, off, s[0:3], 0 offset:336
	buffer_load_dword v80, off, s[0:3], 0 offset:344
	buffer_load_dword v81, off, s[0:3], 0 offset:356
	buffer_load_dword v82, off, s[0:3], 0 offset:352
	buffer_load_dword v34, off, s[0:3], 0 offset:240
	buffer_load_dword v35, off, s[0:3], 0 offset:244
	ds_read2_b64 v[2:5], v1 offset0:85 offset1:86
	ds_read2_b64 v[6:9], v1 offset0:87 offset1:88
	;; [unrolled: 1-line block ×6, first 2 shown]
	buffer_load_dword v37, off, s[0:3], 0 offset:364
	buffer_load_dword v36, off, s[0:3], 0 offset:360
	ds_read2_b64 v[26:29], v1 offset0:97 offset1:98
	ds_read2_b64 v[30:33], v1 offset0:99 offset1:100
	buffer_load_dword v39, off, s[0:3], 0 offset:396
	buffer_load_dword v38, off, s[0:3], 0 offset:392
	;; [unrolled: 1-line block ×14, first 2 shown]
	v_cmp_lt_u32_e32 vcc, 29, v0
	s_waitcnt vmcnt(45) lgkmcnt(7)
	v_mul_f32_e32 v55, v2, v52
	s_waitcnt vmcnt(44)
	v_mul_f32_e32 v57, v4, v54
	s_waitcnt vmcnt(43) lgkmcnt(6)
	v_mul_f32_e32 v83, v6, v56
	s_waitcnt vmcnt(42)
	v_mul_f32_e32 v84, v8, v58
	;; [unrolled: 4-line block ×6, first 2 shown]
	s_waitcnt vmcnt(33) lgkmcnt(1)
	v_mul_f32_e32 v53, v26, v67
	s_waitcnt vmcnt(32)
	v_fmac_f32_e32 v55, v3, v68
	v_mul_f32_e32 v3, v3, v52
	v_fma_f32 v2, v2, v68, -v3
	v_mul_f32_e32 v3, v5, v54
	v_add_f32_e32 v2, 0, v2
	s_waitcnt vmcnt(31)
	v_fma_f32 v3, v4, v69, -v3
	v_add_f32_e32 v2, v2, v3
	v_mul_f32_e32 v3, v7, v56
	s_waitcnt vmcnt(30)
	v_fma_f32 v3, v6, v70, -v3
	v_add_f32_e32 v2, v2, v3
	v_mul_f32_e32 v3, v9, v58
	;; [unrolled: 4-line block ×5, first 2 shown]
	s_waitcnt vmcnt(26)
	v_fma_f32 v3, v14, v74, -v3
	v_fmac_f32_e32 v57, v5, v69
	v_add_f32_e32 v55, 0, v55
	v_add_f32_e32 v2, v2, v3
	v_mul_f32_e32 v3, v17, v62
	v_fmac_f32_e32 v83, v7, v70
	v_add_f32_e32 v55, v55, v57
	s_waitcnt vmcnt(25)
	v_fma_f32 v3, v16, v75, -v3
	v_fmac_f32_e32 v84, v9, v71
	v_add_f32_e32 v55, v55, v83
	v_add_f32_e32 v2, v2, v3
	v_mul_f32_e32 v3, v19, v63
	v_fmac_f32_e32 v85, v11, v72
	v_add_f32_e32 v55, v55, v84
	s_waitcnt vmcnt(24)
	v_fma_f32 v3, v18, v76, -v3
	v_fmac_f32_e32 v86, v13, v73
	v_add_f32_e32 v55, v55, v85
	v_add_f32_e32 v2, v2, v3
	v_mul_f32_e32 v3, v21, v64
	v_fmac_f32_e32 v87, v15, v74
	v_add_f32_e32 v55, v55, v86
	s_waitcnt vmcnt(23)
	v_fma_f32 v3, v20, v77, -v3
	v_fmac_f32_e32 v88, v17, v75
	v_add_f32_e32 v55, v55, v87
	v_add_f32_e32 v2, v2, v3
	v_mul_f32_e32 v3, v23, v65
	v_fmac_f32_e32 v89, v19, v76
	v_add_f32_e32 v55, v55, v88
	s_waitcnt vmcnt(22)
	v_fma_f32 v3, v22, v78, -v3
	v_fmac_f32_e32 v90, v21, v77
	v_add_f32_e32 v55, v55, v89
	v_add_f32_e32 v2, v2, v3
	v_mul_f32_e32 v3, v25, v66
	v_fmac_f32_e32 v91, v23, v78
	v_add_f32_e32 v55, v55, v90
	s_waitcnt vmcnt(21)
	v_fma_f32 v3, v24, v79, -v3
	s_waitcnt vmcnt(15)
	v_mov_b32_e32 v16, v37
	v_fmac_f32_e32 v92, v25, v79
	v_add_f32_e32 v55, v55, v91
	v_add_f32_e32 v54, v2, v3
	v_mul_f32_e32 v2, v27, v67
	s_waitcnt lgkmcnt(0)
	v_pk_mul_f32 v[16:17], v[30:31], v[16:17] op_sel_hi:[1,0]
	v_fmac_f32_e32 v53, v27, v80
	v_add_f32_e32 v55, v55, v92
	v_mul_f32_e32 v57, v28, v81
	v_fma_f32 v52, v26, v80, -v2
	v_mul_f32_e32 v2, v29, v81
	s_waitcnt vmcnt(14)
	v_pk_fma_f32 v[18:19], v[30:31], v[36:37], v[16:17] op_sel:[0,0,1] op_sel_hi:[1,1,0] neg_lo:[0,0,1] neg_hi:[0,0,1]
	v_pk_fma_f32 v[16:17], v[30:31], v[36:37], v[16:17] op_sel:[0,0,1] op_sel_hi:[1,0,0]
	v_fmac_f32_e32 v57, v29, v82
	v_fma_f32 v56, v28, v82, -v2
	v_pk_add_f32 v[14:15], v[54:55], v[52:53]
	s_waitcnt vmcnt(7)
	v_mov_b32_e32 v16, v45
	ds_read2_b64 v[2:5], v1 offset0:101 offset1:102
	ds_read2_b64 v[6:9], v1 offset0:103 offset1:104
	;; [unrolled: 1-line block ×3, first 2 shown]
	v_pk_add_f32 v[14:15], v[14:15], v[56:57]
	v_mov_b32_e32 v19, v17
	v_pk_mul_f32 v[16:17], v[32:33], v[16:17] op_sel_hi:[1,0]
	v_pk_add_f32 v[14:15], v[14:15], v[18:19]
	s_waitcnt vmcnt(6)
	v_pk_fma_f32 v[18:19], v[32:33], v[44:45], v[16:17] op_sel:[0,0,1] op_sel_hi:[1,1,0] neg_lo:[0,0,1] neg_hi:[0,0,1]
	v_pk_fma_f32 v[16:17], v[32:33], v[44:45], v[16:17] op_sel:[0,0,1] op_sel_hi:[1,0,0]
	v_mov_b32_e32 v16, v43
	v_mov_b32_e32 v19, v17
	s_waitcnt lgkmcnt(2)
	v_pk_mul_f32 v[16:17], v[2:3], v[16:17] op_sel_hi:[1,0]
	v_pk_add_f32 v[14:15], v[14:15], v[18:19]
	v_pk_fma_f32 v[18:19], v[2:3], v[42:43], v[16:17] op_sel:[0,0,1] op_sel_hi:[1,1,0] neg_lo:[0,0,1] neg_hi:[0,0,1]
	v_pk_fma_f32 v[2:3], v[2:3], v[42:43], v[16:17] op_sel:[0,0,1] op_sel_hi:[1,0,0]
	v_mov_b32_e32 v19, v3
	v_pk_add_f32 v[2:3], v[14:15], v[18:19]
	v_mov_b32_e32 v14, v41
	v_pk_mul_f32 v[14:15], v[4:5], v[14:15] op_sel_hi:[1,0]
	v_pk_fma_f32 v[16:17], v[4:5], v[40:41], v[14:15] op_sel:[0,0,1] op_sel_hi:[1,1,0] neg_lo:[0,0,1] neg_hi:[0,0,1]
	v_pk_fma_f32 v[4:5], v[4:5], v[40:41], v[14:15] op_sel:[0,0,1] op_sel_hi:[1,0,0]
	v_mov_b32_e32 v4, v39
	v_mov_b32_e32 v17, v5
	s_waitcnt lgkmcnt(1)
	v_pk_mul_f32 v[4:5], v[6:7], v[4:5] op_sel_hi:[1,0]
	v_pk_fma_f32 v[14:15], v[6:7], v[38:39], v[4:5] op_sel:[0,0,1] op_sel_hi:[1,1,0] neg_lo:[0,0,1] neg_hi:[0,0,1]
	v_pk_fma_f32 v[4:5], v[6:7], v[38:39], v[4:5] op_sel:[0,0,1] op_sel_hi:[1,0,0]
	s_waitcnt vmcnt(1)
	v_mov_b32_e32 v4, v51
	v_mov_b32_e32 v15, v5
	v_pk_mul_f32 v[4:5], v[8:9], v[4:5] op_sel_hi:[1,0]
	s_waitcnt vmcnt(0)
	v_pk_fma_f32 v[6:7], v[8:9], v[50:51], v[4:5] op_sel:[0,0,1] op_sel_hi:[1,1,0] neg_lo:[0,0,1] neg_hi:[0,0,1]
	v_pk_fma_f32 v[4:5], v[8:9], v[50:51], v[4:5] op_sel:[0,0,1] op_sel_hi:[1,0,0]
	v_pk_add_f32 v[2:3], v[2:3], v[16:17]
	v_mov_b32_e32 v4, v49
	v_pk_add_f32 v[2:3], v[2:3], v[14:15]
	v_mov_b32_e32 v7, v5
	s_waitcnt lgkmcnt(0)
	v_pk_mul_f32 v[4:5], v[10:11], v[4:5] op_sel_hi:[1,0]
	v_pk_add_f32 v[2:3], v[2:3], v[6:7]
	v_pk_fma_f32 v[6:7], v[10:11], v[48:49], v[4:5] op_sel:[0,0,1] op_sel_hi:[1,1,0] neg_lo:[0,0,1] neg_hi:[0,0,1]
	v_pk_fma_f32 v[4:5], v[10:11], v[48:49], v[4:5] op_sel:[0,0,1] op_sel_hi:[1,0,0]
	v_mov_b32_e32 v4, v47
	v_mov_b32_e32 v7, v5
	v_pk_mul_f32 v[4:5], v[12:13], v[4:5] op_sel_hi:[1,0]
	v_pk_add_f32 v[2:3], v[2:3], v[6:7]
	v_pk_fma_f32 v[6:7], v[12:13], v[46:47], v[4:5] op_sel:[0,0,1] op_sel_hi:[1,1,0] neg_lo:[0,0,1] neg_hi:[0,0,1]
	v_pk_fma_f32 v[4:5], v[12:13], v[46:47], v[4:5] op_sel:[0,0,1] op_sel_hi:[1,0,0]
	v_mov_b32_e32 v7, v5
	v_pk_add_f32 v[2:3], v[2:3], v[6:7]
	v_pk_add_f32 v[2:3], v[34:35], v[2:3] neg_lo:[0,1] neg_hi:[0,1]
	buffer_store_dword v3, off, s[0:3], 0 offset:244
	buffer_store_dword v2, off, s[0:3], 0 offset:240
	s_and_saveexec_b64 s[4:5], vcc
	s_cbranch_execz .LBB116_273
; %bb.272:
	buffer_load_dword v2, off, s[0:3], 0 offset:232
	buffer_load_dword v3, off, s[0:3], 0 offset:236
	v_mov_b32_e32 v1, 0
	v_accvgpr_read_b32 v4, a48
	buffer_store_dword v1, off, s[0:3], 0 offset:232
	buffer_store_dword v1, off, s[0:3], 0 offset:236
	s_waitcnt vmcnt(2)
	ds_write_b64 v4, v[2:3]
.LBB116_273:
	s_or_b64 exec, exec, s[4:5]
	s_waitcnt lgkmcnt(0)
	; wave barrier
	s_waitcnt lgkmcnt(0)
	buffer_load_dword v50, off, s[0:3], 0 offset:244
	buffer_load_dword v54, off, s[0:3], 0 offset:252
	;; [unrolled: 1-line block ×32, first 2 shown]
	v_mov_b32_e32 v1, 0
	buffer_load_dword v37, off, s[0:3], 0 offset:388
	buffer_load_dword v36, off, s[0:3], 0 offset:384
	;; [unrolled: 1-line block ×13, first 2 shown]
	ds_read_b128 v[2:5], v1 offset:672
	ds_read_b128 v[6:9], v1 offset:688
	;; [unrolled: 1-line block ×8, first 2 shown]
	v_cmp_lt_u32_e32 vcc, 28, v0
	s_waitcnt vmcnt(44) lgkmcnt(7)
	v_mul_f32_e32 v44, v2, v50
	s_waitcnt vmcnt(43)
	v_mul_f32_e32 v51, v4, v54
	s_waitcnt vmcnt(42) lgkmcnt(6)
	v_mul_f32_e32 v52, v6, v56
	s_waitcnt vmcnt(41)
	v_mul_f32_e32 v53, v8, v58
	;; [unrolled: 4-line block ×6, first 2 shown]
	s_waitcnt vmcnt(32) lgkmcnt(1)
	v_mul_f32_e32 v91, v26, v67
	s_waitcnt vmcnt(31)
	v_fmac_f32_e32 v44, v3, v68
	s_waitcnt vmcnt(30)
	v_fmac_f32_e32 v51, v5, v69
	v_add_f32_e32 v44, 0, v44
	s_waitcnt vmcnt(29)
	v_fmac_f32_e32 v52, v7, v70
	v_add_f32_e32 v44, v44, v51
	;; [unrolled: 3-line block ×12, first 2 shown]
	v_add_f32_e32 v51, v44, v91
	buffer_load_dword v53, off, s[0:3], 0 offset:404
	buffer_load_dword v52, off, s[0:3], 0 offset:400
	;; [unrolled: 1-line block ×3, first 2 shown]
	v_mul_f32_e32 v3, v3, v50
	v_fma_f32 v2, v2, v68, -v3
	v_mul_f32_e32 v3, v5, v54
	v_add_f32_e32 v2, 0, v2
	v_fma_f32 v3, v4, v69, -v3
	v_add_f32_e32 v2, v2, v3
	v_mul_f32_e32 v3, v7, v56
	v_fma_f32 v3, v6, v70, -v3
	v_add_f32_e32 v2, v2, v3
	v_mul_f32_e32 v3, v9, v58
	v_fma_f32 v3, v8, v71, -v3
	v_add_f32_e32 v2, v2, v3
	v_mul_f32_e32 v3, v11, v59
	v_fma_f32 v3, v10, v72, -v3
	v_add_f32_e32 v2, v2, v3
	v_mul_f32_e32 v3, v13, v60
	v_fma_f32 v3, v12, v73, -v3
	v_add_f32_e32 v2, v2, v3
	v_mul_f32_e32 v3, v15, v61
	v_fma_f32 v3, v14, v74, -v3
	v_add_f32_e32 v2, v2, v3
	v_mul_f32_e32 v3, v17, v62
	v_fma_f32 v3, v16, v75, -v3
	v_add_f32_e32 v2, v2, v3
	v_mul_f32_e32 v3, v19, v63
	v_fma_f32 v3, v18, v76, -v3
	v_add_f32_e32 v2, v2, v3
	v_mul_f32_e32 v3, v21, v64
	v_fma_f32 v3, v20, v77, -v3
	v_add_f32_e32 v2, v2, v3
	v_mul_f32_e32 v3, v23, v65
	v_fma_f32 v3, v22, v78, -v3
	v_add_f32_e32 v2, v2, v3
	v_mul_f32_e32 v3, v25, v66
	v_fma_f32 v3, v24, v79, -v3
	v_add_f32_e32 v2, v2, v3
	v_mul_f32_e32 v3, v27, v67
	v_fma_f32 v3, v26, v80, -v3
	v_add_f32_e32 v50, v2, v3
	s_waitcnt vmcnt(21)
	v_mul_f32_e32 v2, v29, v81
	s_waitcnt vmcnt(9)
	v_mov_b32_e32 v18, v43
	v_mul_f32_e32 v55, v28, v81
	v_fma_f32 v54, v28, v82, -v2
	s_waitcnt lgkmcnt(0)
	v_mul_f32_e32 v2, v31, v83
	v_pk_mul_f32 v[18:19], v[32:33], v[18:19] op_sel_hi:[1,0]
	v_fmac_f32_e32 v55, v29, v82
	v_mul_f32_e32 v57, v30, v83
	v_fma_f32 v56, v30, v84, -v2
	ds_read_b128 v[2:5], v1 offset:800
	ds_read_b128 v[6:9], v1 offset:816
	;; [unrolled: 1-line block ×3, first 2 shown]
	ds_read_b64 v[14:15], v1 offset:848
	s_waitcnt vmcnt(8)
	v_pk_fma_f32 v[20:21], v[32:33], v[42:43], v[18:19] op_sel:[0,0,1] op_sel_hi:[1,1,0] neg_lo:[0,0,1] neg_hi:[0,0,1]
	v_pk_fma_f32 v[18:19], v[32:33], v[42:43], v[18:19] op_sel:[0,0,1] op_sel_hi:[1,0,0]
	v_fmac_f32_e32 v57, v31, v84
	v_pk_add_f32 v[16:17], v[50:51], v[54:55]
	v_mov_b32_e32 v18, v41
	v_pk_add_f32 v[16:17], v[16:17], v[56:57]
	v_mov_b32_e32 v21, v19
	s_waitcnt lgkmcnt(3)
	v_pk_mul_f32 v[18:19], v[2:3], v[18:19] op_sel_hi:[1,0]
	v_pk_add_f32 v[16:17], v[16:17], v[20:21]
	v_pk_fma_f32 v[20:21], v[2:3], v[40:41], v[18:19] op_sel:[0,0,1] op_sel_hi:[1,1,0] neg_lo:[0,0,1] neg_hi:[0,0,1]
	v_pk_fma_f32 v[2:3], v[2:3], v[40:41], v[18:19] op_sel:[0,0,1] op_sel_hi:[1,0,0]
	v_mov_b32_e32 v21, v3
	v_pk_add_f32 v[2:3], v[16:17], v[20:21]
	v_mov_b32_e32 v16, v39
	v_pk_mul_f32 v[16:17], v[4:5], v[16:17] op_sel_hi:[1,0]
	v_pk_fma_f32 v[18:19], v[4:5], v[38:39], v[16:17] op_sel:[0,0,1] op_sel_hi:[1,1,0] neg_lo:[0,0,1] neg_hi:[0,0,1]
	v_pk_fma_f32 v[4:5], v[4:5], v[38:39], v[16:17] op_sel:[0,0,1] op_sel_hi:[1,0,0]
	v_mov_b32_e32 v4, v37
	v_mov_b32_e32 v19, v5
	s_waitcnt lgkmcnt(2)
	v_pk_mul_f32 v[4:5], v[6:7], v[4:5] op_sel_hi:[1,0]
	v_pk_fma_f32 v[16:17], v[6:7], v[36:37], v[4:5] op_sel:[0,0,1] op_sel_hi:[1,1,0] neg_lo:[0,0,1] neg_hi:[0,0,1]
	v_pk_fma_f32 v[4:5], v[6:7], v[36:37], v[4:5] op_sel:[0,0,1] op_sel_hi:[1,0,0]
	s_waitcnt vmcnt(7)
	v_mov_b32_e32 v4, v45
	v_mov_b32_e32 v17, v5
	v_pk_mul_f32 v[4:5], v[8:9], v[4:5] op_sel_hi:[1,0]
	v_pk_add_f32 v[2:3], v[2:3], v[18:19]
	v_pk_add_f32 v[2:3], v[2:3], v[16:17]
	s_waitcnt vmcnt(0)
	v_pk_fma_f32 v[6:7], v[8:9], v[44:45], v[4:5] op_sel:[0,0,1] op_sel_hi:[1,1,0] neg_lo:[0,0,1] neg_hi:[0,0,1]
	v_pk_fma_f32 v[4:5], v[8:9], v[44:45], v[4:5] op_sel:[0,0,1] op_sel_hi:[1,0,0]
	v_mov_b32_e32 v4, v53
	v_mov_b32_e32 v7, v5
	s_waitcnt lgkmcnt(1)
	v_pk_mul_f32 v[4:5], v[10:11], v[4:5] op_sel_hi:[1,0]
	v_pk_add_f32 v[2:3], v[2:3], v[6:7]
	v_pk_fma_f32 v[6:7], v[10:11], v[52:53], v[4:5] op_sel:[0,0,1] op_sel_hi:[1,1,0] neg_lo:[0,0,1] neg_hi:[0,0,1]
	v_pk_fma_f32 v[4:5], v[10:11], v[52:53], v[4:5] op_sel:[0,0,1] op_sel_hi:[1,0,0]
	v_mov_b32_e32 v4, v49
	v_mov_b32_e32 v7, v5
	v_pk_mul_f32 v[4:5], v[12:13], v[4:5] op_sel_hi:[1,0]
	v_pk_add_f32 v[2:3], v[2:3], v[6:7]
	v_pk_fma_f32 v[6:7], v[12:13], v[48:49], v[4:5] op_sel:[0,0,1] op_sel_hi:[1,1,0] neg_lo:[0,0,1] neg_hi:[0,0,1]
	v_pk_fma_f32 v[4:5], v[12:13], v[48:49], v[4:5] op_sel:[0,0,1] op_sel_hi:[1,0,0]
	v_mov_b32_e32 v4, v47
	v_mov_b32_e32 v7, v5
	s_waitcnt lgkmcnt(0)
	v_pk_mul_f32 v[4:5], v[14:15], v[4:5] op_sel_hi:[1,0]
	v_pk_add_f32 v[2:3], v[2:3], v[6:7]
	v_pk_fma_f32 v[6:7], v[14:15], v[46:47], v[4:5] op_sel:[0,0,1] op_sel_hi:[1,1,0] neg_lo:[0,0,1] neg_hi:[0,0,1]
	v_pk_fma_f32 v[4:5], v[14:15], v[46:47], v[4:5] op_sel:[0,0,1] op_sel_hi:[1,0,0]
	v_mov_b32_e32 v7, v5
	v_pk_add_f32 v[2:3], v[2:3], v[6:7]
	v_pk_add_f32 v[2:3], v[34:35], v[2:3] neg_lo:[0,1] neg_hi:[0,1]
	buffer_store_dword v3, off, s[0:3], 0 offset:236
	buffer_store_dword v2, off, s[0:3], 0 offset:232
	s_and_saveexec_b64 s[4:5], vcc
	s_cbranch_execz .LBB116_275
; %bb.274:
	buffer_load_dword v2, off, s[0:3], 0 offset:224
	buffer_load_dword v3, off, s[0:3], 0 offset:228
	v_accvgpr_read_b32 v4, a48
	buffer_store_dword v1, off, s[0:3], 0 offset:224
	buffer_store_dword v1, off, s[0:3], 0 offset:228
	s_waitcnt vmcnt(2)
	ds_write_b64 v4, v[2:3]
.LBB116_275:
	s_or_b64 exec, exec, s[4:5]
	s_waitcnt lgkmcnt(0)
	; wave barrier
	s_waitcnt lgkmcnt(0)
	buffer_load_dword v50, off, s[0:3], 0 offset:236
	buffer_load_dword v52, off, s[0:3], 0 offset:244
	;; [unrolled: 1-line block ×34, first 2 shown]
	ds_read2_b64 v[2:5], v1 offset0:83 offset1:84
	ds_read2_b64 v[6:9], v1 offset0:85 offset1:86
	;; [unrolled: 1-line block ×8, first 2 shown]
	buffer_load_dword v37, off, s[0:3], 0 offset:380
	buffer_load_dword v36, off, s[0:3], 0 offset:376
	;; [unrolled: 1-line block ×9, first 2 shown]
	v_cmp_lt_u32_e32 vcc, 27, v0
	s_waitcnt vmcnt(42) lgkmcnt(7)
	v_mul_f32_e32 v42, v2, v50
	s_waitcnt vmcnt(41)
	v_mul_f32_e32 v46, v4, v52
	s_waitcnt vmcnt(40) lgkmcnt(6)
	v_mul_f32_e32 v47, v6, v54
	s_waitcnt vmcnt(39)
	v_mul_f32_e32 v48, v8, v58
	;; [unrolled: 4-line block ×7, first 2 shown]
	s_waitcnt vmcnt(28)
	v_fmac_f32_e32 v42, v3, v69
	s_waitcnt vmcnt(27)
	v_fmac_f32_e32 v46, v5, v70
	v_add_f32_e32 v42, 0, v42
	s_waitcnt vmcnt(26)
	v_fmac_f32_e32 v47, v7, v71
	v_add_f32_e32 v42, v42, v46
	;; [unrolled: 3-line block ×12, first 2 shown]
	v_add_f32_e32 v51, v42, v89
	buffer_load_dword v47, off, s[0:3], 0 offset:404
	buffer_load_dword v46, off, s[0:3], 0 offset:400
	;; [unrolled: 1-line block ×7, first 2 shown]
	v_mul_f32_e32 v3, v3, v50
	v_fma_f32 v2, v2, v69, -v3
	v_mul_f32_e32 v3, v5, v52
	v_add_f32_e32 v2, 0, v2
	v_fma_f32 v3, v4, v70, -v3
	v_add_f32_e32 v2, v2, v3
	v_mul_f32_e32 v3, v7, v54
	v_fma_f32 v3, v6, v71, -v3
	v_add_f32_e32 v2, v2, v3
	v_mul_f32_e32 v3, v9, v58
	;; [unrolled: 3-line block ×12, first 2 shown]
	s_waitcnt vmcnt(22)
	v_fma_f32 v3, v28, v82, -v3
	v_add_f32_e32 v50, v2, v3
	s_waitcnt vmcnt(21) lgkmcnt(0)
	v_mul_f32_e32 v2, v31, v83
	s_waitcnt vmcnt(20)
	v_fma_f32 v52, v30, v84, -v2
	s_waitcnt vmcnt(19)
	v_mul_f32_e32 v2, v33, v85
	s_waitcnt vmcnt(18)
	v_fma_f32 v54, v32, v86, -v2
	ds_read2_b64 v[2:5], v1 offset0:99 offset1:100
	ds_read2_b64 v[6:9], v1 offset0:101 offset1:102
	;; [unrolled: 1-line block ×4, first 2 shown]
	v_fmac_f32_e32 v90, v29, v82
	v_mul_f32_e32 v53, v30, v83
	s_waitcnt vmcnt(11)
	v_mov_b32_e32 v20, v41
	v_add_f32_e32 v51, v51, v90
	v_fmac_f32_e32 v53, v31, v84
	v_mul_f32_e32 v55, v32, v85
	s_waitcnt lgkmcnt(3)
	v_pk_mul_f32 v[20:21], v[2:3], v[20:21] op_sel_hi:[1,0]
	v_fmac_f32_e32 v55, v33, v86
	v_pk_add_f32 v[18:19], v[50:51], v[52:53]
	s_waitcnt vmcnt(10)
	v_pk_fma_f32 v[22:23], v[2:3], v[40:41], v[20:21] op_sel:[0,0,1] op_sel_hi:[1,1,0] neg_lo:[0,0,1] neg_hi:[0,0,1]
	v_pk_fma_f32 v[2:3], v[2:3], v[40:41], v[20:21] op_sel:[0,0,1] op_sel_hi:[1,0,0]
	v_pk_add_f32 v[18:19], v[18:19], v[54:55]
	v_mov_b32_e32 v23, v3
	v_pk_add_f32 v[2:3], v[18:19], v[22:23]
	v_mov_b32_e32 v18, v39
	v_pk_mul_f32 v[18:19], v[4:5], v[18:19] op_sel_hi:[1,0]
	v_pk_fma_f32 v[20:21], v[4:5], v[38:39], v[18:19] op_sel:[0,0,1] op_sel_hi:[1,1,0] neg_lo:[0,0,1] neg_hi:[0,0,1]
	v_pk_fma_f32 v[4:5], v[4:5], v[38:39], v[18:19] op_sel:[0,0,1] op_sel_hi:[1,0,0]
	v_mov_b32_e32 v4, v37
	v_mov_b32_e32 v21, v5
	s_waitcnt lgkmcnt(2)
	v_pk_mul_f32 v[4:5], v[6:7], v[4:5] op_sel_hi:[1,0]
	v_pk_fma_f32 v[18:19], v[6:7], v[36:37], v[4:5] op_sel:[0,0,1] op_sel_hi:[1,1,0] neg_lo:[0,0,1] neg_hi:[0,0,1]
	v_pk_fma_f32 v[4:5], v[6:7], v[36:37], v[4:5] op_sel:[0,0,1] op_sel_hi:[1,0,0]
	s_waitcnt vmcnt(9)
	v_mov_b32_e32 v4, v43
	v_mov_b32_e32 v19, v5
	v_pk_mul_f32 v[4:5], v[8:9], v[4:5] op_sel_hi:[1,0]
	v_pk_add_f32 v[2:3], v[2:3], v[20:21]
	v_pk_add_f32 v[2:3], v[2:3], v[18:19]
	s_waitcnt vmcnt(2)
	v_pk_fma_f32 v[6:7], v[8:9], v[42:43], v[4:5] op_sel:[0,0,1] op_sel_hi:[1,1,0] neg_lo:[0,0,1] neg_hi:[0,0,1]
	v_pk_fma_f32 v[4:5], v[8:9], v[42:43], v[4:5] op_sel:[0,0,1] op_sel_hi:[1,0,0]
	v_mov_b32_e32 v4, v49
	v_mov_b32_e32 v7, v5
	s_waitcnt lgkmcnt(1)
	v_pk_mul_f32 v[4:5], v[10:11], v[4:5] op_sel_hi:[1,0]
	v_pk_add_f32 v[2:3], v[2:3], v[6:7]
	v_pk_fma_f32 v[6:7], v[10:11], v[48:49], v[4:5] op_sel:[0,0,1] op_sel_hi:[1,1,0] neg_lo:[0,0,1] neg_hi:[0,0,1]
	v_pk_fma_f32 v[4:5], v[10:11], v[48:49], v[4:5] op_sel:[0,0,1] op_sel_hi:[1,0,0]
	v_mov_b32_e32 v4, v47
	v_mov_b32_e32 v7, v5
	v_pk_mul_f32 v[4:5], v[12:13], v[4:5] op_sel_hi:[1,0]
	v_pk_add_f32 v[2:3], v[2:3], v[6:7]
	v_pk_fma_f32 v[6:7], v[12:13], v[46:47], v[4:5] op_sel:[0,0,1] op_sel_hi:[1,1,0] neg_lo:[0,0,1] neg_hi:[0,0,1]
	v_pk_fma_f32 v[4:5], v[12:13], v[46:47], v[4:5] op_sel:[0,0,1] op_sel_hi:[1,0,0]
	v_mov_b32_e32 v4, v45
	v_mov_b32_e32 v7, v5
	s_waitcnt lgkmcnt(0)
	v_pk_mul_f32 v[4:5], v[14:15], v[4:5] op_sel_hi:[1,0]
	v_pk_add_f32 v[2:3], v[2:3], v[6:7]
	v_pk_fma_f32 v[6:7], v[14:15], v[44:45], v[4:5] op_sel:[0,0,1] op_sel_hi:[1,1,0] neg_lo:[0,0,1] neg_hi:[0,0,1]
	v_pk_fma_f32 v[4:5], v[14:15], v[44:45], v[4:5] op_sel:[0,0,1] op_sel_hi:[1,0,0]
	s_waitcnt vmcnt(1)
	v_mov_b32_e32 v4, v57
	v_mov_b32_e32 v7, v5
	v_pk_mul_f32 v[4:5], v[16:17], v[4:5] op_sel_hi:[1,0]
	v_pk_add_f32 v[2:3], v[2:3], v[6:7]
	s_waitcnt vmcnt(0)
	v_pk_fma_f32 v[6:7], v[16:17], v[56:57], v[4:5] op_sel:[0,0,1] op_sel_hi:[1,1,0] neg_lo:[0,0,1] neg_hi:[0,0,1]
	v_pk_fma_f32 v[4:5], v[16:17], v[56:57], v[4:5] op_sel:[0,0,1] op_sel_hi:[1,0,0]
	v_mov_b32_e32 v7, v5
	v_pk_add_f32 v[2:3], v[2:3], v[6:7]
	v_pk_add_f32 v[2:3], v[34:35], v[2:3] neg_lo:[0,1] neg_hi:[0,1]
	buffer_store_dword v3, off, s[0:3], 0 offset:228
	buffer_store_dword v2, off, s[0:3], 0 offset:224
	s_and_saveexec_b64 s[4:5], vcc
	s_cbranch_execz .LBB116_277
; %bb.276:
	buffer_load_dword v2, off, s[0:3], 0 offset:216
	buffer_load_dword v3, off, s[0:3], 0 offset:220
	v_mov_b32_e32 v1, 0
	v_accvgpr_read_b32 v4, a48
	buffer_store_dword v1, off, s[0:3], 0 offset:216
	buffer_store_dword v1, off, s[0:3], 0 offset:220
	s_waitcnt vmcnt(2)
	ds_write_b64 v4, v[2:3]
.LBB116_277:
	s_or_b64 exec, exec, s[4:5]
	s_waitcnt lgkmcnt(0)
	; wave barrier
	s_waitcnt lgkmcnt(0)
	buffer_load_dword v56, off, s[0:3], 0 offset:228
	buffer_load_dword v58, off, s[0:3], 0 offset:236
	;; [unrolled: 1-line block ×36, first 2 shown]
	v_mov_b32_e32 v1, 0
	buffer_load_dword v45, off, s[0:3], 0 offset:372
	buffer_load_dword v44, off, s[0:3], 0 offset:368
	;; [unrolled: 1-line block ×5, first 2 shown]
	ds_read_b128 v[4:7], v1 offset:656
	ds_read_b128 v[8:11], v1 offset:672
	;; [unrolled: 1-line block ×8, first 2 shown]
	v_cmp_lt_u32_e32 vcc, 26, v0
	s_waitcnt vmcnt(40) lgkmcnt(7)
	v_mul_f32_e32 v36, v4, v56
	s_waitcnt vmcnt(39)
	v_mul_f32_e32 v37, v6, v58
	s_waitcnt vmcnt(38) lgkmcnt(6)
	v_mul_f32_e32 v38, v8, v60
	s_waitcnt vmcnt(37)
	v_mul_f32_e32 v39, v10, v66
	s_waitcnt vmcnt(36) lgkmcnt(5)
	v_mul_f32_e32 v40, v12, v67
	s_waitcnt vmcnt(35)
	v_mul_f32_e32 v41, v14, v68
	s_waitcnt vmcnt(34) lgkmcnt(4)
	v_mul_f32_e32 v42, v16, v69
	s_waitcnt vmcnt(33)
	v_mul_f32_e32 v43, v18, v70
	s_waitcnt vmcnt(32) lgkmcnt(3)
	v_mul_f32_e32 v48, v20, v71
	s_waitcnt vmcnt(31)
	v_mul_f32_e32 v50, v22, v72
	s_waitcnt vmcnt(30) lgkmcnt(2)
	v_mul_f32_e32 v51, v24, v73
	s_waitcnt vmcnt(29)
	v_mul_f32_e32 v52, v26, v74
	s_waitcnt vmcnt(28) lgkmcnt(1)
	v_mul_f32_e32 v53, v28, v75
	s_waitcnt vmcnt(27)
	v_mul_f32_e32 v54, v30, v76
	s_waitcnt vmcnt(26) lgkmcnt(0)
	v_mul_f32_e32 v57, v32, v77
	s_waitcnt vmcnt(25)
	v_fmac_f32_e32 v36, v5, v78
	s_waitcnt vmcnt(24)
	v_fmac_f32_e32 v37, v7, v79
	v_add_f32_e32 v36, 0, v36
	s_waitcnt vmcnt(23)
	v_fmac_f32_e32 v38, v9, v80
	v_add_f32_e32 v36, v36, v37
	s_waitcnt vmcnt(22)
	v_fmac_f32_e32 v39, v11, v81
	v_add_f32_e32 v36, v36, v38
	s_waitcnt vmcnt(21)
	v_fmac_f32_e32 v40, v13, v82
	v_add_f32_e32 v36, v36, v39
	s_waitcnt vmcnt(20)
	v_fmac_f32_e32 v41, v15, v83
	v_add_f32_e32 v36, v36, v40
	s_waitcnt vmcnt(19)
	v_fmac_f32_e32 v42, v17, v84
	v_add_f32_e32 v36, v36, v41
	s_waitcnt vmcnt(18)
	v_fmac_f32_e32 v43, v19, v85
	v_add_f32_e32 v36, v36, v42
	s_waitcnt vmcnt(17)
	v_fmac_f32_e32 v48, v21, v86
	v_add_f32_e32 v36, v36, v43
	s_waitcnt vmcnt(16)
	v_fmac_f32_e32 v50, v23, v87
	v_add_f32_e32 v36, v36, v48
	s_waitcnt vmcnt(15)
	v_fmac_f32_e32 v51, v25, v88
	v_add_f32_e32 v36, v36, v50
	s_waitcnt vmcnt(14)
	v_fmac_f32_e32 v52, v27, v89
	v_add_f32_e32 v36, v36, v51
	s_waitcnt vmcnt(13)
	v_fmac_f32_e32 v53, v29, v90
	v_add_f32_e32 v36, v36, v52
	s_waitcnt vmcnt(12)
	v_fmac_f32_e32 v54, v31, v91
	v_add_f32_e32 v36, v36, v53
	v_add_f32_e32 v40, v36, v54
	buffer_load_dword v51, off, s[0:3], 0 offset:404
	buffer_load_dword v50, off, s[0:3], 0 offset:400
	;; [unrolled: 1-line block ×7, first 2 shown]
	s_waitcnt vmcnt(18)
	v_fmac_f32_e32 v57, v33, v92
	ds_read_b128 v[36:39], v1 offset:784
	v_add_f32_e32 v57, v40, v57
	ds_read_b128 v[40:43], v1 offset:800
	buffer_load_dword v63, off, s[0:3], 0 offset:420
	buffer_load_dword v62, off, s[0:3], 0 offset:416
	;; [unrolled: 1-line block ×4, first 2 shown]
	v_mul_f32_e32 v5, v5, v56
	v_fma_f32 v4, v4, v78, -v5
	v_mul_f32_e32 v5, v7, v58
	v_add_f32_e32 v4, 0, v4
	v_fma_f32 v5, v6, v79, -v5
	v_add_f32_e32 v4, v4, v5
	v_mul_f32_e32 v5, v9, v60
	v_fma_f32 v5, v8, v80, -v5
	v_add_f32_e32 v4, v4, v5
	v_mul_f32_e32 v5, v11, v66
	v_fma_f32 v5, v10, v81, -v5
	v_add_f32_e32 v4, v4, v5
	v_mul_f32_e32 v5, v13, v67
	v_fma_f32 v5, v12, v82, -v5
	v_add_f32_e32 v4, v4, v5
	v_mul_f32_e32 v5, v15, v68
	v_fma_f32 v5, v14, v83, -v5
	v_add_f32_e32 v4, v4, v5
	v_mul_f32_e32 v5, v17, v69
	v_fma_f32 v5, v16, v84, -v5
	v_add_f32_e32 v4, v4, v5
	v_mul_f32_e32 v5, v19, v70
	v_fma_f32 v5, v18, v85, -v5
	v_add_f32_e32 v4, v4, v5
	v_mul_f32_e32 v5, v21, v71
	v_fma_f32 v5, v20, v86, -v5
	v_add_f32_e32 v4, v4, v5
	v_mul_f32_e32 v5, v23, v72
	v_fma_f32 v5, v22, v87, -v5
	v_add_f32_e32 v4, v4, v5
	v_mul_f32_e32 v5, v25, v73
	v_fma_f32 v5, v24, v88, -v5
	v_add_f32_e32 v4, v4, v5
	v_mul_f32_e32 v5, v27, v74
	v_fma_f32 v5, v26, v89, -v5
	v_add_f32_e32 v4, v4, v5
	v_mul_f32_e32 v5, v29, v75
	v_fma_f32 v5, v28, v90, -v5
	v_add_f32_e32 v4, v4, v5
	v_mul_f32_e32 v5, v31, v76
	v_fma_f32 v5, v30, v91, -v5
	v_add_f32_e32 v4, v4, v5
	v_mul_f32_e32 v5, v33, v77
	v_fma_f32 v5, v32, v92, -v5
	s_waitcnt vmcnt(13)
	v_mov_b32_e32 v16, v47
	v_mul_f32_e32 v59, v34, v93
	v_add_f32_e32 v56, v4, v5
	v_mul_f32_e32 v4, v35, v93
	s_waitcnt lgkmcnt(1)
	v_pk_mul_f32 v[16:17], v[38:39], v[16:17] op_sel_hi:[1,0]
	v_fmac_f32_e32 v59, v35, v94
	v_mul_f32_e32 v61, v36, v95
	v_fma_f32 v58, v34, v94, -v4
	v_mul_f32_e32 v4, v37, v95
	s_waitcnt vmcnt(12)
	v_pk_fma_f32 v[18:19], v[38:39], v[46:47], v[16:17] op_sel:[0,0,1] op_sel_hi:[1,1,0] neg_lo:[0,0,1] neg_hi:[0,0,1]
	v_pk_fma_f32 v[16:17], v[38:39], v[46:47], v[16:17] op_sel:[0,0,1] op_sel_hi:[1,0,0]
	v_fmac_f32_e32 v61, v37, v96
	v_fma_f32 v60, v36, v96, -v4
	v_pk_add_f32 v[14:15], v[56:57], v[58:59]
	v_mov_b32_e32 v16, v45
	v_pk_add_f32 v[14:15], v[14:15], v[60:61]
	v_mov_b32_e32 v19, v17
	s_waitcnt lgkmcnt(0)
	v_pk_mul_f32 v[16:17], v[40:41], v[16:17] op_sel_hi:[1,0]
	v_pk_add_f32 v[14:15], v[14:15], v[18:19]
	v_pk_fma_f32 v[18:19], v[40:41], v[44:45], v[16:17] op_sel:[0,0,1] op_sel_hi:[1,1,0] neg_lo:[0,0,1] neg_hi:[0,0,1]
	v_pk_fma_f32 v[16:17], v[40:41], v[44:45], v[16:17] op_sel:[0,0,1] op_sel_hi:[1,0,0]
	s_waitcnt vmcnt(11)
	v_mov_b32_e32 v16, v49
	ds_read_b128 v[4:7], v1 offset:816
	ds_read_b128 v[8:11], v1 offset:832
	ds_read_b64 v[12:13], v1 offset:848
	v_mov_b32_e32 v19, v17
	v_pk_mul_f32 v[16:17], v[42:43], v[16:17] op_sel_hi:[1,0]
	v_pk_add_f32 v[14:15], v[14:15], v[18:19]
	s_waitcnt vmcnt(4)
	v_pk_fma_f32 v[18:19], v[42:43], v[48:49], v[16:17] op_sel:[0,0,1] op_sel_hi:[1,1,0] neg_lo:[0,0,1] neg_hi:[0,0,1]
	v_pk_fma_f32 v[16:17], v[42:43], v[48:49], v[16:17] op_sel:[0,0,1] op_sel_hi:[1,0,0]
	v_mov_b32_e32 v16, v55
	v_mov_b32_e32 v19, v17
	s_waitcnt lgkmcnt(2)
	v_pk_mul_f32 v[16:17], v[4:5], v[16:17] op_sel_hi:[1,0]
	v_pk_add_f32 v[14:15], v[14:15], v[18:19]
	v_pk_fma_f32 v[18:19], v[4:5], v[54:55], v[16:17] op_sel:[0,0,1] op_sel_hi:[1,1,0] neg_lo:[0,0,1] neg_hi:[0,0,1]
	v_pk_fma_f32 v[4:5], v[4:5], v[54:55], v[16:17] op_sel:[0,0,1] op_sel_hi:[1,0,0]
	v_mov_b32_e32 v19, v5
	v_pk_add_f32 v[4:5], v[14:15], v[18:19]
	v_mov_b32_e32 v14, v53
	v_pk_mul_f32 v[14:15], v[6:7], v[14:15] op_sel_hi:[1,0]
	v_pk_fma_f32 v[16:17], v[6:7], v[52:53], v[14:15] op_sel:[0,0,1] op_sel_hi:[1,1,0] neg_lo:[0,0,1] neg_hi:[0,0,1]
	v_pk_fma_f32 v[6:7], v[6:7], v[52:53], v[14:15] op_sel:[0,0,1] op_sel_hi:[1,0,0]
	v_mov_b32_e32 v6, v51
	v_mov_b32_e32 v17, v7
	s_waitcnt lgkmcnt(1)
	v_pk_mul_f32 v[6:7], v[8:9], v[6:7] op_sel_hi:[1,0]
	v_pk_fma_f32 v[14:15], v[8:9], v[50:51], v[6:7] op_sel:[0,0,1] op_sel_hi:[1,1,0] neg_lo:[0,0,1] neg_hi:[0,0,1]
	v_pk_fma_f32 v[6:7], v[8:9], v[50:51], v[6:7] op_sel:[0,0,1] op_sel_hi:[1,0,0]
	s_waitcnt vmcnt(1)
	v_mov_b32_e32 v6, v65
	v_mov_b32_e32 v15, v7
	v_pk_mul_f32 v[6:7], v[10:11], v[6:7] op_sel_hi:[1,0]
	s_waitcnt vmcnt(0)
	v_pk_fma_f32 v[8:9], v[10:11], v[64:65], v[6:7] op_sel:[0,0,1] op_sel_hi:[1,1,0] neg_lo:[0,0,1] neg_hi:[0,0,1]
	v_pk_fma_f32 v[6:7], v[10:11], v[64:65], v[6:7] op_sel:[0,0,1] op_sel_hi:[1,0,0]
	v_pk_add_f32 v[4:5], v[4:5], v[16:17]
	v_mov_b32_e32 v6, v63
	v_pk_add_f32 v[4:5], v[4:5], v[14:15]
	v_mov_b32_e32 v9, v7
	s_waitcnt lgkmcnt(0)
	v_pk_mul_f32 v[6:7], v[12:13], v[6:7] op_sel_hi:[1,0]
	v_pk_add_f32 v[4:5], v[4:5], v[8:9]
	v_pk_fma_f32 v[8:9], v[12:13], v[62:63], v[6:7] op_sel:[0,0,1] op_sel_hi:[1,1,0] neg_lo:[0,0,1] neg_hi:[0,0,1]
	v_pk_fma_f32 v[6:7], v[12:13], v[62:63], v[6:7] op_sel:[0,0,1] op_sel_hi:[1,0,0]
	v_mov_b32_e32 v9, v7
	v_pk_add_f32 v[4:5], v[4:5], v[8:9]
	v_pk_add_f32 v[2:3], v[2:3], v[4:5] neg_lo:[0,1] neg_hi:[0,1]
	buffer_store_dword v3, off, s[0:3], 0 offset:220
	buffer_store_dword v2, off, s[0:3], 0 offset:216
	s_and_saveexec_b64 s[4:5], vcc
	s_cbranch_execz .LBB116_279
; %bb.278:
	buffer_load_dword v2, off, s[0:3], 0 offset:208
	buffer_load_dword v3, off, s[0:3], 0 offset:212
	v_accvgpr_read_b32 v4, a48
	buffer_store_dword v1, off, s[0:3], 0 offset:208
	buffer_store_dword v1, off, s[0:3], 0 offset:212
	s_waitcnt vmcnt(2)
	ds_write_b64 v4, v[2:3]
.LBB116_279:
	s_or_b64 exec, exec, s[4:5]
	s_waitcnt lgkmcnt(0)
	; wave barrier
	s_waitcnt lgkmcnt(0)
	buffer_load_dword v54, off, s[0:3], 0 offset:220
	buffer_load_dword v56, off, s[0:3], 0 offset:228
	buffer_load_dword v58, off, s[0:3], 0 offset:236
	buffer_load_dword v66, off, s[0:3], 0 offset:244
	buffer_load_dword v67, off, s[0:3], 0 offset:252
	buffer_load_dword v68, off, s[0:3], 0 offset:260
	buffer_load_dword v69, off, s[0:3], 0 offset:268
	buffer_load_dword v70, off, s[0:3], 0 offset:276
	buffer_load_dword v71, off, s[0:3], 0 offset:284
	buffer_load_dword v72, off, s[0:3], 0 offset:292
	buffer_load_dword v73, off, s[0:3], 0 offset:300
	buffer_load_dword v74, off, s[0:3], 0 offset:308
	buffer_load_dword v75, off, s[0:3], 0 offset:316
	buffer_load_dword v76, off, s[0:3], 0 offset:324
	buffer_load_dword v77, off, s[0:3], 0 offset:332
	buffer_load_dword v78, off, s[0:3], 0 offset:216
	buffer_load_dword v79, off, s[0:3], 0 offset:224
	buffer_load_dword v80, off, s[0:3], 0 offset:232
	buffer_load_dword v81, off, s[0:3], 0 offset:240
	buffer_load_dword v82, off, s[0:3], 0 offset:248
	buffer_load_dword v83, off, s[0:3], 0 offset:256
	buffer_load_dword v84, off, s[0:3], 0 offset:264
	buffer_load_dword v85, off, s[0:3], 0 offset:272
	buffer_load_dword v86, off, s[0:3], 0 offset:280
	buffer_load_dword v87, off, s[0:3], 0 offset:288
	buffer_load_dword v88, off, s[0:3], 0 offset:296
	buffer_load_dword v89, off, s[0:3], 0 offset:304
	buffer_load_dword v90, off, s[0:3], 0 offset:312
	buffer_load_dword v91, off, s[0:3], 0 offset:320
	buffer_load_dword v92, off, s[0:3], 0 offset:328
	buffer_load_dword v93, off, s[0:3], 0 offset:340
	buffer_load_dword v94, off, s[0:3], 0 offset:336
	buffer_load_dword v95, off, s[0:3], 0 offset:348
	buffer_load_dword v96, off, s[0:3], 0 offset:344
	buffer_load_dword v97, off, s[0:3], 0 offset:356
	buffer_load_dword v98, off, s[0:3], 0 offset:352
	buffer_load_dword v42, off, s[0:3], 0 offset:208
	buffer_load_dword v43, off, s[0:3], 0 offset:212
	ds_read2_b64 v[2:5], v1 offset0:81 offset1:82
	ds_read2_b64 v[6:9], v1 offset0:83 offset1:84
	;; [unrolled: 1-line block ×8, first 2 shown]
	buffer_load_dword v45, off, s[0:3], 0 offset:364
	buffer_load_dword v44, off, s[0:3], 0 offset:360
	;; [unrolled: 1-line block ×4, first 2 shown]
	v_cmp_lt_u32_e32 vcc, 25, v0
	s_waitcnt vmcnt(41) lgkmcnt(7)
	v_mul_f32_e32 v34, v2, v54
	s_waitcnt vmcnt(40)
	v_mul_f32_e32 v35, v4, v56
	s_waitcnt vmcnt(39) lgkmcnt(6)
	v_mul_f32_e32 v36, v6, v58
	s_waitcnt vmcnt(38)
	v_mul_f32_e32 v37, v8, v66
	;; [unrolled: 4-line block ×7, first 2 shown]
	s_waitcnt vmcnt(27) lgkmcnt(0)
	v_mul_f32_e32 v55, v30, v77
	s_waitcnt vmcnt(26)
	v_fmac_f32_e32 v34, v3, v78
	s_waitcnt vmcnt(25)
	v_fmac_f32_e32 v35, v5, v79
	v_add_f32_e32 v34, 0, v34
	s_waitcnt vmcnt(24)
	v_fmac_f32_e32 v36, v7, v80
	v_add_f32_e32 v34, v34, v35
	;; [unrolled: 3-line block ×13, first 2 shown]
	v_add_f32_e32 v34, v34, v53
	buffer_load_dword v49, off, s[0:3], 0 offset:388
	buffer_load_dword v48, off, s[0:3], 0 offset:384
	;; [unrolled: 1-line block ×6, first 2 shown]
	s_waitcnt vmcnt(18)
	v_fmac_f32_e32 v55, v31, v92
	s_waitcnt vmcnt(17)
	v_mul_f32_e32 v39, v32, v93
	v_add_f32_e32 v38, v34, v55
	s_waitcnt vmcnt(16)
	v_fmac_f32_e32 v39, v33, v94
	ds_read2_b64 v[34:37], v1 offset0:97 offset1:98
	v_add_f32_e32 v55, v38, v39
	ds_read2_b64 v[38:41], v1 offset0:99 offset1:100
	buffer_load_dword v61, off, s[0:3], 0 offset:420
	buffer_load_dword v60, off, s[0:3], 0 offset:416
	;; [unrolled: 1-line block ×6, first 2 shown]
	v_mul_f32_e32 v3, v3, v54
	v_fma_f32 v2, v2, v78, -v3
	v_mul_f32_e32 v3, v5, v56
	v_add_f32_e32 v2, 0, v2
	v_fma_f32 v3, v4, v79, -v3
	v_add_f32_e32 v2, v2, v3
	v_mul_f32_e32 v3, v7, v58
	v_fma_f32 v3, v6, v80, -v3
	v_add_f32_e32 v2, v2, v3
	v_mul_f32_e32 v3, v9, v66
	;; [unrolled: 3-line block ×14, first 2 shown]
	v_fma_f32 v3, v32, v94, -v3
	s_waitcnt vmcnt(15)
	v_mov_b32_e32 v16, v45
	s_waitcnt lgkmcnt(1)
	v_mul_f32_e32 v57, v34, v95
	v_add_f32_e32 v54, v2, v3
	v_mul_f32_e32 v2, v35, v95
	s_waitcnt lgkmcnt(0)
	v_pk_mul_f32 v[16:17], v[38:39], v[16:17] op_sel_hi:[1,0]
	v_fmac_f32_e32 v57, v35, v96
	v_mul_f32_e32 v59, v36, v97
	v_fma_f32 v56, v34, v96, -v2
	v_mul_f32_e32 v2, v37, v97
	s_waitcnt vmcnt(14)
	v_pk_fma_f32 v[18:19], v[38:39], v[44:45], v[16:17] op_sel:[0,0,1] op_sel_hi:[1,1,0] neg_lo:[0,0,1] neg_hi:[0,0,1]
	v_pk_fma_f32 v[16:17], v[38:39], v[44:45], v[16:17] op_sel:[0,0,1] op_sel_hi:[1,0,0]
	v_fmac_f32_e32 v59, v37, v98
	v_fma_f32 v58, v36, v98, -v2
	v_pk_add_f32 v[14:15], v[54:55], v[56:57]
	ds_read2_b64 v[2:5], v1 offset0:101 offset1:102
	ds_read2_b64 v[6:9], v1 offset0:103 offset1:104
	;; [unrolled: 1-line block ×3, first 2 shown]
	v_pk_add_f32 v[14:15], v[14:15], v[58:59]
	v_mov_b32_e32 v19, v17
	v_pk_add_f32 v[14:15], v[14:15], v[18:19]
	s_waitcnt vmcnt(7)
	v_mov_b32_e32 v16, v53
	v_pk_mul_f32 v[16:17], v[40:41], v[16:17] op_sel_hi:[1,0]
	s_waitcnt vmcnt(6)
	v_pk_fma_f32 v[18:19], v[40:41], v[52:53], v[16:17] op_sel:[0,0,1] op_sel_hi:[1,1,0] neg_lo:[0,0,1] neg_hi:[0,0,1]
	v_pk_fma_f32 v[16:17], v[40:41], v[52:53], v[16:17] op_sel:[0,0,1] op_sel_hi:[1,0,0]
	v_mov_b32_e32 v16, v51
	v_mov_b32_e32 v19, v17
	s_waitcnt lgkmcnt(2)
	v_pk_mul_f32 v[16:17], v[2:3], v[16:17] op_sel_hi:[1,0]
	v_pk_add_f32 v[14:15], v[14:15], v[18:19]
	v_pk_fma_f32 v[18:19], v[2:3], v[50:51], v[16:17] op_sel:[0,0,1] op_sel_hi:[1,1,0] neg_lo:[0,0,1] neg_hi:[0,0,1]
	v_pk_fma_f32 v[2:3], v[2:3], v[50:51], v[16:17] op_sel:[0,0,1] op_sel_hi:[1,0,0]
	v_mov_b32_e32 v19, v3
	v_pk_add_f32 v[2:3], v[14:15], v[18:19]
	v_mov_b32_e32 v14, v49
	v_pk_mul_f32 v[14:15], v[4:5], v[14:15] op_sel_hi:[1,0]
	v_pk_fma_f32 v[16:17], v[4:5], v[48:49], v[14:15] op_sel:[0,0,1] op_sel_hi:[1,1,0] neg_lo:[0,0,1] neg_hi:[0,0,1]
	v_pk_fma_f32 v[4:5], v[4:5], v[48:49], v[14:15] op_sel:[0,0,1] op_sel_hi:[1,0,0]
	v_mov_b32_e32 v4, v47
	v_mov_b32_e32 v17, v5
	s_waitcnt lgkmcnt(1)
	v_pk_mul_f32 v[4:5], v[6:7], v[4:5] op_sel_hi:[1,0]
	v_pk_fma_f32 v[14:15], v[6:7], v[46:47], v[4:5] op_sel:[0,0,1] op_sel_hi:[1,1,0] neg_lo:[0,0,1] neg_hi:[0,0,1]
	v_pk_fma_f32 v[4:5], v[6:7], v[46:47], v[4:5] op_sel:[0,0,1] op_sel_hi:[1,0,0]
	s_waitcnt vmcnt(1)
	v_mov_b32_e32 v4, v65
	v_mov_b32_e32 v15, v5
	v_pk_mul_f32 v[4:5], v[8:9], v[4:5] op_sel_hi:[1,0]
	s_waitcnt vmcnt(0)
	v_pk_fma_f32 v[6:7], v[8:9], v[64:65], v[4:5] op_sel:[0,0,1] op_sel_hi:[1,1,0] neg_lo:[0,0,1] neg_hi:[0,0,1]
	v_pk_fma_f32 v[4:5], v[8:9], v[64:65], v[4:5] op_sel:[0,0,1] op_sel_hi:[1,0,0]
	v_pk_add_f32 v[2:3], v[2:3], v[16:17]
	v_mov_b32_e32 v4, v63
	v_pk_add_f32 v[2:3], v[2:3], v[14:15]
	v_mov_b32_e32 v7, v5
	s_waitcnt lgkmcnt(0)
	v_pk_mul_f32 v[4:5], v[10:11], v[4:5] op_sel_hi:[1,0]
	v_pk_add_f32 v[2:3], v[2:3], v[6:7]
	v_pk_fma_f32 v[6:7], v[10:11], v[62:63], v[4:5] op_sel:[0,0,1] op_sel_hi:[1,1,0] neg_lo:[0,0,1] neg_hi:[0,0,1]
	v_pk_fma_f32 v[4:5], v[10:11], v[62:63], v[4:5] op_sel:[0,0,1] op_sel_hi:[1,0,0]
	v_mov_b32_e32 v4, v61
	v_mov_b32_e32 v7, v5
	v_pk_mul_f32 v[4:5], v[12:13], v[4:5] op_sel_hi:[1,0]
	v_pk_add_f32 v[2:3], v[2:3], v[6:7]
	v_pk_fma_f32 v[6:7], v[12:13], v[60:61], v[4:5] op_sel:[0,0,1] op_sel_hi:[1,1,0] neg_lo:[0,0,1] neg_hi:[0,0,1]
	v_pk_fma_f32 v[4:5], v[12:13], v[60:61], v[4:5] op_sel:[0,0,1] op_sel_hi:[1,0,0]
	v_mov_b32_e32 v7, v5
	v_pk_add_f32 v[2:3], v[2:3], v[6:7]
	v_pk_add_f32 v[2:3], v[42:43], v[2:3] neg_lo:[0,1] neg_hi:[0,1]
	buffer_store_dword v3, off, s[0:3], 0 offset:212
	buffer_store_dword v2, off, s[0:3], 0 offset:208
	s_and_saveexec_b64 s[4:5], vcc
	s_cbranch_execz .LBB116_281
; %bb.280:
	buffer_load_dword v2, off, s[0:3], 0 offset:200
	buffer_load_dword v3, off, s[0:3], 0 offset:204
	v_mov_b32_e32 v1, 0
	v_accvgpr_read_b32 v4, a48
	buffer_store_dword v1, off, s[0:3], 0 offset:200
	buffer_store_dword v1, off, s[0:3], 0 offset:204
	s_waitcnt vmcnt(2)
	ds_write_b64 v4, v[2:3]
.LBB116_281:
	s_or_b64 exec, exec, s[4:5]
	s_waitcnt lgkmcnt(0)
	; wave barrier
	s_waitcnt lgkmcnt(0)
	buffer_load_dword v52, off, s[0:3], 0 offset:212
	buffer_load_dword v54, off, s[0:3], 0 offset:220
	buffer_load_dword v56, off, s[0:3], 0 offset:228
	buffer_load_dword v66, off, s[0:3], 0 offset:236
	buffer_load_dword v67, off, s[0:3], 0 offset:244
	buffer_load_dword v68, off, s[0:3], 0 offset:252
	buffer_load_dword v69, off, s[0:3], 0 offset:260
	buffer_load_dword v70, off, s[0:3], 0 offset:268
	buffer_load_dword v71, off, s[0:3], 0 offset:276
	buffer_load_dword v72, off, s[0:3], 0 offset:284
	buffer_load_dword v73, off, s[0:3], 0 offset:292
	buffer_load_dword v74, off, s[0:3], 0 offset:300
	buffer_load_dword v75, off, s[0:3], 0 offset:308
	buffer_load_dword v76, off, s[0:3], 0 offset:316
	buffer_load_dword v77, off, s[0:3], 0 offset:324
	buffer_load_dword v78, off, s[0:3], 0 offset:332
	buffer_load_dword v79, off, s[0:3], 0 offset:208
	buffer_load_dword v80, off, s[0:3], 0 offset:216
	buffer_load_dword v81, off, s[0:3], 0 offset:224
	buffer_load_dword v82, off, s[0:3], 0 offset:232
	buffer_load_dword v83, off, s[0:3], 0 offset:240
	buffer_load_dword v84, off, s[0:3], 0 offset:248
	buffer_load_dword v85, off, s[0:3], 0 offset:256
	buffer_load_dword v86, off, s[0:3], 0 offset:264
	buffer_load_dword v87, off, s[0:3], 0 offset:272
	buffer_load_dword v88, off, s[0:3], 0 offset:280
	buffer_load_dword v89, off, s[0:3], 0 offset:288
	buffer_load_dword v90, off, s[0:3], 0 offset:296
	buffer_load_dword v91, off, s[0:3], 0 offset:304
	buffer_load_dword v92, off, s[0:3], 0 offset:312
	buffer_load_dword v93, off, s[0:3], 0 offset:320
	buffer_load_dword v94, off, s[0:3], 0 offset:328
	buffer_load_dword v95, off, s[0:3], 0 offset:340
	buffer_load_dword v96, off, s[0:3], 0 offset:336
	buffer_load_dword v97, off, s[0:3], 0 offset:348
	buffer_load_dword v98, off, s[0:3], 0 offset:344
	buffer_load_dword v99, off, s[0:3], 0 offset:356
	buffer_load_dword v100, off, s[0:3], 0 offset:352
	buffer_load_dword v2, off, s[0:3], 0 offset:200
	buffer_load_dword v3, off, s[0:3], 0 offset:204
	v_mov_b32_e32 v1, 0
	ds_read_b128 v[4:7], v1 offset:640
	ds_read_b128 v[8:11], v1 offset:656
	;; [unrolled: 1-line block ×8, first 2 shown]
	v_cmp_lt_u32_e32 vcc, 24, v0
	s_waitcnt vmcnt(39) lgkmcnt(7)
	v_mul_f32_e32 v36, v4, v52
	s_waitcnt vmcnt(38)
	v_mul_f32_e32 v37, v6, v54
	s_waitcnt vmcnt(37) lgkmcnt(6)
	v_mul_f32_e32 v38, v8, v56
	s_waitcnt vmcnt(36)
	v_mul_f32_e32 v39, v10, v66
	;; [unrolled: 4-line block ×8, first 2 shown]
	s_waitcnt vmcnt(23)
	v_fmac_f32_e32 v36, v5, v79
	s_waitcnt vmcnt(22)
	v_fmac_f32_e32 v37, v7, v80
	v_add_f32_e32 v36, 0, v36
	s_waitcnt vmcnt(21)
	v_fmac_f32_e32 v38, v9, v81
	v_add_f32_e32 v36, v36, v37
	;; [unrolled: 3-line block ×14, first 2 shown]
	v_add_f32_e32 v36, v36, v50
	s_waitcnt vmcnt(8)
	v_fmac_f32_e32 v51, v35, v94
	v_add_f32_e32 v53, v36, v51
	ds_read_b128 v[36:39], v1 offset:768
	buffer_load_dword v45, off, s[0:3], 0 offset:364
	buffer_load_dword v47, off, s[0:3], 0 offset:388
	buffer_load_dword v46, off, s[0:3], 0 offset:384
	buffer_load_dword v49, off, s[0:3], 0 offset:380
	buffer_load_dword v48, off, s[0:3], 0 offset:376
	buffer_load_dword v51, off, s[0:3], 0 offset:372
	buffer_load_dword v50, off, s[0:3], 0 offset:368
	buffer_load_dword v44, off, s[0:3], 0 offset:360
	ds_read_b128 v[40:43], v1 offset:784
	buffer_load_dword v59, off, s[0:3], 0 offset:420
	buffer_load_dword v58, off, s[0:3], 0 offset:416
	;; [unrolled: 1-line block ×8, first 2 shown]
	v_mul_f32_e32 v5, v5, v52
	v_fma_f32 v4, v4, v79, -v5
	v_mul_f32_e32 v5, v7, v54
	v_add_f32_e32 v4, 0, v4
	v_fma_f32 v5, v6, v80, -v5
	v_add_f32_e32 v4, v4, v5
	v_mul_f32_e32 v5, v9, v56
	v_fma_f32 v5, v8, v81, -v5
	v_add_f32_e32 v4, v4, v5
	v_mul_f32_e32 v5, v11, v66
	;; [unrolled: 3-line block ×14, first 2 shown]
	v_fma_f32 v5, v34, v94, -v5
	v_add_f32_e32 v4, v4, v5
	s_waitcnt vmcnt(23) lgkmcnt(1)
	v_mul_f32_e32 v5, v37, v95
	v_mul_f32_e32 v55, v36, v95
	s_waitcnt vmcnt(22)
	v_fma_f32 v5, v36, v96, -v5
	v_fmac_f32_e32 v55, v37, v96
	v_add_f32_e32 v52, v4, v5
	s_waitcnt vmcnt(21)
	v_mul_f32_e32 v4, v39, v97
	v_add_f32_e32 v53, v53, v55
	v_mul_f32_e32 v55, v38, v97
	s_waitcnt vmcnt(20)
	v_fma_f32 v54, v38, v98, -v4
	s_waitcnt vmcnt(19) lgkmcnt(0)
	v_mul_f32_e32 v4, v41, v99
	v_fmac_f32_e32 v55, v39, v98
	v_mul_f32_e32 v57, v40, v99
	s_waitcnt vmcnt(18)
	v_fma_f32 v56, v40, v100, -v4
	ds_read_b128 v[4:7], v1 offset:800
	ds_read_b128 v[8:11], v1 offset:816
	;; [unrolled: 1-line block ×3, first 2 shown]
	ds_read_b64 v[16:17], v1 offset:848
	v_fmac_f32_e32 v57, v41, v100
	v_pk_add_f32 v[18:19], v[52:53], v[54:55]
	v_pk_add_f32 v[18:19], v[18:19], v[56:57]
	s_waitcnt vmcnt(15)
	v_mov_b32_e32 v20, v45
	v_pk_mul_f32 v[20:21], v[42:43], v[20:21] op_sel_hi:[1,0]
	s_waitcnt vmcnt(8)
	v_pk_fma_f32 v[22:23], v[42:43], v[44:45], v[20:21] op_sel:[0,0,1] op_sel_hi:[1,1,0] neg_lo:[0,0,1] neg_hi:[0,0,1]
	v_pk_fma_f32 v[20:21], v[42:43], v[44:45], v[20:21] op_sel:[0,0,1] op_sel_hi:[1,0,0]
	v_mov_b32_e32 v20, v51
	v_mov_b32_e32 v23, v21
	s_waitcnt lgkmcnt(3)
	v_pk_mul_f32 v[20:21], v[4:5], v[20:21] op_sel_hi:[1,0]
	v_pk_add_f32 v[18:19], v[18:19], v[22:23]
	v_pk_fma_f32 v[22:23], v[4:5], v[50:51], v[20:21] op_sel:[0,0,1] op_sel_hi:[1,1,0] neg_lo:[0,0,1] neg_hi:[0,0,1]
	v_pk_fma_f32 v[4:5], v[4:5], v[50:51], v[20:21] op_sel:[0,0,1] op_sel_hi:[1,0,0]
	v_mov_b32_e32 v23, v5
	v_pk_add_f32 v[4:5], v[18:19], v[22:23]
	v_mov_b32_e32 v18, v49
	v_pk_mul_f32 v[18:19], v[6:7], v[18:19] op_sel_hi:[1,0]
	v_pk_fma_f32 v[20:21], v[6:7], v[48:49], v[18:19] op_sel:[0,0,1] op_sel_hi:[1,1,0] neg_lo:[0,0,1] neg_hi:[0,0,1]
	v_pk_fma_f32 v[6:7], v[6:7], v[48:49], v[18:19] op_sel:[0,0,1] op_sel_hi:[1,0,0]
	v_mov_b32_e32 v6, v47
	v_mov_b32_e32 v21, v7
	s_waitcnt lgkmcnt(2)
	v_pk_mul_f32 v[6:7], v[8:9], v[6:7] op_sel_hi:[1,0]
	v_pk_fma_f32 v[18:19], v[8:9], v[46:47], v[6:7] op_sel:[0,0,1] op_sel_hi:[1,1,0] neg_lo:[0,0,1] neg_hi:[0,0,1]
	v_pk_fma_f32 v[6:7], v[8:9], v[46:47], v[6:7] op_sel:[0,0,1] op_sel_hi:[1,0,0]
	s_waitcnt vmcnt(1)
	v_mov_b32_e32 v6, v65
	v_mov_b32_e32 v19, v7
	v_pk_mul_f32 v[6:7], v[10:11], v[6:7] op_sel_hi:[1,0]
	s_waitcnt vmcnt(0)
	v_pk_fma_f32 v[8:9], v[10:11], v[64:65], v[6:7] op_sel:[0,0,1] op_sel_hi:[1,1,0] neg_lo:[0,0,1] neg_hi:[0,0,1]
	v_pk_fma_f32 v[6:7], v[10:11], v[64:65], v[6:7] op_sel:[0,0,1] op_sel_hi:[1,0,0]
	v_pk_add_f32 v[4:5], v[4:5], v[20:21]
	v_mov_b32_e32 v6, v63
	v_pk_add_f32 v[4:5], v[4:5], v[18:19]
	v_mov_b32_e32 v9, v7
	s_waitcnt lgkmcnt(1)
	v_pk_mul_f32 v[6:7], v[12:13], v[6:7] op_sel_hi:[1,0]
	v_pk_add_f32 v[4:5], v[4:5], v[8:9]
	v_pk_fma_f32 v[8:9], v[12:13], v[62:63], v[6:7] op_sel:[0,0,1] op_sel_hi:[1,1,0] neg_lo:[0,0,1] neg_hi:[0,0,1]
	v_pk_fma_f32 v[6:7], v[12:13], v[62:63], v[6:7] op_sel:[0,0,1] op_sel_hi:[1,0,0]
	v_mov_b32_e32 v6, v61
	v_mov_b32_e32 v9, v7
	v_pk_mul_f32 v[6:7], v[14:15], v[6:7] op_sel_hi:[1,0]
	v_pk_add_f32 v[4:5], v[4:5], v[8:9]
	v_pk_fma_f32 v[8:9], v[14:15], v[60:61], v[6:7] op_sel:[0,0,1] op_sel_hi:[1,1,0] neg_lo:[0,0,1] neg_hi:[0,0,1]
	v_pk_fma_f32 v[6:7], v[14:15], v[60:61], v[6:7] op_sel:[0,0,1] op_sel_hi:[1,0,0]
	v_mov_b32_e32 v6, v59
	v_mov_b32_e32 v9, v7
	s_waitcnt lgkmcnt(0)
	v_pk_mul_f32 v[6:7], v[16:17], v[6:7] op_sel_hi:[1,0]
	v_pk_add_f32 v[4:5], v[4:5], v[8:9]
	v_pk_fma_f32 v[8:9], v[16:17], v[58:59], v[6:7] op_sel:[0,0,1] op_sel_hi:[1,1,0] neg_lo:[0,0,1] neg_hi:[0,0,1]
	v_pk_fma_f32 v[6:7], v[16:17], v[58:59], v[6:7] op_sel:[0,0,1] op_sel_hi:[1,0,0]
	v_mov_b32_e32 v9, v7
	v_pk_add_f32 v[4:5], v[4:5], v[8:9]
	v_pk_add_f32 v[2:3], v[2:3], v[4:5] neg_lo:[0,1] neg_hi:[0,1]
	buffer_store_dword v3, off, s[0:3], 0 offset:204
	buffer_store_dword v2, off, s[0:3], 0 offset:200
	s_and_saveexec_b64 s[4:5], vcc
	s_cbranch_execz .LBB116_283
; %bb.282:
	buffer_load_dword v2, off, s[0:3], 0 offset:192
	buffer_load_dword v3, off, s[0:3], 0 offset:196
	v_accvgpr_read_b32 v4, a48
	buffer_store_dword v1, off, s[0:3], 0 offset:192
	buffer_store_dword v1, off, s[0:3], 0 offset:196
	s_waitcnt vmcnt(2)
	ds_write_b64 v4, v[2:3]
.LBB116_283:
	s_or_b64 exec, exec, s[4:5]
	s_waitcnt lgkmcnt(0)
	; wave barrier
	s_waitcnt lgkmcnt(0)
	buffer_load_dword v44, off, s[0:3], 0 offset:204
	buffer_load_dword v46, off, s[0:3], 0 offset:212
	buffer_load_dword v54, off, s[0:3], 0 offset:220
	buffer_load_dword v66, off, s[0:3], 0 offset:228
	buffer_load_dword v67, off, s[0:3], 0 offset:236
	buffer_load_dword v68, off, s[0:3], 0 offset:244
	buffer_load_dword v69, off, s[0:3], 0 offset:252
	buffer_load_dword v70, off, s[0:3], 0 offset:260
	buffer_load_dword v71, off, s[0:3], 0 offset:268
	buffer_load_dword v72, off, s[0:3], 0 offset:276
	buffer_load_dword v73, off, s[0:3], 0 offset:284
	buffer_load_dword v74, off, s[0:3], 0 offset:292
	buffer_load_dword v75, off, s[0:3], 0 offset:300
	buffer_load_dword v76, off, s[0:3], 0 offset:308
	buffer_load_dword v77, off, s[0:3], 0 offset:316
	buffer_load_dword v78, off, s[0:3], 0 offset:200
	buffer_load_dword v79, off, s[0:3], 0 offset:208
	buffer_load_dword v80, off, s[0:3], 0 offset:216
	buffer_load_dword v81, off, s[0:3], 0 offset:224
	buffer_load_dword v82, off, s[0:3], 0 offset:232
	buffer_load_dword v83, off, s[0:3], 0 offset:240
	buffer_load_dword v84, off, s[0:3], 0 offset:248
	buffer_load_dword v85, off, s[0:3], 0 offset:256
	buffer_load_dword v86, off, s[0:3], 0 offset:264
	buffer_load_dword v87, off, s[0:3], 0 offset:272
	buffer_load_dword v88, off, s[0:3], 0 offset:280
	buffer_load_dword v89, off, s[0:3], 0 offset:288
	buffer_load_dword v90, off, s[0:3], 0 offset:296
	buffer_load_dword v91, off, s[0:3], 0 offset:304
	buffer_load_dword v92, off, s[0:3], 0 offset:312
	buffer_load_dword v93, off, s[0:3], 0 offset:324
	buffer_load_dword v94, off, s[0:3], 0 offset:320
	buffer_load_dword v95, off, s[0:3], 0 offset:332
	buffer_load_dword v96, off, s[0:3], 0 offset:328
	buffer_load_dword v97, off, s[0:3], 0 offset:340
	buffer_load_dword v98, off, s[0:3], 0 offset:336
	buffer_load_dword v99, off, s[0:3], 0 offset:348
	buffer_load_dword v100, off, s[0:3], 0 offset:344
	buffer_load_dword v101, off, s[0:3], 0 offset:356
	buffer_load_dword v102, off, s[0:3], 0 offset:352
	buffer_load_dword v2, off, s[0:3], 0 offset:192
	buffer_load_dword v3, off, s[0:3], 0 offset:196
	ds_read2_b64 v[4:7], v1 offset0:79 offset1:80
	ds_read2_b64 v[8:11], v1 offset0:81 offset1:82
	;; [unrolled: 1-line block ×8, first 2 shown]
	v_cmp_lt_u32_e32 vcc, 23, v0
	s_waitcnt vmcnt(41) lgkmcnt(7)
	v_mul_f32_e32 v36, v4, v44
	s_waitcnt vmcnt(40)
	v_mul_f32_e32 v37, v6, v46
	s_waitcnt vmcnt(39) lgkmcnt(6)
	v_mul_f32_e32 v38, v8, v54
	s_waitcnt vmcnt(38)
	v_mul_f32_e32 v39, v10, v66
	;; [unrolled: 4-line block ×7, first 2 shown]
	s_waitcnt vmcnt(27) lgkmcnt(0)
	v_mul_f32_e32 v52, v32, v77
	s_waitcnt vmcnt(26)
	v_fmac_f32_e32 v36, v5, v78
	s_waitcnt vmcnt(25)
	v_fmac_f32_e32 v37, v7, v79
	v_add_f32_e32 v36, 0, v36
	s_waitcnt vmcnt(24)
	v_fmac_f32_e32 v38, v9, v80
	v_add_f32_e32 v36, v36, v37
	;; [unrolled: 3-line block ×14, first 2 shown]
	s_waitcnt vmcnt(11)
	v_mul_f32_e32 v41, v34, v93
	v_add_f32_e32 v40, v36, v52
	s_waitcnt vmcnt(10)
	v_fmac_f32_e32 v41, v35, v94
	ds_read2_b64 v[36:39], v1 offset0:95 offset1:96
	v_add_f32_e32 v45, v40, v41
	ds_read2_b64 v[40:43], v1 offset0:97 offset1:98
	buffer_load_dword v49, off, s[0:3], 0 offset:364
	buffer_load_dword v51, off, s[0:3], 0 offset:380
	buffer_load_dword v50, off, s[0:3], 0 offset:376
	buffer_load_dword v53, off, s[0:3], 0 offset:372
	buffer_load_dword v52, off, s[0:3], 0 offset:368
	buffer_load_dword v48, off, s[0:3], 0 offset:360
	buffer_load_dword v57, off, s[0:3], 0 offset:412
	buffer_load_dword v56, off, s[0:3], 0 offset:408
	buffer_load_dword v59, off, s[0:3], 0 offset:404
	buffer_load_dword v58, off, s[0:3], 0 offset:400
	buffer_load_dword v61, off, s[0:3], 0 offset:396
	buffer_load_dword v60, off, s[0:3], 0 offset:392
	buffer_load_dword v63, off, s[0:3], 0 offset:388
	buffer_load_dword v62, off, s[0:3], 0 offset:384
	buffer_load_dword v65, off, s[0:3], 0 offset:420
	buffer_load_dword v64, off, s[0:3], 0 offset:416
	v_mul_f32_e32 v5, v5, v44
	v_fma_f32 v4, v4, v78, -v5
	v_mul_f32_e32 v5, v7, v46
	v_add_f32_e32 v4, 0, v4
	v_fma_f32 v5, v6, v79, -v5
	v_add_f32_e32 v4, v4, v5
	v_mul_f32_e32 v5, v9, v54
	v_fma_f32 v5, v8, v80, -v5
	v_add_f32_e32 v4, v4, v5
	v_mul_f32_e32 v5, v11, v66
	;; [unrolled: 3-line block ×14, first 2 shown]
	v_fma_f32 v5, v34, v94, -v5
	v_add_f32_e32 v4, v4, v5
	s_waitcnt vmcnt(25) lgkmcnt(1)
	v_mul_f32_e32 v5, v37, v95
	s_waitcnt vmcnt(24)
	v_fma_f32 v5, v36, v96, -v5
	v_add_f32_e32 v4, v4, v5
	s_waitcnt vmcnt(23)
	v_mul_f32_e32 v5, v39, v97
	v_mul_f32_e32 v47, v36, v95
	s_waitcnt vmcnt(22)
	v_fma_f32 v5, v38, v98, -v5
	v_fmac_f32_e32 v47, v37, v96
	v_add_f32_e32 v44, v4, v5
	s_waitcnt vmcnt(21) lgkmcnt(0)
	v_mul_f32_e32 v4, v41, v99
	v_add_f32_e32 v45, v45, v47
	v_mul_f32_e32 v47, v38, v97
	s_waitcnt vmcnt(20)
	v_fma_f32 v46, v40, v100, -v4
	s_waitcnt vmcnt(19)
	v_mul_f32_e32 v4, v43, v101
	v_fmac_f32_e32 v47, v39, v98
	s_waitcnt vmcnt(18)
	v_fma_f32 v54, v42, v102, -v4
	ds_read2_b64 v[4:7], v1 offset0:99 offset1:100
	ds_read2_b64 v[8:11], v1 offset0:101 offset1:102
	;; [unrolled: 1-line block ×4, first 2 shown]
	v_add_f32_e32 v45, v45, v47
	v_mul_f32_e32 v47, v40, v99
	v_fmac_f32_e32 v47, v41, v100
	v_mul_f32_e32 v55, v42, v101
	v_fmac_f32_e32 v55, v43, v102
	v_pk_add_f32 v[20:21], v[44:45], v[46:47]
	v_pk_add_f32 v[20:21], v[20:21], v[54:55]
	s_waitcnt vmcnt(15)
	v_mov_b32_e32 v22, v49
	s_waitcnt lgkmcnt(3)
	v_pk_mul_f32 v[22:23], v[4:5], v[22:23] op_sel_hi:[1,0]
	s_waitcnt vmcnt(10)
	v_pk_fma_f32 v[24:25], v[4:5], v[48:49], v[22:23] op_sel:[0,0,1] op_sel_hi:[1,1,0] neg_lo:[0,0,1] neg_hi:[0,0,1]
	v_pk_fma_f32 v[4:5], v[4:5], v[48:49], v[22:23] op_sel:[0,0,1] op_sel_hi:[1,0,0]
	v_mov_b32_e32 v25, v5
	v_pk_add_f32 v[4:5], v[20:21], v[24:25]
	v_mov_b32_e32 v20, v53
	v_pk_mul_f32 v[20:21], v[6:7], v[20:21] op_sel_hi:[1,0]
	v_pk_fma_f32 v[22:23], v[6:7], v[52:53], v[20:21] op_sel:[0,0,1] op_sel_hi:[1,1,0] neg_lo:[0,0,1] neg_hi:[0,0,1]
	v_pk_fma_f32 v[6:7], v[6:7], v[52:53], v[20:21] op_sel:[0,0,1] op_sel_hi:[1,0,0]
	v_mov_b32_e32 v6, v51
	v_mov_b32_e32 v23, v7
	s_waitcnt lgkmcnt(2)
	v_pk_mul_f32 v[6:7], v[8:9], v[6:7] op_sel_hi:[1,0]
	v_pk_fma_f32 v[20:21], v[8:9], v[50:51], v[6:7] op_sel:[0,0,1] op_sel_hi:[1,1,0] neg_lo:[0,0,1] neg_hi:[0,0,1]
	v_pk_fma_f32 v[6:7], v[8:9], v[50:51], v[6:7] op_sel:[0,0,1] op_sel_hi:[1,0,0]
	s_waitcnt vmcnt(3)
	v_mov_b32_e32 v6, v63
	v_mov_b32_e32 v21, v7
	v_pk_mul_f32 v[6:7], v[10:11], v[6:7] op_sel_hi:[1,0]
	s_waitcnt vmcnt(2)
	v_pk_fma_f32 v[8:9], v[10:11], v[62:63], v[6:7] op_sel:[0,0,1] op_sel_hi:[1,1,0] neg_lo:[0,0,1] neg_hi:[0,0,1]
	v_pk_fma_f32 v[6:7], v[10:11], v[62:63], v[6:7] op_sel:[0,0,1] op_sel_hi:[1,0,0]
	v_pk_add_f32 v[4:5], v[4:5], v[22:23]
	v_mov_b32_e32 v6, v61
	v_pk_add_f32 v[4:5], v[4:5], v[20:21]
	v_mov_b32_e32 v9, v7
	s_waitcnt lgkmcnt(1)
	v_pk_mul_f32 v[6:7], v[12:13], v[6:7] op_sel_hi:[1,0]
	v_pk_add_f32 v[4:5], v[4:5], v[8:9]
	v_pk_fma_f32 v[8:9], v[12:13], v[60:61], v[6:7] op_sel:[0,0,1] op_sel_hi:[1,1,0] neg_lo:[0,0,1] neg_hi:[0,0,1]
	v_pk_fma_f32 v[6:7], v[12:13], v[60:61], v[6:7] op_sel:[0,0,1] op_sel_hi:[1,0,0]
	v_mov_b32_e32 v6, v59
	v_mov_b32_e32 v9, v7
	v_pk_mul_f32 v[6:7], v[14:15], v[6:7] op_sel_hi:[1,0]
	v_pk_add_f32 v[4:5], v[4:5], v[8:9]
	v_pk_fma_f32 v[8:9], v[14:15], v[58:59], v[6:7] op_sel:[0,0,1] op_sel_hi:[1,1,0] neg_lo:[0,0,1] neg_hi:[0,0,1]
	v_pk_fma_f32 v[6:7], v[14:15], v[58:59], v[6:7] op_sel:[0,0,1] op_sel_hi:[1,0,0]
	v_mov_b32_e32 v6, v57
	v_mov_b32_e32 v9, v7
	s_waitcnt lgkmcnt(0)
	v_pk_mul_f32 v[6:7], v[16:17], v[6:7] op_sel_hi:[1,0]
	v_pk_add_f32 v[4:5], v[4:5], v[8:9]
	v_pk_fma_f32 v[8:9], v[16:17], v[56:57], v[6:7] op_sel:[0,0,1] op_sel_hi:[1,1,0] neg_lo:[0,0,1] neg_hi:[0,0,1]
	v_pk_fma_f32 v[6:7], v[16:17], v[56:57], v[6:7] op_sel:[0,0,1] op_sel_hi:[1,0,0]
	s_waitcnt vmcnt(1)
	v_mov_b32_e32 v6, v65
	v_mov_b32_e32 v9, v7
	v_pk_mul_f32 v[6:7], v[18:19], v[6:7] op_sel_hi:[1,0]
	v_pk_add_f32 v[4:5], v[4:5], v[8:9]
	s_waitcnt vmcnt(0)
	v_pk_fma_f32 v[8:9], v[18:19], v[64:65], v[6:7] op_sel:[0,0,1] op_sel_hi:[1,1,0] neg_lo:[0,0,1] neg_hi:[0,0,1]
	v_pk_fma_f32 v[6:7], v[18:19], v[64:65], v[6:7] op_sel:[0,0,1] op_sel_hi:[1,0,0]
	v_mov_b32_e32 v9, v7
	v_pk_add_f32 v[4:5], v[4:5], v[8:9]
	v_pk_add_f32 v[2:3], v[2:3], v[4:5] neg_lo:[0,1] neg_hi:[0,1]
	buffer_store_dword v3, off, s[0:3], 0 offset:196
	buffer_store_dword v2, off, s[0:3], 0 offset:192
	s_and_saveexec_b64 s[4:5], vcc
	s_cbranch_execz .LBB116_285
; %bb.284:
	buffer_load_dword v2, off, s[0:3], 0 offset:184
	buffer_load_dword v3, off, s[0:3], 0 offset:188
	v_mov_b32_e32 v1, 0
	v_accvgpr_read_b32 v4, a48
	buffer_store_dword v1, off, s[0:3], 0 offset:184
	buffer_store_dword v1, off, s[0:3], 0 offset:188
	s_waitcnt vmcnt(2)
	ds_write_b64 v4, v[2:3]
.LBB116_285:
	s_or_b64 exec, exec, s[4:5]
	s_waitcnt lgkmcnt(0)
	; wave barrier
	s_waitcnt lgkmcnt(0)
	buffer_load_dword v52, off, s[0:3], 0 offset:196
	buffer_load_dword v58, off, s[0:3], 0 offset:204
	;; [unrolled: 1-line block ×44, first 2 shown]
	v_mov_b32_e32 v1, 0
	ds_read_b128 v[4:7], v1 offset:624
	ds_read_b128 v[8:11], v1 offset:640
	;; [unrolled: 1-line block ×8, first 2 shown]
	v_cmp_lt_u32_e32 vcc, 22, v0
	s_waitcnt vmcnt(43) lgkmcnt(7)
	v_mul_f32_e32 v36, v4, v52
	s_waitcnt vmcnt(42)
	v_mul_f32_e32 v37, v6, v58
	s_waitcnt vmcnt(41) lgkmcnt(6)
	v_mul_f32_e32 v38, v8, v60
	s_waitcnt vmcnt(40)
	v_mul_f32_e32 v39, v10, v74
	;; [unrolled: 4-line block ×7, first 2 shown]
	s_waitcnt vmcnt(29)
	v_fmac_f32_e32 v36, v5, v85
	s_waitcnt vmcnt(28)
	v_fmac_f32_e32 v37, v7, v86
	v_add_f32_e32 v36, 0, v36
	s_waitcnt vmcnt(27)
	v_fmac_f32_e32 v38, v9, v87
	v_add_f32_e32 v36, v36, v37
	;; [unrolled: 3-line block ×12, first 2 shown]
	v_add_f32_e32 v36, v36, v48
	s_waitcnt vmcnt(16)
	v_fmac_f32_e32 v49, v31, v98
	s_waitcnt vmcnt(15) lgkmcnt(0)
	v_mul_f32_e32 v37, v32, v99
	v_add_f32_e32 v36, v36, v49
	s_waitcnt vmcnt(14)
	v_fmac_f32_e32 v37, v33, v100
	v_add_f32_e32 v40, v36, v37
	ds_read_b128 v[36:39], v1 offset:752
	s_waitcnt vmcnt(13)
	v_mul_f32_e32 v41, v34, v101
	s_waitcnt vmcnt(12)
	v_fmac_f32_e32 v41, v35, v102
	v_add_f32_e32 v44, v40, v41
	ds_read_b128 v[40:43], v1 offset:768
	s_waitcnt vmcnt(11) lgkmcnt(1)
	v_mul_f32_e32 v45, v36, v103
	s_waitcnt vmcnt(10)
	v_fmac_f32_e32 v45, v37, v104
	v_add_f32_e32 v44, v44, v45
	s_waitcnt vmcnt(9)
	v_mul_f32_e32 v45, v38, v105
	s_waitcnt vmcnt(8)
	v_fmac_f32_e32 v45, v39, v106
	v_add_f32_e32 v44, v44, v45
	s_waitcnt vmcnt(7) lgkmcnt(0)
	v_mul_f32_e32 v45, v40, v107
	s_waitcnt vmcnt(6)
	v_fmac_f32_e32 v45, v41, v108
	v_add_f32_e32 v53, v44, v45
	ds_read_b128 v[44:47], v1 offset:784
	buffer_load_dword v55, off, s[0:3], 0 offset:372
	buffer_load_dword v54, off, s[0:3], 0 offset:368
	buffer_load_dword v57, off, s[0:3], 0 offset:364
	buffer_load_dword v56, off, s[0:3], 0 offset:360
	ds_read_b128 v[48:51], v1 offset:800
	buffer_load_dword v63, off, s[0:3], 0 offset:404
	buffer_load_dword v62, off, s[0:3], 0 offset:400
	buffer_load_dword v65, off, s[0:3], 0 offset:396
	buffer_load_dword v64, off, s[0:3], 0 offset:392
	buffer_load_dword v67, off, s[0:3], 0 offset:388
	buffer_load_dword v66, off, s[0:3], 0 offset:384
	buffer_load_dword v69, off, s[0:3], 0 offset:380
	buffer_load_dword v68, off, s[0:3], 0 offset:376
	buffer_load_dword v71, off, s[0:3], 0 offset:420
	buffer_load_dword v70, off, s[0:3], 0 offset:416
	buffer_load_dword v73, off, s[0:3], 0 offset:412
	buffer_load_dword v72, off, s[0:3], 0 offset:408
	v_mul_f32_e32 v5, v5, v52
	v_fma_f32 v4, v4, v85, -v5
	v_mul_f32_e32 v5, v7, v58
	v_add_f32_e32 v4, 0, v4
	v_fma_f32 v5, v6, v86, -v5
	v_add_f32_e32 v4, v4, v5
	v_mul_f32_e32 v5, v9, v60
	v_fma_f32 v5, v8, v87, -v5
	v_add_f32_e32 v4, v4, v5
	v_mul_f32_e32 v5, v11, v74
	;; [unrolled: 3-line block ×17, first 2 shown]
	v_fma_f32 v5, v40, v108, -v5
	s_waitcnt vmcnt(21)
	v_mul_f32_e32 v59, v42, v109
	v_add_f32_e32 v52, v4, v5
	v_mul_f32_e32 v4, v43, v109
	s_waitcnt vmcnt(20)
	v_fmac_f32_e32 v59, v43, v110
	s_waitcnt vmcnt(19) lgkmcnt(1)
	v_mul_f32_e32 v61, v44, v111
	v_fma_f32 v58, v42, v110, -v4
	v_mul_f32_e32 v4, v45, v111
	s_waitcnt vmcnt(18)
	v_fmac_f32_e32 v61, v45, v192
	v_fma_f32 v60, v44, v192, -v4
	v_pk_add_f32 v[14:15], v[52:53], v[58:59]
	v_pk_add_f32 v[14:15], v[14:15], v[60:61]
	ds_read_b128 v[4:7], v1 offset:816
	ds_read_b128 v[8:11], v1 offset:832
	ds_read_b64 v[12:13], v1 offset:848
	s_waitcnt vmcnt(13)
	v_mov_b32_e32 v16, v57
	v_pk_mul_f32 v[16:17], v[46:47], v[16:17] op_sel_hi:[1,0]
	s_waitcnt vmcnt(12)
	v_pk_fma_f32 v[18:19], v[46:47], v[56:57], v[16:17] op_sel:[0,0,1] op_sel_hi:[1,1,0] neg_lo:[0,0,1] neg_hi:[0,0,1]
	v_pk_fma_f32 v[16:17], v[46:47], v[56:57], v[16:17] op_sel:[0,0,1] op_sel_hi:[1,0,0]
	v_mov_b32_e32 v16, v55
	v_mov_b32_e32 v19, v17
	s_waitcnt lgkmcnt(3)
	v_pk_mul_f32 v[16:17], v[48:49], v[16:17] op_sel_hi:[1,0]
	v_pk_add_f32 v[14:15], v[14:15], v[18:19]
	v_pk_fma_f32 v[18:19], v[48:49], v[54:55], v[16:17] op_sel:[0,0,1] op_sel_hi:[1,1,0] neg_lo:[0,0,1] neg_hi:[0,0,1]
	v_pk_fma_f32 v[16:17], v[48:49], v[54:55], v[16:17] op_sel:[0,0,1] op_sel_hi:[1,0,0]
	s_waitcnt vmcnt(5)
	v_mov_b32_e32 v16, v69
	v_mov_b32_e32 v19, v17
	v_pk_mul_f32 v[16:17], v[50:51], v[16:17] op_sel_hi:[1,0]
	v_pk_add_f32 v[14:15], v[14:15], v[18:19]
	s_waitcnt vmcnt(4)
	v_pk_fma_f32 v[18:19], v[50:51], v[68:69], v[16:17] op_sel:[0,0,1] op_sel_hi:[1,1,0] neg_lo:[0,0,1] neg_hi:[0,0,1]
	v_pk_fma_f32 v[16:17], v[50:51], v[68:69], v[16:17] op_sel:[0,0,1] op_sel_hi:[1,0,0]
	v_mov_b32_e32 v16, v67
	v_mov_b32_e32 v19, v17
	s_waitcnt lgkmcnt(2)
	v_pk_mul_f32 v[16:17], v[4:5], v[16:17] op_sel_hi:[1,0]
	v_pk_add_f32 v[14:15], v[14:15], v[18:19]
	v_pk_fma_f32 v[18:19], v[4:5], v[66:67], v[16:17] op_sel:[0,0,1] op_sel_hi:[1,1,0] neg_lo:[0,0,1] neg_hi:[0,0,1]
	v_pk_fma_f32 v[4:5], v[4:5], v[66:67], v[16:17] op_sel:[0,0,1] op_sel_hi:[1,0,0]
	v_mov_b32_e32 v19, v5
	v_pk_add_f32 v[4:5], v[14:15], v[18:19]
	v_mov_b32_e32 v14, v65
	v_pk_mul_f32 v[14:15], v[6:7], v[14:15] op_sel_hi:[1,0]
	v_pk_fma_f32 v[16:17], v[6:7], v[64:65], v[14:15] op_sel:[0,0,1] op_sel_hi:[1,1,0] neg_lo:[0,0,1] neg_hi:[0,0,1]
	v_pk_fma_f32 v[6:7], v[6:7], v[64:65], v[14:15] op_sel:[0,0,1] op_sel_hi:[1,0,0]
	v_mov_b32_e32 v6, v63
	v_mov_b32_e32 v17, v7
	s_waitcnt lgkmcnt(1)
	v_pk_mul_f32 v[6:7], v[8:9], v[6:7] op_sel_hi:[1,0]
	v_pk_fma_f32 v[14:15], v[8:9], v[62:63], v[6:7] op_sel:[0,0,1] op_sel_hi:[1,1,0] neg_lo:[0,0,1] neg_hi:[0,0,1]
	v_pk_fma_f32 v[6:7], v[8:9], v[62:63], v[6:7] op_sel:[0,0,1] op_sel_hi:[1,0,0]
	s_waitcnt vmcnt(1)
	v_mov_b32_e32 v6, v73
	v_mov_b32_e32 v15, v7
	v_pk_mul_f32 v[6:7], v[10:11], v[6:7] op_sel_hi:[1,0]
	s_waitcnt vmcnt(0)
	v_pk_fma_f32 v[8:9], v[10:11], v[72:73], v[6:7] op_sel:[0,0,1] op_sel_hi:[1,1,0] neg_lo:[0,0,1] neg_hi:[0,0,1]
	v_pk_fma_f32 v[6:7], v[10:11], v[72:73], v[6:7] op_sel:[0,0,1] op_sel_hi:[1,0,0]
	v_pk_add_f32 v[4:5], v[4:5], v[16:17]
	v_mov_b32_e32 v6, v71
	v_pk_add_f32 v[4:5], v[4:5], v[14:15]
	v_mov_b32_e32 v9, v7
	s_waitcnt lgkmcnt(0)
	v_pk_mul_f32 v[6:7], v[12:13], v[6:7] op_sel_hi:[1,0]
	v_pk_add_f32 v[4:5], v[4:5], v[8:9]
	v_pk_fma_f32 v[8:9], v[12:13], v[70:71], v[6:7] op_sel:[0,0,1] op_sel_hi:[1,1,0] neg_lo:[0,0,1] neg_hi:[0,0,1]
	v_pk_fma_f32 v[6:7], v[12:13], v[70:71], v[6:7] op_sel:[0,0,1] op_sel_hi:[1,0,0]
	v_mov_b32_e32 v9, v7
	v_pk_add_f32 v[4:5], v[4:5], v[8:9]
	v_pk_add_f32 v[2:3], v[2:3], v[4:5] neg_lo:[0,1] neg_hi:[0,1]
	buffer_store_dword v3, off, s[0:3], 0 offset:188
	buffer_store_dword v2, off, s[0:3], 0 offset:184
	s_and_saveexec_b64 s[4:5], vcc
	s_cbranch_execz .LBB116_287
; %bb.286:
	buffer_load_dword v2, off, s[0:3], 0 offset:176
	buffer_load_dword v3, off, s[0:3], 0 offset:180
	v_accvgpr_read_b32 v4, a48
	buffer_store_dword v1, off, s[0:3], 0 offset:176
	buffer_store_dword v1, off, s[0:3], 0 offset:180
	s_waitcnt vmcnt(2)
	ds_write_b64 v4, v[2:3]
.LBB116_287:
	s_or_b64 exec, exec, s[4:5]
	s_waitcnt lgkmcnt(0)
	; wave barrier
	s_waitcnt lgkmcnt(0)
	buffer_load_dword v54, off, s[0:3], 0 offset:188
	buffer_load_dword v56, off, s[0:3], 0 offset:196
	;; [unrolled: 1-line block ×46, first 2 shown]
	ds_read2_b64 v[4:7], v1 offset0:77 offset1:78
	ds_read2_b64 v[8:11], v1 offset0:79 offset1:80
	;; [unrolled: 1-line block ×8, first 2 shown]
	v_cmp_lt_u32_e32 vcc, 21, v0
	s_waitcnt vmcnt(45) lgkmcnt(7)
	v_mul_f32_e32 v36, v4, v54
	s_waitcnt vmcnt(44)
	v_mul_f32_e32 v37, v6, v56
	s_waitcnt vmcnt(43) lgkmcnt(6)
	v_mul_f32_e32 v38, v8, v58
	s_waitcnt vmcnt(42)
	v_mul_f32_e32 v39, v10, v74
	;; [unrolled: 4-line block ×6, first 2 shown]
	s_waitcnt vmcnt(33) lgkmcnt(1)
	v_mul_f32_e32 v48, v28, v83
	s_waitcnt vmcnt(32)
	v_fmac_f32_e32 v36, v5, v84
	s_waitcnt vmcnt(31)
	v_fmac_f32_e32 v37, v7, v85
	v_add_f32_e32 v36, 0, v36
	s_waitcnt vmcnt(30)
	v_fmac_f32_e32 v38, v9, v86
	v_add_f32_e32 v36, v36, v37
	;; [unrolled: 3-line block ×12, first 2 shown]
	s_waitcnt vmcnt(19)
	v_mul_f32_e32 v37, v30, v97
	v_add_f32_e32 v36, v36, v48
	s_waitcnt vmcnt(18)
	v_fmac_f32_e32 v37, v31, v98
	v_add_f32_e32 v36, v36, v37
	s_waitcnt vmcnt(17) lgkmcnt(0)
	v_mul_f32_e32 v37, v32, v99
	s_waitcnt vmcnt(16)
	v_fmac_f32_e32 v37, v33, v100
	v_add_f32_e32 v40, v36, v37
	ds_read2_b64 v[36:39], v1 offset0:93 offset1:94
	s_waitcnt vmcnt(15)
	v_mul_f32_e32 v41, v34, v101
	s_waitcnt vmcnt(14)
	v_fmac_f32_e32 v41, v35, v102
	v_add_f32_e32 v44, v40, v41
	ds_read2_b64 v[40:43], v1 offset0:95 offset1:96
	buffer_load_dword v53, off, s[0:3], 0 offset:364
	buffer_load_dword v52, off, s[0:3], 0 offset:360
	s_waitcnt vmcnt(15) lgkmcnt(1)
	v_mul_f32_e32 v45, v36, v103
	s_waitcnt vmcnt(14)
	v_fmac_f32_e32 v45, v37, v104
	v_add_f32_e32 v44, v44, v45
	s_waitcnt vmcnt(13)
	v_mul_f32_e32 v45, v38, v105
	s_waitcnt vmcnt(12)
	v_fmac_f32_e32 v45, v39, v106
	v_add_f32_e32 v44, v44, v45
	s_waitcnt vmcnt(11) lgkmcnt(0)
	v_mul_f32_e32 v45, v40, v107
	s_waitcnt vmcnt(10)
	v_fmac_f32_e32 v45, v41, v108
	s_waitcnt vmcnt(9)
	v_mul_f32_e32 v49, v42, v109
	v_add_f32_e32 v48, v44, v45
	s_waitcnt vmcnt(8)
	v_fmac_f32_e32 v49, v43, v110
	ds_read2_b64 v[44:47], v1 offset0:97 offset1:98
	v_add_f32_e32 v55, v48, v49
	ds_read2_b64 v[48:51], v1 offset0:99 offset1:100
	buffer_load_dword v61, off, s[0:3], 0 offset:396
	buffer_load_dword v60, off, s[0:3], 0 offset:392
	;; [unrolled: 1-line block ×14, first 2 shown]
	v_mul_f32_e32 v5, v5, v54
	v_fma_f32 v4, v4, v84, -v5
	v_mul_f32_e32 v5, v7, v56
	v_add_f32_e32 v4, 0, v4
	v_fma_f32 v5, v6, v85, -v5
	v_add_f32_e32 v4, v4, v5
	v_mul_f32_e32 v5, v9, v58
	v_fma_f32 v5, v8, v86, -v5
	v_add_f32_e32 v4, v4, v5
	v_mul_f32_e32 v5, v11, v74
	;; [unrolled: 3-line block ×18, first 2 shown]
	v_fma_f32 v5, v42, v110, -v5
	s_waitcnt vmcnt(21) lgkmcnt(1)
	v_mul_f32_e32 v57, v44, v111
	v_add_f32_e32 v54, v4, v5
	v_mul_f32_e32 v4, v45, v111
	s_waitcnt vmcnt(20)
	v_fmac_f32_e32 v57, v45, v192
	s_waitcnt vmcnt(15)
	v_mov_b32_e32 v18, v53
	s_waitcnt lgkmcnt(0)
	v_pk_mul_f32 v[18:19], v[48:49], v[18:19] op_sel_hi:[1,0]
	v_mul_f32_e32 v59, v46, v193
	v_fma_f32 v56, v44, v192, -v4
	v_mul_f32_e32 v4, v47, v193
	s_waitcnt vmcnt(14)
	v_pk_fma_f32 v[20:21], v[48:49], v[52:53], v[18:19] op_sel:[0,0,1] op_sel_hi:[1,1,0] neg_lo:[0,0,1] neg_hi:[0,0,1]
	v_pk_fma_f32 v[18:19], v[48:49], v[52:53], v[18:19] op_sel:[0,0,1] op_sel_hi:[1,0,0]
	v_fmac_f32_e32 v59, v47, v194
	v_fma_f32 v58, v46, v194, -v4
	v_pk_add_f32 v[16:17], v[54:55], v[56:57]
	s_waitcnt vmcnt(7)
	v_mov_b32_e32 v18, v67
	ds_read2_b64 v[4:7], v1 offset0:101 offset1:102
	ds_read2_b64 v[8:11], v1 offset0:103 offset1:104
	;; [unrolled: 1-line block ×3, first 2 shown]
	v_pk_add_f32 v[16:17], v[16:17], v[58:59]
	v_mov_b32_e32 v21, v19
	v_pk_mul_f32 v[18:19], v[50:51], v[18:19] op_sel_hi:[1,0]
	v_pk_add_f32 v[16:17], v[16:17], v[20:21]
	s_waitcnt vmcnt(6)
	v_pk_fma_f32 v[20:21], v[50:51], v[66:67], v[18:19] op_sel:[0,0,1] op_sel_hi:[1,1,0] neg_lo:[0,0,1] neg_hi:[0,0,1]
	v_pk_fma_f32 v[18:19], v[50:51], v[66:67], v[18:19] op_sel:[0,0,1] op_sel_hi:[1,0,0]
	v_mov_b32_e32 v18, v65
	v_mov_b32_e32 v21, v19
	s_waitcnt lgkmcnt(2)
	v_pk_mul_f32 v[18:19], v[4:5], v[18:19] op_sel_hi:[1,0]
	v_pk_add_f32 v[16:17], v[16:17], v[20:21]
	v_pk_fma_f32 v[20:21], v[4:5], v[64:65], v[18:19] op_sel:[0,0,1] op_sel_hi:[1,1,0] neg_lo:[0,0,1] neg_hi:[0,0,1]
	v_pk_fma_f32 v[4:5], v[4:5], v[64:65], v[18:19] op_sel:[0,0,1] op_sel_hi:[1,0,0]
	v_mov_b32_e32 v21, v5
	v_pk_add_f32 v[4:5], v[16:17], v[20:21]
	v_mov_b32_e32 v16, v63
	v_pk_mul_f32 v[16:17], v[6:7], v[16:17] op_sel_hi:[1,0]
	v_pk_fma_f32 v[18:19], v[6:7], v[62:63], v[16:17] op_sel:[0,0,1] op_sel_hi:[1,1,0] neg_lo:[0,0,1] neg_hi:[0,0,1]
	v_pk_fma_f32 v[6:7], v[6:7], v[62:63], v[16:17] op_sel:[0,0,1] op_sel_hi:[1,0,0]
	v_mov_b32_e32 v6, v61
	v_mov_b32_e32 v19, v7
	s_waitcnt lgkmcnt(1)
	v_pk_mul_f32 v[6:7], v[8:9], v[6:7] op_sel_hi:[1,0]
	v_pk_fma_f32 v[16:17], v[8:9], v[60:61], v[6:7] op_sel:[0,0,1] op_sel_hi:[1,1,0] neg_lo:[0,0,1] neg_hi:[0,0,1]
	v_pk_fma_f32 v[6:7], v[8:9], v[60:61], v[6:7] op_sel:[0,0,1] op_sel_hi:[1,0,0]
	s_waitcnt vmcnt(1)
	v_mov_b32_e32 v6, v73
	v_mov_b32_e32 v17, v7
	v_pk_mul_f32 v[6:7], v[10:11], v[6:7] op_sel_hi:[1,0]
	s_waitcnt vmcnt(0)
	v_pk_fma_f32 v[8:9], v[10:11], v[72:73], v[6:7] op_sel:[0,0,1] op_sel_hi:[1,1,0] neg_lo:[0,0,1] neg_hi:[0,0,1]
	v_pk_fma_f32 v[6:7], v[10:11], v[72:73], v[6:7] op_sel:[0,0,1] op_sel_hi:[1,0,0]
	v_pk_add_f32 v[4:5], v[4:5], v[18:19]
	v_mov_b32_e32 v6, v71
	v_pk_add_f32 v[4:5], v[4:5], v[16:17]
	v_mov_b32_e32 v9, v7
	s_waitcnt lgkmcnt(0)
	v_pk_mul_f32 v[6:7], v[12:13], v[6:7] op_sel_hi:[1,0]
	v_pk_add_f32 v[4:5], v[4:5], v[8:9]
	v_pk_fma_f32 v[8:9], v[12:13], v[70:71], v[6:7] op_sel:[0,0,1] op_sel_hi:[1,1,0] neg_lo:[0,0,1] neg_hi:[0,0,1]
	v_pk_fma_f32 v[6:7], v[12:13], v[70:71], v[6:7] op_sel:[0,0,1] op_sel_hi:[1,0,0]
	v_mov_b32_e32 v6, v69
	v_mov_b32_e32 v9, v7
	v_pk_mul_f32 v[6:7], v[14:15], v[6:7] op_sel_hi:[1,0]
	v_pk_add_f32 v[4:5], v[4:5], v[8:9]
	v_pk_fma_f32 v[8:9], v[14:15], v[68:69], v[6:7] op_sel:[0,0,1] op_sel_hi:[1,1,0] neg_lo:[0,0,1] neg_hi:[0,0,1]
	v_pk_fma_f32 v[6:7], v[14:15], v[68:69], v[6:7] op_sel:[0,0,1] op_sel_hi:[1,0,0]
	v_mov_b32_e32 v9, v7
	v_pk_add_f32 v[4:5], v[4:5], v[8:9]
	v_pk_add_f32 v[2:3], v[2:3], v[4:5] neg_lo:[0,1] neg_hi:[0,1]
	buffer_store_dword v3, off, s[0:3], 0 offset:180
	buffer_store_dword v2, off, s[0:3], 0 offset:176
	s_and_saveexec_b64 s[4:5], vcc
	s_cbranch_execz .LBB116_289
; %bb.288:
	buffer_load_dword v2, off, s[0:3], 0 offset:168
	buffer_load_dword v3, off, s[0:3], 0 offset:172
	v_mov_b32_e32 v1, 0
	v_accvgpr_read_b32 v4, a48
	buffer_store_dword v1, off, s[0:3], 0 offset:168
	buffer_store_dword v1, off, s[0:3], 0 offset:172
	s_waitcnt vmcnt(2)
	ds_write_b64 v4, v[2:3]
.LBB116_289:
	s_or_b64 exec, exec, s[4:5]
	s_waitcnt lgkmcnt(0)
	; wave barrier
	s_waitcnt lgkmcnt(0)
	buffer_load_dword v52, off, s[0:3], 0 offset:180
	buffer_load_dword v54, off, s[0:3], 0 offset:188
	;; [unrolled: 1-line block ×48, first 2 shown]
	v_mov_b32_e32 v1, 0
	ds_read_b128 v[4:7], v1 offset:608
	ds_read_b128 v[8:11], v1 offset:624
	;; [unrolled: 1-line block ×6, first 2 shown]
	v_cmp_lt_u32_e32 vcc, 20, v0
	s_waitcnt vmcnt(47) lgkmcnt(5)
	v_mul_f32_e32 v28, v4, v52
	s_waitcnt vmcnt(46)
	v_mul_f32_e32 v29, v6, v54
	s_waitcnt vmcnt(45) lgkmcnt(4)
	v_mul_f32_e32 v30, v8, v56
	s_waitcnt vmcnt(44)
	v_mul_f32_e32 v31, v10, v74
	;; [unrolled: 4-line block ×6, first 2 shown]
	s_waitcnt vmcnt(35)
	v_fmac_f32_e32 v28, v5, v83
	s_waitcnt vmcnt(34)
	v_fmac_f32_e32 v29, v7, v84
	v_add_f32_e32 v28, 0, v28
	s_waitcnt vmcnt(33)
	v_fmac_f32_e32 v30, v9, v85
	v_add_f32_e32 v28, v28, v29
	;; [unrolled: 3-line block ×8, first 2 shown]
	v_add_f32_e32 v32, v28, v36
	ds_read_b128 v[28:31], v1 offset:704
	s_waitcnt vmcnt(26)
	v_fmac_f32_e32 v37, v23, v92
	s_waitcnt vmcnt(25)
	v_fmac_f32_e32 v38, v25, v93
	v_add_f32_e32 v32, v32, v37
	s_waitcnt vmcnt(24)
	v_fmac_f32_e32 v39, v27, v94
	v_add_f32_e32 v32, v32, v38
	v_add_f32_e32 v36, v32, v39
	ds_read_b128 v[32:35], v1 offset:720
	s_waitcnt vmcnt(23) lgkmcnt(1)
	v_mul_f32_e32 v37, v28, v95
	s_waitcnt vmcnt(22)
	v_fmac_f32_e32 v37, v29, v96
	v_add_f32_e32 v36, v36, v37
	s_waitcnt vmcnt(21)
	v_mul_f32_e32 v37, v30, v97
	s_waitcnt vmcnt(20)
	v_fmac_f32_e32 v37, v31, v98
	v_add_f32_e32 v36, v36, v37
	s_waitcnt vmcnt(19) lgkmcnt(0)
	v_mul_f32_e32 v37, v32, v99
	s_waitcnt vmcnt(18)
	v_fmac_f32_e32 v37, v33, v100
	v_add_f32_e32 v40, v36, v37
	ds_read_b128 v[36:39], v1 offset:736
	s_waitcnt vmcnt(17)
	v_mul_f32_e32 v41, v34, v101
	s_waitcnt vmcnt(16)
	v_fmac_f32_e32 v41, v35, v102
	v_add_f32_e32 v44, v40, v41
	ds_read_b128 v[40:43], v1 offset:752
	s_waitcnt vmcnt(15) lgkmcnt(1)
	v_mul_f32_e32 v45, v36, v103
	s_waitcnt vmcnt(14)
	v_fmac_f32_e32 v45, v37, v104
	v_add_f32_e32 v44, v44, v45
	s_waitcnt vmcnt(13)
	v_mul_f32_e32 v45, v38, v105
	s_waitcnt vmcnt(12)
	v_fmac_f32_e32 v45, v39, v106
	v_add_f32_e32 v44, v44, v45
	s_waitcnt vmcnt(11) lgkmcnt(0)
	v_mul_f32_e32 v45, v40, v107
	s_waitcnt vmcnt(10)
	v_fmac_f32_e32 v45, v41, v108
	s_waitcnt vmcnt(9)
	v_mul_f32_e32 v49, v42, v109
	v_add_f32_e32 v48, v44, v45
	s_waitcnt vmcnt(8)
	v_fmac_f32_e32 v49, v43, v110
	ds_read_b128 v[44:47], v1 offset:768
	v_add_f32_e32 v53, v48, v49
	ds_read_b128 v[48:51], v1 offset:784
	buffer_load_dword v59, off, s[0:3], 0 offset:388
	buffer_load_dword v58, off, s[0:3], 0 offset:384
	;; [unrolled: 1-line block ×16, first 2 shown]
	v_mul_f32_e32 v5, v5, v52
	v_fma_f32 v4, v4, v83, -v5
	v_mul_f32_e32 v5, v7, v54
	v_add_f32_e32 v4, 0, v4
	v_fma_f32 v5, v6, v84, -v5
	v_add_f32_e32 v4, v4, v5
	v_mul_f32_e32 v5, v9, v56
	v_fma_f32 v5, v8, v85, -v5
	v_add_f32_e32 v4, v4, v5
	v_mul_f32_e32 v5, v11, v74
	;; [unrolled: 3-line block ×18, first 2 shown]
	v_fma_f32 v5, v42, v110, -v5
	v_add_f32_e32 v4, v4, v5
	s_waitcnt vmcnt(22) lgkmcnt(1)
	v_mul_f32_e32 v5, v45, v192
	v_mul_f32_e32 v55, v44, v192
	v_fma_f32 v5, v44, v111, -v5
	v_fmac_f32_e32 v55, v45, v111
	v_add_f32_e32 v52, v4, v5
	s_waitcnt vmcnt(19)
	v_mul_f32_e32 v4, v47, v193
	v_add_f32_e32 v53, v53, v55
	v_mul_f32_e32 v55, v46, v193
	s_waitcnt vmcnt(18)
	v_fma_f32 v54, v46, v194, -v4
	s_waitcnt vmcnt(17) lgkmcnt(0)
	v_mul_f32_e32 v4, v49, v195
	s_waitcnt vmcnt(9)
	v_mov_b32_e32 v20, v65
	v_pk_mul_f32 v[20:21], v[50:51], v[20:21] op_sel_hi:[1,0]
	v_fmac_f32_e32 v55, v47, v194
	v_mul_f32_e32 v57, v48, v195
	v_fma_f32 v56, v48, v196, -v4
	ds_read_b128 v[4:7], v1 offset:800
	ds_read_b128 v[8:11], v1 offset:816
	;; [unrolled: 1-line block ×3, first 2 shown]
	ds_read_b64 v[16:17], v1 offset:848
	s_waitcnt vmcnt(8)
	v_pk_fma_f32 v[22:23], v[50:51], v[64:65], v[20:21] op_sel:[0,0,1] op_sel_hi:[1,1,0] neg_lo:[0,0,1] neg_hi:[0,0,1]
	v_pk_fma_f32 v[20:21], v[50:51], v[64:65], v[20:21] op_sel:[0,0,1] op_sel_hi:[1,0,0]
	v_fmac_f32_e32 v57, v49, v196
	v_pk_add_f32 v[18:19], v[52:53], v[54:55]
	v_mov_b32_e32 v20, v63
	v_pk_add_f32 v[18:19], v[18:19], v[56:57]
	v_mov_b32_e32 v23, v21
	s_waitcnt lgkmcnt(3)
	v_pk_mul_f32 v[20:21], v[4:5], v[20:21] op_sel_hi:[1,0]
	v_pk_add_f32 v[18:19], v[18:19], v[22:23]
	v_pk_fma_f32 v[22:23], v[4:5], v[62:63], v[20:21] op_sel:[0,0,1] op_sel_hi:[1,1,0] neg_lo:[0,0,1] neg_hi:[0,0,1]
	v_pk_fma_f32 v[4:5], v[4:5], v[62:63], v[20:21] op_sel:[0,0,1] op_sel_hi:[1,0,0]
	v_mov_b32_e32 v23, v5
	v_pk_add_f32 v[4:5], v[18:19], v[22:23]
	v_mov_b32_e32 v18, v61
	v_pk_mul_f32 v[18:19], v[6:7], v[18:19] op_sel_hi:[1,0]
	v_pk_fma_f32 v[20:21], v[6:7], v[60:61], v[18:19] op_sel:[0,0,1] op_sel_hi:[1,1,0] neg_lo:[0,0,1] neg_hi:[0,0,1]
	v_pk_fma_f32 v[6:7], v[6:7], v[60:61], v[18:19] op_sel:[0,0,1] op_sel_hi:[1,0,0]
	v_mov_b32_e32 v6, v59
	v_mov_b32_e32 v21, v7
	s_waitcnt lgkmcnt(2)
	v_pk_mul_f32 v[6:7], v[8:9], v[6:7] op_sel_hi:[1,0]
	v_pk_fma_f32 v[18:19], v[8:9], v[58:59], v[6:7] op_sel:[0,0,1] op_sel_hi:[1,1,0] neg_lo:[0,0,1] neg_hi:[0,0,1]
	v_pk_fma_f32 v[6:7], v[8:9], v[58:59], v[6:7] op_sel:[0,0,1] op_sel_hi:[1,0,0]
	s_waitcnt vmcnt(1)
	v_mov_b32_e32 v6, v73
	v_mov_b32_e32 v19, v7
	v_pk_mul_f32 v[6:7], v[10:11], v[6:7] op_sel_hi:[1,0]
	s_waitcnt vmcnt(0)
	v_pk_fma_f32 v[8:9], v[10:11], v[72:73], v[6:7] op_sel:[0,0,1] op_sel_hi:[1,1,0] neg_lo:[0,0,1] neg_hi:[0,0,1]
	v_pk_fma_f32 v[6:7], v[10:11], v[72:73], v[6:7] op_sel:[0,0,1] op_sel_hi:[1,0,0]
	v_pk_add_f32 v[4:5], v[4:5], v[20:21]
	v_mov_b32_e32 v6, v71
	v_pk_add_f32 v[4:5], v[4:5], v[18:19]
	v_mov_b32_e32 v9, v7
	s_waitcnt lgkmcnt(1)
	v_pk_mul_f32 v[6:7], v[12:13], v[6:7] op_sel_hi:[1,0]
	v_pk_add_f32 v[4:5], v[4:5], v[8:9]
	v_pk_fma_f32 v[8:9], v[12:13], v[70:71], v[6:7] op_sel:[0,0,1] op_sel_hi:[1,1,0] neg_lo:[0,0,1] neg_hi:[0,0,1]
	v_pk_fma_f32 v[6:7], v[12:13], v[70:71], v[6:7] op_sel:[0,0,1] op_sel_hi:[1,0,0]
	v_mov_b32_e32 v6, v69
	v_mov_b32_e32 v9, v7
	v_pk_mul_f32 v[6:7], v[14:15], v[6:7] op_sel_hi:[1,0]
	v_pk_add_f32 v[4:5], v[4:5], v[8:9]
	v_pk_fma_f32 v[8:9], v[14:15], v[68:69], v[6:7] op_sel:[0,0,1] op_sel_hi:[1,1,0] neg_lo:[0,0,1] neg_hi:[0,0,1]
	v_pk_fma_f32 v[6:7], v[14:15], v[68:69], v[6:7] op_sel:[0,0,1] op_sel_hi:[1,0,0]
	v_mov_b32_e32 v6, v67
	v_mov_b32_e32 v9, v7
	s_waitcnt lgkmcnt(0)
	v_pk_mul_f32 v[6:7], v[16:17], v[6:7] op_sel_hi:[1,0]
	v_pk_add_f32 v[4:5], v[4:5], v[8:9]
	v_pk_fma_f32 v[8:9], v[16:17], v[66:67], v[6:7] op_sel:[0,0,1] op_sel_hi:[1,1,0] neg_lo:[0,0,1] neg_hi:[0,0,1]
	v_pk_fma_f32 v[6:7], v[16:17], v[66:67], v[6:7] op_sel:[0,0,1] op_sel_hi:[1,0,0]
	v_mov_b32_e32 v9, v7
	v_pk_add_f32 v[4:5], v[4:5], v[8:9]
	v_pk_add_f32 v[2:3], v[2:3], v[4:5] neg_lo:[0,1] neg_hi:[0,1]
	buffer_store_dword v3, off, s[0:3], 0 offset:172
	buffer_store_dword v2, off, s[0:3], 0 offset:168
	s_and_saveexec_b64 s[4:5], vcc
	s_cbranch_execz .LBB116_291
; %bb.290:
	buffer_load_dword v2, off, s[0:3], 0 offset:160
	buffer_load_dword v3, off, s[0:3], 0 offset:164
	v_accvgpr_read_b32 v4, a48
	buffer_store_dword v1, off, s[0:3], 0 offset:160
	buffer_store_dword v1, off, s[0:3], 0 offset:164
	s_waitcnt vmcnt(2)
	ds_write_b64 v4, v[2:3]
.LBB116_291:
	s_or_b64 exec, exec, s[4:5]
	s_waitcnt lgkmcnt(0)
	; wave barrier
	s_waitcnt lgkmcnt(0)
	buffer_load_dword v52, off, s[0:3], 0 offset:172
	buffer_load_dword v54, off, s[0:3], 0 offset:180
	;; [unrolled: 1-line block ×48, first 2 shown]
	ds_read2_b64 v[4:7], v1 offset0:75 offset1:76
	ds_read2_b64 v[8:11], v1 offset0:77 offset1:78
	;; [unrolled: 1-line block ×6, first 2 shown]
	buffer_load_dword v197, off, s[0:3], 0 offset:352
	buffer_load_dword v198, off, s[0:3], 0 offset:356
	v_cmp_lt_u32_e32 vcc, 19, v0
	s_waitcnt vmcnt(49) lgkmcnt(5)
	v_mul_f32_e32 v28, v4, v52
	s_waitcnt vmcnt(48)
	v_mul_f32_e32 v29, v6, v54
	s_waitcnt vmcnt(47) lgkmcnt(4)
	v_mul_f32_e32 v30, v8, v62
	s_waitcnt vmcnt(46)
	v_mul_f32_e32 v31, v10, v74
	;; [unrolled: 4-line block ×6, first 2 shown]
	s_waitcnt vmcnt(37)
	v_fmac_f32_e32 v28, v5, v83
	s_waitcnt vmcnt(36)
	v_fmac_f32_e32 v29, v7, v84
	v_add_f32_e32 v28, 0, v28
	s_waitcnt vmcnt(35)
	v_fmac_f32_e32 v30, v9, v85
	v_add_f32_e32 v28, v28, v29
	;; [unrolled: 3-line block ×9, first 2 shown]
	v_add_f32_e32 v32, v28, v37
	ds_read2_b64 v[28:31], v1 offset0:87 offset1:88
	s_waitcnt vmcnt(27)
	v_fmac_f32_e32 v38, v25, v93
	v_add_f32_e32 v32, v32, v38
	s_waitcnt vmcnt(26)
	v_fmac_f32_e32 v39, v27, v94
	v_add_f32_e32 v36, v32, v39
	ds_read2_b64 v[32:35], v1 offset0:89 offset1:90
	s_waitcnt vmcnt(25) lgkmcnt(1)
	v_mul_f32_e32 v37, v28, v95
	s_waitcnt vmcnt(24)
	v_fmac_f32_e32 v37, v29, v96
	v_add_f32_e32 v36, v36, v37
	s_waitcnt vmcnt(23)
	v_mul_f32_e32 v37, v30, v97
	s_waitcnt vmcnt(22)
	v_fmac_f32_e32 v37, v31, v98
	v_add_f32_e32 v36, v36, v37
	s_waitcnt vmcnt(21) lgkmcnt(0)
	v_mul_f32_e32 v37, v32, v99
	s_waitcnt vmcnt(20)
	v_fmac_f32_e32 v37, v33, v100
	v_add_f32_e32 v40, v36, v37
	ds_read2_b64 v[36:39], v1 offset0:91 offset1:92
	s_waitcnt vmcnt(19)
	v_mul_f32_e32 v41, v34, v101
	s_waitcnt vmcnt(18)
	v_fmac_f32_e32 v41, v35, v102
	v_add_f32_e32 v44, v40, v41
	ds_read2_b64 v[40:43], v1 offset0:93 offset1:94
	s_waitcnt vmcnt(17) lgkmcnt(1)
	v_mul_f32_e32 v45, v36, v103
	s_waitcnt vmcnt(16)
	v_fmac_f32_e32 v45, v37, v104
	v_add_f32_e32 v44, v44, v45
	s_waitcnt vmcnt(15)
	v_mul_f32_e32 v45, v38, v105
	s_waitcnt vmcnt(14)
	v_fmac_f32_e32 v45, v39, v106
	v_add_f32_e32 v44, v44, v45
	s_waitcnt vmcnt(13) lgkmcnt(0)
	v_mul_f32_e32 v45, v40, v107
	s_waitcnt vmcnt(12)
	v_fmac_f32_e32 v45, v41, v108
	s_waitcnt vmcnt(11)
	v_mul_f32_e32 v49, v42, v109
	v_add_f32_e32 v48, v44, v45
	s_waitcnt vmcnt(10)
	v_fmac_f32_e32 v49, v43, v110
	ds_read2_b64 v[44:47], v1 offset0:95 offset1:96
	v_add_f32_e32 v53, v48, v49
	ds_read2_b64 v[48:51], v1 offset0:97 offset1:98
	buffer_load_dword v57, off, s[0:3], 0 offset:380
	buffer_load_dword v56, off, s[0:3], 0 offset:376
	;; [unrolled: 1-line block ×16, first 2 shown]
	v_mul_f32_e32 v5, v5, v52
	v_fma_f32 v4, v4, v83, -v5
	v_mul_f32_e32 v5, v7, v54
	v_add_f32_e32 v4, 0, v4
	v_fma_f32 v5, v6, v84, -v5
	v_add_f32_e32 v4, v4, v5
	v_mul_f32_e32 v5, v9, v62
	v_fma_f32 v5, v8, v85, -v5
	v_add_f32_e32 v4, v4, v5
	v_mul_f32_e32 v5, v11, v74
	;; [unrolled: 3-line block ×18, first 2 shown]
	v_fma_f32 v5, v42, v110, -v5
	v_add_f32_e32 v4, v4, v5
	s_waitcnt vmcnt(23) lgkmcnt(1)
	v_mul_f32_e32 v5, v45, v111
	s_waitcnt vmcnt(22)
	v_fma_f32 v5, v44, v192, -v5
	v_add_f32_e32 v4, v4, v5
	s_waitcnt vmcnt(20)
	v_mul_f32_e32 v5, v47, v194
	v_mul_f32_e32 v55, v44, v111
	v_fma_f32 v5, v46, v193, -v5
	v_fmac_f32_e32 v55, v45, v192
	v_add_f32_e32 v52, v4, v5
	s_waitcnt vmcnt(18) lgkmcnt(0)
	v_mul_f32_e32 v4, v49, v196
	v_add_f32_e32 v53, v53, v55
	v_mul_f32_e32 v55, v46, v194
	v_fma_f32 v54, v48, v195, -v4
	s_waitcnt vmcnt(16)
	v_mul_f32_e32 v4, v51, v198
	v_fmac_f32_e32 v55, v47, v193
	v_fma_f32 v62, v50, v197, -v4
	ds_read2_b64 v[4:7], v1 offset0:99 offset1:100
	ds_read2_b64 v[8:11], v1 offset0:101 offset1:102
	;; [unrolled: 1-line block ×4, first 2 shown]
	v_add_f32_e32 v53, v53, v55
	v_mul_f32_e32 v55, v48, v196
	s_waitcnt vmcnt(11)
	v_mov_b32_e32 v22, v61
	v_fmac_f32_e32 v55, v49, v195
	v_mul_f32_e32 v63, v50, v198
	s_waitcnt lgkmcnt(3)
	v_pk_mul_f32 v[22:23], v[4:5], v[22:23] op_sel_hi:[1,0]
	v_fmac_f32_e32 v63, v51, v197
	v_pk_add_f32 v[20:21], v[52:53], v[54:55]
	s_waitcnt vmcnt(10)
	v_pk_fma_f32 v[24:25], v[4:5], v[60:61], v[22:23] op_sel:[0,0,1] op_sel_hi:[1,1,0] neg_lo:[0,0,1] neg_hi:[0,0,1]
	v_pk_fma_f32 v[4:5], v[4:5], v[60:61], v[22:23] op_sel:[0,0,1] op_sel_hi:[1,0,0]
	v_pk_add_f32 v[20:21], v[20:21], v[62:63]
	v_mov_b32_e32 v25, v5
	v_pk_add_f32 v[4:5], v[20:21], v[24:25]
	v_mov_b32_e32 v20, v59
	v_pk_mul_f32 v[20:21], v[6:7], v[20:21] op_sel_hi:[1,0]
	v_pk_fma_f32 v[22:23], v[6:7], v[58:59], v[20:21] op_sel:[0,0,1] op_sel_hi:[1,1,0] neg_lo:[0,0,1] neg_hi:[0,0,1]
	v_pk_fma_f32 v[6:7], v[6:7], v[58:59], v[20:21] op_sel:[0,0,1] op_sel_hi:[1,0,0]
	v_mov_b32_e32 v6, v57
	v_mov_b32_e32 v23, v7
	s_waitcnt lgkmcnt(2)
	v_pk_mul_f32 v[6:7], v[8:9], v[6:7] op_sel_hi:[1,0]
	v_pk_fma_f32 v[20:21], v[8:9], v[56:57], v[6:7] op_sel:[0,0,1] op_sel_hi:[1,1,0] neg_lo:[0,0,1] neg_hi:[0,0,1]
	v_pk_fma_f32 v[6:7], v[8:9], v[56:57], v[6:7] op_sel:[0,0,1] op_sel_hi:[1,0,0]
	s_waitcnt vmcnt(3)
	v_mov_b32_e32 v6, v71
	v_mov_b32_e32 v21, v7
	v_pk_mul_f32 v[6:7], v[10:11], v[6:7] op_sel_hi:[1,0]
	s_waitcnt vmcnt(2)
	v_pk_fma_f32 v[8:9], v[10:11], v[70:71], v[6:7] op_sel:[0,0,1] op_sel_hi:[1,1,0] neg_lo:[0,0,1] neg_hi:[0,0,1]
	v_pk_fma_f32 v[6:7], v[10:11], v[70:71], v[6:7] op_sel:[0,0,1] op_sel_hi:[1,0,0]
	v_pk_add_f32 v[4:5], v[4:5], v[22:23]
	v_mov_b32_e32 v6, v69
	v_pk_add_f32 v[4:5], v[4:5], v[20:21]
	v_mov_b32_e32 v9, v7
	s_waitcnt lgkmcnt(1)
	v_pk_mul_f32 v[6:7], v[12:13], v[6:7] op_sel_hi:[1,0]
	v_pk_add_f32 v[4:5], v[4:5], v[8:9]
	v_pk_fma_f32 v[8:9], v[12:13], v[68:69], v[6:7] op_sel:[0,0,1] op_sel_hi:[1,1,0] neg_lo:[0,0,1] neg_hi:[0,0,1]
	v_pk_fma_f32 v[6:7], v[12:13], v[68:69], v[6:7] op_sel:[0,0,1] op_sel_hi:[1,0,0]
	v_mov_b32_e32 v6, v67
	v_mov_b32_e32 v9, v7
	v_pk_mul_f32 v[6:7], v[14:15], v[6:7] op_sel_hi:[1,0]
	v_pk_add_f32 v[4:5], v[4:5], v[8:9]
	v_pk_fma_f32 v[8:9], v[14:15], v[66:67], v[6:7] op_sel:[0,0,1] op_sel_hi:[1,1,0] neg_lo:[0,0,1] neg_hi:[0,0,1]
	v_pk_fma_f32 v[6:7], v[14:15], v[66:67], v[6:7] op_sel:[0,0,1] op_sel_hi:[1,0,0]
	v_mov_b32_e32 v6, v65
	v_mov_b32_e32 v9, v7
	s_waitcnt lgkmcnt(0)
	v_pk_mul_f32 v[6:7], v[16:17], v[6:7] op_sel_hi:[1,0]
	v_pk_add_f32 v[4:5], v[4:5], v[8:9]
	v_pk_fma_f32 v[8:9], v[16:17], v[64:65], v[6:7] op_sel:[0,0,1] op_sel_hi:[1,1,0] neg_lo:[0,0,1] neg_hi:[0,0,1]
	v_pk_fma_f32 v[6:7], v[16:17], v[64:65], v[6:7] op_sel:[0,0,1] op_sel_hi:[1,0,0]
	s_waitcnt vmcnt(1)
	v_mov_b32_e32 v6, v73
	v_mov_b32_e32 v9, v7
	v_pk_mul_f32 v[6:7], v[18:19], v[6:7] op_sel_hi:[1,0]
	v_pk_add_f32 v[4:5], v[4:5], v[8:9]
	s_waitcnt vmcnt(0)
	v_pk_fma_f32 v[8:9], v[18:19], v[72:73], v[6:7] op_sel:[0,0,1] op_sel_hi:[1,1,0] neg_lo:[0,0,1] neg_hi:[0,0,1]
	v_pk_fma_f32 v[6:7], v[18:19], v[72:73], v[6:7] op_sel:[0,0,1] op_sel_hi:[1,0,0]
	v_mov_b32_e32 v9, v7
	v_pk_add_f32 v[4:5], v[4:5], v[8:9]
	v_pk_add_f32 v[2:3], v[2:3], v[4:5] neg_lo:[0,1] neg_hi:[0,1]
	buffer_store_dword v3, off, s[0:3], 0 offset:164
	buffer_store_dword v2, off, s[0:3], 0 offset:160
	s_and_saveexec_b64 s[4:5], vcc
	s_cbranch_execz .LBB116_293
; %bb.292:
	buffer_load_dword v2, off, s[0:3], 0 offset:152
	buffer_load_dword v3, off, s[0:3], 0 offset:156
	v_mov_b32_e32 v1, 0
	v_accvgpr_read_b32 v4, a48
	buffer_store_dword v1, off, s[0:3], 0 offset:152
	buffer_store_dword v1, off, s[0:3], 0 offset:156
	s_waitcnt vmcnt(2)
	ds_write_b64 v4, v[2:3]
.LBB116_293:
	s_or_b64 exec, exec, s[4:5]
	s_waitcnt lgkmcnt(0)
	; wave barrier
	s_waitcnt lgkmcnt(0)
	buffer_load_dword v60, off, s[0:3], 0 offset:164
	buffer_load_dword v66, off, s[0:3], 0 offset:172
	;; [unrolled: 1-line block ×52, first 2 shown]
	v_mov_b32_e32 v1, 0
	ds_read_b128 v[4:7], v1 offset:592
	ds_read_b128 v[8:11], v1 offset:608
	;; [unrolled: 1-line block ×6, first 2 shown]
	v_cmp_lt_u32_e32 vcc, 18, v0
	s_waitcnt vmcnt(51) lgkmcnt(5)
	v_mul_f32_e32 v28, v4, v60
	s_waitcnt vmcnt(50)
	v_mul_f32_e32 v29, v6, v66
	s_waitcnt vmcnt(49) lgkmcnt(4)
	v_mul_f32_e32 v30, v8, v68
	s_waitcnt vmcnt(48)
	v_mul_f32_e32 v31, v10, v82
	;; [unrolled: 4-line block ×5, first 2 shown]
	s_waitcnt vmcnt(41) lgkmcnt(0)
	v_mul_f32_e32 v38, v24, v89
	s_waitcnt vmcnt(40)
	v_fmac_f32_e32 v28, v5, v90
	s_waitcnt vmcnt(39)
	v_fmac_f32_e32 v29, v7, v91
	v_add_f32_e32 v28, 0, v28
	s_waitcnt vmcnt(38)
	v_fmac_f32_e32 v30, v9, v92
	v_add_f32_e32 v28, v28, v29
	;; [unrolled: 3-line block ×9, first 2 shown]
	v_add_f32_e32 v28, v28, v37
	s_waitcnt vmcnt(30)
	v_fmac_f32_e32 v38, v25, v100
	v_add_f32_e32 v32, v28, v38
	ds_read_b128 v[28:31], v1 offset:688
	s_waitcnt vmcnt(29)
	v_mul_f32_e32 v33, v26, v101
	s_waitcnt vmcnt(28)
	v_fmac_f32_e32 v33, v27, v102
	v_add_f32_e32 v36, v32, v33
	ds_read_b128 v[32:35], v1 offset:704
	s_waitcnt vmcnt(27) lgkmcnt(1)
	v_mul_f32_e32 v37, v28, v103
	s_waitcnt vmcnt(26)
	v_fmac_f32_e32 v37, v29, v104
	v_add_f32_e32 v36, v36, v37
	s_waitcnt vmcnt(25)
	v_mul_f32_e32 v37, v30, v105
	s_waitcnt vmcnt(24)
	v_fmac_f32_e32 v37, v31, v106
	v_add_f32_e32 v36, v36, v37
	s_waitcnt vmcnt(23) lgkmcnt(0)
	v_mul_f32_e32 v37, v32, v107
	s_waitcnt vmcnt(22)
	v_fmac_f32_e32 v37, v33, v108
	v_add_f32_e32 v40, v36, v37
	ds_read_b128 v[36:39], v1 offset:720
	s_waitcnt vmcnt(21)
	v_mul_f32_e32 v41, v34, v109
	s_waitcnt vmcnt(20)
	v_fmac_f32_e32 v41, v35, v110
	v_add_f32_e32 v44, v40, v41
	ds_read_b128 v[40:43], v1 offset:736
	s_waitcnt vmcnt(19) lgkmcnt(1)
	v_mul_f32_e32 v45, v36, v111
	s_waitcnt vmcnt(18)
	v_fmac_f32_e32 v45, v37, v192
	v_add_f32_e32 v44, v44, v45
	s_waitcnt vmcnt(17)
	v_mul_f32_e32 v45, v38, v193
	s_waitcnt vmcnt(16)
	v_fmac_f32_e32 v45, v39, v194
	v_add_f32_e32 v44, v44, v45
	s_waitcnt vmcnt(14) lgkmcnt(0)
	v_mul_f32_e32 v45, v40, v196
	v_fmac_f32_e32 v45, v41, v195
	v_add_f32_e32 v48, v44, v45
	ds_read_b128 v[44:47], v1 offset:752
	s_waitcnt vmcnt(10)
	v_mul_f32_e32 v49, v42, v198
	v_fmac_f32_e32 v49, v43, v197
	v_add_f32_e32 v52, v48, v49
	ds_read_b128 v[48:51], v1 offset:768
	s_waitcnt vmcnt(8) lgkmcnt(1)
	v_mul_f32_e32 v53, v44, v200
	v_fmac_f32_e32 v53, v45, v199
	v_add_f32_e32 v52, v52, v53
	s_waitcnt vmcnt(6)
	v_mul_f32_e32 v53, v46, v202
	v_fmac_f32_e32 v53, v47, v201
	v_add_f32_e32 v52, v52, v53
	s_waitcnt vmcnt(4) lgkmcnt(0)
	v_mul_f32_e32 v53, v48, v204
	v_fmac_f32_e32 v53, v49, v203
	v_add_f32_e32 v61, v52, v53
	ds_read_b128 v[52:55], v1 offset:784
	buffer_load_dword v63, off, s[0:3], 0 offset:372
	buffer_load_dword v62, off, s[0:3], 0 offset:368
	;; [unrolled: 1-line block ×4, first 2 shown]
	ds_read_b128 v[56:59], v1 offset:800
	buffer_load_dword v71, off, s[0:3], 0 offset:404
	buffer_load_dword v70, off, s[0:3], 0 offset:400
	;; [unrolled: 1-line block ×12, first 2 shown]
	v_mul_f32_e32 v5, v5, v60
	v_fma_f32 v4, v4, v90, -v5
	v_mul_f32_e32 v5, v7, v66
	v_add_f32_e32 v4, 0, v4
	v_fma_f32 v5, v6, v91, -v5
	v_add_f32_e32 v4, v4, v5
	v_mul_f32_e32 v5, v9, v68
	v_fma_f32 v5, v8, v92, -v5
	v_add_f32_e32 v4, v4, v5
	v_mul_f32_e32 v5, v11, v82
	;; [unrolled: 3-line block ×21, first 2 shown]
	v_fma_f32 v5, v48, v203, -v5
	s_waitcnt vmcnt(18)
	v_mul_f32_e32 v67, v50, v206
	v_add_f32_e32 v60, v4, v5
	v_mul_f32_e32 v4, v51, v206
	v_fmac_f32_e32 v67, v51, v205
	s_waitcnt vmcnt(16) lgkmcnt(1)
	v_mul_f32_e32 v69, v52, v208
	v_fma_f32 v66, v50, v205, -v4
	v_mul_f32_e32 v4, v53, v208
	v_fmac_f32_e32 v69, v53, v207
	s_waitcnt vmcnt(13)
	v_mov_b32_e32 v16, v65
	v_pk_mul_f32 v[16:17], v[54:55], v[16:17] op_sel_hi:[1,0]
	s_waitcnt vmcnt(12)
	v_pk_fma_f32 v[18:19], v[54:55], v[64:65], v[16:17] op_sel:[0,0,1] op_sel_hi:[1,1,0] neg_lo:[0,0,1] neg_hi:[0,0,1]
	v_pk_fma_f32 v[16:17], v[54:55], v[64:65], v[16:17] op_sel:[0,0,1] op_sel_hi:[1,0,0]
	v_fma_f32 v68, v52, v207, -v4
	v_pk_add_f32 v[14:15], v[60:61], v[66:67]
	v_mov_b32_e32 v16, v63
	v_pk_add_f32 v[14:15], v[14:15], v[68:69]
	v_mov_b32_e32 v19, v17
	s_waitcnt lgkmcnt(0)
	v_pk_mul_f32 v[16:17], v[56:57], v[16:17] op_sel_hi:[1,0]
	v_pk_add_f32 v[14:15], v[14:15], v[18:19]
	v_pk_fma_f32 v[18:19], v[56:57], v[62:63], v[16:17] op_sel:[0,0,1] op_sel_hi:[1,1,0] neg_lo:[0,0,1] neg_hi:[0,0,1]
	v_pk_fma_f32 v[16:17], v[56:57], v[62:63], v[16:17] op_sel:[0,0,1] op_sel_hi:[1,0,0]
	s_waitcnt vmcnt(5)
	v_mov_b32_e32 v16, v77
	ds_read_b128 v[4:7], v1 offset:816
	ds_read_b128 v[8:11], v1 offset:832
	ds_read_b64 v[12:13], v1 offset:848
	v_mov_b32_e32 v19, v17
	v_pk_mul_f32 v[16:17], v[58:59], v[16:17] op_sel_hi:[1,0]
	v_pk_add_f32 v[14:15], v[14:15], v[18:19]
	s_waitcnt vmcnt(4)
	v_pk_fma_f32 v[18:19], v[58:59], v[76:77], v[16:17] op_sel:[0,0,1] op_sel_hi:[1,1,0] neg_lo:[0,0,1] neg_hi:[0,0,1]
	v_pk_fma_f32 v[16:17], v[58:59], v[76:77], v[16:17] op_sel:[0,0,1] op_sel_hi:[1,0,0]
	v_mov_b32_e32 v16, v75
	v_mov_b32_e32 v19, v17
	s_waitcnt lgkmcnt(2)
	v_pk_mul_f32 v[16:17], v[4:5], v[16:17] op_sel_hi:[1,0]
	v_pk_add_f32 v[14:15], v[14:15], v[18:19]
	v_pk_fma_f32 v[18:19], v[4:5], v[74:75], v[16:17] op_sel:[0,0,1] op_sel_hi:[1,1,0] neg_lo:[0,0,1] neg_hi:[0,0,1]
	v_pk_fma_f32 v[4:5], v[4:5], v[74:75], v[16:17] op_sel:[0,0,1] op_sel_hi:[1,0,0]
	v_mov_b32_e32 v19, v5
	v_pk_add_f32 v[4:5], v[14:15], v[18:19]
	v_mov_b32_e32 v14, v73
	v_pk_mul_f32 v[14:15], v[6:7], v[14:15] op_sel_hi:[1,0]
	v_pk_fma_f32 v[16:17], v[6:7], v[72:73], v[14:15] op_sel:[0,0,1] op_sel_hi:[1,1,0] neg_lo:[0,0,1] neg_hi:[0,0,1]
	v_pk_fma_f32 v[6:7], v[6:7], v[72:73], v[14:15] op_sel:[0,0,1] op_sel_hi:[1,0,0]
	v_mov_b32_e32 v6, v71
	v_mov_b32_e32 v17, v7
	s_waitcnt lgkmcnt(1)
	v_pk_mul_f32 v[6:7], v[8:9], v[6:7] op_sel_hi:[1,0]
	v_pk_fma_f32 v[14:15], v[8:9], v[70:71], v[6:7] op_sel:[0,0,1] op_sel_hi:[1,1,0] neg_lo:[0,0,1] neg_hi:[0,0,1]
	v_pk_fma_f32 v[6:7], v[8:9], v[70:71], v[6:7] op_sel:[0,0,1] op_sel_hi:[1,0,0]
	s_waitcnt vmcnt(1)
	v_mov_b32_e32 v6, v81
	v_mov_b32_e32 v15, v7
	v_pk_mul_f32 v[6:7], v[10:11], v[6:7] op_sel_hi:[1,0]
	s_waitcnt vmcnt(0)
	v_pk_fma_f32 v[8:9], v[10:11], v[80:81], v[6:7] op_sel:[0,0,1] op_sel_hi:[1,1,0] neg_lo:[0,0,1] neg_hi:[0,0,1]
	v_pk_fma_f32 v[6:7], v[10:11], v[80:81], v[6:7] op_sel:[0,0,1] op_sel_hi:[1,0,0]
	v_pk_add_f32 v[4:5], v[4:5], v[16:17]
	v_mov_b32_e32 v6, v79
	v_pk_add_f32 v[4:5], v[4:5], v[14:15]
	v_mov_b32_e32 v9, v7
	s_waitcnt lgkmcnt(0)
	v_pk_mul_f32 v[6:7], v[12:13], v[6:7] op_sel_hi:[1,0]
	v_pk_add_f32 v[4:5], v[4:5], v[8:9]
	v_pk_fma_f32 v[8:9], v[12:13], v[78:79], v[6:7] op_sel:[0,0,1] op_sel_hi:[1,1,0] neg_lo:[0,0,1] neg_hi:[0,0,1]
	v_pk_fma_f32 v[6:7], v[12:13], v[78:79], v[6:7] op_sel:[0,0,1] op_sel_hi:[1,0,0]
	v_mov_b32_e32 v9, v7
	v_pk_add_f32 v[4:5], v[4:5], v[8:9]
	v_pk_add_f32 v[2:3], v[2:3], v[4:5] neg_lo:[0,1] neg_hi:[0,1]
	buffer_store_dword v3, off, s[0:3], 0 offset:156
	buffer_store_dword v2, off, s[0:3], 0 offset:152
	s_and_saveexec_b64 s[4:5], vcc
	s_cbranch_execz .LBB116_295
; %bb.294:
	buffer_load_dword v2, off, s[0:3], 0 offset:144
	buffer_load_dword v3, off, s[0:3], 0 offset:148
	v_accvgpr_read_b32 v4, a48
	buffer_store_dword v1, off, s[0:3], 0 offset:144
	buffer_store_dword v1, off, s[0:3], 0 offset:148
	s_waitcnt vmcnt(2)
	ds_write_b64 v4, v[2:3]
.LBB116_295:
	s_or_b64 exec, exec, s[4:5]
	s_waitcnt lgkmcnt(0)
	; wave barrier
	s_waitcnt lgkmcnt(0)
	buffer_load_dword v62, off, s[0:3], 0 offset:156
	buffer_load_dword v64, off, s[0:3], 0 offset:164
	;; [unrolled: 1-line block ×42, first 2 shown]
	ds_read2_b64 v[4:7], v1 offset0:73 offset1:74
	ds_read2_b64 v[8:11], v1 offset0:75 offset1:76
	buffer_load_dword v199, off, s[0:3], 0 offset:312
	buffer_load_dword v200, off, s[0:3], 0 offset:316
	ds_read2_b64 v[12:15], v1 offset0:77 offset1:78
	ds_read2_b64 v[16:19], v1 offset0:79 offset1:80
	buffer_load_dword v201, off, s[0:3], 0 offset:320
	buffer_load_dword v202, off, s[0:3], 0 offset:324
	;; [unrolled: 1-line block ×4, first 2 shown]
	ds_read2_b64 v[20:23], v1 offset0:81 offset1:82
	ds_read2_b64 v[24:27], v1 offset0:83 offset1:84
	buffer_load_dword v205, off, s[0:3], 0 offset:336
	buffer_load_dword v206, off, s[0:3], 0 offset:340
	;; [unrolled: 1-line block ×6, first 2 shown]
	v_cmp_lt_u32_e32 vcc, 17, v0
	s_waitcnt vmcnt(53) lgkmcnt(5)
	v_mul_f32_e32 v28, v4, v62
	s_waitcnt vmcnt(52)
	v_mul_f32_e32 v29, v6, v64
	s_waitcnt vmcnt(51) lgkmcnt(4)
	v_mul_f32_e32 v30, v8, v66
	s_waitcnt vmcnt(50)
	v_mul_f32_e32 v31, v10, v82
	;; [unrolled: 4-line block ×5, first 2 shown]
	s_waitcnt vmcnt(43)
	v_fmac_f32_e32 v28, v5, v89
	s_waitcnt vmcnt(42)
	v_fmac_f32_e32 v29, v7, v90
	v_add_f32_e32 v28, 0, v28
	s_waitcnt vmcnt(41)
	v_fmac_f32_e32 v30, v9, v91
	v_add_f32_e32 v28, v28, v29
	;; [unrolled: 3-line block ×9, first 2 shown]
	s_waitcnt vmcnt(33) lgkmcnt(0)
	v_mul_f32_e32 v29, v24, v99
	v_add_f32_e32 v28, v28, v37
	s_waitcnt vmcnt(32)
	v_fmac_f32_e32 v29, v25, v100
	v_add_f32_e32 v32, v28, v29
	ds_read2_b64 v[28:31], v1 offset0:85 offset1:86
	s_waitcnt vmcnt(31)
	v_mul_f32_e32 v33, v26, v101
	s_waitcnt vmcnt(30)
	v_fmac_f32_e32 v33, v27, v102
	v_add_f32_e32 v36, v32, v33
	ds_read2_b64 v[32:35], v1 offset0:87 offset1:88
	s_waitcnt vmcnt(29) lgkmcnt(1)
	v_mul_f32_e32 v37, v28, v103
	s_waitcnt vmcnt(28)
	v_fmac_f32_e32 v37, v29, v104
	v_add_f32_e32 v36, v36, v37
	s_waitcnt vmcnt(27)
	v_mul_f32_e32 v37, v30, v105
	s_waitcnt vmcnt(26)
	v_fmac_f32_e32 v37, v31, v106
	v_add_f32_e32 v36, v36, v37
	s_waitcnt vmcnt(25) lgkmcnt(0)
	v_mul_f32_e32 v37, v32, v107
	s_waitcnt vmcnt(24)
	v_fmac_f32_e32 v37, v33, v108
	v_add_f32_e32 v40, v36, v37
	ds_read2_b64 v[36:39], v1 offset0:89 offset1:90
	s_waitcnt vmcnt(23)
	v_mul_f32_e32 v41, v34, v109
	s_waitcnt vmcnt(22)
	v_fmac_f32_e32 v41, v35, v110
	v_add_f32_e32 v44, v40, v41
	ds_read2_b64 v[40:43], v1 offset0:91 offset1:92
	s_waitcnt vmcnt(21) lgkmcnt(1)
	v_mul_f32_e32 v45, v36, v111
	s_waitcnt vmcnt(20)
	v_fmac_f32_e32 v45, v37, v192
	v_add_f32_e32 v44, v44, v45
	s_waitcnt vmcnt(18)
	v_mul_f32_e32 v45, v38, v194
	v_fmac_f32_e32 v45, v39, v193
	v_add_f32_e32 v44, v44, v45
	s_waitcnt vmcnt(15) lgkmcnt(0)
	v_mul_f32_e32 v45, v40, v195
	s_waitcnt vmcnt(14)
	v_fmac_f32_e32 v45, v41, v196
	v_add_f32_e32 v48, v44, v45
	ds_read2_b64 v[44:47], v1 offset0:93 offset1:94
	s_waitcnt vmcnt(12)
	v_mul_f32_e32 v49, v42, v198
	v_fmac_f32_e32 v49, v43, v197
	v_add_f32_e32 v52, v48, v49
	ds_read2_b64 v[48:51], v1 offset0:95 offset1:96
	buffer_load_dword v61, off, s[0:3], 0 offset:364
	buffer_load_dword v60, off, s[0:3], 0 offset:360
	s_waitcnt vmcnt(12) lgkmcnt(1)
	v_mul_f32_e32 v53, v44, v200
	v_fmac_f32_e32 v53, v45, v199
	v_add_f32_e32 v52, v52, v53
	s_waitcnt vmcnt(10)
	v_mul_f32_e32 v53, v46, v202
	v_fmac_f32_e32 v53, v47, v201
	v_add_f32_e32 v52, v52, v53
	s_waitcnt vmcnt(8) lgkmcnt(0)
	v_mul_f32_e32 v53, v48, v204
	v_fmac_f32_e32 v53, v49, v203
	s_waitcnt vmcnt(6)
	v_mul_f32_e32 v57, v50, v206
	v_add_f32_e32 v56, v52, v53
	v_fmac_f32_e32 v57, v51, v205
	ds_read2_b64 v[52:55], v1 offset0:97 offset1:98
	v_add_f32_e32 v63, v56, v57
	ds_read2_b64 v[56:59], v1 offset0:99 offset1:100
	buffer_load_dword v69, off, s[0:3], 0 offset:396
	buffer_load_dword v68, off, s[0:3], 0 offset:392
	;; [unrolled: 1-line block ×14, first 2 shown]
	v_mul_f32_e32 v5, v5, v62
	v_fma_f32 v4, v4, v89, -v5
	v_mul_f32_e32 v5, v7, v64
	v_add_f32_e32 v4, 0, v4
	v_fma_f32 v5, v6, v90, -v5
	v_add_f32_e32 v4, v4, v5
	v_mul_f32_e32 v5, v9, v66
	v_fma_f32 v5, v8, v91, -v5
	v_add_f32_e32 v4, v4, v5
	v_mul_f32_e32 v5, v11, v82
	;; [unrolled: 3-line block ×22, first 2 shown]
	v_fma_f32 v5, v50, v205, -v5
	s_waitcnt vmcnt(15)
	v_mov_b32_e32 v18, v61
	s_waitcnt lgkmcnt(1)
	v_mul_f32_e32 v65, v52, v208
	v_add_f32_e32 v62, v4, v5
	v_mul_f32_e32 v4, v53, v208
	s_waitcnt lgkmcnt(0)
	v_pk_mul_f32 v[18:19], v[56:57], v[18:19] op_sel_hi:[1,0]
	v_fmac_f32_e32 v65, v53, v207
	v_mul_f32_e32 v67, v54, v210
	v_fma_f32 v64, v52, v207, -v4
	v_mul_f32_e32 v4, v55, v210
	s_waitcnt vmcnt(14)
	v_pk_fma_f32 v[20:21], v[56:57], v[60:61], v[18:19] op_sel:[0,0,1] op_sel_hi:[1,1,0] neg_lo:[0,0,1] neg_hi:[0,0,1]
	v_pk_fma_f32 v[18:19], v[56:57], v[60:61], v[18:19] op_sel:[0,0,1] op_sel_hi:[1,0,0]
	v_fmac_f32_e32 v67, v55, v209
	v_fma_f32 v66, v54, v209, -v4
	v_pk_add_f32 v[16:17], v[62:63], v[64:65]
	s_waitcnt vmcnt(7)
	v_mov_b32_e32 v18, v75
	ds_read2_b64 v[4:7], v1 offset0:101 offset1:102
	ds_read2_b64 v[8:11], v1 offset0:103 offset1:104
	;; [unrolled: 1-line block ×3, first 2 shown]
	v_pk_add_f32 v[16:17], v[16:17], v[66:67]
	v_mov_b32_e32 v21, v19
	v_pk_mul_f32 v[18:19], v[58:59], v[18:19] op_sel_hi:[1,0]
	v_pk_add_f32 v[16:17], v[16:17], v[20:21]
	s_waitcnt vmcnt(6)
	v_pk_fma_f32 v[20:21], v[58:59], v[74:75], v[18:19] op_sel:[0,0,1] op_sel_hi:[1,1,0] neg_lo:[0,0,1] neg_hi:[0,0,1]
	v_pk_fma_f32 v[18:19], v[58:59], v[74:75], v[18:19] op_sel:[0,0,1] op_sel_hi:[1,0,0]
	v_mov_b32_e32 v18, v73
	v_mov_b32_e32 v21, v19
	s_waitcnt lgkmcnt(2)
	v_pk_mul_f32 v[18:19], v[4:5], v[18:19] op_sel_hi:[1,0]
	v_pk_add_f32 v[16:17], v[16:17], v[20:21]
	v_pk_fma_f32 v[20:21], v[4:5], v[72:73], v[18:19] op_sel:[0,0,1] op_sel_hi:[1,1,0] neg_lo:[0,0,1] neg_hi:[0,0,1]
	v_pk_fma_f32 v[4:5], v[4:5], v[72:73], v[18:19] op_sel:[0,0,1] op_sel_hi:[1,0,0]
	v_mov_b32_e32 v21, v5
	v_pk_add_f32 v[4:5], v[16:17], v[20:21]
	v_mov_b32_e32 v16, v71
	v_pk_mul_f32 v[16:17], v[6:7], v[16:17] op_sel_hi:[1,0]
	v_pk_fma_f32 v[18:19], v[6:7], v[70:71], v[16:17] op_sel:[0,0,1] op_sel_hi:[1,1,0] neg_lo:[0,0,1] neg_hi:[0,0,1]
	v_pk_fma_f32 v[6:7], v[6:7], v[70:71], v[16:17] op_sel:[0,0,1] op_sel_hi:[1,0,0]
	v_mov_b32_e32 v6, v69
	v_mov_b32_e32 v19, v7
	s_waitcnt lgkmcnt(1)
	v_pk_mul_f32 v[6:7], v[8:9], v[6:7] op_sel_hi:[1,0]
	v_pk_fma_f32 v[16:17], v[8:9], v[68:69], v[6:7] op_sel:[0,0,1] op_sel_hi:[1,1,0] neg_lo:[0,0,1] neg_hi:[0,0,1]
	v_pk_fma_f32 v[6:7], v[8:9], v[68:69], v[6:7] op_sel:[0,0,1] op_sel_hi:[1,0,0]
	s_waitcnt vmcnt(1)
	v_mov_b32_e32 v6, v81
	v_mov_b32_e32 v17, v7
	v_pk_mul_f32 v[6:7], v[10:11], v[6:7] op_sel_hi:[1,0]
	s_waitcnt vmcnt(0)
	v_pk_fma_f32 v[8:9], v[10:11], v[80:81], v[6:7] op_sel:[0,0,1] op_sel_hi:[1,1,0] neg_lo:[0,0,1] neg_hi:[0,0,1]
	v_pk_fma_f32 v[6:7], v[10:11], v[80:81], v[6:7] op_sel:[0,0,1] op_sel_hi:[1,0,0]
	v_pk_add_f32 v[4:5], v[4:5], v[18:19]
	v_mov_b32_e32 v6, v79
	v_pk_add_f32 v[4:5], v[4:5], v[16:17]
	v_mov_b32_e32 v9, v7
	s_waitcnt lgkmcnt(0)
	v_pk_mul_f32 v[6:7], v[12:13], v[6:7] op_sel_hi:[1,0]
	v_pk_add_f32 v[4:5], v[4:5], v[8:9]
	v_pk_fma_f32 v[8:9], v[12:13], v[78:79], v[6:7] op_sel:[0,0,1] op_sel_hi:[1,1,0] neg_lo:[0,0,1] neg_hi:[0,0,1]
	v_pk_fma_f32 v[6:7], v[12:13], v[78:79], v[6:7] op_sel:[0,0,1] op_sel_hi:[1,0,0]
	v_mov_b32_e32 v6, v77
	v_mov_b32_e32 v9, v7
	v_pk_mul_f32 v[6:7], v[14:15], v[6:7] op_sel_hi:[1,0]
	v_pk_add_f32 v[4:5], v[4:5], v[8:9]
	v_pk_fma_f32 v[8:9], v[14:15], v[76:77], v[6:7] op_sel:[0,0,1] op_sel_hi:[1,1,0] neg_lo:[0,0,1] neg_hi:[0,0,1]
	v_pk_fma_f32 v[6:7], v[14:15], v[76:77], v[6:7] op_sel:[0,0,1] op_sel_hi:[1,0,0]
	v_mov_b32_e32 v9, v7
	v_pk_add_f32 v[4:5], v[4:5], v[8:9]
	v_pk_add_f32 v[2:3], v[2:3], v[4:5] neg_lo:[0,1] neg_hi:[0,1]
	buffer_store_dword v3, off, s[0:3], 0 offset:148
	buffer_store_dword v2, off, s[0:3], 0 offset:144
	s_and_saveexec_b64 s[4:5], vcc
	s_cbranch_execz .LBB116_297
; %bb.296:
	buffer_load_dword v2, off, s[0:3], 0 offset:136
	buffer_load_dword v3, off, s[0:3], 0 offset:140
	v_mov_b32_e32 v1, 0
	v_accvgpr_read_b32 v4, a48
	buffer_store_dword v1, off, s[0:3], 0 offset:136
	buffer_store_dword v1, off, s[0:3], 0 offset:140
	s_waitcnt vmcnt(2)
	ds_write_b64 v4, v[2:3]
.LBB116_297:
	s_or_b64 exec, exec, s[4:5]
	s_waitcnt lgkmcnt(0)
	; wave barrier
	s_waitcnt lgkmcnt(0)
	buffer_load_dword v60, off, s[0:3], 0 offset:148
	buffer_load_dword v62, off, s[0:3], 0 offset:156
	;; [unrolled: 1-line block ×56, first 2 shown]
	v_mov_b32_e32 v1, 0
	ds_read_b128 v[4:7], v1 offset:576
	ds_read_b128 v[8:11], v1 offset:592
	;; [unrolled: 1-line block ×6, first 2 shown]
	v_cmp_lt_u32_e32 vcc, 16, v0
	s_waitcnt vmcnt(55) lgkmcnt(5)
	v_mul_f32_e32 v28, v4, v60
	s_waitcnt vmcnt(54)
	v_mul_f32_e32 v29, v6, v62
	s_waitcnt vmcnt(53) lgkmcnt(4)
	v_mul_f32_e32 v30, v8, v64
	s_waitcnt vmcnt(52)
	v_mul_f32_e32 v31, v10, v82
	;; [unrolled: 4-line block ×4, first 2 shown]
	s_waitcnt vmcnt(47) lgkmcnt(1)
	v_mul_f32_e32 v36, v20, v87
	s_waitcnt vmcnt(46)
	v_fmac_f32_e32 v28, v5, v88
	s_waitcnt vmcnt(45)
	v_fmac_f32_e32 v29, v7, v89
	v_add_f32_e32 v28, 0, v28
	s_waitcnt vmcnt(44)
	v_fmac_f32_e32 v30, v9, v90
	v_add_f32_e32 v28, v28, v29
	;; [unrolled: 3-line block ×7, first 2 shown]
	v_add_f32_e32 v28, v28, v35
	s_waitcnt vmcnt(38)
	v_fmac_f32_e32 v36, v21, v96
	s_waitcnt vmcnt(37)
	v_mul_f32_e32 v29, v22, v97
	v_add_f32_e32 v28, v28, v36
	s_waitcnt vmcnt(36)
	v_fmac_f32_e32 v29, v23, v98
	v_add_f32_e32 v28, v28, v29
	s_waitcnt vmcnt(35) lgkmcnt(0)
	v_mul_f32_e32 v29, v24, v99
	s_waitcnt vmcnt(34)
	v_fmac_f32_e32 v29, v25, v100
	v_add_f32_e32 v32, v28, v29
	ds_read_b128 v[28:31], v1 offset:672
	s_waitcnt vmcnt(33)
	v_mul_f32_e32 v33, v26, v101
	s_waitcnt vmcnt(32)
	v_fmac_f32_e32 v33, v27, v102
	v_add_f32_e32 v36, v32, v33
	ds_read_b128 v[32:35], v1 offset:688
	s_waitcnt vmcnt(31) lgkmcnt(1)
	v_mul_f32_e32 v37, v28, v103
	s_waitcnt vmcnt(30)
	v_fmac_f32_e32 v37, v29, v104
	v_add_f32_e32 v36, v36, v37
	s_waitcnt vmcnt(29)
	v_mul_f32_e32 v37, v30, v105
	s_waitcnt vmcnt(28)
	v_fmac_f32_e32 v37, v31, v106
	v_add_f32_e32 v36, v36, v37
	s_waitcnt vmcnt(27) lgkmcnt(0)
	v_mul_f32_e32 v37, v32, v107
	s_waitcnt vmcnt(26)
	v_fmac_f32_e32 v37, v33, v108
	v_add_f32_e32 v40, v36, v37
	ds_read_b128 v[36:39], v1 offset:704
	s_waitcnt vmcnt(24)
	v_mul_f32_e32 v41, v34, v110
	v_fmac_f32_e32 v41, v35, v109
	v_add_f32_e32 v44, v40, v41
	ds_read_b128 v[40:43], v1 offset:720
	s_waitcnt vmcnt(20) lgkmcnt(1)
	v_mul_f32_e32 v45, v36, v192
	v_fmac_f32_e32 v45, v37, v111
	v_add_f32_e32 v44, v44, v45
	s_waitcnt vmcnt(18)
	v_mul_f32_e32 v45, v38, v194
	v_fmac_f32_e32 v45, v39, v193
	v_add_f32_e32 v44, v44, v45
	s_waitcnt vmcnt(16) lgkmcnt(0)
	v_mul_f32_e32 v45, v40, v196
	v_fmac_f32_e32 v45, v41, v195
	v_add_f32_e32 v48, v44, v45
	ds_read_b128 v[44:47], v1 offset:736
	s_waitcnt vmcnt(14)
	v_mul_f32_e32 v49, v42, v198
	v_fmac_f32_e32 v49, v43, v197
	v_add_f32_e32 v52, v48, v49
	ds_read_b128 v[48:51], v1 offset:752
	s_waitcnt vmcnt(12) lgkmcnt(1)
	v_mul_f32_e32 v53, v44, v200
	v_fmac_f32_e32 v53, v45, v199
	v_add_f32_e32 v52, v52, v53
	s_waitcnt vmcnt(10)
	v_mul_f32_e32 v53, v46, v202
	v_fmac_f32_e32 v53, v47, v201
	v_add_f32_e32 v52, v52, v53
	s_waitcnt vmcnt(8) lgkmcnt(0)
	v_mul_f32_e32 v53, v48, v204
	v_fmac_f32_e32 v53, v49, v203
	s_waitcnt vmcnt(6)
	v_mul_f32_e32 v57, v50, v206
	v_add_f32_e32 v56, v52, v53
	v_fmac_f32_e32 v57, v51, v205
	ds_read_b128 v[52:55], v1 offset:768
	v_add_f32_e32 v61, v56, v57
	ds_read_b128 v[56:59], v1 offset:784
	buffer_load_dword v67, off, s[0:3], 0 offset:388
	buffer_load_dword v66, off, s[0:3], 0 offset:384
	;; [unrolled: 1-line block ×16, first 2 shown]
	v_mul_f32_e32 v5, v5, v60
	v_fma_f32 v4, v4, v88, -v5
	v_mul_f32_e32 v5, v7, v62
	v_add_f32_e32 v4, 0, v4
	v_fma_f32 v5, v6, v89, -v5
	v_add_f32_e32 v4, v4, v5
	v_mul_f32_e32 v5, v9, v64
	v_fma_f32 v5, v8, v90, -v5
	v_add_f32_e32 v4, v4, v5
	v_mul_f32_e32 v5, v11, v82
	v_fma_f32 v5, v10, v91, -v5
	v_add_f32_e32 v4, v4, v5
	v_mul_f32_e32 v5, v13, v83
	v_fma_f32 v5, v12, v92, -v5
	v_add_f32_e32 v4, v4, v5
	v_mul_f32_e32 v5, v15, v84
	v_fma_f32 v5, v14, v93, -v5
	v_add_f32_e32 v4, v4, v5
	v_mul_f32_e32 v5, v17, v85
	v_fma_f32 v5, v16, v94, -v5
	v_add_f32_e32 v4, v4, v5
	v_mul_f32_e32 v5, v19, v86
	v_fma_f32 v5, v18, v95, -v5
	v_add_f32_e32 v4, v4, v5
	v_mul_f32_e32 v5, v21, v87
	v_fma_f32 v5, v20, v96, -v5
	v_add_f32_e32 v4, v4, v5
	v_mul_f32_e32 v5, v23, v97
	v_fma_f32 v5, v22, v98, -v5
	v_add_f32_e32 v4, v4, v5
	v_mul_f32_e32 v5, v25, v99
	v_fma_f32 v5, v24, v100, -v5
	v_add_f32_e32 v4, v4, v5
	v_mul_f32_e32 v5, v27, v101
	v_fma_f32 v5, v26, v102, -v5
	v_add_f32_e32 v4, v4, v5
	v_mul_f32_e32 v5, v29, v103
	v_fma_f32 v5, v28, v104, -v5
	v_add_f32_e32 v4, v4, v5
	v_mul_f32_e32 v5, v31, v105
	v_fma_f32 v5, v30, v106, -v5
	v_add_f32_e32 v4, v4, v5
	v_mul_f32_e32 v5, v33, v107
	v_fma_f32 v5, v32, v108, -v5
	v_add_f32_e32 v4, v4, v5
	v_mul_f32_e32 v5, v35, v110
	v_fma_f32 v5, v34, v109, -v5
	v_add_f32_e32 v4, v4, v5
	v_mul_f32_e32 v5, v37, v192
	v_fma_f32 v5, v36, v111, -v5
	v_add_f32_e32 v4, v4, v5
	v_mul_f32_e32 v5, v39, v194
	v_fma_f32 v5, v38, v193, -v5
	v_add_f32_e32 v4, v4, v5
	v_mul_f32_e32 v5, v41, v196
	v_fma_f32 v5, v40, v195, -v5
	v_add_f32_e32 v4, v4, v5
	v_mul_f32_e32 v5, v43, v198
	v_fma_f32 v5, v42, v197, -v5
	v_add_f32_e32 v4, v4, v5
	v_mul_f32_e32 v5, v45, v200
	v_fma_f32 v5, v44, v199, -v5
	v_add_f32_e32 v4, v4, v5
	v_mul_f32_e32 v5, v47, v202
	v_fma_f32 v5, v46, v201, -v5
	v_add_f32_e32 v4, v4, v5
	v_mul_f32_e32 v5, v49, v204
	v_fma_f32 v5, v48, v203, -v5
	v_add_f32_e32 v4, v4, v5
	v_mul_f32_e32 v5, v51, v206
	v_fma_f32 v5, v50, v205, -v5
	v_add_f32_e32 v4, v4, v5
	s_waitcnt vmcnt(20) lgkmcnt(1)
	v_mul_f32_e32 v5, v53, v208
	v_mul_f32_e32 v63, v52, v208
	v_fma_f32 v5, v52, v207, -v5
	v_fmac_f32_e32 v63, v53, v207
	v_add_f32_e32 v60, v4, v5
	s_waitcnt vmcnt(18)
	v_mul_f32_e32 v4, v55, v210
	s_waitcnt vmcnt(9)
	v_mov_b32_e32 v20, v73
	v_add_f32_e32 v61, v61, v63
	v_mul_f32_e32 v63, v54, v210
	v_fma_f32 v62, v54, v209, -v4
	s_waitcnt lgkmcnt(0)
	v_mul_f32_e32 v4, v57, v212
	v_pk_mul_f32 v[20:21], v[58:59], v[20:21] op_sel_hi:[1,0]
	v_fmac_f32_e32 v63, v55, v209
	v_mul_f32_e32 v65, v56, v212
	v_fma_f32 v64, v56, v211, -v4
	ds_read_b128 v[4:7], v1 offset:800
	ds_read_b128 v[8:11], v1 offset:816
	;; [unrolled: 1-line block ×3, first 2 shown]
	ds_read_b64 v[16:17], v1 offset:848
	s_waitcnt vmcnt(8)
	v_pk_fma_f32 v[22:23], v[58:59], v[72:73], v[20:21] op_sel:[0,0,1] op_sel_hi:[1,1,0] neg_lo:[0,0,1] neg_hi:[0,0,1]
	v_pk_fma_f32 v[20:21], v[58:59], v[72:73], v[20:21] op_sel:[0,0,1] op_sel_hi:[1,0,0]
	v_fmac_f32_e32 v65, v57, v211
	v_pk_add_f32 v[18:19], v[60:61], v[62:63]
	v_mov_b32_e32 v20, v71
	v_pk_add_f32 v[18:19], v[18:19], v[64:65]
	v_mov_b32_e32 v23, v21
	s_waitcnt lgkmcnt(3)
	v_pk_mul_f32 v[20:21], v[4:5], v[20:21] op_sel_hi:[1,0]
	v_pk_add_f32 v[18:19], v[18:19], v[22:23]
	v_pk_fma_f32 v[22:23], v[4:5], v[70:71], v[20:21] op_sel:[0,0,1] op_sel_hi:[1,1,0] neg_lo:[0,0,1] neg_hi:[0,0,1]
	v_pk_fma_f32 v[4:5], v[4:5], v[70:71], v[20:21] op_sel:[0,0,1] op_sel_hi:[1,0,0]
	v_mov_b32_e32 v23, v5
	v_pk_add_f32 v[4:5], v[18:19], v[22:23]
	v_mov_b32_e32 v18, v69
	v_pk_mul_f32 v[18:19], v[6:7], v[18:19] op_sel_hi:[1,0]
	v_pk_fma_f32 v[20:21], v[6:7], v[68:69], v[18:19] op_sel:[0,0,1] op_sel_hi:[1,1,0] neg_lo:[0,0,1] neg_hi:[0,0,1]
	v_pk_fma_f32 v[6:7], v[6:7], v[68:69], v[18:19] op_sel:[0,0,1] op_sel_hi:[1,0,0]
	v_mov_b32_e32 v6, v67
	v_mov_b32_e32 v21, v7
	s_waitcnt lgkmcnt(2)
	v_pk_mul_f32 v[6:7], v[8:9], v[6:7] op_sel_hi:[1,0]
	v_pk_fma_f32 v[18:19], v[8:9], v[66:67], v[6:7] op_sel:[0,0,1] op_sel_hi:[1,1,0] neg_lo:[0,0,1] neg_hi:[0,0,1]
	v_pk_fma_f32 v[6:7], v[8:9], v[66:67], v[6:7] op_sel:[0,0,1] op_sel_hi:[1,0,0]
	s_waitcnt vmcnt(1)
	v_mov_b32_e32 v6, v81
	v_mov_b32_e32 v19, v7
	v_pk_mul_f32 v[6:7], v[10:11], v[6:7] op_sel_hi:[1,0]
	s_waitcnt vmcnt(0)
	v_pk_fma_f32 v[8:9], v[10:11], v[80:81], v[6:7] op_sel:[0,0,1] op_sel_hi:[1,1,0] neg_lo:[0,0,1] neg_hi:[0,0,1]
	v_pk_fma_f32 v[6:7], v[10:11], v[80:81], v[6:7] op_sel:[0,0,1] op_sel_hi:[1,0,0]
	v_pk_add_f32 v[4:5], v[4:5], v[20:21]
	v_mov_b32_e32 v6, v79
	v_pk_add_f32 v[4:5], v[4:5], v[18:19]
	v_mov_b32_e32 v9, v7
	s_waitcnt lgkmcnt(1)
	v_pk_mul_f32 v[6:7], v[12:13], v[6:7] op_sel_hi:[1,0]
	v_pk_add_f32 v[4:5], v[4:5], v[8:9]
	v_pk_fma_f32 v[8:9], v[12:13], v[78:79], v[6:7] op_sel:[0,0,1] op_sel_hi:[1,1,0] neg_lo:[0,0,1] neg_hi:[0,0,1]
	v_pk_fma_f32 v[6:7], v[12:13], v[78:79], v[6:7] op_sel:[0,0,1] op_sel_hi:[1,0,0]
	v_mov_b32_e32 v6, v77
	v_mov_b32_e32 v9, v7
	v_pk_mul_f32 v[6:7], v[14:15], v[6:7] op_sel_hi:[1,0]
	v_pk_add_f32 v[4:5], v[4:5], v[8:9]
	v_pk_fma_f32 v[8:9], v[14:15], v[76:77], v[6:7] op_sel:[0,0,1] op_sel_hi:[1,1,0] neg_lo:[0,0,1] neg_hi:[0,0,1]
	v_pk_fma_f32 v[6:7], v[14:15], v[76:77], v[6:7] op_sel:[0,0,1] op_sel_hi:[1,0,0]
	v_mov_b32_e32 v6, v75
	v_mov_b32_e32 v9, v7
	s_waitcnt lgkmcnt(0)
	v_pk_mul_f32 v[6:7], v[16:17], v[6:7] op_sel_hi:[1,0]
	v_pk_add_f32 v[4:5], v[4:5], v[8:9]
	v_pk_fma_f32 v[8:9], v[16:17], v[74:75], v[6:7] op_sel:[0,0,1] op_sel_hi:[1,1,0] neg_lo:[0,0,1] neg_hi:[0,0,1]
	v_pk_fma_f32 v[6:7], v[16:17], v[74:75], v[6:7] op_sel:[0,0,1] op_sel_hi:[1,0,0]
	v_mov_b32_e32 v9, v7
	v_pk_add_f32 v[4:5], v[4:5], v[8:9]
	v_pk_add_f32 v[2:3], v[2:3], v[4:5] neg_lo:[0,1] neg_hi:[0,1]
	buffer_store_dword v3, off, s[0:3], 0 offset:140
	buffer_store_dword v2, off, s[0:3], 0 offset:136
	s_and_saveexec_b64 s[4:5], vcc
	s_cbranch_execz .LBB116_299
; %bb.298:
	buffer_load_dword v2, off, s[0:3], 0 offset:128
	buffer_load_dword v3, off, s[0:3], 0 offset:132
	v_accvgpr_read_b32 v4, a48
	buffer_store_dword v1, off, s[0:3], 0 offset:128
	buffer_store_dword v1, off, s[0:3], 0 offset:132
	s_waitcnt vmcnt(2)
	ds_write_b64 v4, v[2:3]
.LBB116_299:
	s_or_b64 exec, exec, s[4:5]
	s_waitcnt lgkmcnt(0)
	; wave barrier
	s_waitcnt lgkmcnt(0)
	buffer_load_dword v60, off, s[0:3], 0 offset:140
	buffer_load_dword v62, off, s[0:3], 0 offset:148
	;; [unrolled: 1-line block ×36, first 2 shown]
	ds_read2_b64 v[4:7], v1 offset0:71 offset1:72
	ds_read2_b64 v[8:11], v1 offset0:73 offset1:74
	buffer_load_dword v193, off, s[0:3], 0 offset:272
	buffer_load_dword v194, off, s[0:3], 0 offset:276
	;; [unrolled: 1-line block ×4, first 2 shown]
	ds_read2_b64 v[12:15], v1 offset0:75 offset1:76
	ds_read2_b64 v[16:19], v1 offset0:77 offset1:78
	buffer_load_dword v197, off, s[0:3], 0 offset:288
	buffer_load_dword v198, off, s[0:3], 0 offset:292
	ds_read2_b64 v[20:23], v1 offset0:79 offset1:80
	ds_read2_b64 v[24:27], v1 offset0:81 offset1:82
	buffer_load_dword v199, off, s[0:3], 0 offset:296
	buffer_load_dword v200, off, s[0:3], 0 offset:300
	;; [unrolled: 1-line block ×16, first 2 shown]
	v_cmp_lt_u32_e32 vcc, 15, v0
	s_waitcnt vmcnt(57) lgkmcnt(5)
	v_mul_f32_e32 v28, v4, v60
	s_waitcnt vmcnt(56)
	v_mul_f32_e32 v29, v6, v62
	s_waitcnt vmcnt(55) lgkmcnt(4)
	v_mul_f32_e32 v30, v8, v70
	s_waitcnt vmcnt(54)
	v_mul_f32_e32 v31, v10, v82
	;; [unrolled: 4-line block ×4, first 2 shown]
	s_waitcnt vmcnt(49)
	v_fmac_f32_e32 v28, v5, v87
	s_waitcnt vmcnt(48)
	v_fmac_f32_e32 v29, v7, v88
	v_add_f32_e32 v28, 0, v28
	s_waitcnt vmcnt(47)
	v_fmac_f32_e32 v30, v9, v89
	v_add_f32_e32 v28, v28, v29
	;; [unrolled: 3-line block ×7, first 2 shown]
	s_waitcnt vmcnt(41) lgkmcnt(1)
	v_mul_f32_e32 v29, v20, v95
	v_add_f32_e32 v28, v28, v35
	s_waitcnt vmcnt(40)
	v_fmac_f32_e32 v29, v21, v96
	v_add_f32_e32 v28, v28, v29
	s_waitcnt vmcnt(39)
	v_mul_f32_e32 v29, v22, v97
	s_waitcnt vmcnt(38)
	v_fmac_f32_e32 v29, v23, v98
	v_add_f32_e32 v28, v28, v29
	s_waitcnt vmcnt(37) lgkmcnt(0)
	v_mul_f32_e32 v29, v24, v99
	s_waitcnt vmcnt(36)
	v_fmac_f32_e32 v29, v25, v100
	v_add_f32_e32 v32, v28, v29
	ds_read2_b64 v[28:31], v1 offset0:83 offset1:84
	s_waitcnt vmcnt(35)
	v_mul_f32_e32 v33, v26, v101
	s_waitcnt vmcnt(34)
	v_fmac_f32_e32 v33, v27, v102
	v_add_f32_e32 v36, v32, v33
	ds_read2_b64 v[32:35], v1 offset0:85 offset1:86
	s_waitcnt vmcnt(33) lgkmcnt(1)
	v_mul_f32_e32 v37, v28, v103
	s_waitcnt vmcnt(32)
	v_fmac_f32_e32 v37, v29, v104
	v_add_f32_e32 v36, v36, v37
	s_waitcnt vmcnt(31)
	v_mul_f32_e32 v37, v30, v105
	s_waitcnt vmcnt(30)
	v_fmac_f32_e32 v37, v31, v106
	v_add_f32_e32 v36, v36, v37
	s_waitcnt vmcnt(29) lgkmcnt(0)
	v_mul_f32_e32 v37, v32, v107
	s_waitcnt vmcnt(28)
	v_fmac_f32_e32 v37, v33, v108
	v_add_f32_e32 v40, v36, v37
	ds_read2_b64 v[36:39], v1 offset0:87 offset1:88
	s_waitcnt vmcnt(25)
	v_mul_f32_e32 v41, v34, v109
	s_waitcnt vmcnt(24)
	v_fmac_f32_e32 v41, v35, v110
	v_add_f32_e32 v44, v40, v41
	ds_read2_b64 v[40:43], v1 offset0:89 offset1:90
	s_waitcnt vmcnt(22) lgkmcnt(1)
	v_mul_f32_e32 v45, v36, v192
	v_fmac_f32_e32 v45, v37, v111
	v_add_f32_e32 v44, v44, v45
	s_waitcnt vmcnt(20)
	v_mul_f32_e32 v45, v38, v194
	v_fmac_f32_e32 v45, v39, v193
	v_add_f32_e32 v44, v44, v45
	s_waitcnt vmcnt(18) lgkmcnt(0)
	v_mul_f32_e32 v45, v40, v196
	v_fmac_f32_e32 v45, v41, v195
	v_add_f32_e32 v48, v44, v45
	ds_read2_b64 v[44:47], v1 offset0:91 offset1:92
	s_waitcnt vmcnt(16)
	v_mul_f32_e32 v49, v42, v198
	v_fmac_f32_e32 v49, v43, v197
	v_add_f32_e32 v52, v48, v49
	ds_read2_b64 v[48:51], v1 offset0:93 offset1:94
	s_waitcnt vmcnt(14) lgkmcnt(1)
	v_mul_f32_e32 v53, v44, v200
	v_fmac_f32_e32 v53, v45, v199
	v_add_f32_e32 v52, v52, v53
	s_waitcnt vmcnt(12)
	v_mul_f32_e32 v53, v46, v202
	v_fmac_f32_e32 v53, v47, v201
	v_add_f32_e32 v52, v52, v53
	s_waitcnt vmcnt(10) lgkmcnt(0)
	v_mul_f32_e32 v53, v48, v204
	v_fmac_f32_e32 v53, v49, v203
	s_waitcnt vmcnt(8)
	v_mul_f32_e32 v57, v50, v206
	v_add_f32_e32 v56, v52, v53
	v_fmac_f32_e32 v57, v51, v205
	ds_read2_b64 v[52:55], v1 offset0:95 offset1:96
	v_add_f32_e32 v61, v56, v57
	ds_read2_b64 v[56:59], v1 offset0:97 offset1:98
	buffer_load_dword v65, off, s[0:3], 0 offset:380
	buffer_load_dword v64, off, s[0:3], 0 offset:376
	buffer_load_dword v67, off, s[0:3], 0 offset:372
	buffer_load_dword v66, off, s[0:3], 0 offset:368
	buffer_load_dword v69, off, s[0:3], 0 offset:364
	buffer_load_dword v68, off, s[0:3], 0 offset:360
	buffer_load_dword v73, off, s[0:3], 0 offset:412
	buffer_load_dword v72, off, s[0:3], 0 offset:408
	buffer_load_dword v75, off, s[0:3], 0 offset:404
	buffer_load_dword v74, off, s[0:3], 0 offset:400
	buffer_load_dword v77, off, s[0:3], 0 offset:396
	buffer_load_dword v76, off, s[0:3], 0 offset:392
	buffer_load_dword v79, off, s[0:3], 0 offset:388
	buffer_load_dword v78, off, s[0:3], 0 offset:384
	buffer_load_dword v81, off, s[0:3], 0 offset:420
	buffer_load_dword v80, off, s[0:3], 0 offset:416
	v_mul_f32_e32 v5, v5, v60
	v_fma_f32 v4, v4, v87, -v5
	v_mul_f32_e32 v5, v7, v62
	v_add_f32_e32 v4, 0, v4
	v_fma_f32 v5, v6, v88, -v5
	v_add_f32_e32 v4, v4, v5
	v_mul_f32_e32 v5, v9, v70
	v_fma_f32 v5, v8, v89, -v5
	v_add_f32_e32 v4, v4, v5
	v_mul_f32_e32 v5, v11, v82
	;; [unrolled: 3-line block ×22, first 2 shown]
	v_fma_f32 v5, v50, v205, -v5
	v_add_f32_e32 v4, v4, v5
	s_waitcnt vmcnt(22) lgkmcnt(1)
	v_mul_f32_e32 v5, v53, v208
	v_fma_f32 v5, v52, v207, -v5
	v_add_f32_e32 v4, v4, v5
	s_waitcnt vmcnt(20)
	v_mul_f32_e32 v5, v55, v210
	v_mul_f32_e32 v63, v52, v208
	v_fma_f32 v5, v54, v209, -v5
	v_fmac_f32_e32 v63, v53, v207
	v_add_f32_e32 v60, v4, v5
	s_waitcnt vmcnt(18) lgkmcnt(0)
	v_mul_f32_e32 v4, v57, v212
	v_add_f32_e32 v61, v61, v63
	v_mul_f32_e32 v63, v54, v210
	v_fma_f32 v62, v56, v211, -v4
	s_waitcnt vmcnt(16)
	v_mul_f32_e32 v4, v59, v214
	v_fmac_f32_e32 v63, v55, v209
	v_fma_f32 v70, v58, v213, -v4
	ds_read2_b64 v[4:7], v1 offset0:99 offset1:100
	ds_read2_b64 v[8:11], v1 offset0:101 offset1:102
	;; [unrolled: 1-line block ×4, first 2 shown]
	v_add_f32_e32 v61, v61, v63
	v_mul_f32_e32 v63, v56, v212
	s_waitcnt vmcnt(11)
	v_mov_b32_e32 v22, v69
	v_fmac_f32_e32 v63, v57, v211
	v_mul_f32_e32 v71, v58, v214
	s_waitcnt lgkmcnt(3)
	v_pk_mul_f32 v[22:23], v[4:5], v[22:23] op_sel_hi:[1,0]
	v_fmac_f32_e32 v71, v59, v213
	v_pk_add_f32 v[20:21], v[60:61], v[62:63]
	s_waitcnt vmcnt(10)
	v_pk_fma_f32 v[24:25], v[4:5], v[68:69], v[22:23] op_sel:[0,0,1] op_sel_hi:[1,1,0] neg_lo:[0,0,1] neg_hi:[0,0,1]
	v_pk_fma_f32 v[4:5], v[4:5], v[68:69], v[22:23] op_sel:[0,0,1] op_sel_hi:[1,0,0]
	v_pk_add_f32 v[20:21], v[20:21], v[70:71]
	v_mov_b32_e32 v25, v5
	v_pk_add_f32 v[4:5], v[20:21], v[24:25]
	v_mov_b32_e32 v20, v67
	v_pk_mul_f32 v[20:21], v[6:7], v[20:21] op_sel_hi:[1,0]
	v_pk_fma_f32 v[22:23], v[6:7], v[66:67], v[20:21] op_sel:[0,0,1] op_sel_hi:[1,1,0] neg_lo:[0,0,1] neg_hi:[0,0,1]
	v_pk_fma_f32 v[6:7], v[6:7], v[66:67], v[20:21] op_sel:[0,0,1] op_sel_hi:[1,0,0]
	v_mov_b32_e32 v6, v65
	v_mov_b32_e32 v23, v7
	s_waitcnt lgkmcnt(2)
	v_pk_mul_f32 v[6:7], v[8:9], v[6:7] op_sel_hi:[1,0]
	v_pk_fma_f32 v[20:21], v[8:9], v[64:65], v[6:7] op_sel:[0,0,1] op_sel_hi:[1,1,0] neg_lo:[0,0,1] neg_hi:[0,0,1]
	v_pk_fma_f32 v[6:7], v[8:9], v[64:65], v[6:7] op_sel:[0,0,1] op_sel_hi:[1,0,0]
	s_waitcnt vmcnt(3)
	v_mov_b32_e32 v6, v79
	v_mov_b32_e32 v21, v7
	v_pk_mul_f32 v[6:7], v[10:11], v[6:7] op_sel_hi:[1,0]
	s_waitcnt vmcnt(2)
	v_pk_fma_f32 v[8:9], v[10:11], v[78:79], v[6:7] op_sel:[0,0,1] op_sel_hi:[1,1,0] neg_lo:[0,0,1] neg_hi:[0,0,1]
	v_pk_fma_f32 v[6:7], v[10:11], v[78:79], v[6:7] op_sel:[0,0,1] op_sel_hi:[1,0,0]
	v_pk_add_f32 v[4:5], v[4:5], v[22:23]
	v_mov_b32_e32 v6, v77
	v_pk_add_f32 v[4:5], v[4:5], v[20:21]
	v_mov_b32_e32 v9, v7
	s_waitcnt lgkmcnt(1)
	v_pk_mul_f32 v[6:7], v[12:13], v[6:7] op_sel_hi:[1,0]
	v_pk_add_f32 v[4:5], v[4:5], v[8:9]
	v_pk_fma_f32 v[8:9], v[12:13], v[76:77], v[6:7] op_sel:[0,0,1] op_sel_hi:[1,1,0] neg_lo:[0,0,1] neg_hi:[0,0,1]
	v_pk_fma_f32 v[6:7], v[12:13], v[76:77], v[6:7] op_sel:[0,0,1] op_sel_hi:[1,0,0]
	v_mov_b32_e32 v6, v75
	v_mov_b32_e32 v9, v7
	v_pk_mul_f32 v[6:7], v[14:15], v[6:7] op_sel_hi:[1,0]
	v_pk_add_f32 v[4:5], v[4:5], v[8:9]
	v_pk_fma_f32 v[8:9], v[14:15], v[74:75], v[6:7] op_sel:[0,0,1] op_sel_hi:[1,1,0] neg_lo:[0,0,1] neg_hi:[0,0,1]
	v_pk_fma_f32 v[6:7], v[14:15], v[74:75], v[6:7] op_sel:[0,0,1] op_sel_hi:[1,0,0]
	v_mov_b32_e32 v6, v73
	v_mov_b32_e32 v9, v7
	s_waitcnt lgkmcnt(0)
	v_pk_mul_f32 v[6:7], v[16:17], v[6:7] op_sel_hi:[1,0]
	v_pk_add_f32 v[4:5], v[4:5], v[8:9]
	v_pk_fma_f32 v[8:9], v[16:17], v[72:73], v[6:7] op_sel:[0,0,1] op_sel_hi:[1,1,0] neg_lo:[0,0,1] neg_hi:[0,0,1]
	v_pk_fma_f32 v[6:7], v[16:17], v[72:73], v[6:7] op_sel:[0,0,1] op_sel_hi:[1,0,0]
	s_waitcnt vmcnt(1)
	v_mov_b32_e32 v6, v81
	v_mov_b32_e32 v9, v7
	v_pk_mul_f32 v[6:7], v[18:19], v[6:7] op_sel_hi:[1,0]
	v_pk_add_f32 v[4:5], v[4:5], v[8:9]
	s_waitcnt vmcnt(0)
	v_pk_fma_f32 v[8:9], v[18:19], v[80:81], v[6:7] op_sel:[0,0,1] op_sel_hi:[1,1,0] neg_lo:[0,0,1] neg_hi:[0,0,1]
	v_pk_fma_f32 v[6:7], v[18:19], v[80:81], v[6:7] op_sel:[0,0,1] op_sel_hi:[1,0,0]
	v_mov_b32_e32 v9, v7
	v_pk_add_f32 v[4:5], v[4:5], v[8:9]
	v_pk_add_f32 v[2:3], v[2:3], v[4:5] neg_lo:[0,1] neg_hi:[0,1]
	buffer_store_dword v3, off, s[0:3], 0 offset:132
	buffer_store_dword v2, off, s[0:3], 0 offset:128
	s_and_saveexec_b64 s[4:5], vcc
	s_cbranch_execz .LBB116_301
; %bb.300:
	buffer_load_dword v2, off, s[0:3], 0 offset:120
	buffer_load_dword v3, off, s[0:3], 0 offset:124
	v_mov_b32_e32 v1, 0
	v_accvgpr_read_b32 v4, a48
	buffer_store_dword v1, off, s[0:3], 0 offset:120
	buffer_store_dword v1, off, s[0:3], 0 offset:124
	s_waitcnt vmcnt(2)
	ds_write_b64 v4, v[2:3]
.LBB116_301:
	s_or_b64 exec, exec, s[4:5]
	s_waitcnt lgkmcnt(0)
	; wave barrier
	s_waitcnt lgkmcnt(0)
	buffer_load_dword v1, off, s[0:3], 0 offset:132
	buffer_load_dword v17, off, s[0:3], 0 offset:140
	;; [unrolled: 1-line block ×56, first 2 shown]
	v_mov_b32_e32 v16, 0
	ds_read_b128 v[2:5], v16 offset:560
	buffer_load_dword v221, off, s[0:3], 0 offset:344
	buffer_load_dword v222, off, s[0:3], 0 offset:348
	buffer_load_dword v223, off, s[0:3], 0 offset:352
	buffer_load_dword v224, off, s[0:3], 0 offset:356
	ds_read_b128 v[8:11], v16 offset:576
	ds_read_b128 v[12:15], v16 offset:592
	ds_read_b128 v[18:21], v16 offset:608
	v_cmp_lt_u32_e32 vcc, 14, v0
	s_waitcnt vmcnt(59) lgkmcnt(3)
	v_mul_f32_e32 v22, v2, v1
	s_waitcnt vmcnt(58)
	v_mul_f32_e32 v23, v4, v17
	s_waitcnt vmcnt(57) lgkmcnt(2)
	v_mul_f32_e32 v24, v8, v70
	s_waitcnt vmcnt(56)
	v_mul_f32_e32 v25, v10, v76
	;; [unrolled: 4-line block ×3, first 2 shown]
	s_waitcnt vmcnt(53) lgkmcnt(0)
	v_mul_f32_e32 v28, v18, v93
	s_waitcnt vmcnt(52)
	v_fmac_f32_e32 v22, v3, v94
	s_waitcnt vmcnt(51)
	v_fmac_f32_e32 v23, v5, v95
	v_add_f32_e32 v22, 0, v22
	s_waitcnt vmcnt(50)
	v_fmac_f32_e32 v24, v9, v96
	v_add_f32_e32 v22, v22, v23
	;; [unrolled: 3-line block ×6, first 2 shown]
	v_add_f32_e32 v26, v22, v28
	ds_read_b128 v[22:25], v16 offset:624
	s_waitcnt vmcnt(45)
	v_mul_f32_e32 v27, v20, v101
	s_waitcnt vmcnt(44)
	v_fmac_f32_e32 v27, v21, v102
	v_add_f32_e32 v30, v26, v27
	ds_read_b128 v[26:29], v16 offset:640
	s_waitcnt vmcnt(43) lgkmcnt(1)
	v_mul_f32_e32 v31, v22, v103
	s_waitcnt vmcnt(42)
	v_fmac_f32_e32 v31, v23, v104
	v_add_f32_e32 v30, v30, v31
	s_waitcnt vmcnt(41)
	v_mul_f32_e32 v31, v24, v105
	s_waitcnt vmcnt(40)
	v_fmac_f32_e32 v31, v25, v106
	v_add_f32_e32 v30, v30, v31
	s_waitcnt vmcnt(39) lgkmcnt(0)
	v_mul_f32_e32 v31, v26, v107
	s_waitcnt vmcnt(38)
	v_fmac_f32_e32 v31, v27, v108
	v_add_f32_e32 v34, v30, v31
	ds_read_b128 v[30:33], v16 offset:656
	s_waitcnt vmcnt(37)
	v_mul_f32_e32 v35, v28, v109
	s_waitcnt vmcnt(36)
	v_fmac_f32_e32 v35, v29, v110
	v_add_f32_e32 v38, v34, v35
	ds_read_b128 v[34:37], v16 offset:672
	s_waitcnt vmcnt(34) lgkmcnt(1)
	v_mul_f32_e32 v39, v30, v192
	v_fmac_f32_e32 v39, v31, v111
	v_add_f32_e32 v38, v38, v39
	s_waitcnt vmcnt(31)
	v_mul_f32_e32 v39, v32, v193
	s_waitcnt vmcnt(30)
	v_fmac_f32_e32 v39, v33, v194
	v_add_f32_e32 v38, v38, v39
	s_waitcnt vmcnt(28) lgkmcnt(0)
	v_mul_f32_e32 v39, v34, v196
	v_fmac_f32_e32 v39, v35, v195
	v_add_f32_e32 v42, v38, v39
	ds_read_b128 v[38:41], v16 offset:688
	s_waitcnt vmcnt(26)
	v_mul_f32_e32 v43, v36, v198
	v_fmac_f32_e32 v43, v37, v197
	v_add_f32_e32 v46, v42, v43
	ds_read_b128 v[42:45], v16 offset:704
	s_waitcnt vmcnt(24) lgkmcnt(1)
	v_mul_f32_e32 v47, v38, v200
	v_fmac_f32_e32 v47, v39, v199
	v_add_f32_e32 v46, v46, v47
	s_waitcnt vmcnt(22)
	v_mul_f32_e32 v47, v40, v202
	v_fmac_f32_e32 v47, v41, v201
	v_add_f32_e32 v46, v46, v47
	s_waitcnt vmcnt(20) lgkmcnt(0)
	v_mul_f32_e32 v47, v42, v204
	v_fmac_f32_e32 v47, v43, v203
	v_add_f32_e32 v50, v46, v47
	ds_read_b128 v[46:49], v16 offset:720
	s_waitcnt vmcnt(18)
	v_mul_f32_e32 v51, v44, v206
	v_fmac_f32_e32 v51, v45, v205
	v_add_f32_e32 v54, v50, v51
	ds_read_b128 v[50:53], v16 offset:736
	s_waitcnt vmcnt(16) lgkmcnt(1)
	v_mul_f32_e32 v55, v46, v208
	v_fmac_f32_e32 v55, v47, v207
	v_add_f32_e32 v54, v54, v55
	s_waitcnt vmcnt(14)
	v_mul_f32_e32 v55, v48, v210
	;; [unrolled: 18-line block ×3, first 2 shown]
	v_fmac_f32_e32 v63, v57, v217
	v_add_f32_e32 v62, v62, v63
	s_waitcnt vmcnt(4) lgkmcnt(0)
	v_mul_f32_e32 v63, v58, v220
	v_fmac_f32_e32 v63, v59, v219
	v_add_f32_e32 v71, v62, v63
	ds_read_b128 v[62:65], v16 offset:784
	buffer_load_dword v73, off, s[0:3], 0 offset:372
	buffer_load_dword v72, off, s[0:3], 0 offset:368
	;; [unrolled: 1-line block ×4, first 2 shown]
	ds_read_b128 v[66:69], v16 offset:800
	buffer_load_dword v81, off, s[0:3], 0 offset:404
	buffer_load_dword v80, off, s[0:3], 0 offset:400
	;; [unrolled: 1-line block ×12, first 2 shown]
	v_mul_f32_e32 v1, v3, v1
	v_fma_f32 v1, v2, v94, -v1
	v_mul_f32_e32 v2, v5, v17
	v_add_f32_e32 v1, 0, v1
	v_fma_f32 v2, v4, v95, -v2
	v_add_f32_e32 v1, v1, v2
	v_mul_f32_e32 v2, v9, v70
	v_fma_f32 v2, v8, v96, -v2
	v_add_f32_e32 v1, v1, v2
	v_mul_f32_e32 v2, v11, v76
	;; [unrolled: 3-line block ×25, first 2 shown]
	v_fma_f32 v2, v58, v219, -v2
	s_waitcnt vmcnt(13)
	v_mov_b32_e32 v18, v75
	v_mul_f32_e32 v77, v60, v222
	v_add_f32_e32 v70, v1, v2
	v_mul_f32_e32 v1, v61, v222
	s_waitcnt lgkmcnt(1)
	v_pk_mul_f32 v[18:19], v[64:65], v[18:19] op_sel_hi:[1,0]
	v_fmac_f32_e32 v77, v61, v221
	v_mul_f32_e32 v79, v62, v224
	v_fma_f32 v76, v60, v221, -v1
	v_mul_f32_e32 v1, v63, v224
	s_waitcnt vmcnt(12)
	v_pk_fma_f32 v[20:21], v[64:65], v[74:75], v[18:19] op_sel:[0,0,1] op_sel_hi:[1,1,0] neg_lo:[0,0,1] neg_hi:[0,0,1]
	v_pk_fma_f32 v[18:19], v[64:65], v[74:75], v[18:19] op_sel:[0,0,1] op_sel_hi:[1,0,0]
	v_fmac_f32_e32 v79, v63, v223
	v_fma_f32 v78, v62, v223, -v1
	v_pk_add_f32 v[14:15], v[70:71], v[76:77]
	v_mov_b32_e32 v18, v73
	v_pk_add_f32 v[14:15], v[14:15], v[78:79]
	v_mov_b32_e32 v21, v19
	s_waitcnt lgkmcnt(0)
	v_pk_mul_f32 v[18:19], v[66:67], v[18:19] op_sel_hi:[1,0]
	v_pk_add_f32 v[14:15], v[14:15], v[20:21]
	v_pk_fma_f32 v[20:21], v[66:67], v[72:73], v[18:19] op_sel:[0,0,1] op_sel_hi:[1,1,0] neg_lo:[0,0,1] neg_hi:[0,0,1]
	v_pk_fma_f32 v[18:19], v[66:67], v[72:73], v[18:19] op_sel:[0,0,1] op_sel_hi:[1,0,0]
	s_waitcnt vmcnt(5)
	v_mov_b32_e32 v18, v87
	ds_read_b128 v[2:5], v16 offset:816
	ds_read_b128 v[8:11], v16 offset:832
	ds_read_b64 v[12:13], v16 offset:848
	v_mov_b32_e32 v21, v19
	v_pk_mul_f32 v[18:19], v[68:69], v[18:19] op_sel_hi:[1,0]
	v_pk_add_f32 v[14:15], v[14:15], v[20:21]
	s_waitcnt vmcnt(4)
	v_pk_fma_f32 v[20:21], v[68:69], v[86:87], v[18:19] op_sel:[0,0,1] op_sel_hi:[1,1,0] neg_lo:[0,0,1] neg_hi:[0,0,1]
	v_pk_fma_f32 v[18:19], v[68:69], v[86:87], v[18:19] op_sel:[0,0,1] op_sel_hi:[1,0,0]
	v_mov_b32_e32 v18, v85
	v_mov_b32_e32 v21, v19
	s_waitcnt lgkmcnt(2)
	v_pk_mul_f32 v[18:19], v[2:3], v[18:19] op_sel_hi:[1,0]
	v_pk_add_f32 v[14:15], v[14:15], v[20:21]
	v_pk_fma_f32 v[20:21], v[2:3], v[84:85], v[18:19] op_sel:[0,0,1] op_sel_hi:[1,1,0] neg_lo:[0,0,1] neg_hi:[0,0,1]
	v_pk_fma_f32 v[2:3], v[2:3], v[84:85], v[18:19] op_sel:[0,0,1] op_sel_hi:[1,0,0]
	v_mov_b32_e32 v21, v3
	v_pk_add_f32 v[2:3], v[14:15], v[20:21]
	v_mov_b32_e32 v14, v83
	v_pk_mul_f32 v[14:15], v[4:5], v[14:15] op_sel_hi:[1,0]
	v_pk_fma_f32 v[18:19], v[4:5], v[82:83], v[14:15] op_sel:[0,0,1] op_sel_hi:[1,1,0] neg_lo:[0,0,1] neg_hi:[0,0,1]
	v_pk_fma_f32 v[4:5], v[4:5], v[82:83], v[14:15] op_sel:[0,0,1] op_sel_hi:[1,0,0]
	v_mov_b32_e32 v4, v81
	v_mov_b32_e32 v19, v5
	s_waitcnt lgkmcnt(1)
	v_pk_mul_f32 v[4:5], v[8:9], v[4:5] op_sel_hi:[1,0]
	v_pk_fma_f32 v[14:15], v[8:9], v[80:81], v[4:5] op_sel:[0,0,1] op_sel_hi:[1,1,0] neg_lo:[0,0,1] neg_hi:[0,0,1]
	v_pk_fma_f32 v[4:5], v[8:9], v[80:81], v[4:5] op_sel:[0,0,1] op_sel_hi:[1,0,0]
	s_waitcnt vmcnt(1)
	v_mov_b32_e32 v4, v91
	v_mov_b32_e32 v15, v5
	v_pk_mul_f32 v[4:5], v[10:11], v[4:5] op_sel_hi:[1,0]
	s_waitcnt vmcnt(0)
	v_pk_fma_f32 v[8:9], v[10:11], v[90:91], v[4:5] op_sel:[0,0,1] op_sel_hi:[1,1,0] neg_lo:[0,0,1] neg_hi:[0,0,1]
	v_pk_fma_f32 v[4:5], v[10:11], v[90:91], v[4:5] op_sel:[0,0,1] op_sel_hi:[1,0,0]
	v_pk_add_f32 v[2:3], v[2:3], v[18:19]
	v_mov_b32_e32 v4, v89
	v_pk_add_f32 v[2:3], v[2:3], v[14:15]
	v_mov_b32_e32 v9, v5
	s_waitcnt lgkmcnt(0)
	v_pk_mul_f32 v[4:5], v[12:13], v[4:5] op_sel_hi:[1,0]
	v_pk_add_f32 v[2:3], v[2:3], v[8:9]
	v_pk_fma_f32 v[8:9], v[12:13], v[88:89], v[4:5] op_sel:[0,0,1] op_sel_hi:[1,1,0] neg_lo:[0,0,1] neg_hi:[0,0,1]
	v_pk_fma_f32 v[4:5], v[12:13], v[88:89], v[4:5] op_sel:[0,0,1] op_sel_hi:[1,0,0]
	v_mov_b32_e32 v9, v5
	v_pk_add_f32 v[2:3], v[2:3], v[8:9]
	v_pk_add_f32 v[2:3], v[6:7], v[2:3] neg_lo:[0,1] neg_hi:[0,1]
	buffer_store_dword v3, off, s[0:3], 0 offset:124
	buffer_store_dword v2, off, s[0:3], 0 offset:120
	s_and_saveexec_b64 s[4:5], vcc
	s_cbranch_execz .LBB116_303
; %bb.302:
	buffer_load_dword v2, off, s[0:3], 0 offset:112
	buffer_load_dword v3, off, s[0:3], 0 offset:116
	v_accvgpr_read_b32 v1, a48
	buffer_store_dword v16, off, s[0:3], 0 offset:112
	buffer_store_dword v16, off, s[0:3], 0 offset:116
	s_waitcnt vmcnt(2)
	ds_write_b64 v1, v[2:3]
.LBB116_303:
	s_or_b64 exec, exec, s[4:5]
	s_waitcnt lgkmcnt(0)
	; wave barrier
	s_waitcnt lgkmcnt(0)
	buffer_load_dword v1, off, s[0:3], 0 offset:124
	buffer_load_dword v17, off, s[0:3], 0 offset:132
	;; [unrolled: 1-line block ×32, first 2 shown]
	ds_read2_b64 v[18:21], v16 offset0:69 offset1:70
	ds_read2_b64 v[6:9], v16 offset0:71 offset1:72
	buffer_load_dword v197, off, s[0:3], 0 offset:240
	buffer_load_dword v198, off, s[0:3], 0 offset:244
	ds_read2_b64 v[10:13], v16 offset0:73 offset1:74
	ds_read2_b64 v[2:5], v16 offset0:75 offset1:76
	buffer_load_dword v199, off, s[0:3], 0 offset:248
	buffer_load_dword v200, off, s[0:3], 0 offset:252
	;; [unrolled: 1-line block ×28, first 2 shown]
	v_cmp_lt_u32_e32 vcc, 13, v0
	s_waitcnt vmcnt(61) lgkmcnt(3)
	v_mul_f32_e32 v22, v18, v1
	s_waitcnt vmcnt(60)
	v_mul_f32_e32 v23, v20, v17
	s_waitcnt vmcnt(59) lgkmcnt(2)
	v_mul_f32_e32 v24, v6, v72
	s_waitcnt vmcnt(58)
	v_mul_f32_e32 v25, v8, v74
	;; [unrolled: 4-line block ×3, first 2 shown]
	s_waitcnt vmcnt(55) lgkmcnt(0)
	v_mul_f32_e32 v28, v2, v93
	s_waitcnt vmcnt(54)
	v_fmac_f32_e32 v22, v19, v94
	s_waitcnt vmcnt(53)
	v_fmac_f32_e32 v23, v21, v95
	v_add_f32_e32 v22, 0, v22
	s_waitcnt vmcnt(52)
	v_fmac_f32_e32 v24, v7, v96
	v_add_f32_e32 v22, v22, v23
	;; [unrolled: 3-line block ×6, first 2 shown]
	v_add_f32_e32 v26, v22, v28
	ds_read2_b64 v[22:25], v16 offset0:77 offset1:78
	s_waitcnt vmcnt(47)
	v_mul_f32_e32 v27, v4, v101
	s_waitcnt vmcnt(46)
	v_fmac_f32_e32 v27, v5, v102
	v_add_f32_e32 v30, v26, v27
	ds_read2_b64 v[26:29], v16 offset0:79 offset1:80
	s_waitcnt vmcnt(45) lgkmcnt(1)
	v_mul_f32_e32 v31, v22, v103
	s_waitcnt vmcnt(44)
	v_fmac_f32_e32 v31, v23, v104
	v_add_f32_e32 v30, v30, v31
	s_waitcnt vmcnt(43)
	v_mul_f32_e32 v31, v24, v105
	s_waitcnt vmcnt(42)
	v_fmac_f32_e32 v31, v25, v106
	v_add_f32_e32 v30, v30, v31
	s_waitcnt vmcnt(41) lgkmcnt(0)
	v_mul_f32_e32 v31, v26, v107
	s_waitcnt vmcnt(40)
	v_fmac_f32_e32 v31, v27, v108
	v_add_f32_e32 v34, v30, v31
	ds_read2_b64 v[30:33], v16 offset0:81 offset1:82
	s_waitcnt vmcnt(39)
	v_mul_f32_e32 v35, v28, v109
	s_waitcnt vmcnt(38)
	v_fmac_f32_e32 v35, v29, v110
	v_add_f32_e32 v38, v34, v35
	ds_read2_b64 v[34:37], v16 offset0:83 offset1:84
	s_waitcnt vmcnt(35) lgkmcnt(1)
	v_mul_f32_e32 v39, v30, v111
	s_waitcnt vmcnt(34)
	v_fmac_f32_e32 v39, v31, v192
	v_add_f32_e32 v38, v38, v39
	s_waitcnt vmcnt(32)
	v_mul_f32_e32 v39, v32, v194
	v_fmac_f32_e32 v39, v33, v193
	v_add_f32_e32 v38, v38, v39
	s_waitcnt vmcnt(30) lgkmcnt(0)
	v_mul_f32_e32 v39, v34, v196
	v_fmac_f32_e32 v39, v35, v195
	v_add_f32_e32 v42, v38, v39
	ds_read2_b64 v[38:41], v16 offset0:85 offset1:86
	s_waitcnt vmcnt(28)
	v_mul_f32_e32 v43, v36, v198
	v_fmac_f32_e32 v43, v37, v197
	v_add_f32_e32 v46, v42, v43
	ds_read2_b64 v[42:45], v16 offset0:87 offset1:88
	s_waitcnt vmcnt(26) lgkmcnt(1)
	v_mul_f32_e32 v47, v38, v200
	v_fmac_f32_e32 v47, v39, v199
	v_add_f32_e32 v46, v46, v47
	s_waitcnt vmcnt(24)
	v_mul_f32_e32 v47, v40, v202
	v_fmac_f32_e32 v47, v41, v201
	v_add_f32_e32 v46, v46, v47
	s_waitcnt vmcnt(22) lgkmcnt(0)
	v_mul_f32_e32 v47, v42, v204
	v_fmac_f32_e32 v47, v43, v203
	v_add_f32_e32 v50, v46, v47
	ds_read2_b64 v[46:49], v16 offset0:89 offset1:90
	s_waitcnt vmcnt(20)
	v_mul_f32_e32 v51, v44, v206
	v_fmac_f32_e32 v51, v45, v205
	v_add_f32_e32 v54, v50, v51
	ds_read2_b64 v[50:53], v16 offset0:91 offset1:92
	s_waitcnt vmcnt(18) lgkmcnt(1)
	v_mul_f32_e32 v55, v46, v208
	v_fmac_f32_e32 v55, v47, v207
	v_add_f32_e32 v54, v54, v55
	s_waitcnt vmcnt(16)
	v_mul_f32_e32 v55, v48, v210
	v_fmac_f32_e32 v55, v49, v209
	v_add_f32_e32 v54, v54, v55
	s_waitcnt vmcnt(14) lgkmcnt(0)
	v_mul_f32_e32 v55, v50, v212
	v_fmac_f32_e32 v55, v51, v211
	v_add_f32_e32 v58, v54, v55
	ds_read2_b64 v[54:57], v16 offset0:93 offset1:94
	s_waitcnt vmcnt(12)
	v_mul_f32_e32 v59, v52, v214
	v_fmac_f32_e32 v59, v53, v213
	v_add_f32_e32 v62, v58, v59
	ds_read2_b64 v[58:61], v16 offset0:95 offset1:96
	buffer_load_dword v71, off, s[0:3], 0 offset:364
	buffer_load_dword v70, off, s[0:3], 0 offset:360
	s_waitcnt vmcnt(12) lgkmcnt(1)
	v_mul_f32_e32 v63, v54, v216
	v_fmac_f32_e32 v63, v55, v215
	v_add_f32_e32 v62, v62, v63
	s_waitcnt vmcnt(10)
	v_mul_f32_e32 v63, v56, v218
	v_fmac_f32_e32 v63, v57, v217
	v_add_f32_e32 v62, v62, v63
	s_waitcnt vmcnt(8) lgkmcnt(0)
	v_mul_f32_e32 v63, v58, v220
	v_fmac_f32_e32 v63, v59, v219
	s_waitcnt vmcnt(6)
	v_mul_f32_e32 v67, v60, v222
	v_add_f32_e32 v66, v62, v63
	v_fmac_f32_e32 v67, v61, v221
	ds_read2_b64 v[62:65], v16 offset0:97 offset1:98
	v_add_f32_e32 v73, v66, v67
	ds_read2_b64 v[66:69], v16 offset0:99 offset1:100
	buffer_load_dword v79, off, s[0:3], 0 offset:396
	buffer_load_dword v78, off, s[0:3], 0 offset:392
	;; [unrolled: 1-line block ×14, first 2 shown]
	v_mul_f32_e32 v1, v19, v1
	v_fma_f32 v1, v18, v94, -v1
	v_mul_f32_e32 v17, v21, v17
	v_add_f32_e32 v1, 0, v1
	v_fma_f32 v17, v20, v95, -v17
	v_mul_f32_e32 v7, v7, v72
	v_add_f32_e32 v1, v1, v17
	v_fma_f32 v6, v6, v96, -v7
	v_add_f32_e32 v1, v1, v6
	v_mul_f32_e32 v6, v9, v74
	v_fma_f32 v6, v8, v97, -v6
	v_add_f32_e32 v1, v1, v6
	v_mul_f32_e32 v6, v11, v76
	;; [unrolled: 3-line block ×3, first 2 shown]
	v_fma_f32 v6, v12, v99, -v6
	v_mul_f32_e32 v3, v3, v93
	v_add_f32_e32 v1, v1, v6
	v_fma_f32 v2, v2, v100, -v3
	v_add_f32_e32 v1, v1, v2
	v_mul_f32_e32 v2, v5, v101
	v_fma_f32 v2, v4, v102, -v2
	v_add_f32_e32 v1, v1, v2
	v_mul_f32_e32 v2, v23, v103
	v_fma_f32 v2, v22, v104, -v2
	v_add_f32_e32 v1, v1, v2
	v_mul_f32_e32 v2, v25, v105
	v_fma_f32 v2, v24, v106, -v2
	v_add_f32_e32 v1, v1, v2
	v_mul_f32_e32 v2, v27, v107
	v_fma_f32 v2, v26, v108, -v2
	v_add_f32_e32 v1, v1, v2
	v_mul_f32_e32 v2, v29, v109
	v_fma_f32 v2, v28, v110, -v2
	v_add_f32_e32 v1, v1, v2
	v_mul_f32_e32 v2, v31, v111
	v_fma_f32 v2, v30, v192, -v2
	v_add_f32_e32 v1, v1, v2
	v_mul_f32_e32 v2, v33, v194
	v_fma_f32 v2, v32, v193, -v2
	v_add_f32_e32 v1, v1, v2
	v_mul_f32_e32 v2, v35, v196
	v_fma_f32 v2, v34, v195, -v2
	v_add_f32_e32 v1, v1, v2
	v_mul_f32_e32 v2, v37, v198
	v_fma_f32 v2, v36, v197, -v2
	v_add_f32_e32 v1, v1, v2
	v_mul_f32_e32 v2, v39, v200
	v_fma_f32 v2, v38, v199, -v2
	v_add_f32_e32 v1, v1, v2
	v_mul_f32_e32 v2, v41, v202
	v_fma_f32 v2, v40, v201, -v2
	v_add_f32_e32 v1, v1, v2
	v_mul_f32_e32 v2, v43, v204
	v_fma_f32 v2, v42, v203, -v2
	v_add_f32_e32 v1, v1, v2
	v_mul_f32_e32 v2, v45, v206
	v_fma_f32 v2, v44, v205, -v2
	v_add_f32_e32 v1, v1, v2
	v_mul_f32_e32 v2, v47, v208
	v_fma_f32 v2, v46, v207, -v2
	v_add_f32_e32 v1, v1, v2
	v_mul_f32_e32 v2, v49, v210
	v_fma_f32 v2, v48, v209, -v2
	v_add_f32_e32 v1, v1, v2
	v_mul_f32_e32 v2, v51, v212
	v_fma_f32 v2, v50, v211, -v2
	v_add_f32_e32 v1, v1, v2
	v_mul_f32_e32 v2, v53, v214
	v_fma_f32 v2, v52, v213, -v2
	v_add_f32_e32 v1, v1, v2
	v_mul_f32_e32 v2, v55, v216
	v_fma_f32 v2, v54, v215, -v2
	v_add_f32_e32 v1, v1, v2
	v_mul_f32_e32 v2, v57, v218
	v_fma_f32 v2, v56, v217, -v2
	v_add_f32_e32 v1, v1, v2
	v_mul_f32_e32 v2, v59, v220
	v_fma_f32 v2, v58, v219, -v2
	v_add_f32_e32 v1, v1, v2
	v_mul_f32_e32 v2, v61, v222
	v_fma_f32 v2, v60, v221, -v2
	s_waitcnt vmcnt(15)
	v_mov_b32_e32 v18, v71
	s_waitcnt lgkmcnt(1)
	v_mul_f32_e32 v75, v62, v224
	v_add_f32_e32 v72, v1, v2
	v_mul_f32_e32 v1, v63, v224
	s_waitcnt lgkmcnt(0)
	v_pk_mul_f32 v[18:19], v[66:67], v[18:19] op_sel_hi:[1,0]
	v_fmac_f32_e32 v75, v63, v223
	v_mul_f32_e32 v77, v64, v226
	v_fma_f32 v74, v62, v223, -v1
	v_mul_f32_e32 v1, v65, v226
	s_waitcnt vmcnt(14)
	v_pk_fma_f32 v[20:21], v[66:67], v[70:71], v[18:19] op_sel:[0,0,1] op_sel_hi:[1,1,0] neg_lo:[0,0,1] neg_hi:[0,0,1]
	v_pk_fma_f32 v[18:19], v[66:67], v[70:71], v[18:19] op_sel:[0,0,1] op_sel_hi:[1,0,0]
	v_fmac_f32_e32 v77, v65, v225
	v_fma_f32 v76, v64, v225, -v1
	ds_read2_b64 v[2:5], v16 offset0:101 offset1:102
	ds_read2_b64 v[6:9], v16 offset0:103 offset1:104
	;; [unrolled: 1-line block ×3, first 2 shown]
	v_pk_add_f32 v[16:17], v[72:73], v[74:75]
	s_waitcnt vmcnt(7)
	v_mov_b32_e32 v18, v85
	v_pk_add_f32 v[16:17], v[16:17], v[76:77]
	v_mov_b32_e32 v21, v19
	v_pk_mul_f32 v[18:19], v[68:69], v[18:19] op_sel_hi:[1,0]
	v_pk_add_f32 v[16:17], v[16:17], v[20:21]
	s_waitcnt vmcnt(6)
	v_pk_fma_f32 v[20:21], v[68:69], v[84:85], v[18:19] op_sel:[0,0,1] op_sel_hi:[1,1,0] neg_lo:[0,0,1] neg_hi:[0,0,1]
	v_pk_fma_f32 v[18:19], v[68:69], v[84:85], v[18:19] op_sel:[0,0,1] op_sel_hi:[1,0,0]
	v_mov_b32_e32 v18, v83
	v_mov_b32_e32 v21, v19
	s_waitcnt lgkmcnt(2)
	v_pk_mul_f32 v[18:19], v[2:3], v[18:19] op_sel_hi:[1,0]
	v_pk_add_f32 v[16:17], v[16:17], v[20:21]
	v_pk_fma_f32 v[20:21], v[2:3], v[82:83], v[18:19] op_sel:[0,0,1] op_sel_hi:[1,1,0] neg_lo:[0,0,1] neg_hi:[0,0,1]
	v_pk_fma_f32 v[2:3], v[2:3], v[82:83], v[18:19] op_sel:[0,0,1] op_sel_hi:[1,0,0]
	v_mov_b32_e32 v21, v3
	v_pk_add_f32 v[2:3], v[16:17], v[20:21]
	v_mov_b32_e32 v16, v81
	v_pk_mul_f32 v[16:17], v[4:5], v[16:17] op_sel_hi:[1,0]
	v_pk_fma_f32 v[18:19], v[4:5], v[80:81], v[16:17] op_sel:[0,0,1] op_sel_hi:[1,1,0] neg_lo:[0,0,1] neg_hi:[0,0,1]
	v_pk_fma_f32 v[4:5], v[4:5], v[80:81], v[16:17] op_sel:[0,0,1] op_sel_hi:[1,0,0]
	v_mov_b32_e32 v4, v79
	v_mov_b32_e32 v19, v5
	s_waitcnt lgkmcnt(1)
	v_pk_mul_f32 v[4:5], v[6:7], v[4:5] op_sel_hi:[1,0]
	v_pk_fma_f32 v[16:17], v[6:7], v[78:79], v[4:5] op_sel:[0,0,1] op_sel_hi:[1,1,0] neg_lo:[0,0,1] neg_hi:[0,0,1]
	v_pk_fma_f32 v[4:5], v[6:7], v[78:79], v[4:5] op_sel:[0,0,1] op_sel_hi:[1,0,0]
	s_waitcnt vmcnt(1)
	v_mov_b32_e32 v4, v91
	v_mov_b32_e32 v17, v5
	v_pk_mul_f32 v[4:5], v[8:9], v[4:5] op_sel_hi:[1,0]
	s_waitcnt vmcnt(0)
	v_pk_fma_f32 v[6:7], v[8:9], v[90:91], v[4:5] op_sel:[0,0,1] op_sel_hi:[1,1,0] neg_lo:[0,0,1] neg_hi:[0,0,1]
	v_pk_fma_f32 v[4:5], v[8:9], v[90:91], v[4:5] op_sel:[0,0,1] op_sel_hi:[1,0,0]
	v_pk_add_f32 v[2:3], v[2:3], v[18:19]
	v_mov_b32_e32 v4, v89
	v_pk_add_f32 v[2:3], v[2:3], v[16:17]
	v_mov_b32_e32 v7, v5
	s_waitcnt lgkmcnt(0)
	v_pk_mul_f32 v[4:5], v[10:11], v[4:5] op_sel_hi:[1,0]
	v_pk_add_f32 v[2:3], v[2:3], v[6:7]
	v_pk_fma_f32 v[6:7], v[10:11], v[88:89], v[4:5] op_sel:[0,0,1] op_sel_hi:[1,1,0] neg_lo:[0,0,1] neg_hi:[0,0,1]
	v_pk_fma_f32 v[4:5], v[10:11], v[88:89], v[4:5] op_sel:[0,0,1] op_sel_hi:[1,0,0]
	v_mov_b32_e32 v4, v87
	v_mov_b32_e32 v7, v5
	v_pk_mul_f32 v[4:5], v[12:13], v[4:5] op_sel_hi:[1,0]
	v_pk_add_f32 v[2:3], v[2:3], v[6:7]
	v_pk_fma_f32 v[6:7], v[12:13], v[86:87], v[4:5] op_sel:[0,0,1] op_sel_hi:[1,1,0] neg_lo:[0,0,1] neg_hi:[0,0,1]
	v_pk_fma_f32 v[4:5], v[12:13], v[86:87], v[4:5] op_sel:[0,0,1] op_sel_hi:[1,0,0]
	v_mov_b32_e32 v7, v5
	v_pk_add_f32 v[2:3], v[2:3], v[6:7]
	v_pk_add_f32 v[2:3], v[14:15], v[2:3] neg_lo:[0,1] neg_hi:[0,1]
	buffer_store_dword v3, off, s[0:3], 0 offset:116
	buffer_store_dword v2, off, s[0:3], 0 offset:112
	s_and_saveexec_b64 s[4:5], vcc
	s_cbranch_execz .LBB116_305
; %bb.304:
	buffer_load_dword v2, off, s[0:3], 0 offset:104
	buffer_load_dword v3, off, s[0:3], 0 offset:108
	v_mov_b32_e32 v1, 0
	v_accvgpr_read_b32 v4, a48
	buffer_store_dword v1, off, s[0:3], 0 offset:104
	buffer_store_dword v1, off, s[0:3], 0 offset:108
	s_waitcnt vmcnt(2)
	ds_write_b64 v4, v[2:3]
.LBB116_305:
	s_or_b64 exec, exec, s[4:5]
	s_waitcnt lgkmcnt(0)
	; wave barrier
	s_waitcnt lgkmcnt(0)
	buffer_load_dword v1, off, s[0:3], 0 offset:116
	buffer_load_dword v21, off, s[0:3], 0 offset:124
	;; [unrolled: 1-line block ×48, first 2 shown]
	v_mov_b32_e32 v20, 0
	ds_read_b128 v[2:5], v20 offset:544
	buffer_load_dword v213, off, s[0:3], 0 offset:296
	buffer_load_dword v214, off, s[0:3], 0 offset:300
	;; [unrolled: 1-line block ×8, first 2 shown]
	ds_read_b128 v[8:11], v20 offset:560
	ds_read_b128 v[12:15], v20 offset:576
	;; [unrolled: 1-line block ×3, first 2 shown]
	buffer_load_dword v221, off, s[0:3], 0 offset:328
	buffer_load_dword v222, off, s[0:3], 0 offset:332
	;; [unrolled: 1-line block ×8, first 2 shown]
	v_cmp_lt_u32_e32 vcc, 12, v0
	s_waitcnt vmcnt(62) lgkmcnt(3)
	v_mul_f32_e32 v22, v2, v1
	v_mul_f32_e32 v23, v4, v21
	s_waitcnt vmcnt(61) lgkmcnt(2)
	v_mul_f32_e32 v25, v10, v70
	s_waitcnt vmcnt(60) lgkmcnt(1)
	v_mul_f32_e32 v26, v12, v72
	s_waitcnt vmcnt(59)
	v_mul_f32_e32 v27, v14, v74
	s_waitcnt vmcnt(58)
	;; [unrolled: 2-line block ×3, first 2 shown]
	v_fmac_f32_e32 v24, v9, v93
	s_waitcnt vmcnt(56)
	v_fmac_f32_e32 v23, v5, v94
	s_waitcnt vmcnt(55)
	v_fmac_f32_e32 v22, v3, v95
	v_add_f32_e32 v22, 0, v22
	v_add_f32_e32 v22, v22, v23
	;; [unrolled: 1-line block ×3, first 2 shown]
	s_waitcnt vmcnt(51)
	v_fmac_f32_e32 v26, v13, v99
	s_waitcnt vmcnt(50)
	v_fmac_f32_e32 v25, v11, v100
	v_add_f32_e32 v22, v22, v25
	s_waitcnt lgkmcnt(0)
	v_mul_f32_e32 v28, v16, v96
	v_fmac_f32_e32 v27, v15, v98
	v_add_f32_e32 v22, v22, v26
	v_fmac_f32_e32 v28, v17, v97
	v_add_f32_e32 v22, v22, v27
	v_add_f32_e32 v26, v22, v28
	ds_read_b128 v[22:25], v20 offset:608
	s_waitcnt vmcnt(45)
	v_mul_f32_e32 v27, v18, v105
	s_waitcnt vmcnt(44)
	v_fmac_f32_e32 v27, v19, v106
	v_add_f32_e32 v30, v26, v27
	ds_read_b128 v[26:29], v20 offset:624
	s_waitcnt vmcnt(43) lgkmcnt(1)
	v_mul_f32_e32 v31, v22, v107
	v_fmac_f32_e32 v31, v23, v104
	v_add_f32_e32 v30, v30, v31
	s_waitcnt vmcnt(42)
	v_mul_f32_e32 v31, v24, v108
	v_fmac_f32_e32 v31, v25, v103
	v_add_f32_e32 v30, v30, v31
	s_waitcnt lgkmcnt(0)
	v_mul_f32_e32 v31, v26, v102
	v_fmac_f32_e32 v31, v27, v101
	v_add_f32_e32 v34, v30, v31
	ds_read_b128 v[30:33], v20 offset:640
	s_waitcnt vmcnt(38)
	v_mul_f32_e32 v35, v28, v110
	v_fmac_f32_e32 v35, v29, v109
	v_add_f32_e32 v38, v34, v35
	ds_read_b128 v[34:37], v20 offset:656
	s_waitcnt vmcnt(36) lgkmcnt(1)
	v_mul_f32_e32 v39, v30, v192
	v_fmac_f32_e32 v39, v31, v111
	v_add_f32_e32 v38, v38, v39
	s_waitcnt vmcnt(34)
	v_mul_f32_e32 v39, v32, v194
	v_fmac_f32_e32 v39, v33, v193
	v_add_f32_e32 v38, v38, v39
	s_waitcnt vmcnt(32) lgkmcnt(0)
	v_mul_f32_e32 v39, v34, v196
	v_fmac_f32_e32 v39, v35, v195
	v_add_f32_e32 v42, v38, v39
	ds_read_b128 v[38:41], v20 offset:672
	s_waitcnt vmcnt(30)
	v_mul_f32_e32 v43, v36, v198
	v_fmac_f32_e32 v43, v37, v197
	v_add_f32_e32 v46, v42, v43
	ds_read_b128 v[42:45], v20 offset:688
	s_waitcnt vmcnt(28) lgkmcnt(1)
	v_mul_f32_e32 v47, v38, v200
	v_fmac_f32_e32 v47, v39, v199
	v_add_f32_e32 v46, v46, v47
	s_waitcnt vmcnt(26)
	v_mul_f32_e32 v47, v40, v202
	v_fmac_f32_e32 v47, v41, v201
	v_add_f32_e32 v46, v46, v47
	s_waitcnt vmcnt(24) lgkmcnt(0)
	;; [unrolled: 18-line block ×4, first 2 shown]
	v_mul_f32_e32 v63, v58, v220
	v_fmac_f32_e32 v63, v59, v219
	s_waitcnt vmcnt(6)
	v_mul_f32_e32 v67, v60, v222
	v_add_f32_e32 v66, v62, v63
	v_fmac_f32_e32 v67, v61, v221
	ds_read_b128 v[62:65], v20 offset:768
	v_add_f32_e32 v71, v66, v67
	ds_read_b128 v[66:69], v20 offset:784
	buffer_load_dword v77, off, s[0:3], 0 offset:388
	buffer_load_dword v76, off, s[0:3], 0 offset:384
	;; [unrolled: 1-line block ×16, first 2 shown]
	v_mul_f32_e32 v1, v3, v1
	v_fma_f32 v1, v2, v95, -v1
	v_mul_f32_e32 v2, v5, v21
	v_add_f32_e32 v1, 0, v1
	v_fma_f32 v2, v4, v94, -v2
	v_add_f32_e32 v1, v1, v2
	v_mul_f32_e32 v2, v9, v92
	v_fma_f32 v2, v8, v93, -v2
	v_add_f32_e32 v1, v1, v2
	v_mul_f32_e32 v2, v11, v70
	;; [unrolled: 3-line block ×26, first 2 shown]
	v_fma_f32 v2, v60, v221, -v2
	s_waitcnt vmcnt(20) lgkmcnt(1)
	v_mul_f32_e32 v73, v62, v224
	v_add_f32_e32 v1, v1, v2
	v_mul_f32_e32 v2, v63, v224
	v_fmac_f32_e32 v73, v63, v223
	v_fma_f32 v2, v62, v223, -v2
	s_waitcnt vmcnt(9)
	v_mov_b32_e32 v22, v83
	v_add_f32_e32 v71, v71, v73
	v_mul_f32_e32 v73, v64, v226
	v_add_f32_e32 v70, v1, v2
	v_mul_f32_e32 v1, v65, v226
	s_waitcnt lgkmcnt(0)
	v_pk_mul_f32 v[22:23], v[68:69], v[22:23] op_sel_hi:[1,0]
	v_fmac_f32_e32 v73, v65, v225
	v_mul_f32_e32 v75, v66, v228
	v_fma_f32 v72, v64, v225, -v1
	v_mul_f32_e32 v1, v67, v228
	ds_read_b128 v[2:5], v20 offset:800
	ds_read_b128 v[8:11], v20 offset:816
	;; [unrolled: 1-line block ×3, first 2 shown]
	ds_read_b64 v[16:17], v20 offset:848
	s_waitcnt vmcnt(8)
	v_pk_fma_f32 v[24:25], v[68:69], v[82:83], v[22:23] op_sel:[0,0,1] op_sel_hi:[1,1,0] neg_lo:[0,0,1] neg_hi:[0,0,1]
	v_pk_fma_f32 v[22:23], v[68:69], v[82:83], v[22:23] op_sel:[0,0,1] op_sel_hi:[1,0,0]
	v_fmac_f32_e32 v75, v67, v227
	v_fma_f32 v74, v66, v227, -v1
	v_pk_add_f32 v[18:19], v[70:71], v[72:73]
	v_mov_b32_e32 v22, v81
	v_pk_add_f32 v[18:19], v[18:19], v[74:75]
	v_mov_b32_e32 v25, v23
	s_waitcnt lgkmcnt(3)
	v_pk_mul_f32 v[22:23], v[2:3], v[22:23] op_sel_hi:[1,0]
	v_pk_add_f32 v[18:19], v[18:19], v[24:25]
	v_pk_fma_f32 v[24:25], v[2:3], v[80:81], v[22:23] op_sel:[0,0,1] op_sel_hi:[1,1,0] neg_lo:[0,0,1] neg_hi:[0,0,1]
	v_pk_fma_f32 v[2:3], v[2:3], v[80:81], v[22:23] op_sel:[0,0,1] op_sel_hi:[1,0,0]
	v_mov_b32_e32 v25, v3
	v_pk_add_f32 v[2:3], v[18:19], v[24:25]
	v_mov_b32_e32 v18, v79
	v_pk_mul_f32 v[18:19], v[4:5], v[18:19] op_sel_hi:[1,0]
	v_pk_fma_f32 v[22:23], v[4:5], v[78:79], v[18:19] op_sel:[0,0,1] op_sel_hi:[1,1,0] neg_lo:[0,0,1] neg_hi:[0,0,1]
	v_pk_fma_f32 v[4:5], v[4:5], v[78:79], v[18:19] op_sel:[0,0,1] op_sel_hi:[1,0,0]
	v_mov_b32_e32 v4, v77
	v_mov_b32_e32 v23, v5
	s_waitcnt lgkmcnt(2)
	v_pk_mul_f32 v[4:5], v[8:9], v[4:5] op_sel_hi:[1,0]
	v_pk_fma_f32 v[18:19], v[8:9], v[76:77], v[4:5] op_sel:[0,0,1] op_sel_hi:[1,1,0] neg_lo:[0,0,1] neg_hi:[0,0,1]
	v_pk_fma_f32 v[4:5], v[8:9], v[76:77], v[4:5] op_sel:[0,0,1] op_sel_hi:[1,0,0]
	s_waitcnt vmcnt(1)
	v_mov_b32_e32 v4, v91
	v_mov_b32_e32 v19, v5
	v_pk_mul_f32 v[4:5], v[10:11], v[4:5] op_sel_hi:[1,0]
	s_waitcnt vmcnt(0)
	v_pk_fma_f32 v[8:9], v[10:11], v[90:91], v[4:5] op_sel:[0,0,1] op_sel_hi:[1,1,0] neg_lo:[0,0,1] neg_hi:[0,0,1]
	v_pk_fma_f32 v[4:5], v[10:11], v[90:91], v[4:5] op_sel:[0,0,1] op_sel_hi:[1,0,0]
	v_pk_add_f32 v[2:3], v[2:3], v[22:23]
	v_mov_b32_e32 v4, v89
	v_pk_add_f32 v[2:3], v[2:3], v[18:19]
	v_mov_b32_e32 v9, v5
	s_waitcnt lgkmcnt(1)
	v_pk_mul_f32 v[4:5], v[12:13], v[4:5] op_sel_hi:[1,0]
	v_pk_add_f32 v[2:3], v[2:3], v[8:9]
	v_pk_fma_f32 v[8:9], v[12:13], v[88:89], v[4:5] op_sel:[0,0,1] op_sel_hi:[1,1,0] neg_lo:[0,0,1] neg_hi:[0,0,1]
	v_pk_fma_f32 v[4:5], v[12:13], v[88:89], v[4:5] op_sel:[0,0,1] op_sel_hi:[1,0,0]
	v_mov_b32_e32 v4, v87
	v_mov_b32_e32 v9, v5
	v_pk_mul_f32 v[4:5], v[14:15], v[4:5] op_sel_hi:[1,0]
	v_pk_add_f32 v[2:3], v[2:3], v[8:9]
	v_pk_fma_f32 v[8:9], v[14:15], v[86:87], v[4:5] op_sel:[0,0,1] op_sel_hi:[1,1,0] neg_lo:[0,0,1] neg_hi:[0,0,1]
	v_pk_fma_f32 v[4:5], v[14:15], v[86:87], v[4:5] op_sel:[0,0,1] op_sel_hi:[1,0,0]
	v_mov_b32_e32 v4, v85
	v_mov_b32_e32 v9, v5
	s_waitcnt lgkmcnt(0)
	v_pk_mul_f32 v[4:5], v[16:17], v[4:5] op_sel_hi:[1,0]
	v_pk_add_f32 v[2:3], v[2:3], v[8:9]
	v_pk_fma_f32 v[8:9], v[16:17], v[84:85], v[4:5] op_sel:[0,0,1] op_sel_hi:[1,1,0] neg_lo:[0,0,1] neg_hi:[0,0,1]
	v_pk_fma_f32 v[4:5], v[16:17], v[84:85], v[4:5] op_sel:[0,0,1] op_sel_hi:[1,0,0]
	v_mov_b32_e32 v9, v5
	v_pk_add_f32 v[2:3], v[2:3], v[8:9]
	v_pk_add_f32 v[2:3], v[6:7], v[2:3] neg_lo:[0,1] neg_hi:[0,1]
	buffer_store_dword v3, off, s[0:3], 0 offset:108
	buffer_store_dword v2, off, s[0:3], 0 offset:104
	s_and_saveexec_b64 s[4:5], vcc
	s_cbranch_execz .LBB116_307
; %bb.306:
	buffer_load_dword v2, off, s[0:3], 0 offset:96
	buffer_load_dword v3, off, s[0:3], 0 offset:100
	v_accvgpr_read_b32 v1, a48
	buffer_store_dword v20, off, s[0:3], 0 offset:96
	buffer_store_dword v20, off, s[0:3], 0 offset:100
	s_waitcnt vmcnt(2)
	ds_write_b64 v1, v[2:3]
.LBB116_307:
	s_or_b64 exec, exec, s[4:5]
	s_waitcnt lgkmcnt(0)
	; wave barrier
	s_waitcnt lgkmcnt(0)
	buffer_load_dword v1, off, s[0:3], 0 offset:108
	buffer_load_dword v21, off, s[0:3], 0 offset:116
	;; [unrolled: 1-line block ×26, first 2 shown]
	ds_read2_b64 v[14:17], v20 offset0:67 offset1:68
	ds_read2_b64 v[6:9], v20 offset0:69 offset1:70
	buffer_load_dword v111, off, s[0:3], 0 offset:200
	buffer_load_dword v192, off, s[0:3], 0 offset:204
	ds_read2_b64 v[10:13], v20 offset0:71 offset1:72
	ds_read2_b64 v[2:5], v20 offset0:73 offset1:74
	buffer_load_dword v193, off, s[0:3], 0 offset:208
	buffer_load_dword v194, off, s[0:3], 0 offset:212
	buffer_load_dword v195, off, s[0:3], 0 offset:216
	buffer_load_dword v196, off, s[0:3], 0 offset:220
	buffer_load_dword v197, off, s[0:3], 0 offset:224
	buffer_load_dword v198, off, s[0:3], 0 offset:228
	buffer_load_dword v199, off, s[0:3], 0 offset:232
	buffer_load_dword v200, off, s[0:3], 0 offset:236
	buffer_load_dword v201, off, s[0:3], 0 offset:240
	buffer_load_dword v202, off, s[0:3], 0 offset:244
	buffer_load_dword v203, off, s[0:3], 0 offset:248
	buffer_load_dword v204, off, s[0:3], 0 offset:252
	buffer_load_dword v205, off, s[0:3], 0 offset:256
	buffer_load_dword v206, off, s[0:3], 0 offset:260
	buffer_load_dword v207, off, s[0:3], 0 offset:264
	buffer_load_dword v208, off, s[0:3], 0 offset:268
	buffer_load_dword v209, off, s[0:3], 0 offset:272
	buffer_load_dword v210, off, s[0:3], 0 offset:276
	buffer_load_dword v211, off, s[0:3], 0 offset:280
	buffer_load_dword v212, off, s[0:3], 0 offset:284
	buffer_load_dword v213, off, s[0:3], 0 offset:288
	buffer_load_dword v214, off, s[0:3], 0 offset:292
	buffer_load_dword v215, off, s[0:3], 0 offset:296
	buffer_load_dword v216, off, s[0:3], 0 offset:300
	buffer_load_dword v217, off, s[0:3], 0 offset:304
	buffer_load_dword v218, off, s[0:3], 0 offset:308
	buffer_load_dword v219, off, s[0:3], 0 offset:312
	buffer_load_dword v220, off, s[0:3], 0 offset:316
	buffer_load_dword v221, off, s[0:3], 0 offset:320
	buffer_load_dword v222, off, s[0:3], 0 offset:324
	buffer_load_dword v223, off, s[0:3], 0 offset:328
	buffer_load_dword v224, off, s[0:3], 0 offset:332
	v_cmp_lt_u32_e32 vcc, 11, v0
	s_waitcnt vmcnt(59) lgkmcnt(3)
	v_mul_f32_e32 v22, v14, v1
	s_waitcnt vmcnt(58)
	v_mul_f32_e32 v23, v16, v21
	s_waitcnt vmcnt(57) lgkmcnt(2)
	v_mul_f32_e32 v25, v8, v70
	s_waitcnt vmcnt(56) lgkmcnt(1)
	v_mul_f32_e32 v26, v10, v72
	s_waitcnt vmcnt(55)
	v_mul_f32_e32 v27, v12, v80
	s_waitcnt vmcnt(54)
	v_mul_f32_e32 v24, v6, v92
	s_waitcnt vmcnt(53) lgkmcnt(0)
	v_mul_f32_e32 v28, v2, v93
	s_waitcnt vmcnt(52)
	v_mul_f32_e32 v29, v4, v94
	s_waitcnt vmcnt(51)
	v_fmac_f32_e32 v24, v7, v95
	s_waitcnt vmcnt(50)
	v_fmac_f32_e32 v23, v17, v96
	;; [unrolled: 2-line block ×3, first 2 shown]
	v_add_f32_e32 v22, 0, v22
	v_add_f32_e32 v22, v22, v23
	v_add_f32_e32 v22, v22, v24
	s_waitcnt vmcnt(45)
	v_fmac_f32_e32 v25, v9, v101
	v_fmac_f32_e32 v26, v11, v100
	v_add_f32_e32 v22, v22, v25
	v_fmac_f32_e32 v27, v13, v99
	v_add_f32_e32 v22, v22, v26
	v_fmac_f32_e32 v28, v3, v98
	v_add_f32_e32 v22, v22, v27
	v_add_f32_e32 v26, v22, v28
	ds_read2_b64 v[22:25], v20 offset0:75 offset1:76
	s_waitcnt vmcnt(41)
	v_fmac_f32_e32 v29, v5, v105
	buffer_load_dword v225, off, s[0:3], 0 offset:336
	buffer_load_dword v226, off, s[0:3], 0 offset:340
	v_add_f32_e32 v30, v26, v29
	buffer_load_dword v227, off, s[0:3], 0 offset:344
	buffer_load_dword v228, off, s[0:3], 0 offset:348
	ds_read2_b64 v[26:29], v20 offset0:77 offset1:78
	s_waitcnt vmcnt(44) lgkmcnt(1)
	v_mul_f32_e32 v31, v22, v106
	v_fmac_f32_e32 v31, v23, v104
	v_add_f32_e32 v30, v30, v31
	s_waitcnt vmcnt(43)
	v_mul_f32_e32 v31, v24, v107
	v_fmac_f32_e32 v31, v25, v103
	v_add_f32_e32 v30, v30, v31
	s_waitcnt vmcnt(42) lgkmcnt(0)
	v_mul_f32_e32 v31, v26, v108
	v_fmac_f32_e32 v31, v27, v102
	buffer_load_dword v229, off, s[0:3], 0 offset:352
	buffer_load_dword v230, off, s[0:3], 0 offset:356
	v_add_f32_e32 v34, v30, v31
	ds_read2_b64 v[30:33], v20 offset0:79 offset1:80
	s_waitcnt vmcnt(40)
	v_mul_f32_e32 v35, v28, v110
	v_fmac_f32_e32 v35, v29, v109
	v_add_f32_e32 v38, v34, v35
	ds_read2_b64 v[34:37], v20 offset0:81 offset1:82
	s_waitcnt vmcnt(38) lgkmcnt(1)
	v_mul_f32_e32 v39, v30, v192
	v_fmac_f32_e32 v39, v31, v111
	v_add_f32_e32 v38, v38, v39
	s_waitcnt vmcnt(36)
	v_mul_f32_e32 v39, v32, v194
	v_fmac_f32_e32 v39, v33, v193
	v_add_f32_e32 v38, v38, v39
	s_waitcnt vmcnt(34) lgkmcnt(0)
	v_mul_f32_e32 v39, v34, v196
	v_fmac_f32_e32 v39, v35, v195
	v_add_f32_e32 v42, v38, v39
	ds_read2_b64 v[38:41], v20 offset0:83 offset1:84
	s_waitcnt vmcnt(32)
	v_mul_f32_e32 v43, v36, v198
	v_fmac_f32_e32 v43, v37, v197
	v_add_f32_e32 v46, v42, v43
	ds_read2_b64 v[42:45], v20 offset0:85 offset1:86
	s_waitcnt vmcnt(30) lgkmcnt(1)
	v_mul_f32_e32 v47, v38, v200
	v_fmac_f32_e32 v47, v39, v199
	v_add_f32_e32 v46, v46, v47
	s_waitcnt vmcnt(28)
	v_mul_f32_e32 v47, v40, v202
	v_fmac_f32_e32 v47, v41, v201
	v_add_f32_e32 v46, v46, v47
	s_waitcnt vmcnt(26) lgkmcnt(0)
	v_mul_f32_e32 v47, v42, v204
	v_fmac_f32_e32 v47, v43, v203
	;; [unrolled: 18-line block ×4, first 2 shown]
	s_waitcnt vmcnt(8)
	v_mul_f32_e32 v67, v60, v222
	v_add_f32_e32 v66, v62, v63
	v_fmac_f32_e32 v67, v61, v221
	ds_read2_b64 v[62:65], v20 offset0:95 offset1:96
	v_add_f32_e32 v71, v66, v67
	ds_read2_b64 v[66:69], v20 offset0:97 offset1:98
	buffer_load_dword v75, off, s[0:3], 0 offset:380
	buffer_load_dword v74, off, s[0:3], 0 offset:376
	;; [unrolled: 1-line block ×16, first 2 shown]
	v_mul_f32_e32 v1, v15, v1
	v_fma_f32 v1, v14, v97, -v1
	v_mul_f32_e32 v14, v17, v21
	v_add_f32_e32 v1, 0, v1
	v_fma_f32 v14, v16, v96, -v14
	v_mul_f32_e32 v7, v7, v92
	v_add_f32_e32 v1, v1, v14
	v_fma_f32 v6, v6, v95, -v7
	v_add_f32_e32 v1, v1, v6
	v_mul_f32_e32 v6, v9, v70
	v_fma_f32 v6, v8, v101, -v6
	v_add_f32_e32 v1, v1, v6
	v_mul_f32_e32 v6, v11, v72
	;; [unrolled: 3-line block ×3, first 2 shown]
	v_fma_f32 v6, v12, v99, -v6
	v_mul_f32_e32 v3, v3, v93
	v_add_f32_e32 v1, v1, v6
	v_fma_f32 v2, v2, v98, -v3
	v_add_f32_e32 v1, v1, v2
	v_mul_f32_e32 v2, v5, v94
	v_fma_f32 v2, v4, v105, -v2
	v_add_f32_e32 v1, v1, v2
	v_mul_f32_e32 v2, v23, v106
	;; [unrolled: 3-line block ×21, first 2 shown]
	v_fma_f32 v2, v60, v221, -v2
	v_add_f32_e32 v1, v1, v2
	s_waitcnt vmcnt(22) lgkmcnt(1)
	v_mul_f32_e32 v2, v63, v224
	v_mul_f32_e32 v73, v62, v224
	v_fma_f32 v2, v62, v223, -v2
	v_fmac_f32_e32 v73, v63, v223
	v_add_f32_e32 v1, v1, v2
	s_waitcnt vmcnt(20)
	v_mul_f32_e32 v2, v65, v226
	v_add_f32_e32 v71, v71, v73
	v_mul_f32_e32 v73, v64, v226
	v_fma_f32 v2, v64, v225, -v2
	v_fmac_f32_e32 v73, v65, v225
	v_add_f32_e32 v70, v1, v2
	ds_read2_b64 v[2:5], v20 offset0:99 offset1:100
	ds_read2_b64 v[6:9], v20 offset0:101 offset1:102
	;; [unrolled: 1-line block ×4, first 2 shown]
	v_add_f32_e32 v71, v71, v73
	s_waitcnt vmcnt(18) lgkmcnt(4)
	v_mul_f32_e32 v73, v66, v228
	v_mul_f32_e32 v1, v67, v228
	s_waitcnt vmcnt(11)
	v_mov_b32_e32 v22, v79
	v_fmac_f32_e32 v73, v67, v227
	v_mul_f32_e32 v81, v68, v230
	v_fma_f32 v72, v66, v227, -v1
	v_mul_f32_e32 v1, v69, v230
	s_waitcnt lgkmcnt(3)
	v_pk_mul_f32 v[22:23], v[2:3], v[22:23] op_sel_hi:[1,0]
	v_fmac_f32_e32 v81, v69, v229
	v_fma_f32 v80, v68, v229, -v1
	v_pk_add_f32 v[20:21], v[70:71], v[72:73]
	s_waitcnt vmcnt(10)
	v_pk_fma_f32 v[24:25], v[2:3], v[78:79], v[22:23] op_sel:[0,0,1] op_sel_hi:[1,1,0] neg_lo:[0,0,1] neg_hi:[0,0,1]
	v_pk_fma_f32 v[2:3], v[2:3], v[78:79], v[22:23] op_sel:[0,0,1] op_sel_hi:[1,0,0]
	v_pk_add_f32 v[20:21], v[20:21], v[80:81]
	v_mov_b32_e32 v25, v3
	v_pk_add_f32 v[2:3], v[20:21], v[24:25]
	v_mov_b32_e32 v20, v77
	v_pk_mul_f32 v[20:21], v[4:5], v[20:21] op_sel_hi:[1,0]
	v_pk_fma_f32 v[22:23], v[4:5], v[76:77], v[20:21] op_sel:[0,0,1] op_sel_hi:[1,1,0] neg_lo:[0,0,1] neg_hi:[0,0,1]
	v_pk_fma_f32 v[4:5], v[4:5], v[76:77], v[20:21] op_sel:[0,0,1] op_sel_hi:[1,0,0]
	v_mov_b32_e32 v4, v75
	v_mov_b32_e32 v23, v5
	s_waitcnt lgkmcnt(2)
	v_pk_mul_f32 v[4:5], v[6:7], v[4:5] op_sel_hi:[1,0]
	v_pk_fma_f32 v[20:21], v[6:7], v[74:75], v[4:5] op_sel:[0,0,1] op_sel_hi:[1,1,0] neg_lo:[0,0,1] neg_hi:[0,0,1]
	v_pk_fma_f32 v[4:5], v[6:7], v[74:75], v[4:5] op_sel:[0,0,1] op_sel_hi:[1,0,0]
	s_waitcnt vmcnt(3)
	v_mov_b32_e32 v4, v89
	v_mov_b32_e32 v21, v5
	v_pk_mul_f32 v[4:5], v[8:9], v[4:5] op_sel_hi:[1,0]
	s_waitcnt vmcnt(2)
	v_pk_fma_f32 v[6:7], v[8:9], v[88:89], v[4:5] op_sel:[0,0,1] op_sel_hi:[1,1,0] neg_lo:[0,0,1] neg_hi:[0,0,1]
	v_pk_fma_f32 v[4:5], v[8:9], v[88:89], v[4:5] op_sel:[0,0,1] op_sel_hi:[1,0,0]
	v_pk_add_f32 v[2:3], v[2:3], v[22:23]
	v_mov_b32_e32 v4, v87
	v_pk_add_f32 v[2:3], v[2:3], v[20:21]
	v_mov_b32_e32 v7, v5
	s_waitcnt lgkmcnt(1)
	v_pk_mul_f32 v[4:5], v[10:11], v[4:5] op_sel_hi:[1,0]
	v_pk_add_f32 v[2:3], v[2:3], v[6:7]
	v_pk_fma_f32 v[6:7], v[10:11], v[86:87], v[4:5] op_sel:[0,0,1] op_sel_hi:[1,1,0] neg_lo:[0,0,1] neg_hi:[0,0,1]
	v_pk_fma_f32 v[4:5], v[10:11], v[86:87], v[4:5] op_sel:[0,0,1] op_sel_hi:[1,0,0]
	v_mov_b32_e32 v4, v85
	v_mov_b32_e32 v7, v5
	v_pk_mul_f32 v[4:5], v[12:13], v[4:5] op_sel_hi:[1,0]
	v_pk_add_f32 v[2:3], v[2:3], v[6:7]
	v_pk_fma_f32 v[6:7], v[12:13], v[84:85], v[4:5] op_sel:[0,0,1] op_sel_hi:[1,1,0] neg_lo:[0,0,1] neg_hi:[0,0,1]
	v_pk_fma_f32 v[4:5], v[12:13], v[84:85], v[4:5] op_sel:[0,0,1] op_sel_hi:[1,0,0]
	v_mov_b32_e32 v4, v83
	v_mov_b32_e32 v7, v5
	s_waitcnt lgkmcnt(0)
	v_pk_mul_f32 v[4:5], v[14:15], v[4:5] op_sel_hi:[1,0]
	v_pk_add_f32 v[2:3], v[2:3], v[6:7]
	v_pk_fma_f32 v[6:7], v[14:15], v[82:83], v[4:5] op_sel:[0,0,1] op_sel_hi:[1,1,0] neg_lo:[0,0,1] neg_hi:[0,0,1]
	v_pk_fma_f32 v[4:5], v[14:15], v[82:83], v[4:5] op_sel:[0,0,1] op_sel_hi:[1,0,0]
	s_waitcnt vmcnt(1)
	v_mov_b32_e32 v4, v91
	v_mov_b32_e32 v7, v5
	v_pk_mul_f32 v[4:5], v[16:17], v[4:5] op_sel_hi:[1,0]
	v_pk_add_f32 v[2:3], v[2:3], v[6:7]
	s_waitcnt vmcnt(0)
	v_pk_fma_f32 v[6:7], v[16:17], v[90:91], v[4:5] op_sel:[0,0,1] op_sel_hi:[1,1,0] neg_lo:[0,0,1] neg_hi:[0,0,1]
	v_pk_fma_f32 v[4:5], v[16:17], v[90:91], v[4:5] op_sel:[0,0,1] op_sel_hi:[1,0,0]
	v_mov_b32_e32 v7, v5
	v_pk_add_f32 v[2:3], v[2:3], v[6:7]
	v_pk_add_f32 v[2:3], v[18:19], v[2:3] neg_lo:[0,1] neg_hi:[0,1]
	buffer_store_dword v3, off, s[0:3], 0 offset:100
	buffer_store_dword v2, off, s[0:3], 0 offset:96
	s_and_saveexec_b64 s[4:5], vcc
	s_cbranch_execz .LBB116_309
; %bb.308:
	buffer_load_dword v2, off, s[0:3], 0 offset:88
	buffer_load_dword v3, off, s[0:3], 0 offset:92
	v_mov_b32_e32 v1, 0
	v_accvgpr_read_b32 v4, a48
	buffer_store_dword v1, off, s[0:3], 0 offset:88
	buffer_store_dword v1, off, s[0:3], 0 offset:92
	s_waitcnt vmcnt(2)
	ds_write_b64 v4, v[2:3]
.LBB116_309:
	s_or_b64 exec, exec, s[4:5]
	v_mov_b32_e32 v200, 0
	s_waitcnt lgkmcnt(0)
	; wave barrier
	s_waitcnt lgkmcnt(0)
	ds_read_b128 v[14:17], v200 offset:528
	ds_read_b128 v[10:13], v200 offset:544
	;; [unrolled: 1-line block ×4, first 2 shown]
	buffer_load_dword v70, off, s[0:3], 0 offset:88
	buffer_load_dword v71, off, s[0:3], 0 offset:92
	;; [unrolled: 1-line block ×16, first 2 shown]
	v_cmp_lt_u32_e32 vcc, 10, v0
	s_waitcnt vmcnt(12) lgkmcnt(3)
	v_mul_f32_e32 v1, v14, v201
	v_fmac_f32_e32 v1, v15, v72
	s_waitcnt vmcnt(10)
	v_mul_f32_e32 v18, v16, v203
	v_add_f32_e32 v1, 0, v1
	v_fmac_f32_e32 v18, v17, v74
	v_add_f32_e32 v1, v1, v18
	s_waitcnt vmcnt(8) lgkmcnt(2)
	v_mul_f32_e32 v18, v10, v205
	v_fmac_f32_e32 v18, v11, v78
	v_add_f32_e32 v1, v1, v18
	s_waitcnt vmcnt(6)
	v_mul_f32_e32 v18, v12, v207
	v_fmac_f32_e32 v18, v13, v202
	v_add_f32_e32 v1, v1, v18
	s_waitcnt vmcnt(4) lgkmcnt(1)
	v_mul_f32_e32 v18, v6, v209
	v_fmac_f32_e32 v18, v7, v204
	v_add_f32_e32 v1, v1, v18
	s_waitcnt vmcnt(2)
	v_mul_f32_e32 v18, v8, v210
	v_fmac_f32_e32 v18, v9, v206
	v_add_f32_e32 v1, v1, v18
	s_waitcnt vmcnt(0) lgkmcnt(0)
	v_mul_f32_e32 v18, v2, v211
	v_fmac_f32_e32 v18, v3, v208
	v_add_f32_e32 v18, v1, v18
	buffer_load_dword v212, off, s[0:3], 0 offset:152
	buffer_load_dword v1, off, s[0:3], 0 offset:156
	v_mul_f32_e32 v15, v15, v201
	v_fma_f32 v14, v14, v72, -v15
	v_mul_f32_e32 v15, v17, v203
	v_add_f32_e32 v14, 0, v14
	v_fma_f32 v15, v16, v74, -v15
	v_mul_f32_e32 v11, v11, v205
	v_add_f32_e32 v14, v14, v15
	;; [unrolled: 3-line block ×6, first 2 shown]
	v_fma_f32 v2, v2, v208, -v3
	v_add_f32_e32 v2, v6, v2
	s_waitcnt vmcnt(0)
	v_mul_f32_e32 v19, v4, v1
	v_fmac_f32_e32 v19, v5, v212
	v_add_f32_e32 v22, v18, v19
	ds_read_b128 v[18:21], v200 offset:592
	buffer_load_dword v213, off, s[0:3], 0 offset:160
	buffer_load_dword v86, off, s[0:3], 0 offset:164
	buffer_load_dword v87, off, s[0:3], 0 offset:168
	buffer_load_dword v88, off, s[0:3], 0 offset:172
	ds_read_b128 v[26:29], v200 offset:608
	buffer_load_dword v89, off, s[0:3], 0 offset:176
	buffer_load_dword v214, off, s[0:3], 0 offset:180
	buffer_load_dword v215, off, s[0:3], 0 offset:184
	buffer_load_dword v90, off, s[0:3], 0 offset:188
	;; [unrolled: 5-line block ×12, first 2 shown]
	v_mul_f32_e32 v1, v5, v1
	v_fma_f32 v1, v4, v212, -v1
	v_add_f32_e32 v1, v2, v1
	s_waitcnt vmcnt(46) lgkmcnt(11)
	v_mul_f32_e32 v23, v18, v86
	v_fmac_f32_e32 v23, v19, v213
	v_add_f32_e32 v22, v22, v23
	s_waitcnt vmcnt(44)
	v_mul_f32_e32 v23, v20, v88
	v_fmac_f32_e32 v23, v21, v87
	v_add_f32_e32 v22, v22, v23
	s_waitcnt vmcnt(42) lgkmcnt(10)
	v_mul_f32_e32 v23, v26, v214
	v_fmac_f32_e32 v23, v27, v89
	v_add_f32_e32 v22, v22, v23
	s_waitcnt vmcnt(40)
	v_mul_f32_e32 v23, v28, v90
	v_fmac_f32_e32 v23, v29, v215
	;; [unrolled: 8-line block ×11, first 2 shown]
	v_add_f32_e32 v22, v22, v23
	s_waitcnt vmcnt(2) lgkmcnt(0)
	v_mul_f32_e32 v23, v66, v232
	v_fmac_f32_e32 v23, v67, v231
	v_add_f32_e32 v73, v22, v23
	ds_read_b128 v[22:25], v200 offset:784
	buffer_load_dword v235, off, s[0:3], 0 offset:352
	buffer_load_dword v236, off, s[0:3], 0 offset:356
	;; [unrolled: 1-line block ×18, first 2 shown]
	v_mul_f32_e32 v2, v19, v86
	v_fma_f32 v2, v18, v213, -v2
	v_add_f32_e32 v1, v1, v2
	v_mul_f32_e32 v2, v21, v88
	v_fma_f32 v2, v20, v87, -v2
	v_add_f32_e32 v1, v1, v2
	;; [unrolled: 3-line block ×22, first 2 shown]
	v_mul_f32_e32 v2, v67, v232
	v_fma_f32 v2, v66, v231, -v2
	s_waitcnt vmcnt(15)
	v_mov_b32_e32 v18, v77
	v_mul_f32_e32 v75, v68, v234
	v_add_f32_e32 v72, v1, v2
	v_mul_f32_e32 v1, v69, v234
	s_waitcnt lgkmcnt(0)
	v_pk_mul_f32 v[18:19], v[24:25], v[18:19] op_sel_hi:[1,0]
	v_fmac_f32_e32 v75, v69, v233
	v_fma_f32 v74, v68, v233, -v1
	ds_read_b128 v[2:5], v200 offset:800
	ds_read_b128 v[6:9], v200 offset:816
	;; [unrolled: 1-line block ×3, first 2 shown]
	ds_read_b64 v[14:15], v200 offset:848
	s_waitcnt vmcnt(14)
	v_pk_fma_f32 v[20:21], v[24:25], v[76:77], v[18:19] op_sel:[0,0,1] op_sel_hi:[1,1,0] neg_lo:[0,0,1] neg_hi:[0,0,1]
	v_pk_fma_f32 v[18:19], v[24:25], v[76:77], v[18:19] op_sel:[0,0,1] op_sel_hi:[1,0,0]
	v_mul_f32_e32 v79, v22, v236
	v_mul_f32_e32 v1, v23, v236
	v_fmac_f32_e32 v79, v23, v235
	v_fma_f32 v78, v22, v235, -v1
	v_pk_add_f32 v[16:17], v[72:73], v[74:75]
	s_waitcnt vmcnt(13)
	v_mov_b32_e32 v18, v199
	v_pk_add_f32 v[16:17], v[16:17], v[78:79]
	v_mov_b32_e32 v21, v19
	s_waitcnt lgkmcnt(3)
	v_pk_mul_f32 v[18:19], v[2:3], v[18:19] op_sel_hi:[1,0]
	v_pk_add_f32 v[16:17], v[16:17], v[20:21]
	s_waitcnt vmcnt(12)
	v_pk_fma_f32 v[20:21], v[2:3], v[198:199], v[18:19] op_sel:[0,0,1] op_sel_hi:[1,1,0] neg_lo:[0,0,1] neg_hi:[0,0,1]
	v_pk_fma_f32 v[2:3], v[2:3], v[198:199], v[18:19] op_sel:[0,0,1] op_sel_hi:[1,0,0]
	v_mov_b32_e32 v21, v3
	v_pk_add_f32 v[2:3], v[16:17], v[20:21]
	s_waitcnt vmcnt(11)
	v_mov_b32_e32 v16, v197
	v_pk_mul_f32 v[16:17], v[4:5], v[16:17] op_sel_hi:[1,0]
	s_waitcnt vmcnt(10)
	v_pk_fma_f32 v[18:19], v[4:5], v[196:197], v[16:17] op_sel:[0,0,1] op_sel_hi:[1,1,0] neg_lo:[0,0,1] neg_hi:[0,0,1]
	v_pk_fma_f32 v[4:5], v[4:5], v[196:197], v[16:17] op_sel:[0,0,1] op_sel_hi:[1,0,0]
	s_waitcnt vmcnt(9)
	v_mov_b32_e32 v4, v195
	v_mov_b32_e32 v19, v5
	s_waitcnt lgkmcnt(2)
	v_pk_mul_f32 v[4:5], v[6:7], v[4:5] op_sel_hi:[1,0]
	s_waitcnt vmcnt(8)
	v_pk_fma_f32 v[16:17], v[6:7], v[194:195], v[4:5] op_sel:[0,0,1] op_sel_hi:[1,1,0] neg_lo:[0,0,1] neg_hi:[0,0,1]
	v_pk_fma_f32 v[4:5], v[6:7], v[194:195], v[4:5] op_sel:[0,0,1] op_sel_hi:[1,0,0]
	s_waitcnt vmcnt(7)
	v_mov_b32_e32 v4, v193
	v_mov_b32_e32 v17, v5
	v_pk_mul_f32 v[4:5], v[8:9], v[4:5] op_sel_hi:[1,0]
	s_waitcnt vmcnt(6)
	v_pk_fma_f32 v[6:7], v[8:9], v[192:193], v[4:5] op_sel:[0,0,1] op_sel_hi:[1,1,0] neg_lo:[0,0,1] neg_hi:[0,0,1]
	v_pk_fma_f32 v[4:5], v[8:9], v[192:193], v[4:5] op_sel:[0,0,1] op_sel_hi:[1,0,0]
	v_pk_add_f32 v[2:3], v[2:3], v[18:19]
	s_waitcnt vmcnt(5)
	v_mov_b32_e32 v4, v85
	v_pk_add_f32 v[2:3], v[2:3], v[16:17]
	v_mov_b32_e32 v7, v5
	s_waitcnt lgkmcnt(1)
	v_pk_mul_f32 v[4:5], v[10:11], v[4:5] op_sel_hi:[1,0]
	v_pk_add_f32 v[2:3], v[2:3], v[6:7]
	s_waitcnt vmcnt(4)
	v_pk_fma_f32 v[6:7], v[10:11], v[84:85], v[4:5] op_sel:[0,0,1] op_sel_hi:[1,1,0] neg_lo:[0,0,1] neg_hi:[0,0,1]
	v_pk_fma_f32 v[4:5], v[10:11], v[84:85], v[4:5] op_sel:[0,0,1] op_sel_hi:[1,0,0]
	s_waitcnt vmcnt(3)
	v_mov_b32_e32 v4, v83
	v_mov_b32_e32 v7, v5
	v_pk_mul_f32 v[4:5], v[12:13], v[4:5] op_sel_hi:[1,0]
	v_pk_add_f32 v[2:3], v[2:3], v[6:7]
	s_waitcnt vmcnt(2)
	v_pk_fma_f32 v[6:7], v[12:13], v[82:83], v[4:5] op_sel:[0,0,1] op_sel_hi:[1,1,0] neg_lo:[0,0,1] neg_hi:[0,0,1]
	v_pk_fma_f32 v[4:5], v[12:13], v[82:83], v[4:5] op_sel:[0,0,1] op_sel_hi:[1,0,0]
	s_waitcnt vmcnt(1)
	v_mov_b32_e32 v4, v81
	v_mov_b32_e32 v7, v5
	s_waitcnt lgkmcnt(0)
	v_pk_mul_f32 v[4:5], v[14:15], v[4:5] op_sel_hi:[1,0]
	v_pk_add_f32 v[2:3], v[2:3], v[6:7]
	s_waitcnt vmcnt(0)
	v_pk_fma_f32 v[6:7], v[14:15], v[80:81], v[4:5] op_sel:[0,0,1] op_sel_hi:[1,1,0] neg_lo:[0,0,1] neg_hi:[0,0,1]
	v_pk_fma_f32 v[4:5], v[14:15], v[80:81], v[4:5] op_sel:[0,0,1] op_sel_hi:[1,0,0]
	v_mov_b32_e32 v7, v5
	v_pk_add_f32 v[2:3], v[2:3], v[6:7]
	v_pk_add_f32 v[2:3], v[70:71], v[2:3] neg_lo:[0,1] neg_hi:[0,1]
	buffer_store_dword v3, off, s[0:3], 0 offset:92
	buffer_store_dword v2, off, s[0:3], 0 offset:88
	s_and_saveexec_b64 s[4:5], vcc
	s_cbranch_execz .LBB116_311
; %bb.310:
	buffer_load_dword v2, off, s[0:3], 0 offset:80
	buffer_load_dword v3, off, s[0:3], 0 offset:84
	v_accvgpr_read_b32 v1, a48
	buffer_store_dword v200, off, s[0:3], 0 offset:80
	buffer_store_dword v200, off, s[0:3], 0 offset:84
	s_waitcnt vmcnt(2)
	ds_write_b64 v1, v[2:3]
.LBB116_311:
	s_or_b64 exec, exec, s[4:5]
	s_waitcnt lgkmcnt(0)
	; wave barrier
	s_waitcnt lgkmcnt(0)
	buffer_load_dword v1, off, s[0:3], 0 offset:92
	buffer_load_dword v78, off, s[0:3], 0 offset:100
	buffer_load_dword v80, off, s[0:3], 0 offset:116
	buffer_load_dword v82, off, s[0:3], 0 offset:124
	buffer_load_dword v98, off, s[0:3], 0 offset:132
	buffer_load_dword v99, off, s[0:3], 0 offset:108
	buffer_load_dword v100, off, s[0:3], 0 offset:140
	buffer_load_dword v101, off, s[0:3], 0 offset:148
	buffer_load_dword v102, off, s[0:3], 0 offset:104
	buffer_load_dword v103, off, s[0:3], 0 offset:96
	buffer_load_dword v104, off, s[0:3], 0 offset:88
	buffer_load_dword v105, off, s[0:3], 0 offset:136
	buffer_load_dword v106, off, s[0:3], 0 offset:128
	buffer_load_dword v107, off, s[0:3], 0 offset:120
	buffer_load_dword v108, off, s[0:3], 0 offset:112
	buffer_load_dword v109, off, s[0:3], 0 offset:168
	buffer_load_dword v110, off, s[0:3], 0 offset:160
	buffer_load_dword v111, off, s[0:3], 0 offset:152
	buffer_load_dword v192, off, s[0:3], 0 offset:144
	buffer_load_dword v193, off, s[0:3], 0 offset:156
	buffer_load_dword v194, off, s[0:3], 0 offset:164
	buffer_load_dword v195, off, s[0:3], 0 offset:172
	buffer_load_dword v26, off, s[0:3], 0 offset:80
	buffer_load_dword v27, off, s[0:3], 0 offset:84
	ds_read2_b64 v[22:25], v200 offset0:65 offset1:66
	ds_read2_b64 v[18:21], v200 offset0:67 offset1:68
	;; [unrolled: 1-line block ×4, first 2 shown]
	buffer_load_dword v196, off, s[0:3], 0 offset:176
	buffer_load_dword v197, off, s[0:3], 0 offset:180
	ds_read2_b64 v[10:13], v200 offset0:73 offset1:74
	ds_read2_b64 v[2:5], v200 offset0:75 offset1:76
	buffer_load_dword v198, off, s[0:3], 0 offset:184
	buffer_load_dword v199, off, s[0:3], 0 offset:188
	buffer_load_dword v201, off, s[0:3], 0 offset:192
	buffer_load_dword v202, off, s[0:3], 0 offset:196
	buffer_load_dword v203, off, s[0:3], 0 offset:200
	buffer_load_dword v204, off, s[0:3], 0 offset:204
	buffer_load_dword v205, off, s[0:3], 0 offset:208
	buffer_load_dword v206, off, s[0:3], 0 offset:212
	buffer_load_dword v207, off, s[0:3], 0 offset:216
	buffer_load_dword v208, off, s[0:3], 0 offset:220
	buffer_load_dword v209, off, s[0:3], 0 offset:224
	buffer_load_dword v210, off, s[0:3], 0 offset:228
	buffer_load_dword v211, off, s[0:3], 0 offset:232
	buffer_load_dword v212, off, s[0:3], 0 offset:236
	buffer_load_dword v213, off, s[0:3], 0 offset:240
	buffer_load_dword v214, off, s[0:3], 0 offset:244
	buffer_load_dword v215, off, s[0:3], 0 offset:248
	buffer_load_dword v216, off, s[0:3], 0 offset:252
	buffer_load_dword v217, off, s[0:3], 0 offset:256
	buffer_load_dword v218, off, s[0:3], 0 offset:260
	buffer_load_dword v219, off, s[0:3], 0 offset:264
	buffer_load_dword v220, off, s[0:3], 0 offset:268
	buffer_load_dword v221, off, s[0:3], 0 offset:272
	buffer_load_dword v222, off, s[0:3], 0 offset:276
	buffer_load_dword v223, off, s[0:3], 0 offset:280
	buffer_load_dword v224, off, s[0:3], 0 offset:284
	buffer_load_dword v225, off, s[0:3], 0 offset:288
	buffer_load_dword v226, off, s[0:3], 0 offset:292
	buffer_load_dword v227, off, s[0:3], 0 offset:296
	buffer_load_dword v228, off, s[0:3], 0 offset:300
	buffer_load_dword v229, off, s[0:3], 0 offset:304
	buffer_load_dword v230, off, s[0:3], 0 offset:308
	buffer_load_dword v231, off, s[0:3], 0 offset:312
	buffer_load_dword v232, off, s[0:3], 0 offset:316
	buffer_load_dword v233, off, s[0:3], 0 offset:320
	buffer_load_dword v234, off, s[0:3], 0 offset:324
	buffer_load_dword v235, off, s[0:3], 0 offset:328
	buffer_load_dword v236, off, s[0:3], 0 offset:332
	buffer_load_dword v237, off, s[0:3], 0 offset:336
	buffer_load_dword v238, off, s[0:3], 0 offset:340
	buffer_load_dword v239, off, s[0:3], 0 offset:344
	buffer_load_dword v240, off, s[0:3], 0 offset:348
	buffer_load_dword v241, off, s[0:3], 0 offset:352
	buffer_load_dword v242, off, s[0:3], 0 offset:356
	v_cmp_lt_u32_e32 vcc, 9, v0
	s_waitcnt vmcnt(62) lgkmcnt(5)
	v_mul_f32_e32 v28, v22, v1
	v_mul_f32_e32 v29, v24, v78
	s_waitcnt lgkmcnt(4)
	v_mul_f32_e32 v31, v20, v80
	s_waitcnt lgkmcnt(3)
	v_mul_f32_e32 v32, v14, v82
	v_mul_f32_e32 v33, v16, v98
	;; [unrolled: 1-line block ×3, first 2 shown]
	s_waitcnt lgkmcnt(2)
	v_mul_f32_e32 v34, v6, v100
	v_mul_f32_e32 v35, v8, v101
	s_waitcnt vmcnt(61)
	v_fmac_f32_e32 v30, v19, v102
	s_waitcnt vmcnt(60)
	v_fmac_f32_e32 v29, v25, v103
	;; [unrolled: 2-line block ×3, first 2 shown]
	v_add_f32_e32 v28, 0, v28
	v_add_f32_e32 v28, v28, v29
	;; [unrolled: 1-line block ×3, first 2 shown]
	s_waitcnt vmcnt(55)
	v_fmac_f32_e32 v31, v21, v108
	v_fmac_f32_e32 v32, v15, v107
	v_add_f32_e32 v28, v28, v31
	v_fmac_f32_e32 v33, v17, v106
	v_add_f32_e32 v28, v28, v32
	;; [unrolled: 2-line block ×3, first 2 shown]
	s_waitcnt vmcnt(51)
	v_fmac_f32_e32 v35, v9, v192
	v_add_f32_e32 v28, v28, v34
	s_waitcnt vmcnt(50) lgkmcnt(1)
	v_mul_f32_e32 v29, v10, v193
	v_add_f32_e32 v28, v28, v35
	v_fmac_f32_e32 v29, v11, v111
	v_add_f32_e32 v28, v28, v29
	s_waitcnt vmcnt(49)
	v_mul_f32_e32 v29, v12, v194
	v_fmac_f32_e32 v29, v13, v110
	v_add_f32_e32 v28, v28, v29
	s_waitcnt vmcnt(48) lgkmcnt(0)
	v_mul_f32_e32 v29, v2, v195
	v_fmac_f32_e32 v29, v3, v109
	v_add_f32_e32 v32, v28, v29
	ds_read2_b64 v[28:31], v200 offset0:77 offset1:78
	s_waitcnt vmcnt(44)
	v_mul_f32_e32 v33, v4, v197
	v_fmac_f32_e32 v33, v5, v196
	v_add_f32_e32 v36, v32, v33
	ds_read2_b64 v[32:35], v200 offset0:79 offset1:80
	s_waitcnt vmcnt(42) lgkmcnt(1)
	v_mul_f32_e32 v37, v28, v199
	v_fmac_f32_e32 v37, v29, v198
	v_add_f32_e32 v36, v36, v37
	s_waitcnt vmcnt(40)
	v_mul_f32_e32 v37, v30, v202
	v_fmac_f32_e32 v37, v31, v201
	v_add_f32_e32 v36, v36, v37
	s_waitcnt vmcnt(38) lgkmcnt(0)
	v_mul_f32_e32 v37, v32, v204
	v_fmac_f32_e32 v37, v33, v203
	v_add_f32_e32 v40, v36, v37
	ds_read2_b64 v[36:39], v200 offset0:81 offset1:82
	s_waitcnt vmcnt(36)
	v_mul_f32_e32 v41, v34, v206
	v_fmac_f32_e32 v41, v35, v205
	v_add_f32_e32 v44, v40, v41
	ds_read2_b64 v[40:43], v200 offset0:83 offset1:84
	s_waitcnt vmcnt(34) lgkmcnt(1)
	v_mul_f32_e32 v45, v36, v208
	;; [unrolled: 18-line block ×4, first 2 shown]
	v_fmac_f32_e32 v61, v53, v223
	v_add_f32_e32 v60, v60, v61
	s_waitcnt vmcnt(16)
	v_mul_f32_e32 v61, v54, v226
	v_fmac_f32_e32 v61, v55, v225
	v_add_f32_e32 v60, v60, v61
	s_waitcnt vmcnt(14) lgkmcnt(0)
	v_mul_f32_e32 v61, v56, v228
	v_fmac_f32_e32 v61, v57, v227
	v_add_f32_e32 v64, v60, v61
	ds_read2_b64 v[60:63], v200 offset0:93 offset1:94
	s_waitcnt vmcnt(12)
	v_mul_f32_e32 v65, v58, v230
	v_fmac_f32_e32 v65, v59, v229
	v_add_f32_e32 v68, v64, v65
	ds_read2_b64 v[64:67], v200 offset0:95 offset1:96
	buffer_load_dword v77, off, s[0:3], 0 offset:364
	buffer_load_dword v76, off, s[0:3], 0 offset:360
	s_waitcnt vmcnt(12) lgkmcnt(1)
	v_mul_f32_e32 v69, v60, v232
	v_fmac_f32_e32 v69, v61, v231
	v_add_f32_e32 v68, v68, v69
	s_waitcnt vmcnt(10)
	v_mul_f32_e32 v69, v62, v234
	v_fmac_f32_e32 v69, v63, v233
	v_add_f32_e32 v68, v68, v69
	s_waitcnt vmcnt(8) lgkmcnt(0)
	v_mul_f32_e32 v69, v64, v236
	v_fmac_f32_e32 v69, v65, v235
	s_waitcnt vmcnt(6)
	v_mul_f32_e32 v73, v66, v238
	v_add_f32_e32 v72, v68, v69
	v_fmac_f32_e32 v73, v67, v237
	ds_read2_b64 v[68:71], v200 offset0:97 offset1:98
	v_add_f32_e32 v79, v72, v73
	ds_read2_b64 v[72:75], v200 offset0:99 offset1:100
	buffer_load_dword v85, off, s[0:3], 0 offset:396
	buffer_load_dword v84, off, s[0:3], 0 offset:392
	;; [unrolled: 1-line block ×14, first 2 shown]
	v_mul_f32_e32 v1, v23, v1
	v_fma_f32 v1, v22, v104, -v1
	v_mul_f32_e32 v22, v25, v78
	v_add_f32_e32 v1, 0, v1
	v_fma_f32 v22, v24, v103, -v22
	v_mul_f32_e32 v19, v19, v99
	v_add_f32_e32 v1, v1, v22
	v_fma_f32 v18, v18, v102, -v19
	v_add_f32_e32 v1, v1, v18
	v_mul_f32_e32 v18, v21, v80
	v_fma_f32 v18, v20, v108, -v18
	v_mul_f32_e32 v15, v15, v82
	v_add_f32_e32 v1, v1, v18
	v_fma_f32 v14, v14, v107, -v15
	v_add_f32_e32 v1, v1, v14
	v_mul_f32_e32 v14, v17, v98
	;; [unrolled: 6-line block ×3, first 2 shown]
	v_fma_f32 v6, v8, v192, -v6
	v_add_f32_e32 v1, v1, v6
	v_mul_f32_e32 v6, v11, v193
	v_fma_f32 v6, v10, v111, -v6
	v_add_f32_e32 v1, v1, v6
	v_mul_f32_e32 v6, v13, v194
	v_fma_f32 v6, v12, v110, -v6
	v_mul_f32_e32 v3, v3, v195
	v_add_f32_e32 v1, v1, v6
	v_fma_f32 v2, v2, v109, -v3
	v_add_f32_e32 v1, v1, v2
	v_mul_f32_e32 v2, v5, v197
	v_fma_f32 v2, v4, v196, -v2
	v_add_f32_e32 v1, v1, v2
	v_mul_f32_e32 v2, v29, v199
	;; [unrolled: 3-line block ×21, first 2 shown]
	v_fma_f32 v2, v66, v237, -v2
	s_waitcnt vmcnt(15)
	v_mov_b32_e32 v16, v77
	s_waitcnt lgkmcnt(1)
	v_mul_f32_e32 v81, v68, v240
	v_add_f32_e32 v78, v1, v2
	v_mul_f32_e32 v1, v69, v240
	s_waitcnt lgkmcnt(0)
	v_pk_mul_f32 v[16:17], v[72:73], v[16:17] op_sel_hi:[1,0]
	v_fmac_f32_e32 v81, v69, v239
	v_mul_f32_e32 v83, v70, v242
	v_fma_f32 v80, v68, v239, -v1
	v_mul_f32_e32 v1, v71, v242
	s_waitcnt vmcnt(14)
	v_pk_fma_f32 v[18:19], v[72:73], v[76:77], v[16:17] op_sel:[0,0,1] op_sel_hi:[1,1,0] neg_lo:[0,0,1] neg_hi:[0,0,1]
	v_pk_fma_f32 v[16:17], v[72:73], v[76:77], v[16:17] op_sel:[0,0,1] op_sel_hi:[1,0,0]
	v_fmac_f32_e32 v83, v71, v241
	v_fma_f32 v82, v70, v241, -v1
	v_pk_add_f32 v[14:15], v[78:79], v[80:81]
	s_waitcnt vmcnt(7)
	v_mov_b32_e32 v16, v91
	ds_read2_b64 v[2:5], v200 offset0:101 offset1:102
	ds_read2_b64 v[6:9], v200 offset0:103 offset1:104
	;; [unrolled: 1-line block ×3, first 2 shown]
	v_pk_add_f32 v[14:15], v[14:15], v[82:83]
	v_mov_b32_e32 v19, v17
	v_pk_mul_f32 v[16:17], v[74:75], v[16:17] op_sel_hi:[1,0]
	v_pk_add_f32 v[14:15], v[14:15], v[18:19]
	s_waitcnt vmcnt(6)
	v_pk_fma_f32 v[18:19], v[74:75], v[90:91], v[16:17] op_sel:[0,0,1] op_sel_hi:[1,1,0] neg_lo:[0,0,1] neg_hi:[0,0,1]
	v_pk_fma_f32 v[16:17], v[74:75], v[90:91], v[16:17] op_sel:[0,0,1] op_sel_hi:[1,0,0]
	v_mov_b32_e32 v16, v89
	v_mov_b32_e32 v19, v17
	s_waitcnt lgkmcnt(2)
	v_pk_mul_f32 v[16:17], v[2:3], v[16:17] op_sel_hi:[1,0]
	v_pk_add_f32 v[14:15], v[14:15], v[18:19]
	v_pk_fma_f32 v[18:19], v[2:3], v[88:89], v[16:17] op_sel:[0,0,1] op_sel_hi:[1,1,0] neg_lo:[0,0,1] neg_hi:[0,0,1]
	v_pk_fma_f32 v[2:3], v[2:3], v[88:89], v[16:17] op_sel:[0,0,1] op_sel_hi:[1,0,0]
	v_mov_b32_e32 v19, v3
	v_pk_add_f32 v[2:3], v[14:15], v[18:19]
	v_mov_b32_e32 v14, v87
	v_pk_mul_f32 v[14:15], v[4:5], v[14:15] op_sel_hi:[1,0]
	v_pk_fma_f32 v[16:17], v[4:5], v[86:87], v[14:15] op_sel:[0,0,1] op_sel_hi:[1,1,0] neg_lo:[0,0,1] neg_hi:[0,0,1]
	v_pk_fma_f32 v[4:5], v[4:5], v[86:87], v[14:15] op_sel:[0,0,1] op_sel_hi:[1,0,0]
	v_mov_b32_e32 v4, v85
	v_mov_b32_e32 v17, v5
	s_waitcnt lgkmcnt(1)
	v_pk_mul_f32 v[4:5], v[6:7], v[4:5] op_sel_hi:[1,0]
	v_pk_fma_f32 v[14:15], v[6:7], v[84:85], v[4:5] op_sel:[0,0,1] op_sel_hi:[1,1,0] neg_lo:[0,0,1] neg_hi:[0,0,1]
	v_pk_fma_f32 v[4:5], v[6:7], v[84:85], v[4:5] op_sel:[0,0,1] op_sel_hi:[1,0,0]
	s_waitcnt vmcnt(1)
	v_mov_b32_e32 v4, v97
	v_mov_b32_e32 v15, v5
	v_pk_mul_f32 v[4:5], v[8:9], v[4:5] op_sel_hi:[1,0]
	s_waitcnt vmcnt(0)
	v_pk_fma_f32 v[6:7], v[8:9], v[96:97], v[4:5] op_sel:[0,0,1] op_sel_hi:[1,1,0] neg_lo:[0,0,1] neg_hi:[0,0,1]
	v_pk_fma_f32 v[4:5], v[8:9], v[96:97], v[4:5] op_sel:[0,0,1] op_sel_hi:[1,0,0]
	v_pk_add_f32 v[2:3], v[2:3], v[16:17]
	v_mov_b32_e32 v4, v95
	v_pk_add_f32 v[2:3], v[2:3], v[14:15]
	v_mov_b32_e32 v7, v5
	s_waitcnt lgkmcnt(0)
	v_pk_mul_f32 v[4:5], v[10:11], v[4:5] op_sel_hi:[1,0]
	v_pk_add_f32 v[2:3], v[2:3], v[6:7]
	v_pk_fma_f32 v[6:7], v[10:11], v[94:95], v[4:5] op_sel:[0,0,1] op_sel_hi:[1,1,0] neg_lo:[0,0,1] neg_hi:[0,0,1]
	v_pk_fma_f32 v[4:5], v[10:11], v[94:95], v[4:5] op_sel:[0,0,1] op_sel_hi:[1,0,0]
	v_mov_b32_e32 v4, v93
	v_mov_b32_e32 v7, v5
	v_pk_mul_f32 v[4:5], v[12:13], v[4:5] op_sel_hi:[1,0]
	v_pk_add_f32 v[2:3], v[2:3], v[6:7]
	v_pk_fma_f32 v[6:7], v[12:13], v[92:93], v[4:5] op_sel:[0,0,1] op_sel_hi:[1,1,0] neg_lo:[0,0,1] neg_hi:[0,0,1]
	v_pk_fma_f32 v[4:5], v[12:13], v[92:93], v[4:5] op_sel:[0,0,1] op_sel_hi:[1,0,0]
	v_mov_b32_e32 v7, v5
	v_pk_add_f32 v[2:3], v[2:3], v[6:7]
	v_pk_add_f32 v[2:3], v[26:27], v[2:3] neg_lo:[0,1] neg_hi:[0,1]
	buffer_store_dword v3, off, s[0:3], 0 offset:84
	buffer_store_dword v2, off, s[0:3], 0 offset:80
	s_and_saveexec_b64 s[4:5], vcc
	s_cbranch_execz .LBB116_313
; %bb.312:
	buffer_load_dword v2, off, s[0:3], 0 offset:72
	buffer_load_dword v3, off, s[0:3], 0 offset:76
	v_mov_b32_e32 v1, 0
	v_accvgpr_read_b32 v4, a48
	buffer_store_dword v1, off, s[0:3], 0 offset:72
	buffer_store_dword v1, off, s[0:3], 0 offset:76
	s_waitcnt vmcnt(2)
	ds_write_b64 v4, v[2:3]
.LBB116_313:
	s_or_b64 exec, exec, s[4:5]
	s_waitcnt lgkmcnt(0)
	; wave barrier
	s_waitcnt lgkmcnt(0)
	buffer_load_dword v1, off, s[0:3], 0 offset:84
	buffer_load_dword v29, off, s[0:3], 0 offset:92
	buffer_load_dword v78, off, s[0:3], 0 offset:108
	buffer_load_dword v80, off, s[0:3], 0 offset:116
	buffer_load_dword v82, off, s[0:3], 0 offset:124
	buffer_load_dword v100, off, s[0:3], 0 offset:100
	buffer_load_dword v101, off, s[0:3], 0 offset:132
	buffer_load_dword v102, off, s[0:3], 0 offset:140
	buffer_load_dword v103, off, s[0:3], 0 offset:148
	buffer_load_dword v104, off, s[0:3], 0 offset:96
	buffer_load_dword v105, off, s[0:3], 0 offset:88
	buffer_load_dword v106, off, s[0:3], 0 offset:80
	buffer_load_dword v107, off, s[0:3], 0 offset:128
	buffer_load_dword v108, off, s[0:3], 0 offset:120
	buffer_load_dword v109, off, s[0:3], 0 offset:112
	buffer_load_dword v110, off, s[0:3], 0 offset:104
	buffer_load_dword v111, off, s[0:3], 0 offset:160
	buffer_load_dword v192, off, s[0:3], 0 offset:152
	buffer_load_dword v193, off, s[0:3], 0 offset:144
	buffer_load_dword v194, off, s[0:3], 0 offset:136
	buffer_load_dword v195, off, s[0:3], 0 offset:156
	buffer_load_dword v196, off, s[0:3], 0 offset:164
	buffer_load_dword v2, off, s[0:3], 0 offset:72
	buffer_load_dword v3, off, s[0:3], 0 offset:76
	buffer_load_dword v197, off, s[0:3], 0 offset:168
	buffer_load_dword v198, off, s[0:3], 0 offset:172
	buffer_load_dword v199, off, s[0:3], 0 offset:176
	buffer_load_dword v200, off, s[0:3], 0 offset:180
	buffer_load_dword v201, off, s[0:3], 0 offset:184
	buffer_load_dword v202, off, s[0:3], 0 offset:188
	buffer_load_dword v203, off, s[0:3], 0 offset:192
	buffer_load_dword v204, off, s[0:3], 0 offset:196
	buffer_load_dword v205, off, s[0:3], 0 offset:200
	buffer_load_dword v206, off, s[0:3], 0 offset:204
	buffer_load_dword v207, off, s[0:3], 0 offset:208
	buffer_load_dword v208, off, s[0:3], 0 offset:212
	buffer_load_dword v209, off, s[0:3], 0 offset:216
	buffer_load_dword v210, off, s[0:3], 0 offset:220
	buffer_load_dword v211, off, s[0:3], 0 offset:224
	buffer_load_dword v212, off, s[0:3], 0 offset:228
	buffer_load_dword v213, off, s[0:3], 0 offset:232
	buffer_load_dword v214, off, s[0:3], 0 offset:236
	buffer_load_dword v215, off, s[0:3], 0 offset:240
	buffer_load_dword v216, off, s[0:3], 0 offset:244
	buffer_load_dword v217, off, s[0:3], 0 offset:248
	buffer_load_dword v218, off, s[0:3], 0 offset:252
	buffer_load_dword v219, off, s[0:3], 0 offset:256
	buffer_load_dword v220, off, s[0:3], 0 offset:260
	buffer_load_dword v221, off, s[0:3], 0 offset:264
	buffer_load_dword v222, off, s[0:3], 0 offset:268
	buffer_load_dword v223, off, s[0:3], 0 offset:272
	buffer_load_dword v224, off, s[0:3], 0 offset:276
	buffer_load_dword v225, off, s[0:3], 0 offset:280
	buffer_load_dword v226, off, s[0:3], 0 offset:284
	buffer_load_dword v227, off, s[0:3], 0 offset:288
	buffer_load_dword v228, off, s[0:3], 0 offset:292
	v_mov_b32_e32 v28, 0
	ds_read_b128 v[4:7], v28 offset:512
	ds_read_b128 v[8:11], v28 offset:528
	;; [unrolled: 1-line block ×6, first 2 shown]
	buffer_load_dword v229, off, s[0:3], 0 offset:296
	buffer_load_dword v230, off, s[0:3], 0 offset:300
	;; [unrolled: 1-line block ×16, first 2 shown]
	v_cmp_lt_u32_e32 vcc, 8, v0
	s_waitcnt vmcnt(62) lgkmcnt(5)
	v_mul_f32_e32 v30, v4, v1
	v_mul_f32_e32 v31, v6, v29
	s_waitcnt lgkmcnt(4)
	v_mul_f32_e32 v33, v10, v78
	s_waitcnt lgkmcnt(3)
	v_mul_f32_e32 v34, v12, v80
	v_mul_f32_e32 v35, v14, v82
	v_mul_f32_e32 v32, v8, v100
	s_waitcnt lgkmcnt(2)
	v_mul_f32_e32 v36, v16, v101
	v_mul_f32_e32 v37, v18, v102
	s_waitcnt lgkmcnt(1)
	v_mul_f32_e32 v38, v20, v103
	v_fmac_f32_e32 v32, v9, v104
	s_waitcnt vmcnt(61)
	v_fmac_f32_e32 v31, v7, v105
	s_waitcnt vmcnt(60)
	v_fmac_f32_e32 v30, v5, v106
	v_add_f32_e32 v30, 0, v30
	v_add_f32_e32 v30, v30, v31
	;; [unrolled: 1-line block ×3, first 2 shown]
	s_waitcnt vmcnt(56)
	v_fmac_f32_e32 v33, v11, v110
	v_fmac_f32_e32 v34, v13, v109
	v_add_f32_e32 v30, v30, v33
	v_fmac_f32_e32 v35, v15, v108
	v_add_f32_e32 v30, v30, v34
	v_fmac_f32_e32 v36, v17, v107
	v_add_f32_e32 v30, v30, v35
	s_waitcnt vmcnt(52)
	v_fmac_f32_e32 v37, v19, v194
	v_add_f32_e32 v30, v30, v36
	v_add_f32_e32 v30, v30, v37
	v_fmac_f32_e32 v38, v21, v193
	s_waitcnt vmcnt(51)
	v_mul_f32_e32 v31, v22, v195
	v_add_f32_e32 v30, v30, v38
	v_fmac_f32_e32 v31, v23, v192
	v_add_f32_e32 v30, v30, v31
	s_waitcnt vmcnt(50) lgkmcnt(0)
	v_mul_f32_e32 v31, v24, v196
	v_fmac_f32_e32 v31, v25, v111
	v_add_f32_e32 v34, v30, v31
	ds_read_b128 v[30:33], v28 offset:608
	s_waitcnt vmcnt(46)
	v_mul_f32_e32 v35, v26, v198
	v_fmac_f32_e32 v35, v27, v197
	v_add_f32_e32 v38, v34, v35
	ds_read_b128 v[34:37], v28 offset:624
	s_waitcnt vmcnt(44) lgkmcnt(1)
	v_mul_f32_e32 v39, v30, v200
	v_fmac_f32_e32 v39, v31, v199
	v_add_f32_e32 v38, v38, v39
	s_waitcnt vmcnt(42)
	v_mul_f32_e32 v39, v32, v202
	v_fmac_f32_e32 v39, v33, v201
	v_add_f32_e32 v38, v38, v39
	s_waitcnt vmcnt(40) lgkmcnt(0)
	v_mul_f32_e32 v39, v34, v204
	v_fmac_f32_e32 v39, v35, v203
	v_add_f32_e32 v42, v38, v39
	ds_read_b128 v[38:41], v28 offset:640
	s_waitcnt vmcnt(38)
	v_mul_f32_e32 v43, v36, v206
	v_fmac_f32_e32 v43, v37, v205
	v_add_f32_e32 v46, v42, v43
	ds_read_b128 v[42:45], v28 offset:656
	s_waitcnt vmcnt(36) lgkmcnt(1)
	v_mul_f32_e32 v47, v38, v208
	v_fmac_f32_e32 v47, v39, v207
	v_add_f32_e32 v46, v46, v47
	s_waitcnt vmcnt(34)
	v_mul_f32_e32 v47, v40, v210
	;; [unrolled: 18-line block ×5, first 2 shown]
	v_fmac_f32_e32 v71, v65, v233
	v_add_f32_e32 v70, v70, v71
	s_waitcnt vmcnt(8) lgkmcnt(0)
	v_mul_f32_e32 v71, v66, v236
	v_fmac_f32_e32 v71, v67, v235
	s_waitcnt vmcnt(6)
	v_mul_f32_e32 v75, v68, v238
	v_add_f32_e32 v74, v70, v71
	v_fmac_f32_e32 v75, v69, v237
	ds_read_b128 v[70:73], v28 offset:768
	v_add_f32_e32 v79, v74, v75
	ds_read_b128 v[74:77], v28 offset:784
	buffer_load_dword v85, off, s[0:3], 0 offset:388
	buffer_load_dword v84, off, s[0:3], 0 offset:384
	;; [unrolled: 1-line block ×16, first 2 shown]
	v_mul_f32_e32 v1, v5, v1
	v_fma_f32 v1, v4, v106, -v1
	v_mul_f32_e32 v4, v7, v29
	v_add_f32_e32 v1, 0, v1
	v_fma_f32 v4, v6, v105, -v4
	v_add_f32_e32 v1, v1, v4
	v_mul_f32_e32 v4, v9, v100
	v_fma_f32 v4, v8, v104, -v4
	v_add_f32_e32 v1, v1, v4
	v_mul_f32_e32 v4, v11, v78
	;; [unrolled: 3-line block ×30, first 2 shown]
	v_fma_f32 v4, v68, v237, -v4
	s_waitcnt vmcnt(20) lgkmcnt(1)
	v_mul_f32_e32 v81, v70, v240
	v_add_f32_e32 v1, v1, v4
	v_mul_f32_e32 v4, v71, v240
	v_fmac_f32_e32 v81, v71, v239
	v_fma_f32 v4, v70, v239, -v4
	s_waitcnt vmcnt(9)
	v_mov_b32_e32 v20, v91
	v_add_f32_e32 v79, v79, v81
	v_mul_f32_e32 v81, v72, v242
	v_add_f32_e32 v78, v1, v4
	v_mul_f32_e32 v1, v73, v242
	s_waitcnt lgkmcnt(0)
	v_pk_mul_f32 v[20:21], v[76:77], v[20:21] op_sel_hi:[1,0]
	v_fmac_f32_e32 v81, v73, v241
	v_mul_f32_e32 v83, v74, v244
	v_fma_f32 v80, v72, v241, -v1
	v_mul_f32_e32 v1, v75, v244
	ds_read_b128 v[4:7], v28 offset:800
	ds_read_b128 v[8:11], v28 offset:816
	ds_read_b128 v[12:15], v28 offset:832
	ds_read_b64 v[16:17], v28 offset:848
	s_waitcnt vmcnt(8)
	v_pk_fma_f32 v[22:23], v[76:77], v[90:91], v[20:21] op_sel:[0,0,1] op_sel_hi:[1,1,0] neg_lo:[0,0,1] neg_hi:[0,0,1]
	v_pk_fma_f32 v[20:21], v[76:77], v[90:91], v[20:21] op_sel:[0,0,1] op_sel_hi:[1,0,0]
	v_fmac_f32_e32 v83, v75, v243
	v_fma_f32 v82, v74, v243, -v1
	v_pk_add_f32 v[18:19], v[78:79], v[80:81]
	v_mov_b32_e32 v20, v89
	v_pk_add_f32 v[18:19], v[18:19], v[82:83]
	v_mov_b32_e32 v23, v21
	s_waitcnt lgkmcnt(3)
	v_pk_mul_f32 v[20:21], v[4:5], v[20:21] op_sel_hi:[1,0]
	v_pk_add_f32 v[18:19], v[18:19], v[22:23]
	v_pk_fma_f32 v[22:23], v[4:5], v[88:89], v[20:21] op_sel:[0,0,1] op_sel_hi:[1,1,0] neg_lo:[0,0,1] neg_hi:[0,0,1]
	v_pk_fma_f32 v[4:5], v[4:5], v[88:89], v[20:21] op_sel:[0,0,1] op_sel_hi:[1,0,0]
	v_mov_b32_e32 v23, v5
	v_pk_add_f32 v[4:5], v[18:19], v[22:23]
	v_mov_b32_e32 v18, v87
	v_pk_mul_f32 v[18:19], v[6:7], v[18:19] op_sel_hi:[1,0]
	v_pk_fma_f32 v[20:21], v[6:7], v[86:87], v[18:19] op_sel:[0,0,1] op_sel_hi:[1,1,0] neg_lo:[0,0,1] neg_hi:[0,0,1]
	v_pk_fma_f32 v[6:7], v[6:7], v[86:87], v[18:19] op_sel:[0,0,1] op_sel_hi:[1,0,0]
	v_mov_b32_e32 v6, v85
	v_mov_b32_e32 v21, v7
	s_waitcnt lgkmcnt(2)
	v_pk_mul_f32 v[6:7], v[8:9], v[6:7] op_sel_hi:[1,0]
	v_pk_fma_f32 v[18:19], v[8:9], v[84:85], v[6:7] op_sel:[0,0,1] op_sel_hi:[1,1,0] neg_lo:[0,0,1] neg_hi:[0,0,1]
	v_pk_fma_f32 v[6:7], v[8:9], v[84:85], v[6:7] op_sel:[0,0,1] op_sel_hi:[1,0,0]
	s_waitcnt vmcnt(1)
	v_mov_b32_e32 v6, v99
	v_mov_b32_e32 v19, v7
	v_pk_mul_f32 v[6:7], v[10:11], v[6:7] op_sel_hi:[1,0]
	s_waitcnt vmcnt(0)
	v_pk_fma_f32 v[8:9], v[10:11], v[98:99], v[6:7] op_sel:[0,0,1] op_sel_hi:[1,1,0] neg_lo:[0,0,1] neg_hi:[0,0,1]
	v_pk_fma_f32 v[6:7], v[10:11], v[98:99], v[6:7] op_sel:[0,0,1] op_sel_hi:[1,0,0]
	v_pk_add_f32 v[4:5], v[4:5], v[20:21]
	v_mov_b32_e32 v6, v97
	v_pk_add_f32 v[4:5], v[4:5], v[18:19]
	v_mov_b32_e32 v9, v7
	s_waitcnt lgkmcnt(1)
	v_pk_mul_f32 v[6:7], v[12:13], v[6:7] op_sel_hi:[1,0]
	v_pk_add_f32 v[4:5], v[4:5], v[8:9]
	v_pk_fma_f32 v[8:9], v[12:13], v[96:97], v[6:7] op_sel:[0,0,1] op_sel_hi:[1,1,0] neg_lo:[0,0,1] neg_hi:[0,0,1]
	v_pk_fma_f32 v[6:7], v[12:13], v[96:97], v[6:7] op_sel:[0,0,1] op_sel_hi:[1,0,0]
	v_mov_b32_e32 v6, v95
	v_mov_b32_e32 v9, v7
	v_pk_mul_f32 v[6:7], v[14:15], v[6:7] op_sel_hi:[1,0]
	v_pk_add_f32 v[4:5], v[4:5], v[8:9]
	v_pk_fma_f32 v[8:9], v[14:15], v[94:95], v[6:7] op_sel:[0,0,1] op_sel_hi:[1,1,0] neg_lo:[0,0,1] neg_hi:[0,0,1]
	v_pk_fma_f32 v[6:7], v[14:15], v[94:95], v[6:7] op_sel:[0,0,1] op_sel_hi:[1,0,0]
	v_mov_b32_e32 v6, v93
	v_mov_b32_e32 v9, v7
	s_waitcnt lgkmcnt(0)
	v_pk_mul_f32 v[6:7], v[16:17], v[6:7] op_sel_hi:[1,0]
	v_pk_add_f32 v[4:5], v[4:5], v[8:9]
	v_pk_fma_f32 v[8:9], v[16:17], v[92:93], v[6:7] op_sel:[0,0,1] op_sel_hi:[1,1,0] neg_lo:[0,0,1] neg_hi:[0,0,1]
	v_pk_fma_f32 v[6:7], v[16:17], v[92:93], v[6:7] op_sel:[0,0,1] op_sel_hi:[1,0,0]
	v_mov_b32_e32 v9, v7
	v_pk_add_f32 v[4:5], v[4:5], v[8:9]
	v_pk_add_f32 v[2:3], v[2:3], v[4:5] neg_lo:[0,1] neg_hi:[0,1]
	buffer_store_dword v3, off, s[0:3], 0 offset:76
	buffer_store_dword v2, off, s[0:3], 0 offset:72
	s_and_saveexec_b64 s[4:5], vcc
	s_cbranch_execz .LBB116_315
; %bb.314:
	buffer_load_dword v2, off, s[0:3], 0 offset:64
	buffer_load_dword v3, off, s[0:3], 0 offset:68
	v_accvgpr_read_b32 v1, a48
	buffer_store_dword v28, off, s[0:3], 0 offset:64
	buffer_store_dword v28, off, s[0:3], 0 offset:68
	s_waitcnt vmcnt(2)
	ds_write_b64 v1, v[2:3]
.LBB116_315:
	s_or_b64 exec, exec, s[4:5]
	s_waitcnt lgkmcnt(0)
	; wave barrier
	s_waitcnt lgkmcnt(0)
	buffer_load_dword v1, off, s[0:3], 0 offset:76
	buffer_load_dword v29, off, s[0:3], 0 offset:84
	;; [unrolled: 1-line block ×26, first 2 shown]
	ds_read2_b64 v[22:25], v28 offset0:63 offset1:64
	ds_read2_b64 v[18:21], v28 offset0:65 offset1:66
	;; [unrolled: 1-line block ×6, first 2 shown]
	buffer_load_dword v199, off, s[0:3], 0 offset:168
	buffer_load_dword v200, off, s[0:3], 0 offset:172
	;; [unrolled: 1-line block ×42, first 2 shown]
	v_cmp_lt_u32_e32 vcc, 7, v0
	s_waitcnt vmcnt(62) lgkmcnt(5)
	v_mul_f32_e32 v30, v22, v1
	v_mul_f32_e32 v31, v24, v29
	s_waitcnt lgkmcnt(4)
	v_mul_f32_e32 v33, v20, v78
	s_waitcnt lgkmcnt(3)
	v_mul_f32_e32 v34, v14, v80
	v_mul_f32_e32 v35, v16, v88
	;; [unrolled: 1-line block ×3, first 2 shown]
	s_waitcnt vmcnt(61) lgkmcnt(2)
	v_mul_f32_e32 v36, v10, v101
	s_waitcnt vmcnt(60)
	v_mul_f32_e32 v37, v12, v102
	s_waitcnt vmcnt(59) lgkmcnt(1)
	v_mul_f32_e32 v38, v6, v103
	s_waitcnt vmcnt(58)
	v_fmac_f32_e32 v32, v19, v104
	s_waitcnt vmcnt(57)
	v_fmac_f32_e32 v31, v25, v105
	;; [unrolled: 2-line block ×3, first 2 shown]
	v_add_f32_e32 v30, 0, v30
	v_add_f32_e32 v30, v30, v31
	;; [unrolled: 1-line block ×3, first 2 shown]
	s_waitcnt vmcnt(52)
	v_fmac_f32_e32 v33, v21, v110
	v_fmac_f32_e32 v34, v15, v109
	v_add_f32_e32 v30, v30, v33
	v_fmac_f32_e32 v35, v17, v108
	v_add_f32_e32 v30, v30, v34
	v_fmac_f32_e32 v36, v11, v107
	v_add_f32_e32 v30, v30, v35
	s_waitcnt vmcnt(48)
	v_fmac_f32_e32 v37, v13, v194
	v_add_f32_e32 v30, v30, v36
	v_fmac_f32_e32 v38, v7, v193
	v_add_f32_e32 v30, v30, v37
	s_waitcnt vmcnt(47)
	v_mul_f32_e32 v31, v8, v195
	v_add_f32_e32 v30, v30, v38
	v_fmac_f32_e32 v31, v9, v192
	v_add_f32_e32 v30, v30, v31
	s_waitcnt vmcnt(46) lgkmcnt(0)
	v_mul_f32_e32 v31, v2, v196
	v_fmac_f32_e32 v31, v3, v111
	v_add_f32_e32 v34, v30, v31
	ds_read2_b64 v[30:33], v28 offset0:75 offset1:76
	s_waitcnt vmcnt(42)
	v_mul_f32_e32 v35, v4, v198
	v_fmac_f32_e32 v35, v5, v197
	buffer_load_dword v241, off, s[0:3], 0 offset:336
	buffer_load_dword v242, off, s[0:3], 0 offset:340
	v_add_f32_e32 v38, v34, v35
	buffer_load_dword v243, off, s[0:3], 0 offset:344
	buffer_load_dword v244, off, s[0:3], 0 offset:348
	ds_read2_b64 v[34:37], v28 offset0:77 offset1:78
	s_waitcnt vmcnt(44) lgkmcnt(1)
	v_mul_f32_e32 v39, v30, v200
	v_fmac_f32_e32 v39, v31, v199
	v_add_f32_e32 v38, v38, v39
	s_waitcnt vmcnt(42)
	v_mul_f32_e32 v39, v32, v202
	v_fmac_f32_e32 v39, v33, v201
	v_add_f32_e32 v38, v38, v39
	s_waitcnt vmcnt(40) lgkmcnt(0)
	v_mul_f32_e32 v39, v34, v204
	v_fmac_f32_e32 v39, v35, v203
	buffer_load_dword v245, off, s[0:3], 0 offset:352
	buffer_load_dword v246, off, s[0:3], 0 offset:356
	v_add_f32_e32 v42, v38, v39
	ds_read2_b64 v[38:41], v28 offset0:79 offset1:80
	s_waitcnt vmcnt(40)
	v_mul_f32_e32 v43, v36, v206
	v_fmac_f32_e32 v43, v37, v205
	v_add_f32_e32 v46, v42, v43
	ds_read2_b64 v[42:45], v28 offset0:81 offset1:82
	s_waitcnt vmcnt(38) lgkmcnt(1)
	v_mul_f32_e32 v47, v38, v208
	v_fmac_f32_e32 v47, v39, v207
	v_add_f32_e32 v46, v46, v47
	s_waitcnt vmcnt(36)
	v_mul_f32_e32 v47, v40, v210
	v_fmac_f32_e32 v47, v41, v209
	v_add_f32_e32 v46, v46, v47
	s_waitcnt vmcnt(34) lgkmcnt(0)
	v_mul_f32_e32 v47, v42, v212
	v_fmac_f32_e32 v47, v43, v211
	v_add_f32_e32 v50, v46, v47
	ds_read2_b64 v[46:49], v28 offset0:83 offset1:84
	s_waitcnt vmcnt(32)
	v_mul_f32_e32 v51, v44, v214
	v_fmac_f32_e32 v51, v45, v213
	v_add_f32_e32 v54, v50, v51
	ds_read2_b64 v[50:53], v28 offset0:85 offset1:86
	s_waitcnt vmcnt(30) lgkmcnt(1)
	v_mul_f32_e32 v55, v46, v216
	v_fmac_f32_e32 v55, v47, v215
	v_add_f32_e32 v54, v54, v55
	s_waitcnt vmcnt(28)
	v_mul_f32_e32 v55, v48, v218
	v_fmac_f32_e32 v55, v49, v217
	v_add_f32_e32 v54, v54, v55
	s_waitcnt vmcnt(26) lgkmcnt(0)
	v_mul_f32_e32 v55, v50, v220
	v_fmac_f32_e32 v55, v51, v219
	;; [unrolled: 18-line block ×4, first 2 shown]
	s_waitcnt vmcnt(8)
	v_mul_f32_e32 v75, v68, v238
	v_add_f32_e32 v74, v70, v71
	v_fmac_f32_e32 v75, v69, v237
	ds_read2_b64 v[70:73], v28 offset0:95 offset1:96
	v_add_f32_e32 v79, v74, v75
	ds_read2_b64 v[74:77], v28 offset0:97 offset1:98
	buffer_load_dword v83, off, s[0:3], 0 offset:380
	buffer_load_dword v82, off, s[0:3], 0 offset:376
	buffer_load_dword v85, off, s[0:3], 0 offset:372
	buffer_load_dword v84, off, s[0:3], 0 offset:368
	buffer_load_dword v87, off, s[0:3], 0 offset:364
	buffer_load_dword v86, off, s[0:3], 0 offset:360
	buffer_load_dword v91, off, s[0:3], 0 offset:412
	buffer_load_dword v90, off, s[0:3], 0 offset:408
	buffer_load_dword v93, off, s[0:3], 0 offset:404
	buffer_load_dword v92, off, s[0:3], 0 offset:400
	buffer_load_dword v95, off, s[0:3], 0 offset:396
	buffer_load_dword v94, off, s[0:3], 0 offset:392
	buffer_load_dword v97, off, s[0:3], 0 offset:388
	buffer_load_dword v96, off, s[0:3], 0 offset:384
	buffer_load_dword v99, off, s[0:3], 0 offset:420
	buffer_load_dword v98, off, s[0:3], 0 offset:416
	v_mul_f32_e32 v1, v23, v1
	v_fma_f32 v1, v22, v106, -v1
	v_mul_f32_e32 v22, v25, v29
	v_add_f32_e32 v1, 0, v1
	v_fma_f32 v22, v24, v105, -v22
	v_mul_f32_e32 v19, v19, v100
	v_add_f32_e32 v1, v1, v22
	v_fma_f32 v18, v18, v104, -v19
	v_add_f32_e32 v1, v1, v18
	v_mul_f32_e32 v18, v21, v78
	v_fma_f32 v18, v20, v110, -v18
	v_mul_f32_e32 v15, v15, v80
	v_add_f32_e32 v1, v1, v18
	v_fma_f32 v14, v14, v109, -v15
	v_add_f32_e32 v1, v1, v14
	v_mul_f32_e32 v14, v17, v88
	;; [unrolled: 6-line block ×5, first 2 shown]
	v_fma_f32 v2, v4, v197, -v2
	v_add_f32_e32 v1, v1, v2
	v_mul_f32_e32 v2, v31, v200
	v_fma_f32 v2, v30, v199, -v2
	v_add_f32_e32 v1, v1, v2
	v_mul_f32_e32 v2, v33, v202
	;; [unrolled: 3-line block ×20, first 2 shown]
	v_fma_f32 v2, v68, v237, -v2
	v_add_f32_e32 v1, v1, v2
	s_waitcnt vmcnt(22) lgkmcnt(1)
	v_mul_f32_e32 v2, v71, v240
	v_mul_f32_e32 v81, v70, v240
	v_fma_f32 v2, v70, v239, -v2
	v_fmac_f32_e32 v81, v71, v239
	v_add_f32_e32 v1, v1, v2
	s_waitcnt vmcnt(20)
	v_mul_f32_e32 v2, v73, v242
	v_add_f32_e32 v79, v79, v81
	v_mul_f32_e32 v81, v72, v242
	v_fma_f32 v2, v72, v241, -v2
	v_fmac_f32_e32 v81, v73, v241
	v_add_f32_e32 v78, v1, v2
	ds_read2_b64 v[2:5], v28 offset0:99 offset1:100
	ds_read2_b64 v[6:9], v28 offset0:101 offset1:102
	;; [unrolled: 1-line block ×4, first 2 shown]
	v_add_f32_e32 v79, v79, v81
	s_waitcnt vmcnt(18) lgkmcnt(4)
	v_mul_f32_e32 v81, v74, v244
	v_mul_f32_e32 v1, v75, v244
	s_waitcnt vmcnt(11)
	v_mov_b32_e32 v20, v87
	v_fmac_f32_e32 v81, v75, v243
	v_mul_f32_e32 v89, v76, v246
	v_fma_f32 v80, v74, v243, -v1
	v_mul_f32_e32 v1, v77, v246
	s_waitcnt lgkmcnt(3)
	v_pk_mul_f32 v[20:21], v[2:3], v[20:21] op_sel_hi:[1,0]
	v_fmac_f32_e32 v89, v77, v245
	v_fma_f32 v88, v76, v245, -v1
	v_pk_add_f32 v[18:19], v[78:79], v[80:81]
	s_waitcnt vmcnt(10)
	v_pk_fma_f32 v[22:23], v[2:3], v[86:87], v[20:21] op_sel:[0,0,1] op_sel_hi:[1,1,0] neg_lo:[0,0,1] neg_hi:[0,0,1]
	v_pk_fma_f32 v[2:3], v[2:3], v[86:87], v[20:21] op_sel:[0,0,1] op_sel_hi:[1,0,0]
	v_pk_add_f32 v[18:19], v[18:19], v[88:89]
	v_mov_b32_e32 v23, v3
	v_pk_add_f32 v[2:3], v[18:19], v[22:23]
	v_mov_b32_e32 v18, v85
	v_pk_mul_f32 v[18:19], v[4:5], v[18:19] op_sel_hi:[1,0]
	v_pk_fma_f32 v[20:21], v[4:5], v[84:85], v[18:19] op_sel:[0,0,1] op_sel_hi:[1,1,0] neg_lo:[0,0,1] neg_hi:[0,0,1]
	v_pk_fma_f32 v[4:5], v[4:5], v[84:85], v[18:19] op_sel:[0,0,1] op_sel_hi:[1,0,0]
	v_mov_b32_e32 v4, v83
	v_mov_b32_e32 v21, v5
	s_waitcnt lgkmcnt(2)
	v_pk_mul_f32 v[4:5], v[6:7], v[4:5] op_sel_hi:[1,0]
	v_pk_fma_f32 v[18:19], v[6:7], v[82:83], v[4:5] op_sel:[0,0,1] op_sel_hi:[1,1,0] neg_lo:[0,0,1] neg_hi:[0,0,1]
	v_pk_fma_f32 v[4:5], v[6:7], v[82:83], v[4:5] op_sel:[0,0,1] op_sel_hi:[1,0,0]
	s_waitcnt vmcnt(3)
	v_mov_b32_e32 v4, v97
	v_mov_b32_e32 v19, v5
	v_pk_mul_f32 v[4:5], v[8:9], v[4:5] op_sel_hi:[1,0]
	s_waitcnt vmcnt(2)
	v_pk_fma_f32 v[6:7], v[8:9], v[96:97], v[4:5] op_sel:[0,0,1] op_sel_hi:[1,1,0] neg_lo:[0,0,1] neg_hi:[0,0,1]
	v_pk_fma_f32 v[4:5], v[8:9], v[96:97], v[4:5] op_sel:[0,0,1] op_sel_hi:[1,0,0]
	v_pk_add_f32 v[2:3], v[2:3], v[20:21]
	v_mov_b32_e32 v4, v95
	v_pk_add_f32 v[2:3], v[2:3], v[18:19]
	v_mov_b32_e32 v7, v5
	s_waitcnt lgkmcnt(1)
	v_pk_mul_f32 v[4:5], v[10:11], v[4:5] op_sel_hi:[1,0]
	v_pk_add_f32 v[2:3], v[2:3], v[6:7]
	v_pk_fma_f32 v[6:7], v[10:11], v[94:95], v[4:5] op_sel:[0,0,1] op_sel_hi:[1,1,0] neg_lo:[0,0,1] neg_hi:[0,0,1]
	v_pk_fma_f32 v[4:5], v[10:11], v[94:95], v[4:5] op_sel:[0,0,1] op_sel_hi:[1,0,0]
	v_mov_b32_e32 v4, v93
	v_mov_b32_e32 v7, v5
	v_pk_mul_f32 v[4:5], v[12:13], v[4:5] op_sel_hi:[1,0]
	v_pk_add_f32 v[2:3], v[2:3], v[6:7]
	v_pk_fma_f32 v[6:7], v[12:13], v[92:93], v[4:5] op_sel:[0,0,1] op_sel_hi:[1,1,0] neg_lo:[0,0,1] neg_hi:[0,0,1]
	v_pk_fma_f32 v[4:5], v[12:13], v[92:93], v[4:5] op_sel:[0,0,1] op_sel_hi:[1,0,0]
	v_mov_b32_e32 v4, v91
	v_mov_b32_e32 v7, v5
	s_waitcnt lgkmcnt(0)
	v_pk_mul_f32 v[4:5], v[14:15], v[4:5] op_sel_hi:[1,0]
	v_pk_add_f32 v[2:3], v[2:3], v[6:7]
	v_pk_fma_f32 v[6:7], v[14:15], v[90:91], v[4:5] op_sel:[0,0,1] op_sel_hi:[1,1,0] neg_lo:[0,0,1] neg_hi:[0,0,1]
	v_pk_fma_f32 v[4:5], v[14:15], v[90:91], v[4:5] op_sel:[0,0,1] op_sel_hi:[1,0,0]
	s_waitcnt vmcnt(1)
	v_mov_b32_e32 v4, v99
	v_mov_b32_e32 v7, v5
	v_pk_mul_f32 v[4:5], v[16:17], v[4:5] op_sel_hi:[1,0]
	v_pk_add_f32 v[2:3], v[2:3], v[6:7]
	s_waitcnt vmcnt(0)
	v_pk_fma_f32 v[6:7], v[16:17], v[98:99], v[4:5] op_sel:[0,0,1] op_sel_hi:[1,1,0] neg_lo:[0,0,1] neg_hi:[0,0,1]
	v_pk_fma_f32 v[4:5], v[16:17], v[98:99], v[4:5] op_sel:[0,0,1] op_sel_hi:[1,0,0]
	v_mov_b32_e32 v7, v5
	v_pk_add_f32 v[2:3], v[2:3], v[6:7]
	v_pk_add_f32 v[2:3], v[26:27], v[2:3] neg_lo:[0,1] neg_hi:[0,1]
	buffer_store_dword v3, off, s[0:3], 0 offset:68
	buffer_store_dword v2, off, s[0:3], 0 offset:64
	s_and_saveexec_b64 s[4:5], vcc
	s_cbranch_execz .LBB116_317
; %bb.316:
	buffer_load_dword v2, off, s[0:3], 0 offset:56
	buffer_load_dword v3, off, s[0:3], 0 offset:60
	v_mov_b32_e32 v1, 0
	v_accvgpr_read_b32 v4, a48
	buffer_store_dword v1, off, s[0:3], 0 offset:56
	buffer_store_dword v1, off, s[0:3], 0 offset:60
	s_waitcnt vmcnt(2)
	ds_write_b64 v4, v[2:3]
.LBB116_317:
	s_or_b64 exec, exec, s[4:5]
	v_mov_b32_e32 v208, 0
	s_waitcnt lgkmcnt(0)
	; wave barrier
	s_waitcnt lgkmcnt(0)
	ds_read_b128 v[14:17], v208 offset:496
	ds_read_b128 v[10:13], v208 offset:512
	;; [unrolled: 1-line block ×4, first 2 shown]
	buffer_load_dword v78, off, s[0:3], 0 offset:56
	buffer_load_dword v79, off, s[0:3], 0 offset:60
	;; [unrolled: 1-line block ×18, first 2 shown]
	v_cmp_lt_u32_e32 vcc, 6, v0
	s_waitcnt vmcnt(14) lgkmcnt(3)
	v_mul_f32_e32 v1, v14, v209
	v_fmac_f32_e32 v1, v15, v80
	s_waitcnt vmcnt(12)
	v_mul_f32_e32 v18, v16, v211
	v_add_f32_e32 v1, 0, v1
	v_fmac_f32_e32 v18, v17, v82
	v_add_f32_e32 v1, v1, v18
	s_waitcnt vmcnt(10) lgkmcnt(2)
	v_mul_f32_e32 v18, v10, v213
	v_fmac_f32_e32 v18, v11, v192
	v_add_f32_e32 v1, v1, v18
	s_waitcnt vmcnt(8)
	v_mul_f32_e32 v18, v12, v215
	v_fmac_f32_e32 v18, v13, v210
	v_add_f32_e32 v1, v1, v18
	s_waitcnt vmcnt(6) lgkmcnt(1)
	v_mul_f32_e32 v18, v6, v217
	v_fmac_f32_e32 v18, v7, v212
	v_add_f32_e32 v1, v1, v18
	s_waitcnt vmcnt(4)
	v_mul_f32_e32 v18, v8, v218
	;; [unrolled: 8-line block ×3, first 2 shown]
	v_fmac_f32_e32 v18, v5, v220
	v_add_f32_e32 v1, v1, v18
	ds_read_b128 v[18:21], v208 offset:560
	buffer_load_dword v222, off, s[0:3], 0 offset:128
	buffer_load_dword v223, off, s[0:3], 0 offset:132
	;; [unrolled: 1-line block ×4, first 2 shown]
	v_mul_f32_e32 v15, v15, v209
	v_fma_f32 v14, v14, v80, -v15
	v_mul_f32_e32 v15, v17, v211
	v_add_f32_e32 v14, 0, v14
	v_fma_f32 v15, v16, v82, -v15
	v_mul_f32_e32 v11, v11, v213
	v_add_f32_e32 v14, v14, v15
	;; [unrolled: 3-line block ×7, first 2 shown]
	v_fma_f32 v3, v4, v220, -v3
	v_add_f32_e32 v2, v2, v3
	s_waitcnt vmcnt(2) lgkmcnt(0)
	v_mul_f32_e32 v22, v18, v223
	v_fmac_f32_e32 v22, v19, v222
	v_add_f32_e32 v1, v1, v22
	s_waitcnt vmcnt(0)
	v_mul_f32_e32 v22, v20, v225
	v_fmac_f32_e32 v22, v21, v224
	v_add_f32_e32 v1, v1, v22
	ds_read_b128 v[22:25], v208 offset:576
	buffer_load_dword v226, off, s[0:3], 0 offset:144
	buffer_load_dword v227, off, s[0:3], 0 offset:148
	;; [unrolled: 1-line block ×4, first 2 shown]
	ds_read_b128 v[30:33], v208 offset:592
	buffer_load_dword v230, off, s[0:3], 0 offset:160
	buffer_load_dword v231, off, s[0:3], 0 offset:164
	v_mul_f32_e32 v3, v19, v223
	v_fma_f32 v3, v18, v222, -v3
	v_add_f32_e32 v2, v2, v3
	v_mul_f32_e32 v3, v21, v225
	v_fma_f32 v3, v20, v224, -v3
	v_add_f32_e32 v2, v2, v3
	s_waitcnt vmcnt(4) lgkmcnt(1)
	v_mul_f32_e32 v26, v22, v227
	v_fmac_f32_e32 v26, v23, v226
	v_add_f32_e32 v1, v1, v26
	s_waitcnt vmcnt(2)
	v_mul_f32_e32 v26, v24, v229
	v_fmac_f32_e32 v26, v25, v228
	v_add_f32_e32 v1, v1, v26
	s_waitcnt vmcnt(0) lgkmcnt(0)
	v_mul_f32_e32 v26, v30, v231
	v_fmac_f32_e32 v26, v31, v230
	v_add_f32_e32 v26, v1, v26
	buffer_load_dword v1, off, s[0:3], 0 offset:168
	buffer_load_dword v86, off, s[0:3], 0 offset:172
	ds_read_b128 v[34:37], v208 offset:608
	buffer_load_dword v87, off, s[0:3], 0 offset:176
	buffer_load_dword v88, off, s[0:3], 0 offset:180
	buffer_load_dword v89, off, s[0:3], 0 offset:184
	buffer_load_dword v232, off, s[0:3], 0 offset:188
	ds_read_b128 v[38:41], v208 offset:624
	buffer_load_dword v233, off, s[0:3], 0 offset:192
	buffer_load_dword v234, off, s[0:3], 0 offset:196
	;; [unrolled: 5-line block ×11, first 2 shown]
	buffer_load_dword v249, off, s[0:3], 0 offset:344
	buffer_load_dword v250, off, s[0:3], 0 offset:348
	v_mul_f32_e32 v3, v23, v227
	v_fma_f32 v3, v22, v226, -v3
	v_add_f32_e32 v2, v2, v3
	v_mul_f32_e32 v3, v25, v229
	v_fma_f32 v3, v24, v228, -v3
	v_add_f32_e32 v2, v2, v3
	v_mul_f32_e32 v3, v31, v231
	v_fma_f32 v3, v30, v230, -v3
	v_add_f32_e32 v2, v2, v3
	s_waitcnt vmcnt(44)
	v_mul_f32_e32 v27, v32, v86
	v_fmac_f32_e32 v27, v33, v1
	v_add_f32_e32 v26, v26, v27
	s_waitcnt vmcnt(42) lgkmcnt(10)
	v_mul_f32_e32 v27, v34, v88
	v_fmac_f32_e32 v27, v35, v87
	v_add_f32_e32 v26, v26, v27
	s_waitcnt vmcnt(40)
	v_mul_f32_e32 v27, v36, v232
	v_fmac_f32_e32 v27, v37, v89
	v_add_f32_e32 v26, v26, v27
	s_waitcnt vmcnt(38) lgkmcnt(9)
	v_mul_f32_e32 v27, v38, v234
	v_fmac_f32_e32 v27, v39, v233
	v_add_f32_e32 v26, v26, v27
	;; [unrolled: 8-line block ×11, first 2 shown]
	ds_read_b128 v[26:29], v208 offset:784
	buffer_load_dword v251, off, s[0:3], 0 offset:352
	buffer_load_dword v252, off, s[0:3], 0 offset:356
	;; [unrolled: 1-line block ×18, first 2 shown]
	v_mul_f32_e32 v3, v33, v86
	v_fma_f32 v1, v32, v1, -v3
	v_add_f32_e32 v1, v2, v1
	v_mul_f32_e32 v2, v35, v88
	v_fma_f32 v2, v34, v87, -v2
	v_add_f32_e32 v1, v1, v2
	;; [unrolled: 3-line block ×21, first 2 shown]
	v_mul_f32_e32 v2, v75, v248
	v_fma_f32 v2, v74, v247, -v2
	s_waitcnt vmcnt(15)
	v_mov_b32_e32 v18, v85
	v_mul_f32_e32 v83, v76, v250
	v_add_f32_e32 v80, v1, v2
	v_mul_f32_e32 v1, v77, v250
	s_waitcnt lgkmcnt(0)
	v_pk_mul_f32 v[18:19], v[28:29], v[18:19] op_sel_hi:[1,0]
	v_fmac_f32_e32 v83, v77, v249
	v_fma_f32 v82, v76, v249, -v1
	ds_read_b128 v[2:5], v208 offset:800
	ds_read_b128 v[6:9], v208 offset:816
	;; [unrolled: 1-line block ×3, first 2 shown]
	ds_read_b64 v[14:15], v208 offset:848
	s_waitcnt vmcnt(14)
	v_pk_fma_f32 v[20:21], v[28:29], v[84:85], v[18:19] op_sel:[0,0,1] op_sel_hi:[1,1,0] neg_lo:[0,0,1] neg_hi:[0,0,1]
	v_pk_fma_f32 v[18:19], v[28:29], v[84:85], v[18:19] op_sel:[0,0,1] op_sel_hi:[1,0,0]
	v_pk_add_f32 v[16:17], v[80:81], v[82:83]
	s_waitcnt vmcnt(13)
	v_mov_b32_e32 v18, v207
	v_mov_b32_e32 v21, v19
	v_mul_f32_e32 v193, v26, v252
	v_mul_f32_e32 v1, v27, v252
	v_fmac_f32_e32 v193, v27, v251
	v_fma_f32 v192, v26, v251, -v1
	v_pk_add_f32 v[16:17], v[16:17], v[192:193]
	s_waitcnt lgkmcnt(3)
	v_pk_mul_f32 v[18:19], v[2:3], v[18:19] op_sel_hi:[1,0]
	v_pk_add_f32 v[16:17], v[16:17], v[20:21]
	s_waitcnt vmcnt(12)
	v_pk_fma_f32 v[20:21], v[2:3], v[206:207], v[18:19] op_sel:[0,0,1] op_sel_hi:[1,1,0] neg_lo:[0,0,1] neg_hi:[0,0,1]
	v_pk_fma_f32 v[2:3], v[2:3], v[206:207], v[18:19] op_sel:[0,0,1] op_sel_hi:[1,0,0]
	v_mov_b32_e32 v21, v3
	v_pk_add_f32 v[2:3], v[16:17], v[20:21]
	s_waitcnt vmcnt(11)
	v_mov_b32_e32 v16, v205
	v_pk_mul_f32 v[16:17], v[4:5], v[16:17] op_sel_hi:[1,0]
	s_waitcnt vmcnt(10)
	v_pk_fma_f32 v[18:19], v[4:5], v[204:205], v[16:17] op_sel:[0,0,1] op_sel_hi:[1,1,0] neg_lo:[0,0,1] neg_hi:[0,0,1]
	v_pk_fma_f32 v[4:5], v[4:5], v[204:205], v[16:17] op_sel:[0,0,1] op_sel_hi:[1,0,0]
	s_waitcnt vmcnt(9)
	v_mov_b32_e32 v4, v203
	v_mov_b32_e32 v19, v5
	s_waitcnt lgkmcnt(2)
	v_pk_mul_f32 v[4:5], v[6:7], v[4:5] op_sel_hi:[1,0]
	s_waitcnt vmcnt(8)
	v_pk_fma_f32 v[16:17], v[6:7], v[202:203], v[4:5] op_sel:[0,0,1] op_sel_hi:[1,1,0] neg_lo:[0,0,1] neg_hi:[0,0,1]
	v_pk_fma_f32 v[4:5], v[6:7], v[202:203], v[4:5] op_sel:[0,0,1] op_sel_hi:[1,0,0]
	s_waitcnt vmcnt(7)
	v_mov_b32_e32 v4, v201
	v_mov_b32_e32 v17, v5
	v_pk_mul_f32 v[4:5], v[8:9], v[4:5] op_sel_hi:[1,0]
	s_waitcnt vmcnt(6)
	v_pk_fma_f32 v[6:7], v[8:9], v[200:201], v[4:5] op_sel:[0,0,1] op_sel_hi:[1,1,0] neg_lo:[0,0,1] neg_hi:[0,0,1]
	v_pk_fma_f32 v[4:5], v[8:9], v[200:201], v[4:5] op_sel:[0,0,1] op_sel_hi:[1,0,0]
	v_pk_add_f32 v[2:3], v[2:3], v[18:19]
	s_waitcnt vmcnt(5)
	v_mov_b32_e32 v4, v199
	v_pk_add_f32 v[2:3], v[2:3], v[16:17]
	v_mov_b32_e32 v7, v5
	s_waitcnt lgkmcnt(1)
	v_pk_mul_f32 v[4:5], v[10:11], v[4:5] op_sel_hi:[1,0]
	v_pk_add_f32 v[2:3], v[2:3], v[6:7]
	s_waitcnt vmcnt(4)
	v_pk_fma_f32 v[6:7], v[10:11], v[198:199], v[4:5] op_sel:[0,0,1] op_sel_hi:[1,1,0] neg_lo:[0,0,1] neg_hi:[0,0,1]
	v_pk_fma_f32 v[4:5], v[10:11], v[198:199], v[4:5] op_sel:[0,0,1] op_sel_hi:[1,0,0]
	s_waitcnt vmcnt(3)
	v_mov_b32_e32 v4, v197
	v_mov_b32_e32 v7, v5
	v_pk_mul_f32 v[4:5], v[12:13], v[4:5] op_sel_hi:[1,0]
	v_pk_add_f32 v[2:3], v[2:3], v[6:7]
	s_waitcnt vmcnt(2)
	v_pk_fma_f32 v[6:7], v[12:13], v[196:197], v[4:5] op_sel:[0,0,1] op_sel_hi:[1,1,0] neg_lo:[0,0,1] neg_hi:[0,0,1]
	v_pk_fma_f32 v[4:5], v[12:13], v[196:197], v[4:5] op_sel:[0,0,1] op_sel_hi:[1,0,0]
	s_waitcnt vmcnt(1)
	v_mov_b32_e32 v4, v195
	v_mov_b32_e32 v7, v5
	s_waitcnt lgkmcnt(0)
	v_pk_mul_f32 v[4:5], v[14:15], v[4:5] op_sel_hi:[1,0]
	v_pk_add_f32 v[2:3], v[2:3], v[6:7]
	s_waitcnt vmcnt(0)
	v_pk_fma_f32 v[6:7], v[14:15], v[194:195], v[4:5] op_sel:[0,0,1] op_sel_hi:[1,1,0] neg_lo:[0,0,1] neg_hi:[0,0,1]
	v_pk_fma_f32 v[4:5], v[14:15], v[194:195], v[4:5] op_sel:[0,0,1] op_sel_hi:[1,0,0]
	v_mov_b32_e32 v7, v5
	v_pk_add_f32 v[2:3], v[2:3], v[6:7]
	v_pk_add_f32 v[2:3], v[78:79], v[2:3] neg_lo:[0,1] neg_hi:[0,1]
	buffer_store_dword v3, off, s[0:3], 0 offset:60
	buffer_store_dword v2, off, s[0:3], 0 offset:56
	s_and_saveexec_b64 s[4:5], vcc
	s_cbranch_execz .LBB116_319
; %bb.318:
	buffer_load_dword v2, off, s[0:3], 0 offset:48
	buffer_load_dword v3, off, s[0:3], 0 offset:52
	v_accvgpr_read_b32 v1, a48
	buffer_store_dword v208, off, s[0:3], 0 offset:48
	buffer_store_dword v208, off, s[0:3], 0 offset:52
	s_waitcnt vmcnt(2)
	ds_write_b64 v1, v[2:3]
.LBB116_319:
	s_or_b64 exec, exec, s[4:5]
	s_waitcnt lgkmcnt(0)
	; wave barrier
	s_waitcnt lgkmcnt(0)
	buffer_load_dword v90, off, s[0:3], 0 offset:60
	buffer_load_dword v92, off, s[0:3], 0 offset:68
	;; [unrolled: 1-line block ×32, first 2 shown]
	ds_read2_b64 v[22:25], v208 offset0:61 offset1:62
	ds_read2_b64 v[18:21], v208 offset0:63 offset1:64
	;; [unrolled: 1-line block ×6, first 2 shown]
	buffer_load_dword v213, off, s[0:3], 0 offset:176
	buffer_load_dword v214, off, s[0:3], 0 offset:180
	;; [unrolled: 1-line block ×32, first 2 shown]
	v_cmp_lt_u32_e32 vcc, 5, v0
	s_waitcnt vmcnt(62) lgkmcnt(5)
	v_mul_f32_e32 v31, v22, v90
	v_mul_f32_e32 v32, v24, v92
	s_waitcnt vmcnt(61) lgkmcnt(4)
	v_mul_f32_e32 v34, v20, v30
	s_waitcnt vmcnt(60) lgkmcnt(3)
	v_mul_f32_e32 v35, v14, v29
	s_waitcnt vmcnt(59)
	v_mul_f32_e32 v36, v16, v1
	s_waitcnt vmcnt(58)
	v_mul_f32_e32 v33, v18, v108
	s_waitcnt vmcnt(57) lgkmcnt(2)
	v_mul_f32_e32 v37, v10, v28
	s_waitcnt vmcnt(56)
	v_mul_f32_e32 v38, v12, v109
	s_waitcnt vmcnt(55) lgkmcnt(1)
	v_mul_f32_e32 v39, v6, v110
	s_waitcnt vmcnt(54)
	v_mul_f32_e32 v40, v8, v111
	s_waitcnt vmcnt(53)
	v_fmac_f32_e32 v33, v19, v192
	s_waitcnt vmcnt(52)
	v_fmac_f32_e32 v32, v25, v193
	;; [unrolled: 2-line block ×3, first 2 shown]
	v_add_f32_e32 v31, 0, v31
	v_add_f32_e32 v31, v31, v32
	;; [unrolled: 1-line block ×3, first 2 shown]
	s_waitcnt vmcnt(47)
	v_fmac_f32_e32 v34, v21, v198
	v_fmac_f32_e32 v35, v15, v197
	v_add_f32_e32 v31, v31, v34
	v_fmac_f32_e32 v36, v17, v196
	v_add_f32_e32 v31, v31, v35
	;; [unrolled: 2-line block ×3, first 2 shown]
	s_waitcnt vmcnt(43)
	v_fmac_f32_e32 v38, v13, v202
	v_add_f32_e32 v31, v31, v37
	v_fmac_f32_e32 v39, v7, v201
	v_add_f32_e32 v31, v31, v38
	;; [unrolled: 2-line block ×3, first 2 shown]
	s_waitcnt vmcnt(42) lgkmcnt(0)
	v_mul_f32_e32 v32, v2, v203
	v_add_f32_e32 v31, v31, v40
	v_fmac_f32_e32 v32, v3, v199
	v_add_f32_e32 v31, v31, v32
	ds_read2_b64 v[32:35], v208 offset0:73 offset1:74
	buffer_load_dword v245, off, s[0:3], 0 offset:304
	buffer_load_dword v246, off, s[0:3], 0 offset:308
	s_waitcnt vmcnt(43)
	v_mul_f32_e32 v36, v4, v204
	s_waitcnt vmcnt(36)
	v_fmac_f32_e32 v36, v5, v212
	v_add_f32_e32 v31, v31, v36
	ds_read2_b64 v[36:39], v208 offset0:75 offset1:76
	buffer_load_dword v247, off, s[0:3], 0 offset:312
	buffer_load_dword v248, off, s[0:3], 0 offset:316
	;; [unrolled: 1-line block ×8, first 2 shown]
	s_waitcnt lgkmcnt(1)
	v_mul_f32_e32 v40, v32, v206
	v_fmac_f32_e32 v40, v33, v205
	v_add_f32_e32 v31, v31, v40
	v_mul_f32_e32 v40, v34, v209
	v_fmac_f32_e32 v40, v35, v207
	v_add_f32_e32 v31, v31, v40
	s_waitcnt lgkmcnt(0)
	v_mul_f32_e32 v40, v36, v211
	v_fmac_f32_e32 v40, v37, v210
	v_add_f32_e32 v31, v31, v40
	buffer_load_dword v255, off, s[0:3], 0 offset:344
	buffer_load_dword v112, off, s[0:3], 0 offset:348
	;; [unrolled: 1-line block ×4, first 2 shown]
	ds_read2_b64 v[40:43], v208 offset0:77 offset1:78
	s_waitcnt vmcnt(44)
	v_mul_f32_e32 v44, v38, v214
	v_fmac_f32_e32 v44, v39, v213
	v_add_f32_e32 v31, v31, v44
	ds_read2_b64 v[44:47], v208 offset0:79 offset1:80
	s_waitcnt vmcnt(42) lgkmcnt(1)
	v_mul_f32_e32 v48, v40, v216
	v_fmac_f32_e32 v48, v41, v215
	v_add_f32_e32 v31, v31, v48
	s_waitcnt vmcnt(40)
	v_mul_f32_e32 v48, v42, v218
	v_fmac_f32_e32 v48, v43, v217
	v_add_f32_e32 v31, v31, v48
	s_waitcnt vmcnt(38) lgkmcnt(0)
	v_mul_f32_e32 v48, v44, v220
	v_fmac_f32_e32 v48, v45, v219
	v_add_f32_e32 v31, v31, v48
	ds_read2_b64 v[48:51], v208 offset0:81 offset1:82
	s_waitcnt vmcnt(36)
	v_mul_f32_e32 v52, v46, v222
	v_fmac_f32_e32 v52, v47, v221
	v_add_f32_e32 v31, v31, v52
	ds_read2_b64 v[52:55], v208 offset0:83 offset1:84
	s_waitcnt vmcnt(34) lgkmcnt(1)
	v_mul_f32_e32 v56, v48, v224
	v_fmac_f32_e32 v56, v49, v223
	v_add_f32_e32 v31, v31, v56
	s_waitcnt vmcnt(32)
	v_mul_f32_e32 v56, v50, v226
	v_fmac_f32_e32 v56, v51, v225
	v_add_f32_e32 v31, v31, v56
	s_waitcnt vmcnt(30) lgkmcnt(0)
	v_mul_f32_e32 v56, v52, v228
	v_fmac_f32_e32 v56, v53, v227
	v_add_f32_e32 v31, v31, v56
	;; [unrolled: 18-line block ×4, first 2 shown]
	ds_read2_b64 v[72:75], v208 offset0:93 offset1:94
	v_mul_f32_e32 v23, v23, v90
	v_fma_f32 v22, v22, v194, -v23
	v_mul_f32_e32 v23, v25, v92
	v_add_f32_e32 v22, 0, v22
	s_waitcnt vmcnt(12)
	v_mul_f32_e32 v76, v70, v246
	v_fmac_f32_e32 v76, v71, v245
	v_add_f32_e32 v31, v31, v76
	ds_read2_b64 v[76:79], v208 offset0:95 offset1:96
	buffer_load_dword v89, off, s[0:3], 0 offset:364
	buffer_load_dword v88, off, s[0:3], 0 offset:360
	s_waitcnt vmcnt(12) lgkmcnt(1)
	v_mul_f32_e32 v80, v72, v248
	v_fmac_f32_e32 v80, v73, v247
	v_add_f32_e32 v31, v31, v80
	s_waitcnt vmcnt(10)
	v_mul_f32_e32 v80, v74, v250
	v_fmac_f32_e32 v80, v75, v249
	v_add_f32_e32 v31, v31, v80
	s_waitcnt vmcnt(8) lgkmcnt(0)
	v_mul_f32_e32 v80, v76, v252
	v_fmac_f32_e32 v80, v77, v251
	s_waitcnt vmcnt(6)
	v_mul_f32_e32 v84, v78, v254
	v_add_f32_e32 v31, v31, v80
	v_fmac_f32_e32 v84, v79, v253
	ds_read2_b64 v[80:83], v208 offset0:97 offset1:98
	v_add_f32_e32 v31, v31, v84
	ds_read2_b64 v[84:87], v208 offset0:99 offset1:100
	buffer_load_dword v95, off, s[0:3], 0 offset:396
	buffer_load_dword v94, off, s[0:3], 0 offset:392
	;; [unrolled: 1-line block ×14, first 2 shown]
	v_fma_f32 v23, v24, v193, -v23
	v_mul_f32_e32 v19, v19, v108
	v_add_f32_e32 v22, v22, v23
	v_fma_f32 v18, v18, v192, -v19
	v_mul_f32_e32 v19, v21, v30
	v_add_f32_e32 v18, v22, v18
	;; [unrolled: 3-line block ×5, first 2 shown]
	v_fma_f32 v10, v10, v195, -v11
	v_add_f32_e32 v1, v1, v10
	v_mul_f32_e32 v10, v13, v109
	v_fma_f32 v10, v12, v202, -v10
	v_mul_f32_e32 v7, v7, v110
	v_add_f32_e32 v1, v1, v10
	v_fma_f32 v6, v6, v201, -v7
	v_add_f32_e32 v1, v1, v6
	v_mul_f32_e32 v6, v9, v111
	v_fma_f32 v6, v8, v200, -v6
	v_mul_f32_e32 v3, v3, v203
	v_add_f32_e32 v1, v1, v6
	v_fma_f32 v2, v2, v199, -v3
	v_add_f32_e32 v1, v1, v2
	v_mul_f32_e32 v2, v5, v204
	v_fma_f32 v2, v4, v212, -v2
	v_add_f32_e32 v1, v1, v2
	v_mul_f32_e32 v2, v33, v206
	;; [unrolled: 3-line block ×25, first 2 shown]
	v_fma_f32 v2, v78, v253, -v2
	s_waitcnt vmcnt(15)
	v_mov_b32_e32 v16, v89
	s_waitcnt lgkmcnt(1)
	v_mul_f32_e32 v91, v80, v112
	v_add_f32_e32 v30, v1, v2
	v_mul_f32_e32 v1, v81, v112
	s_waitcnt lgkmcnt(0)
	v_pk_mul_f32 v[16:17], v[84:85], v[16:17] op_sel_hi:[1,0]
	v_fmac_f32_e32 v91, v81, v255
	v_mul_f32_e32 v93, v82, v114
	v_fma_f32 v90, v80, v255, -v1
	v_mul_f32_e32 v1, v83, v114
	s_waitcnt vmcnt(14)
	v_pk_fma_f32 v[18:19], v[84:85], v[88:89], v[16:17] op_sel:[0,0,1] op_sel_hi:[1,1,0] neg_lo:[0,0,1] neg_hi:[0,0,1]
	v_pk_fma_f32 v[16:17], v[84:85], v[88:89], v[16:17] op_sel:[0,0,1] op_sel_hi:[1,0,0]
	v_fmac_f32_e32 v93, v83, v113
	v_fma_f32 v92, v82, v113, -v1
	v_pk_add_f32 v[14:15], v[30:31], v[90:91]
	s_waitcnt vmcnt(7)
	v_mov_b32_e32 v16, v101
	ds_read2_b64 v[2:5], v208 offset0:101 offset1:102
	ds_read2_b64 v[6:9], v208 offset0:103 offset1:104
	;; [unrolled: 1-line block ×3, first 2 shown]
	v_pk_add_f32 v[14:15], v[14:15], v[92:93]
	v_mov_b32_e32 v19, v17
	v_pk_mul_f32 v[16:17], v[86:87], v[16:17] op_sel_hi:[1,0]
	v_pk_add_f32 v[14:15], v[14:15], v[18:19]
	s_waitcnt vmcnt(6)
	v_pk_fma_f32 v[18:19], v[86:87], v[100:101], v[16:17] op_sel:[0,0,1] op_sel_hi:[1,1,0] neg_lo:[0,0,1] neg_hi:[0,0,1]
	v_pk_fma_f32 v[16:17], v[86:87], v[100:101], v[16:17] op_sel:[0,0,1] op_sel_hi:[1,0,0]
	v_mov_b32_e32 v16, v99
	v_mov_b32_e32 v19, v17
	s_waitcnt lgkmcnt(2)
	v_pk_mul_f32 v[16:17], v[2:3], v[16:17] op_sel_hi:[1,0]
	v_pk_add_f32 v[14:15], v[14:15], v[18:19]
	v_pk_fma_f32 v[18:19], v[2:3], v[98:99], v[16:17] op_sel:[0,0,1] op_sel_hi:[1,1,0] neg_lo:[0,0,1] neg_hi:[0,0,1]
	v_pk_fma_f32 v[2:3], v[2:3], v[98:99], v[16:17] op_sel:[0,0,1] op_sel_hi:[1,0,0]
	v_mov_b32_e32 v19, v3
	v_pk_add_f32 v[2:3], v[14:15], v[18:19]
	v_mov_b32_e32 v14, v97
	v_pk_mul_f32 v[14:15], v[4:5], v[14:15] op_sel_hi:[1,0]
	v_pk_fma_f32 v[16:17], v[4:5], v[96:97], v[14:15] op_sel:[0,0,1] op_sel_hi:[1,1,0] neg_lo:[0,0,1] neg_hi:[0,0,1]
	v_pk_fma_f32 v[4:5], v[4:5], v[96:97], v[14:15] op_sel:[0,0,1] op_sel_hi:[1,0,0]
	v_mov_b32_e32 v4, v95
	v_mov_b32_e32 v17, v5
	s_waitcnt lgkmcnt(1)
	v_pk_mul_f32 v[4:5], v[6:7], v[4:5] op_sel_hi:[1,0]
	v_pk_fma_f32 v[14:15], v[6:7], v[94:95], v[4:5] op_sel:[0,0,1] op_sel_hi:[1,1,0] neg_lo:[0,0,1] neg_hi:[0,0,1]
	v_pk_fma_f32 v[4:5], v[6:7], v[94:95], v[4:5] op_sel:[0,0,1] op_sel_hi:[1,0,0]
	s_waitcnt vmcnt(1)
	v_mov_b32_e32 v4, v107
	v_mov_b32_e32 v15, v5
	v_pk_mul_f32 v[4:5], v[8:9], v[4:5] op_sel_hi:[1,0]
	s_waitcnt vmcnt(0)
	v_pk_fma_f32 v[6:7], v[8:9], v[106:107], v[4:5] op_sel:[0,0,1] op_sel_hi:[1,1,0] neg_lo:[0,0,1] neg_hi:[0,0,1]
	v_pk_fma_f32 v[4:5], v[8:9], v[106:107], v[4:5] op_sel:[0,0,1] op_sel_hi:[1,0,0]
	v_pk_add_f32 v[2:3], v[2:3], v[16:17]
	v_mov_b32_e32 v4, v105
	v_pk_add_f32 v[2:3], v[2:3], v[14:15]
	v_mov_b32_e32 v7, v5
	s_waitcnt lgkmcnt(0)
	v_pk_mul_f32 v[4:5], v[10:11], v[4:5] op_sel_hi:[1,0]
	v_pk_add_f32 v[2:3], v[2:3], v[6:7]
	v_pk_fma_f32 v[6:7], v[10:11], v[104:105], v[4:5] op_sel:[0,0,1] op_sel_hi:[1,1,0] neg_lo:[0,0,1] neg_hi:[0,0,1]
	v_pk_fma_f32 v[4:5], v[10:11], v[104:105], v[4:5] op_sel:[0,0,1] op_sel_hi:[1,0,0]
	v_mov_b32_e32 v4, v103
	v_mov_b32_e32 v7, v5
	v_pk_mul_f32 v[4:5], v[12:13], v[4:5] op_sel_hi:[1,0]
	v_pk_add_f32 v[2:3], v[2:3], v[6:7]
	v_pk_fma_f32 v[6:7], v[12:13], v[102:103], v[4:5] op_sel:[0,0,1] op_sel_hi:[1,1,0] neg_lo:[0,0,1] neg_hi:[0,0,1]
	v_pk_fma_f32 v[4:5], v[12:13], v[102:103], v[4:5] op_sel:[0,0,1] op_sel_hi:[1,0,0]
	v_mov_b32_e32 v7, v5
	v_pk_add_f32 v[2:3], v[2:3], v[6:7]
	v_pk_add_f32 v[2:3], v[26:27], v[2:3] neg_lo:[0,1] neg_hi:[0,1]
	buffer_store_dword v3, off, s[0:3], 0 offset:52
	buffer_store_dword v2, off, s[0:3], 0 offset:48
	s_and_saveexec_b64 s[4:5], vcc
	s_cbranch_execz .LBB116_321
; %bb.320:
	buffer_load_dword v2, off, s[0:3], 0 offset:40
	buffer_load_dword v3, off, s[0:3], 0 offset:44
	v_mov_b32_e32 v1, 0
	v_accvgpr_read_b32 v4, a48
	buffer_store_dword v1, off, s[0:3], 0 offset:40
	buffer_store_dword v1, off, s[0:3], 0 offset:44
	s_waitcnt vmcnt(2)
	ds_write_b64 v4, v[2:3]
.LBB116_321:
	s_or_b64 exec, exec, s[4:5]
	s_waitcnt lgkmcnt(0)
	; wave barrier
	s_waitcnt lgkmcnt(0)
	buffer_load_dword v32, off, s[0:3], 0 offset:52
	buffer_load_dword v31, off, s[0:3], 0 offset:60
	;; [unrolled: 1-line block ×48, first 2 shown]
	v_mov_b32_e32 v36, 0
	ds_read_b128 v[22:25], v36 offset:480
	ds_read_b128 v[18:21], v36 offset:496
	ds_read_b128 v[14:17], v36 offset:512
	ds_read_b128 v[10:13], v36 offset:528
	ds_read_b128 v[6:9], v36 offset:544
	ds_read_b128 v[2:5], v36 offset:560
	buffer_load_dword v225, off, s[0:3], 0 offset:232
	buffer_load_dword v226, off, s[0:3], 0 offset:236
	;; [unrolled: 1-line block ×12, first 2 shown]
	v_cmp_lt_u32_e32 vcc, 4, v0
	s_waitcnt vmcnt(59) lgkmcnt(5)
	v_mul_f32_e32 v35, v22, v32
	s_waitcnt vmcnt(58)
	v_mul_f32_e32 v38, v24, v31
	s_waitcnt vmcnt(57) lgkmcnt(4)
	v_mul_f32_e32 v40, v20, v30
	s_waitcnt vmcnt(56) lgkmcnt(3)
	v_mul_f32_e32 v41, v14, v29
	s_waitcnt vmcnt(55)
	v_mul_f32_e32 v42, v16, v1
	s_waitcnt vmcnt(54)
	v_mul_f32_e32 v39, v18, v33
	s_waitcnt vmcnt(53) lgkmcnt(2)
	v_mul_f32_e32 v43, v10, v28
	s_waitcnt vmcnt(52)
	v_mul_f32_e32 v44, v12, v34
	s_waitcnt vmcnt(51) lgkmcnt(1)
	v_mul_f32_e32 v45, v6, v37
	s_waitcnt vmcnt(50)
	v_mul_f32_e32 v46, v8, v94
	s_waitcnt vmcnt(49)
	v_fmac_f32_e32 v39, v19, v96
	s_waitcnt vmcnt(48)
	v_fmac_f32_e32 v38, v25, v112
	;; [unrolled: 2-line block ×3, first 2 shown]
	v_add_f32_e32 v35, 0, v35
	v_add_f32_e32 v35, v35, v38
	;; [unrolled: 1-line block ×3, first 2 shown]
	s_waitcnt vmcnt(43)
	v_fmac_f32_e32 v40, v21, v195
	v_fmac_f32_e32 v41, v15, v194
	v_add_f32_e32 v35, v35, v40
	v_fmac_f32_e32 v42, v17, v115
	v_add_f32_e32 v35, v35, v41
	;; [unrolled: 2-line block ×3, first 2 shown]
	s_waitcnt vmcnt(39)
	v_fmac_f32_e32 v44, v13, v199
	v_add_f32_e32 v35, v35, v43
	v_fmac_f32_e32 v45, v7, v198
	v_add_f32_e32 v35, v35, v44
	;; [unrolled: 2-line block ×3, first 2 shown]
	s_waitcnt vmcnt(38) lgkmcnt(0)
	v_mul_f32_e32 v38, v2, v200
	v_add_f32_e32 v35, v35, v46
	v_fmac_f32_e32 v38, v3, v196
	v_add_f32_e32 v35, v35, v38
	ds_read_b128 v[38:41], v36 offset:576
	buffer_load_dword v237, off, s[0:3], 0 offset:280
	buffer_load_dword v238, off, s[0:3], 0 offset:284
	;; [unrolled: 1-line block ×4, first 2 shown]
	s_waitcnt vmcnt(35)
	v_mul_f32_e32 v42, v4, v207
	s_waitcnt vmcnt(34)
	v_fmac_f32_e32 v42, v5, v208
	v_add_f32_e32 v35, v35, v42
	ds_read_b128 v[42:45], v36 offset:592
	buffer_load_dword v241, off, s[0:3], 0 offset:296
	buffer_load_dword v242, off, s[0:3], 0 offset:300
	;; [unrolled: 1-line block ×10, first 2 shown]
	s_waitcnt lgkmcnt(1)
	v_mul_f32_e32 v46, v38, v202
	v_fmac_f32_e32 v46, v39, v201
	v_add_f32_e32 v35, v35, v46
	v_mul_f32_e32 v46, v40, v204
	v_fmac_f32_e32 v46, v41, v203
	v_add_f32_e32 v35, v35, v46
	s_waitcnt lgkmcnt(0)
	v_mul_f32_e32 v46, v42, v206
	v_fmac_f32_e32 v46, v43, v205
	v_add_f32_e32 v35, v35, v46
	buffer_load_dword v251, off, s[0:3], 0 offset:336
	buffer_load_dword v252, off, s[0:3], 0 offset:340
	;; [unrolled: 1-line block ×6, first 2 shown]
	ds_read_b128 v[46:49], v36 offset:608
	s_waitcnt vmcnt(46)
	v_mul_f32_e32 v50, v44, v210
	v_fmac_f32_e32 v50, v45, v209
	v_add_f32_e32 v35, v35, v50
	ds_read_b128 v[50:53], v36 offset:624
	s_waitcnt vmcnt(44) lgkmcnt(1)
	v_mul_f32_e32 v54, v46, v212
	v_fmac_f32_e32 v54, v47, v211
	v_add_f32_e32 v35, v35, v54
	s_waitcnt vmcnt(42)
	v_mul_f32_e32 v54, v48, v214
	v_fmac_f32_e32 v54, v49, v213
	v_add_f32_e32 v35, v35, v54
	s_waitcnt vmcnt(40) lgkmcnt(0)
	v_mul_f32_e32 v54, v50, v216
	v_fmac_f32_e32 v54, v51, v215
	v_add_f32_e32 v35, v35, v54
	ds_read_b128 v[54:57], v36 offset:640
	s_waitcnt vmcnt(38)
	v_mul_f32_e32 v58, v52, v218
	v_fmac_f32_e32 v58, v53, v217
	v_add_f32_e32 v35, v35, v58
	ds_read_b128 v[58:61], v36 offset:656
	s_waitcnt vmcnt(36) lgkmcnt(1)
	v_mul_f32_e32 v62, v54, v220
	v_fmac_f32_e32 v62, v55, v219
	v_add_f32_e32 v35, v35, v62
	s_waitcnt vmcnt(34)
	v_mul_f32_e32 v62, v56, v222
	v_fmac_f32_e32 v62, v57, v221
	v_add_f32_e32 v35, v35, v62
	s_waitcnt vmcnt(32) lgkmcnt(0)
	v_mul_f32_e32 v62, v58, v224
	v_fmac_f32_e32 v62, v59, v223
	v_add_f32_e32 v35, v35, v62
	;; [unrolled: 18-line block ×3, first 2 shown]
	ds_read_b128 v[70:73], v36 offset:704
	s_waitcnt vmcnt(22)
	v_mul_f32_e32 v74, v68, v234
	v_fmac_f32_e32 v74, v69, v233
	v_add_f32_e32 v35, v35, v74
	ds_read_b128 v[74:77], v36 offset:720
	s_waitcnt vmcnt(20) lgkmcnt(1)
	v_mul_f32_e32 v78, v70, v236
	v_fmac_f32_e32 v78, v71, v235
	v_add_f32_e32 v35, v35, v78
	v_mul_f32_e32 v23, v23, v32
	v_fma_f32 v22, v22, v113, -v23
	v_mul_f32_e32 v23, v25, v31
	v_add_f32_e32 v22, 0, v22
	v_fma_f32 v23, v24, v112, -v23
	v_mul_f32_e32 v19, v19, v33
	v_add_f32_e32 v22, v22, v23
	v_fma_f32 v18, v18, v96, -v19
	v_mul_f32_e32 v19, v21, v30
	s_waitcnt vmcnt(18)
	v_mul_f32_e32 v78, v72, v238
	v_fmac_f32_e32 v78, v73, v237
	v_add_f32_e32 v35, v35, v78
	s_waitcnt vmcnt(16) lgkmcnt(0)
	v_mul_f32_e32 v78, v74, v240
	v_fmac_f32_e32 v78, v75, v239
	v_add_f32_e32 v35, v35, v78
	ds_read_b128 v[78:81], v36 offset:736
	s_waitcnt vmcnt(14)
	v_mul_f32_e32 v82, v76, v242
	v_fmac_f32_e32 v82, v77, v241
	v_add_f32_e32 v35, v35, v82
	ds_read_b128 v[82:85], v36 offset:752
	s_waitcnt vmcnt(12) lgkmcnt(1)
	v_mul_f32_e32 v86, v78, v244
	v_fmac_f32_e32 v86, v79, v243
	v_add_f32_e32 v35, v35, v86
	s_waitcnt vmcnt(10)
	v_mul_f32_e32 v86, v80, v246
	v_fmac_f32_e32 v86, v81, v245
	v_add_f32_e32 v35, v35, v86
	s_waitcnt vmcnt(8) lgkmcnt(0)
	v_mul_f32_e32 v86, v82, v248
	v_fmac_f32_e32 v86, v83, v247
	s_waitcnt vmcnt(6)
	v_mul_f32_e32 v90, v84, v250
	v_add_f32_e32 v35, v35, v86
	v_fmac_f32_e32 v90, v85, v249
	ds_read_b128 v[86:89], v36 offset:768
	v_add_f32_e32 v35, v35, v90
	ds_read_b128 v[90:93], v36 offset:784
	buffer_load_dword v99, off, s[0:3], 0 offset:388
	buffer_load_dword v98, off, s[0:3], 0 offset:384
	buffer_load_dword v101, off, s[0:3], 0 offset:380
	buffer_load_dword v100, off, s[0:3], 0 offset:376
	buffer_load_dword v103, off, s[0:3], 0 offset:372
	buffer_load_dword v102, off, s[0:3], 0 offset:368
	buffer_load_dword v105, off, s[0:3], 0 offset:364
	buffer_load_dword v104, off, s[0:3], 0 offset:360
	buffer_load_dword v107, off, s[0:3], 0 offset:420
	buffer_load_dword v106, off, s[0:3], 0 offset:416
	buffer_load_dword v109, off, s[0:3], 0 offset:412
	buffer_load_dword v108, off, s[0:3], 0 offset:408
	buffer_load_dword v111, off, s[0:3], 0 offset:404
	buffer_load_dword v110, off, s[0:3], 0 offset:400
	buffer_load_dword v193, off, s[0:3], 0 offset:396
	buffer_load_dword v192, off, s[0:3], 0 offset:392
	v_add_f32_e32 v18, v22, v18
	v_fma_f32 v19, v20, v195, -v19
	v_mul_f32_e32 v15, v15, v29
	v_add_f32_e32 v18, v18, v19
	v_fma_f32 v14, v14, v194, -v15
	v_mul_f32_e32 v1, v17, v1
	;; [unrolled: 3-line block ×3, first 2 shown]
	v_add_f32_e32 v1, v14, v1
	v_fma_f32 v10, v10, v114, -v11
	v_add_f32_e32 v1, v1, v10
	v_mul_f32_e32 v10, v13, v34
	v_fma_f32 v10, v12, v199, -v10
	v_mul_f32_e32 v7, v7, v37
	v_add_f32_e32 v1, v1, v10
	v_fma_f32 v6, v6, v198, -v7
	v_add_f32_e32 v1, v1, v6
	v_mul_f32_e32 v6, v9, v94
	v_fma_f32 v6, v8, v197, -v6
	v_mul_f32_e32 v3, v3, v200
	v_add_f32_e32 v1, v1, v6
	v_fma_f32 v2, v2, v196, -v3
	v_add_f32_e32 v1, v1, v2
	v_mul_f32_e32 v2, v5, v207
	v_fma_f32 v2, v4, v208, -v2
	v_add_f32_e32 v1, v1, v2
	v_mul_f32_e32 v2, v39, v202
	v_fma_f32 v2, v38, v201, -v2
	v_add_f32_e32 v1, v1, v2
	v_mul_f32_e32 v2, v41, v204
	v_fma_f32 v2, v40, v203, -v2
	v_add_f32_e32 v1, v1, v2
	v_mul_f32_e32 v2, v43, v206
	v_fma_f32 v2, v42, v205, -v2
	v_add_f32_e32 v1, v1, v2
	v_mul_f32_e32 v2, v45, v210
	v_fma_f32 v2, v44, v209, -v2
	v_add_f32_e32 v1, v1, v2
	v_mul_f32_e32 v2, v47, v212
	v_fma_f32 v2, v46, v211, -v2
	v_add_f32_e32 v1, v1, v2
	v_mul_f32_e32 v2, v49, v214
	v_fma_f32 v2, v48, v213, -v2
	v_add_f32_e32 v1, v1, v2
	v_mul_f32_e32 v2, v51, v216
	v_fma_f32 v2, v50, v215, -v2
	v_add_f32_e32 v1, v1, v2
	v_mul_f32_e32 v2, v53, v218
	v_fma_f32 v2, v52, v217, -v2
	v_add_f32_e32 v1, v1, v2
	v_mul_f32_e32 v2, v55, v220
	v_fma_f32 v2, v54, v219, -v2
	v_add_f32_e32 v1, v1, v2
	v_mul_f32_e32 v2, v57, v222
	v_fma_f32 v2, v56, v221, -v2
	v_add_f32_e32 v1, v1, v2
	v_mul_f32_e32 v2, v59, v224
	v_fma_f32 v2, v58, v223, -v2
	v_add_f32_e32 v1, v1, v2
	v_mul_f32_e32 v2, v61, v226
	v_fma_f32 v2, v60, v225, -v2
	v_add_f32_e32 v1, v1, v2
	v_mul_f32_e32 v2, v63, v228
	v_fma_f32 v2, v62, v227, -v2
	v_add_f32_e32 v1, v1, v2
	v_mul_f32_e32 v2, v65, v230
	v_fma_f32 v2, v64, v229, -v2
	v_add_f32_e32 v1, v1, v2
	v_mul_f32_e32 v2, v67, v232
	v_fma_f32 v2, v66, v231, -v2
	v_add_f32_e32 v1, v1, v2
	v_mul_f32_e32 v2, v69, v234
	v_fma_f32 v2, v68, v233, -v2
	v_add_f32_e32 v1, v1, v2
	v_mul_f32_e32 v2, v71, v236
	v_fma_f32 v2, v70, v235, -v2
	v_add_f32_e32 v1, v1, v2
	v_mul_f32_e32 v2, v73, v238
	v_fma_f32 v2, v72, v237, -v2
	v_add_f32_e32 v1, v1, v2
	v_mul_f32_e32 v2, v75, v240
	v_fma_f32 v2, v74, v239, -v2
	v_add_f32_e32 v1, v1, v2
	v_mul_f32_e32 v2, v77, v242
	v_fma_f32 v2, v76, v241, -v2
	v_add_f32_e32 v1, v1, v2
	v_mul_f32_e32 v2, v79, v244
	v_fma_f32 v2, v78, v243, -v2
	v_add_f32_e32 v1, v1, v2
	v_mul_f32_e32 v2, v81, v246
	v_fma_f32 v2, v80, v245, -v2
	v_add_f32_e32 v1, v1, v2
	v_mul_f32_e32 v2, v83, v248
	v_fma_f32 v2, v82, v247, -v2
	v_add_f32_e32 v1, v1, v2
	v_mul_f32_e32 v2, v85, v250
	v_fma_f32 v2, v84, v249, -v2
	s_waitcnt vmcnt(20) lgkmcnt(1)
	v_mul_f32_e32 v95, v86, v252
	v_add_f32_e32 v1, v1, v2
	v_mul_f32_e32 v2, v87, v252
	v_fmac_f32_e32 v95, v87, v251
	v_fma_f32 v2, v86, v251, -v2
	s_waitcnt vmcnt(9)
	v_mov_b32_e32 v18, v105
	v_add_f32_e32 v35, v35, v95
	v_mul_f32_e32 v95, v88, v254
	v_add_f32_e32 v34, v1, v2
	v_mul_f32_e32 v1, v89, v254
	s_waitcnt lgkmcnt(0)
	v_pk_mul_f32 v[18:19], v[92:93], v[18:19] op_sel_hi:[1,0]
	v_fmac_f32_e32 v95, v89, v253
	v_mul_f32_e32 v97, v90, v116
	v_fma_f32 v94, v88, v253, -v1
	v_mul_f32_e32 v1, v91, v116
	ds_read_b128 v[2:5], v36 offset:800
	ds_read_b128 v[6:9], v36 offset:816
	;; [unrolled: 1-line block ×3, first 2 shown]
	ds_read_b64 v[14:15], v36 offset:848
	s_waitcnt vmcnt(8)
	v_pk_fma_f32 v[20:21], v[92:93], v[104:105], v[18:19] op_sel:[0,0,1] op_sel_hi:[1,1,0] neg_lo:[0,0,1] neg_hi:[0,0,1]
	v_pk_fma_f32 v[18:19], v[92:93], v[104:105], v[18:19] op_sel:[0,0,1] op_sel_hi:[1,0,0]
	v_fmac_f32_e32 v97, v91, v255
	v_fma_f32 v96, v90, v255, -v1
	v_pk_add_f32 v[16:17], v[34:35], v[94:95]
	v_mov_b32_e32 v18, v103
	v_pk_add_f32 v[16:17], v[16:17], v[96:97]
	v_mov_b32_e32 v21, v19
	s_waitcnt lgkmcnt(3)
	v_pk_mul_f32 v[18:19], v[2:3], v[18:19] op_sel_hi:[1,0]
	v_pk_add_f32 v[16:17], v[16:17], v[20:21]
	v_pk_fma_f32 v[20:21], v[2:3], v[102:103], v[18:19] op_sel:[0,0,1] op_sel_hi:[1,1,0] neg_lo:[0,0,1] neg_hi:[0,0,1]
	v_pk_fma_f32 v[2:3], v[2:3], v[102:103], v[18:19] op_sel:[0,0,1] op_sel_hi:[1,0,0]
	v_mov_b32_e32 v21, v3
	v_pk_add_f32 v[2:3], v[16:17], v[20:21]
	v_mov_b32_e32 v16, v101
	v_pk_mul_f32 v[16:17], v[4:5], v[16:17] op_sel_hi:[1,0]
	v_pk_fma_f32 v[18:19], v[4:5], v[100:101], v[16:17] op_sel:[0,0,1] op_sel_hi:[1,1,0] neg_lo:[0,0,1] neg_hi:[0,0,1]
	v_pk_fma_f32 v[4:5], v[4:5], v[100:101], v[16:17] op_sel:[0,0,1] op_sel_hi:[1,0,0]
	v_mov_b32_e32 v4, v99
	v_mov_b32_e32 v19, v5
	s_waitcnt lgkmcnt(2)
	v_pk_mul_f32 v[4:5], v[6:7], v[4:5] op_sel_hi:[1,0]
	v_pk_fma_f32 v[16:17], v[6:7], v[98:99], v[4:5] op_sel:[0,0,1] op_sel_hi:[1,1,0] neg_lo:[0,0,1] neg_hi:[0,0,1]
	v_pk_fma_f32 v[4:5], v[6:7], v[98:99], v[4:5] op_sel:[0,0,1] op_sel_hi:[1,0,0]
	s_waitcnt vmcnt(1)
	v_mov_b32_e32 v4, v193
	v_mov_b32_e32 v17, v5
	v_pk_mul_f32 v[4:5], v[8:9], v[4:5] op_sel_hi:[1,0]
	s_waitcnt vmcnt(0)
	v_pk_fma_f32 v[6:7], v[8:9], v[192:193], v[4:5] op_sel:[0,0,1] op_sel_hi:[1,1,0] neg_lo:[0,0,1] neg_hi:[0,0,1]
	v_pk_fma_f32 v[4:5], v[8:9], v[192:193], v[4:5] op_sel:[0,0,1] op_sel_hi:[1,0,0]
	v_pk_add_f32 v[2:3], v[2:3], v[18:19]
	v_mov_b32_e32 v4, v111
	v_pk_add_f32 v[2:3], v[2:3], v[16:17]
	v_mov_b32_e32 v7, v5
	s_waitcnt lgkmcnt(1)
	v_pk_mul_f32 v[4:5], v[10:11], v[4:5] op_sel_hi:[1,0]
	v_pk_add_f32 v[2:3], v[2:3], v[6:7]
	v_pk_fma_f32 v[6:7], v[10:11], v[110:111], v[4:5] op_sel:[0,0,1] op_sel_hi:[1,1,0] neg_lo:[0,0,1] neg_hi:[0,0,1]
	v_pk_fma_f32 v[4:5], v[10:11], v[110:111], v[4:5] op_sel:[0,0,1] op_sel_hi:[1,0,0]
	v_mov_b32_e32 v4, v109
	v_mov_b32_e32 v7, v5
	v_pk_mul_f32 v[4:5], v[12:13], v[4:5] op_sel_hi:[1,0]
	v_pk_add_f32 v[2:3], v[2:3], v[6:7]
	v_pk_fma_f32 v[6:7], v[12:13], v[108:109], v[4:5] op_sel:[0,0,1] op_sel_hi:[1,1,0] neg_lo:[0,0,1] neg_hi:[0,0,1]
	v_pk_fma_f32 v[4:5], v[12:13], v[108:109], v[4:5] op_sel:[0,0,1] op_sel_hi:[1,0,0]
	v_mov_b32_e32 v4, v107
	v_mov_b32_e32 v7, v5
	s_waitcnt lgkmcnt(0)
	v_pk_mul_f32 v[4:5], v[14:15], v[4:5] op_sel_hi:[1,0]
	v_pk_add_f32 v[2:3], v[2:3], v[6:7]
	v_pk_fma_f32 v[6:7], v[14:15], v[106:107], v[4:5] op_sel:[0,0,1] op_sel_hi:[1,1,0] neg_lo:[0,0,1] neg_hi:[0,0,1]
	v_pk_fma_f32 v[4:5], v[14:15], v[106:107], v[4:5] op_sel:[0,0,1] op_sel_hi:[1,0,0]
	v_mov_b32_e32 v7, v5
	v_pk_add_f32 v[2:3], v[2:3], v[6:7]
	v_pk_add_f32 v[2:3], v[26:27], v[2:3] neg_lo:[0,1] neg_hi:[0,1]
	buffer_store_dword v3, off, s[0:3], 0 offset:44
	buffer_store_dword v2, off, s[0:3], 0 offset:40
	s_and_saveexec_b64 s[4:5], vcc
	s_cbranch_execz .LBB116_323
; %bb.322:
	buffer_load_dword v2, off, s[0:3], 0 offset:32
	buffer_load_dword v3, off, s[0:3], 0 offset:36
	v_accvgpr_read_b32 v1, a48
	buffer_store_dword v36, off, s[0:3], 0 offset:32
	buffer_store_dword v36, off, s[0:3], 0 offset:36
	s_waitcnt vmcnt(2)
	ds_write_b64 v1, v[2:3]
.LBB116_323:
	s_or_b64 exec, exec, s[4:5]
	s_waitcnt lgkmcnt(0)
	; wave barrier
	s_waitcnt lgkmcnt(0)
	buffer_load_dword v41, off, s[0:3], 0 offset:44
	buffer_load_dword v40, off, s[0:3], 0 offset:52
	;; [unrolled: 1-line block ×32, first 2 shown]
	ds_read2_b64 v[22:25], v36 offset0:59 offset1:60
	ds_read2_b64 v[18:21], v36 offset0:61 offset1:62
	;; [unrolled: 1-line block ×6, first 2 shown]
	buffer_load_dword v207, off, s[0:3], 0 offset:160
	buffer_load_dword v208, off, s[0:3], 0 offset:164
	;; [unrolled: 1-line block ×26, first 2 shown]
	v_cmp_lt_u32_e32 vcc, 3, v0
	s_waitcnt vmcnt(57) lgkmcnt(5)
	v_mul_f32_e32 v26, v22, v41
	s_waitcnt vmcnt(56)
	v_mul_f32_e32 v27, v24, v40
	s_waitcnt vmcnt(55) lgkmcnt(4)
	v_mul_f32_e32 v29, v20, v39
	s_waitcnt vmcnt(54) lgkmcnt(3)
	v_mul_f32_e32 v30, v14, v38
	s_waitcnt vmcnt(53)
	v_mul_f32_e32 v31, v16, v1
	s_waitcnt vmcnt(52)
	v_mul_f32_e32 v28, v18, v42
	s_waitcnt vmcnt(51) lgkmcnt(2)
	v_mul_f32_e32 v32, v10, v37
	s_waitcnt vmcnt(50)
	v_mul_f32_e32 v33, v12, v43
	s_waitcnt vmcnt(49) lgkmcnt(1)
	;; [unrolled: 4-line block ×3, first 2 shown]
	v_mul_f32_e32 v46, v2, v102
	s_waitcnt vmcnt(46)
	v_fmac_f32_e32 v28, v19, v112
	s_waitcnt vmcnt(45)
	v_fmac_f32_e32 v27, v25, v113
	;; [unrolled: 2-line block ×3, first 2 shown]
	v_add_f32_e32 v26, 0, v26
	v_add_f32_e32 v26, v26, v27
	;; [unrolled: 1-line block ×3, first 2 shown]
	s_waitcnt vmcnt(40)
	v_fmac_f32_e32 v29, v21, v194
	v_fmac_f32_e32 v30, v15, v117
	v_add_f32_e32 v26, v26, v29
	v_fmac_f32_e32 v31, v17, v116
	v_add_f32_e32 v26, v26, v30
	;; [unrolled: 2-line block ×3, first 2 shown]
	s_waitcnt vmcnt(36)
	v_fmac_f32_e32 v33, v13, v198
	v_add_f32_e32 v26, v26, v32
	v_fmac_f32_e32 v44, v7, v197
	v_add_f32_e32 v26, v26, v33
	;; [unrolled: 2-line block ×4, first 2 shown]
	s_waitcnt vmcnt(30)
	v_mul_f32_e32 v27, v4, v204
	v_add_f32_e32 v26, v26, v46
	s_waitcnt vmcnt(29)
	v_fmac_f32_e32 v27, v5, v205
	v_add_f32_e32 v44, v26, v27
	ds_read2_b64 v[26:29], v36 offset0:71 offset1:72
	buffer_load_dword v233, off, s[0:3], 0 offset:264
	buffer_load_dword v234, off, s[0:3], 0 offset:268
	ds_read2_b64 v[30:33], v36 offset0:73 offset1:74
	buffer_load_dword v235, off, s[0:3], 0 offset:272
	buffer_load_dword v236, off, s[0:3], 0 offset:276
	;; [unrolled: 1-line block ×14, first 2 shown]
	s_waitcnt vmcnt(44) lgkmcnt(1)
	v_mul_f32_e32 v45, v26, v206
	v_fmac_f32_e32 v45, v27, v203
	v_add_f32_e32 v44, v44, v45
	v_mul_f32_e32 v45, v28, v200
	v_fmac_f32_e32 v45, v29, v199
	v_add_f32_e32 v44, v44, v45
	s_waitcnt lgkmcnt(0)
	v_mul_f32_e32 v45, v30, v202
	v_fmac_f32_e32 v45, v31, v201
	v_add_f32_e32 v48, v44, v45
	buffer_load_dword v249, off, s[0:3], 0 offset:328
	buffer_load_dword v250, off, s[0:3], 0 offset:332
	ds_read2_b64 v[44:47], v36 offset0:75 offset1:76
	s_waitcnt vmcnt(42)
	v_mul_f32_e32 v49, v32, v208
	v_fmac_f32_e32 v49, v33, v207
	buffer_load_dword v251, off, s[0:3], 0 offset:336
	buffer_load_dword v252, off, s[0:3], 0 offset:340
	v_add_f32_e32 v52, v48, v49
	buffer_load_dword v253, off, s[0:3], 0 offset:344
	buffer_load_dword v254, off, s[0:3], 0 offset:348
	ds_read2_b64 v[48:51], v36 offset0:77 offset1:78
	s_waitcnt vmcnt(44) lgkmcnt(1)
	v_mul_f32_e32 v53, v44, v210
	v_fmac_f32_e32 v53, v45, v209
	v_add_f32_e32 v52, v52, v53
	s_waitcnt vmcnt(42)
	v_mul_f32_e32 v53, v46, v212
	v_fmac_f32_e32 v53, v47, v211
	v_add_f32_e32 v52, v52, v53
	s_waitcnt vmcnt(40) lgkmcnt(0)
	v_mul_f32_e32 v53, v48, v214
	v_fmac_f32_e32 v53, v49, v213
	buffer_load_dword v255, off, s[0:3], 0 offset:352
	buffer_load_dword v118, off, s[0:3], 0 offset:356
	v_add_f32_e32 v56, v52, v53
	ds_read2_b64 v[52:55], v36 offset0:79 offset1:80
	s_waitcnt vmcnt(40)
	v_mul_f32_e32 v57, v50, v216
	v_fmac_f32_e32 v57, v51, v215
	v_add_f32_e32 v60, v56, v57
	ds_read2_b64 v[56:59], v36 offset0:81 offset1:82
	s_waitcnt vmcnt(38) lgkmcnt(1)
	v_mul_f32_e32 v61, v52, v218
	v_fmac_f32_e32 v61, v53, v217
	v_add_f32_e32 v60, v60, v61
	s_waitcnt vmcnt(36)
	v_mul_f32_e32 v61, v54, v220
	v_fmac_f32_e32 v61, v55, v219
	v_add_f32_e32 v60, v60, v61
	s_waitcnt vmcnt(34) lgkmcnt(0)
	v_mul_f32_e32 v61, v56, v222
	v_fmac_f32_e32 v61, v57, v221
	v_add_f32_e32 v64, v60, v61
	ds_read2_b64 v[60:63], v36 offset0:83 offset1:84
	s_waitcnt vmcnt(32)
	v_mul_f32_e32 v65, v58, v224
	v_fmac_f32_e32 v65, v59, v223
	v_add_f32_e32 v68, v64, v65
	ds_read2_b64 v[64:67], v36 offset0:85 offset1:86
	s_waitcnt vmcnt(30) lgkmcnt(1)
	v_mul_f32_e32 v69, v60, v226
	v_fmac_f32_e32 v69, v61, v225
	v_add_f32_e32 v68, v68, v69
	s_waitcnt vmcnt(28)
	v_mul_f32_e32 v69, v62, v228
	v_fmac_f32_e32 v69, v63, v227
	v_add_f32_e32 v68, v68, v69
	s_waitcnt vmcnt(26) lgkmcnt(0)
	v_mul_f32_e32 v69, v64, v230
	v_fmac_f32_e32 v69, v65, v229
	v_add_f32_e32 v72, v68, v69
	ds_read2_b64 v[68:71], v36 offset0:87 offset1:88
	s_waitcnt vmcnt(24)
	v_mul_f32_e32 v73, v66, v232
	v_fmac_f32_e32 v73, v67, v231
	v_add_f32_e32 v76, v72, v73
	ds_read2_b64 v[72:75], v36 offset0:89 offset1:90
	v_mul_f32_e32 v23, v23, v41
	v_fma_f32 v22, v22, v114, -v23
	v_mul_f32_e32 v23, v25, v40
	v_add_f32_e32 v22, 0, v22
	v_fma_f32 v23, v24, v113, -v23
	v_mul_f32_e32 v19, v19, v42
	v_add_f32_e32 v22, v22, v23
	;; [unrolled: 3-line block ×3, first 2 shown]
	v_fma_f32 v19, v20, v194, -v19
	s_waitcnt vmcnt(22) lgkmcnt(1)
	v_mul_f32_e32 v77, v68, v234
	v_fmac_f32_e32 v77, v69, v233
	v_add_f32_e32 v76, v76, v77
	s_waitcnt vmcnt(20)
	v_mul_f32_e32 v77, v70, v236
	v_fmac_f32_e32 v77, v71, v235
	v_add_f32_e32 v76, v76, v77
	s_waitcnt vmcnt(18) lgkmcnt(0)
	v_mul_f32_e32 v77, v72, v238
	v_fmac_f32_e32 v77, v73, v237
	v_add_f32_e32 v80, v76, v77
	ds_read2_b64 v[76:79], v36 offset0:91 offset1:92
	s_waitcnt vmcnt(16)
	v_mul_f32_e32 v81, v74, v240
	v_fmac_f32_e32 v81, v75, v239
	v_add_f32_e32 v84, v80, v81
	ds_read2_b64 v[80:83], v36 offset0:93 offset1:94
	s_waitcnt vmcnt(14) lgkmcnt(1)
	v_mul_f32_e32 v85, v76, v242
	v_fmac_f32_e32 v85, v77, v241
	v_add_f32_e32 v84, v84, v85
	s_waitcnt vmcnt(12)
	v_mul_f32_e32 v85, v78, v244
	v_fmac_f32_e32 v85, v79, v243
	v_add_f32_e32 v84, v84, v85
	s_waitcnt vmcnt(10) lgkmcnt(0)
	v_mul_f32_e32 v85, v80, v246
	v_fmac_f32_e32 v85, v81, v245
	s_waitcnt vmcnt(8)
	v_mul_f32_e32 v89, v82, v248
	v_add_f32_e32 v88, v84, v85
	v_fmac_f32_e32 v89, v83, v247
	ds_read2_b64 v[84:87], v36 offset0:95 offset1:96
	v_add_f32_e32 v93, v88, v89
	ds_read2_b64 v[88:91], v36 offset0:97 offset1:98
	buffer_load_dword v97, off, s[0:3], 0 offset:380
	buffer_load_dword v96, off, s[0:3], 0 offset:376
	;; [unrolled: 1-line block ×16, first 2 shown]
	v_mul_f32_e32 v15, v15, v38
	v_add_f32_e32 v18, v18, v19
	v_fma_f32 v14, v14, v117, -v15
	v_mul_f32_e32 v1, v17, v1
	v_add_f32_e32 v14, v18, v14
	v_fma_f32 v1, v16, v116, -v1
	v_mul_f32_e32 v11, v11, v37
	v_add_f32_e32 v1, v14, v1
	v_fma_f32 v10, v10, v115, -v11
	v_add_f32_e32 v1, v1, v10
	v_mul_f32_e32 v10, v13, v43
	v_fma_f32 v10, v12, v198, -v10
	v_mul_f32_e32 v7, v7, v92
	v_add_f32_e32 v1, v1, v10
	v_fma_f32 v6, v6, v197, -v7
	v_add_f32_e32 v1, v1, v6
	v_mul_f32_e32 v6, v9, v94
	v_fma_f32 v6, v8, v196, -v6
	v_mul_f32_e32 v3, v3, v102
	v_add_f32_e32 v1, v1, v6
	v_fma_f32 v2, v2, v195, -v3
	v_add_f32_e32 v1, v1, v2
	v_mul_f32_e32 v2, v5, v204
	v_fma_f32 v2, v4, v205, -v2
	v_add_f32_e32 v1, v1, v2
	v_mul_f32_e32 v2, v27, v206
	;; [unrolled: 3-line block ×25, first 2 shown]
	v_fma_f32 v2, v82, v247, -v2
	v_add_f32_e32 v1, v1, v2
	s_waitcnt vmcnt(22) lgkmcnt(1)
	v_mul_f32_e32 v2, v85, v250
	v_mul_f32_e32 v95, v84, v250
	v_fma_f32 v2, v84, v249, -v2
	v_fmac_f32_e32 v95, v85, v249
	v_add_f32_e32 v1, v1, v2
	s_waitcnt vmcnt(20)
	v_mul_f32_e32 v2, v87, v252
	v_add_f32_e32 v93, v93, v95
	v_mul_f32_e32 v95, v86, v252
	v_fma_f32 v2, v86, v251, -v2
	v_fmac_f32_e32 v95, v87, v251
	v_add_f32_e32 v92, v1, v2
	ds_read2_b64 v[2:5], v36 offset0:99 offset1:100
	ds_read2_b64 v[6:9], v36 offset0:101 offset1:102
	;; [unrolled: 1-line block ×4, first 2 shown]
	v_add_f32_e32 v93, v93, v95
	s_waitcnt vmcnt(18) lgkmcnt(4)
	v_mul_f32_e32 v95, v88, v254
	v_mul_f32_e32 v1, v89, v254
	s_waitcnt vmcnt(11)
	v_mov_b32_e32 v20, v101
	v_fmac_f32_e32 v95, v89, v253
	v_mul_f32_e32 v103, v90, v118
	v_fma_f32 v94, v88, v253, -v1
	v_mul_f32_e32 v1, v91, v118
	s_waitcnt lgkmcnt(3)
	v_pk_mul_f32 v[20:21], v[2:3], v[20:21] op_sel_hi:[1,0]
	v_fmac_f32_e32 v103, v91, v255
	v_fma_f32 v102, v90, v255, -v1
	v_pk_add_f32 v[18:19], v[92:93], v[94:95]
	s_waitcnt vmcnt(10)
	v_pk_fma_f32 v[22:23], v[2:3], v[100:101], v[20:21] op_sel:[0,0,1] op_sel_hi:[1,1,0] neg_lo:[0,0,1] neg_hi:[0,0,1]
	v_pk_fma_f32 v[2:3], v[2:3], v[100:101], v[20:21] op_sel:[0,0,1] op_sel_hi:[1,0,0]
	v_pk_add_f32 v[18:19], v[18:19], v[102:103]
	v_mov_b32_e32 v23, v3
	v_pk_add_f32 v[2:3], v[18:19], v[22:23]
	v_mov_b32_e32 v18, v99
	v_pk_mul_f32 v[18:19], v[4:5], v[18:19] op_sel_hi:[1,0]
	v_pk_fma_f32 v[20:21], v[4:5], v[98:99], v[18:19] op_sel:[0,0,1] op_sel_hi:[1,1,0] neg_lo:[0,0,1] neg_hi:[0,0,1]
	v_pk_fma_f32 v[4:5], v[4:5], v[98:99], v[18:19] op_sel:[0,0,1] op_sel_hi:[1,0,0]
	v_mov_b32_e32 v4, v97
	v_mov_b32_e32 v21, v5
	s_waitcnt lgkmcnt(2)
	v_pk_mul_f32 v[4:5], v[6:7], v[4:5] op_sel_hi:[1,0]
	v_pk_fma_f32 v[18:19], v[6:7], v[96:97], v[4:5] op_sel:[0,0,1] op_sel_hi:[1,1,0] neg_lo:[0,0,1] neg_hi:[0,0,1]
	v_pk_fma_f32 v[4:5], v[6:7], v[96:97], v[4:5] op_sel:[0,0,1] op_sel_hi:[1,0,0]
	s_waitcnt vmcnt(3)
	v_mov_b32_e32 v4, v111
	v_mov_b32_e32 v19, v5
	v_pk_mul_f32 v[4:5], v[8:9], v[4:5] op_sel_hi:[1,0]
	s_waitcnt vmcnt(2)
	v_pk_fma_f32 v[6:7], v[8:9], v[110:111], v[4:5] op_sel:[0,0,1] op_sel_hi:[1,1,0] neg_lo:[0,0,1] neg_hi:[0,0,1]
	v_pk_fma_f32 v[4:5], v[8:9], v[110:111], v[4:5] op_sel:[0,0,1] op_sel_hi:[1,0,0]
	v_pk_add_f32 v[2:3], v[2:3], v[20:21]
	v_mov_b32_e32 v4, v109
	v_pk_add_f32 v[2:3], v[2:3], v[18:19]
	v_mov_b32_e32 v7, v5
	s_waitcnt lgkmcnt(1)
	v_pk_mul_f32 v[4:5], v[10:11], v[4:5] op_sel_hi:[1,0]
	v_pk_add_f32 v[2:3], v[2:3], v[6:7]
	v_pk_fma_f32 v[6:7], v[10:11], v[108:109], v[4:5] op_sel:[0,0,1] op_sel_hi:[1,1,0] neg_lo:[0,0,1] neg_hi:[0,0,1]
	v_pk_fma_f32 v[4:5], v[10:11], v[108:109], v[4:5] op_sel:[0,0,1] op_sel_hi:[1,0,0]
	v_mov_b32_e32 v4, v107
	v_mov_b32_e32 v7, v5
	v_pk_mul_f32 v[4:5], v[12:13], v[4:5] op_sel_hi:[1,0]
	v_pk_add_f32 v[2:3], v[2:3], v[6:7]
	v_pk_fma_f32 v[6:7], v[12:13], v[106:107], v[4:5] op_sel:[0,0,1] op_sel_hi:[1,1,0] neg_lo:[0,0,1] neg_hi:[0,0,1]
	v_pk_fma_f32 v[4:5], v[12:13], v[106:107], v[4:5] op_sel:[0,0,1] op_sel_hi:[1,0,0]
	v_mov_b32_e32 v4, v105
	v_mov_b32_e32 v7, v5
	s_waitcnt lgkmcnt(0)
	v_pk_mul_f32 v[4:5], v[14:15], v[4:5] op_sel_hi:[1,0]
	v_pk_add_f32 v[2:3], v[2:3], v[6:7]
	v_pk_fma_f32 v[6:7], v[14:15], v[104:105], v[4:5] op_sel:[0,0,1] op_sel_hi:[1,1,0] neg_lo:[0,0,1] neg_hi:[0,0,1]
	v_pk_fma_f32 v[4:5], v[14:15], v[104:105], v[4:5] op_sel:[0,0,1] op_sel_hi:[1,0,0]
	s_waitcnt vmcnt(1)
	v_mov_b32_e32 v4, v193
	v_mov_b32_e32 v7, v5
	v_pk_mul_f32 v[4:5], v[16:17], v[4:5] op_sel_hi:[1,0]
	v_pk_add_f32 v[2:3], v[2:3], v[6:7]
	s_waitcnt vmcnt(0)
	v_pk_fma_f32 v[6:7], v[16:17], v[192:193], v[4:5] op_sel:[0,0,1] op_sel_hi:[1,1,0] neg_lo:[0,0,1] neg_hi:[0,0,1]
	v_pk_fma_f32 v[4:5], v[16:17], v[192:193], v[4:5] op_sel:[0,0,1] op_sel_hi:[1,0,0]
	v_mov_b32_e32 v7, v5
	v_pk_add_f32 v[2:3], v[2:3], v[6:7]
	v_pk_add_f32 v[2:3], v[34:35], v[2:3] neg_lo:[0,1] neg_hi:[0,1]
	buffer_store_dword v3, off, s[0:3], 0 offset:36
	buffer_store_dword v2, off, s[0:3], 0 offset:32
	s_and_saveexec_b64 s[4:5], vcc
	s_cbranch_execz .LBB116_325
; %bb.324:
	buffer_load_dword v2, off, s[0:3], 0 offset:24
	buffer_load_dword v3, off, s[0:3], 0 offset:28
	v_mov_b32_e32 v1, 0
	v_accvgpr_read_b32 v4, a48
	buffer_store_dword v1, off, s[0:3], 0 offset:24
	buffer_store_dword v1, off, s[0:3], 0 offset:28
	s_waitcnt vmcnt(2)
	ds_write_b64 v4, v[2:3]
.LBB116_325:
	s_or_b64 exec, exec, s[4:5]
	v_mov_b32_e32 v216, 0
	s_waitcnt lgkmcnt(0)
	; wave barrier
	s_waitcnt lgkmcnt(0)
	ds_read_b128 v[2:5], v216 offset:464
	buffer_load_dword v192, off, s[0:3], 0 offset:24
	buffer_load_dword v193, off, s[0:3], 0 offset:28
	;; [unrolled: 1-line block ×16, first 2 shown]
	v_cmp_lt_u32_e32 vcc, 2, v0
	s_waitcnt vmcnt(12) lgkmcnt(0)
	v_mul_f32_e32 v1, v2, v217
	v_fmac_f32_e32 v1, v3, v194
	s_waitcnt vmcnt(10)
	v_mul_f32_e32 v6, v4, v219
	v_add_f32_e32 v1, 0, v1
	v_fmac_f32_e32 v6, v5, v196
	v_add_f32_e32 v1, v1, v6
	ds_read_b128 v[6:9], v216 offset:480
	v_mul_f32_e32 v3, v3, v217
	v_fma_f32 v2, v2, v194, -v3
	v_mul_f32_e32 v3, v5, v219
	v_add_f32_e32 v2, 0, v2
	s_waitcnt vmcnt(8) lgkmcnt(0)
	v_mul_f32_e32 v10, v6, v221
	v_fmac_f32_e32 v10, v7, v200
	v_add_f32_e32 v1, v1, v10
	s_waitcnt vmcnt(6)
	v_mul_f32_e32 v10, v8, v223
	v_fmac_f32_e32 v10, v9, v218
	v_add_f32_e32 v1, v1, v10
	ds_read_b128 v[10:13], v216 offset:496
	v_fma_f32 v3, v4, v196, -v3
	v_add_f32_e32 v2, v2, v3
	v_mul_f32_e32 v3, v7, v221
	v_fma_f32 v3, v6, v200, -v3
	s_waitcnt vmcnt(4) lgkmcnt(0)
	v_mul_f32_e32 v14, v10, v225
	v_fmac_f32_e32 v14, v11, v220
	v_add_f32_e32 v1, v1, v14
	s_waitcnt vmcnt(2)
	v_mul_f32_e32 v14, v12, v226
	v_fmac_f32_e32 v14, v13, v222
	v_add_f32_e32 v1, v1, v14
	ds_read_b128 v[14:17], v216 offset:512
	buffer_load_dword v228, off, s[0:3], 0 offset:88
	buffer_load_dword v229, off, s[0:3], 0 offset:92
	v_add_f32_e32 v2, v2, v3
	v_mul_f32_e32 v3, v9, v223
	v_fma_f32 v3, v8, v218, -v3
	s_waitcnt vmcnt(2) lgkmcnt(0)
	v_mul_f32_e32 v18, v14, v227
	v_fmac_f32_e32 v18, v15, v224
	v_add_f32_e32 v1, v1, v18
	v_add_f32_e32 v2, v2, v3
	v_mul_f32_e32 v3, v11, v225
	v_fma_f32 v3, v10, v220, -v3
	v_add_f32_e32 v2, v2, v3
	v_mul_f32_e32 v3, v13, v226
	v_fma_f32 v3, v12, v222, -v3
	;; [unrolled: 3-line block ×3, first 2 shown]
	v_add_f32_e32 v2, v2, v3
	s_waitcnt vmcnt(0)
	v_mul_f32_e32 v18, v16, v229
	v_fmac_f32_e32 v18, v17, v228
	v_add_f32_e32 v1, v1, v18
	ds_read_b128 v[18:21], v216 offset:528
	buffer_load_dword v230, off, s[0:3], 0 offset:96
	buffer_load_dword v231, off, s[0:3], 0 offset:100
	;; [unrolled: 1-line block ×4, first 2 shown]
	v_mul_f32_e32 v3, v17, v229
	v_fma_f32 v3, v16, v228, -v3
	v_add_f32_e32 v2, v2, v3
	s_waitcnt vmcnt(2) lgkmcnt(0)
	v_mul_f32_e32 v22, v18, v231
	v_fmac_f32_e32 v22, v19, v230
	v_add_f32_e32 v1, v1, v22
	s_waitcnt vmcnt(0)
	v_mul_f32_e32 v22, v20, v233
	v_fmac_f32_e32 v22, v21, v232
	v_add_f32_e32 v1, v1, v22
	ds_read_b128 v[22:25], v216 offset:544
	buffer_load_dword v234, off, s[0:3], 0 offset:112
	buffer_load_dword v235, off, s[0:3], 0 offset:116
	;; [unrolled: 1-line block ×4, first 2 shown]
	v_mul_f32_e32 v3, v19, v231
	v_fma_f32 v3, v18, v230, -v3
	v_add_f32_e32 v2, v2, v3
	v_mul_f32_e32 v3, v21, v233
	v_fma_f32 v3, v20, v232, -v3
	v_add_f32_e32 v2, v2, v3
	s_waitcnt vmcnt(2) lgkmcnt(0)
	v_mul_f32_e32 v26, v22, v235
	v_fmac_f32_e32 v26, v23, v234
	v_add_f32_e32 v1, v1, v26
	s_waitcnt vmcnt(0)
	v_mul_f32_e32 v26, v24, v237
	v_fmac_f32_e32 v26, v25, v236
	v_add_f32_e32 v1, v1, v26
	ds_read_b128 v[26:29], v216 offset:560
	buffer_load_dword v238, off, s[0:3], 0 offset:128
	buffer_load_dword v239, off, s[0:3], 0 offset:132
	buffer_load_dword v240, off, s[0:3], 0 offset:136
	buffer_load_dword v241, off, s[0:3], 0 offset:140
	v_mul_f32_e32 v3, v23, v235
	v_fma_f32 v3, v22, v234, -v3
	v_add_f32_e32 v2, v2, v3
	v_mul_f32_e32 v3, v25, v237
	v_fma_f32 v3, v24, v236, -v3
	v_add_f32_e32 v2, v2, v3
	s_waitcnt vmcnt(2) lgkmcnt(0)
	v_mul_f32_e32 v30, v26, v239
	v_fmac_f32_e32 v30, v27, v238
	v_add_f32_e32 v1, v1, v30
	s_waitcnt vmcnt(0)
	v_mul_f32_e32 v30, v28, v241
	v_fmac_f32_e32 v30, v29, v240
	v_add_f32_e32 v1, v1, v30
	ds_read_b128 v[30:33], v216 offset:576
	buffer_load_dword v242, off, s[0:3], 0 offset:144
	buffer_load_dword v243, off, s[0:3], 0 offset:148
	buffer_load_dword v244, off, s[0:3], 0 offset:152
	buffer_load_dword v245, off, s[0:3], 0 offset:156
	ds_read_b128 v[38:41], v216 offset:592
	buffer_load_dword v246, off, s[0:3], 0 offset:160
	buffer_load_dword v247, off, s[0:3], 0 offset:164
	buffer_load_dword v248, off, s[0:3], 0 offset:168
	buffer_load_dword v249, off, s[0:3], 0 offset:172
	;; [unrolled: 5-line block ×3, first 2 shown]
	ds_read_b128 v[46:49], v216 offset:624
	buffer_load_dword v254, off, s[0:3], 0 offset:192
	buffer_load_dword v255, off, s[0:3], 0 offset:196
	v_mul_f32_e32 v3, v27, v239
	v_fma_f32 v3, v26, v238, -v3
	v_add_f32_e32 v2, v2, v3
	v_mul_f32_e32 v3, v29, v241
	v_fma_f32 v3, v28, v240, -v3
	v_add_f32_e32 v2, v2, v3
	s_waitcnt vmcnt(12) lgkmcnt(3)
	v_mul_f32_e32 v34, v30, v243
	v_fmac_f32_e32 v34, v31, v242
	v_add_f32_e32 v1, v1, v34
	s_waitcnt vmcnt(10)
	v_mul_f32_e32 v34, v32, v245
	v_fmac_f32_e32 v34, v33, v244
	v_add_f32_e32 v1, v1, v34
	s_waitcnt vmcnt(8) lgkmcnt(2)
	v_mul_f32_e32 v34, v38, v247
	v_fmac_f32_e32 v34, v39, v246
	v_add_f32_e32 v1, v1, v34
	s_waitcnt vmcnt(6)
	v_mul_f32_e32 v34, v40, v249
	v_fmac_f32_e32 v34, v41, v248
	;; [unrolled: 8-line block ×3, first 2 shown]
	v_add_f32_e32 v1, v1, v34
	s_waitcnt vmcnt(0) lgkmcnt(0)
	v_mul_f32_e32 v34, v46, v255
	v_fmac_f32_e32 v34, v47, v254
	v_add_f32_e32 v34, v1, v34
	buffer_load_dword v1, off, s[0:3], 0 offset:200
	buffer_load_dword v86, off, s[0:3], 0 offset:204
	ds_read_b128 v[50:53], v216 offset:640
	buffer_load_dword v87, off, s[0:3], 0 offset:208
	buffer_load_dword v88, off, s[0:3], 0 offset:212
	buffer_load_dword v89, off, s[0:3], 0 offset:216
	buffer_load_dword v90, off, s[0:3], 0 offset:220
	ds_read_b128 v[54:57], v216 offset:656
	buffer_load_dword v91, off, s[0:3], 0 offset:224
	buffer_load_dword v92, off, s[0:3], 0 offset:228
	;; [unrolled: 5-line block ×9, first 2 shown]
	buffer_load_dword v121, off, s[0:3], 0 offset:344
	buffer_load_dword v122, off, s[0:3], 0 offset:348
	v_mul_f32_e32 v3, v31, v243
	v_fma_f32 v3, v30, v242, -v3
	v_add_f32_e32 v2, v2, v3
	v_mul_f32_e32 v3, v33, v245
	v_fma_f32 v3, v32, v244, -v3
	v_add_f32_e32 v2, v2, v3
	;; [unrolled: 3-line block ×7, first 2 shown]
	s_waitcnt vmcnt(36)
	v_mul_f32_e32 v35, v48, v86
	v_fmac_f32_e32 v35, v49, v1
	v_add_f32_e32 v34, v34, v35
	s_waitcnt vmcnt(34) lgkmcnt(8)
	v_mul_f32_e32 v35, v50, v88
	v_fmac_f32_e32 v35, v51, v87
	v_add_f32_e32 v34, v34, v35
	s_waitcnt vmcnt(32)
	v_mul_f32_e32 v35, v52, v90
	v_fmac_f32_e32 v35, v53, v89
	v_add_f32_e32 v34, v34, v35
	s_waitcnt vmcnt(30) lgkmcnt(7)
	v_mul_f32_e32 v35, v54, v92
	v_fmac_f32_e32 v35, v55, v91
	v_add_f32_e32 v34, v34, v35
	;; [unrolled: 8-line block ×9, first 2 shown]
	ds_read_b128 v[34:37], v216 offset:784
	buffer_load_dword v123, off, s[0:3], 0 offset:352
	buffer_load_dword v124, off, s[0:3], 0 offset:356
	;; [unrolled: 1-line block ×18, first 2 shown]
	v_mul_f32_e32 v3, v49, v86
	v_fma_f32 v1, v48, v1, -v3
	v_add_f32_e32 v1, v2, v1
	v_mul_f32_e32 v2, v51, v88
	v_fma_f32 v2, v50, v87, -v2
	v_add_f32_e32 v1, v1, v2
	v_mul_f32_e32 v2, v53, v90
	v_fma_f32 v2, v52, v89, -v2
	v_add_f32_e32 v1, v1, v2
	v_mul_f32_e32 v2, v55, v92
	v_fma_f32 v2, v54, v91, -v2
	v_add_f32_e32 v1, v1, v2
	v_mul_f32_e32 v2, v57, v94
	v_fma_f32 v2, v56, v93, -v2
	v_add_f32_e32 v1, v1, v2
	v_mul_f32_e32 v2, v59, v96
	v_fma_f32 v2, v58, v95, -v2
	v_add_f32_e32 v1, v1, v2
	v_mul_f32_e32 v2, v61, v98
	v_fma_f32 v2, v60, v97, -v2
	v_add_f32_e32 v1, v1, v2
	v_mul_f32_e32 v2, v63, v100
	v_fma_f32 v2, v62, v99, -v2
	v_add_f32_e32 v1, v1, v2
	v_mul_f32_e32 v2, v65, v102
	v_fma_f32 v2, v64, v101, -v2
	v_add_f32_e32 v1, v1, v2
	v_mul_f32_e32 v2, v67, v104
	v_fma_f32 v2, v66, v103, -v2
	v_add_f32_e32 v1, v1, v2
	v_mul_f32_e32 v2, v69, v106
	v_fma_f32 v2, v68, v105, -v2
	v_add_f32_e32 v1, v1, v2
	v_mul_f32_e32 v2, v71, v108
	v_fma_f32 v2, v70, v107, -v2
	v_add_f32_e32 v1, v1, v2
	v_mul_f32_e32 v2, v73, v110
	v_fma_f32 v2, v72, v109, -v2
	v_add_f32_e32 v1, v1, v2
	v_mul_f32_e32 v2, v75, v112
	v_fma_f32 v2, v74, v111, -v2
	v_add_f32_e32 v1, v1, v2
	v_mul_f32_e32 v2, v77, v114
	v_fma_f32 v2, v76, v113, -v2
	v_add_f32_e32 v1, v1, v2
	v_mul_f32_e32 v2, v79, v116
	v_fma_f32 v2, v78, v115, -v2
	v_add_f32_e32 v1, v1, v2
	v_mul_f32_e32 v2, v81, v118
	v_fma_f32 v2, v80, v117, -v2
	v_add_f32_e32 v1, v1, v2
	v_mul_f32_e32 v2, v83, v120
	v_fma_f32 v2, v82, v119, -v2
	s_waitcnt vmcnt(18)
	v_mul_f32_e32 v197, v84, v122
	v_add_f32_e32 v194, v1, v2
	v_mul_f32_e32 v1, v85, v122
	v_fmac_f32_e32 v197, v85, v121
	v_fma_f32 v196, v84, v121, -v1
	ds_read_b128 v[2:5], v216 offset:800
	ds_read_b128 v[6:9], v216 offset:816
	ds_read_b128 v[10:13], v216 offset:832
	ds_read_b64 v[14:15], v216 offset:848
	v_pk_add_f32 v[16:17], v[194:195], v[196:197]
	s_waitcnt vmcnt(15)
	v_mov_b32_e32 v18, v199
	s_waitcnt lgkmcnt(4)
	v_pk_mul_f32 v[18:19], v[36:37], v[18:19] op_sel_hi:[1,0]
	s_waitcnt vmcnt(14)
	v_pk_fma_f32 v[20:21], v[36:37], v[198:199], v[18:19] op_sel:[0,0,1] op_sel_hi:[1,1,0] neg_lo:[0,0,1] neg_hi:[0,0,1]
	v_pk_fma_f32 v[18:19], v[36:37], v[198:199], v[18:19] op_sel:[0,0,1] op_sel_hi:[1,0,0]
	s_waitcnt vmcnt(13)
	v_mov_b32_e32 v18, v215
	v_mov_b32_e32 v21, v19
	s_waitcnt lgkmcnt(3)
	v_pk_mul_f32 v[18:19], v[2:3], v[18:19] op_sel_hi:[1,0]
	v_mul_f32_e32 v201, v34, v124
	v_mul_f32_e32 v1, v35, v124
	v_fmac_f32_e32 v201, v35, v123
	v_fma_f32 v200, v34, v123, -v1
	v_pk_add_f32 v[16:17], v[16:17], v[200:201]
	v_pk_add_f32 v[16:17], v[16:17], v[20:21]
	s_waitcnt vmcnt(12)
	v_pk_fma_f32 v[20:21], v[2:3], v[214:215], v[18:19] op_sel:[0,0,1] op_sel_hi:[1,1,0] neg_lo:[0,0,1] neg_hi:[0,0,1]
	v_pk_fma_f32 v[2:3], v[2:3], v[214:215], v[18:19] op_sel:[0,0,1] op_sel_hi:[1,0,0]
	v_mov_b32_e32 v21, v3
	v_pk_add_f32 v[2:3], v[16:17], v[20:21]
	s_waitcnt vmcnt(11)
	v_mov_b32_e32 v16, v213
	v_pk_mul_f32 v[16:17], v[4:5], v[16:17] op_sel_hi:[1,0]
	s_waitcnt vmcnt(10)
	v_pk_fma_f32 v[18:19], v[4:5], v[212:213], v[16:17] op_sel:[0,0,1] op_sel_hi:[1,1,0] neg_lo:[0,0,1] neg_hi:[0,0,1]
	v_pk_fma_f32 v[4:5], v[4:5], v[212:213], v[16:17] op_sel:[0,0,1] op_sel_hi:[1,0,0]
	s_waitcnt vmcnt(9)
	v_mov_b32_e32 v4, v211
	v_mov_b32_e32 v19, v5
	s_waitcnt lgkmcnt(2)
	v_pk_mul_f32 v[4:5], v[6:7], v[4:5] op_sel_hi:[1,0]
	s_waitcnt vmcnt(8)
	v_pk_fma_f32 v[16:17], v[6:7], v[210:211], v[4:5] op_sel:[0,0,1] op_sel_hi:[1,1,0] neg_lo:[0,0,1] neg_hi:[0,0,1]
	v_pk_fma_f32 v[4:5], v[6:7], v[210:211], v[4:5] op_sel:[0,0,1] op_sel_hi:[1,0,0]
	s_waitcnt vmcnt(7)
	v_mov_b32_e32 v4, v209
	v_mov_b32_e32 v17, v5
	v_pk_mul_f32 v[4:5], v[8:9], v[4:5] op_sel_hi:[1,0]
	s_waitcnt vmcnt(6)
	v_pk_fma_f32 v[6:7], v[8:9], v[208:209], v[4:5] op_sel:[0,0,1] op_sel_hi:[1,1,0] neg_lo:[0,0,1] neg_hi:[0,0,1]
	v_pk_fma_f32 v[4:5], v[8:9], v[208:209], v[4:5] op_sel:[0,0,1] op_sel_hi:[1,0,0]
	v_pk_add_f32 v[2:3], v[2:3], v[18:19]
	s_waitcnt vmcnt(5)
	v_mov_b32_e32 v4, v207
	v_pk_add_f32 v[2:3], v[2:3], v[16:17]
	v_mov_b32_e32 v7, v5
	s_waitcnt lgkmcnt(1)
	v_pk_mul_f32 v[4:5], v[10:11], v[4:5] op_sel_hi:[1,0]
	v_pk_add_f32 v[2:3], v[2:3], v[6:7]
	s_waitcnt vmcnt(4)
	v_pk_fma_f32 v[6:7], v[10:11], v[206:207], v[4:5] op_sel:[0,0,1] op_sel_hi:[1,1,0] neg_lo:[0,0,1] neg_hi:[0,0,1]
	v_pk_fma_f32 v[4:5], v[10:11], v[206:207], v[4:5] op_sel:[0,0,1] op_sel_hi:[1,0,0]
	s_waitcnt vmcnt(3)
	v_mov_b32_e32 v4, v205
	v_mov_b32_e32 v7, v5
	v_pk_mul_f32 v[4:5], v[12:13], v[4:5] op_sel_hi:[1,0]
	v_pk_add_f32 v[2:3], v[2:3], v[6:7]
	s_waitcnt vmcnt(2)
	v_pk_fma_f32 v[6:7], v[12:13], v[204:205], v[4:5] op_sel:[0,0,1] op_sel_hi:[1,1,0] neg_lo:[0,0,1] neg_hi:[0,0,1]
	v_pk_fma_f32 v[4:5], v[12:13], v[204:205], v[4:5] op_sel:[0,0,1] op_sel_hi:[1,0,0]
	s_waitcnt vmcnt(1)
	v_mov_b32_e32 v4, v203
	v_mov_b32_e32 v7, v5
	s_waitcnt lgkmcnt(0)
	v_pk_mul_f32 v[4:5], v[14:15], v[4:5] op_sel_hi:[1,0]
	v_pk_add_f32 v[2:3], v[2:3], v[6:7]
	s_waitcnt vmcnt(0)
	v_pk_fma_f32 v[6:7], v[14:15], v[202:203], v[4:5] op_sel:[0,0,1] op_sel_hi:[1,1,0] neg_lo:[0,0,1] neg_hi:[0,0,1]
	v_pk_fma_f32 v[4:5], v[14:15], v[202:203], v[4:5] op_sel:[0,0,1] op_sel_hi:[1,0,0]
	v_mov_b32_e32 v7, v5
	v_pk_add_f32 v[2:3], v[2:3], v[6:7]
	v_pk_add_f32 v[2:3], v[192:193], v[2:3] neg_lo:[0,1] neg_hi:[0,1]
	buffer_store_dword v3, off, s[0:3], 0 offset:28
	buffer_store_dword v2, off, s[0:3], 0 offset:24
	s_and_saveexec_b64 s[4:5], vcc
	s_cbranch_execz .LBB116_327
; %bb.326:
	buffer_load_dword v2, off, s[0:3], 0 offset:16
	buffer_load_dword v3, off, s[0:3], 0 offset:20
	v_accvgpr_read_b32 v1, a48
	buffer_store_dword v216, off, s[0:3], 0 offset:16
	buffer_store_dword v216, off, s[0:3], 0 offset:20
	s_waitcnt vmcnt(2)
	ds_write_b64 v1, v[2:3]
.LBB116_327:
	s_or_b64 exec, exec, s[4:5]
	s_waitcnt lgkmcnt(0)
	; wave barrier
	s_waitcnt lgkmcnt(0)
	buffer_load_dword v40, off, s[0:3], 0 offset:28
	buffer_load_dword v39, off, s[0:3], 0 offset:36
	;; [unrolled: 1-line block ×32, first 2 shown]
	ds_read2_b64 v[22:25], v216 offset0:57 offset1:58
	ds_read2_b64 v[18:21], v216 offset0:59 offset1:60
	;; [unrolled: 1-line block ×6, first 2 shown]
	buffer_load_dword v206, off, s[0:3], 0 offset:144
	buffer_load_dword v207, off, s[0:3], 0 offset:148
	;; [unrolled: 1-line block ×20, first 2 shown]
	v_cmp_lt_u32_e32 vcc, 1, v0
	s_waitcnt vmcnt(51) lgkmcnt(5)
	v_mul_f32_e32 v26, v22, v40
	s_waitcnt vmcnt(50)
	v_mul_f32_e32 v27, v24, v39
	s_waitcnt vmcnt(49) lgkmcnt(4)
	v_mul_f32_e32 v29, v20, v38
	s_waitcnt vmcnt(48) lgkmcnt(3)
	v_mul_f32_e32 v30, v14, v37
	s_waitcnt vmcnt(47)
	v_mul_f32_e32 v31, v16, v36
	s_waitcnt vmcnt(46) lgkmcnt(2)
	v_mul_f32_e32 v32, v10, v1
	s_waitcnt vmcnt(45)
	v_mul_f32_e32 v28, v18, v41
	s_waitcnt vmcnt(44)
	v_mul_f32_e32 v33, v12, v42
	s_waitcnt vmcnt(43) lgkmcnt(1)
	v_mul_f32_e32 v47, v6, v43
	s_waitcnt vmcnt(42)
	v_mul_f32_e32 v48, v8, v44
	s_waitcnt vmcnt(41) lgkmcnt(0)
	v_mul_f32_e32 v49, v2, v45
	s_waitcnt vmcnt(40)
	v_mul_f32_e32 v50, v4, v46
	s_waitcnt vmcnt(39)
	v_fmac_f32_e32 v28, v19, v106
	s_waitcnt vmcnt(38)
	v_fmac_f32_e32 v27, v25, v108
	;; [unrolled: 2-line block ×3, first 2 shown]
	v_add_f32_e32 v26, 0, v26
	v_add_f32_e32 v26, v26, v27
	;; [unrolled: 1-line block ×3, first 2 shown]
	s_waitcnt vmcnt(33)
	v_fmac_f32_e32 v29, v21, v116
	v_fmac_f32_e32 v30, v15, v115
	v_add_f32_e32 v26, v26, v29
	v_fmac_f32_e32 v31, v17, v114
	v_add_f32_e32 v26, v26, v30
	;; [unrolled: 2-line block ×3, first 2 shown]
	s_waitcnt vmcnt(29)
	v_fmac_f32_e32 v33, v13, v120
	v_add_f32_e32 v26, v26, v32
	v_fmac_f32_e32 v47, v7, v119
	v_add_f32_e32 v26, v26, v33
	v_fmac_f32_e32 v48, v9, v118
	v_add_f32_e32 v26, v26, v47
	v_fmac_f32_e32 v49, v3, v117
	v_add_f32_e32 v26, v26, v48
	v_add_f32_e32 v30, v26, v49
	ds_read2_b64 v[26:29], v216 offset0:69 offset1:70
	buffer_load_dword v227, off, s[0:3], 0 offset:224
	buffer_load_dword v228, off, s[0:3], 0 offset:228
	;; [unrolled: 1-line block ×4, first 2 shown]
	s_waitcnt vmcnt(28)
	v_fmac_f32_e32 v50, v5, v125
	v_add_f32_e32 v47, v30, v50
	ds_read2_b64 v[30:33], v216 offset0:71 offset1:72
	buffer_load_dword v231, off, s[0:3], 0 offset:240
	buffer_load_dword v232, off, s[0:3], 0 offset:244
	;; [unrolled: 1-line block ×12, first 2 shown]
	s_waitcnt vmcnt(39) lgkmcnt(1)
	v_mul_f32_e32 v48, v26, v204
	v_fmac_f32_e32 v48, v27, v124
	buffer_load_dword v243, off, s[0:3], 0 offset:288
	buffer_load_dword v244, off, s[0:3], 0 offset:292
	v_add_f32_e32 v47, v47, v48
	s_waitcnt vmcnt(40)
	v_mul_f32_e32 v48, v28, v205
	v_fmac_f32_e32 v48, v29, v123
	buffer_load_dword v245, off, s[0:3], 0 offset:296
	buffer_load_dword v246, off, s[0:3], 0 offset:300
	v_add_f32_e32 v47, v47, v48
	s_waitcnt lgkmcnt(0)
	v_mul_f32_e32 v48, v30, v122
	v_fmac_f32_e32 v48, v31, v121
	v_add_f32_e32 v47, v47, v48
	ds_read2_b64 v[48:51], v216 offset0:73 offset1:74
	buffer_load_dword v247, off, s[0:3], 0 offset:304
	buffer_load_dword v248, off, s[0:3], 0 offset:308
	s_waitcnt vmcnt(40)
	v_mul_f32_e32 v52, v32, v207
	v_fmac_f32_e32 v52, v33, v206
	v_add_f32_e32 v47, v47, v52
	ds_read2_b64 v[52:55], v216 offset0:75 offset1:76
	buffer_load_dword v249, off, s[0:3], 0 offset:312
	buffer_load_dword v250, off, s[0:3], 0 offset:316
	;; [unrolled: 1-line block ×8, first 2 shown]
	s_waitcnt vmcnt(46) lgkmcnt(1)
	v_mul_f32_e32 v56, v48, v209
	v_fmac_f32_e32 v56, v49, v208
	v_add_f32_e32 v47, v47, v56
	s_waitcnt vmcnt(44)
	v_mul_f32_e32 v56, v50, v211
	v_fmac_f32_e32 v56, v51, v210
	v_add_f32_e32 v47, v47, v56
	s_waitcnt vmcnt(42) lgkmcnt(0)
	v_mul_f32_e32 v56, v52, v213
	v_fmac_f32_e32 v56, v53, v212
	v_add_f32_e32 v47, v47, v56
	buffer_load_dword v127, off, s[0:3], 0 offset:344
	buffer_load_dword v128, off, s[0:3], 0 offset:348
	;; [unrolled: 1-line block ×4, first 2 shown]
	ds_read2_b64 v[56:59], v216 offset0:77 offset1:78
	s_waitcnt vmcnt(44)
	v_mul_f32_e32 v60, v54, v215
	v_fmac_f32_e32 v60, v55, v214
	v_add_f32_e32 v47, v47, v60
	ds_read2_b64 v[60:63], v216 offset0:79 offset1:80
	s_waitcnt vmcnt(42) lgkmcnt(1)
	v_mul_f32_e32 v64, v56, v218
	v_fmac_f32_e32 v64, v57, v217
	v_add_f32_e32 v47, v47, v64
	s_waitcnt vmcnt(40)
	v_mul_f32_e32 v64, v58, v220
	v_fmac_f32_e32 v64, v59, v219
	v_add_f32_e32 v47, v47, v64
	s_waitcnt vmcnt(38) lgkmcnt(0)
	v_mul_f32_e32 v64, v60, v222
	v_fmac_f32_e32 v64, v61, v221
	v_add_f32_e32 v47, v47, v64
	ds_read2_b64 v[64:67], v216 offset0:81 offset1:82
	s_waitcnt vmcnt(36)
	v_mul_f32_e32 v68, v62, v224
	v_fmac_f32_e32 v68, v63, v223
	v_add_f32_e32 v47, v47, v68
	ds_read2_b64 v[68:71], v216 offset0:83 offset1:84
	s_waitcnt vmcnt(34) lgkmcnt(1)
	v_mul_f32_e32 v72, v64, v226
	v_fmac_f32_e32 v72, v65, v225
	v_add_f32_e32 v47, v47, v72
	v_mul_f32_e32 v23, v23, v40
	v_fma_f32 v22, v22, v112, -v23
	v_mul_f32_e32 v23, v25, v39
	v_add_f32_e32 v22, 0, v22
	v_fma_f32 v23, v24, v108, -v23
	v_mul_f32_e32 v19, v19, v41
	v_add_f32_e32 v22, v22, v23
	;; [unrolled: 3-line block ×5, first 2 shown]
	s_waitcnt vmcnt(32)
	v_mul_f32_e32 v72, v66, v228
	v_fmac_f32_e32 v72, v67, v227
	v_add_f32_e32 v47, v47, v72
	s_waitcnt vmcnt(30) lgkmcnt(0)
	v_mul_f32_e32 v72, v68, v230
	v_fmac_f32_e32 v72, v69, v229
	v_add_f32_e32 v47, v47, v72
	ds_read2_b64 v[72:75], v216 offset0:85 offset1:86
	s_waitcnt vmcnt(28)
	v_mul_f32_e32 v76, v70, v232
	v_fmac_f32_e32 v76, v71, v231
	v_add_f32_e32 v47, v47, v76
	ds_read2_b64 v[76:79], v216 offset0:87 offset1:88
	s_waitcnt vmcnt(26) lgkmcnt(1)
	v_mul_f32_e32 v80, v72, v234
	v_fmac_f32_e32 v80, v73, v233
	v_add_f32_e32 v47, v47, v80
	s_waitcnt vmcnt(24)
	v_mul_f32_e32 v80, v74, v236
	v_fmac_f32_e32 v80, v75, v235
	v_add_f32_e32 v47, v47, v80
	s_waitcnt vmcnt(22) lgkmcnt(0)
	v_mul_f32_e32 v80, v76, v238
	v_fmac_f32_e32 v80, v77, v237
	v_add_f32_e32 v47, v47, v80
	ds_read2_b64 v[80:83], v216 offset0:89 offset1:90
	s_waitcnt vmcnt(20)
	v_mul_f32_e32 v84, v78, v240
	v_fmac_f32_e32 v84, v79, v239
	v_add_f32_e32 v47, v47, v84
	ds_read2_b64 v[84:87], v216 offset0:91 offset1:92
	s_waitcnt vmcnt(18) lgkmcnt(1)
	v_mul_f32_e32 v88, v80, v242
	v_fmac_f32_e32 v88, v81, v241
	v_add_f32_e32 v47, v47, v88
	s_waitcnt vmcnt(16)
	v_mul_f32_e32 v88, v82, v244
	v_fmac_f32_e32 v88, v83, v243
	v_add_f32_e32 v47, v47, v88
	s_waitcnt vmcnt(14) lgkmcnt(0)
	v_mul_f32_e32 v88, v84, v246
	v_fmac_f32_e32 v88, v85, v245
	v_add_f32_e32 v47, v47, v88
	ds_read2_b64 v[88:91], v216 offset0:93 offset1:94
	s_waitcnt vmcnt(12)
	v_mul_f32_e32 v92, v86, v248
	v_fmac_f32_e32 v92, v87, v247
	v_add_f32_e32 v47, v47, v92
	ds_read2_b64 v[92:95], v216 offset0:95 offset1:96
	buffer_load_dword v105, off, s[0:3], 0 offset:364
	buffer_load_dword v104, off, s[0:3], 0 offset:360
	s_waitcnt vmcnt(12) lgkmcnt(1)
	v_mul_f32_e32 v96, v88, v250
	v_fmac_f32_e32 v96, v89, v249
	v_add_f32_e32 v47, v47, v96
	s_waitcnt vmcnt(10)
	v_mul_f32_e32 v96, v90, v252
	v_fmac_f32_e32 v96, v91, v251
	v_add_f32_e32 v47, v47, v96
	s_waitcnt vmcnt(8) lgkmcnt(0)
	v_mul_f32_e32 v96, v92, v254
	v_fmac_f32_e32 v96, v93, v253
	s_waitcnt vmcnt(6)
	v_mul_f32_e32 v100, v94, v126
	v_add_f32_e32 v47, v47, v96
	v_fmac_f32_e32 v100, v95, v255
	ds_read2_b64 v[96:99], v216 offset0:97 offset1:98
	v_add_f32_e32 v47, v47, v100
	ds_read2_b64 v[100:103], v216 offset0:99 offset1:100
	buffer_load_dword v111, off, s[0:3], 0 offset:396
	buffer_load_dword v110, off, s[0:3], 0 offset:392
	;; [unrolled: 1-line block ×14, first 2 shown]
	v_fma_f32 v15, v16, v114, -v15
	v_mul_f32_e32 v1, v11, v1
	v_add_f32_e32 v14, v14, v15
	v_fma_f32 v1, v10, v113, -v1
	v_mul_f32_e32 v10, v13, v42
	v_add_f32_e32 v1, v14, v1
	;; [unrolled: 3-line block ×3, first 2 shown]
	v_fma_f32 v6, v6, v119, -v7
	v_add_f32_e32 v1, v1, v6
	v_mul_f32_e32 v6, v9, v44
	v_fma_f32 v6, v8, v118, -v6
	v_mul_f32_e32 v3, v3, v45
	v_add_f32_e32 v1, v1, v6
	v_fma_f32 v2, v2, v117, -v3
	v_add_f32_e32 v1, v1, v2
	v_mul_f32_e32 v2, v5, v46
	v_fma_f32 v2, v4, v125, -v2
	v_add_f32_e32 v1, v1, v2
	v_mul_f32_e32 v2, v27, v204
	;; [unrolled: 3-line block ×29, first 2 shown]
	v_fma_f32 v2, v94, v255, -v2
	s_waitcnt vmcnt(15)
	v_mov_b32_e32 v16, v105
	s_waitcnt lgkmcnt(1)
	v_mul_f32_e32 v107, v96, v128
	v_add_f32_e32 v46, v1, v2
	v_mul_f32_e32 v1, v97, v128
	s_waitcnt lgkmcnt(0)
	v_pk_mul_f32 v[16:17], v[100:101], v[16:17] op_sel_hi:[1,0]
	v_fmac_f32_e32 v107, v97, v127
	v_mul_f32_e32 v109, v98, v130
	v_fma_f32 v106, v96, v127, -v1
	v_mul_f32_e32 v1, v99, v130
	s_waitcnt vmcnt(14)
	v_pk_fma_f32 v[18:19], v[100:101], v[104:105], v[16:17] op_sel:[0,0,1] op_sel_hi:[1,1,0] neg_lo:[0,0,1] neg_hi:[0,0,1]
	v_pk_fma_f32 v[16:17], v[100:101], v[104:105], v[16:17] op_sel:[0,0,1] op_sel_hi:[1,0,0]
	v_fmac_f32_e32 v109, v99, v129
	v_fma_f32 v108, v98, v129, -v1
	v_pk_add_f32 v[14:15], v[46:47], v[106:107]
	s_waitcnt vmcnt(7)
	v_mov_b32_e32 v16, v197
	ds_read2_b64 v[2:5], v216 offset0:101 offset1:102
	ds_read2_b64 v[6:9], v216 offset0:103 offset1:104
	;; [unrolled: 1-line block ×3, first 2 shown]
	v_pk_add_f32 v[14:15], v[14:15], v[108:109]
	v_mov_b32_e32 v19, v17
	v_pk_mul_f32 v[16:17], v[102:103], v[16:17] op_sel_hi:[1,0]
	v_pk_add_f32 v[14:15], v[14:15], v[18:19]
	s_waitcnt vmcnt(6)
	v_pk_fma_f32 v[18:19], v[102:103], v[196:197], v[16:17] op_sel:[0,0,1] op_sel_hi:[1,1,0] neg_lo:[0,0,1] neg_hi:[0,0,1]
	v_pk_fma_f32 v[16:17], v[102:103], v[196:197], v[16:17] op_sel:[0,0,1] op_sel_hi:[1,0,0]
	v_mov_b32_e32 v16, v195
	v_mov_b32_e32 v19, v17
	s_waitcnt lgkmcnt(2)
	v_pk_mul_f32 v[16:17], v[2:3], v[16:17] op_sel_hi:[1,0]
	v_pk_add_f32 v[14:15], v[14:15], v[18:19]
	v_pk_fma_f32 v[18:19], v[2:3], v[194:195], v[16:17] op_sel:[0,0,1] op_sel_hi:[1,1,0] neg_lo:[0,0,1] neg_hi:[0,0,1]
	v_pk_fma_f32 v[2:3], v[2:3], v[194:195], v[16:17] op_sel:[0,0,1] op_sel_hi:[1,0,0]
	v_mov_b32_e32 v19, v3
	v_pk_add_f32 v[2:3], v[14:15], v[18:19]
	v_mov_b32_e32 v14, v193
	v_pk_mul_f32 v[14:15], v[4:5], v[14:15] op_sel_hi:[1,0]
	v_pk_fma_f32 v[16:17], v[4:5], v[192:193], v[14:15] op_sel:[0,0,1] op_sel_hi:[1,1,0] neg_lo:[0,0,1] neg_hi:[0,0,1]
	v_pk_fma_f32 v[4:5], v[4:5], v[192:193], v[14:15] op_sel:[0,0,1] op_sel_hi:[1,0,0]
	v_mov_b32_e32 v4, v111
	v_mov_b32_e32 v17, v5
	s_waitcnt lgkmcnt(1)
	v_pk_mul_f32 v[4:5], v[6:7], v[4:5] op_sel_hi:[1,0]
	v_pk_fma_f32 v[14:15], v[6:7], v[110:111], v[4:5] op_sel:[0,0,1] op_sel_hi:[1,1,0] neg_lo:[0,0,1] neg_hi:[0,0,1]
	v_pk_fma_f32 v[4:5], v[6:7], v[110:111], v[4:5] op_sel:[0,0,1] op_sel_hi:[1,0,0]
	s_waitcnt vmcnt(1)
	v_mov_b32_e32 v4, v203
	v_mov_b32_e32 v15, v5
	v_pk_mul_f32 v[4:5], v[8:9], v[4:5] op_sel_hi:[1,0]
	s_waitcnt vmcnt(0)
	v_pk_fma_f32 v[6:7], v[8:9], v[202:203], v[4:5] op_sel:[0,0,1] op_sel_hi:[1,1,0] neg_lo:[0,0,1] neg_hi:[0,0,1]
	v_pk_fma_f32 v[4:5], v[8:9], v[202:203], v[4:5] op_sel:[0,0,1] op_sel_hi:[1,0,0]
	v_pk_add_f32 v[2:3], v[2:3], v[16:17]
	v_mov_b32_e32 v4, v201
	v_pk_add_f32 v[2:3], v[2:3], v[14:15]
	v_mov_b32_e32 v7, v5
	s_waitcnt lgkmcnt(0)
	v_pk_mul_f32 v[4:5], v[10:11], v[4:5] op_sel_hi:[1,0]
	v_pk_add_f32 v[2:3], v[2:3], v[6:7]
	v_pk_fma_f32 v[6:7], v[10:11], v[200:201], v[4:5] op_sel:[0,0,1] op_sel_hi:[1,1,0] neg_lo:[0,0,1] neg_hi:[0,0,1]
	v_pk_fma_f32 v[4:5], v[10:11], v[200:201], v[4:5] op_sel:[0,0,1] op_sel_hi:[1,0,0]
	v_mov_b32_e32 v4, v199
	v_mov_b32_e32 v7, v5
	v_pk_mul_f32 v[4:5], v[12:13], v[4:5] op_sel_hi:[1,0]
	v_pk_add_f32 v[2:3], v[2:3], v[6:7]
	v_pk_fma_f32 v[6:7], v[12:13], v[198:199], v[4:5] op_sel:[0,0,1] op_sel_hi:[1,1,0] neg_lo:[0,0,1] neg_hi:[0,0,1]
	v_pk_fma_f32 v[4:5], v[12:13], v[198:199], v[4:5] op_sel:[0,0,1] op_sel_hi:[1,0,0]
	v_mov_b32_e32 v7, v5
	v_pk_add_f32 v[2:3], v[2:3], v[6:7]
	v_pk_add_f32 v[2:3], v[34:35], v[2:3] neg_lo:[0,1] neg_hi:[0,1]
	buffer_store_dword v3, off, s[0:3], 0 offset:20
	buffer_store_dword v2, off, s[0:3], 0 offset:16
	s_and_saveexec_b64 s[4:5], vcc
	s_cbranch_execz .LBB116_329
; %bb.328:
	buffer_load_dword v2, off, s[0:3], 0 offset:8
	buffer_load_dword v3, off, s[0:3], 0 offset:12
	v_mov_b32_e32 v1, 0
	v_accvgpr_read_b32 v4, a48
	buffer_store_dword v1, off, s[0:3], 0 offset:8
	buffer_store_dword v1, off, s[0:3], 0 offset:12
	s_waitcnt vmcnt(2)
	ds_write_b64 v4, v[2:3]
.LBB116_329:
	s_or_b64 exec, exec, s[4:5]
	s_waitcnt lgkmcnt(0)
	; wave barrier
	s_waitcnt lgkmcnt(0)
	buffer_load_dword v45, off, s[0:3], 0 offset:20
	buffer_load_dword v44, off, s[0:3], 0 offset:28
	;; [unrolled: 1-line block ×48, first 2 shown]
	v_mov_b32_e32 v42, 0
	ds_read_b128 v[22:25], v42 offset:448
	ds_read_b128 v[18:21], v42 offset:464
	;; [unrolled: 1-line block ×6, first 2 shown]
	buffer_load_dword v217, off, s[0:3], 0 offset:200
	buffer_load_dword v218, off, s[0:3], 0 offset:204
	v_cmp_ne_u32_e32 vcc, 0, v0
	s_waitcnt vmcnt(49) lgkmcnt(5)
	v_mul_f32_e32 v26, v22, v45
	s_waitcnt vmcnt(48)
	v_mul_f32_e32 v27, v24, v44
	s_waitcnt vmcnt(47) lgkmcnt(4)
	v_mul_f32_e32 v29, v20, v43
	s_waitcnt vmcnt(46) lgkmcnt(3)
	v_mul_f32_e32 v30, v14, v41
	s_waitcnt vmcnt(45)
	v_mul_f32_e32 v31, v16, v40
	s_waitcnt vmcnt(44) lgkmcnt(2)
	v_mul_f32_e32 v32, v10, v1
	s_waitcnt vmcnt(43)
	v_mul_f32_e32 v28, v18, v46
	s_waitcnt vmcnt(42)
	v_mul_f32_e32 v33, v12, v47
	s_waitcnt vmcnt(41) lgkmcnt(1)
	v_mul_f32_e32 v34, v6, v48
	s_waitcnt vmcnt(40)
	v_mul_f32_e32 v35, v8, v49
	s_waitcnt vmcnt(39) lgkmcnt(0)
	v_mul_f32_e32 v36, v2, v50
	s_waitcnt vmcnt(38)
	v_mul_f32_e32 v37, v4, v51
	s_waitcnt vmcnt(37)
	v_fmac_f32_e32 v28, v19, v57
	s_waitcnt vmcnt(36)
	v_fmac_f32_e32 v27, v25, v60
	s_waitcnt vmcnt(35)
	v_fmac_f32_e32 v26, v23, v112
	v_add_f32_e32 v26, 0, v26
	v_add_f32_e32 v26, v26, v27
	;; [unrolled: 1-line block ×3, first 2 shown]
	s_waitcnt vmcnt(31)
	v_fmac_f32_e32 v29, v21, v62
	v_fmac_f32_e32 v30, v15, v59
	v_add_f32_e32 v26, v26, v29
	v_fmac_f32_e32 v31, v17, v56
	v_add_f32_e32 v26, v26, v30
	;; [unrolled: 2-line block ×3, first 2 shown]
	s_waitcnt vmcnt(27)
	v_fmac_f32_e32 v33, v13, v58
	v_add_f32_e32 v26, v26, v32
	v_fmac_f32_e32 v34, v7, v55
	v_add_f32_e32 v26, v26, v33
	;; [unrolled: 2-line block ×4, first 2 shown]
	s_waitcnt vmcnt(22)
	v_fmac_f32_e32 v37, v5, v116
	v_add_f32_e32 v26, v26, v36
	v_add_f32_e32 v34, v26, v37
	ds_read_b128 v[26:29], v42 offset:544
	buffer_load_dword v219, off, s[0:3], 0 offset:208
	buffer_load_dword v220, off, s[0:3], 0 offset:212
	ds_read_b128 v[30:33], v42 offset:560
	buffer_load_dword v221, off, s[0:3], 0 offset:216
	buffer_load_dword v222, off, s[0:3], 0 offset:220
	;; [unrolled: 1-line block ×12, first 2 shown]
	s_waitcnt vmcnt(35) lgkmcnt(1)
	v_mul_f32_e32 v35, v26, v117
	v_fmac_f32_e32 v35, v27, v115
	buffer_load_dword v233, off, s[0:3], 0 offset:264
	buffer_load_dword v234, off, s[0:3], 0 offset:268
	v_add_f32_e32 v34, v34, v35
	s_waitcnt vmcnt(36)
	v_mul_f32_e32 v35, v28, v118
	v_fmac_f32_e32 v35, v29, v114
	v_add_f32_e32 v34, v34, v35
	s_waitcnt lgkmcnt(0)
	v_mul_f32_e32 v35, v30, v113
	buffer_load_dword v235, off, s[0:3], 0 offset:272
	buffer_load_dword v236, off, s[0:3], 0 offset:276
	v_fmac_f32_e32 v35, v31, v61
	v_add_f32_e32 v63, v34, v35
	ds_read_b128 v[34:37], v42 offset:576
	buffer_load_dword v237, off, s[0:3], 0 offset:280
	buffer_load_dword v238, off, s[0:3], 0 offset:284
	;; [unrolled: 1-line block ×4, first 2 shown]
	s_waitcnt vmcnt(38)
	v_mul_f32_e32 v64, v32, v120
	v_fmac_f32_e32 v64, v33, v119
	v_add_f32_e32 v63, v63, v64
	ds_read_b128 v[64:67], v42 offset:592
	buffer_load_dword v241, off, s[0:3], 0 offset:296
	buffer_load_dword v242, off, s[0:3], 0 offset:300
	;; [unrolled: 1-line block ×8, first 2 shown]
	s_waitcnt vmcnt(44) lgkmcnt(1)
	v_mul_f32_e32 v68, v34, v122
	v_fmac_f32_e32 v68, v35, v121
	v_add_f32_e32 v63, v63, v68
	s_waitcnt vmcnt(42)
	v_mul_f32_e32 v68, v36, v124
	v_fmac_f32_e32 v68, v37, v123
	v_add_f32_e32 v63, v63, v68
	s_waitcnt vmcnt(40) lgkmcnt(0)
	v_mul_f32_e32 v68, v64, v126
	v_fmac_f32_e32 v68, v65, v125
	buffer_load_dword v249, off, s[0:3], 0 offset:328
	buffer_load_dword v250, off, s[0:3], 0 offset:332
	v_add_f32_e32 v63, v63, v68
	buffer_load_dword v251, off, s[0:3], 0 offset:336
	buffer_load_dword v252, off, s[0:3], 0 offset:340
	;; [unrolled: 1-line block ×6, first 2 shown]
	ds_read_b128 v[68:71], v42 offset:608
	s_waitcnt vmcnt(46)
	v_mul_f32_e32 v72, v66, v128
	v_fmac_f32_e32 v72, v67, v127
	v_add_f32_e32 v63, v63, v72
	ds_read_b128 v[72:75], v42 offset:624
	s_waitcnt vmcnt(44) lgkmcnt(1)
	v_mul_f32_e32 v76, v68, v130
	v_fmac_f32_e32 v76, v69, v129
	v_add_f32_e32 v63, v63, v76
	s_waitcnt vmcnt(42)
	v_mul_f32_e32 v76, v70, v196
	v_fmac_f32_e32 v76, v71, v131
	v_add_f32_e32 v63, v63, v76
	s_waitcnt vmcnt(40) lgkmcnt(0)
	v_mul_f32_e32 v76, v72, v216
	v_fmac_f32_e32 v76, v73, v198
	v_add_f32_e32 v63, v63, v76
	ds_read_b128 v[76:79], v42 offset:640
	s_waitcnt vmcnt(38)
	v_mul_f32_e32 v80, v74, v218
	v_fmac_f32_e32 v80, v75, v217
	v_add_f32_e32 v63, v63, v80
	ds_read_b128 v[80:83], v42 offset:656
	v_mul_f32_e32 v23, v23, v45
	v_fma_f32 v22, v22, v112, -v23
	v_mul_f32_e32 v23, v25, v44
	v_add_f32_e32 v22, 0, v22
	v_fma_f32 v23, v24, v60, -v23
	v_mul_f32_e32 v19, v19, v46
	v_add_f32_e32 v22, v22, v23
	;; [unrolled: 3-line block ×6, first 2 shown]
	v_fma_f32 v1, v10, v54, -v1
	s_waitcnt vmcnt(36) lgkmcnt(1)
	v_mul_f32_e32 v84, v76, v220
	v_fmac_f32_e32 v84, v77, v219
	v_add_f32_e32 v63, v63, v84
	s_waitcnt vmcnt(34)
	v_mul_f32_e32 v84, v78, v222
	v_fmac_f32_e32 v84, v79, v221
	v_add_f32_e32 v63, v63, v84
	s_waitcnt vmcnt(32) lgkmcnt(0)
	v_mul_f32_e32 v84, v80, v224
	v_fmac_f32_e32 v84, v81, v223
	v_add_f32_e32 v63, v63, v84
	ds_read_b128 v[84:87], v42 offset:672
	s_waitcnt vmcnt(30)
	v_mul_f32_e32 v88, v82, v226
	v_fmac_f32_e32 v88, v83, v225
	v_add_f32_e32 v63, v63, v88
	ds_read_b128 v[88:91], v42 offset:688
	s_waitcnt vmcnt(28) lgkmcnt(1)
	v_mul_f32_e32 v92, v84, v228
	v_fmac_f32_e32 v92, v85, v227
	v_add_f32_e32 v63, v63, v92
	s_waitcnt vmcnt(26)
	v_mul_f32_e32 v92, v86, v230
	v_fmac_f32_e32 v92, v87, v229
	v_add_f32_e32 v63, v63, v92
	s_waitcnt vmcnt(24) lgkmcnt(0)
	v_mul_f32_e32 v92, v88, v232
	v_fmac_f32_e32 v92, v89, v231
	v_add_f32_e32 v63, v63, v92
	ds_read_b128 v[92:95], v42 offset:704
	s_waitcnt vmcnt(22)
	v_mul_f32_e32 v96, v90, v234
	v_fmac_f32_e32 v96, v91, v233
	v_add_f32_e32 v63, v63, v96
	ds_read_b128 v[96:99], v42 offset:720
	;; [unrolled: 18-line block ×3, first 2 shown]
	s_waitcnt vmcnt(12) lgkmcnt(1)
	v_mul_f32_e32 v108, v100, v244
	v_fmac_f32_e32 v108, v101, v243
	v_add_f32_e32 v63, v63, v108
	s_waitcnt vmcnt(10)
	v_mul_f32_e32 v108, v102, v246
	v_fmac_f32_e32 v108, v103, v245
	v_add_f32_e32 v63, v63, v108
	s_waitcnt vmcnt(8) lgkmcnt(0)
	v_mul_f32_e32 v108, v104, v248
	v_fmac_f32_e32 v108, v105, v247
	v_add_f32_e32 v63, v63, v108
	ds_read_b128 v[108:111], v42 offset:768
	ds_read_b128 v[192:195], v42 offset:784
	buffer_load_dword v201, off, s[0:3], 0 offset:388
	buffer_load_dword v200, off, s[0:3], 0 offset:384
	;; [unrolled: 1-line block ×16, first 2 shown]
	v_mul_f32_e32 v10, v13, v47
	v_add_f32_e32 v1, v14, v1
	v_fma_f32 v10, v12, v58, -v10
	v_mul_f32_e32 v7, v7, v48
	v_add_f32_e32 v1, v1, v10
	v_fma_f32 v6, v6, v55, -v7
	v_add_f32_e32 v1, v1, v6
	v_mul_f32_e32 v6, v9, v49
	v_fma_f32 v6, v8, v53, -v6
	v_mul_f32_e32 v3, v3, v50
	v_add_f32_e32 v1, v1, v6
	v_fma_f32 v2, v2, v52, -v3
	v_add_f32_e32 v1, v1, v2
	v_mul_f32_e32 v2, v5, v51
	v_fma_f32 v2, v4, v116, -v2
	v_add_f32_e32 v1, v1, v2
	v_mul_f32_e32 v2, v27, v117
	;; [unrolled: 3-line block ×28, first 2 shown]
	v_fma_f32 v2, v104, v247, -v2
	v_add_f32_e32 v1, v1, v2
	s_waitcnt vmcnt(22)
	v_mul_f32_e32 v2, v107, v250
	v_mul_f32_e32 v133, v106, v250
	v_fma_f32 v2, v106, v249, -v2
	v_fmac_f32_e32 v133, v107, v249
	v_add_f32_e32 v1, v1, v2
	s_waitcnt vmcnt(20) lgkmcnt(1)
	v_mul_f32_e32 v2, v109, v252
	v_add_f32_e32 v63, v63, v133
	v_mul_f32_e32 v133, v108, v252
	v_fma_f32 v2, v108, v251, -v2
	s_waitcnt vmcnt(9)
	v_mov_b32_e32 v18, v207
	v_fmac_f32_e32 v133, v109, v251
	v_mul_f32_e32 v197, v110, v254
	v_add_f32_e32 v62, v1, v2
	v_mul_f32_e32 v1, v111, v254
	s_waitcnt lgkmcnt(0)
	v_pk_mul_f32 v[18:19], v[194:195], v[18:19] op_sel_hi:[1,0]
	v_add_f32_e32 v63, v63, v133
	v_fmac_f32_e32 v197, v111, v253
	v_mul_f32_e32 v199, v192, v132
	v_fma_f32 v196, v110, v253, -v1
	v_mul_f32_e32 v1, v193, v132
	ds_read_b128 v[2:5], v42 offset:800
	ds_read_b128 v[6:9], v42 offset:816
	;; [unrolled: 1-line block ×3, first 2 shown]
	ds_read_b64 v[14:15], v42 offset:848
	s_waitcnt vmcnt(8)
	v_pk_fma_f32 v[20:21], v[194:195], v[206:207], v[18:19] op_sel:[0,0,1] op_sel_hi:[1,1,0] neg_lo:[0,0,1] neg_hi:[0,0,1]
	v_pk_fma_f32 v[18:19], v[194:195], v[206:207], v[18:19] op_sel:[0,0,1] op_sel_hi:[1,0,0]
	v_fmac_f32_e32 v199, v193, v255
	v_fma_f32 v198, v192, v255, -v1
	v_pk_add_f32 v[16:17], v[62:63], v[196:197]
	v_mov_b32_e32 v18, v205
	v_pk_add_f32 v[16:17], v[16:17], v[198:199]
	v_mov_b32_e32 v21, v19
	s_waitcnt lgkmcnt(3)
	v_pk_mul_f32 v[18:19], v[2:3], v[18:19] op_sel_hi:[1,0]
	v_pk_add_f32 v[16:17], v[16:17], v[20:21]
	v_pk_fma_f32 v[20:21], v[2:3], v[204:205], v[18:19] op_sel:[0,0,1] op_sel_hi:[1,1,0] neg_lo:[0,0,1] neg_hi:[0,0,1]
	v_pk_fma_f32 v[2:3], v[2:3], v[204:205], v[18:19] op_sel:[0,0,1] op_sel_hi:[1,0,0]
	v_mov_b32_e32 v21, v3
	v_pk_add_f32 v[2:3], v[16:17], v[20:21]
	v_mov_b32_e32 v16, v203
	v_pk_mul_f32 v[16:17], v[4:5], v[16:17] op_sel_hi:[1,0]
	v_pk_fma_f32 v[18:19], v[4:5], v[202:203], v[16:17] op_sel:[0,0,1] op_sel_hi:[1,1,0] neg_lo:[0,0,1] neg_hi:[0,0,1]
	v_pk_fma_f32 v[4:5], v[4:5], v[202:203], v[16:17] op_sel:[0,0,1] op_sel_hi:[1,0,0]
	v_mov_b32_e32 v4, v201
	v_mov_b32_e32 v19, v5
	s_waitcnt lgkmcnt(2)
	v_pk_mul_f32 v[4:5], v[6:7], v[4:5] op_sel_hi:[1,0]
	v_pk_fma_f32 v[16:17], v[6:7], v[200:201], v[4:5] op_sel:[0,0,1] op_sel_hi:[1,1,0] neg_lo:[0,0,1] neg_hi:[0,0,1]
	v_pk_fma_f32 v[4:5], v[6:7], v[200:201], v[4:5] op_sel:[0,0,1] op_sel_hi:[1,0,0]
	s_waitcnt vmcnt(1)
	v_mov_b32_e32 v4, v215
	v_mov_b32_e32 v17, v5
	v_pk_mul_f32 v[4:5], v[8:9], v[4:5] op_sel_hi:[1,0]
	s_waitcnt vmcnt(0)
	v_pk_fma_f32 v[6:7], v[8:9], v[214:215], v[4:5] op_sel:[0,0,1] op_sel_hi:[1,1,0] neg_lo:[0,0,1] neg_hi:[0,0,1]
	v_pk_fma_f32 v[4:5], v[8:9], v[214:215], v[4:5] op_sel:[0,0,1] op_sel_hi:[1,0,0]
	v_pk_add_f32 v[2:3], v[2:3], v[18:19]
	v_mov_b32_e32 v4, v213
	v_pk_add_f32 v[2:3], v[2:3], v[16:17]
	v_mov_b32_e32 v7, v5
	s_waitcnt lgkmcnt(1)
	v_pk_mul_f32 v[4:5], v[10:11], v[4:5] op_sel_hi:[1,0]
	v_pk_add_f32 v[2:3], v[2:3], v[6:7]
	v_pk_fma_f32 v[6:7], v[10:11], v[212:213], v[4:5] op_sel:[0,0,1] op_sel_hi:[1,1,0] neg_lo:[0,0,1] neg_hi:[0,0,1]
	v_pk_fma_f32 v[4:5], v[10:11], v[212:213], v[4:5] op_sel:[0,0,1] op_sel_hi:[1,0,0]
	v_mov_b32_e32 v4, v211
	v_mov_b32_e32 v7, v5
	v_pk_mul_f32 v[4:5], v[12:13], v[4:5] op_sel_hi:[1,0]
	v_pk_add_f32 v[2:3], v[2:3], v[6:7]
	v_pk_fma_f32 v[6:7], v[12:13], v[210:211], v[4:5] op_sel:[0,0,1] op_sel_hi:[1,1,0] neg_lo:[0,0,1] neg_hi:[0,0,1]
	v_pk_fma_f32 v[4:5], v[12:13], v[210:211], v[4:5] op_sel:[0,0,1] op_sel_hi:[1,0,0]
	v_mov_b32_e32 v4, v209
	v_mov_b32_e32 v7, v5
	s_waitcnt lgkmcnt(0)
	v_pk_mul_f32 v[4:5], v[14:15], v[4:5] op_sel_hi:[1,0]
	v_pk_add_f32 v[2:3], v[2:3], v[6:7]
	v_pk_fma_f32 v[6:7], v[14:15], v[208:209], v[4:5] op_sel:[0,0,1] op_sel_hi:[1,1,0] neg_lo:[0,0,1] neg_hi:[0,0,1]
	v_pk_fma_f32 v[4:5], v[14:15], v[208:209], v[4:5] op_sel:[0,0,1] op_sel_hi:[1,0,0]
	v_mov_b32_e32 v7, v5
	v_pk_add_f32 v[2:3], v[2:3], v[6:7]
	v_pk_add_f32 v[2:3], v[38:39], v[2:3] neg_lo:[0,1] neg_hi:[0,1]
	buffer_store_dword v3, off, s[0:3], 0 offset:12
	buffer_store_dword v2, off, s[0:3], 0 offset:8
	s_and_saveexec_b64 s[4:5], vcc
	s_cbranch_execz .LBB116_331
; %bb.330:
	buffer_load_dword v0, off, s[0:3], 0
	buffer_load_dword v1, off, s[0:3], 0 offset:4
	v_accvgpr_read_b32 v2, a48
	buffer_store_dword v42, off, s[0:3], 0
	buffer_store_dword v42, off, s[0:3], 0 offset:4
	s_waitcnt vmcnt(2)
	ds_write_b64 v2, v[0:1]
.LBB116_331:
	s_or_b64 exec, exec, s[4:5]
	s_waitcnt lgkmcnt(0)
	; wave barrier
	s_waitcnt lgkmcnt(0)
	buffer_load_dword v48, off, s[0:3], 0 offset:12
	buffer_load_dword v47, off, s[0:3], 0 offset:20
	;; [unrolled: 1-line block ×30, first 2 shown]
	buffer_load_dword v40, off, s[0:3], 0
	buffer_load_dword v41, off, s[0:3], 0 offset:4
	ds_read2_b64 v[24:27], v42 offset0:55 offset1:56
	ds_read2_b64 v[20:23], v42 offset0:57 offset1:58
	;; [unrolled: 1-line block ×4, first 2 shown]
	buffer_load_dword v118, off, s[0:3], 0 offset:128
	buffer_load_dword v119, off, s[0:3], 0 offset:132
	ds_read2_b64 v[12:15], v42 offset0:63 offset1:64
	ds_read2_b64 v[4:7], v42 offset0:65 offset1:66
	;; [unrolled: 1-line block ×3, first 2 shown]
	buffer_load_dword v120, off, s[0:3], 0 offset:136
	buffer_load_dword v121, off, s[0:3], 0 offset:140
	;; [unrolled: 1-line block ×16, first 2 shown]
	s_and_b64 vcc, exec, s[16:17]
	s_waitcnt vmcnt(49) lgkmcnt(6)
	v_mul_f32_e32 v28, v24, v48
	s_waitcnt vmcnt(48)
	v_mul_f32_e32 v29, v26, v47
	s_waitcnt vmcnt(47) lgkmcnt(5)
	v_mul_f32_e32 v31, v22, v46
	s_waitcnt vmcnt(46) lgkmcnt(4)
	v_mul_f32_e32 v32, v16, v45
	s_waitcnt vmcnt(45)
	v_mul_f32_e32 v33, v18, v43
	s_waitcnt vmcnt(44)
	v_mul_f32_e32 v30, v20, v49
	s_waitcnt vmcnt(43) lgkmcnt(3)
	v_mul_f32_e32 v34, v8, v44
	s_waitcnt vmcnt(42)
	v_mul_f32_e32 v35, v10, v50
	s_waitcnt vmcnt(41) lgkmcnt(2)
	;; [unrolled: 4-line block ×3, first 2 shown]
	v_mul_f32_e32 v38, v4, v53
	s_waitcnt vmcnt(38)
	v_mul_f32_e32 v39, v6, v54
	s_waitcnt vmcnt(37)
	v_fmac_f32_e32 v30, v21, v60
	s_waitcnt vmcnt(36)
	v_fmac_f32_e32 v29, v27, v63
	;; [unrolled: 2-line block ×3, first 2 shown]
	v_add_f32_e32 v28, 0, v28
	v_add_f32_e32 v28, v28, v29
	;; [unrolled: 1-line block ×3, first 2 shown]
	s_waitcnt vmcnt(31)
	v_fmac_f32_e32 v31, v23, v64
	v_fmac_f32_e32 v32, v17, v62
	v_add_f32_e32 v28, v28, v31
	v_fmac_f32_e32 v33, v19, v59
	v_add_f32_e32 v28, v28, v32
	;; [unrolled: 2-line block ×3, first 2 shown]
	s_waitcnt vmcnt(27)
	v_fmac_f32_e32 v35, v11, v61
	v_add_f32_e32 v28, v28, v34
	v_fmac_f32_e32 v36, v13, v58
	v_add_f32_e32 v28, v28, v35
	v_fmac_f32_e32 v37, v15, v56
	v_add_f32_e32 v28, v28, v36
	v_fmac_f32_e32 v38, v5, v55
	v_add_f32_e32 v28, v28, v37
	s_waitcnt vmcnt(23)
	v_fmac_f32_e32 v39, v7, v114
	v_add_f32_e32 v28, v28, v38
	v_add_f32_e32 v32, v28, v39
	ds_read2_b64 v[28:31], v42 offset0:69 offset1:70
	buffer_load_dword v216, off, s[0:3], 0 offset:200
	buffer_load_dword v217, off, s[0:3], 0 offset:204
	;; [unrolled: 1-line block ×12, first 2 shown]
	s_waitcnt vmcnt(34) lgkmcnt(1)
	v_mul_f32_e32 v33, v0, v115
	v_fmac_f32_e32 v33, v1, v113
	buffer_load_dword v228, off, s[0:3], 0 offset:248
	buffer_load_dword v229, off, s[0:3], 0 offset:252
	v_add_f32_e32 v32, v32, v33
	s_waitcnt vmcnt(35)
	v_mul_f32_e32 v33, v2, v116
	v_fmac_f32_e32 v33, v3, v112
	v_add_f32_e32 v32, v32, v33
	s_waitcnt vmcnt(34) lgkmcnt(0)
	v_mul_f32_e32 v33, v28, v117
	v_fmac_f32_e32 v33, v29, v65
	buffer_load_dword v230, off, s[0:3], 0 offset:256
	buffer_load_dword v231, off, s[0:3], 0 offset:260
	v_add_f32_e32 v32, v32, v33
	s_waitcnt vmcnt(32)
	v_mul_f32_e32 v33, v30, v119
	v_fmac_f32_e32 v33, v31, v118
	v_add_f32_e32 v66, v32, v33
	ds_read2_b64 v[32:35], v42 offset0:71 offset1:72
	buffer_load_dword v232, off, s[0:3], 0 offset:264
	buffer_load_dword v233, off, s[0:3], 0 offset:268
	ds_read2_b64 v[36:39], v42 offset0:73 offset1:74
	buffer_load_dword v234, off, s[0:3], 0 offset:272
	buffer_load_dword v235, off, s[0:3], 0 offset:276
	buffer_load_dword v236, off, s[0:3], 0 offset:280
	buffer_load_dword v237, off, s[0:3], 0 offset:284
	buffer_load_dword v238, off, s[0:3], 0 offset:288
	buffer_load_dword v239, off, s[0:3], 0 offset:292
	buffer_load_dword v240, off, s[0:3], 0 offset:296
	buffer_load_dword v241, off, s[0:3], 0 offset:300
	buffer_load_dword v242, off, s[0:3], 0 offset:304
	buffer_load_dword v243, off, s[0:3], 0 offset:308
	buffer_load_dword v244, off, s[0:3], 0 offset:312
	buffer_load_dword v245, off, s[0:3], 0 offset:316
	buffer_load_dword v246, off, s[0:3], 0 offset:320
	buffer_load_dword v247, off, s[0:3], 0 offset:324
	s_waitcnt vmcnt(46) lgkmcnt(1)
	v_mul_f32_e32 v67, v32, v121
	v_fmac_f32_e32 v67, v33, v120
	v_add_f32_e32 v66, v66, v67
	s_waitcnt vmcnt(44)
	v_mul_f32_e32 v67, v34, v123
	v_fmac_f32_e32 v67, v35, v122
	v_add_f32_e32 v66, v66, v67
	s_waitcnt vmcnt(42) lgkmcnt(0)
	v_mul_f32_e32 v67, v36, v125
	v_fmac_f32_e32 v67, v37, v124
	v_add_f32_e32 v70, v66, v67
	buffer_load_dword v248, off, s[0:3], 0 offset:328
	buffer_load_dword v249, off, s[0:3], 0 offset:332
	ds_read2_b64 v[66:69], v42 offset0:75 offset1:76
	s_waitcnt vmcnt(42)
	v_mul_f32_e32 v71, v38, v127
	v_fmac_f32_e32 v71, v39, v126
	buffer_load_dword v250, off, s[0:3], 0 offset:336
	buffer_load_dword v251, off, s[0:3], 0 offset:340
	v_add_f32_e32 v74, v70, v71
	buffer_load_dword v252, off, s[0:3], 0 offset:344
	buffer_load_dword v253, off, s[0:3], 0 offset:348
	ds_read2_b64 v[70:73], v42 offset0:77 offset1:78
	s_waitcnt vmcnt(44) lgkmcnt(1)
	v_mul_f32_e32 v75, v66, v129
	v_fmac_f32_e32 v75, v67, v128
	v_add_f32_e32 v74, v74, v75
	s_waitcnt vmcnt(42)
	v_mul_f32_e32 v75, v68, v131
	v_fmac_f32_e32 v75, v69, v130
	v_add_f32_e32 v74, v74, v75
	s_waitcnt vmcnt(40) lgkmcnt(0)
	v_mul_f32_e32 v75, v70, v133
	v_fmac_f32_e32 v75, v71, v132
	buffer_load_dword v254, off, s[0:3], 0 offset:352
	buffer_load_dword v255, off, s[0:3], 0 offset:356
	v_add_f32_e32 v78, v74, v75
	ds_read2_b64 v[74:77], v42 offset0:79 offset1:80
	s_waitcnt vmcnt(40)
	v_mul_f32_e32 v79, v72, v204
	v_fmac_f32_e32 v79, v73, v196
	v_add_f32_e32 v82, v78, v79
	ds_read2_b64 v[78:81], v42 offset0:81 offset1:82
	v_mul_f32_e32 v25, v25, v48
	v_fma_f32 v24, v24, v110, -v25
	v_mul_f32_e32 v25, v27, v47
	v_add_f32_e32 v24, 0, v24
	v_fma_f32 v25, v26, v63, -v25
	v_mul_f32_e32 v21, v21, v49
	v_add_f32_e32 v24, v24, v25
	v_fma_f32 v20, v20, v60, -v21
	v_mul_f32_e32 v21, v23, v46
	v_add_f32_e32 v20, v24, v20
	v_fma_f32 v21, v22, v64, -v21
	v_mul_f32_e32 v17, v17, v45
	v_add_f32_e32 v20, v20, v21
	v_fma_f32 v16, v16, v62, -v17
	v_mul_f32_e32 v17, v19, v43
	v_add_f32_e32 v16, v20, v16
	v_fma_f32 v17, v18, v59, -v17
	v_mul_f32_e32 v9, v9, v44
	s_waitcnt vmcnt(38) lgkmcnt(1)
	v_mul_f32_e32 v83, v74, v217
	v_fmac_f32_e32 v83, v75, v216
	v_add_f32_e32 v82, v82, v83
	s_waitcnt vmcnt(36)
	v_mul_f32_e32 v83, v76, v219
	v_fmac_f32_e32 v83, v77, v218
	v_add_f32_e32 v82, v82, v83
	s_waitcnt vmcnt(34) lgkmcnt(0)
	v_mul_f32_e32 v83, v78, v221
	v_fmac_f32_e32 v83, v79, v220
	v_add_f32_e32 v86, v82, v83
	ds_read2_b64 v[82:85], v42 offset0:83 offset1:84
	s_waitcnt vmcnt(32)
	v_mul_f32_e32 v87, v80, v223
	v_fmac_f32_e32 v87, v81, v222
	v_add_f32_e32 v90, v86, v87
	ds_read2_b64 v[86:89], v42 offset0:85 offset1:86
	s_waitcnt vmcnt(30) lgkmcnt(1)
	v_mul_f32_e32 v91, v82, v225
	v_fmac_f32_e32 v91, v83, v224
	v_add_f32_e32 v90, v90, v91
	s_waitcnt vmcnt(28)
	v_mul_f32_e32 v91, v84, v227
	v_fmac_f32_e32 v91, v85, v226
	v_add_f32_e32 v90, v90, v91
	s_waitcnt vmcnt(26) lgkmcnt(0)
	v_mul_f32_e32 v91, v86, v229
	v_fmac_f32_e32 v91, v87, v228
	v_add_f32_e32 v94, v90, v91
	ds_read2_b64 v[90:93], v42 offset0:87 offset1:88
	s_waitcnt vmcnt(24)
	v_mul_f32_e32 v95, v88, v231
	v_fmac_f32_e32 v95, v89, v230
	v_add_f32_e32 v98, v94, v95
	ds_read2_b64 v[94:97], v42 offset0:89 offset1:90
	;; [unrolled: 18-line block ×3, first 2 shown]
	s_waitcnt vmcnt(14) lgkmcnt(1)
	v_mul_f32_e32 v107, v98, v241
	v_fmac_f32_e32 v107, v99, v240
	v_add_f32_e32 v106, v106, v107
	s_waitcnt vmcnt(12)
	v_mul_f32_e32 v107, v100, v243
	v_fmac_f32_e32 v107, v101, v242
	v_add_f32_e32 v106, v106, v107
	s_waitcnt vmcnt(10) lgkmcnt(0)
	v_mul_f32_e32 v107, v102, v245
	v_fmac_f32_e32 v107, v103, v244
	s_waitcnt vmcnt(8)
	v_mul_f32_e32 v192, v104, v247
	v_add_f32_e32 v111, v106, v107
	v_fmac_f32_e32 v192, v105, v246
	ds_read2_b64 v[106:109], v42 offset0:95 offset1:96
	v_add_f32_e32 v111, v111, v192
	ds_read2_b64 v[192:195], v42 offset0:97 offset1:98
	buffer_load_dword v199, off, s[0:3], 0 offset:380
	buffer_load_dword v198, off, s[0:3], 0 offset:376
	;; [unrolled: 1-line block ×6, first 2 shown]
	v_add_f32_e32 v16, v16, v17
	v_fma_f32 v8, v8, v57, -v9
	v_mul_f32_e32 v9, v11, v50
	v_add_f32_e32 v8, v16, v8
	v_fma_f32 v9, v10, v61, -v9
	buffer_load_dword v207, off, s[0:3], 0 offset:412
	buffer_load_dword v206, off, s[0:3], 0 offset:408
	buffer_load_dword v209, off, s[0:3], 0 offset:404
	buffer_load_dword v208, off, s[0:3], 0 offset:400
	buffer_load_dword v211, off, s[0:3], 0 offset:396
	buffer_load_dword v210, off, s[0:3], 0 offset:392
	buffer_load_dword v213, off, s[0:3], 0 offset:388
	buffer_load_dword v212, off, s[0:3], 0 offset:384
	buffer_load_dword v215, off, s[0:3], 0 offset:420
	buffer_load_dword v214, off, s[0:3], 0 offset:416
	v_add_f32_e32 v8, v8, v9
	v_mul_f32_e32 v9, v13, v51
	v_fma_f32 v9, v12, v58, -v9
	v_add_f32_e32 v8, v8, v9
	v_mul_f32_e32 v9, v15, v52
	v_fma_f32 v9, v14, v56, -v9
	v_mul_f32_e32 v5, v5, v53
	v_add_f32_e32 v8, v8, v9
	v_fma_f32 v4, v4, v55, -v5
	v_mul_f32_e32 v5, v7, v54
	v_add_f32_e32 v4, v8, v4
	;; [unrolled: 3-line block ×4, first 2 shown]
	v_fma_f32 v1, v2, v112, -v1
	v_add_f32_e32 v0, v0, v1
	v_mul_f32_e32 v1, v29, v117
	v_fma_f32 v1, v28, v65, -v1
	v_add_f32_e32 v0, v0, v1
	v_mul_f32_e32 v1, v31, v119
	;; [unrolled: 3-line block ×26, first 2 shown]
	v_fma_f32 v1, v104, v246, -v1
	v_add_f32_e32 v0, v0, v1
	s_waitcnt vmcnt(22) lgkmcnt(1)
	v_mul_f32_e32 v1, v107, v249
	v_fma_f32 v1, v106, v248, -v1
	v_add_f32_e32 v0, v0, v1
	s_waitcnt vmcnt(20)
	v_mul_f32_e32 v1, v109, v251
	v_mul_f32_e32 v197, v106, v249
	v_fma_f32 v1, v108, v250, -v1
	v_fmac_f32_e32 v197, v107, v248
	v_add_f32_e32 v110, v0, v1
	s_waitcnt vmcnt(18) lgkmcnt(0)
	v_mul_f32_e32 v0, v193, v253
	v_add_f32_e32 v111, v111, v197
	v_mul_f32_e32 v197, v108, v251
	v_fma_f32 v196, v192, v252, -v0
	s_waitcnt vmcnt(16)
	v_mul_f32_e32 v0, v195, v255
	v_fmac_f32_e32 v197, v109, v250
	v_fma_f32 v204, v194, v254, -v0
	ds_read2_b64 v[0:3], v42 offset0:99 offset1:100
	ds_read2_b64 v[4:7], v42 offset0:101 offset1:102
	;; [unrolled: 1-line block ×4, first 2 shown]
	v_add_f32_e32 v111, v111, v197
	v_mul_f32_e32 v197, v192, v253
	s_waitcnt vmcnt(11)
	v_mov_b32_e32 v18, v203
	v_fmac_f32_e32 v197, v193, v252
	v_mul_f32_e32 v205, v194, v255
	s_waitcnt lgkmcnt(3)
	v_pk_mul_f32 v[18:19], v[0:1], v[18:19] op_sel_hi:[1,0]
	v_fmac_f32_e32 v205, v195, v254
	v_pk_add_f32 v[16:17], v[110:111], v[196:197]
	s_waitcnt vmcnt(10)
	v_pk_fma_f32 v[20:21], v[0:1], v[202:203], v[18:19] op_sel:[0,0,1] op_sel_hi:[1,1,0] neg_lo:[0,0,1] neg_hi:[0,0,1]
	v_pk_fma_f32 v[0:1], v[0:1], v[202:203], v[18:19] op_sel:[0,0,1] op_sel_hi:[1,0,0]
	v_pk_add_f32 v[16:17], v[16:17], v[204:205]
	v_mov_b32_e32 v21, v1
	v_pk_add_f32 v[0:1], v[16:17], v[20:21]
	v_mov_b32_e32 v16, v201
	v_pk_mul_f32 v[16:17], v[2:3], v[16:17] op_sel_hi:[1,0]
	v_pk_fma_f32 v[18:19], v[2:3], v[200:201], v[16:17] op_sel:[0,0,1] op_sel_hi:[1,1,0] neg_lo:[0,0,1] neg_hi:[0,0,1]
	v_pk_fma_f32 v[2:3], v[2:3], v[200:201], v[16:17] op_sel:[0,0,1] op_sel_hi:[1,0,0]
	v_mov_b32_e32 v2, v199
	v_mov_b32_e32 v19, v3
	s_waitcnt lgkmcnt(2)
	v_pk_mul_f32 v[2:3], v[4:5], v[2:3] op_sel_hi:[1,0]
	v_pk_fma_f32 v[16:17], v[4:5], v[198:199], v[2:3] op_sel:[0,0,1] op_sel_hi:[1,1,0] neg_lo:[0,0,1] neg_hi:[0,0,1]
	v_pk_fma_f32 v[2:3], v[4:5], v[198:199], v[2:3] op_sel:[0,0,1] op_sel_hi:[1,0,0]
	s_waitcnt vmcnt(3)
	v_mov_b32_e32 v2, v213
	v_mov_b32_e32 v17, v3
	v_pk_mul_f32 v[2:3], v[6:7], v[2:3] op_sel_hi:[1,0]
	s_waitcnt vmcnt(2)
	v_pk_fma_f32 v[4:5], v[6:7], v[212:213], v[2:3] op_sel:[0,0,1] op_sel_hi:[1,1,0] neg_lo:[0,0,1] neg_hi:[0,0,1]
	v_pk_fma_f32 v[2:3], v[6:7], v[212:213], v[2:3] op_sel:[0,0,1] op_sel_hi:[1,0,0]
	v_pk_add_f32 v[0:1], v[0:1], v[18:19]
	v_mov_b32_e32 v2, v211
	v_pk_add_f32 v[0:1], v[0:1], v[16:17]
	v_mov_b32_e32 v5, v3
	s_waitcnt lgkmcnt(1)
	v_pk_mul_f32 v[2:3], v[8:9], v[2:3] op_sel_hi:[1,0]
	v_pk_add_f32 v[0:1], v[0:1], v[4:5]
	v_pk_fma_f32 v[4:5], v[8:9], v[210:211], v[2:3] op_sel:[0,0,1] op_sel_hi:[1,1,0] neg_lo:[0,0,1] neg_hi:[0,0,1]
	v_pk_fma_f32 v[2:3], v[8:9], v[210:211], v[2:3] op_sel:[0,0,1] op_sel_hi:[1,0,0]
	v_mov_b32_e32 v2, v209
	v_mov_b32_e32 v5, v3
	v_pk_mul_f32 v[2:3], v[10:11], v[2:3] op_sel_hi:[1,0]
	v_pk_add_f32 v[0:1], v[0:1], v[4:5]
	v_pk_fma_f32 v[4:5], v[10:11], v[208:209], v[2:3] op_sel:[0,0,1] op_sel_hi:[1,1,0] neg_lo:[0,0,1] neg_hi:[0,0,1]
	v_pk_fma_f32 v[2:3], v[10:11], v[208:209], v[2:3] op_sel:[0,0,1] op_sel_hi:[1,0,0]
	v_mov_b32_e32 v2, v207
	v_mov_b32_e32 v5, v3
	s_waitcnt lgkmcnt(0)
	v_pk_mul_f32 v[2:3], v[12:13], v[2:3] op_sel_hi:[1,0]
	v_pk_add_f32 v[0:1], v[0:1], v[4:5]
	v_pk_fma_f32 v[4:5], v[12:13], v[206:207], v[2:3] op_sel:[0,0,1] op_sel_hi:[1,1,0] neg_lo:[0,0,1] neg_hi:[0,0,1]
	v_pk_fma_f32 v[2:3], v[12:13], v[206:207], v[2:3] op_sel:[0,0,1] op_sel_hi:[1,0,0]
	s_waitcnt vmcnt(1)
	v_mov_b32_e32 v2, v215
	v_mov_b32_e32 v5, v3
	v_pk_mul_f32 v[2:3], v[14:15], v[2:3] op_sel_hi:[1,0]
	v_pk_add_f32 v[0:1], v[0:1], v[4:5]
	s_waitcnt vmcnt(0)
	v_pk_fma_f32 v[4:5], v[14:15], v[214:215], v[2:3] op_sel:[0,0,1] op_sel_hi:[1,1,0] neg_lo:[0,0,1] neg_hi:[0,0,1]
	v_pk_fma_f32 v[2:3], v[14:15], v[214:215], v[2:3] op_sel:[0,0,1] op_sel_hi:[1,0,0]
	v_mov_b32_e32 v5, v3
	v_pk_add_f32 v[0:1], v[0:1], v[4:5]
	v_pk_add_f32 v[0:1], v[40:41], v[0:1] neg_lo:[0,1] neg_hi:[0,1]
	buffer_store_dword v1, off, s[0:3], 0 offset:4
	buffer_store_dword v0, off, s[0:3], 0
	s_cbranch_vccz .LBB116_437
; %bb.332:
	v_pk_mov_b32 v[0:1], s[10:11], s[10:11] op_sel:[0,1]
	flat_load_dword v0, v[0:1] offset:204
	s_waitcnt vmcnt(0) lgkmcnt(0)
	v_add_u32_e32 v0, -1, v0
	v_cmp_ne_u32_e32 vcc, 51, v0
	s_and_saveexec_b64 s[4:5], vcc
	s_cbranch_execz .LBB116_334
; %bb.333:
	v_mov_b32_e32 v1, 0
	v_lshl_add_u32 v0, v0, 3, v1
	buffer_load_dword v1, v0, s[0:3], 0 offen
	buffer_load_dword v2, v0, s[0:3], 0 offen offset:4
	buffer_load_dword v3, off, s[0:3], 0 offset:408
	buffer_load_dword v4, off, s[0:3], 0 offset:412
	s_waitcnt vmcnt(3)
	buffer_store_dword v1, off, s[0:3], 0 offset:408
	s_waitcnt vmcnt(3)
	buffer_store_dword v2, off, s[0:3], 0 offset:412
	s_waitcnt vmcnt(3)
	buffer_store_dword v3, v0, s[0:3], 0 offen
	s_waitcnt vmcnt(3)
	buffer_store_dword v4, v0, s[0:3], 0 offen offset:4
.LBB116_334:
	s_or_b64 exec, exec, s[4:5]
	v_pk_mov_b32 v[0:1], s[10:11], s[10:11] op_sel:[0,1]
	flat_load_dword v0, v[0:1] offset:200
	s_waitcnt vmcnt(0) lgkmcnt(0)
	v_add_u32_e32 v0, -1, v0
	v_cmp_ne_u32_e32 vcc, 50, v0
	s_and_saveexec_b64 s[4:5], vcc
	s_cbranch_execz .LBB116_336
; %bb.335:
	v_mov_b32_e32 v1, 0
	v_lshl_add_u32 v0, v0, 3, v1
	buffer_load_dword v1, v0, s[0:3], 0 offen
	buffer_load_dword v2, v0, s[0:3], 0 offen offset:4
	buffer_load_dword v3, off, s[0:3], 0 offset:404
	buffer_load_dword v4, off, s[0:3], 0 offset:400
	s_waitcnt vmcnt(3)
	buffer_store_dword v1, off, s[0:3], 0 offset:400
	s_waitcnt vmcnt(3)
	buffer_store_dword v2, off, s[0:3], 0 offset:404
	s_waitcnt vmcnt(3)
	buffer_store_dword v3, v0, s[0:3], 0 offen offset:4
	s_waitcnt vmcnt(3)
	buffer_store_dword v4, v0, s[0:3], 0 offen
.LBB116_336:
	s_or_b64 exec, exec, s[4:5]
	v_pk_mov_b32 v[0:1], s[10:11], s[10:11] op_sel:[0,1]
	flat_load_dword v0, v[0:1] offset:196
	s_waitcnt vmcnt(0) lgkmcnt(0)
	v_add_u32_e32 v0, -1, v0
	v_cmp_ne_u32_e32 vcc, 49, v0
	s_and_saveexec_b64 s[4:5], vcc
	s_cbranch_execz .LBB116_338
; %bb.337:
	v_mov_b32_e32 v1, 0
	v_lshl_add_u32 v0, v0, 3, v1
	buffer_load_dword v1, v0, s[0:3], 0 offen
	buffer_load_dword v2, v0, s[0:3], 0 offen offset:4
	buffer_load_dword v3, off, s[0:3], 0 offset:392
	buffer_load_dword v4, off, s[0:3], 0 offset:396
	s_waitcnt vmcnt(3)
	buffer_store_dword v1, off, s[0:3], 0 offset:392
	s_waitcnt vmcnt(3)
	buffer_store_dword v2, off, s[0:3], 0 offset:396
	s_waitcnt vmcnt(3)
	buffer_store_dword v3, v0, s[0:3], 0 offen
	s_waitcnt vmcnt(3)
	buffer_store_dword v4, v0, s[0:3], 0 offen offset:4
.LBB116_338:
	s_or_b64 exec, exec, s[4:5]
	v_pk_mov_b32 v[0:1], s[10:11], s[10:11] op_sel:[0,1]
	flat_load_dword v0, v[0:1] offset:192
	s_waitcnt vmcnt(0) lgkmcnt(0)
	v_add_u32_e32 v0, -1, v0
	v_cmp_ne_u32_e32 vcc, 48, v0
	s_and_saveexec_b64 s[4:5], vcc
	s_cbranch_execz .LBB116_340
; %bb.339:
	v_mov_b32_e32 v1, 0
	v_lshl_add_u32 v0, v0, 3, v1
	buffer_load_dword v1, v0, s[0:3], 0 offen
	buffer_load_dword v2, v0, s[0:3], 0 offen offset:4
	buffer_load_dword v3, off, s[0:3], 0 offset:388
	buffer_load_dword v4, off, s[0:3], 0 offset:384
	s_waitcnt vmcnt(3)
	buffer_store_dword v1, off, s[0:3], 0 offset:384
	s_waitcnt vmcnt(3)
	buffer_store_dword v2, off, s[0:3], 0 offset:388
	s_waitcnt vmcnt(3)
	buffer_store_dword v3, v0, s[0:3], 0 offen offset:4
	s_waitcnt vmcnt(3)
	buffer_store_dword v4, v0, s[0:3], 0 offen
.LBB116_340:
	s_or_b64 exec, exec, s[4:5]
	v_pk_mov_b32 v[0:1], s[10:11], s[10:11] op_sel:[0,1]
	flat_load_dword v0, v[0:1] offset:188
	s_waitcnt vmcnt(0) lgkmcnt(0)
	v_add_u32_e32 v0, -1, v0
	v_cmp_ne_u32_e32 vcc, 47, v0
	s_and_saveexec_b64 s[4:5], vcc
	s_cbranch_execz .LBB116_342
; %bb.341:
	v_mov_b32_e32 v1, 0
	v_lshl_add_u32 v0, v0, 3, v1
	buffer_load_dword v1, v0, s[0:3], 0 offen
	buffer_load_dword v2, v0, s[0:3], 0 offen offset:4
	buffer_load_dword v3, off, s[0:3], 0 offset:376
	buffer_load_dword v4, off, s[0:3], 0 offset:380
	s_waitcnt vmcnt(3)
	buffer_store_dword v1, off, s[0:3], 0 offset:376
	s_waitcnt vmcnt(3)
	buffer_store_dword v2, off, s[0:3], 0 offset:380
	s_waitcnt vmcnt(3)
	buffer_store_dword v3, v0, s[0:3], 0 offen
	s_waitcnt vmcnt(3)
	buffer_store_dword v4, v0, s[0:3], 0 offen offset:4
.LBB116_342:
	s_or_b64 exec, exec, s[4:5]
	v_pk_mov_b32 v[0:1], s[10:11], s[10:11] op_sel:[0,1]
	flat_load_dword v0, v[0:1] offset:184
	s_waitcnt vmcnt(0) lgkmcnt(0)
	v_add_u32_e32 v0, -1, v0
	v_cmp_ne_u32_e32 vcc, 46, v0
	s_and_saveexec_b64 s[4:5], vcc
	s_cbranch_execz .LBB116_344
; %bb.343:
	v_mov_b32_e32 v1, 0
	v_lshl_add_u32 v0, v0, 3, v1
	buffer_load_dword v1, v0, s[0:3], 0 offen
	buffer_load_dword v2, v0, s[0:3], 0 offen offset:4
	buffer_load_dword v3, off, s[0:3], 0 offset:372
	buffer_load_dword v4, off, s[0:3], 0 offset:368
	s_waitcnt vmcnt(3)
	buffer_store_dword v1, off, s[0:3], 0 offset:368
	s_waitcnt vmcnt(3)
	buffer_store_dword v2, off, s[0:3], 0 offset:372
	s_waitcnt vmcnt(3)
	buffer_store_dword v3, v0, s[0:3], 0 offen offset:4
	s_waitcnt vmcnt(3)
	buffer_store_dword v4, v0, s[0:3], 0 offen
.LBB116_344:
	s_or_b64 exec, exec, s[4:5]
	v_pk_mov_b32 v[0:1], s[10:11], s[10:11] op_sel:[0,1]
	flat_load_dword v0, v[0:1] offset:180
	s_waitcnt vmcnt(0) lgkmcnt(0)
	v_add_u32_e32 v0, -1, v0
	v_cmp_ne_u32_e32 vcc, 45, v0
	s_and_saveexec_b64 s[4:5], vcc
	s_cbranch_execz .LBB116_346
; %bb.345:
	v_mov_b32_e32 v1, 0
	v_lshl_add_u32 v0, v0, 3, v1
	buffer_load_dword v1, v0, s[0:3], 0 offen
	buffer_load_dword v2, v0, s[0:3], 0 offen offset:4
	buffer_load_dword v3, off, s[0:3], 0 offset:360
	buffer_load_dword v4, off, s[0:3], 0 offset:364
	s_waitcnt vmcnt(3)
	buffer_store_dword v1, off, s[0:3], 0 offset:360
	s_waitcnt vmcnt(3)
	buffer_store_dword v2, off, s[0:3], 0 offset:364
	s_waitcnt vmcnt(3)
	buffer_store_dword v3, v0, s[0:3], 0 offen
	s_waitcnt vmcnt(3)
	buffer_store_dword v4, v0, s[0:3], 0 offen offset:4
.LBB116_346:
	s_or_b64 exec, exec, s[4:5]
	v_pk_mov_b32 v[0:1], s[10:11], s[10:11] op_sel:[0,1]
	flat_load_dword v0, v[0:1] offset:176
	s_waitcnt vmcnt(0) lgkmcnt(0)
	v_add_u32_e32 v0, -1, v0
	v_cmp_ne_u32_e32 vcc, 44, v0
	s_and_saveexec_b64 s[4:5], vcc
	s_cbranch_execz .LBB116_348
; %bb.347:
	v_mov_b32_e32 v1, 0
	v_lshl_add_u32 v0, v0, 3, v1
	buffer_load_dword v1, v0, s[0:3], 0 offen
	buffer_load_dword v2, v0, s[0:3], 0 offen offset:4
	buffer_load_dword v3, off, s[0:3], 0 offset:356
	buffer_load_dword v4, off, s[0:3], 0 offset:352
	s_waitcnt vmcnt(3)
	buffer_store_dword v1, off, s[0:3], 0 offset:352
	s_waitcnt vmcnt(3)
	buffer_store_dword v2, off, s[0:3], 0 offset:356
	s_waitcnt vmcnt(3)
	buffer_store_dword v3, v0, s[0:3], 0 offen offset:4
	s_waitcnt vmcnt(3)
	buffer_store_dword v4, v0, s[0:3], 0 offen
.LBB116_348:
	s_or_b64 exec, exec, s[4:5]
	v_pk_mov_b32 v[0:1], s[10:11], s[10:11] op_sel:[0,1]
	flat_load_dword v0, v[0:1] offset:172
	s_waitcnt vmcnt(0) lgkmcnt(0)
	v_add_u32_e32 v0, -1, v0
	v_cmp_ne_u32_e32 vcc, 43, v0
	s_and_saveexec_b64 s[4:5], vcc
	s_cbranch_execz .LBB116_350
; %bb.349:
	v_mov_b32_e32 v1, 0
	v_lshl_add_u32 v0, v0, 3, v1
	buffer_load_dword v1, v0, s[0:3], 0 offen
	buffer_load_dword v2, v0, s[0:3], 0 offen offset:4
	buffer_load_dword v3, off, s[0:3], 0 offset:344
	buffer_load_dword v4, off, s[0:3], 0 offset:348
	s_waitcnt vmcnt(3)
	buffer_store_dword v1, off, s[0:3], 0 offset:344
	s_waitcnt vmcnt(3)
	buffer_store_dword v2, off, s[0:3], 0 offset:348
	s_waitcnt vmcnt(3)
	buffer_store_dword v3, v0, s[0:3], 0 offen
	s_waitcnt vmcnt(3)
	buffer_store_dword v4, v0, s[0:3], 0 offen offset:4
.LBB116_350:
	s_or_b64 exec, exec, s[4:5]
	v_pk_mov_b32 v[0:1], s[10:11], s[10:11] op_sel:[0,1]
	flat_load_dword v0, v[0:1] offset:168
	s_waitcnt vmcnt(0) lgkmcnt(0)
	v_add_u32_e32 v0, -1, v0
	v_cmp_ne_u32_e32 vcc, 42, v0
	s_and_saveexec_b64 s[4:5], vcc
	s_cbranch_execz .LBB116_352
; %bb.351:
	v_mov_b32_e32 v1, 0
	v_lshl_add_u32 v0, v0, 3, v1
	buffer_load_dword v1, v0, s[0:3], 0 offen
	buffer_load_dword v2, v0, s[0:3], 0 offen offset:4
	buffer_load_dword v3, off, s[0:3], 0 offset:340
	buffer_load_dword v4, off, s[0:3], 0 offset:336
	s_waitcnt vmcnt(3)
	buffer_store_dword v1, off, s[0:3], 0 offset:336
	s_waitcnt vmcnt(3)
	buffer_store_dword v2, off, s[0:3], 0 offset:340
	s_waitcnt vmcnt(3)
	buffer_store_dword v3, v0, s[0:3], 0 offen offset:4
	s_waitcnt vmcnt(3)
	buffer_store_dword v4, v0, s[0:3], 0 offen
.LBB116_352:
	s_or_b64 exec, exec, s[4:5]
	v_pk_mov_b32 v[0:1], s[10:11], s[10:11] op_sel:[0,1]
	flat_load_dword v0, v[0:1] offset:164
	s_waitcnt vmcnt(0) lgkmcnt(0)
	v_add_u32_e32 v0, -1, v0
	v_cmp_ne_u32_e32 vcc, 41, v0
	s_and_saveexec_b64 s[4:5], vcc
	s_cbranch_execz .LBB116_354
; %bb.353:
	v_mov_b32_e32 v1, 0
	v_lshl_add_u32 v0, v0, 3, v1
	buffer_load_dword v1, v0, s[0:3], 0 offen
	buffer_load_dword v2, v0, s[0:3], 0 offen offset:4
	buffer_load_dword v3, off, s[0:3], 0 offset:328
	buffer_load_dword v4, off, s[0:3], 0 offset:332
	s_waitcnt vmcnt(3)
	buffer_store_dword v1, off, s[0:3], 0 offset:328
	s_waitcnt vmcnt(3)
	buffer_store_dword v2, off, s[0:3], 0 offset:332
	s_waitcnt vmcnt(3)
	buffer_store_dword v3, v0, s[0:3], 0 offen
	s_waitcnt vmcnt(3)
	buffer_store_dword v4, v0, s[0:3], 0 offen offset:4
.LBB116_354:
	s_or_b64 exec, exec, s[4:5]
	v_pk_mov_b32 v[0:1], s[10:11], s[10:11] op_sel:[0,1]
	flat_load_dword v0, v[0:1] offset:160
	s_waitcnt vmcnt(0) lgkmcnt(0)
	v_add_u32_e32 v0, -1, v0
	v_cmp_ne_u32_e32 vcc, 40, v0
	s_and_saveexec_b64 s[4:5], vcc
	s_cbranch_execz .LBB116_356
; %bb.355:
	v_mov_b32_e32 v1, 0
	v_lshl_add_u32 v0, v0, 3, v1
	buffer_load_dword v1, v0, s[0:3], 0 offen
	buffer_load_dword v2, v0, s[0:3], 0 offen offset:4
	buffer_load_dword v3, off, s[0:3], 0 offset:324
	buffer_load_dword v4, off, s[0:3], 0 offset:320
	s_waitcnt vmcnt(3)
	buffer_store_dword v1, off, s[0:3], 0 offset:320
	s_waitcnt vmcnt(3)
	buffer_store_dword v2, off, s[0:3], 0 offset:324
	s_waitcnt vmcnt(3)
	buffer_store_dword v3, v0, s[0:3], 0 offen offset:4
	s_waitcnt vmcnt(3)
	buffer_store_dword v4, v0, s[0:3], 0 offen
.LBB116_356:
	s_or_b64 exec, exec, s[4:5]
	v_pk_mov_b32 v[0:1], s[10:11], s[10:11] op_sel:[0,1]
	flat_load_dword v0, v[0:1] offset:156
	s_waitcnt vmcnt(0) lgkmcnt(0)
	v_add_u32_e32 v0, -1, v0
	v_cmp_ne_u32_e32 vcc, 39, v0
	s_and_saveexec_b64 s[4:5], vcc
	s_cbranch_execz .LBB116_358
; %bb.357:
	v_mov_b32_e32 v1, 0
	v_lshl_add_u32 v0, v0, 3, v1
	buffer_load_dword v1, v0, s[0:3], 0 offen
	buffer_load_dword v2, v0, s[0:3], 0 offen offset:4
	buffer_load_dword v3, off, s[0:3], 0 offset:312
	buffer_load_dword v4, off, s[0:3], 0 offset:316
	s_waitcnt vmcnt(3)
	buffer_store_dword v1, off, s[0:3], 0 offset:312
	s_waitcnt vmcnt(3)
	buffer_store_dword v2, off, s[0:3], 0 offset:316
	s_waitcnt vmcnt(3)
	buffer_store_dword v3, v0, s[0:3], 0 offen
	s_waitcnt vmcnt(3)
	buffer_store_dword v4, v0, s[0:3], 0 offen offset:4
.LBB116_358:
	s_or_b64 exec, exec, s[4:5]
	v_pk_mov_b32 v[0:1], s[10:11], s[10:11] op_sel:[0,1]
	flat_load_dword v0, v[0:1] offset:152
	s_waitcnt vmcnt(0) lgkmcnt(0)
	v_add_u32_e32 v0, -1, v0
	v_cmp_ne_u32_e32 vcc, 38, v0
	s_and_saveexec_b64 s[4:5], vcc
	s_cbranch_execz .LBB116_360
; %bb.359:
	v_mov_b32_e32 v1, 0
	v_lshl_add_u32 v0, v0, 3, v1
	buffer_load_dword v1, v0, s[0:3], 0 offen
	buffer_load_dword v2, v0, s[0:3], 0 offen offset:4
	buffer_load_dword v3, off, s[0:3], 0 offset:308
	buffer_load_dword v4, off, s[0:3], 0 offset:304
	s_waitcnt vmcnt(3)
	buffer_store_dword v1, off, s[0:3], 0 offset:304
	s_waitcnt vmcnt(3)
	buffer_store_dword v2, off, s[0:3], 0 offset:308
	s_waitcnt vmcnt(3)
	buffer_store_dword v3, v0, s[0:3], 0 offen offset:4
	s_waitcnt vmcnt(3)
	buffer_store_dword v4, v0, s[0:3], 0 offen
.LBB116_360:
	s_or_b64 exec, exec, s[4:5]
	v_pk_mov_b32 v[0:1], s[10:11], s[10:11] op_sel:[0,1]
	flat_load_dword v0, v[0:1] offset:148
	s_waitcnt vmcnt(0) lgkmcnt(0)
	v_add_u32_e32 v0, -1, v0
	v_cmp_ne_u32_e32 vcc, 37, v0
	s_and_saveexec_b64 s[4:5], vcc
	s_cbranch_execz .LBB116_362
; %bb.361:
	v_mov_b32_e32 v1, 0
	v_lshl_add_u32 v0, v0, 3, v1
	buffer_load_dword v1, v0, s[0:3], 0 offen
	buffer_load_dword v2, v0, s[0:3], 0 offen offset:4
	buffer_load_dword v3, off, s[0:3], 0 offset:296
	buffer_load_dword v4, off, s[0:3], 0 offset:300
	s_waitcnt vmcnt(3)
	buffer_store_dword v1, off, s[0:3], 0 offset:296
	s_waitcnt vmcnt(3)
	buffer_store_dword v2, off, s[0:3], 0 offset:300
	s_waitcnt vmcnt(3)
	buffer_store_dword v3, v0, s[0:3], 0 offen
	s_waitcnt vmcnt(3)
	buffer_store_dword v4, v0, s[0:3], 0 offen offset:4
.LBB116_362:
	s_or_b64 exec, exec, s[4:5]
	v_pk_mov_b32 v[0:1], s[10:11], s[10:11] op_sel:[0,1]
	flat_load_dword v0, v[0:1] offset:144
	s_waitcnt vmcnt(0) lgkmcnt(0)
	v_add_u32_e32 v0, -1, v0
	v_cmp_ne_u32_e32 vcc, 36, v0
	s_and_saveexec_b64 s[4:5], vcc
	s_cbranch_execz .LBB116_364
; %bb.363:
	v_mov_b32_e32 v1, 0
	v_lshl_add_u32 v0, v0, 3, v1
	buffer_load_dword v1, v0, s[0:3], 0 offen
	buffer_load_dword v2, v0, s[0:3], 0 offen offset:4
	buffer_load_dword v3, off, s[0:3], 0 offset:292
	buffer_load_dword v4, off, s[0:3], 0 offset:288
	s_waitcnt vmcnt(3)
	buffer_store_dword v1, off, s[0:3], 0 offset:288
	s_waitcnt vmcnt(3)
	buffer_store_dword v2, off, s[0:3], 0 offset:292
	s_waitcnt vmcnt(3)
	buffer_store_dword v3, v0, s[0:3], 0 offen offset:4
	s_waitcnt vmcnt(3)
	buffer_store_dword v4, v0, s[0:3], 0 offen
.LBB116_364:
	s_or_b64 exec, exec, s[4:5]
	v_pk_mov_b32 v[0:1], s[10:11], s[10:11] op_sel:[0,1]
	flat_load_dword v0, v[0:1] offset:140
	s_waitcnt vmcnt(0) lgkmcnt(0)
	v_add_u32_e32 v0, -1, v0
	v_cmp_ne_u32_e32 vcc, 35, v0
	s_and_saveexec_b64 s[4:5], vcc
	s_cbranch_execz .LBB116_366
; %bb.365:
	v_mov_b32_e32 v1, 0
	v_lshl_add_u32 v0, v0, 3, v1
	buffer_load_dword v1, v0, s[0:3], 0 offen
	buffer_load_dword v2, v0, s[0:3], 0 offen offset:4
	buffer_load_dword v3, off, s[0:3], 0 offset:280
	buffer_load_dword v4, off, s[0:3], 0 offset:284
	s_waitcnt vmcnt(3)
	buffer_store_dword v1, off, s[0:3], 0 offset:280
	s_waitcnt vmcnt(3)
	buffer_store_dword v2, off, s[0:3], 0 offset:284
	s_waitcnt vmcnt(3)
	buffer_store_dword v3, v0, s[0:3], 0 offen
	s_waitcnt vmcnt(3)
	buffer_store_dword v4, v0, s[0:3], 0 offen offset:4
.LBB116_366:
	s_or_b64 exec, exec, s[4:5]
	v_pk_mov_b32 v[0:1], s[10:11], s[10:11] op_sel:[0,1]
	flat_load_dword v0, v[0:1] offset:136
	s_waitcnt vmcnt(0) lgkmcnt(0)
	v_add_u32_e32 v0, -1, v0
	v_cmp_ne_u32_e32 vcc, 34, v0
	s_and_saveexec_b64 s[4:5], vcc
	s_cbranch_execz .LBB116_368
; %bb.367:
	v_mov_b32_e32 v1, 0
	v_lshl_add_u32 v0, v0, 3, v1
	buffer_load_dword v1, v0, s[0:3], 0 offen
	buffer_load_dword v2, v0, s[0:3], 0 offen offset:4
	buffer_load_dword v3, off, s[0:3], 0 offset:276
	buffer_load_dword v4, off, s[0:3], 0 offset:272
	s_waitcnt vmcnt(3)
	buffer_store_dword v1, off, s[0:3], 0 offset:272
	s_waitcnt vmcnt(3)
	buffer_store_dword v2, off, s[0:3], 0 offset:276
	s_waitcnt vmcnt(3)
	buffer_store_dword v3, v0, s[0:3], 0 offen offset:4
	s_waitcnt vmcnt(3)
	buffer_store_dword v4, v0, s[0:3], 0 offen
.LBB116_368:
	s_or_b64 exec, exec, s[4:5]
	v_pk_mov_b32 v[0:1], s[10:11], s[10:11] op_sel:[0,1]
	flat_load_dword v0, v[0:1] offset:132
	s_waitcnt vmcnt(0) lgkmcnt(0)
	v_add_u32_e32 v0, -1, v0
	v_cmp_ne_u32_e32 vcc, 33, v0
	s_and_saveexec_b64 s[4:5], vcc
	s_cbranch_execz .LBB116_370
; %bb.369:
	v_mov_b32_e32 v1, 0
	v_lshl_add_u32 v0, v0, 3, v1
	buffer_load_dword v1, v0, s[0:3], 0 offen
	buffer_load_dword v2, v0, s[0:3], 0 offen offset:4
	buffer_load_dword v3, off, s[0:3], 0 offset:264
	buffer_load_dword v4, off, s[0:3], 0 offset:268
	s_waitcnt vmcnt(3)
	buffer_store_dword v1, off, s[0:3], 0 offset:264
	s_waitcnt vmcnt(3)
	buffer_store_dword v2, off, s[0:3], 0 offset:268
	s_waitcnt vmcnt(3)
	buffer_store_dword v3, v0, s[0:3], 0 offen
	s_waitcnt vmcnt(3)
	buffer_store_dword v4, v0, s[0:3], 0 offen offset:4
.LBB116_370:
	s_or_b64 exec, exec, s[4:5]
	v_pk_mov_b32 v[0:1], s[10:11], s[10:11] op_sel:[0,1]
	flat_load_dword v0, v[0:1] offset:128
	s_waitcnt vmcnt(0) lgkmcnt(0)
	v_add_u32_e32 v0, -1, v0
	v_cmp_ne_u32_e32 vcc, 32, v0
	s_and_saveexec_b64 s[4:5], vcc
	s_cbranch_execz .LBB116_372
; %bb.371:
	v_mov_b32_e32 v1, 0
	v_lshl_add_u32 v0, v0, 3, v1
	buffer_load_dword v1, v0, s[0:3], 0 offen
	buffer_load_dword v2, v0, s[0:3], 0 offen offset:4
	buffer_load_dword v3, off, s[0:3], 0 offset:260
	buffer_load_dword v4, off, s[0:3], 0 offset:256
	s_waitcnt vmcnt(3)
	buffer_store_dword v1, off, s[0:3], 0 offset:256
	s_waitcnt vmcnt(3)
	buffer_store_dword v2, off, s[0:3], 0 offset:260
	s_waitcnt vmcnt(3)
	buffer_store_dword v3, v0, s[0:3], 0 offen offset:4
	s_waitcnt vmcnt(3)
	buffer_store_dword v4, v0, s[0:3], 0 offen
.LBB116_372:
	s_or_b64 exec, exec, s[4:5]
	v_pk_mov_b32 v[0:1], s[10:11], s[10:11] op_sel:[0,1]
	flat_load_dword v0, v[0:1] offset:124
	s_waitcnt vmcnt(0) lgkmcnt(0)
	v_add_u32_e32 v0, -1, v0
	v_cmp_ne_u32_e32 vcc, 31, v0
	s_and_saveexec_b64 s[4:5], vcc
	s_cbranch_execz .LBB116_374
; %bb.373:
	v_mov_b32_e32 v1, 0
	v_lshl_add_u32 v0, v0, 3, v1
	buffer_load_dword v1, v0, s[0:3], 0 offen
	buffer_load_dword v2, v0, s[0:3], 0 offen offset:4
	buffer_load_dword v3, off, s[0:3], 0 offset:248
	buffer_load_dword v4, off, s[0:3], 0 offset:252
	s_waitcnt vmcnt(3)
	buffer_store_dword v1, off, s[0:3], 0 offset:248
	s_waitcnt vmcnt(3)
	buffer_store_dword v2, off, s[0:3], 0 offset:252
	s_waitcnt vmcnt(3)
	buffer_store_dword v3, v0, s[0:3], 0 offen
	s_waitcnt vmcnt(3)
	buffer_store_dword v4, v0, s[0:3], 0 offen offset:4
.LBB116_374:
	s_or_b64 exec, exec, s[4:5]
	v_pk_mov_b32 v[0:1], s[10:11], s[10:11] op_sel:[0,1]
	flat_load_dword v0, v[0:1] offset:120
	s_waitcnt vmcnt(0) lgkmcnt(0)
	v_add_u32_e32 v0, -1, v0
	v_cmp_ne_u32_e32 vcc, 30, v0
	s_and_saveexec_b64 s[4:5], vcc
	s_cbranch_execz .LBB116_376
; %bb.375:
	v_mov_b32_e32 v1, 0
	v_lshl_add_u32 v0, v0, 3, v1
	buffer_load_dword v1, v0, s[0:3], 0 offen
	buffer_load_dword v2, v0, s[0:3], 0 offen offset:4
	buffer_load_dword v3, off, s[0:3], 0 offset:244
	buffer_load_dword v4, off, s[0:3], 0 offset:240
	s_waitcnt vmcnt(3)
	buffer_store_dword v1, off, s[0:3], 0 offset:240
	s_waitcnt vmcnt(3)
	buffer_store_dword v2, off, s[0:3], 0 offset:244
	s_waitcnt vmcnt(3)
	buffer_store_dword v3, v0, s[0:3], 0 offen offset:4
	s_waitcnt vmcnt(3)
	buffer_store_dword v4, v0, s[0:3], 0 offen
.LBB116_376:
	s_or_b64 exec, exec, s[4:5]
	v_pk_mov_b32 v[0:1], s[10:11], s[10:11] op_sel:[0,1]
	flat_load_dword v0, v[0:1] offset:116
	s_waitcnt vmcnt(0) lgkmcnt(0)
	v_add_u32_e32 v0, -1, v0
	v_cmp_ne_u32_e32 vcc, 29, v0
	s_and_saveexec_b64 s[4:5], vcc
	s_cbranch_execz .LBB116_378
; %bb.377:
	v_mov_b32_e32 v1, 0
	v_lshl_add_u32 v0, v0, 3, v1
	buffer_load_dword v1, v0, s[0:3], 0 offen
	buffer_load_dword v2, v0, s[0:3], 0 offen offset:4
	buffer_load_dword v3, off, s[0:3], 0 offset:232
	buffer_load_dword v4, off, s[0:3], 0 offset:236
	s_waitcnt vmcnt(3)
	buffer_store_dword v1, off, s[0:3], 0 offset:232
	s_waitcnt vmcnt(3)
	buffer_store_dword v2, off, s[0:3], 0 offset:236
	s_waitcnt vmcnt(3)
	buffer_store_dword v3, v0, s[0:3], 0 offen
	s_waitcnt vmcnt(3)
	buffer_store_dword v4, v0, s[0:3], 0 offen offset:4
.LBB116_378:
	s_or_b64 exec, exec, s[4:5]
	v_pk_mov_b32 v[0:1], s[10:11], s[10:11] op_sel:[0,1]
	flat_load_dword v0, v[0:1] offset:112
	s_waitcnt vmcnt(0) lgkmcnt(0)
	v_add_u32_e32 v0, -1, v0
	v_cmp_ne_u32_e32 vcc, 28, v0
	s_and_saveexec_b64 s[4:5], vcc
	s_cbranch_execz .LBB116_380
; %bb.379:
	v_mov_b32_e32 v1, 0
	v_lshl_add_u32 v0, v0, 3, v1
	buffer_load_dword v1, v0, s[0:3], 0 offen
	buffer_load_dword v2, v0, s[0:3], 0 offen offset:4
	buffer_load_dword v3, off, s[0:3], 0 offset:228
	buffer_load_dword v4, off, s[0:3], 0 offset:224
	s_waitcnt vmcnt(3)
	buffer_store_dword v1, off, s[0:3], 0 offset:224
	s_waitcnt vmcnt(3)
	buffer_store_dword v2, off, s[0:3], 0 offset:228
	s_waitcnt vmcnt(3)
	buffer_store_dword v3, v0, s[0:3], 0 offen offset:4
	s_waitcnt vmcnt(3)
	buffer_store_dword v4, v0, s[0:3], 0 offen
.LBB116_380:
	s_or_b64 exec, exec, s[4:5]
	v_pk_mov_b32 v[0:1], s[10:11], s[10:11] op_sel:[0,1]
	flat_load_dword v0, v[0:1] offset:108
	s_waitcnt vmcnt(0) lgkmcnt(0)
	v_add_u32_e32 v0, -1, v0
	v_cmp_ne_u32_e32 vcc, 27, v0
	s_and_saveexec_b64 s[4:5], vcc
	s_cbranch_execz .LBB116_382
; %bb.381:
	v_mov_b32_e32 v1, 0
	v_lshl_add_u32 v0, v0, 3, v1
	buffer_load_dword v1, v0, s[0:3], 0 offen
	buffer_load_dword v2, v0, s[0:3], 0 offen offset:4
	buffer_load_dword v3, off, s[0:3], 0 offset:216
	buffer_load_dword v4, off, s[0:3], 0 offset:220
	s_waitcnt vmcnt(3)
	buffer_store_dword v1, off, s[0:3], 0 offset:216
	s_waitcnt vmcnt(3)
	buffer_store_dword v2, off, s[0:3], 0 offset:220
	s_waitcnt vmcnt(3)
	buffer_store_dword v3, v0, s[0:3], 0 offen
	s_waitcnt vmcnt(3)
	buffer_store_dword v4, v0, s[0:3], 0 offen offset:4
.LBB116_382:
	s_or_b64 exec, exec, s[4:5]
	v_pk_mov_b32 v[0:1], s[10:11], s[10:11] op_sel:[0,1]
	flat_load_dword v0, v[0:1] offset:104
	s_waitcnt vmcnt(0) lgkmcnt(0)
	v_add_u32_e32 v0, -1, v0
	v_cmp_ne_u32_e32 vcc, 26, v0
	s_and_saveexec_b64 s[4:5], vcc
	s_cbranch_execz .LBB116_384
; %bb.383:
	v_mov_b32_e32 v1, 0
	v_lshl_add_u32 v0, v0, 3, v1
	buffer_load_dword v1, v0, s[0:3], 0 offen
	buffer_load_dword v2, v0, s[0:3], 0 offen offset:4
	buffer_load_dword v3, off, s[0:3], 0 offset:212
	buffer_load_dword v4, off, s[0:3], 0 offset:208
	s_waitcnt vmcnt(3)
	buffer_store_dword v1, off, s[0:3], 0 offset:208
	s_waitcnt vmcnt(3)
	buffer_store_dword v2, off, s[0:3], 0 offset:212
	s_waitcnt vmcnt(3)
	buffer_store_dword v3, v0, s[0:3], 0 offen offset:4
	s_waitcnt vmcnt(3)
	buffer_store_dword v4, v0, s[0:3], 0 offen
.LBB116_384:
	s_or_b64 exec, exec, s[4:5]
	v_pk_mov_b32 v[0:1], s[10:11], s[10:11] op_sel:[0,1]
	flat_load_dword v0, v[0:1] offset:100
	s_waitcnt vmcnt(0) lgkmcnt(0)
	v_add_u32_e32 v0, -1, v0
	v_cmp_ne_u32_e32 vcc, 25, v0
	s_and_saveexec_b64 s[4:5], vcc
	s_cbranch_execz .LBB116_386
; %bb.385:
	v_mov_b32_e32 v1, 0
	v_lshl_add_u32 v0, v0, 3, v1
	buffer_load_dword v1, v0, s[0:3], 0 offen
	buffer_load_dword v2, v0, s[0:3], 0 offen offset:4
	buffer_load_dword v3, off, s[0:3], 0 offset:200
	buffer_load_dword v4, off, s[0:3], 0 offset:204
	s_waitcnt vmcnt(3)
	buffer_store_dword v1, off, s[0:3], 0 offset:200
	s_waitcnt vmcnt(3)
	buffer_store_dword v2, off, s[0:3], 0 offset:204
	s_waitcnt vmcnt(3)
	buffer_store_dword v3, v0, s[0:3], 0 offen
	s_waitcnt vmcnt(3)
	buffer_store_dword v4, v0, s[0:3], 0 offen offset:4
.LBB116_386:
	s_or_b64 exec, exec, s[4:5]
	v_pk_mov_b32 v[0:1], s[10:11], s[10:11] op_sel:[0,1]
	flat_load_dword v0, v[0:1] offset:96
	s_waitcnt vmcnt(0) lgkmcnt(0)
	v_add_u32_e32 v0, -1, v0
	v_cmp_ne_u32_e32 vcc, 24, v0
	s_and_saveexec_b64 s[4:5], vcc
	s_cbranch_execz .LBB116_388
; %bb.387:
	v_mov_b32_e32 v1, 0
	v_lshl_add_u32 v0, v0, 3, v1
	buffer_load_dword v1, v0, s[0:3], 0 offen
	buffer_load_dword v2, v0, s[0:3], 0 offen offset:4
	buffer_load_dword v3, off, s[0:3], 0 offset:196
	buffer_load_dword v4, off, s[0:3], 0 offset:192
	s_waitcnt vmcnt(3)
	buffer_store_dword v1, off, s[0:3], 0 offset:192
	s_waitcnt vmcnt(3)
	buffer_store_dword v2, off, s[0:3], 0 offset:196
	s_waitcnt vmcnt(3)
	buffer_store_dword v3, v0, s[0:3], 0 offen offset:4
	s_waitcnt vmcnt(3)
	buffer_store_dword v4, v0, s[0:3], 0 offen
.LBB116_388:
	s_or_b64 exec, exec, s[4:5]
	v_pk_mov_b32 v[0:1], s[10:11], s[10:11] op_sel:[0,1]
	flat_load_dword v0, v[0:1] offset:92
	s_waitcnt vmcnt(0) lgkmcnt(0)
	v_add_u32_e32 v0, -1, v0
	v_cmp_ne_u32_e32 vcc, 23, v0
	s_and_saveexec_b64 s[4:5], vcc
	s_cbranch_execz .LBB116_390
; %bb.389:
	v_mov_b32_e32 v1, 0
	v_lshl_add_u32 v0, v0, 3, v1
	buffer_load_dword v1, v0, s[0:3], 0 offen
	buffer_load_dword v2, v0, s[0:3], 0 offen offset:4
	buffer_load_dword v3, off, s[0:3], 0 offset:184
	buffer_load_dword v4, off, s[0:3], 0 offset:188
	s_waitcnt vmcnt(3)
	buffer_store_dword v1, off, s[0:3], 0 offset:184
	s_waitcnt vmcnt(3)
	buffer_store_dword v2, off, s[0:3], 0 offset:188
	s_waitcnt vmcnt(3)
	buffer_store_dword v3, v0, s[0:3], 0 offen
	s_waitcnt vmcnt(3)
	buffer_store_dword v4, v0, s[0:3], 0 offen offset:4
.LBB116_390:
	s_or_b64 exec, exec, s[4:5]
	v_pk_mov_b32 v[0:1], s[10:11], s[10:11] op_sel:[0,1]
	flat_load_dword v0, v[0:1] offset:88
	s_waitcnt vmcnt(0) lgkmcnt(0)
	v_add_u32_e32 v0, -1, v0
	v_cmp_ne_u32_e32 vcc, 22, v0
	s_and_saveexec_b64 s[4:5], vcc
	s_cbranch_execz .LBB116_392
; %bb.391:
	v_mov_b32_e32 v1, 0
	v_lshl_add_u32 v0, v0, 3, v1
	buffer_load_dword v1, v0, s[0:3], 0 offen
	buffer_load_dword v2, v0, s[0:3], 0 offen offset:4
	buffer_load_dword v3, off, s[0:3], 0 offset:180
	buffer_load_dword v4, off, s[0:3], 0 offset:176
	s_waitcnt vmcnt(3)
	buffer_store_dword v1, off, s[0:3], 0 offset:176
	s_waitcnt vmcnt(3)
	buffer_store_dword v2, off, s[0:3], 0 offset:180
	s_waitcnt vmcnt(3)
	buffer_store_dword v3, v0, s[0:3], 0 offen offset:4
	s_waitcnt vmcnt(3)
	buffer_store_dword v4, v0, s[0:3], 0 offen
.LBB116_392:
	s_or_b64 exec, exec, s[4:5]
	v_pk_mov_b32 v[0:1], s[10:11], s[10:11] op_sel:[0,1]
	flat_load_dword v0, v[0:1] offset:84
	s_waitcnt vmcnt(0) lgkmcnt(0)
	v_add_u32_e32 v0, -1, v0
	v_cmp_ne_u32_e32 vcc, 21, v0
	s_and_saveexec_b64 s[4:5], vcc
	s_cbranch_execz .LBB116_394
; %bb.393:
	v_mov_b32_e32 v1, 0
	v_lshl_add_u32 v0, v0, 3, v1
	buffer_load_dword v1, v0, s[0:3], 0 offen
	buffer_load_dword v2, v0, s[0:3], 0 offen offset:4
	buffer_load_dword v3, off, s[0:3], 0 offset:168
	buffer_load_dword v4, off, s[0:3], 0 offset:172
	s_waitcnt vmcnt(3)
	buffer_store_dword v1, off, s[0:3], 0 offset:168
	s_waitcnt vmcnt(3)
	buffer_store_dword v2, off, s[0:3], 0 offset:172
	s_waitcnt vmcnt(3)
	buffer_store_dword v3, v0, s[0:3], 0 offen
	s_waitcnt vmcnt(3)
	buffer_store_dword v4, v0, s[0:3], 0 offen offset:4
.LBB116_394:
	s_or_b64 exec, exec, s[4:5]
	v_pk_mov_b32 v[0:1], s[10:11], s[10:11] op_sel:[0,1]
	flat_load_dword v0, v[0:1] offset:80
	s_waitcnt vmcnt(0) lgkmcnt(0)
	v_add_u32_e32 v0, -1, v0
	v_cmp_ne_u32_e32 vcc, 20, v0
	s_and_saveexec_b64 s[4:5], vcc
	s_cbranch_execz .LBB116_396
; %bb.395:
	v_mov_b32_e32 v1, 0
	v_lshl_add_u32 v0, v0, 3, v1
	buffer_load_dword v1, v0, s[0:3], 0 offen
	buffer_load_dword v2, v0, s[0:3], 0 offen offset:4
	buffer_load_dword v3, off, s[0:3], 0 offset:164
	buffer_load_dword v4, off, s[0:3], 0 offset:160
	s_waitcnt vmcnt(3)
	buffer_store_dword v1, off, s[0:3], 0 offset:160
	s_waitcnt vmcnt(3)
	buffer_store_dword v2, off, s[0:3], 0 offset:164
	s_waitcnt vmcnt(3)
	buffer_store_dword v3, v0, s[0:3], 0 offen offset:4
	s_waitcnt vmcnt(3)
	buffer_store_dword v4, v0, s[0:3], 0 offen
.LBB116_396:
	s_or_b64 exec, exec, s[4:5]
	v_pk_mov_b32 v[0:1], s[10:11], s[10:11] op_sel:[0,1]
	flat_load_dword v0, v[0:1] offset:76
	s_waitcnt vmcnt(0) lgkmcnt(0)
	v_add_u32_e32 v0, -1, v0
	v_cmp_ne_u32_e32 vcc, 19, v0
	s_and_saveexec_b64 s[4:5], vcc
	s_cbranch_execz .LBB116_398
; %bb.397:
	v_mov_b32_e32 v1, 0
	v_lshl_add_u32 v0, v0, 3, v1
	buffer_load_dword v1, v0, s[0:3], 0 offen
	buffer_load_dword v2, v0, s[0:3], 0 offen offset:4
	buffer_load_dword v3, off, s[0:3], 0 offset:152
	buffer_load_dword v4, off, s[0:3], 0 offset:156
	s_waitcnt vmcnt(3)
	buffer_store_dword v1, off, s[0:3], 0 offset:152
	s_waitcnt vmcnt(3)
	buffer_store_dword v2, off, s[0:3], 0 offset:156
	s_waitcnt vmcnt(3)
	buffer_store_dword v3, v0, s[0:3], 0 offen
	s_waitcnt vmcnt(3)
	buffer_store_dword v4, v0, s[0:3], 0 offen offset:4
.LBB116_398:
	s_or_b64 exec, exec, s[4:5]
	v_pk_mov_b32 v[0:1], s[10:11], s[10:11] op_sel:[0,1]
	flat_load_dword v0, v[0:1] offset:72
	s_waitcnt vmcnt(0) lgkmcnt(0)
	v_add_u32_e32 v0, -1, v0
	v_cmp_ne_u32_e32 vcc, 18, v0
	s_and_saveexec_b64 s[4:5], vcc
	s_cbranch_execz .LBB116_400
; %bb.399:
	v_mov_b32_e32 v1, 0
	v_lshl_add_u32 v0, v0, 3, v1
	buffer_load_dword v1, v0, s[0:3], 0 offen
	buffer_load_dword v2, v0, s[0:3], 0 offen offset:4
	buffer_load_dword v3, off, s[0:3], 0 offset:148
	buffer_load_dword v4, off, s[0:3], 0 offset:144
	s_waitcnt vmcnt(3)
	buffer_store_dword v1, off, s[0:3], 0 offset:144
	s_waitcnt vmcnt(3)
	buffer_store_dword v2, off, s[0:3], 0 offset:148
	s_waitcnt vmcnt(3)
	buffer_store_dword v3, v0, s[0:3], 0 offen offset:4
	s_waitcnt vmcnt(3)
	buffer_store_dword v4, v0, s[0:3], 0 offen
.LBB116_400:
	s_or_b64 exec, exec, s[4:5]
	v_pk_mov_b32 v[0:1], s[10:11], s[10:11] op_sel:[0,1]
	flat_load_dword v0, v[0:1] offset:68
	s_waitcnt vmcnt(0) lgkmcnt(0)
	v_add_u32_e32 v0, -1, v0
	v_cmp_ne_u32_e32 vcc, 17, v0
	s_and_saveexec_b64 s[4:5], vcc
	s_cbranch_execz .LBB116_402
; %bb.401:
	v_mov_b32_e32 v1, 0
	v_lshl_add_u32 v0, v0, 3, v1
	buffer_load_dword v1, v0, s[0:3], 0 offen
	buffer_load_dword v2, v0, s[0:3], 0 offen offset:4
	buffer_load_dword v3, off, s[0:3], 0 offset:136
	buffer_load_dword v4, off, s[0:3], 0 offset:140
	s_waitcnt vmcnt(3)
	buffer_store_dword v1, off, s[0:3], 0 offset:136
	s_waitcnt vmcnt(3)
	buffer_store_dword v2, off, s[0:3], 0 offset:140
	s_waitcnt vmcnt(3)
	buffer_store_dword v3, v0, s[0:3], 0 offen
	s_waitcnt vmcnt(3)
	buffer_store_dword v4, v0, s[0:3], 0 offen offset:4
.LBB116_402:
	s_or_b64 exec, exec, s[4:5]
	v_pk_mov_b32 v[0:1], s[10:11], s[10:11] op_sel:[0,1]
	flat_load_dword v0, v[0:1] offset:64
	s_waitcnt vmcnt(0) lgkmcnt(0)
	v_add_u32_e32 v0, -1, v0
	v_cmp_ne_u32_e32 vcc, 16, v0
	s_and_saveexec_b64 s[4:5], vcc
	s_cbranch_execz .LBB116_404
; %bb.403:
	v_mov_b32_e32 v1, 0
	v_lshl_add_u32 v0, v0, 3, v1
	buffer_load_dword v1, v0, s[0:3], 0 offen
	buffer_load_dword v2, v0, s[0:3], 0 offen offset:4
	buffer_load_dword v3, off, s[0:3], 0 offset:132
	buffer_load_dword v4, off, s[0:3], 0 offset:128
	s_waitcnt vmcnt(3)
	buffer_store_dword v1, off, s[0:3], 0 offset:128
	s_waitcnt vmcnt(3)
	buffer_store_dword v2, off, s[0:3], 0 offset:132
	s_waitcnt vmcnt(3)
	buffer_store_dword v3, v0, s[0:3], 0 offen offset:4
	s_waitcnt vmcnt(3)
	buffer_store_dword v4, v0, s[0:3], 0 offen
.LBB116_404:
	s_or_b64 exec, exec, s[4:5]
	v_pk_mov_b32 v[0:1], s[10:11], s[10:11] op_sel:[0,1]
	flat_load_dword v0, v[0:1] offset:60
	s_waitcnt vmcnt(0) lgkmcnt(0)
	v_add_u32_e32 v0, -1, v0
	v_cmp_ne_u32_e32 vcc, 15, v0
	s_and_saveexec_b64 s[4:5], vcc
	s_cbranch_execz .LBB116_406
; %bb.405:
	v_mov_b32_e32 v1, 0
	v_lshl_add_u32 v0, v0, 3, v1
	buffer_load_dword v1, v0, s[0:3], 0 offen
	buffer_load_dword v2, v0, s[0:3], 0 offen offset:4
	buffer_load_dword v3, off, s[0:3], 0 offset:120
	buffer_load_dword v4, off, s[0:3], 0 offset:124
	s_waitcnt vmcnt(3)
	buffer_store_dword v1, off, s[0:3], 0 offset:120
	s_waitcnt vmcnt(3)
	buffer_store_dword v2, off, s[0:3], 0 offset:124
	s_waitcnt vmcnt(3)
	buffer_store_dword v3, v0, s[0:3], 0 offen
	s_waitcnt vmcnt(3)
	buffer_store_dword v4, v0, s[0:3], 0 offen offset:4
.LBB116_406:
	s_or_b64 exec, exec, s[4:5]
	v_pk_mov_b32 v[0:1], s[10:11], s[10:11] op_sel:[0,1]
	flat_load_dword v0, v[0:1] offset:56
	s_waitcnt vmcnt(0) lgkmcnt(0)
	v_add_u32_e32 v0, -1, v0
	v_cmp_ne_u32_e32 vcc, 14, v0
	s_and_saveexec_b64 s[4:5], vcc
	s_cbranch_execz .LBB116_408
; %bb.407:
	v_mov_b32_e32 v1, 0
	v_lshl_add_u32 v0, v0, 3, v1
	buffer_load_dword v1, v0, s[0:3], 0 offen
	buffer_load_dword v2, v0, s[0:3], 0 offen offset:4
	buffer_load_dword v3, off, s[0:3], 0 offset:116
	buffer_load_dword v4, off, s[0:3], 0 offset:112
	s_waitcnt vmcnt(3)
	buffer_store_dword v1, off, s[0:3], 0 offset:112
	s_waitcnt vmcnt(3)
	buffer_store_dword v2, off, s[0:3], 0 offset:116
	s_waitcnt vmcnt(3)
	buffer_store_dword v3, v0, s[0:3], 0 offen offset:4
	s_waitcnt vmcnt(3)
	buffer_store_dword v4, v0, s[0:3], 0 offen
.LBB116_408:
	s_or_b64 exec, exec, s[4:5]
	v_pk_mov_b32 v[0:1], s[10:11], s[10:11] op_sel:[0,1]
	flat_load_dword v0, v[0:1] offset:52
	s_waitcnt vmcnt(0) lgkmcnt(0)
	v_add_u32_e32 v0, -1, v0
	v_cmp_ne_u32_e32 vcc, 13, v0
	s_and_saveexec_b64 s[4:5], vcc
	s_cbranch_execz .LBB116_410
; %bb.409:
	v_mov_b32_e32 v1, 0
	v_lshl_add_u32 v0, v0, 3, v1
	buffer_load_dword v1, v0, s[0:3], 0 offen
	buffer_load_dword v2, v0, s[0:3], 0 offen offset:4
	buffer_load_dword v3, off, s[0:3], 0 offset:104
	buffer_load_dword v4, off, s[0:3], 0 offset:108
	s_waitcnt vmcnt(3)
	buffer_store_dword v1, off, s[0:3], 0 offset:104
	s_waitcnt vmcnt(3)
	buffer_store_dword v2, off, s[0:3], 0 offset:108
	s_waitcnt vmcnt(3)
	buffer_store_dword v3, v0, s[0:3], 0 offen
	s_waitcnt vmcnt(3)
	buffer_store_dword v4, v0, s[0:3], 0 offen offset:4
.LBB116_410:
	s_or_b64 exec, exec, s[4:5]
	v_pk_mov_b32 v[0:1], s[10:11], s[10:11] op_sel:[0,1]
	flat_load_dword v0, v[0:1] offset:48
	s_waitcnt vmcnt(0) lgkmcnt(0)
	v_add_u32_e32 v0, -1, v0
	v_cmp_ne_u32_e32 vcc, 12, v0
	s_and_saveexec_b64 s[4:5], vcc
	s_cbranch_execz .LBB116_412
; %bb.411:
	v_mov_b32_e32 v1, 0
	v_lshl_add_u32 v0, v0, 3, v1
	buffer_load_dword v1, v0, s[0:3], 0 offen
	buffer_load_dword v2, v0, s[0:3], 0 offen offset:4
	buffer_load_dword v3, off, s[0:3], 0 offset:100
	buffer_load_dword v4, off, s[0:3], 0 offset:96
	s_waitcnt vmcnt(3)
	buffer_store_dword v1, off, s[0:3], 0 offset:96
	s_waitcnt vmcnt(3)
	buffer_store_dword v2, off, s[0:3], 0 offset:100
	s_waitcnt vmcnt(3)
	buffer_store_dword v3, v0, s[0:3], 0 offen offset:4
	s_waitcnt vmcnt(3)
	buffer_store_dword v4, v0, s[0:3], 0 offen
.LBB116_412:
	s_or_b64 exec, exec, s[4:5]
	v_pk_mov_b32 v[0:1], s[10:11], s[10:11] op_sel:[0,1]
	flat_load_dword v0, v[0:1] offset:44
	s_waitcnt vmcnt(0) lgkmcnt(0)
	v_add_u32_e32 v0, -1, v0
	v_cmp_ne_u32_e32 vcc, 11, v0
	s_and_saveexec_b64 s[4:5], vcc
	s_cbranch_execz .LBB116_414
; %bb.413:
	v_mov_b32_e32 v1, 0
	v_lshl_add_u32 v0, v0, 3, v1
	buffer_load_dword v1, v0, s[0:3], 0 offen
	buffer_load_dword v2, v0, s[0:3], 0 offen offset:4
	buffer_load_dword v3, off, s[0:3], 0 offset:88
	buffer_load_dword v4, off, s[0:3], 0 offset:92
	s_waitcnt vmcnt(3)
	buffer_store_dword v1, off, s[0:3], 0 offset:88
	s_waitcnt vmcnt(3)
	buffer_store_dword v2, off, s[0:3], 0 offset:92
	s_waitcnt vmcnt(3)
	buffer_store_dword v3, v0, s[0:3], 0 offen
	s_waitcnt vmcnt(3)
	buffer_store_dword v4, v0, s[0:3], 0 offen offset:4
.LBB116_414:
	s_or_b64 exec, exec, s[4:5]
	v_pk_mov_b32 v[0:1], s[10:11], s[10:11] op_sel:[0,1]
	flat_load_dword v0, v[0:1] offset:40
	s_waitcnt vmcnt(0) lgkmcnt(0)
	v_add_u32_e32 v0, -1, v0
	v_cmp_ne_u32_e32 vcc, 10, v0
	s_and_saveexec_b64 s[4:5], vcc
	s_cbranch_execz .LBB116_416
; %bb.415:
	v_mov_b32_e32 v1, 0
	v_lshl_add_u32 v0, v0, 3, v1
	buffer_load_dword v1, v0, s[0:3], 0 offen
	buffer_load_dword v2, v0, s[0:3], 0 offen offset:4
	buffer_load_dword v3, off, s[0:3], 0 offset:84
	buffer_load_dword v4, off, s[0:3], 0 offset:80
	s_waitcnt vmcnt(3)
	buffer_store_dword v1, off, s[0:3], 0 offset:80
	s_waitcnt vmcnt(3)
	buffer_store_dword v2, off, s[0:3], 0 offset:84
	s_waitcnt vmcnt(3)
	buffer_store_dword v3, v0, s[0:3], 0 offen offset:4
	s_waitcnt vmcnt(3)
	buffer_store_dword v4, v0, s[0:3], 0 offen
.LBB116_416:
	s_or_b64 exec, exec, s[4:5]
	v_pk_mov_b32 v[0:1], s[10:11], s[10:11] op_sel:[0,1]
	flat_load_dword v0, v[0:1] offset:36
	s_waitcnt vmcnt(0) lgkmcnt(0)
	v_add_u32_e32 v0, -1, v0
	v_cmp_ne_u32_e32 vcc, 9, v0
	s_and_saveexec_b64 s[4:5], vcc
	s_cbranch_execz .LBB116_418
; %bb.417:
	v_mov_b32_e32 v1, 0
	v_lshl_add_u32 v0, v0, 3, v1
	buffer_load_dword v1, v0, s[0:3], 0 offen
	buffer_load_dword v2, v0, s[0:3], 0 offen offset:4
	buffer_load_dword v3, off, s[0:3], 0 offset:72
	buffer_load_dword v4, off, s[0:3], 0 offset:76
	s_waitcnt vmcnt(3)
	buffer_store_dword v1, off, s[0:3], 0 offset:72
	s_waitcnt vmcnt(3)
	buffer_store_dword v2, off, s[0:3], 0 offset:76
	s_waitcnt vmcnt(3)
	buffer_store_dword v3, v0, s[0:3], 0 offen
	s_waitcnt vmcnt(3)
	buffer_store_dword v4, v0, s[0:3], 0 offen offset:4
.LBB116_418:
	s_or_b64 exec, exec, s[4:5]
	v_pk_mov_b32 v[0:1], s[10:11], s[10:11] op_sel:[0,1]
	flat_load_dword v0, v[0:1] offset:32
	s_waitcnt vmcnt(0) lgkmcnt(0)
	v_add_u32_e32 v0, -1, v0
	v_cmp_ne_u32_e32 vcc, 8, v0
	s_and_saveexec_b64 s[4:5], vcc
	s_cbranch_execz .LBB116_420
; %bb.419:
	v_mov_b32_e32 v1, 0
	v_lshl_add_u32 v0, v0, 3, v1
	buffer_load_dword v1, v0, s[0:3], 0 offen
	buffer_load_dword v2, v0, s[0:3], 0 offen offset:4
	buffer_load_dword v3, off, s[0:3], 0 offset:68
	buffer_load_dword v4, off, s[0:3], 0 offset:64
	s_waitcnt vmcnt(3)
	buffer_store_dword v1, off, s[0:3], 0 offset:64
	s_waitcnt vmcnt(3)
	buffer_store_dword v2, off, s[0:3], 0 offset:68
	s_waitcnt vmcnt(3)
	buffer_store_dword v3, v0, s[0:3], 0 offen offset:4
	s_waitcnt vmcnt(3)
	buffer_store_dword v4, v0, s[0:3], 0 offen
.LBB116_420:
	s_or_b64 exec, exec, s[4:5]
	v_pk_mov_b32 v[0:1], s[10:11], s[10:11] op_sel:[0,1]
	flat_load_dword v0, v[0:1] offset:28
	s_waitcnt vmcnt(0) lgkmcnt(0)
	v_add_u32_e32 v0, -1, v0
	v_cmp_ne_u32_e32 vcc, 7, v0
	s_and_saveexec_b64 s[4:5], vcc
	s_cbranch_execz .LBB116_422
; %bb.421:
	v_mov_b32_e32 v1, 0
	v_lshl_add_u32 v0, v0, 3, v1
	buffer_load_dword v1, v0, s[0:3], 0 offen
	buffer_load_dword v2, v0, s[0:3], 0 offen offset:4
	buffer_load_dword v3, off, s[0:3], 0 offset:56
	buffer_load_dword v4, off, s[0:3], 0 offset:60
	s_waitcnt vmcnt(3)
	buffer_store_dword v1, off, s[0:3], 0 offset:56
	s_waitcnt vmcnt(3)
	buffer_store_dword v2, off, s[0:3], 0 offset:60
	s_waitcnt vmcnt(3)
	buffer_store_dword v3, v0, s[0:3], 0 offen
	s_waitcnt vmcnt(3)
	buffer_store_dword v4, v0, s[0:3], 0 offen offset:4
.LBB116_422:
	s_or_b64 exec, exec, s[4:5]
	v_pk_mov_b32 v[0:1], s[10:11], s[10:11] op_sel:[0,1]
	flat_load_dword v0, v[0:1] offset:24
	s_waitcnt vmcnt(0) lgkmcnt(0)
	v_add_u32_e32 v0, -1, v0
	v_cmp_ne_u32_e32 vcc, 6, v0
	s_and_saveexec_b64 s[4:5], vcc
	s_cbranch_execz .LBB116_424
; %bb.423:
	v_mov_b32_e32 v1, 0
	v_lshl_add_u32 v0, v0, 3, v1
	buffer_load_dword v1, v0, s[0:3], 0 offen
	buffer_load_dword v2, v0, s[0:3], 0 offen offset:4
	buffer_load_dword v3, off, s[0:3], 0 offset:52
	buffer_load_dword v4, off, s[0:3], 0 offset:48
	s_waitcnt vmcnt(3)
	buffer_store_dword v1, off, s[0:3], 0 offset:48
	s_waitcnt vmcnt(3)
	buffer_store_dword v2, off, s[0:3], 0 offset:52
	s_waitcnt vmcnt(3)
	buffer_store_dword v3, v0, s[0:3], 0 offen offset:4
	s_waitcnt vmcnt(3)
	buffer_store_dword v4, v0, s[0:3], 0 offen
.LBB116_424:
	s_or_b64 exec, exec, s[4:5]
	v_pk_mov_b32 v[0:1], s[10:11], s[10:11] op_sel:[0,1]
	flat_load_dword v0, v[0:1] offset:20
	s_waitcnt vmcnt(0) lgkmcnt(0)
	v_add_u32_e32 v0, -1, v0
	v_cmp_ne_u32_e32 vcc, 5, v0
	s_and_saveexec_b64 s[4:5], vcc
	s_cbranch_execz .LBB116_426
; %bb.425:
	v_mov_b32_e32 v1, 0
	v_lshl_add_u32 v0, v0, 3, v1
	buffer_load_dword v1, v0, s[0:3], 0 offen
	buffer_load_dword v2, v0, s[0:3], 0 offen offset:4
	buffer_load_dword v3, off, s[0:3], 0 offset:40
	buffer_load_dword v4, off, s[0:3], 0 offset:44
	s_waitcnt vmcnt(3)
	buffer_store_dword v1, off, s[0:3], 0 offset:40
	s_waitcnt vmcnt(3)
	buffer_store_dword v2, off, s[0:3], 0 offset:44
	s_waitcnt vmcnt(3)
	buffer_store_dword v3, v0, s[0:3], 0 offen
	s_waitcnt vmcnt(3)
	buffer_store_dword v4, v0, s[0:3], 0 offen offset:4
.LBB116_426:
	s_or_b64 exec, exec, s[4:5]
	v_pk_mov_b32 v[0:1], s[10:11], s[10:11] op_sel:[0,1]
	flat_load_dword v0, v[0:1] offset:16
	s_waitcnt vmcnt(0) lgkmcnt(0)
	v_add_u32_e32 v0, -1, v0
	v_cmp_ne_u32_e32 vcc, 4, v0
	s_and_saveexec_b64 s[4:5], vcc
	s_cbranch_execz .LBB116_428
; %bb.427:
	v_mov_b32_e32 v1, 0
	v_lshl_add_u32 v0, v0, 3, v1
	buffer_load_dword v1, v0, s[0:3], 0 offen
	buffer_load_dword v2, v0, s[0:3], 0 offen offset:4
	buffer_load_dword v3, off, s[0:3], 0 offset:36
	buffer_load_dword v4, off, s[0:3], 0 offset:32
	s_waitcnt vmcnt(3)
	buffer_store_dword v1, off, s[0:3], 0 offset:32
	s_waitcnt vmcnt(3)
	buffer_store_dword v2, off, s[0:3], 0 offset:36
	s_waitcnt vmcnt(3)
	buffer_store_dword v3, v0, s[0:3], 0 offen offset:4
	s_waitcnt vmcnt(3)
	buffer_store_dword v4, v0, s[0:3], 0 offen
.LBB116_428:
	s_or_b64 exec, exec, s[4:5]
	v_pk_mov_b32 v[0:1], s[10:11], s[10:11] op_sel:[0,1]
	flat_load_dword v0, v[0:1] offset:12
	s_waitcnt vmcnt(0) lgkmcnt(0)
	v_add_u32_e32 v0, -1, v0
	v_cmp_ne_u32_e32 vcc, 3, v0
	s_and_saveexec_b64 s[4:5], vcc
	s_cbranch_execz .LBB116_430
; %bb.429:
	v_mov_b32_e32 v1, 0
	v_lshl_add_u32 v0, v0, 3, v1
	buffer_load_dword v1, v0, s[0:3], 0 offen
	buffer_load_dword v2, v0, s[0:3], 0 offen offset:4
	buffer_load_dword v3, off, s[0:3], 0 offset:24
	buffer_load_dword v4, off, s[0:3], 0 offset:28
	s_waitcnt vmcnt(3)
	buffer_store_dword v1, off, s[0:3], 0 offset:24
	s_waitcnt vmcnt(3)
	buffer_store_dword v2, off, s[0:3], 0 offset:28
	s_waitcnt vmcnt(3)
	buffer_store_dword v3, v0, s[0:3], 0 offen
	s_waitcnt vmcnt(3)
	buffer_store_dword v4, v0, s[0:3], 0 offen offset:4
.LBB116_430:
	s_or_b64 exec, exec, s[4:5]
	v_pk_mov_b32 v[0:1], s[10:11], s[10:11] op_sel:[0,1]
	flat_load_dword v0, v[0:1] offset:8
	s_waitcnt vmcnt(0) lgkmcnt(0)
	v_add_u32_e32 v0, -1, v0
	v_cmp_ne_u32_e32 vcc, 2, v0
	s_and_saveexec_b64 s[4:5], vcc
	s_cbranch_execz .LBB116_432
; %bb.431:
	v_mov_b32_e32 v1, 0
	v_lshl_add_u32 v0, v0, 3, v1
	buffer_load_dword v1, v0, s[0:3], 0 offen
	buffer_load_dword v2, v0, s[0:3], 0 offen offset:4
	buffer_load_dword v3, off, s[0:3], 0 offset:20
	buffer_load_dword v4, off, s[0:3], 0 offset:16
	s_waitcnt vmcnt(3)
	buffer_store_dword v1, off, s[0:3], 0 offset:16
	s_waitcnt vmcnt(3)
	buffer_store_dword v2, off, s[0:3], 0 offset:20
	s_waitcnt vmcnt(3)
	buffer_store_dword v3, v0, s[0:3], 0 offen offset:4
	s_waitcnt vmcnt(3)
	buffer_store_dword v4, v0, s[0:3], 0 offen
.LBB116_432:
	s_or_b64 exec, exec, s[4:5]
	v_pk_mov_b32 v[0:1], s[10:11], s[10:11] op_sel:[0,1]
	flat_load_dword v0, v[0:1] offset:4
	s_waitcnt vmcnt(0) lgkmcnt(0)
	v_add_u32_e32 v0, -1, v0
	v_cmp_ne_u32_e32 vcc, 1, v0
	s_and_saveexec_b64 s[4:5], vcc
	s_cbranch_execz .LBB116_434
; %bb.433:
	v_mov_b32_e32 v1, 0
	v_lshl_add_u32 v0, v0, 3, v1
	buffer_load_dword v1, v0, s[0:3], 0 offen
	buffer_load_dword v2, v0, s[0:3], 0 offen offset:4
	buffer_load_dword v3, off, s[0:3], 0 offset:8
	buffer_load_dword v4, off, s[0:3], 0 offset:12
	s_waitcnt vmcnt(3)
	buffer_store_dword v1, off, s[0:3], 0 offset:8
	s_waitcnt vmcnt(3)
	buffer_store_dword v2, off, s[0:3], 0 offset:12
	s_waitcnt vmcnt(3)
	buffer_store_dword v3, v0, s[0:3], 0 offen
	s_waitcnt vmcnt(3)
	buffer_store_dword v4, v0, s[0:3], 0 offen offset:4
.LBB116_434:
	s_or_b64 exec, exec, s[4:5]
	v_pk_mov_b32 v[0:1], s[10:11], s[10:11] op_sel:[0,1]
	flat_load_dword v2, v[0:1]
	s_nop 0
	buffer_load_dword v0, off, s[0:3], 0
	buffer_load_dword v1, off, s[0:3], 0 offset:4
	s_waitcnt vmcnt(0) lgkmcnt(0)
	v_add_u32_e32 v2, -1, v2
	v_cmp_ne_u32_e32 vcc, 0, v2
	s_and_saveexec_b64 s[4:5], vcc
	s_cbranch_execz .LBB116_436
; %bb.435:
	v_mov_b32_e32 v3, 0
	v_lshl_add_u32 v2, v2, 3, v3
	buffer_load_dword v3, v2, s[0:3], 0 offen offset:4
	buffer_load_dword v4, v2, s[0:3], 0 offen
	s_waitcnt vmcnt(1)
	buffer_store_dword v3, off, s[0:3], 0 offset:4
	s_waitcnt vmcnt(1)
	buffer_store_dword v4, off, s[0:3], 0
	buffer_store_dword v1, v2, s[0:3], 0 offen offset:4
	buffer_store_dword v0, v2, s[0:3], 0 offen
	buffer_load_dword v0, off, s[0:3], 0
	s_nop 0
	buffer_load_dword v1, off, s[0:3], 0 offset:4
.LBB116_436:
	s_or_b64 exec, exec, s[4:5]
.LBB116_437:
	buffer_load_dword v2, off, s[0:3], 0 offset:8
	buffer_load_dword v3, off, s[0:3], 0 offset:12
	;; [unrolled: 1-line block ×104, first 2 shown]
	s_waitcnt vmcnt(62)
	global_store_dwordx2 v[180:181], v[0:1], off
	global_store_dwordx2 v[184:185], v[2:3], off
	v_accvgpr_read_b32 v0, a0
	v_accvgpr_read_b32 v1, a1
	global_store_dwordx2 v[0:1], v[4:5], off
	v_accvgpr_read_b32 v0, a2
	v_accvgpr_read_b32 v1, a3
	;; [unrolled: 3-line block ×21, first 2 shown]
	s_waitcnt vmcnt(62)
	global_store_dwordx2 v[0:1], v[44:45], off
	v_accvgpr_read_b32 v0, a42
	v_accvgpr_read_b32 v1, a43
	global_store_dwordx2 v[0:1], v[46:47], off
	v_accvgpr_read_b32 v0, a44
	v_accvgpr_read_b32 v1, a45
	;; [unrolled: 3-line block ×3, first 2 shown]
	global_store_dwordx2 v[0:1], v[50:51], off
	global_store_dwordx2 v[134:135], v[52:53], off
	;; [unrolled: 1-line block ×8, first 2 shown]
	s_waitcnt vmcnt(62)
	global_store_dwordx2 v[148:149], v[66:67], off
	global_store_dwordx2 v[150:151], v[68:69], off
	;; [unrolled: 1-line block ×5, first 2 shown]
	s_waitcnt vmcnt(62)
	global_store_dwordx2 v[158:159], v[76:77], off
	global_store_dwordx2 v[160:161], v[78:79], off
	;; [unrolled: 1-line block ×3, first 2 shown]
	s_waitcnt vmcnt(62)
	global_store_dwordx2 v[164:165], v[82:83], off
	s_waitcnt vmcnt(62)
	global_store_dwordx2 v[166:167], v[84:85], off
	;; [unrolled: 2-line block ×12, first 2 shown]
	s_endpgm
	.section	.rodata,"a",@progbits
	.p2align	6, 0x0
	.amdhsa_kernel _ZN9rocsolver6v33100L18getri_kernel_smallILi53E19rocblas_complex_numIfEPKPS3_EEvT1_iilPiilS8_bb
		.amdhsa_group_segment_fixed_size 856
		.amdhsa_private_segment_fixed_size 432
		.amdhsa_kernarg_size 60
		.amdhsa_user_sgpr_count 8
		.amdhsa_user_sgpr_private_segment_buffer 1
		.amdhsa_user_sgpr_dispatch_ptr 0
		.amdhsa_user_sgpr_queue_ptr 0
		.amdhsa_user_sgpr_kernarg_segment_ptr 1
		.amdhsa_user_sgpr_dispatch_id 0
		.amdhsa_user_sgpr_flat_scratch_init 1
		.amdhsa_user_sgpr_kernarg_preload_length 0
		.amdhsa_user_sgpr_kernarg_preload_offset 0
		.amdhsa_user_sgpr_private_segment_size 0
		.amdhsa_uses_dynamic_stack 0
		.amdhsa_system_sgpr_private_segment_wavefront_offset 1
		.amdhsa_system_sgpr_workgroup_id_x 1
		.amdhsa_system_sgpr_workgroup_id_y 0
		.amdhsa_system_sgpr_workgroup_id_z 0
		.amdhsa_system_sgpr_workgroup_info 0
		.amdhsa_system_vgpr_workitem_id 0
		.amdhsa_next_free_vgpr 305
		.amdhsa_next_free_sgpr 22
		.amdhsa_accum_offset 256
		.amdhsa_reserve_vcc 1
		.amdhsa_reserve_flat_scratch 1
		.amdhsa_float_round_mode_32 0
		.amdhsa_float_round_mode_16_64 0
		.amdhsa_float_denorm_mode_32 3
		.amdhsa_float_denorm_mode_16_64 3
		.amdhsa_dx10_clamp 1
		.amdhsa_ieee_mode 1
		.amdhsa_fp16_overflow 0
		.amdhsa_tg_split 0
		.amdhsa_exception_fp_ieee_invalid_op 0
		.amdhsa_exception_fp_denorm_src 0
		.amdhsa_exception_fp_ieee_div_zero 0
		.amdhsa_exception_fp_ieee_overflow 0
		.amdhsa_exception_fp_ieee_underflow 0
		.amdhsa_exception_fp_ieee_inexact 0
		.amdhsa_exception_int_div_zero 0
	.end_amdhsa_kernel
	.section	.text._ZN9rocsolver6v33100L18getri_kernel_smallILi53E19rocblas_complex_numIfEPKPS3_EEvT1_iilPiilS8_bb,"axG",@progbits,_ZN9rocsolver6v33100L18getri_kernel_smallILi53E19rocblas_complex_numIfEPKPS3_EEvT1_iilPiilS8_bb,comdat
.Lfunc_end116:
	.size	_ZN9rocsolver6v33100L18getri_kernel_smallILi53E19rocblas_complex_numIfEPKPS3_EEvT1_iilPiilS8_bb, .Lfunc_end116-_ZN9rocsolver6v33100L18getri_kernel_smallILi53E19rocblas_complex_numIfEPKPS3_EEvT1_iilPiilS8_bb
                                        ; -- End function
	.section	.AMDGPU.csdata,"",@progbits
; Kernel info:
; codeLenInByte = 109368
; NumSgprs: 28
; NumVgprs: 256
; NumAgprs: 49
; TotalNumVgprs: 305
; ScratchSize: 432
; MemoryBound: 0
; FloatMode: 240
; IeeeMode: 1
; LDSByteSize: 856 bytes/workgroup (compile time only)
; SGPRBlocks: 3
; VGPRBlocks: 38
; NumSGPRsForWavesPerEU: 28
; NumVGPRsForWavesPerEU: 305
; AccumOffset: 256
; Occupancy: 1
; WaveLimiterHint : 1
; COMPUTE_PGM_RSRC2:SCRATCH_EN: 1
; COMPUTE_PGM_RSRC2:USER_SGPR: 8
; COMPUTE_PGM_RSRC2:TRAP_HANDLER: 0
; COMPUTE_PGM_RSRC2:TGID_X_EN: 1
; COMPUTE_PGM_RSRC2:TGID_Y_EN: 0
; COMPUTE_PGM_RSRC2:TGID_Z_EN: 0
; COMPUTE_PGM_RSRC2:TIDIG_COMP_CNT: 0
; COMPUTE_PGM_RSRC3_GFX90A:ACCUM_OFFSET: 63
; COMPUTE_PGM_RSRC3_GFX90A:TG_SPLIT: 0
	.section	.text._ZN9rocsolver6v33100L18getri_kernel_smallILi54E19rocblas_complex_numIfEPKPS3_EEvT1_iilPiilS8_bb,"axG",@progbits,_ZN9rocsolver6v33100L18getri_kernel_smallILi54E19rocblas_complex_numIfEPKPS3_EEvT1_iilPiilS8_bb,comdat
	.globl	_ZN9rocsolver6v33100L18getri_kernel_smallILi54E19rocblas_complex_numIfEPKPS3_EEvT1_iilPiilS8_bb ; -- Begin function _ZN9rocsolver6v33100L18getri_kernel_smallILi54E19rocblas_complex_numIfEPKPS3_EEvT1_iilPiilS8_bb
	.p2align	8
	.type	_ZN9rocsolver6v33100L18getri_kernel_smallILi54E19rocblas_complex_numIfEPKPS3_EEvT1_iilPiilS8_bb,@function
_ZN9rocsolver6v33100L18getri_kernel_smallILi54E19rocblas_complex_numIfEPKPS3_EEvT1_iilPiilS8_bb: ; @_ZN9rocsolver6v33100L18getri_kernel_smallILi54E19rocblas_complex_numIfEPKPS3_EEvT1_iilPiilS8_bb
; %bb.0:
	s_add_u32 flat_scratch_lo, s6, s9
	s_addc_u32 flat_scratch_hi, s7, 0
	s_add_u32 s0, s0, s9
	s_addc_u32 s1, s1, 0
	v_cmp_gt_u32_e32 vcc, 54, v0
	s_and_saveexec_b64 s[6:7], vcc
	s_cbranch_execz .LBB117_230
; %bb.1:
	s_load_dword s20, s[4:5], 0x38
	s_load_dwordx2 s[6:7], s[4:5], 0x0
	s_load_dwordx4 s[12:15], s[4:5], 0x28
	s_waitcnt lgkmcnt(0)
	s_bitcmp1_b32 s20, 8
	s_cselect_b64 s[16:17], -1, 0
	s_ashr_i32 s9, s8, 31
	s_lshl_b64 s[10:11], s[8:9], 3
	s_add_u32 s6, s6, s10
	s_addc_u32 s7, s7, s11
	s_load_dwordx2 s[18:19], s[6:7], 0x0
	s_bfe_u32 s6, s20, 0x10008
	s_cmp_eq_u32 s6, 0
                                        ; implicit-def: $sgpr10_sgpr11
	s_cbranch_scc1 .LBB117_3
; %bb.2:
	s_load_dword s6, s[4:5], 0x20
	s_load_dwordx2 s[10:11], s[4:5], 0x18
	s_mul_i32 s7, s8, s13
	s_mul_hi_u32 s13, s8, s12
	s_add_i32 s13, s13, s7
	s_mul_i32 s21, s9, s12
	s_add_i32 s13, s13, s21
	s_mul_i32 s12, s8, s12
	s_waitcnt lgkmcnt(0)
	s_ashr_i32 s7, s6, 31
	s_lshl_b64 s[12:13], s[12:13], 2
	s_add_u32 s10, s10, s12
	s_addc_u32 s11, s11, s13
	s_lshl_b64 s[6:7], s[6:7], 2
	s_add_u32 s10, s10, s6
	s_addc_u32 s11, s11, s7
.LBB117_3:
	s_load_dwordx2 s[6:7], s[4:5], 0x8
	v_lshlrev_b32_e32 v6, 3, v0
	s_waitcnt lgkmcnt(0)
	s_ashr_i32 s5, s6, 31
	s_mov_b32 s4, s6
	s_lshl_b64 s[4:5], s[4:5], 3
	s_add_u32 s4, s18, s4
	s_addc_u32 s5, s19, s5
	s_add_i32 s6, s7, s7
	v_add_u32_e32 v2, s6, v0
	v_ashrrev_i32_e32 v3, 31, v2
	v_lshlrev_b64 v[4:5], 3, v[2:3]
	v_add_u32_e32 v2, s7, v2
	v_mov_b32_e32 v1, s5
	v_add_co_u32_e32 v10, vcc, s4, v4
	v_ashrrev_i32_e32 v3, 31, v2
	v_addc_co_u32_e32 v11, vcc, v1, v5, vcc
	v_lshlrev_b64 v[4:5], 3, v[2:3]
	v_add_u32_e32 v2, s7, v2
	v_add_co_u32_e32 v14, vcc, s4, v4
	v_ashrrev_i32_e32 v3, 31, v2
	v_addc_co_u32_e32 v15, vcc, v1, v5, vcc
	v_lshlrev_b64 v[4:5], 3, v[2:3]
	v_add_u32_e32 v2, s7, v2
	;; [unrolled: 5-line block ×44, first 2 shown]
	v_add_co_u32_e32 v180, vcc, s4, v4
	v_ashrrev_i32_e32 v3, 31, v2
	v_addc_co_u32_e32 v181, vcc, v1, v5, vcc
	v_lshlrev_b64 v[4:5], 3, v[2:3]
	v_add_co_u32_e32 v182, vcc, s4, v4
	v_addc_co_u32_e32 v183, vcc, v1, v5, vcc
	v_add_co_u32_e32 v190, vcc, s4, v6
	s_ashr_i32 s13, s7, 31
	s_mov_b32 s12, s7
	v_accvgpr_write_b32 a0, v10
	global_load_dwordx2 v[4:5], v6, s[4:5]
	v_addc_co_u32_e32 v191, vcc, 0, v1, vcc
	s_lshl_b64 s[12:13], s[12:13], 3
	v_add_u32_e32 v2, s7, v2
	v_accvgpr_write_b32 a1, v11
	global_load_dwordx2 v[10:11], v[10:11], off
	v_mov_b32_e32 v1, s13
	v_add_co_u32_e32 v192, vcc, s12, v190
	v_ashrrev_i32_e32 v3, 31, v2
	v_addc_co_u32_e32 v193, vcc, v191, v1, vcc
	v_lshlrev_b64 v[12:13], 3, v[2:3]
	v_mov_b32_e32 v1, s5
	v_accvgpr_write_b32 a2, v14
	v_add_co_u32_e32 v184, vcc, s4, v12
	global_load_dwordx2 v[8:9], v[192:193], off
	v_accvgpr_write_b32 a3, v15
	global_load_dwordx2 v[14:15], v[14:15], off
	v_addc_co_u32_e32 v185, vcc, v1, v13, vcc
	global_load_dwordx2 v[12:13], v[16:17], off
	v_accvgpr_write_b32 a6, v18
	v_accvgpr_write_b32 a7, v19
	global_load_dwordx2 v[18:19], v[18:19], off
	v_accvgpr_write_b32 a8, v20
	v_add_u32_e32 v2, s7, v2
	v_accvgpr_write_b32 a9, v21
	global_load_dwordx2 v[20:21], v[20:21], off
	v_accvgpr_write_b32 a4, v16
	v_ashrrev_i32_e32 v3, 31, v2
	v_accvgpr_write_b32 a5, v17
	v_lshlrev_b64 v[16:17], 3, v[2:3]
	v_add_co_u32_e32 v186, vcc, s4, v16
	v_addc_co_u32_e32 v187, vcc, v1, v17, vcc
	global_load_dwordx2 v[16:17], v[22:23], off
	v_accvgpr_write_b32 a12, v24
	v_add_u32_e32 v2, s7, v2
	v_accvgpr_write_b32 a13, v25
	global_load_dwordx2 v[24:25], v[24:25], off
	v_ashrrev_i32_e32 v3, 31, v2
	v_accvgpr_write_b32 a10, v22
	v_accvgpr_write_b32 a11, v23
	v_lshlrev_b64 v[22:23], 3, v[2:3]
	v_add_co_u32_e32 v188, vcc, s4, v22
	v_addc_co_u32_e32 v189, vcc, v1, v23, vcc
	global_load_dwordx2 v[22:23], v[26:27], off
	v_accvgpr_write_b32 a14, v26
	v_add_u32_e32 v2, s7, v2
	v_accvgpr_write_b32 a18, v30
	v_accvgpr_write_b32 a26, v38
	;; [unrolled: 1-line block ×3, first 2 shown]
	v_ashrrev_i32_e32 v3, 31, v2
	v_accvgpr_write_b32 a16, v28
	v_accvgpr_write_b32 a19, v31
	global_load_dwordx2 v[30:31], v[30:31], off
	v_accvgpr_write_b32 a24, v36
	v_accvgpr_write_b32 a27, v39
	global_load_dwordx2 v[38:39], v[38:39], off
	v_accvgpr_write_b32 a17, v29
	global_load_dwordx2 v[26:27], v[28:29], off
	;; [unrolled: 2-line block ×3, first 2 shown]
	v_lshlrev_b64 v[28:29], 3, v[2:3]
	v_add_u32_e32 v2, s7, v2
	v_add_co_u32_e32 v194, vcc, s4, v28
	v_accvgpr_write_b32 a20, v32
	v_ashrrev_i32_e32 v3, 31, v2
	v_accvgpr_write_b32 a22, v34
	v_accvgpr_write_b32 a28, v40
	;; [unrolled: 1-line block ×3, first 2 shown]
	v_addc_co_u32_e32 v195, vcc, v1, v29, vcc
	v_accvgpr_write_b32 a21, v33
	global_load_dwordx2 v[28:29], v[32:33], off
	v_accvgpr_write_b32 a23, v35
	v_accvgpr_write_b32 a29, v41
	global_load_dwordx2 v[40:41], v[40:41], off
	v_accvgpr_write_b32 a31, v43
	global_load_dwordx2 v[32:33], v[34:35], off
	v_accvgpr_write_b32 a32, v44
	global_load_dwordx2 v[42:43], v[42:43], off
	v_lshlrev_b64 v[34:35], 3, v[2:3]
	v_add_u32_e32 v2, s7, v2
	v_add_co_u32_e32 v196, vcc, s4, v34
	v_ashrrev_i32_e32 v3, 31, v2
	v_addc_co_u32_e32 v197, vcc, v1, v35, vcc
	v_lshlrev_b64 v[2:3], 3, v[2:3]
	v_accvgpr_write_b32 a34, v46
	v_accvgpr_write_b32 a36, v48
	;; [unrolled: 1-line block ×7, first 2 shown]
	v_add_co_u32_e32 v198, vcc, s4, v2
	v_accvgpr_write_b32 a33, v45
	global_load_dwordx2 v[34:35], v[44:45], off
	v_accvgpr_write_b32 a35, v47
	global_load_dwordx2 v[44:45], v[46:47], off
	;; [unrolled: 2-line block ×8, first 2 shown]
	v_addc_co_u32_e32 v199, vcc, v1, v3, vcc
	global_load_dwordx2 v[2:3], v[60:61], off
	global_load_dwordx2 v[58:59], v[198:199], off
	v_accvgpr_write_b32 a48, v60
	v_accvgpr_write_b32 a49, v61
	global_load_dwordx2 v[60:61], v[62:63], off
	v_accvgpr_write_b32 a50, v62
	v_accvgpr_write_b32 a51, v63
	s_waitcnt vmcnt(28)
	buffer_store_dword v5, off, s[0:3], 0 offset:4
	buffer_store_dword v4, off, s[0:3], 0
	global_load_dwordx2 v[4:5], v[66:67], off
	v_accvgpr_write_b32 a52, v64
	s_waitcnt vmcnt(30)
	buffer_store_dword v11, off, s[0:3], 0 offset:20
	buffer_store_dword v10, off, s[0:3], 0 offset:16
	global_load_dwordx2 v[10:11], v[154:155], off
	v_accvgpr_write_b32 a53, v65
	global_load_dwordx2 v[70:71], v[160:161], off
	global_load_dwordx2 v[62:63], v[64:65], off
	;; [unrolled: 1-line block ×3, first 2 shown]
	v_accvgpr_write_b32 a54, v66
	s_waitcnt vmcnt(35)
	buffer_store_dword v9, off, s[0:3], 0 offset:12
	buffer_store_dword v8, off, s[0:3], 0 offset:8
	global_load_dwordx2 v[8:9], v[150:151], off
	v_accvgpr_write_b32 a55, v67
	s_waitcnt vmcnt(36)
	buffer_store_dword v13, off, s[0:3], 0 offset:36
	buffer_store_dword v12, off, s[0:3], 0 offset:32
	global_load_dwordx2 v[12:13], v[162:163], off
	s_bitcmp0_b32 s20, 0
	global_load_dwordx2 v[64:65], v[148:149], off
	global_load_dwordx2 v[66:67], v[152:153], off
	;; [unrolled: 1-line block ×10, first 2 shown]
	s_mov_b64 s[6:7], -1
	buffer_store_dword v15, off, s[0:3], 0 offset:28
	buffer_store_dword v14, off, s[0:3], 0 offset:24
	global_load_dwordx2 v[14:15], v[158:159], off
	s_waitcnt vmcnt(51)
	buffer_store_dword v19, off, s[0:3], 0 offset:44
	buffer_store_dword v18, off, s[0:3], 0 offset:40
	global_load_dwordx2 v[18:19], v[166:167], off
	s_waitcnt vmcnt(53)
	;; [unrolled: 4-line block ×6, first 2 shown]
	buffer_store_dword v26, off, s[0:3], 0 offset:80
	buffer_store_dword v27, off, s[0:3], 0 offset:84
	global_load_dwordx2 v[26:27], v[186:187], off
	s_nop 0
	buffer_store_dword v30, off, s[0:3], 0 offset:88
	buffer_store_dword v31, off, s[0:3], 0 offset:92
	global_load_dwordx2 v[30:31], v[194:195], off
	s_waitcnt vmcnt(62)
	buffer_store_dword v28, off, s[0:3], 0 offset:96
	buffer_store_dword v29, off, s[0:3], 0 offset:100
	s_waitcnt vmcnt(62)
	buffer_store_dword v32, off, s[0:3], 0 offset:104
	buffer_store_dword v33, off, s[0:3], 0 offset:108
	;; [unrolled: 1-line block ×10, first 2 shown]
	s_waitcnt vmcnt(62)
	buffer_store_dword v34, off, s[0:3], 0 offset:144
	buffer_store_dword v35, off, s[0:3], 0 offset:148
	;; [unrolled: 1-line block ×18, first 2 shown]
	s_waitcnt vmcnt(62)
	buffer_store_dword v60, off, s[0:3], 0 offset:216
	buffer_store_dword v61, off, s[0:3], 0 offset:220
	;; [unrolled: 1-line block ×16, first 2 shown]
	s_waitcnt vmcnt(62)
	buffer_store_dword v14, off, s[0:3], 0 offset:280
	buffer_store_dword v15, off, s[0:3], 0 offset:284
	;; [unrolled: 1-line block ×12, first 2 shown]
	s_waitcnt vmcnt(62)
	buffer_store_dword v20, off, s[0:3], 0 offset:328
	buffer_store_dword v21, off, s[0:3], 0 offset:332
	;; [unrolled: 1-line block ×16, first 2 shown]
	s_waitcnt vmcnt(62)
	buffer_store_dword v27, off, s[0:3], 0 offset:396
	buffer_store_dword v26, off, s[0:3], 0 offset:392
	;; [unrolled: 1-line block ×10, first 2 shown]
	s_cbranch_scc1 .LBB117_228
; %bb.4:
	v_cmp_eq_u32_e64 s[4:5], 0, v0
	s_and_saveexec_b64 s[6:7], s[4:5]
	s_cbranch_execz .LBB117_6
; %bb.5:
	v_mov_b32_e32 v1, 0
	ds_write_b32 v1, v1 offset:864
.LBB117_6:
	s_or_b64 exec, exec, s[6:7]
	v_mov_b32_e32 v1, 0
	v_lshl_add_u32 v7, v0, 3, v1
	s_waitcnt lgkmcnt(0)
	; wave barrier
	s_waitcnt lgkmcnt(0)
	buffer_load_dword v1, v7, s[0:3], 0 offen
	buffer_load_dword v2, v7, s[0:3], 0 offen offset:4
	s_waitcnt vmcnt(1)
	v_cmp_eq_f32_e32 vcc, 0, v1
	s_waitcnt vmcnt(0)
	v_cmp_eq_f32_e64 s[6:7], 0, v2
	s_and_b64 s[6:7], vcc, s[6:7]
	s_and_saveexec_b64 s[12:13], s[6:7]
	s_cbranch_execz .LBB117_10
; %bb.7:
	v_mov_b32_e32 v1, 0
	ds_read_b32 v3, v1 offset:864
	v_add_u32_e32 v2, 1, v0
	s_waitcnt lgkmcnt(0)
	v_readfirstlane_b32 s6, v3
	s_cmp_eq_u32 s6, 0
	s_cselect_b64 s[18:19], -1, 0
	v_cmp_gt_i32_e32 vcc, s6, v2
	s_or_b64 s[18:19], s[18:19], vcc
	s_and_b64 exec, exec, s[18:19]
	s_cbranch_execz .LBB117_10
; %bb.8:
	s_mov_b64 s[18:19], 0
	v_mov_b32_e32 v3, s6
.LBB117_9:                              ; =>This Inner Loop Header: Depth=1
	ds_cmpst_rtn_b32 v3, v1, v3, v2 offset:864
	s_waitcnt lgkmcnt(0)
	v_cmp_ne_u32_e32 vcc, 0, v3
	v_cmp_le_i32_e64 s[6:7], v3, v2
	s_and_b64 s[6:7], vcc, s[6:7]
	s_and_b64 s[6:7], exec, s[6:7]
	s_or_b64 s[18:19], s[6:7], s[18:19]
	s_andn2_b64 exec, exec, s[18:19]
	s_cbranch_execnz .LBB117_9
.LBB117_10:
	s_or_b64 exec, exec, s[12:13]
	v_mov_b32_e32 v2, 0
	s_waitcnt lgkmcnt(0)
	; wave barrier
	ds_read_b32 v1, v2 offset:864
	s_and_saveexec_b64 s[6:7], s[4:5]
	s_cbranch_execz .LBB117_12
; %bb.11:
	s_lshl_b64 s[12:13], s[8:9], 2
	s_add_u32 s12, s14, s12
	s_addc_u32 s13, s15, s13
	s_waitcnt lgkmcnt(0)
	global_store_dword v2, v1, s[12:13]
.LBB117_12:
	s_or_b64 exec, exec, s[6:7]
	s_waitcnt lgkmcnt(0)
	v_cmp_ne_u32_e32 vcc, 0, v1
	s_mov_b64 s[6:7], 0
	s_cbranch_vccnz .LBB117_228
; %bb.13:
	buffer_load_dword v8, v7, s[0:3], 0 offen offset:4
	buffer_load_dword v3, v7, s[0:3], 0 offen
	s_waitcnt vmcnt(1)
	v_cmp_gt_f32_e32 vcc, 0, v8
	v_cndmask_b32_e64 v1, v8, -v8, vcc
	s_waitcnt vmcnt(0)
	v_cmp_gt_f32_e32 vcc, 0, v3
	v_cndmask_b32_e64 v2, v3, -v3, vcc
	v_cmp_ngt_f32_e32 vcc, v2, v1
                                        ; implicit-def: $vgpr1
                                        ; implicit-def: $vgpr2
	s_and_saveexec_b64 s[6:7], vcc
	s_xor_b64 s[6:7], exec, s[6:7]
                                        ; implicit-def: $vgpr4_vgpr5
	s_cbranch_execz .LBB117_15
; %bb.14:
	v_div_scale_f32 v1, s[12:13], v8, v8, v3
	v_rcp_f32_e32 v2, v1
	v_div_scale_f32 v4, vcc, v3, v8, v3
	v_fma_f32 v5, -v1, v2, 1.0
	v_fmac_f32_e32 v2, v5, v2
	v_mul_f32_e32 v5, v4, v2
	v_fma_f32 v9, -v1, v5, v4
	v_fmac_f32_e32 v5, v9, v2
	v_fma_f32 v1, -v1, v5, v4
	v_div_fmas_f32 v1, v1, v2, v5
	v_div_fixup_f32 v2, v1, v8, v3
	v_fmac_f32_e32 v8, v3, v2
	v_div_scale_f32 v1, s[12:13], v8, v8, -1.0
	v_rcp_f32_e32 v3, v1
	v_fma_f32 v4, -v1, v3, 1.0
	v_fmac_f32_e32 v3, v4, v3
	v_div_scale_f32 v4, vcc, -1.0, v8, -1.0
	v_mul_f32_e32 v5, v4, v3
	v_fma_f32 v9, -v1, v5, v4
	v_fmac_f32_e32 v5, v9, v3
	v_fma_f32 v1, -v1, v5, v4
	v_div_fmas_f32 v1, v1, v3, v5
	v_div_fixup_f32 v1, v1, v8, -1.0
	v_mul_f32_e32 v2, v2, v1
	v_xor_b32_e32 v4, 0x80000000, v2
                                        ; implicit-def: $vgpr3
                                        ; implicit-def: $vgpr8
.LBB117_15:
	s_andn2_saveexec_b64 s[6:7], s[6:7]
	s_cbranch_execz .LBB117_17
; %bb.16:
	v_div_scale_f32 v1, s[12:13], v3, v3, v8
	v_rcp_f32_e32 v2, v1
	v_div_scale_f32 v4, vcc, v8, v3, v8
	v_fma_f32 v5, -v1, v2, 1.0
	v_fmac_f32_e32 v2, v5, v2
	v_mul_f32_e32 v5, v4, v2
	v_fma_f32 v9, -v1, v5, v4
	v_fmac_f32_e32 v5, v9, v2
	v_fma_f32 v1, -v1, v5, v4
	v_div_fmas_f32 v1, v1, v2, v5
	v_div_fixup_f32 v1, v1, v3, v8
	v_fmac_f32_e32 v3, v8, v1
	v_div_scale_f32 v2, s[12:13], v3, v3, 1.0
	v_rcp_f32_e32 v4, v2
	v_fma_f32 v5, -v2, v4, 1.0
	v_fmac_f32_e32 v4, v5, v4
	v_div_scale_f32 v5, vcc, 1.0, v3, 1.0
	v_mul_f32_e32 v8, v5, v4
	v_fma_f32 v9, -v2, v8, v5
	v_fmac_f32_e32 v8, v9, v4
	v_fma_f32 v2, -v2, v8, v5
	v_div_fmas_f32 v2, v2, v4, v8
	v_div_fixup_f32 v4, v2, v3, 1.0
	v_xor_b32_e32 v2, 0x80000000, v4
	v_mul_f32_e64 v1, v1, -v4
.LBB117_17:
	s_or_b64 exec, exec, s[6:7]
	buffer_store_dword v1, v7, s[0:3], 0 offen offset:4
	buffer_store_dword v4, v7, s[0:3], 0 offen
	buffer_load_dword v5, off, s[0:3], 0 offset:12
	s_nop 0
	buffer_load_dword v4, off, s[0:3], 0 offset:8
	v_xor_b32_e32 v3, 0x80000000, v1
	v_add_u32_e32 v1, 0x1b0, v6
	s_waitcnt vmcnt(0)
	ds_write2_b64 v6, v[2:3], v[4:5] offset1:54
	s_waitcnt lgkmcnt(0)
	; wave barrier
	s_waitcnt lgkmcnt(0)
	s_and_saveexec_b64 s[6:7], s[4:5]
	s_cbranch_execz .LBB117_19
; %bb.18:
	buffer_load_dword v8, v7, s[0:3], 0 offen offset:4
	buffer_load_dword v9, v7, s[0:3], 0 offen
	ds_read_b64 v[2:3], v1
	v_mov_b32_e32 v4, 0
	ds_read_b64 v[4:5], v4 offset:8
	s_waitcnt vmcnt(1) lgkmcnt(1)
	v_mul_f32_e32 v10, v3, v8
	v_mul_f32_e32 v8, v2, v8
	s_waitcnt vmcnt(0)
	v_fmac_f32_e32 v8, v3, v9
	v_fma_f32 v2, v2, v9, -v10
	v_add_f32_e32 v3, 0, v8
	v_add_f32_e32 v2, 0, v2
	s_waitcnt lgkmcnt(0)
	v_mul_f32_e32 v8, v3, v5
	v_mul_f32_e32 v5, v2, v5
	v_fma_f32 v2, v2, v4, -v8
	v_fmac_f32_e32 v5, v3, v4
	buffer_store_dword v2, off, s[0:3], 0 offset:8
	buffer_store_dword v5, off, s[0:3], 0 offset:12
.LBB117_19:
	s_or_b64 exec, exec, s[6:7]
	s_waitcnt lgkmcnt(0)
	; wave barrier
	buffer_load_dword v2, off, s[0:3], 0 offset:16
	buffer_load_dword v3, off, s[0:3], 0 offset:20
	v_cmp_gt_u32_e32 vcc, 2, v0
	s_waitcnt vmcnt(0)
	ds_write_b64 v1, v[2:3]
	s_waitcnt lgkmcnt(0)
	; wave barrier
	s_waitcnt lgkmcnt(0)
	s_and_saveexec_b64 s[6:7], vcc
	s_cbranch_execz .LBB117_23
; %bb.20:
	buffer_load_dword v4, v7, s[0:3], 0 offen offset:4
	buffer_load_dword v5, v7, s[0:3], 0 offen
	ds_read_b64 v[2:3], v1
	s_waitcnt vmcnt(1) lgkmcnt(0)
	v_mul_f32_e32 v7, v3, v4
	v_mul_f32_e32 v4, v2, v4
	s_waitcnt vmcnt(0)
	v_fma_f32 v2, v2, v5, -v7
	v_fmac_f32_e32 v4, v3, v5
	v_add_f32_e32 v3, 0, v2
	v_add_f32_e32 v2, 0, v4
	s_and_saveexec_b64 s[12:13], s[4:5]
	s_cbranch_execz .LBB117_22
; %bb.21:
	buffer_load_dword v7, off, s[0:3], 0 offset:12
	buffer_load_dword v8, off, s[0:3], 0 offset:8
	v_mov_b32_e32 v4, 0
	ds_read_b64 v[4:5], v4 offset:440
	s_waitcnt vmcnt(1) lgkmcnt(0)
	v_mul_f32_e32 v9, v4, v7
	v_mul_f32_e32 v7, v5, v7
	s_waitcnt vmcnt(0)
	v_fmac_f32_e32 v9, v5, v8
	v_fma_f32 v4, v4, v8, -v7
	v_add_f32_e32 v2, v2, v9
	v_add_f32_e32 v3, v3, v4
.LBB117_22:
	s_or_b64 exec, exec, s[12:13]
	v_mov_b32_e32 v4, 0
	ds_read_b64 v[4:5], v4 offset:16
	s_waitcnt lgkmcnt(0)
	v_mul_f32_e32 v7, v2, v5
	v_mul_f32_e32 v5, v3, v5
	v_fma_f32 v3, v3, v4, -v7
	v_fmac_f32_e32 v5, v2, v4
	buffer_store_dword v3, off, s[0:3], 0 offset:16
	buffer_store_dword v5, off, s[0:3], 0 offset:20
.LBB117_23:
	s_or_b64 exec, exec, s[6:7]
	s_waitcnt lgkmcnt(0)
	; wave barrier
	buffer_load_dword v2, off, s[0:3], 0 offset:24
	buffer_load_dword v3, off, s[0:3], 0 offset:28
	v_cmp_gt_u32_e32 vcc, 3, v0
	s_waitcnt vmcnt(0)
	ds_write_b64 v1, v[2:3]
	v_add_u32_e32 v2, -1, v0
	s_waitcnt lgkmcnt(0)
	; wave barrier
	s_waitcnt lgkmcnt(0)
	s_and_saveexec_b64 s[4:5], vcc
	s_cbranch_execz .LBB117_27
; %bb.24:
	v_add_u32_e32 v4, -1, v0
	v_add_u32_e32 v5, 0x1b0, v6
	v_add_u32_e32 v7, 0, v6
	s_mov_b64 s[6:7], 0
	v_mov_b32_e32 v3, 0
	v_mov_b32_e32 v8, 0
.LBB117_25:                             ; =>This Inner Loop Header: Depth=1
	buffer_load_dword v9, v7, s[0:3], 0 offen offset:4
	buffer_load_dword v12, v7, s[0:3], 0 offen
	ds_read_b64 v[10:11], v5
	v_add_u32_e32 v4, 1, v4
	v_cmp_lt_u32_e32 vcc, 1, v4
	v_add_u32_e32 v5, 8, v5
	v_add_u32_e32 v7, 8, v7
	s_or_b64 s[6:7], vcc, s[6:7]
	s_waitcnt vmcnt(1) lgkmcnt(0)
	v_mul_f32_e32 v13, v11, v9
	v_mul_f32_e32 v9, v10, v9
	s_waitcnt vmcnt(0)
	v_fma_f32 v10, v10, v12, -v13
	v_fmac_f32_e32 v9, v11, v12
	v_add_f32_e32 v8, v8, v10
	v_add_f32_e32 v3, v3, v9
	s_andn2_b64 exec, exec, s[6:7]
	s_cbranch_execnz .LBB117_25
; %bb.26:
	s_or_b64 exec, exec, s[6:7]
	v_mov_b32_e32 v4, 0
	ds_read_b64 v[4:5], v4 offset:24
	s_waitcnt lgkmcnt(0)
	v_mul_f32_e32 v7, v3, v5
	v_mul_f32_e32 v5, v8, v5
	v_fma_f32 v7, v8, v4, -v7
	v_fmac_f32_e32 v5, v3, v4
	buffer_store_dword v7, off, s[0:3], 0 offset:24
	buffer_store_dword v5, off, s[0:3], 0 offset:28
.LBB117_27:
	s_or_b64 exec, exec, s[4:5]
	s_waitcnt lgkmcnt(0)
	; wave barrier
	buffer_load_dword v4, off, s[0:3], 0 offset:32
	buffer_load_dword v5, off, s[0:3], 0 offset:36
	v_cmp_gt_u32_e32 vcc, 4, v0
	s_waitcnt vmcnt(0)
	ds_write_b64 v1, v[4:5]
	s_waitcnt lgkmcnt(0)
	; wave barrier
	s_waitcnt lgkmcnt(0)
	s_and_saveexec_b64 s[4:5], vcc
	s_cbranch_execz .LBB117_31
; %bb.28:
	v_add_u32_e32 v4, -1, v0
	v_add_u32_e32 v5, 0x1b0, v6
	v_add_u32_e32 v7, 0, v6
	s_mov_b64 s[6:7], 0
	v_mov_b32_e32 v3, 0
	v_mov_b32_e32 v8, 0
.LBB117_29:                             ; =>This Inner Loop Header: Depth=1
	buffer_load_dword v9, v7, s[0:3], 0 offen offset:4
	buffer_load_dword v12, v7, s[0:3], 0 offen
	ds_read_b64 v[10:11], v5
	v_add_u32_e32 v4, 1, v4
	v_cmp_lt_u32_e32 vcc, 2, v4
	v_add_u32_e32 v5, 8, v5
	v_add_u32_e32 v7, 8, v7
	s_or_b64 s[6:7], vcc, s[6:7]
	s_waitcnt vmcnt(1) lgkmcnt(0)
	v_mul_f32_e32 v13, v11, v9
	v_mul_f32_e32 v9, v10, v9
	s_waitcnt vmcnt(0)
	v_fma_f32 v10, v10, v12, -v13
	v_fmac_f32_e32 v9, v11, v12
	v_add_f32_e32 v8, v8, v10
	v_add_f32_e32 v3, v3, v9
	s_andn2_b64 exec, exec, s[6:7]
	s_cbranch_execnz .LBB117_29
; %bb.30:
	s_or_b64 exec, exec, s[6:7]
	v_mov_b32_e32 v4, 0
	ds_read_b64 v[4:5], v4 offset:32
	s_waitcnt lgkmcnt(0)
	v_mul_f32_e32 v7, v3, v5
	v_mul_f32_e32 v5, v8, v5
	v_fma_f32 v7, v8, v4, -v7
	v_fmac_f32_e32 v5, v3, v4
	buffer_store_dword v7, off, s[0:3], 0 offset:32
	buffer_store_dword v5, off, s[0:3], 0 offset:36
.LBB117_31:
	s_or_b64 exec, exec, s[4:5]
	s_waitcnt lgkmcnt(0)
	; wave barrier
	buffer_load_dword v4, off, s[0:3], 0 offset:40
	buffer_load_dword v5, off, s[0:3], 0 offset:44
	v_cmp_gt_u32_e32 vcc, 5, v0
	s_waitcnt vmcnt(0)
	ds_write_b64 v1, v[4:5]
	s_waitcnt lgkmcnt(0)
	; wave barrier
	s_waitcnt lgkmcnt(0)
	s_and_saveexec_b64 s[4:5], vcc
	s_cbranch_execz .LBB117_35
; %bb.32:
	v_add_u32_e32 v4, -1, v0
	v_add_u32_e32 v5, 0x1b0, v6
	v_add_u32_e32 v7, 0, v6
	s_mov_b64 s[6:7], 0
	v_mov_b32_e32 v3, 0
	v_mov_b32_e32 v8, 0
.LBB117_33:                             ; =>This Inner Loop Header: Depth=1
	buffer_load_dword v9, v7, s[0:3], 0 offen offset:4
	buffer_load_dword v12, v7, s[0:3], 0 offen
	ds_read_b64 v[10:11], v5
	v_add_u32_e32 v4, 1, v4
	v_cmp_lt_u32_e32 vcc, 3, v4
	v_add_u32_e32 v5, 8, v5
	v_add_u32_e32 v7, 8, v7
	s_or_b64 s[6:7], vcc, s[6:7]
	s_waitcnt vmcnt(1) lgkmcnt(0)
	v_mul_f32_e32 v13, v11, v9
	v_mul_f32_e32 v9, v10, v9
	s_waitcnt vmcnt(0)
	v_fma_f32 v10, v10, v12, -v13
	v_fmac_f32_e32 v9, v11, v12
	v_add_f32_e32 v8, v8, v10
	v_add_f32_e32 v3, v3, v9
	s_andn2_b64 exec, exec, s[6:7]
	s_cbranch_execnz .LBB117_33
; %bb.34:
	s_or_b64 exec, exec, s[6:7]
	v_mov_b32_e32 v4, 0
	ds_read_b64 v[4:5], v4 offset:40
	s_waitcnt lgkmcnt(0)
	v_mul_f32_e32 v7, v3, v5
	v_mul_f32_e32 v5, v8, v5
	v_fma_f32 v7, v8, v4, -v7
	v_fmac_f32_e32 v5, v3, v4
	buffer_store_dword v7, off, s[0:3], 0 offset:40
	buffer_store_dword v5, off, s[0:3], 0 offset:44
.LBB117_35:
	s_or_b64 exec, exec, s[4:5]
	s_waitcnt lgkmcnt(0)
	; wave barrier
	buffer_load_dword v4, off, s[0:3], 0 offset:48
	buffer_load_dword v5, off, s[0:3], 0 offset:52
	v_cmp_gt_u32_e32 vcc, 6, v0
	s_waitcnt vmcnt(0)
	ds_write_b64 v1, v[4:5]
	s_waitcnt lgkmcnt(0)
	; wave barrier
	s_waitcnt lgkmcnt(0)
	s_and_saveexec_b64 s[4:5], vcc
	s_cbranch_execz .LBB117_39
; %bb.36:
	v_add_u32_e32 v4, -1, v0
	v_add_u32_e32 v5, 0x1b0, v6
	v_add_u32_e32 v7, 0, v6
	s_mov_b64 s[6:7], 0
	v_mov_b32_e32 v3, 0
	v_mov_b32_e32 v8, 0
.LBB117_37:                             ; =>This Inner Loop Header: Depth=1
	buffer_load_dword v9, v7, s[0:3], 0 offen offset:4
	buffer_load_dword v12, v7, s[0:3], 0 offen
	ds_read_b64 v[10:11], v5
	v_add_u32_e32 v4, 1, v4
	v_cmp_lt_u32_e32 vcc, 4, v4
	v_add_u32_e32 v5, 8, v5
	v_add_u32_e32 v7, 8, v7
	s_or_b64 s[6:7], vcc, s[6:7]
	s_waitcnt vmcnt(1) lgkmcnt(0)
	v_mul_f32_e32 v13, v11, v9
	v_mul_f32_e32 v9, v10, v9
	s_waitcnt vmcnt(0)
	v_fma_f32 v10, v10, v12, -v13
	v_fmac_f32_e32 v9, v11, v12
	v_add_f32_e32 v8, v8, v10
	v_add_f32_e32 v3, v3, v9
	s_andn2_b64 exec, exec, s[6:7]
	s_cbranch_execnz .LBB117_37
; %bb.38:
	s_or_b64 exec, exec, s[6:7]
	v_mov_b32_e32 v4, 0
	ds_read_b64 v[4:5], v4 offset:48
	s_waitcnt lgkmcnt(0)
	v_mul_f32_e32 v7, v3, v5
	v_mul_f32_e32 v5, v8, v5
	v_fma_f32 v7, v8, v4, -v7
	v_fmac_f32_e32 v5, v3, v4
	buffer_store_dword v7, off, s[0:3], 0 offset:48
	buffer_store_dword v5, off, s[0:3], 0 offset:52
.LBB117_39:
	s_or_b64 exec, exec, s[4:5]
	s_waitcnt lgkmcnt(0)
	; wave barrier
	buffer_load_dword v4, off, s[0:3], 0 offset:56
	buffer_load_dword v5, off, s[0:3], 0 offset:60
	v_cmp_gt_u32_e32 vcc, 7, v0
	s_waitcnt vmcnt(0)
	ds_write_b64 v1, v[4:5]
	s_waitcnt lgkmcnt(0)
	; wave barrier
	s_waitcnt lgkmcnt(0)
	s_and_saveexec_b64 s[4:5], vcc
	s_cbranch_execz .LBB117_43
; %bb.40:
	v_add_u32_e32 v4, -1, v0
	v_add_u32_e32 v5, 0x1b0, v6
	v_add_u32_e32 v7, 0, v6
	s_mov_b64 s[6:7], 0
	v_mov_b32_e32 v3, 0
	v_mov_b32_e32 v8, 0
.LBB117_41:                             ; =>This Inner Loop Header: Depth=1
	buffer_load_dword v9, v7, s[0:3], 0 offen offset:4
	buffer_load_dword v12, v7, s[0:3], 0 offen
	ds_read_b64 v[10:11], v5
	v_add_u32_e32 v4, 1, v4
	v_cmp_lt_u32_e32 vcc, 5, v4
	v_add_u32_e32 v5, 8, v5
	v_add_u32_e32 v7, 8, v7
	s_or_b64 s[6:7], vcc, s[6:7]
	s_waitcnt vmcnt(1) lgkmcnt(0)
	v_mul_f32_e32 v13, v11, v9
	v_mul_f32_e32 v9, v10, v9
	s_waitcnt vmcnt(0)
	v_fma_f32 v10, v10, v12, -v13
	v_fmac_f32_e32 v9, v11, v12
	v_add_f32_e32 v8, v8, v10
	v_add_f32_e32 v3, v3, v9
	s_andn2_b64 exec, exec, s[6:7]
	s_cbranch_execnz .LBB117_41
; %bb.42:
	s_or_b64 exec, exec, s[6:7]
	v_mov_b32_e32 v4, 0
	ds_read_b64 v[4:5], v4 offset:56
	s_waitcnt lgkmcnt(0)
	v_mul_f32_e32 v7, v3, v5
	v_mul_f32_e32 v5, v8, v5
	v_fma_f32 v7, v8, v4, -v7
	v_fmac_f32_e32 v5, v3, v4
	buffer_store_dword v7, off, s[0:3], 0 offset:56
	buffer_store_dword v5, off, s[0:3], 0 offset:60
.LBB117_43:
	s_or_b64 exec, exec, s[4:5]
	s_waitcnt lgkmcnt(0)
	; wave barrier
	buffer_load_dword v4, off, s[0:3], 0 offset:64
	buffer_load_dword v5, off, s[0:3], 0 offset:68
	v_cmp_gt_u32_e32 vcc, 8, v0
	s_waitcnt vmcnt(0)
	ds_write_b64 v1, v[4:5]
	s_waitcnt lgkmcnt(0)
	; wave barrier
	s_waitcnt lgkmcnt(0)
	s_and_saveexec_b64 s[4:5], vcc
	s_cbranch_execz .LBB117_47
; %bb.44:
	v_add_u32_e32 v4, -1, v0
	v_add_u32_e32 v5, 0x1b0, v6
	v_add_u32_e32 v7, 0, v6
	s_mov_b64 s[6:7], 0
	v_mov_b32_e32 v3, 0
	v_mov_b32_e32 v8, 0
.LBB117_45:                             ; =>This Inner Loop Header: Depth=1
	buffer_load_dword v9, v7, s[0:3], 0 offen offset:4
	buffer_load_dword v12, v7, s[0:3], 0 offen
	ds_read_b64 v[10:11], v5
	v_add_u32_e32 v4, 1, v4
	v_cmp_lt_u32_e32 vcc, 6, v4
	v_add_u32_e32 v5, 8, v5
	v_add_u32_e32 v7, 8, v7
	s_or_b64 s[6:7], vcc, s[6:7]
	s_waitcnt vmcnt(1) lgkmcnt(0)
	v_mul_f32_e32 v13, v11, v9
	v_mul_f32_e32 v9, v10, v9
	s_waitcnt vmcnt(0)
	v_fma_f32 v10, v10, v12, -v13
	v_fmac_f32_e32 v9, v11, v12
	v_add_f32_e32 v8, v8, v10
	v_add_f32_e32 v3, v3, v9
	s_andn2_b64 exec, exec, s[6:7]
	s_cbranch_execnz .LBB117_45
; %bb.46:
	s_or_b64 exec, exec, s[6:7]
	v_mov_b32_e32 v4, 0
	ds_read_b64 v[4:5], v4 offset:64
	s_waitcnt lgkmcnt(0)
	v_mul_f32_e32 v7, v3, v5
	v_mul_f32_e32 v5, v8, v5
	v_fma_f32 v7, v8, v4, -v7
	v_fmac_f32_e32 v5, v3, v4
	buffer_store_dword v7, off, s[0:3], 0 offset:64
	buffer_store_dword v5, off, s[0:3], 0 offset:68
.LBB117_47:
	s_or_b64 exec, exec, s[4:5]
	s_waitcnt lgkmcnt(0)
	; wave barrier
	buffer_load_dword v4, off, s[0:3], 0 offset:72
	buffer_load_dword v5, off, s[0:3], 0 offset:76
	v_cmp_gt_u32_e32 vcc, 9, v0
	s_waitcnt vmcnt(0)
	ds_write_b64 v1, v[4:5]
	s_waitcnt lgkmcnt(0)
	; wave barrier
	s_waitcnt lgkmcnt(0)
	s_and_saveexec_b64 s[4:5], vcc
	s_cbranch_execz .LBB117_51
; %bb.48:
	v_add_u32_e32 v4, -1, v0
	v_add_u32_e32 v5, 0x1b0, v6
	v_add_u32_e32 v7, 0, v6
	s_mov_b64 s[6:7], 0
	v_mov_b32_e32 v3, 0
	v_mov_b32_e32 v8, 0
.LBB117_49:                             ; =>This Inner Loop Header: Depth=1
	buffer_load_dword v9, v7, s[0:3], 0 offen offset:4
	buffer_load_dword v12, v7, s[0:3], 0 offen
	ds_read_b64 v[10:11], v5
	v_add_u32_e32 v4, 1, v4
	v_cmp_lt_u32_e32 vcc, 7, v4
	v_add_u32_e32 v5, 8, v5
	v_add_u32_e32 v7, 8, v7
	s_or_b64 s[6:7], vcc, s[6:7]
	s_waitcnt vmcnt(1) lgkmcnt(0)
	v_mul_f32_e32 v13, v11, v9
	v_mul_f32_e32 v9, v10, v9
	s_waitcnt vmcnt(0)
	v_fma_f32 v10, v10, v12, -v13
	v_fmac_f32_e32 v9, v11, v12
	v_add_f32_e32 v8, v8, v10
	v_add_f32_e32 v3, v3, v9
	s_andn2_b64 exec, exec, s[6:7]
	s_cbranch_execnz .LBB117_49
; %bb.50:
	s_or_b64 exec, exec, s[6:7]
	v_mov_b32_e32 v4, 0
	ds_read_b64 v[4:5], v4 offset:72
	s_waitcnt lgkmcnt(0)
	v_mul_f32_e32 v7, v3, v5
	v_mul_f32_e32 v5, v8, v5
	v_fma_f32 v7, v8, v4, -v7
	v_fmac_f32_e32 v5, v3, v4
	buffer_store_dword v7, off, s[0:3], 0 offset:72
	buffer_store_dword v5, off, s[0:3], 0 offset:76
.LBB117_51:
	s_or_b64 exec, exec, s[4:5]
	s_waitcnt lgkmcnt(0)
	; wave barrier
	buffer_load_dword v4, off, s[0:3], 0 offset:80
	buffer_load_dword v5, off, s[0:3], 0 offset:84
	v_cmp_gt_u32_e32 vcc, 10, v0
	s_waitcnt vmcnt(0)
	ds_write_b64 v1, v[4:5]
	s_waitcnt lgkmcnt(0)
	; wave barrier
	s_waitcnt lgkmcnt(0)
	s_and_saveexec_b64 s[4:5], vcc
	s_cbranch_execz .LBB117_55
; %bb.52:
	v_add_u32_e32 v4, -1, v0
	v_add_u32_e32 v5, 0x1b0, v6
	v_add_u32_e32 v7, 0, v6
	s_mov_b64 s[6:7], 0
	v_mov_b32_e32 v3, 0
	v_mov_b32_e32 v8, 0
.LBB117_53:                             ; =>This Inner Loop Header: Depth=1
	buffer_load_dword v9, v7, s[0:3], 0 offen offset:4
	buffer_load_dword v12, v7, s[0:3], 0 offen
	ds_read_b64 v[10:11], v5
	v_add_u32_e32 v4, 1, v4
	v_cmp_lt_u32_e32 vcc, 8, v4
	v_add_u32_e32 v5, 8, v5
	v_add_u32_e32 v7, 8, v7
	s_or_b64 s[6:7], vcc, s[6:7]
	s_waitcnt vmcnt(1) lgkmcnt(0)
	v_mul_f32_e32 v13, v11, v9
	v_mul_f32_e32 v9, v10, v9
	s_waitcnt vmcnt(0)
	v_fma_f32 v10, v10, v12, -v13
	v_fmac_f32_e32 v9, v11, v12
	v_add_f32_e32 v8, v8, v10
	v_add_f32_e32 v3, v3, v9
	s_andn2_b64 exec, exec, s[6:7]
	s_cbranch_execnz .LBB117_53
; %bb.54:
	s_or_b64 exec, exec, s[6:7]
	v_mov_b32_e32 v4, 0
	ds_read_b64 v[4:5], v4 offset:80
	s_waitcnt lgkmcnt(0)
	v_mul_f32_e32 v7, v3, v5
	v_mul_f32_e32 v5, v8, v5
	v_fma_f32 v7, v8, v4, -v7
	v_fmac_f32_e32 v5, v3, v4
	buffer_store_dword v7, off, s[0:3], 0 offset:80
	buffer_store_dword v5, off, s[0:3], 0 offset:84
.LBB117_55:
	s_or_b64 exec, exec, s[4:5]
	s_waitcnt lgkmcnt(0)
	; wave barrier
	buffer_load_dword v4, off, s[0:3], 0 offset:88
	buffer_load_dword v5, off, s[0:3], 0 offset:92
	v_cmp_gt_u32_e32 vcc, 11, v0
	s_waitcnt vmcnt(0)
	ds_write_b64 v1, v[4:5]
	s_waitcnt lgkmcnt(0)
	; wave barrier
	s_waitcnt lgkmcnt(0)
	s_and_saveexec_b64 s[4:5], vcc
	s_cbranch_execz .LBB117_59
; %bb.56:
	v_add_u32_e32 v4, -1, v0
	v_add_u32_e32 v5, 0x1b0, v6
	v_add_u32_e32 v7, 0, v6
	s_mov_b64 s[6:7], 0
	v_mov_b32_e32 v3, 0
	v_mov_b32_e32 v8, 0
.LBB117_57:                             ; =>This Inner Loop Header: Depth=1
	buffer_load_dword v9, v7, s[0:3], 0 offen offset:4
	buffer_load_dword v12, v7, s[0:3], 0 offen
	ds_read_b64 v[10:11], v5
	v_add_u32_e32 v4, 1, v4
	v_cmp_lt_u32_e32 vcc, 9, v4
	v_add_u32_e32 v5, 8, v5
	v_add_u32_e32 v7, 8, v7
	s_or_b64 s[6:7], vcc, s[6:7]
	s_waitcnt vmcnt(1) lgkmcnt(0)
	v_mul_f32_e32 v13, v11, v9
	v_mul_f32_e32 v9, v10, v9
	s_waitcnt vmcnt(0)
	v_fma_f32 v10, v10, v12, -v13
	v_fmac_f32_e32 v9, v11, v12
	v_add_f32_e32 v8, v8, v10
	v_add_f32_e32 v3, v3, v9
	s_andn2_b64 exec, exec, s[6:7]
	s_cbranch_execnz .LBB117_57
; %bb.58:
	s_or_b64 exec, exec, s[6:7]
	v_mov_b32_e32 v4, 0
	ds_read_b64 v[4:5], v4 offset:88
	s_waitcnt lgkmcnt(0)
	v_mul_f32_e32 v7, v3, v5
	v_mul_f32_e32 v5, v8, v5
	v_fma_f32 v7, v8, v4, -v7
	v_fmac_f32_e32 v5, v3, v4
	buffer_store_dword v7, off, s[0:3], 0 offset:88
	buffer_store_dword v5, off, s[0:3], 0 offset:92
.LBB117_59:
	s_or_b64 exec, exec, s[4:5]
	s_waitcnt lgkmcnt(0)
	; wave barrier
	buffer_load_dword v4, off, s[0:3], 0 offset:96
	buffer_load_dword v5, off, s[0:3], 0 offset:100
	v_cmp_gt_u32_e32 vcc, 12, v0
	s_waitcnt vmcnt(0)
	ds_write_b64 v1, v[4:5]
	s_waitcnt lgkmcnt(0)
	; wave barrier
	s_waitcnt lgkmcnt(0)
	s_and_saveexec_b64 s[4:5], vcc
	s_cbranch_execz .LBB117_63
; %bb.60:
	v_add_u32_e32 v4, -1, v0
	v_add_u32_e32 v5, 0x1b0, v6
	v_add_u32_e32 v7, 0, v6
	s_mov_b64 s[6:7], 0
	v_mov_b32_e32 v3, 0
	v_mov_b32_e32 v8, 0
.LBB117_61:                             ; =>This Inner Loop Header: Depth=1
	buffer_load_dword v9, v7, s[0:3], 0 offen offset:4
	buffer_load_dword v12, v7, s[0:3], 0 offen
	ds_read_b64 v[10:11], v5
	v_add_u32_e32 v4, 1, v4
	v_cmp_lt_u32_e32 vcc, 10, v4
	v_add_u32_e32 v5, 8, v5
	v_add_u32_e32 v7, 8, v7
	s_or_b64 s[6:7], vcc, s[6:7]
	s_waitcnt vmcnt(1) lgkmcnt(0)
	v_mul_f32_e32 v13, v11, v9
	v_mul_f32_e32 v9, v10, v9
	s_waitcnt vmcnt(0)
	v_fma_f32 v10, v10, v12, -v13
	v_fmac_f32_e32 v9, v11, v12
	v_add_f32_e32 v8, v8, v10
	v_add_f32_e32 v3, v3, v9
	s_andn2_b64 exec, exec, s[6:7]
	s_cbranch_execnz .LBB117_61
; %bb.62:
	s_or_b64 exec, exec, s[6:7]
	v_mov_b32_e32 v4, 0
	ds_read_b64 v[4:5], v4 offset:96
	s_waitcnt lgkmcnt(0)
	v_mul_f32_e32 v7, v3, v5
	v_mul_f32_e32 v5, v8, v5
	v_fma_f32 v7, v8, v4, -v7
	v_fmac_f32_e32 v5, v3, v4
	buffer_store_dword v7, off, s[0:3], 0 offset:96
	buffer_store_dword v5, off, s[0:3], 0 offset:100
.LBB117_63:
	s_or_b64 exec, exec, s[4:5]
	s_waitcnt lgkmcnt(0)
	; wave barrier
	buffer_load_dword v4, off, s[0:3], 0 offset:104
	buffer_load_dword v5, off, s[0:3], 0 offset:108
	v_cmp_gt_u32_e32 vcc, 13, v0
	s_waitcnt vmcnt(0)
	ds_write_b64 v1, v[4:5]
	s_waitcnt lgkmcnt(0)
	; wave barrier
	s_waitcnt lgkmcnt(0)
	s_and_saveexec_b64 s[4:5], vcc
	s_cbranch_execz .LBB117_67
; %bb.64:
	v_add_u32_e32 v4, -1, v0
	v_add_u32_e32 v5, 0x1b0, v6
	v_add_u32_e32 v7, 0, v6
	s_mov_b64 s[6:7], 0
	v_mov_b32_e32 v3, 0
	v_mov_b32_e32 v8, 0
.LBB117_65:                             ; =>This Inner Loop Header: Depth=1
	buffer_load_dword v9, v7, s[0:3], 0 offen offset:4
	buffer_load_dword v12, v7, s[0:3], 0 offen
	ds_read_b64 v[10:11], v5
	v_add_u32_e32 v4, 1, v4
	v_cmp_lt_u32_e32 vcc, 11, v4
	v_add_u32_e32 v5, 8, v5
	v_add_u32_e32 v7, 8, v7
	s_or_b64 s[6:7], vcc, s[6:7]
	s_waitcnt vmcnt(1) lgkmcnt(0)
	v_mul_f32_e32 v13, v11, v9
	v_mul_f32_e32 v9, v10, v9
	s_waitcnt vmcnt(0)
	v_fma_f32 v10, v10, v12, -v13
	v_fmac_f32_e32 v9, v11, v12
	v_add_f32_e32 v8, v8, v10
	v_add_f32_e32 v3, v3, v9
	s_andn2_b64 exec, exec, s[6:7]
	s_cbranch_execnz .LBB117_65
; %bb.66:
	s_or_b64 exec, exec, s[6:7]
	v_mov_b32_e32 v4, 0
	ds_read_b64 v[4:5], v4 offset:104
	s_waitcnt lgkmcnt(0)
	v_mul_f32_e32 v7, v3, v5
	v_mul_f32_e32 v5, v8, v5
	v_fma_f32 v7, v8, v4, -v7
	v_fmac_f32_e32 v5, v3, v4
	buffer_store_dword v7, off, s[0:3], 0 offset:104
	buffer_store_dword v5, off, s[0:3], 0 offset:108
.LBB117_67:
	s_or_b64 exec, exec, s[4:5]
	s_waitcnt lgkmcnt(0)
	; wave barrier
	buffer_load_dword v4, off, s[0:3], 0 offset:112
	buffer_load_dword v5, off, s[0:3], 0 offset:116
	v_cmp_gt_u32_e32 vcc, 14, v0
	s_waitcnt vmcnt(0)
	ds_write_b64 v1, v[4:5]
	s_waitcnt lgkmcnt(0)
	; wave barrier
	s_waitcnt lgkmcnt(0)
	s_and_saveexec_b64 s[4:5], vcc
	s_cbranch_execz .LBB117_71
; %bb.68:
	v_add_u32_e32 v4, -1, v0
	v_add_u32_e32 v5, 0x1b0, v6
	v_add_u32_e32 v7, 0, v6
	s_mov_b64 s[6:7], 0
	v_mov_b32_e32 v3, 0
	v_mov_b32_e32 v8, 0
.LBB117_69:                             ; =>This Inner Loop Header: Depth=1
	buffer_load_dword v9, v7, s[0:3], 0 offen offset:4
	buffer_load_dword v12, v7, s[0:3], 0 offen
	ds_read_b64 v[10:11], v5
	v_add_u32_e32 v4, 1, v4
	v_cmp_lt_u32_e32 vcc, 12, v4
	v_add_u32_e32 v5, 8, v5
	v_add_u32_e32 v7, 8, v7
	s_or_b64 s[6:7], vcc, s[6:7]
	s_waitcnt vmcnt(1) lgkmcnt(0)
	v_mul_f32_e32 v13, v11, v9
	v_mul_f32_e32 v9, v10, v9
	s_waitcnt vmcnt(0)
	v_fma_f32 v10, v10, v12, -v13
	v_fmac_f32_e32 v9, v11, v12
	v_add_f32_e32 v8, v8, v10
	v_add_f32_e32 v3, v3, v9
	s_andn2_b64 exec, exec, s[6:7]
	s_cbranch_execnz .LBB117_69
; %bb.70:
	s_or_b64 exec, exec, s[6:7]
	v_mov_b32_e32 v4, 0
	ds_read_b64 v[4:5], v4 offset:112
	s_waitcnt lgkmcnt(0)
	v_mul_f32_e32 v7, v3, v5
	v_mul_f32_e32 v5, v8, v5
	v_fma_f32 v7, v8, v4, -v7
	v_fmac_f32_e32 v5, v3, v4
	buffer_store_dword v7, off, s[0:3], 0 offset:112
	buffer_store_dword v5, off, s[0:3], 0 offset:116
.LBB117_71:
	s_or_b64 exec, exec, s[4:5]
	s_waitcnt lgkmcnt(0)
	; wave barrier
	buffer_load_dword v4, off, s[0:3], 0 offset:120
	buffer_load_dword v5, off, s[0:3], 0 offset:124
	v_cmp_gt_u32_e32 vcc, 15, v0
	s_waitcnt vmcnt(0)
	ds_write_b64 v1, v[4:5]
	s_waitcnt lgkmcnt(0)
	; wave barrier
	s_waitcnt lgkmcnt(0)
	s_and_saveexec_b64 s[4:5], vcc
	s_cbranch_execz .LBB117_75
; %bb.72:
	v_add_u32_e32 v4, -1, v0
	v_add_u32_e32 v5, 0x1b0, v6
	v_add_u32_e32 v7, 0, v6
	s_mov_b64 s[6:7], 0
	v_mov_b32_e32 v3, 0
	v_mov_b32_e32 v8, 0
.LBB117_73:                             ; =>This Inner Loop Header: Depth=1
	buffer_load_dword v9, v7, s[0:3], 0 offen offset:4
	buffer_load_dword v12, v7, s[0:3], 0 offen
	ds_read_b64 v[10:11], v5
	v_add_u32_e32 v4, 1, v4
	v_cmp_lt_u32_e32 vcc, 13, v4
	v_add_u32_e32 v5, 8, v5
	v_add_u32_e32 v7, 8, v7
	s_or_b64 s[6:7], vcc, s[6:7]
	s_waitcnt vmcnt(1) lgkmcnt(0)
	v_mul_f32_e32 v13, v11, v9
	v_mul_f32_e32 v9, v10, v9
	s_waitcnt vmcnt(0)
	v_fma_f32 v10, v10, v12, -v13
	v_fmac_f32_e32 v9, v11, v12
	v_add_f32_e32 v8, v8, v10
	v_add_f32_e32 v3, v3, v9
	s_andn2_b64 exec, exec, s[6:7]
	s_cbranch_execnz .LBB117_73
; %bb.74:
	s_or_b64 exec, exec, s[6:7]
	v_mov_b32_e32 v4, 0
	ds_read_b64 v[4:5], v4 offset:120
	s_waitcnt lgkmcnt(0)
	v_mul_f32_e32 v7, v3, v5
	v_mul_f32_e32 v5, v8, v5
	v_fma_f32 v7, v8, v4, -v7
	v_fmac_f32_e32 v5, v3, v4
	buffer_store_dword v7, off, s[0:3], 0 offset:120
	buffer_store_dword v5, off, s[0:3], 0 offset:124
.LBB117_75:
	s_or_b64 exec, exec, s[4:5]
	s_waitcnt lgkmcnt(0)
	; wave barrier
	buffer_load_dword v4, off, s[0:3], 0 offset:128
	buffer_load_dword v5, off, s[0:3], 0 offset:132
	v_cmp_gt_u32_e32 vcc, 16, v0
	s_waitcnt vmcnt(0)
	ds_write_b64 v1, v[4:5]
	s_waitcnt lgkmcnt(0)
	; wave barrier
	s_waitcnt lgkmcnt(0)
	s_and_saveexec_b64 s[4:5], vcc
	s_cbranch_execz .LBB117_79
; %bb.76:
	v_add_u32_e32 v4, -1, v0
	v_add_u32_e32 v5, 0x1b0, v6
	v_add_u32_e32 v7, 0, v6
	s_mov_b64 s[6:7], 0
	v_mov_b32_e32 v3, 0
	v_mov_b32_e32 v8, 0
.LBB117_77:                             ; =>This Inner Loop Header: Depth=1
	buffer_load_dword v9, v7, s[0:3], 0 offen offset:4
	buffer_load_dword v12, v7, s[0:3], 0 offen
	ds_read_b64 v[10:11], v5
	v_add_u32_e32 v4, 1, v4
	v_cmp_lt_u32_e32 vcc, 14, v4
	v_add_u32_e32 v5, 8, v5
	v_add_u32_e32 v7, 8, v7
	s_or_b64 s[6:7], vcc, s[6:7]
	s_waitcnt vmcnt(1) lgkmcnt(0)
	v_mul_f32_e32 v13, v11, v9
	v_mul_f32_e32 v9, v10, v9
	s_waitcnt vmcnt(0)
	v_fma_f32 v10, v10, v12, -v13
	v_fmac_f32_e32 v9, v11, v12
	v_add_f32_e32 v8, v8, v10
	v_add_f32_e32 v3, v3, v9
	s_andn2_b64 exec, exec, s[6:7]
	s_cbranch_execnz .LBB117_77
; %bb.78:
	s_or_b64 exec, exec, s[6:7]
	v_mov_b32_e32 v4, 0
	ds_read_b64 v[4:5], v4 offset:128
	s_waitcnt lgkmcnt(0)
	v_mul_f32_e32 v7, v3, v5
	v_mul_f32_e32 v5, v8, v5
	v_fma_f32 v7, v8, v4, -v7
	v_fmac_f32_e32 v5, v3, v4
	buffer_store_dword v7, off, s[0:3], 0 offset:128
	buffer_store_dword v5, off, s[0:3], 0 offset:132
.LBB117_79:
	s_or_b64 exec, exec, s[4:5]
	s_waitcnt lgkmcnt(0)
	; wave barrier
	buffer_load_dword v4, off, s[0:3], 0 offset:136
	buffer_load_dword v5, off, s[0:3], 0 offset:140
	v_cmp_gt_u32_e32 vcc, 17, v0
	s_waitcnt vmcnt(0)
	ds_write_b64 v1, v[4:5]
	s_waitcnt lgkmcnt(0)
	; wave barrier
	s_waitcnt lgkmcnt(0)
	s_and_saveexec_b64 s[4:5], vcc
	s_cbranch_execz .LBB117_83
; %bb.80:
	v_add_u32_e32 v4, -1, v0
	v_add_u32_e32 v5, 0x1b0, v6
	v_add_u32_e32 v7, 0, v6
	s_mov_b64 s[6:7], 0
	v_mov_b32_e32 v3, 0
	v_mov_b32_e32 v8, 0
.LBB117_81:                             ; =>This Inner Loop Header: Depth=1
	buffer_load_dword v9, v7, s[0:3], 0 offen offset:4
	buffer_load_dword v12, v7, s[0:3], 0 offen
	ds_read_b64 v[10:11], v5
	v_add_u32_e32 v4, 1, v4
	v_cmp_lt_u32_e32 vcc, 15, v4
	v_add_u32_e32 v5, 8, v5
	v_add_u32_e32 v7, 8, v7
	s_or_b64 s[6:7], vcc, s[6:7]
	s_waitcnt vmcnt(1) lgkmcnt(0)
	v_mul_f32_e32 v13, v11, v9
	v_mul_f32_e32 v9, v10, v9
	s_waitcnt vmcnt(0)
	v_fma_f32 v10, v10, v12, -v13
	v_fmac_f32_e32 v9, v11, v12
	v_add_f32_e32 v8, v8, v10
	v_add_f32_e32 v3, v3, v9
	s_andn2_b64 exec, exec, s[6:7]
	s_cbranch_execnz .LBB117_81
; %bb.82:
	s_or_b64 exec, exec, s[6:7]
	v_mov_b32_e32 v4, 0
	ds_read_b64 v[4:5], v4 offset:136
	s_waitcnt lgkmcnt(0)
	v_mul_f32_e32 v7, v3, v5
	v_mul_f32_e32 v5, v8, v5
	v_fma_f32 v7, v8, v4, -v7
	v_fmac_f32_e32 v5, v3, v4
	buffer_store_dword v7, off, s[0:3], 0 offset:136
	buffer_store_dword v5, off, s[0:3], 0 offset:140
.LBB117_83:
	s_or_b64 exec, exec, s[4:5]
	s_waitcnt lgkmcnt(0)
	; wave barrier
	buffer_load_dword v4, off, s[0:3], 0 offset:144
	buffer_load_dword v5, off, s[0:3], 0 offset:148
	v_cmp_gt_u32_e32 vcc, 18, v0
	s_waitcnt vmcnt(0)
	ds_write_b64 v1, v[4:5]
	s_waitcnt lgkmcnt(0)
	; wave barrier
	s_waitcnt lgkmcnt(0)
	s_and_saveexec_b64 s[4:5], vcc
	s_cbranch_execz .LBB117_87
; %bb.84:
	v_add_u32_e32 v4, -1, v0
	v_add_u32_e32 v5, 0x1b0, v6
	v_add_u32_e32 v7, 0, v6
	s_mov_b64 s[6:7], 0
	v_mov_b32_e32 v3, 0
	v_mov_b32_e32 v8, 0
.LBB117_85:                             ; =>This Inner Loop Header: Depth=1
	buffer_load_dword v9, v7, s[0:3], 0 offen offset:4
	buffer_load_dword v12, v7, s[0:3], 0 offen
	ds_read_b64 v[10:11], v5
	v_add_u32_e32 v4, 1, v4
	v_cmp_lt_u32_e32 vcc, 16, v4
	v_add_u32_e32 v5, 8, v5
	v_add_u32_e32 v7, 8, v7
	s_or_b64 s[6:7], vcc, s[6:7]
	s_waitcnt vmcnt(1) lgkmcnt(0)
	v_mul_f32_e32 v13, v11, v9
	v_mul_f32_e32 v9, v10, v9
	s_waitcnt vmcnt(0)
	v_fma_f32 v10, v10, v12, -v13
	v_fmac_f32_e32 v9, v11, v12
	v_add_f32_e32 v8, v8, v10
	v_add_f32_e32 v3, v3, v9
	s_andn2_b64 exec, exec, s[6:7]
	s_cbranch_execnz .LBB117_85
; %bb.86:
	s_or_b64 exec, exec, s[6:7]
	v_mov_b32_e32 v4, 0
	ds_read_b64 v[4:5], v4 offset:144
	s_waitcnt lgkmcnt(0)
	v_mul_f32_e32 v7, v3, v5
	v_mul_f32_e32 v5, v8, v5
	v_fma_f32 v7, v8, v4, -v7
	v_fmac_f32_e32 v5, v3, v4
	buffer_store_dword v7, off, s[0:3], 0 offset:144
	buffer_store_dword v5, off, s[0:3], 0 offset:148
.LBB117_87:
	s_or_b64 exec, exec, s[4:5]
	s_waitcnt lgkmcnt(0)
	; wave barrier
	buffer_load_dword v4, off, s[0:3], 0 offset:152
	buffer_load_dword v5, off, s[0:3], 0 offset:156
	v_cmp_gt_u32_e32 vcc, 19, v0
	s_waitcnt vmcnt(0)
	ds_write_b64 v1, v[4:5]
	s_waitcnt lgkmcnt(0)
	; wave barrier
	s_waitcnt lgkmcnt(0)
	s_and_saveexec_b64 s[4:5], vcc
	s_cbranch_execz .LBB117_91
; %bb.88:
	v_add_u32_e32 v4, -1, v0
	v_add_u32_e32 v5, 0x1b0, v6
	v_add_u32_e32 v7, 0, v6
	s_mov_b64 s[6:7], 0
	v_mov_b32_e32 v3, 0
	v_mov_b32_e32 v8, 0
.LBB117_89:                             ; =>This Inner Loop Header: Depth=1
	buffer_load_dword v9, v7, s[0:3], 0 offen offset:4
	buffer_load_dword v12, v7, s[0:3], 0 offen
	ds_read_b64 v[10:11], v5
	v_add_u32_e32 v4, 1, v4
	v_cmp_lt_u32_e32 vcc, 17, v4
	v_add_u32_e32 v5, 8, v5
	v_add_u32_e32 v7, 8, v7
	s_or_b64 s[6:7], vcc, s[6:7]
	s_waitcnt vmcnt(1) lgkmcnt(0)
	v_mul_f32_e32 v13, v11, v9
	v_mul_f32_e32 v9, v10, v9
	s_waitcnt vmcnt(0)
	v_fma_f32 v10, v10, v12, -v13
	v_fmac_f32_e32 v9, v11, v12
	v_add_f32_e32 v8, v8, v10
	v_add_f32_e32 v3, v3, v9
	s_andn2_b64 exec, exec, s[6:7]
	s_cbranch_execnz .LBB117_89
; %bb.90:
	s_or_b64 exec, exec, s[6:7]
	v_mov_b32_e32 v4, 0
	ds_read_b64 v[4:5], v4 offset:152
	s_waitcnt lgkmcnt(0)
	v_mul_f32_e32 v7, v3, v5
	v_mul_f32_e32 v5, v8, v5
	v_fma_f32 v7, v8, v4, -v7
	v_fmac_f32_e32 v5, v3, v4
	buffer_store_dword v7, off, s[0:3], 0 offset:152
	buffer_store_dword v5, off, s[0:3], 0 offset:156
.LBB117_91:
	s_or_b64 exec, exec, s[4:5]
	s_waitcnt lgkmcnt(0)
	; wave barrier
	buffer_load_dword v4, off, s[0:3], 0 offset:160
	buffer_load_dword v5, off, s[0:3], 0 offset:164
	v_cmp_gt_u32_e32 vcc, 20, v0
	s_waitcnt vmcnt(0)
	ds_write_b64 v1, v[4:5]
	s_waitcnt lgkmcnt(0)
	; wave barrier
	s_waitcnt lgkmcnt(0)
	s_and_saveexec_b64 s[4:5], vcc
	s_cbranch_execz .LBB117_95
; %bb.92:
	v_add_u32_e32 v4, -1, v0
	v_add_u32_e32 v5, 0x1b0, v6
	v_add_u32_e32 v7, 0, v6
	s_mov_b64 s[6:7], 0
	v_mov_b32_e32 v3, 0
	v_mov_b32_e32 v8, 0
.LBB117_93:                             ; =>This Inner Loop Header: Depth=1
	buffer_load_dword v9, v7, s[0:3], 0 offen offset:4
	buffer_load_dword v12, v7, s[0:3], 0 offen
	ds_read_b64 v[10:11], v5
	v_add_u32_e32 v4, 1, v4
	v_cmp_lt_u32_e32 vcc, 18, v4
	v_add_u32_e32 v5, 8, v5
	v_add_u32_e32 v7, 8, v7
	s_or_b64 s[6:7], vcc, s[6:7]
	s_waitcnt vmcnt(1) lgkmcnt(0)
	v_mul_f32_e32 v13, v11, v9
	v_mul_f32_e32 v9, v10, v9
	s_waitcnt vmcnt(0)
	v_fma_f32 v10, v10, v12, -v13
	v_fmac_f32_e32 v9, v11, v12
	v_add_f32_e32 v8, v8, v10
	v_add_f32_e32 v3, v3, v9
	s_andn2_b64 exec, exec, s[6:7]
	s_cbranch_execnz .LBB117_93
; %bb.94:
	s_or_b64 exec, exec, s[6:7]
	v_mov_b32_e32 v4, 0
	ds_read_b64 v[4:5], v4 offset:160
	s_waitcnt lgkmcnt(0)
	v_mul_f32_e32 v7, v3, v5
	v_mul_f32_e32 v5, v8, v5
	v_fma_f32 v7, v8, v4, -v7
	v_fmac_f32_e32 v5, v3, v4
	buffer_store_dword v7, off, s[0:3], 0 offset:160
	buffer_store_dword v5, off, s[0:3], 0 offset:164
.LBB117_95:
	s_or_b64 exec, exec, s[4:5]
	s_waitcnt lgkmcnt(0)
	; wave barrier
	buffer_load_dword v4, off, s[0:3], 0 offset:168
	buffer_load_dword v5, off, s[0:3], 0 offset:172
	v_cmp_gt_u32_e32 vcc, 21, v0
	s_waitcnt vmcnt(0)
	ds_write_b64 v1, v[4:5]
	s_waitcnt lgkmcnt(0)
	; wave barrier
	s_waitcnt lgkmcnt(0)
	s_and_saveexec_b64 s[4:5], vcc
	s_cbranch_execz .LBB117_99
; %bb.96:
	v_add_u32_e32 v4, -1, v0
	v_add_u32_e32 v5, 0x1b0, v6
	v_add_u32_e32 v7, 0, v6
	s_mov_b64 s[6:7], 0
	v_mov_b32_e32 v3, 0
	v_mov_b32_e32 v8, 0
.LBB117_97:                             ; =>This Inner Loop Header: Depth=1
	buffer_load_dword v9, v7, s[0:3], 0 offen offset:4
	buffer_load_dword v12, v7, s[0:3], 0 offen
	ds_read_b64 v[10:11], v5
	v_add_u32_e32 v4, 1, v4
	v_cmp_lt_u32_e32 vcc, 19, v4
	v_add_u32_e32 v5, 8, v5
	v_add_u32_e32 v7, 8, v7
	s_or_b64 s[6:7], vcc, s[6:7]
	s_waitcnt vmcnt(1) lgkmcnt(0)
	v_mul_f32_e32 v13, v11, v9
	v_mul_f32_e32 v9, v10, v9
	s_waitcnt vmcnt(0)
	v_fma_f32 v10, v10, v12, -v13
	v_fmac_f32_e32 v9, v11, v12
	v_add_f32_e32 v8, v8, v10
	v_add_f32_e32 v3, v3, v9
	s_andn2_b64 exec, exec, s[6:7]
	s_cbranch_execnz .LBB117_97
; %bb.98:
	s_or_b64 exec, exec, s[6:7]
	v_mov_b32_e32 v4, 0
	ds_read_b64 v[4:5], v4 offset:168
	s_waitcnt lgkmcnt(0)
	v_mul_f32_e32 v7, v3, v5
	v_mul_f32_e32 v5, v8, v5
	v_fma_f32 v7, v8, v4, -v7
	v_fmac_f32_e32 v5, v3, v4
	buffer_store_dword v7, off, s[0:3], 0 offset:168
	buffer_store_dword v5, off, s[0:3], 0 offset:172
.LBB117_99:
	s_or_b64 exec, exec, s[4:5]
	s_waitcnt lgkmcnt(0)
	; wave barrier
	buffer_load_dword v4, off, s[0:3], 0 offset:176
	buffer_load_dword v5, off, s[0:3], 0 offset:180
	v_cmp_gt_u32_e32 vcc, 22, v0
	s_waitcnt vmcnt(0)
	ds_write_b64 v1, v[4:5]
	s_waitcnt lgkmcnt(0)
	; wave barrier
	s_waitcnt lgkmcnt(0)
	s_and_saveexec_b64 s[4:5], vcc
	s_cbranch_execz .LBB117_103
; %bb.100:
	v_add_u32_e32 v4, -1, v0
	v_add_u32_e32 v5, 0x1b0, v6
	v_add_u32_e32 v7, 0, v6
	s_mov_b64 s[6:7], 0
	v_mov_b32_e32 v3, 0
	v_mov_b32_e32 v8, 0
.LBB117_101:                            ; =>This Inner Loop Header: Depth=1
	buffer_load_dword v9, v7, s[0:3], 0 offen offset:4
	buffer_load_dword v12, v7, s[0:3], 0 offen
	ds_read_b64 v[10:11], v5
	v_add_u32_e32 v4, 1, v4
	v_cmp_lt_u32_e32 vcc, 20, v4
	v_add_u32_e32 v5, 8, v5
	v_add_u32_e32 v7, 8, v7
	s_or_b64 s[6:7], vcc, s[6:7]
	s_waitcnt vmcnt(1) lgkmcnt(0)
	v_mul_f32_e32 v13, v11, v9
	v_mul_f32_e32 v9, v10, v9
	s_waitcnt vmcnt(0)
	v_fma_f32 v10, v10, v12, -v13
	v_fmac_f32_e32 v9, v11, v12
	v_add_f32_e32 v8, v8, v10
	v_add_f32_e32 v3, v3, v9
	s_andn2_b64 exec, exec, s[6:7]
	s_cbranch_execnz .LBB117_101
; %bb.102:
	s_or_b64 exec, exec, s[6:7]
	v_mov_b32_e32 v4, 0
	ds_read_b64 v[4:5], v4 offset:176
	s_waitcnt lgkmcnt(0)
	v_mul_f32_e32 v7, v3, v5
	v_mul_f32_e32 v5, v8, v5
	v_fma_f32 v7, v8, v4, -v7
	v_fmac_f32_e32 v5, v3, v4
	buffer_store_dword v7, off, s[0:3], 0 offset:176
	buffer_store_dword v5, off, s[0:3], 0 offset:180
.LBB117_103:
	s_or_b64 exec, exec, s[4:5]
	s_waitcnt lgkmcnt(0)
	; wave barrier
	buffer_load_dword v4, off, s[0:3], 0 offset:184
	buffer_load_dword v5, off, s[0:3], 0 offset:188
	v_cmp_gt_u32_e32 vcc, 23, v0
	s_waitcnt vmcnt(0)
	ds_write_b64 v1, v[4:5]
	s_waitcnt lgkmcnt(0)
	; wave barrier
	s_waitcnt lgkmcnt(0)
	s_and_saveexec_b64 s[4:5], vcc
	s_cbranch_execz .LBB117_107
; %bb.104:
	v_add_u32_e32 v4, -1, v0
	v_add_u32_e32 v5, 0x1b0, v6
	v_add_u32_e32 v7, 0, v6
	s_mov_b64 s[6:7], 0
	v_mov_b32_e32 v3, 0
	v_mov_b32_e32 v8, 0
.LBB117_105:                            ; =>This Inner Loop Header: Depth=1
	buffer_load_dword v9, v7, s[0:3], 0 offen offset:4
	buffer_load_dword v12, v7, s[0:3], 0 offen
	ds_read_b64 v[10:11], v5
	v_add_u32_e32 v4, 1, v4
	v_cmp_lt_u32_e32 vcc, 21, v4
	v_add_u32_e32 v5, 8, v5
	v_add_u32_e32 v7, 8, v7
	s_or_b64 s[6:7], vcc, s[6:7]
	s_waitcnt vmcnt(1) lgkmcnt(0)
	v_mul_f32_e32 v13, v11, v9
	v_mul_f32_e32 v9, v10, v9
	s_waitcnt vmcnt(0)
	v_fma_f32 v10, v10, v12, -v13
	v_fmac_f32_e32 v9, v11, v12
	v_add_f32_e32 v8, v8, v10
	v_add_f32_e32 v3, v3, v9
	s_andn2_b64 exec, exec, s[6:7]
	s_cbranch_execnz .LBB117_105
; %bb.106:
	s_or_b64 exec, exec, s[6:7]
	v_mov_b32_e32 v4, 0
	ds_read_b64 v[4:5], v4 offset:184
	s_waitcnt lgkmcnt(0)
	v_mul_f32_e32 v7, v3, v5
	v_mul_f32_e32 v5, v8, v5
	v_fma_f32 v7, v8, v4, -v7
	v_fmac_f32_e32 v5, v3, v4
	buffer_store_dword v7, off, s[0:3], 0 offset:184
	buffer_store_dword v5, off, s[0:3], 0 offset:188
.LBB117_107:
	s_or_b64 exec, exec, s[4:5]
	s_waitcnt lgkmcnt(0)
	; wave barrier
	buffer_load_dword v4, off, s[0:3], 0 offset:192
	buffer_load_dword v5, off, s[0:3], 0 offset:196
	v_cmp_gt_u32_e32 vcc, 24, v0
	s_waitcnt vmcnt(0)
	ds_write_b64 v1, v[4:5]
	;; [unrolled: 51-line block ×30, first 2 shown]
	s_waitcnt lgkmcnt(0)
	; wave barrier
	s_waitcnt lgkmcnt(0)
	s_and_saveexec_b64 s[4:5], vcc
	s_cbranch_execz .LBB117_223
; %bb.220:
	v_add_u32_e32 v4, -1, v0
	v_add_u32_e32 v5, 0x1b0, v6
	v_add_u32_e32 v7, 0, v6
	s_mov_b64 s[6:7], 0
	v_mov_b32_e32 v3, 0
	v_mov_b32_e32 v8, 0
.LBB117_221:                            ; =>This Inner Loop Header: Depth=1
	buffer_load_dword v9, v7, s[0:3], 0 offen offset:4
	buffer_load_dword v12, v7, s[0:3], 0 offen
	ds_read_b64 v[10:11], v5
	v_add_u32_e32 v4, 1, v4
	v_cmp_lt_u32_e32 vcc, 50, v4
	v_add_u32_e32 v5, 8, v5
	v_add_u32_e32 v7, 8, v7
	s_or_b64 s[6:7], vcc, s[6:7]
	s_waitcnt vmcnt(1) lgkmcnt(0)
	v_mul_f32_e32 v13, v11, v9
	v_mul_f32_e32 v9, v10, v9
	s_waitcnt vmcnt(0)
	v_fma_f32 v10, v10, v12, -v13
	v_fmac_f32_e32 v9, v11, v12
	v_add_f32_e32 v8, v8, v10
	v_add_f32_e32 v3, v3, v9
	s_andn2_b64 exec, exec, s[6:7]
	s_cbranch_execnz .LBB117_221
; %bb.222:
	s_or_b64 exec, exec, s[6:7]
	v_mov_b32_e32 v4, 0
	ds_read_b64 v[4:5], v4 offset:416
	s_waitcnt lgkmcnt(0)
	v_mul_f32_e32 v7, v3, v5
	v_mul_f32_e32 v5, v8, v5
	v_fma_f32 v7, v8, v4, -v7
	v_fmac_f32_e32 v5, v3, v4
	buffer_store_dword v7, off, s[0:3], 0 offset:416
	buffer_store_dword v5, off, s[0:3], 0 offset:420
.LBB117_223:
	s_or_b64 exec, exec, s[4:5]
	s_waitcnt lgkmcnt(0)
	; wave barrier
	buffer_load_dword v4, off, s[0:3], 0 offset:424
	buffer_load_dword v5, off, s[0:3], 0 offset:428
	v_cmp_ne_u32_e32 vcc, 53, v0
	s_waitcnt vmcnt(0)
	ds_write_b64 v1, v[4:5]
	s_waitcnt lgkmcnt(0)
	; wave barrier
	s_waitcnt lgkmcnt(0)
	s_and_saveexec_b64 s[4:5], vcc
	s_cbranch_execz .LBB117_227
; %bb.224:
	v_add_u32_e32 v3, 0x1b0, v6
	v_add_u32_e32 v4, 0, v6
	s_mov_b64 s[6:7], 0
	v_mov_b32_e32 v1, 0
	v_mov_b32_e32 v5, 0
.LBB117_225:                            ; =>This Inner Loop Header: Depth=1
	buffer_load_dword v8, v4, s[0:3], 0 offen offset:4
	buffer_load_dword v9, v4, s[0:3], 0 offen
	ds_read_b64 v[6:7], v3
	v_add_u32_e32 v2, 1, v2
	v_cmp_lt_u32_e32 vcc, 51, v2
	v_add_u32_e32 v3, 8, v3
	v_add_u32_e32 v4, 8, v4
	s_or_b64 s[6:7], vcc, s[6:7]
	s_waitcnt vmcnt(1) lgkmcnt(0)
	v_mul_f32_e32 v10, v7, v8
	v_mul_f32_e32 v8, v6, v8
	s_waitcnt vmcnt(0)
	v_fma_f32 v6, v6, v9, -v10
	v_fmac_f32_e32 v8, v7, v9
	v_add_f32_e32 v5, v5, v6
	v_add_f32_e32 v1, v1, v8
	s_andn2_b64 exec, exec, s[6:7]
	s_cbranch_execnz .LBB117_225
; %bb.226:
	s_or_b64 exec, exec, s[6:7]
	v_mov_b32_e32 v2, 0
	ds_read_b64 v[2:3], v2 offset:424
	s_waitcnt lgkmcnt(0)
	v_mul_f32_e32 v4, v1, v3
	v_mul_f32_e32 v3, v5, v3
	v_fma_f32 v4, v5, v2, -v4
	v_fmac_f32_e32 v3, v1, v2
	buffer_store_dword v4, off, s[0:3], 0 offset:424
	buffer_store_dword v3, off, s[0:3], 0 offset:428
.LBB117_227:
	s_or_b64 exec, exec, s[4:5]
	s_mov_b64 s[6:7], -1
	s_waitcnt lgkmcnt(0)
	; wave barrier
.LBB117_228:
	s_and_b64 vcc, exec, s[6:7]
	s_cbranch_vccz .LBB117_230
; %bb.229:
	s_lshl_b64 s[4:5], s[8:9], 2
	s_add_u32 s4, s14, s4
	s_addc_u32 s5, s15, s5
	v_mov_b32_e32 v1, 0
	global_load_dword v1, v1, s[4:5]
	s_waitcnt vmcnt(0)
	v_cmp_ne_u32_e32 vcc, 0, v1
	s_cbranch_vccz .LBB117_231
.LBB117_230:
	s_endpgm
.LBB117_231:
	v_mov_b32_e32 v1, 0x1b0
	v_lshl_add_u32 v143, v0, 3, v1
	v_cmp_eq_u32_e32 vcc, 53, v0
	s_and_saveexec_b64 s[4:5], vcc
	s_cbranch_execz .LBB117_233
; %bb.232:
	buffer_load_dword v2, off, s[0:3], 0 offset:416
	buffer_load_dword v3, off, s[0:3], 0 offset:420
	v_mov_b32_e32 v4, 0
	buffer_store_dword v4, off, s[0:3], 0 offset:416
	buffer_store_dword v4, off, s[0:3], 0 offset:420
	s_waitcnt vmcnt(2)
	ds_write_b64 v143, v[2:3]
.LBB117_233:
	s_or_b64 exec, exec, s[4:5]
	s_waitcnt lgkmcnt(0)
	; wave barrier
	s_waitcnt lgkmcnt(0)
	buffer_load_dword v5, off, s[0:3], 0 offset:428
	buffer_load_dword v4, off, s[0:3], 0 offset:424
	;; [unrolled: 1-line block ×4, first 2 shown]
	v_mov_b32_e32 v2, 0
	ds_read_b64 v[8:9], v2 offset:856
	v_cmp_lt_u32_e32 vcc, 51, v0
	s_waitcnt vmcnt(3)
	v_mov_b32_e32 v10, v5
	s_waitcnt lgkmcnt(0)
	v_pk_mul_f32 v[10:11], v[8:9], v[10:11] op_sel_hi:[1,0]
	s_waitcnt vmcnt(2)
	v_pk_fma_f32 v[12:13], v[8:9], v[4:5], v[10:11] op_sel:[0,0,1] op_sel_hi:[1,1,0] neg_lo:[0,0,1] neg_hi:[0,0,1]
	v_pk_fma_f32 v[4:5], v[8:9], v[4:5], v[10:11] op_sel:[0,0,1] op_sel_hi:[1,0,0]
	v_mov_b32_e32 v13, v5
	v_pk_add_f32 v[4:5], v[12:13], 0 op_sel_hi:[1,0]
	s_waitcnt vmcnt(0)
	v_pk_add_f32 v[4:5], v[6:7], v[4:5] neg_lo:[0,1] neg_hi:[0,1]
	buffer_store_dword v4, off, s[0:3], 0 offset:416
	buffer_store_dword v5, off, s[0:3], 0 offset:420
	s_and_saveexec_b64 s[4:5], vcc
	s_cbranch_execz .LBB117_235
; %bb.234:
	buffer_load_dword v4, off, s[0:3], 0 offset:408
	buffer_load_dword v5, off, s[0:3], 0 offset:412
	s_waitcnt vmcnt(0)
	ds_write_b64 v143, v[4:5]
	buffer_store_dword v2, off, s[0:3], 0 offset:408
	buffer_store_dword v2, off, s[0:3], 0 offset:412
.LBB117_235:
	s_or_b64 exec, exec, s[4:5]
	s_waitcnt lgkmcnt(0)
	; wave barrier
	s_waitcnt lgkmcnt(0)
	buffer_load_dword v7, off, s[0:3], 0 offset:420
	buffer_load_dword v9, off, s[0:3], 0 offset:428
	;; [unrolled: 1-line block ×6, first 2 shown]
	ds_read_b128 v[2:5], v2 offset:848
	v_cmp_lt_u32_e32 vcc, 50, v0
	s_waitcnt vmcnt(5)
	v_mov_b32_e32 v12, v7
	s_waitcnt vmcnt(4)
	v_mov_b32_e32 v14, v9
	s_waitcnt lgkmcnt(0)
	v_pk_mul_f32 v[12:13], v[2:3], v[12:13] op_sel_hi:[1,0]
	v_pk_mul_f32 v[14:15], v[4:5], v[14:15] op_sel_hi:[1,0]
	s_waitcnt vmcnt(3)
	v_pk_fma_f32 v[16:17], v[2:3], v[6:7], v[12:13] op_sel:[0,0,1] op_sel_hi:[1,1,0] neg_lo:[0,0,1] neg_hi:[0,0,1]
	v_pk_fma_f32 v[2:3], v[2:3], v[6:7], v[12:13] op_sel:[0,0,1] op_sel_hi:[1,0,0]
	s_waitcnt vmcnt(2)
	v_pk_fma_f32 v[6:7], v[4:5], v[8:9], v[14:15] op_sel:[0,0,1] op_sel_hi:[1,1,0] neg_lo:[0,0,1] neg_hi:[0,0,1]
	v_pk_fma_f32 v[4:5], v[4:5], v[8:9], v[14:15] op_sel:[0,0,1] op_sel_hi:[1,0,0]
	v_mov_b32_e32 v17, v3
	v_mov_b32_e32 v7, v5
	v_pk_add_f32 v[2:3], v[16:17], 0 op_sel_hi:[1,0]
	v_pk_add_f32 v[2:3], v[2:3], v[6:7]
	s_waitcnt vmcnt(0)
	v_pk_add_f32 v[2:3], v[10:11], v[2:3] neg_lo:[0,1] neg_hi:[0,1]
	buffer_store_dword v2, off, s[0:3], 0 offset:408
	buffer_store_dword v3, off, s[0:3], 0 offset:412
	s_and_saveexec_b64 s[4:5], vcc
	s_cbranch_execz .LBB117_237
; %bb.236:
	buffer_load_dword v2, off, s[0:3], 0 offset:400
	buffer_load_dword v3, off, s[0:3], 0 offset:404
	v_mov_b32_e32 v4, 0
	buffer_store_dword v4, off, s[0:3], 0 offset:400
	buffer_store_dword v4, off, s[0:3], 0 offset:404
	s_waitcnt vmcnt(2)
	ds_write_b64 v143, v[2:3]
.LBB117_237:
	s_or_b64 exec, exec, s[4:5]
	s_waitcnt lgkmcnt(0)
	; wave barrier
	s_waitcnt lgkmcnt(0)
	buffer_load_dword v9, off, s[0:3], 0 offset:412
	buffer_load_dword v11, off, s[0:3], 0 offset:420
	;; [unrolled: 1-line block ×8, first 2 shown]
	v_mov_b32_e32 v2, 0
	ds_read2_b64 v[4:7], v2 offset0:105 offset1:106
	ds_read_b64 v[16:17], v2 offset:856
	v_cmp_lt_u32_e32 vcc, 49, v0
	s_waitcnt vmcnt(7)
	v_mov_b32_e32 v18, v9
	s_waitcnt vmcnt(6)
	v_mov_b32_e32 v20, v11
	s_waitcnt lgkmcnt(1)
	v_pk_mul_f32 v[18:19], v[4:5], v[18:19] op_sel_hi:[1,0]
	s_waitcnt vmcnt(5)
	v_mov_b32_e32 v22, v13
	v_pk_mul_f32 v[20:21], v[6:7], v[20:21] op_sel_hi:[1,0]
	s_waitcnt vmcnt(4)
	v_pk_fma_f32 v[24:25], v[4:5], v[8:9], v[18:19] op_sel:[0,0,1] op_sel_hi:[1,1,0] neg_lo:[0,0,1] neg_hi:[0,0,1]
	v_pk_fma_f32 v[4:5], v[4:5], v[8:9], v[18:19] op_sel:[0,0,1] op_sel_hi:[1,0,0]
	s_waitcnt lgkmcnt(0)
	v_pk_mul_f32 v[22:23], v[16:17], v[22:23] op_sel_hi:[1,0]
	s_waitcnt vmcnt(3)
	v_pk_fma_f32 v[8:9], v[6:7], v[10:11], v[20:21] op_sel:[0,0,1] op_sel_hi:[1,1,0] neg_lo:[0,0,1] neg_hi:[0,0,1]
	v_pk_fma_f32 v[6:7], v[6:7], v[10:11], v[20:21] op_sel:[0,0,1] op_sel_hi:[1,0,0]
	v_mov_b32_e32 v25, v5
	s_waitcnt vmcnt(2)
	v_pk_fma_f32 v[10:11], v[16:17], v[12:13], v[22:23] op_sel:[0,0,1] op_sel_hi:[1,1,0] neg_lo:[0,0,1] neg_hi:[0,0,1]
	v_pk_fma_f32 v[12:13], v[16:17], v[12:13], v[22:23] op_sel:[0,0,1] op_sel_hi:[1,0,0]
	v_mov_b32_e32 v9, v7
	v_pk_add_f32 v[4:5], v[24:25], 0 op_sel_hi:[1,0]
	v_mov_b32_e32 v11, v13
	v_pk_add_f32 v[4:5], v[4:5], v[8:9]
	v_pk_add_f32 v[4:5], v[4:5], v[10:11]
	s_waitcnt vmcnt(0)
	v_pk_add_f32 v[4:5], v[14:15], v[4:5] neg_lo:[0,1] neg_hi:[0,1]
	buffer_store_dword v4, off, s[0:3], 0 offset:400
	buffer_store_dword v5, off, s[0:3], 0 offset:404
	s_and_saveexec_b64 s[4:5], vcc
	s_cbranch_execz .LBB117_239
; %bb.238:
	buffer_load_dword v4, off, s[0:3], 0 offset:392
	buffer_load_dword v5, off, s[0:3], 0 offset:396
	s_waitcnt vmcnt(0)
	ds_write_b64 v143, v[4:5]
	buffer_store_dword v2, off, s[0:3], 0 offset:392
	buffer_store_dword v2, off, s[0:3], 0 offset:396
.LBB117_239:
	s_or_b64 exec, exec, s[4:5]
	s_waitcnt lgkmcnt(0)
	; wave barrier
	s_waitcnt lgkmcnt(0)
	buffer_load_dword v13, off, s[0:3], 0 offset:404
	buffer_load_dword v15, off, s[0:3], 0 offset:412
	;; [unrolled: 1-line block ×10, first 2 shown]
	ds_read_b128 v[4:7], v2 offset:832
	ds_read_b128 v[8:11], v2 offset:848
	v_cmp_lt_u32_e32 vcc, 48, v0
	s_waitcnt vmcnt(9)
	v_mov_b32_e32 v2, v13
	s_waitcnt vmcnt(8)
	v_mov_b32_e32 v22, v15
	s_waitcnt lgkmcnt(1)
	v_pk_mul_f32 v[2:3], v[4:5], v[2:3] op_sel_hi:[1,0]
	s_waitcnt vmcnt(7)
	v_mov_b32_e32 v24, v17
	v_pk_mul_f32 v[22:23], v[6:7], v[22:23] op_sel_hi:[1,0]
	s_waitcnt vmcnt(5)
	v_pk_fma_f32 v[28:29], v[4:5], v[12:13], v[2:3] op_sel:[0,0,1] op_sel_hi:[1,1,0] neg_lo:[0,0,1] neg_hi:[0,0,1]
	v_pk_fma_f32 v[2:3], v[4:5], v[12:13], v[2:3] op_sel:[0,0,1] op_sel_hi:[1,0,0]
	v_mov_b32_e32 v26, v19
	s_waitcnt lgkmcnt(0)
	v_pk_mul_f32 v[24:25], v[8:9], v[24:25] op_sel_hi:[1,0]
	s_waitcnt vmcnt(4)
	v_pk_fma_f32 v[4:5], v[6:7], v[14:15], v[22:23] op_sel:[0,0,1] op_sel_hi:[1,1,0] neg_lo:[0,0,1] neg_hi:[0,0,1]
	v_pk_fma_f32 v[6:7], v[6:7], v[14:15], v[22:23] op_sel:[0,0,1] op_sel_hi:[1,0,0]
	v_mov_b32_e32 v29, v3
	v_pk_mul_f32 v[26:27], v[10:11], v[26:27] op_sel_hi:[1,0]
	s_waitcnt vmcnt(3)
	v_pk_fma_f32 v[12:13], v[8:9], v[16:17], v[24:25] op_sel:[0,0,1] op_sel_hi:[1,1,0] neg_lo:[0,0,1] neg_hi:[0,0,1]
	v_pk_fma_f32 v[8:9], v[8:9], v[16:17], v[24:25] op_sel:[0,0,1] op_sel_hi:[1,0,0]
	v_mov_b32_e32 v5, v7
	v_pk_add_f32 v[2:3], v[28:29], 0 op_sel_hi:[1,0]
	s_waitcnt vmcnt(2)
	v_pk_fma_f32 v[14:15], v[10:11], v[18:19], v[26:27] op_sel:[0,0,1] op_sel_hi:[1,1,0] neg_lo:[0,0,1] neg_hi:[0,0,1]
	v_pk_fma_f32 v[10:11], v[10:11], v[18:19], v[26:27] op_sel:[0,0,1] op_sel_hi:[1,0,0]
	v_mov_b32_e32 v13, v9
	v_pk_add_f32 v[2:3], v[2:3], v[4:5]
	v_mov_b32_e32 v15, v11
	v_pk_add_f32 v[2:3], v[2:3], v[12:13]
	v_pk_add_f32 v[2:3], v[2:3], v[14:15]
	s_waitcnt vmcnt(0)
	v_pk_add_f32 v[2:3], v[20:21], v[2:3] neg_lo:[0,1] neg_hi:[0,1]
	buffer_store_dword v2, off, s[0:3], 0 offset:392
	buffer_store_dword v3, off, s[0:3], 0 offset:396
	s_and_saveexec_b64 s[4:5], vcc
	s_cbranch_execz .LBB117_241
; %bb.240:
	buffer_load_dword v2, off, s[0:3], 0 offset:384
	buffer_load_dword v3, off, s[0:3], 0 offset:388
	v_mov_b32_e32 v4, 0
	buffer_store_dword v4, off, s[0:3], 0 offset:384
	buffer_store_dword v4, off, s[0:3], 0 offset:388
	s_waitcnt vmcnt(2)
	ds_write_b64 v143, v[2:3]
.LBB117_241:
	s_or_b64 exec, exec, s[4:5]
	s_waitcnt lgkmcnt(0)
	; wave barrier
	s_waitcnt lgkmcnt(0)
	buffer_load_dword v13, off, s[0:3], 0 offset:396
	buffer_load_dword v15, off, s[0:3], 0 offset:404
	;; [unrolled: 1-line block ×12, first 2 shown]
	v_mov_b32_e32 v2, 0
	ds_read2_b64 v[4:7], v2 offset0:103 offset1:104
	ds_read2_b64 v[8:11], v2 offset0:105 offset1:106
	ds_read_b64 v[24:25], v2 offset:856
	v_cmp_lt_u32_e32 vcc, 47, v0
	s_waitcnt vmcnt(11)
	v_mov_b32_e32 v26, v13
	s_waitcnt vmcnt(10)
	v_mov_b32_e32 v28, v15
	s_waitcnt lgkmcnt(2)
	v_pk_mul_f32 v[26:27], v[4:5], v[26:27] op_sel_hi:[1,0]
	s_waitcnt vmcnt(9)
	v_mov_b32_e32 v30, v17
	v_pk_mul_f32 v[28:29], v[6:7], v[28:29] op_sel_hi:[1,0]
	s_waitcnt vmcnt(6)
	v_pk_fma_f32 v[36:37], v[4:5], v[12:13], v[26:27] op_sel:[0,0,1] op_sel_hi:[1,1,0] neg_lo:[0,0,1] neg_hi:[0,0,1]
	v_pk_fma_f32 v[4:5], v[4:5], v[12:13], v[26:27] op_sel:[0,0,1] op_sel_hi:[1,0,0]
	v_mov_b32_e32 v32, v19
	s_waitcnt lgkmcnt(1)
	v_pk_mul_f32 v[30:31], v[8:9], v[30:31] op_sel_hi:[1,0]
	s_waitcnt vmcnt(5)
	v_pk_fma_f32 v[12:13], v[6:7], v[14:15], v[28:29] op_sel:[0,0,1] op_sel_hi:[1,1,0] neg_lo:[0,0,1] neg_hi:[0,0,1]
	v_pk_fma_f32 v[6:7], v[6:7], v[14:15], v[28:29] op_sel:[0,0,1] op_sel_hi:[1,0,0]
	v_mov_b32_e32 v37, v5
	v_mov_b32_e32 v34, v21
	v_pk_mul_f32 v[32:33], v[10:11], v[32:33] op_sel_hi:[1,0]
	s_waitcnt vmcnt(4)
	v_pk_fma_f32 v[14:15], v[8:9], v[16:17], v[30:31] op_sel:[0,0,1] op_sel_hi:[1,1,0] neg_lo:[0,0,1] neg_hi:[0,0,1]
	v_pk_fma_f32 v[8:9], v[8:9], v[16:17], v[30:31] op_sel:[0,0,1] op_sel_hi:[1,0,0]
	v_mov_b32_e32 v13, v7
	v_pk_add_f32 v[4:5], v[36:37], 0 op_sel_hi:[1,0]
	s_waitcnt lgkmcnt(0)
	v_pk_mul_f32 v[34:35], v[24:25], v[34:35] op_sel_hi:[1,0]
	s_waitcnt vmcnt(3)
	v_pk_fma_f32 v[16:17], v[10:11], v[18:19], v[32:33] op_sel:[0,0,1] op_sel_hi:[1,1,0] neg_lo:[0,0,1] neg_hi:[0,0,1]
	v_pk_fma_f32 v[10:11], v[10:11], v[18:19], v[32:33] op_sel:[0,0,1] op_sel_hi:[1,0,0]
	v_mov_b32_e32 v15, v9
	v_pk_add_f32 v[4:5], v[4:5], v[12:13]
	s_waitcnt vmcnt(2)
	v_pk_fma_f32 v[18:19], v[24:25], v[20:21], v[34:35] op_sel:[0,0,1] op_sel_hi:[1,1,0] neg_lo:[0,0,1] neg_hi:[0,0,1]
	v_pk_fma_f32 v[20:21], v[24:25], v[20:21], v[34:35] op_sel:[0,0,1] op_sel_hi:[1,0,0]
	v_mov_b32_e32 v17, v11
	v_pk_add_f32 v[4:5], v[4:5], v[14:15]
	v_mov_b32_e32 v19, v21
	v_pk_add_f32 v[4:5], v[4:5], v[16:17]
	v_pk_add_f32 v[4:5], v[4:5], v[18:19]
	s_waitcnt vmcnt(0)
	v_pk_add_f32 v[4:5], v[22:23], v[4:5] neg_lo:[0,1] neg_hi:[0,1]
	buffer_store_dword v4, off, s[0:3], 0 offset:384
	buffer_store_dword v5, off, s[0:3], 0 offset:388
	s_and_saveexec_b64 s[4:5], vcc
	s_cbranch_execz .LBB117_243
; %bb.242:
	buffer_load_dword v4, off, s[0:3], 0 offset:376
	buffer_load_dword v5, off, s[0:3], 0 offset:380
	s_waitcnt vmcnt(0)
	ds_write_b64 v143, v[4:5]
	buffer_store_dword v2, off, s[0:3], 0 offset:376
	buffer_store_dword v2, off, s[0:3], 0 offset:380
.LBB117_243:
	s_or_b64 exec, exec, s[4:5]
	s_waitcnt lgkmcnt(0)
	; wave barrier
	s_waitcnt lgkmcnt(0)
	buffer_load_dword v17, off, s[0:3], 0 offset:388
	buffer_load_dword v19, off, s[0:3], 0 offset:396
	;; [unrolled: 1-line block ×14, first 2 shown]
	ds_read_b128 v[4:7], v2 offset:816
	ds_read_b128 v[8:11], v2 offset:832
	;; [unrolled: 1-line block ×3, first 2 shown]
	v_cmp_lt_u32_e32 vcc, 46, v0
	s_waitcnt vmcnt(13)
	v_mov_b32_e32 v2, v17
	s_waitcnt vmcnt(12)
	v_mov_b32_e32 v30, v19
	s_waitcnt lgkmcnt(2)
	v_pk_mul_f32 v[2:3], v[4:5], v[2:3] op_sel_hi:[1,0]
	s_waitcnt vmcnt(11)
	v_mov_b32_e32 v32, v21
	v_pk_mul_f32 v[30:31], v[6:7], v[30:31] op_sel_hi:[1,0]
	s_waitcnt vmcnt(10)
	v_mov_b32_e32 v34, v23
	s_waitcnt vmcnt(7)
	v_pk_fma_f32 v[40:41], v[4:5], v[16:17], v[2:3] op_sel:[0,0,1] op_sel_hi:[1,1,0] neg_lo:[0,0,1] neg_hi:[0,0,1]
	v_pk_fma_f32 v[2:3], v[4:5], v[16:17], v[2:3] op_sel:[0,0,1] op_sel_hi:[1,0,0]
	s_waitcnt lgkmcnt(1)
	v_pk_mul_f32 v[32:33], v[8:9], v[32:33] op_sel_hi:[1,0]
	s_waitcnt vmcnt(6)
	v_pk_fma_f32 v[4:5], v[6:7], v[18:19], v[30:31] op_sel:[0,0,1] op_sel_hi:[1,1,0] neg_lo:[0,0,1] neg_hi:[0,0,1]
	v_pk_fma_f32 v[6:7], v[6:7], v[18:19], v[30:31] op_sel:[0,0,1] op_sel_hi:[1,0,0]
	v_mov_b32_e32 v41, v3
	v_mov_b32_e32 v36, v25
	v_pk_mul_f32 v[34:35], v[10:11], v[34:35] op_sel_hi:[1,0]
	s_waitcnt vmcnt(5)
	v_pk_fma_f32 v[16:17], v[8:9], v[20:21], v[32:33] op_sel:[0,0,1] op_sel_hi:[1,1,0] neg_lo:[0,0,1] neg_hi:[0,0,1]
	v_pk_fma_f32 v[8:9], v[8:9], v[20:21], v[32:33] op_sel:[0,0,1] op_sel_hi:[1,0,0]
	v_mov_b32_e32 v5, v7
	v_pk_add_f32 v[2:3], v[40:41], 0 op_sel_hi:[1,0]
	v_mov_b32_e32 v38, v27
	s_waitcnt lgkmcnt(0)
	v_pk_mul_f32 v[36:37], v[12:13], v[36:37] op_sel_hi:[1,0]
	s_waitcnt vmcnt(4)
	v_pk_fma_f32 v[18:19], v[10:11], v[22:23], v[34:35] op_sel:[0,0,1] op_sel_hi:[1,1,0] neg_lo:[0,0,1] neg_hi:[0,0,1]
	v_pk_fma_f32 v[10:11], v[10:11], v[22:23], v[34:35] op_sel:[0,0,1] op_sel_hi:[1,0,0]
	v_mov_b32_e32 v17, v9
	v_pk_add_f32 v[2:3], v[2:3], v[4:5]
	v_pk_mul_f32 v[38:39], v[14:15], v[38:39] op_sel_hi:[1,0]
	s_waitcnt vmcnt(3)
	v_pk_fma_f32 v[20:21], v[12:13], v[24:25], v[36:37] op_sel:[0,0,1] op_sel_hi:[1,1,0] neg_lo:[0,0,1] neg_hi:[0,0,1]
	v_pk_fma_f32 v[12:13], v[12:13], v[24:25], v[36:37] op_sel:[0,0,1] op_sel_hi:[1,0,0]
	v_mov_b32_e32 v19, v11
	v_pk_add_f32 v[2:3], v[2:3], v[16:17]
	s_waitcnt vmcnt(2)
	v_pk_fma_f32 v[22:23], v[14:15], v[26:27], v[38:39] op_sel:[0,0,1] op_sel_hi:[1,1,0] neg_lo:[0,0,1] neg_hi:[0,0,1]
	v_pk_fma_f32 v[14:15], v[14:15], v[26:27], v[38:39] op_sel:[0,0,1] op_sel_hi:[1,0,0]
	v_mov_b32_e32 v21, v13
	v_pk_add_f32 v[2:3], v[2:3], v[18:19]
	v_mov_b32_e32 v23, v15
	v_pk_add_f32 v[2:3], v[2:3], v[20:21]
	v_pk_add_f32 v[2:3], v[2:3], v[22:23]
	s_waitcnt vmcnt(0)
	v_pk_add_f32 v[2:3], v[28:29], v[2:3] neg_lo:[0,1] neg_hi:[0,1]
	buffer_store_dword v2, off, s[0:3], 0 offset:376
	buffer_store_dword v3, off, s[0:3], 0 offset:380
	s_and_saveexec_b64 s[4:5], vcc
	s_cbranch_execz .LBB117_245
; %bb.244:
	buffer_load_dword v2, off, s[0:3], 0 offset:368
	buffer_load_dword v3, off, s[0:3], 0 offset:372
	v_mov_b32_e32 v4, 0
	buffer_store_dword v4, off, s[0:3], 0 offset:368
	buffer_store_dword v4, off, s[0:3], 0 offset:372
	s_waitcnt vmcnt(2)
	ds_write_b64 v143, v[2:3]
.LBB117_245:
	s_or_b64 exec, exec, s[4:5]
	s_waitcnt lgkmcnt(0)
	; wave barrier
	s_waitcnt lgkmcnt(0)
	buffer_load_dword v17, off, s[0:3], 0 offset:380
	buffer_load_dword v19, off, s[0:3], 0 offset:388
	;; [unrolled: 1-line block ×16, first 2 shown]
	v_mov_b32_e32 v2, 0
	ds_read2_b64 v[4:7], v2 offset0:101 offset1:102
	ds_read2_b64 v[8:11], v2 offset0:103 offset1:104
	;; [unrolled: 1-line block ×3, first 2 shown]
	ds_read_b64 v[32:33], v2 offset:856
	v_cmp_lt_u32_e32 vcc, 45, v0
	s_waitcnt vmcnt(15)
	v_mov_b32_e32 v34, v17
	s_waitcnt vmcnt(14)
	v_mov_b32_e32 v36, v19
	s_waitcnt lgkmcnt(3)
	v_pk_mul_f32 v[34:35], v[4:5], v[34:35] op_sel_hi:[1,0]
	s_waitcnt vmcnt(13)
	v_mov_b32_e32 v38, v21
	v_pk_mul_f32 v[36:37], v[6:7], v[36:37] op_sel_hi:[1,0]
	s_waitcnt vmcnt(12)
	v_mov_b32_e32 v40, v23
	s_waitcnt lgkmcnt(2)
	v_pk_mul_f32 v[38:39], v[8:9], v[38:39] op_sel_hi:[1,0]
	s_waitcnt vmcnt(8)
	v_pk_fma_f32 v[48:49], v[4:5], v[16:17], v[34:35] op_sel:[0,0,1] op_sel_hi:[1,1,0] neg_lo:[0,0,1] neg_hi:[0,0,1]
	v_pk_fma_f32 v[4:5], v[4:5], v[16:17], v[34:35] op_sel:[0,0,1] op_sel_hi:[1,0,0]
	s_waitcnt vmcnt(7)
	v_pk_fma_f32 v[16:17], v[6:7], v[18:19], v[36:37] op_sel:[0,0,1] op_sel_hi:[1,1,0] neg_lo:[0,0,1] neg_hi:[0,0,1]
	v_pk_fma_f32 v[6:7], v[6:7], v[18:19], v[36:37] op_sel:[0,0,1] op_sel_hi:[1,0,0]
	v_mov_b32_e32 v49, v5
	v_mov_b32_e32 v42, v25
	v_pk_mul_f32 v[40:41], v[10:11], v[40:41] op_sel_hi:[1,0]
	s_waitcnt vmcnt(6)
	v_pk_fma_f32 v[18:19], v[8:9], v[20:21], v[38:39] op_sel:[0,0,1] op_sel_hi:[1,1,0] neg_lo:[0,0,1] neg_hi:[0,0,1]
	v_pk_fma_f32 v[8:9], v[8:9], v[20:21], v[38:39] op_sel:[0,0,1] op_sel_hi:[1,0,0]
	v_mov_b32_e32 v17, v7
	v_pk_add_f32 v[4:5], v[48:49], 0 op_sel_hi:[1,0]
	v_mov_b32_e32 v44, v27
	s_waitcnt lgkmcnt(1)
	v_pk_mul_f32 v[42:43], v[12:13], v[42:43] op_sel_hi:[1,0]
	s_waitcnt vmcnt(5)
	v_pk_fma_f32 v[20:21], v[10:11], v[22:23], v[40:41] op_sel:[0,0,1] op_sel_hi:[1,1,0] neg_lo:[0,0,1] neg_hi:[0,0,1]
	v_pk_fma_f32 v[10:11], v[10:11], v[22:23], v[40:41] op_sel:[0,0,1] op_sel_hi:[1,0,0]
	v_mov_b32_e32 v19, v9
	v_pk_add_f32 v[4:5], v[4:5], v[16:17]
	v_mov_b32_e32 v46, v29
	v_pk_mul_f32 v[44:45], v[14:15], v[44:45] op_sel_hi:[1,0]
	s_waitcnt vmcnt(4)
	v_pk_fma_f32 v[22:23], v[12:13], v[24:25], v[42:43] op_sel:[0,0,1] op_sel_hi:[1,1,0] neg_lo:[0,0,1] neg_hi:[0,0,1]
	v_pk_fma_f32 v[12:13], v[12:13], v[24:25], v[42:43] op_sel:[0,0,1] op_sel_hi:[1,0,0]
	v_mov_b32_e32 v21, v11
	v_pk_add_f32 v[4:5], v[4:5], v[18:19]
	s_waitcnt lgkmcnt(0)
	v_pk_mul_f32 v[46:47], v[32:33], v[46:47] op_sel_hi:[1,0]
	s_waitcnt vmcnt(3)
	v_pk_fma_f32 v[24:25], v[14:15], v[26:27], v[44:45] op_sel:[0,0,1] op_sel_hi:[1,1,0] neg_lo:[0,0,1] neg_hi:[0,0,1]
	v_pk_fma_f32 v[14:15], v[14:15], v[26:27], v[44:45] op_sel:[0,0,1] op_sel_hi:[1,0,0]
	v_mov_b32_e32 v23, v13
	v_pk_add_f32 v[4:5], v[4:5], v[20:21]
	s_waitcnt vmcnt(2)
	v_pk_fma_f32 v[26:27], v[32:33], v[28:29], v[46:47] op_sel:[0,0,1] op_sel_hi:[1,1,0] neg_lo:[0,0,1] neg_hi:[0,0,1]
	v_pk_fma_f32 v[28:29], v[32:33], v[28:29], v[46:47] op_sel:[0,0,1] op_sel_hi:[1,0,0]
	v_mov_b32_e32 v25, v15
	v_pk_add_f32 v[4:5], v[4:5], v[22:23]
	v_mov_b32_e32 v27, v29
	v_pk_add_f32 v[4:5], v[4:5], v[24:25]
	v_pk_add_f32 v[4:5], v[4:5], v[26:27]
	s_waitcnt vmcnt(0)
	v_pk_add_f32 v[4:5], v[30:31], v[4:5] neg_lo:[0,1] neg_hi:[0,1]
	buffer_store_dword v4, off, s[0:3], 0 offset:368
	buffer_store_dword v5, off, s[0:3], 0 offset:372
	s_and_saveexec_b64 s[4:5], vcc
	s_cbranch_execz .LBB117_247
; %bb.246:
	buffer_load_dword v4, off, s[0:3], 0 offset:360
	buffer_load_dword v5, off, s[0:3], 0 offset:364
	s_waitcnt vmcnt(0)
	ds_write_b64 v143, v[4:5]
	buffer_store_dword v2, off, s[0:3], 0 offset:360
	buffer_store_dword v2, off, s[0:3], 0 offset:364
.LBB117_247:
	s_or_b64 exec, exec, s[4:5]
	s_waitcnt lgkmcnt(0)
	; wave barrier
	s_waitcnt lgkmcnt(0)
	buffer_load_dword v21, off, s[0:3], 0 offset:372
	buffer_load_dword v23, off, s[0:3], 0 offset:380
	;; [unrolled: 1-line block ×18, first 2 shown]
	ds_read_b128 v[4:7], v2 offset:800
	ds_read_b128 v[8:11], v2 offset:816
	;; [unrolled: 1-line block ×4, first 2 shown]
	v_cmp_lt_u32_e32 vcc, 44, v0
	s_waitcnt vmcnt(17)
	v_mov_b32_e32 v2, v21
	s_waitcnt vmcnt(16)
	v_mov_b32_e32 v38, v23
	s_waitcnt lgkmcnt(3)
	v_pk_mul_f32 v[2:3], v[4:5], v[2:3] op_sel_hi:[1,0]
	s_waitcnt vmcnt(15)
	v_mov_b32_e32 v40, v25
	v_pk_mul_f32 v[38:39], v[6:7], v[38:39] op_sel_hi:[1,0]
	s_waitcnt vmcnt(14)
	v_mov_b32_e32 v42, v27
	s_waitcnt lgkmcnt(2)
	v_pk_mul_f32 v[40:41], v[8:9], v[40:41] op_sel_hi:[1,0]
	s_waitcnt vmcnt(13)
	v_mov_b32_e32 v44, v29
	s_waitcnt vmcnt(9)
	v_pk_fma_f32 v[52:53], v[4:5], v[20:21], v[2:3] op_sel:[0,0,1] op_sel_hi:[1,1,0] neg_lo:[0,0,1] neg_hi:[0,0,1]
	v_pk_fma_f32 v[2:3], v[4:5], v[20:21], v[2:3] op_sel:[0,0,1] op_sel_hi:[1,0,0]
	s_waitcnt vmcnt(8)
	v_pk_fma_f32 v[4:5], v[6:7], v[22:23], v[38:39] op_sel:[0,0,1] op_sel_hi:[1,1,0] neg_lo:[0,0,1] neg_hi:[0,0,1]
	v_pk_fma_f32 v[6:7], v[6:7], v[22:23], v[38:39] op_sel:[0,0,1] op_sel_hi:[1,0,0]
	v_mov_b32_e32 v53, v3
	v_pk_mul_f32 v[42:43], v[10:11], v[42:43] op_sel_hi:[1,0]
	s_waitcnt vmcnt(7)
	v_pk_fma_f32 v[20:21], v[8:9], v[24:25], v[40:41] op_sel:[0,0,1] op_sel_hi:[1,1,0] neg_lo:[0,0,1] neg_hi:[0,0,1]
	v_pk_fma_f32 v[8:9], v[8:9], v[24:25], v[40:41] op_sel:[0,0,1] op_sel_hi:[1,0,0]
	v_mov_b32_e32 v5, v7
	v_pk_add_f32 v[2:3], v[52:53], 0 op_sel_hi:[1,0]
	v_mov_b32_e32 v46, v31
	s_waitcnt lgkmcnt(1)
	v_pk_mul_f32 v[44:45], v[12:13], v[44:45] op_sel_hi:[1,0]
	s_waitcnt vmcnt(6)
	v_pk_fma_f32 v[22:23], v[10:11], v[26:27], v[42:43] op_sel:[0,0,1] op_sel_hi:[1,1,0] neg_lo:[0,0,1] neg_hi:[0,0,1]
	v_pk_fma_f32 v[10:11], v[10:11], v[26:27], v[42:43] op_sel:[0,0,1] op_sel_hi:[1,0,0]
	v_mov_b32_e32 v21, v9
	v_pk_add_f32 v[2:3], v[2:3], v[4:5]
	v_mov_b32_e32 v48, v33
	v_pk_mul_f32 v[46:47], v[14:15], v[46:47] op_sel_hi:[1,0]
	s_waitcnt vmcnt(5)
	v_pk_fma_f32 v[24:25], v[12:13], v[28:29], v[44:45] op_sel:[0,0,1] op_sel_hi:[1,1,0] neg_lo:[0,0,1] neg_hi:[0,0,1]
	v_pk_fma_f32 v[12:13], v[12:13], v[28:29], v[44:45] op_sel:[0,0,1] op_sel_hi:[1,0,0]
	v_mov_b32_e32 v23, v11
	v_pk_add_f32 v[2:3], v[2:3], v[20:21]
	v_mov_b32_e32 v50, v35
	s_waitcnt lgkmcnt(0)
	v_pk_mul_f32 v[48:49], v[16:17], v[48:49] op_sel_hi:[1,0]
	s_waitcnt vmcnt(4)
	v_pk_fma_f32 v[26:27], v[14:15], v[30:31], v[46:47] op_sel:[0,0,1] op_sel_hi:[1,1,0] neg_lo:[0,0,1] neg_hi:[0,0,1]
	v_pk_fma_f32 v[14:15], v[14:15], v[30:31], v[46:47] op_sel:[0,0,1] op_sel_hi:[1,0,0]
	v_mov_b32_e32 v25, v13
	v_pk_add_f32 v[2:3], v[2:3], v[22:23]
	v_pk_mul_f32 v[50:51], v[18:19], v[50:51] op_sel_hi:[1,0]
	s_waitcnt vmcnt(3)
	v_pk_fma_f32 v[28:29], v[16:17], v[32:33], v[48:49] op_sel:[0,0,1] op_sel_hi:[1,1,0] neg_lo:[0,0,1] neg_hi:[0,0,1]
	v_pk_fma_f32 v[16:17], v[16:17], v[32:33], v[48:49] op_sel:[0,0,1] op_sel_hi:[1,0,0]
	v_mov_b32_e32 v27, v15
	v_pk_add_f32 v[2:3], v[2:3], v[24:25]
	s_waitcnt vmcnt(2)
	v_pk_fma_f32 v[30:31], v[18:19], v[34:35], v[50:51] op_sel:[0,0,1] op_sel_hi:[1,1,0] neg_lo:[0,0,1] neg_hi:[0,0,1]
	v_pk_fma_f32 v[18:19], v[18:19], v[34:35], v[50:51] op_sel:[0,0,1] op_sel_hi:[1,0,0]
	v_mov_b32_e32 v29, v17
	v_pk_add_f32 v[2:3], v[2:3], v[26:27]
	v_mov_b32_e32 v31, v19
	v_pk_add_f32 v[2:3], v[2:3], v[28:29]
	v_pk_add_f32 v[2:3], v[2:3], v[30:31]
	s_waitcnt vmcnt(0)
	v_pk_add_f32 v[2:3], v[36:37], v[2:3] neg_lo:[0,1] neg_hi:[0,1]
	buffer_store_dword v2, off, s[0:3], 0 offset:360
	buffer_store_dword v3, off, s[0:3], 0 offset:364
	s_and_saveexec_b64 s[4:5], vcc
	s_cbranch_execz .LBB117_249
; %bb.248:
	buffer_load_dword v2, off, s[0:3], 0 offset:352
	buffer_load_dword v3, off, s[0:3], 0 offset:356
	v_mov_b32_e32 v4, 0
	buffer_store_dword v4, off, s[0:3], 0 offset:352
	buffer_store_dword v4, off, s[0:3], 0 offset:356
	s_waitcnt vmcnt(2)
	ds_write_b64 v143, v[2:3]
.LBB117_249:
	s_or_b64 exec, exec, s[4:5]
	s_waitcnt lgkmcnt(0)
	; wave barrier
	s_waitcnt lgkmcnt(0)
	buffer_load_dword v3, off, s[0:3], 0 offset:364
	buffer_load_dword v21, off, s[0:3], 0 offset:372
	;; [unrolled: 1-line block ×20, first 2 shown]
	v_mov_b32_e32 v2, 0
	ds_read2_b64 v[4:7], v2 offset0:99 offset1:100
	ds_read2_b64 v[8:11], v2 offset0:101 offset1:102
	;; [unrolled: 1-line block ×4, first 2 shown]
	ds_read_b64 v[38:39], v2 offset:856
	v_cmp_lt_u32_e32 vcc, 43, v0
	s_waitcnt vmcnt(19) lgkmcnt(4)
	v_mul_f32_e32 v41, v4, v3
	v_mul_f32_e32 v3, v5, v3
	s_waitcnt vmcnt(18)
	v_mov_b32_e32 v42, v21
	s_waitcnt vmcnt(17)
	v_mov_b32_e32 v44, v23
	;; [unrolled: 2-line block ×8, first 2 shown]
	s_waitcnt vmcnt(10)
	v_fmac_f32_e32 v41, v5, v40
	v_fma_f32 v40, v4, v40, -v3
	v_pk_mul_f32 v[4:5], v[6:7], v[42:43] op_sel_hi:[1,0]
	s_waitcnt lgkmcnt(3)
	v_pk_mul_f32 v[42:43], v[8:9], v[44:45] op_sel_hi:[1,0]
	v_pk_mul_f32 v[44:45], v[10:11], v[46:47] op_sel_hi:[1,0]
	s_waitcnt lgkmcnt(2)
	v_pk_mul_f32 v[46:47], v[12:13], v[48:49] op_sel_hi:[1,0]
	;; [unrolled: 3-line block ×4, first 2 shown]
	s_waitcnt vmcnt(9)
	v_pk_fma_f32 v[56:57], v[6:7], v[20:21], v[4:5] op_sel:[0,0,1] op_sel_hi:[1,1,0] neg_lo:[0,0,1] neg_hi:[0,0,1]
	v_pk_fma_f32 v[4:5], v[6:7], v[20:21], v[4:5] op_sel:[0,0,1] op_sel_hi:[1,0,0]
	v_pk_add_f32 v[40:41], v[40:41], 0 op_sel_hi:[1,0]
	s_waitcnt vmcnt(8)
	v_pk_fma_f32 v[6:7], v[8:9], v[22:23], v[42:43] op_sel:[0,0,1] op_sel_hi:[1,1,0] neg_lo:[0,0,1] neg_hi:[0,0,1]
	v_pk_fma_f32 v[8:9], v[8:9], v[22:23], v[42:43] op_sel:[0,0,1] op_sel_hi:[1,0,0]
	v_mov_b32_e32 v57, v5
	s_waitcnt vmcnt(7)
	v_pk_fma_f32 v[20:21], v[10:11], v[24:25], v[44:45] op_sel:[0,0,1] op_sel_hi:[1,1,0] neg_lo:[0,0,1] neg_hi:[0,0,1]
	v_pk_fma_f32 v[10:11], v[10:11], v[24:25], v[44:45] op_sel:[0,0,1] op_sel_hi:[1,0,0]
	v_mov_b32_e32 v7, v9
	v_pk_add_f32 v[4:5], v[40:41], v[56:57]
	s_waitcnt vmcnt(6)
	v_pk_fma_f32 v[22:23], v[12:13], v[26:27], v[46:47] op_sel:[0,0,1] op_sel_hi:[1,1,0] neg_lo:[0,0,1] neg_hi:[0,0,1]
	v_pk_fma_f32 v[12:13], v[12:13], v[26:27], v[46:47] op_sel:[0,0,1] op_sel_hi:[1,0,0]
	v_mov_b32_e32 v21, v11
	v_pk_add_f32 v[4:5], v[4:5], v[6:7]
	s_waitcnt vmcnt(5)
	v_pk_fma_f32 v[24:25], v[14:15], v[28:29], v[48:49] op_sel:[0,0,1] op_sel_hi:[1,1,0] neg_lo:[0,0,1] neg_hi:[0,0,1]
	v_pk_fma_f32 v[14:15], v[14:15], v[28:29], v[48:49] op_sel:[0,0,1] op_sel_hi:[1,0,0]
	v_mov_b32_e32 v23, v13
	v_pk_add_f32 v[4:5], v[4:5], v[20:21]
	s_waitcnt vmcnt(4)
	v_pk_fma_f32 v[26:27], v[16:17], v[30:31], v[50:51] op_sel:[0,0,1] op_sel_hi:[1,1,0] neg_lo:[0,0,1] neg_hi:[0,0,1]
	v_pk_fma_f32 v[16:17], v[16:17], v[30:31], v[50:51] op_sel:[0,0,1] op_sel_hi:[1,0,0]
	v_mov_b32_e32 v25, v15
	v_pk_add_f32 v[4:5], v[4:5], v[22:23]
	s_waitcnt vmcnt(2)
	v_pk_fma_f32 v[28:29], v[18:19], v[32:33], v[52:53] op_sel:[0,0,1] op_sel_hi:[1,1,0] neg_lo:[0,0,1] neg_hi:[0,0,1]
	v_pk_fma_f32 v[18:19], v[18:19], v[32:33], v[52:53] op_sel:[0,0,1] op_sel_hi:[1,0,0]
	v_mov_b32_e32 v27, v17
	v_pk_add_f32 v[4:5], v[4:5], v[24:25]
	v_pk_fma_f32 v[30:31], v[38:39], v[34:35], v[54:55] op_sel:[0,0,1] op_sel_hi:[1,1,0] neg_lo:[0,0,1] neg_hi:[0,0,1]
	v_pk_fma_f32 v[32:33], v[38:39], v[34:35], v[54:55] op_sel:[0,0,1] op_sel_hi:[1,0,0]
	v_mov_b32_e32 v29, v19
	v_pk_add_f32 v[4:5], v[4:5], v[26:27]
	v_mov_b32_e32 v31, v33
	v_pk_add_f32 v[4:5], v[4:5], v[28:29]
	v_pk_add_f32 v[4:5], v[4:5], v[30:31]
	s_waitcnt vmcnt(0)
	v_pk_add_f32 v[4:5], v[36:37], v[4:5] neg_lo:[0,1] neg_hi:[0,1]
	buffer_store_dword v4, off, s[0:3], 0 offset:352
	buffer_store_dword v5, off, s[0:3], 0 offset:356
	s_and_saveexec_b64 s[4:5], vcc
	s_cbranch_execz .LBB117_251
; %bb.250:
	buffer_load_dword v4, off, s[0:3], 0 offset:344
	buffer_load_dword v5, off, s[0:3], 0 offset:348
	s_waitcnt vmcnt(0)
	ds_write_b64 v143, v[4:5]
	buffer_store_dword v2, off, s[0:3], 0 offset:344
	buffer_store_dword v2, off, s[0:3], 0 offset:348
.LBB117_251:
	s_or_b64 exec, exec, s[4:5]
	s_waitcnt lgkmcnt(0)
	; wave barrier
	s_waitcnt lgkmcnt(0)
	buffer_load_dword v42, off, s[0:3], 0 offset:356
	buffer_load_dword v44, off, s[0:3], 0 offset:364
	;; [unrolled: 1-line block ×22, first 2 shown]
	ds_read_b128 v[4:7], v2 offset:784
	ds_read_b128 v[8:11], v2 offset:800
	;; [unrolled: 1-line block ×5, first 2 shown]
	v_cmp_lt_u32_e32 vcc, 42, v0
	s_waitcnt vmcnt(21) lgkmcnt(4)
	v_mul_f32_e32 v3, v4, v42
	s_waitcnt vmcnt(20)
	v_mul_f32_e32 v43, v6, v44
	v_mul_f32_e32 v2, v5, v42
	;; [unrolled: 1-line block ×3, first 2 shown]
	s_waitcnt vmcnt(19)
	v_mov_b32_e32 v44, v25
	s_waitcnt vmcnt(18)
	v_mov_b32_e32 v46, v27
	;; [unrolled: 2-line block ×5, first 2 shown]
	v_mov_b32_e32 v50, v31
	s_waitcnt vmcnt(11)
	v_fmac_f32_e32 v3, v5, v45
	v_fma_f32 v2, v4, v45, -v2
	s_waitcnt lgkmcnt(3)
	v_pk_mul_f32 v[4:5], v[8:9], v[44:45] op_sel_hi:[1,0]
	s_waitcnt vmcnt(10)
	v_fmac_f32_e32 v43, v7, v47
	v_fma_f32 v42, v6, v47, -v42
	v_pk_mul_f32 v[6:7], v[10:11], v[46:47] op_sel_hi:[1,0]
	s_waitcnt lgkmcnt(2)
	v_pk_mul_f32 v[44:45], v[12:13], v[48:49] op_sel_hi:[1,0]
	s_waitcnt lgkmcnt(1)
	;; [unrolled: 2-line block ×3, first 2 shown]
	v_pk_mul_f32 v[52:53], v[20:21], v[56:57] op_sel_hi:[1,0]
	v_pk_add_f32 v[2:3], v[2:3], 0 op_sel_hi:[1,0]
	s_waitcnt vmcnt(9)
	v_pk_fma_f32 v[56:57], v[8:9], v[24:25], v[4:5] op_sel:[0,0,1] op_sel_hi:[1,1,0] neg_lo:[0,0,1] neg_hi:[0,0,1]
	v_pk_fma_f32 v[4:5], v[8:9], v[24:25], v[4:5] op_sel:[0,0,1] op_sel_hi:[1,0,0]
	s_waitcnt vmcnt(8)
	v_pk_fma_f32 v[8:9], v[10:11], v[26:27], v[6:7] op_sel:[0,0,1] op_sel_hi:[1,1,0] neg_lo:[0,0,1] neg_hi:[0,0,1]
	v_pk_fma_f32 v[6:7], v[10:11], v[26:27], v[6:7] op_sel:[0,0,1] op_sel_hi:[1,0,0]
	v_pk_add_f32 v[2:3], v[2:3], v[42:43]
	v_mov_b32_e32 v57, v5
	v_pk_mul_f32 v[46:47], v[14:15], v[50:51] op_sel_hi:[1,0]
	s_waitcnt vmcnt(7)
	v_pk_fma_f32 v[10:11], v[12:13], v[28:29], v[44:45] op_sel:[0,0,1] op_sel_hi:[1,1,0] neg_lo:[0,0,1] neg_hi:[0,0,1]
	v_pk_fma_f32 v[12:13], v[12:13], v[28:29], v[44:45] op_sel:[0,0,1] op_sel_hi:[1,0,0]
	v_mov_b32_e32 v9, v7
	v_pk_add_f32 v[2:3], v[2:3], v[56:57]
	v_mov_b32_e32 v54, v35
	s_waitcnt vmcnt(6)
	v_pk_fma_f32 v[24:25], v[14:15], v[30:31], v[46:47] op_sel:[0,0,1] op_sel_hi:[1,1,0] neg_lo:[0,0,1] neg_hi:[0,0,1]
	v_pk_fma_f32 v[14:15], v[14:15], v[30:31], v[46:47] op_sel:[0,0,1] op_sel_hi:[1,0,0]
	v_mov_b32_e32 v11, v13
	v_pk_add_f32 v[2:3], v[2:3], v[8:9]
	v_pk_mul_f32 v[50:51], v[18:19], v[54:55] op_sel_hi:[1,0]
	s_waitcnt vmcnt(5)
	v_pk_fma_f32 v[26:27], v[16:17], v[32:33], v[48:49] op_sel:[0,0,1] op_sel_hi:[1,1,0] neg_lo:[0,0,1] neg_hi:[0,0,1]
	v_pk_fma_f32 v[16:17], v[16:17], v[32:33], v[48:49] op_sel:[0,0,1] op_sel_hi:[1,0,0]
	v_mov_b32_e32 v25, v15
	v_pk_add_f32 v[2:3], v[2:3], v[10:11]
	v_mov_b32_e32 v58, v39
	s_waitcnt vmcnt(2)
	v_pk_fma_f32 v[28:29], v[18:19], v[34:35], v[50:51] op_sel:[0,0,1] op_sel_hi:[1,1,0] neg_lo:[0,0,1] neg_hi:[0,0,1]
	v_pk_fma_f32 v[18:19], v[18:19], v[34:35], v[50:51] op_sel:[0,0,1] op_sel_hi:[1,0,0]
	v_mov_b32_e32 v27, v17
	v_pk_add_f32 v[2:3], v[2:3], v[24:25]
	v_pk_mul_f32 v[54:55], v[22:23], v[58:59] op_sel_hi:[1,0]
	v_pk_fma_f32 v[30:31], v[20:21], v[36:37], v[52:53] op_sel:[0,0,1] op_sel_hi:[1,1,0] neg_lo:[0,0,1] neg_hi:[0,0,1]
	v_pk_fma_f32 v[20:21], v[20:21], v[36:37], v[52:53] op_sel:[0,0,1] op_sel_hi:[1,0,0]
	v_mov_b32_e32 v29, v19
	v_pk_add_f32 v[2:3], v[2:3], v[26:27]
	v_pk_fma_f32 v[32:33], v[22:23], v[38:39], v[54:55] op_sel:[0,0,1] op_sel_hi:[1,1,0] neg_lo:[0,0,1] neg_hi:[0,0,1]
	v_pk_fma_f32 v[22:23], v[22:23], v[38:39], v[54:55] op_sel:[0,0,1] op_sel_hi:[1,0,0]
	v_mov_b32_e32 v31, v21
	v_pk_add_f32 v[2:3], v[2:3], v[28:29]
	v_mov_b32_e32 v33, v23
	v_pk_add_f32 v[2:3], v[2:3], v[30:31]
	v_pk_add_f32 v[2:3], v[2:3], v[32:33]
	s_waitcnt vmcnt(0)
	v_pk_add_f32 v[2:3], v[40:41], v[2:3] neg_lo:[0,1] neg_hi:[0,1]
	buffer_store_dword v2, off, s[0:3], 0 offset:344
	buffer_store_dword v3, off, s[0:3], 0 offset:348
	s_and_saveexec_b64 s[4:5], vcc
	s_cbranch_execz .LBB117_253
; %bb.252:
	buffer_load_dword v2, off, s[0:3], 0 offset:336
	buffer_load_dword v3, off, s[0:3], 0 offset:340
	v_mov_b32_e32 v4, 0
	buffer_store_dword v4, off, s[0:3], 0 offset:336
	buffer_store_dword v4, off, s[0:3], 0 offset:340
	s_waitcnt vmcnt(2)
	ds_write_b64 v143, v[2:3]
.LBB117_253:
	s_or_b64 exec, exec, s[4:5]
	s_waitcnt lgkmcnt(0)
	; wave barrier
	s_waitcnt lgkmcnt(0)
	buffer_load_dword v5, off, s[0:3], 0 offset:348
	buffer_load_dword v44, off, s[0:3], 0 offset:356
	;; [unrolled: 1-line block ×24, first 2 shown]
	v_mov_b32_e32 v4, 0
	ds_read2_b64 v[6:9], v4 offset0:97 offset1:98
	ds_read2_b64 v[10:13], v4 offset0:99 offset1:100
	;; [unrolled: 1-line block ×5, first 2 shown]
	ds_read_b64 v[42:43], v4 offset:856
	v_cmp_lt_u32_e32 vcc, 41, v0
	s_waitcnt vmcnt(23) lgkmcnt(5)
	v_mul_f32_e32 v57, v6, v5
	v_mul_f32_e32 v5, v7, v5
	s_waitcnt vmcnt(22)
	v_mul_f32_e32 v45, v8, v44
	s_waitcnt vmcnt(21) lgkmcnt(4)
	v_mul_f32_e32 v47, v10, v46
	v_mul_f32_e32 v44, v9, v44
	;; [unrolled: 1-line block ×3, first 2 shown]
	s_waitcnt vmcnt(20)
	v_mov_b32_e32 v48, v3
	s_waitcnt vmcnt(19)
	v_mov_b32_e32 v50, v27
	;; [unrolled: 2-line block ×5, first 2 shown]
	s_waitcnt vmcnt(12)
	v_fmac_f32_e32 v57, v7, v49
	v_fma_f32 v5, v6, v49, -v5
	v_mov_b32_e32 v58, v35
	s_waitcnt vmcnt(11)
	v_fmac_f32_e32 v45, v9, v51
	s_waitcnt vmcnt(10)
	v_fmac_f32_e32 v47, v11, v53
	v_fma_f32 v44, v8, v51, -v44
	v_fma_f32 v46, v10, v53, -v46
	v_pk_mul_f32 v[6:7], v[12:13], v[48:49] op_sel_hi:[1,0]
	s_waitcnt lgkmcnt(3)
	v_pk_mul_f32 v[8:9], v[14:15], v[50:51] op_sel_hi:[1,0]
	v_pk_mul_f32 v[10:11], v[16:17], v[52:53] op_sel_hi:[1,0]
	s_waitcnt lgkmcnt(2)
	v_pk_mul_f32 v[48:49], v[18:19], v[54:55] op_sel_hi:[1,0]
	v_pk_mul_f32 v[50:51], v[20:21], v[56:57] op_sel_hi:[1,0]
	v_add_f32_e32 v57, 0, v57
	v_add_f32_e32 v56, 0, v5
	s_waitcnt lgkmcnt(1)
	v_pk_mul_f32 v[52:53], v[22:23], v[58:59] op_sel_hi:[1,0]
	s_waitcnt vmcnt(9)
	v_pk_fma_f32 v[58:59], v[12:13], v[2:3], v[6:7] op_sel:[0,0,1] op_sel_hi:[1,1,0] neg_lo:[0,0,1] neg_hi:[0,0,1]
	v_pk_fma_f32 v[2:3], v[12:13], v[2:3], v[6:7] op_sel:[0,0,1] op_sel_hi:[1,0,0]
	s_waitcnt vmcnt(8)
	v_pk_fma_f32 v[6:7], v[14:15], v[26:27], v[8:9] op_sel:[0,0,1] op_sel_hi:[1,1,0] neg_lo:[0,0,1] neg_hi:[0,0,1]
	v_pk_fma_f32 v[8:9], v[14:15], v[26:27], v[8:9] op_sel:[0,0,1] op_sel_hi:[1,0,0]
	;; [unrolled: 3-line block ×4, first 2 shown]
	v_pk_add_f32 v[30:31], v[56:57], v[44:45]
	v_mov_b32_e32 v59, v3
	v_pk_add_f32 v[2:3], v[30:31], v[46:47]
	v_mov_b32_e32 v7, v9
	;; [unrolled: 2-line block ×4, first 2 shown]
	s_waitcnt vmcnt(2)
	v_pk_fma_f32 v[18:19], v[20:21], v[32:33], v[50:51] op_sel:[0,0,1] op_sel_hi:[1,1,0] neg_lo:[0,0,1] neg_hi:[0,0,1]
	v_pk_fma_f32 v[20:21], v[20:21], v[32:33], v[50:51] op_sel:[0,0,1] op_sel_hi:[1,0,0]
	v_mov_b32_e32 v15, v17
	v_pk_add_f32 v[2:3], v[2:3], v[12:13]
	v_mov_b32_e32 v62, v39
	v_pk_mul_f32 v[54:55], v[24:25], v[60:61] op_sel_hi:[1,0]
	v_pk_fma_f32 v[26:27], v[22:23], v[34:35], v[52:53] op_sel:[0,0,1] op_sel_hi:[1,1,0] neg_lo:[0,0,1] neg_hi:[0,0,1]
	v_pk_fma_f32 v[22:23], v[22:23], v[34:35], v[52:53] op_sel:[0,0,1] op_sel_hi:[1,0,0]
	v_mov_b32_e32 v19, v21
	v_pk_add_f32 v[2:3], v[2:3], v[14:15]
	v_pk_fma_f32 v[28:29], v[24:25], v[36:37], v[54:55] op_sel:[0,0,1] op_sel_hi:[1,1,0] neg_lo:[0,0,1] neg_hi:[0,0,1]
	v_pk_fma_f32 v[24:25], v[24:25], v[36:37], v[54:55] op_sel:[0,0,1] op_sel_hi:[1,0,0]
	v_mov_b32_e32 v27, v23
	v_pk_add_f32 v[2:3], v[2:3], v[18:19]
	s_waitcnt lgkmcnt(0)
	v_pk_mul_f32 v[6:7], v[42:43], v[62:63] op_sel_hi:[1,0]
	v_mov_b32_e32 v29, v25
	v_pk_add_f32 v[2:3], v[2:3], v[26:27]
	v_pk_fma_f32 v[8:9], v[42:43], v[38:39], v[6:7] op_sel:[0,0,1] op_sel_hi:[1,1,0] neg_lo:[0,0,1] neg_hi:[0,0,1]
	v_pk_fma_f32 v[6:7], v[42:43], v[38:39], v[6:7] op_sel:[0,0,1] op_sel_hi:[1,0,0]
	v_pk_add_f32 v[2:3], v[2:3], v[28:29]
	v_mov_b32_e32 v9, v7
	v_pk_add_f32 v[2:3], v[2:3], v[8:9]
	s_waitcnt vmcnt(0)
	v_pk_add_f32 v[2:3], v[40:41], v[2:3] neg_lo:[0,1] neg_hi:[0,1]
	buffer_store_dword v3, off, s[0:3], 0 offset:340
	buffer_store_dword v2, off, s[0:3], 0 offset:336
	s_and_saveexec_b64 s[4:5], vcc
	s_cbranch_execz .LBB117_255
; %bb.254:
	buffer_load_dword v2, off, s[0:3], 0 offset:328
	buffer_load_dword v3, off, s[0:3], 0 offset:332
	s_waitcnt vmcnt(0)
	ds_write_b64 v143, v[2:3]
	buffer_store_dword v4, off, s[0:3], 0 offset:328
	buffer_store_dword v4, off, s[0:3], 0 offset:332
.LBB117_255:
	s_or_b64 exec, exec, s[4:5]
	s_waitcnt lgkmcnt(0)
	; wave barrier
	s_waitcnt lgkmcnt(0)
	ds_read_b128 v[6:9], v4 offset:768
	ds_read_b128 v[10:13], v4 offset:784
	;; [unrolled: 1-line block ×4, first 2 shown]
	buffer_load_dword v2, off, s[0:3], 0 offset:328
	buffer_load_dword v3, off, s[0:3], 0 offset:332
	;; [unrolled: 1-line block ×26, first 2 shown]
	v_cmp_lt_u32_e32 vcc, 40, v0
	s_waitcnt vmcnt(22) lgkmcnt(3)
	v_mul_f32_e32 v29, v6, v28
	v_fmac_f32_e32 v29, v7, v5
	v_mul_f32_e32 v7, v7, v28
	s_waitcnt vmcnt(20)
	v_mul_f32_e32 v31, v8, v32
	v_fma_f32 v5, v6, v5, -v7
	v_mul_f32_e32 v6, v9, v32
	v_add_f32_e32 v29, 0, v29
	v_fmac_f32_e32 v31, v9, v30
	v_add_f32_e32 v5, 0, v5
	v_fma_f32 v6, v8, v30, -v6
	v_add_f32_e32 v29, v29, v31
	s_waitcnt vmcnt(18) lgkmcnt(2)
	v_mul_f32_e32 v31, v10, v45
	v_add_f32_e32 v28, v5, v6
	v_mul_f32_e32 v5, v11, v45
	v_fmac_f32_e32 v31, v11, v44
	s_waitcnt vmcnt(16)
	v_mul_f32_e32 v33, v12, v47
	v_fma_f32 v30, v10, v44, -v5
	v_mul_f32_e32 v5, v13, v47
	v_fmac_f32_e32 v33, v13, v46
	v_fma_f32 v32, v12, v46, -v5
	ds_read_b128 v[6:9], v4 offset:832
	ds_read_b128 v[10:13], v4 offset:848
	v_pk_add_f32 v[4:5], v[28:29], v[30:31]
	s_waitcnt vmcnt(14)
	v_mov_b32_e32 v28, v23
	s_waitcnt lgkmcnt(3)
	v_pk_mul_f32 v[28:29], v[14:15], v[28:29] op_sel_hi:[1,0]
	v_pk_fma_f32 v[30:31], v[14:15], v[22:23], v[28:29] op_sel:[0,0,1] op_sel_hi:[1,1,0] neg_lo:[0,0,1] neg_hi:[0,0,1]
	v_pk_fma_f32 v[14:15], v[14:15], v[22:23], v[28:29] op_sel:[0,0,1] op_sel_hi:[1,0,0]
	s_waitcnt vmcnt(12)
	v_mov_b32_e32 v14, v25
	v_mov_b32_e32 v31, v15
	v_pk_mul_f32 v[14:15], v[16:17], v[14:15] op_sel_hi:[1,0]
	v_pk_fma_f32 v[22:23], v[16:17], v[24:25], v[14:15] op_sel:[0,0,1] op_sel_hi:[1,1,0] neg_lo:[0,0,1] neg_hi:[0,0,1]
	v_pk_fma_f32 v[14:15], v[16:17], v[24:25], v[14:15] op_sel:[0,0,1] op_sel_hi:[1,0,0]
	s_waitcnt vmcnt(10)
	v_mov_b32_e32 v14, v27
	v_mov_b32_e32 v23, v15
	s_waitcnt lgkmcnt(2)
	v_pk_mul_f32 v[14:15], v[18:19], v[14:15] op_sel_hi:[1,0]
	v_pk_add_f32 v[4:5], v[4:5], v[32:33]
	v_pk_fma_f32 v[16:17], v[18:19], v[26:27], v[14:15] op_sel:[0,0,1] op_sel_hi:[1,1,0] neg_lo:[0,0,1] neg_hi:[0,0,1]
	v_pk_fma_f32 v[14:15], v[18:19], v[26:27], v[14:15] op_sel:[0,0,1] op_sel_hi:[1,0,0]
	v_pk_add_f32 v[4:5], v[4:5], v[30:31]
	s_waitcnt vmcnt(9)
	v_mov_b32_e32 v14, v35
	v_pk_add_f32 v[4:5], v[4:5], v[22:23]
	v_mov_b32_e32 v17, v15
	v_pk_mul_f32 v[14:15], v[20:21], v[14:15] op_sel_hi:[1,0]
	v_pk_add_f32 v[4:5], v[4:5], v[16:17]
	s_waitcnt vmcnt(8)
	v_pk_fma_f32 v[16:17], v[20:21], v[34:35], v[14:15] op_sel:[0,0,1] op_sel_hi:[1,1,0] neg_lo:[0,0,1] neg_hi:[0,0,1]
	v_pk_fma_f32 v[14:15], v[20:21], v[34:35], v[14:15] op_sel:[0,0,1] op_sel_hi:[1,0,0]
	s_waitcnt vmcnt(7)
	v_mov_b32_e32 v14, v37
	v_mov_b32_e32 v17, v15
	s_waitcnt lgkmcnt(1)
	v_pk_mul_f32 v[14:15], v[6:7], v[14:15] op_sel_hi:[1,0]
	v_pk_add_f32 v[4:5], v[4:5], v[16:17]
	s_waitcnt vmcnt(6)
	v_pk_fma_f32 v[16:17], v[6:7], v[36:37], v[14:15] op_sel:[0,0,1] op_sel_hi:[1,1,0] neg_lo:[0,0,1] neg_hi:[0,0,1]
	v_pk_fma_f32 v[6:7], v[6:7], v[36:37], v[14:15] op_sel:[0,0,1] op_sel_hi:[1,0,0]
	s_waitcnt vmcnt(5)
	v_mov_b32_e32 v6, v39
	v_mov_b32_e32 v17, v7
	v_pk_mul_f32 v[6:7], v[8:9], v[6:7] op_sel_hi:[1,0]
	s_waitcnt vmcnt(4)
	v_pk_fma_f32 v[14:15], v[8:9], v[38:39], v[6:7] op_sel:[0,0,1] op_sel_hi:[1,1,0] neg_lo:[0,0,1] neg_hi:[0,0,1]
	v_pk_fma_f32 v[6:7], v[8:9], v[38:39], v[6:7] op_sel:[0,0,1] op_sel_hi:[1,0,0]
	s_waitcnt vmcnt(3)
	v_mov_b32_e32 v6, v41
	v_mov_b32_e32 v15, v7
	s_waitcnt lgkmcnt(0)
	v_pk_mul_f32 v[6:7], v[10:11], v[6:7] op_sel_hi:[1,0]
	s_waitcnt vmcnt(2)
	v_pk_fma_f32 v[8:9], v[10:11], v[40:41], v[6:7] op_sel:[0,0,1] op_sel_hi:[1,1,0] neg_lo:[0,0,1] neg_hi:[0,0,1]
	v_pk_fma_f32 v[6:7], v[10:11], v[40:41], v[6:7] op_sel:[0,0,1] op_sel_hi:[1,0,0]
	v_pk_add_f32 v[4:5], v[4:5], v[16:17]
	s_waitcnt vmcnt(1)
	v_mov_b32_e32 v6, v43
	v_pk_add_f32 v[4:5], v[4:5], v[14:15]
	v_mov_b32_e32 v9, v7
	v_pk_mul_f32 v[6:7], v[12:13], v[6:7] op_sel_hi:[1,0]
	v_pk_add_f32 v[4:5], v[4:5], v[8:9]
	s_waitcnt vmcnt(0)
	v_pk_fma_f32 v[8:9], v[12:13], v[42:43], v[6:7] op_sel:[0,0,1] op_sel_hi:[1,1,0] neg_lo:[0,0,1] neg_hi:[0,0,1]
	v_pk_fma_f32 v[6:7], v[12:13], v[42:43], v[6:7] op_sel:[0,0,1] op_sel_hi:[1,0,0]
	v_mov_b32_e32 v9, v7
	v_pk_add_f32 v[4:5], v[4:5], v[8:9]
	v_pk_add_f32 v[2:3], v[2:3], v[4:5] neg_lo:[0,1] neg_hi:[0,1]
	buffer_store_dword v3, off, s[0:3], 0 offset:332
	buffer_store_dword v2, off, s[0:3], 0 offset:328
	s_and_saveexec_b64 s[4:5], vcc
	s_cbranch_execz .LBB117_257
; %bb.256:
	buffer_load_dword v2, off, s[0:3], 0 offset:320
	buffer_load_dword v3, off, s[0:3], 0 offset:324
	v_mov_b32_e32 v4, 0
	buffer_store_dword v4, off, s[0:3], 0 offset:320
	buffer_store_dword v4, off, s[0:3], 0 offset:324
	s_waitcnt vmcnt(2)
	ds_write_b64 v143, v[2:3]
.LBB117_257:
	s_or_b64 exec, exec, s[4:5]
	v_mov_b32_e32 v4, 0
	s_waitcnt lgkmcnt(0)
	; wave barrier
	s_waitcnt lgkmcnt(0)
	ds_read2_b64 v[6:9], v4 offset0:95 offset1:96
	buffer_load_dword v2, off, s[0:3], 0 offset:320
	buffer_load_dword v3, off, s[0:3], 0 offset:324
	;; [unrolled: 1-line block ×16, first 2 shown]
	v_cmp_lt_u32_e32 vcc, 39, v0
	s_waitcnt vmcnt(12) lgkmcnt(0)
	v_mul_f32_e32 v10, v6, v18
	v_fmac_f32_e32 v10, v7, v5
	s_waitcnt vmcnt(10)
	v_mul_f32_e32 v11, v8, v20
	v_add_f32_e32 v10, 0, v10
	v_fmac_f32_e32 v11, v9, v19
	v_add_f32_e32 v14, v10, v11
	ds_read2_b64 v[10:13], v4 offset0:97 offset1:98
	v_mul_f32_e32 v7, v7, v18
	v_fma_f32 v5, v6, v5, -v7
	v_mul_f32_e32 v6, v9, v20
	v_add_f32_e32 v5, 0, v5
	s_waitcnt vmcnt(8) lgkmcnt(0)
	v_mul_f32_e32 v15, v10, v26
	v_fmac_f32_e32 v15, v11, v21
	v_add_f32_e32 v27, v14, v15
	ds_read2_b64 v[14:17], v4 offset0:99 offset1:100
	buffer_load_dword v33, off, s[0:3], 0 offset:388
	buffer_load_dword v32, off, s[0:3], 0 offset:384
	;; [unrolled: 1-line block ×12, first 2 shown]
	v_fma_f32 v6, v8, v19, -v6
	v_add_f32_e32 v5, v5, v6
	v_mul_f32_e32 v6, v11, v26
	v_fma_f32 v6, v10, v21, -v6
	s_waitcnt vmcnt(18)
	v_mul_f32_e32 v29, v12, v30
	v_add_f32_e32 v26, v5, v6
	v_mul_f32_e32 v5, v13, v30
	v_fmac_f32_e32 v29, v13, v28
	v_fma_f32 v28, v12, v28, -v5
	s_waitcnt vmcnt(16) lgkmcnt(0)
	v_mul_f32_e32 v31, v14, v45
	v_mul_f32_e32 v5, v15, v45
	v_pk_add_f32 v[26:27], v[26:27], v[28:29]
	s_waitcnt vmcnt(14)
	v_mov_b32_e32 v28, v23
	v_fmac_f32_e32 v31, v15, v44
	v_fma_f32 v30, v14, v44, -v5
	ds_read2_b64 v[6:9], v4 offset0:101 offset1:102
	ds_read2_b64 v[10:13], v4 offset0:103 offset1:104
	;; [unrolled: 1-line block ×3, first 2 shown]
	ds_read_b64 v[14:15], v4 offset:856
	v_pk_mul_f32 v[28:29], v[16:17], v[28:29] op_sel_hi:[1,0]
	v_pk_add_f32 v[26:27], v[26:27], v[30:31]
	v_pk_fma_f32 v[30:31], v[16:17], v[22:23], v[28:29] op_sel:[0,0,1] op_sel_hi:[1,1,0] neg_lo:[0,0,1] neg_hi:[0,0,1]
	v_pk_fma_f32 v[16:17], v[16:17], v[22:23], v[28:29] op_sel:[0,0,1] op_sel_hi:[1,0,0]
	s_waitcnt vmcnt(12)
	v_mov_b32_e32 v22, v25
	v_mov_b32_e32 v31, v17
	s_waitcnt lgkmcnt(3)
	v_pk_mul_f32 v[22:23], v[6:7], v[22:23] op_sel_hi:[1,0]
	v_pk_add_f32 v[16:17], v[26:27], v[30:31]
	v_pk_fma_f32 v[26:27], v[6:7], v[24:25], v[22:23] op_sel:[0,0,1] op_sel_hi:[1,1,0] neg_lo:[0,0,1] neg_hi:[0,0,1]
	v_pk_fma_f32 v[6:7], v[6:7], v[24:25], v[22:23] op_sel:[0,0,1] op_sel_hi:[1,0,0]
	v_mov_b32_e32 v27, v7
	v_pk_add_f32 v[6:7], v[16:17], v[26:27]
	s_waitcnt vmcnt(11)
	v_mov_b32_e32 v16, v33
	v_pk_mul_f32 v[16:17], v[8:9], v[16:17] op_sel_hi:[1,0]
	s_waitcnt vmcnt(10)
	v_pk_fma_f32 v[22:23], v[8:9], v[32:33], v[16:17] op_sel:[0,0,1] op_sel_hi:[1,1,0] neg_lo:[0,0,1] neg_hi:[0,0,1]
	v_pk_fma_f32 v[8:9], v[8:9], v[32:33], v[16:17] op_sel:[0,0,1] op_sel_hi:[1,0,0]
	s_waitcnt vmcnt(9)
	v_mov_b32_e32 v8, v35
	v_mov_b32_e32 v23, v9
	s_waitcnt lgkmcnt(2)
	v_pk_mul_f32 v[8:9], v[10:11], v[8:9] op_sel_hi:[1,0]
	s_waitcnt vmcnt(8)
	v_pk_fma_f32 v[16:17], v[10:11], v[34:35], v[8:9] op_sel:[0,0,1] op_sel_hi:[1,1,0] neg_lo:[0,0,1] neg_hi:[0,0,1]
	v_pk_fma_f32 v[8:9], v[10:11], v[34:35], v[8:9] op_sel:[0,0,1] op_sel_hi:[1,0,0]
	s_waitcnt vmcnt(7)
	v_mov_b32_e32 v8, v37
	v_mov_b32_e32 v17, v9
	v_pk_mul_f32 v[8:9], v[12:13], v[8:9] op_sel_hi:[1,0]
	s_waitcnt vmcnt(6)
	v_pk_fma_f32 v[10:11], v[12:13], v[36:37], v[8:9] op_sel:[0,0,1] op_sel_hi:[1,1,0] neg_lo:[0,0,1] neg_hi:[0,0,1]
	v_pk_fma_f32 v[8:9], v[12:13], v[36:37], v[8:9] op_sel:[0,0,1] op_sel_hi:[1,0,0]
	v_pk_add_f32 v[6:7], v[6:7], v[22:23]
	s_waitcnt vmcnt(5)
	v_mov_b32_e32 v8, v39
	v_pk_add_f32 v[6:7], v[6:7], v[16:17]
	v_mov_b32_e32 v11, v9
	s_waitcnt lgkmcnt(1)
	v_pk_mul_f32 v[8:9], v[18:19], v[8:9] op_sel_hi:[1,0]
	v_pk_add_f32 v[6:7], v[6:7], v[10:11]
	s_waitcnt vmcnt(4)
	v_pk_fma_f32 v[10:11], v[18:19], v[38:39], v[8:9] op_sel:[0,0,1] op_sel_hi:[1,1,0] neg_lo:[0,0,1] neg_hi:[0,0,1]
	v_pk_fma_f32 v[8:9], v[18:19], v[38:39], v[8:9] op_sel:[0,0,1] op_sel_hi:[1,0,0]
	s_waitcnt vmcnt(3)
	v_mov_b32_e32 v8, v41
	v_mov_b32_e32 v11, v9
	v_pk_mul_f32 v[8:9], v[20:21], v[8:9] op_sel_hi:[1,0]
	v_pk_add_f32 v[6:7], v[6:7], v[10:11]
	s_waitcnt vmcnt(2)
	v_pk_fma_f32 v[10:11], v[20:21], v[40:41], v[8:9] op_sel:[0,0,1] op_sel_hi:[1,1,0] neg_lo:[0,0,1] neg_hi:[0,0,1]
	v_pk_fma_f32 v[8:9], v[20:21], v[40:41], v[8:9] op_sel:[0,0,1] op_sel_hi:[1,0,0]
	s_waitcnt vmcnt(1)
	v_mov_b32_e32 v8, v43
	v_mov_b32_e32 v11, v9
	s_waitcnt lgkmcnt(0)
	v_pk_mul_f32 v[8:9], v[14:15], v[8:9] op_sel_hi:[1,0]
	v_pk_add_f32 v[6:7], v[6:7], v[10:11]
	s_waitcnt vmcnt(0)
	v_pk_fma_f32 v[10:11], v[14:15], v[42:43], v[8:9] op_sel:[0,0,1] op_sel_hi:[1,1,0] neg_lo:[0,0,1] neg_hi:[0,0,1]
	v_pk_fma_f32 v[8:9], v[14:15], v[42:43], v[8:9] op_sel:[0,0,1] op_sel_hi:[1,0,0]
	v_mov_b32_e32 v11, v9
	v_pk_add_f32 v[6:7], v[6:7], v[10:11]
	v_pk_add_f32 v[2:3], v[2:3], v[6:7] neg_lo:[0,1] neg_hi:[0,1]
	buffer_store_dword v3, off, s[0:3], 0 offset:324
	buffer_store_dword v2, off, s[0:3], 0 offset:320
	s_and_saveexec_b64 s[4:5], vcc
	s_cbranch_execz .LBB117_259
; %bb.258:
	buffer_load_dword v2, off, s[0:3], 0 offset:312
	buffer_load_dword v3, off, s[0:3], 0 offset:316
	s_waitcnt vmcnt(0)
	ds_write_b64 v143, v[2:3]
	buffer_store_dword v4, off, s[0:3], 0 offset:312
	buffer_store_dword v4, off, s[0:3], 0 offset:316
.LBB117_259:
	s_or_b64 exec, exec, s[4:5]
	s_waitcnt lgkmcnt(0)
	; wave barrier
	s_waitcnt lgkmcnt(0)
	ds_read_b128 v[6:9], v4 offset:752
	ds_read_b128 v[10:13], v4 offset:768
	;; [unrolled: 1-line block ×4, first 2 shown]
	buffer_load_dword v2, off, s[0:3], 0 offset:312
	buffer_load_dword v3, off, s[0:3], 0 offset:316
	;; [unrolled: 1-line block ×30, first 2 shown]
	v_cmp_lt_u32_e32 vcc, 38, v0
	s_waitcnt vmcnt(26) lgkmcnt(3)
	v_mul_f32_e32 v25, v6, v24
	v_fmac_f32_e32 v25, v7, v5
	v_mul_f32_e32 v7, v7, v24
	s_waitcnt vmcnt(24)
	v_mul_f32_e32 v27, v8, v28
	v_fma_f32 v5, v6, v5, -v7
	v_mul_f32_e32 v6, v9, v28
	v_add_f32_e32 v25, 0, v25
	v_fmac_f32_e32 v27, v9, v26
	v_add_f32_e32 v5, 0, v5
	v_fma_f32 v6, v8, v26, -v6
	v_add_f32_e32 v25, v25, v27
	s_waitcnt vmcnt(22) lgkmcnt(2)
	v_mul_f32_e32 v27, v10, v45
	v_add_f32_e32 v5, v5, v6
	v_mul_f32_e32 v6, v11, v45
	v_fmac_f32_e32 v27, v11, v44
	v_fma_f32 v6, v10, v44, -v6
	v_add_f32_e32 v25, v25, v27
	s_waitcnt vmcnt(20)
	v_mul_f32_e32 v27, v12, v47
	v_add_f32_e32 v5, v5, v6
	v_mul_f32_e32 v6, v13, v47
	v_fmac_f32_e32 v27, v13, v46
	v_fma_f32 v6, v12, v46, -v6
	v_add_f32_e32 v25, v25, v27
	s_waitcnt vmcnt(18) lgkmcnt(1)
	v_mul_f32_e32 v27, v14, v49
	v_add_f32_e32 v24, v5, v6
	v_mul_f32_e32 v5, v15, v49
	v_fmac_f32_e32 v27, v15, v48
	s_waitcnt vmcnt(16)
	v_mul_f32_e32 v29, v16, v51
	v_fma_f32 v26, v14, v48, -v5
	v_mul_f32_e32 v5, v17, v51
	v_fmac_f32_e32 v29, v17, v50
	v_fma_f32 v28, v16, v50, -v5
	ds_read_b128 v[6:9], v4 offset:816
	ds_read_b128 v[10:13], v4 offset:832
	;; [unrolled: 1-line block ×3, first 2 shown]
	v_pk_add_f32 v[4:5], v[24:25], v[26:27]
	s_waitcnt vmcnt(14)
	v_mov_b32_e32 v24, v23
	s_waitcnt lgkmcnt(3)
	v_pk_mul_f32 v[24:25], v[18:19], v[24:25] op_sel_hi:[1,0]
	v_pk_fma_f32 v[26:27], v[18:19], v[22:23], v[24:25] op_sel:[0,0,1] op_sel_hi:[1,1,0] neg_lo:[0,0,1] neg_hi:[0,0,1]
	v_pk_fma_f32 v[18:19], v[18:19], v[22:23], v[24:25] op_sel:[0,0,1] op_sel_hi:[1,0,0]
	s_waitcnt vmcnt(13)
	v_mov_b32_e32 v18, v31
	v_mov_b32_e32 v27, v19
	v_pk_mul_f32 v[18:19], v[20:21], v[18:19] op_sel_hi:[1,0]
	s_waitcnt vmcnt(12)
	v_pk_fma_f32 v[22:23], v[20:21], v[30:31], v[18:19] op_sel:[0,0,1] op_sel_hi:[1,1,0] neg_lo:[0,0,1] neg_hi:[0,0,1]
	v_pk_fma_f32 v[18:19], v[20:21], v[30:31], v[18:19] op_sel:[0,0,1] op_sel_hi:[1,0,0]
	s_waitcnt vmcnt(11)
	v_mov_b32_e32 v18, v33
	v_mov_b32_e32 v23, v19
	s_waitcnt lgkmcnt(2)
	v_pk_mul_f32 v[18:19], v[6:7], v[18:19] op_sel_hi:[1,0]
	s_waitcnt vmcnt(10)
	v_pk_fma_f32 v[20:21], v[6:7], v[32:33], v[18:19] op_sel:[0,0,1] op_sel_hi:[1,1,0] neg_lo:[0,0,1] neg_hi:[0,0,1]
	v_pk_fma_f32 v[6:7], v[6:7], v[32:33], v[18:19] op_sel:[0,0,1] op_sel_hi:[1,0,0]
	s_waitcnt vmcnt(9)
	v_mov_b32_e32 v6, v35
	v_mov_b32_e32 v21, v7
	v_pk_mul_f32 v[6:7], v[8:9], v[6:7] op_sel_hi:[1,0]
	s_waitcnt vmcnt(8)
	v_pk_fma_f32 v[18:19], v[8:9], v[34:35], v[6:7] op_sel:[0,0,1] op_sel_hi:[1,1,0] neg_lo:[0,0,1] neg_hi:[0,0,1]
	v_pk_fma_f32 v[6:7], v[8:9], v[34:35], v[6:7] op_sel:[0,0,1] op_sel_hi:[1,0,0]
	v_pk_add_f32 v[4:5], v[4:5], v[28:29]
	s_waitcnt vmcnt(7)
	v_mov_b32_e32 v6, v37
	v_pk_add_f32 v[4:5], v[4:5], v[26:27]
	v_mov_b32_e32 v19, v7
	s_waitcnt lgkmcnt(1)
	v_pk_mul_f32 v[6:7], v[10:11], v[6:7] op_sel_hi:[1,0]
	v_pk_add_f32 v[4:5], v[4:5], v[22:23]
	s_waitcnt vmcnt(6)
	v_pk_fma_f32 v[8:9], v[10:11], v[36:37], v[6:7] op_sel:[0,0,1] op_sel_hi:[1,1,0] neg_lo:[0,0,1] neg_hi:[0,0,1]
	v_pk_fma_f32 v[6:7], v[10:11], v[36:37], v[6:7] op_sel:[0,0,1] op_sel_hi:[1,0,0]
	v_pk_add_f32 v[4:5], v[4:5], v[20:21]
	s_waitcnt vmcnt(5)
	v_mov_b32_e32 v6, v39
	v_pk_add_f32 v[4:5], v[4:5], v[18:19]
	v_mov_b32_e32 v9, v7
	v_pk_mul_f32 v[6:7], v[12:13], v[6:7] op_sel_hi:[1,0]
	v_pk_add_f32 v[4:5], v[4:5], v[8:9]
	s_waitcnt vmcnt(4)
	v_pk_fma_f32 v[8:9], v[12:13], v[38:39], v[6:7] op_sel:[0,0,1] op_sel_hi:[1,1,0] neg_lo:[0,0,1] neg_hi:[0,0,1]
	v_pk_fma_f32 v[6:7], v[12:13], v[38:39], v[6:7] op_sel:[0,0,1] op_sel_hi:[1,0,0]
	s_waitcnt vmcnt(3)
	v_mov_b32_e32 v6, v41
	v_mov_b32_e32 v9, v7
	s_waitcnt lgkmcnt(0)
	v_pk_mul_f32 v[6:7], v[14:15], v[6:7] op_sel_hi:[1,0]
	v_pk_add_f32 v[4:5], v[4:5], v[8:9]
	s_waitcnt vmcnt(2)
	v_pk_fma_f32 v[8:9], v[14:15], v[40:41], v[6:7] op_sel:[0,0,1] op_sel_hi:[1,1,0] neg_lo:[0,0,1] neg_hi:[0,0,1]
	v_pk_fma_f32 v[6:7], v[14:15], v[40:41], v[6:7] op_sel:[0,0,1] op_sel_hi:[1,0,0]
	s_waitcnt vmcnt(1)
	v_mov_b32_e32 v6, v43
	v_mov_b32_e32 v9, v7
	v_pk_mul_f32 v[6:7], v[16:17], v[6:7] op_sel_hi:[1,0]
	v_pk_add_f32 v[4:5], v[4:5], v[8:9]
	s_waitcnt vmcnt(0)
	v_pk_fma_f32 v[8:9], v[16:17], v[42:43], v[6:7] op_sel:[0,0,1] op_sel_hi:[1,1,0] neg_lo:[0,0,1] neg_hi:[0,0,1]
	v_pk_fma_f32 v[6:7], v[16:17], v[42:43], v[6:7] op_sel:[0,0,1] op_sel_hi:[1,0,0]
	v_mov_b32_e32 v9, v7
	v_pk_add_f32 v[4:5], v[4:5], v[8:9]
	v_pk_add_f32 v[2:3], v[2:3], v[4:5] neg_lo:[0,1] neg_hi:[0,1]
	buffer_store_dword v3, off, s[0:3], 0 offset:316
	buffer_store_dword v2, off, s[0:3], 0 offset:312
	s_and_saveexec_b64 s[4:5], vcc
	s_cbranch_execz .LBB117_261
; %bb.260:
	buffer_load_dword v2, off, s[0:3], 0 offset:304
	buffer_load_dword v3, off, s[0:3], 0 offset:308
	v_mov_b32_e32 v4, 0
	buffer_store_dword v4, off, s[0:3], 0 offset:304
	buffer_store_dword v4, off, s[0:3], 0 offset:308
	s_waitcnt vmcnt(2)
	ds_write_b64 v143, v[2:3]
.LBB117_261:
	s_or_b64 exec, exec, s[4:5]
	v_mov_b32_e32 v4, 0
	s_waitcnt lgkmcnt(0)
	; wave barrier
	s_waitcnt lgkmcnt(0)
	ds_read2_b64 v[6:9], v4 offset0:93 offset1:94
	buffer_load_dword v2, off, s[0:3], 0 offset:304
	buffer_load_dword v3, off, s[0:3], 0 offset:308
	;; [unrolled: 1-line block ×16, first 2 shown]
	v_cmp_lt_u32_e32 vcc, 37, v0
	s_waitcnt vmcnt(12) lgkmcnt(0)
	v_mul_f32_e32 v10, v6, v22
	v_fmac_f32_e32 v10, v7, v5
	s_waitcnt vmcnt(10)
	v_mul_f32_e32 v11, v8, v26
	v_add_f32_e32 v10, 0, v10
	v_fmac_f32_e32 v11, v9, v24
	v_add_f32_e32 v14, v10, v11
	ds_read2_b64 v[10:13], v4 offset0:95 offset1:96
	v_mul_f32_e32 v7, v7, v22
	v_fma_f32 v5, v6, v5, -v7
	v_mul_f32_e32 v6, v9, v26
	v_add_f32_e32 v5, 0, v5
	s_waitcnt vmcnt(8) lgkmcnt(0)
	v_mul_f32_e32 v15, v10, v45
	v_fmac_f32_e32 v15, v11, v44
	v_add_f32_e32 v14, v14, v15
	s_waitcnt vmcnt(6)
	v_mul_f32_e32 v15, v12, v47
	v_fmac_f32_e32 v15, v13, v46
	v_add_f32_e32 v18, v14, v15
	ds_read2_b64 v[14:17], v4 offset0:97 offset1:98
	v_fma_f32 v6, v8, v24, -v6
	v_add_f32_e32 v5, v5, v6
	v_mul_f32_e32 v6, v11, v45
	v_fma_f32 v6, v10, v44, -v6
	s_waitcnt vmcnt(4) lgkmcnt(0)
	v_mul_f32_e32 v19, v14, v49
	v_fmac_f32_e32 v19, v15, v48
	v_add_f32_e32 v23, v18, v19
	ds_read2_b64 v[18:21], v4 offset0:99 offset1:100
	buffer_load_dword v29, off, s[0:3], 0 offset:372
	buffer_load_dword v28, off, s[0:3], 0 offset:368
	;; [unrolled: 1-line block ×16, first 2 shown]
	v_add_f32_e32 v5, v5, v6
	v_mul_f32_e32 v6, v13, v47
	v_fma_f32 v6, v12, v46, -v6
	v_add_f32_e32 v5, v5, v6
	v_mul_f32_e32 v6, v15, v49
	v_fma_f32 v6, v14, v48, -v6
	s_waitcnt vmcnt(18)
	v_mul_f32_e32 v25, v16, v51
	v_add_f32_e32 v22, v5, v6
	v_mul_f32_e32 v5, v17, v51
	v_fmac_f32_e32 v25, v17, v50
	v_fma_f32 v24, v16, v50, -v5
	s_waitcnt vmcnt(16) lgkmcnt(0)
	v_mul_f32_e32 v27, v18, v53
	v_mul_f32_e32 v5, v19, v53
	v_pk_add_f32 v[22:23], v[22:23], v[24:25]
	v_fmac_f32_e32 v27, v19, v52
	v_fma_f32 v26, v18, v52, -v5
	v_pk_add_f32 v[22:23], v[22:23], v[26:27]
	ds_read2_b64 v[6:9], v4 offset0:101 offset1:102
	ds_read2_b64 v[10:13], v4 offset0:103 offset1:104
	;; [unrolled: 1-line block ×3, first 2 shown]
	ds_read_b64 v[18:19], v4 offset:856
	s_waitcnt vmcnt(15)
	v_mov_b32_e32 v24, v29
	v_pk_mul_f32 v[24:25], v[20:21], v[24:25] op_sel_hi:[1,0]
	s_waitcnt vmcnt(14)
	v_pk_fma_f32 v[26:27], v[20:21], v[28:29], v[24:25] op_sel:[0,0,1] op_sel_hi:[1,1,0] neg_lo:[0,0,1] neg_hi:[0,0,1]
	v_pk_fma_f32 v[20:21], v[20:21], v[28:29], v[24:25] op_sel:[0,0,1] op_sel_hi:[1,0,0]
	v_mov_b32_e32 v27, v21
	v_pk_add_f32 v[20:21], v[22:23], v[26:27]
	s_waitcnt vmcnt(13)
	v_mov_b32_e32 v22, v31
	s_waitcnt lgkmcnt(3)
	v_pk_mul_f32 v[22:23], v[6:7], v[22:23] op_sel_hi:[1,0]
	s_waitcnt vmcnt(12)
	v_pk_fma_f32 v[24:25], v[6:7], v[30:31], v[22:23] op_sel:[0,0,1] op_sel_hi:[1,1,0] neg_lo:[0,0,1] neg_hi:[0,0,1]
	v_pk_fma_f32 v[6:7], v[6:7], v[30:31], v[22:23] op_sel:[0,0,1] op_sel_hi:[1,0,0]
	v_mov_b32_e32 v25, v7
	v_pk_add_f32 v[6:7], v[20:21], v[24:25]
	s_waitcnt vmcnt(11)
	v_mov_b32_e32 v20, v33
	v_pk_mul_f32 v[20:21], v[8:9], v[20:21] op_sel_hi:[1,0]
	s_waitcnt vmcnt(10)
	v_pk_fma_f32 v[22:23], v[8:9], v[32:33], v[20:21] op_sel:[0,0,1] op_sel_hi:[1,1,0] neg_lo:[0,0,1] neg_hi:[0,0,1]
	v_pk_fma_f32 v[8:9], v[8:9], v[32:33], v[20:21] op_sel:[0,0,1] op_sel_hi:[1,0,0]
	s_waitcnt vmcnt(9)
	v_mov_b32_e32 v8, v35
	v_mov_b32_e32 v23, v9
	s_waitcnt lgkmcnt(2)
	v_pk_mul_f32 v[8:9], v[10:11], v[8:9] op_sel_hi:[1,0]
	s_waitcnt vmcnt(8)
	v_pk_fma_f32 v[20:21], v[10:11], v[34:35], v[8:9] op_sel:[0,0,1] op_sel_hi:[1,1,0] neg_lo:[0,0,1] neg_hi:[0,0,1]
	v_pk_fma_f32 v[8:9], v[10:11], v[34:35], v[8:9] op_sel:[0,0,1] op_sel_hi:[1,0,0]
	s_waitcnt vmcnt(7)
	v_mov_b32_e32 v8, v37
	v_mov_b32_e32 v21, v9
	v_pk_mul_f32 v[8:9], v[12:13], v[8:9] op_sel_hi:[1,0]
	s_waitcnt vmcnt(6)
	v_pk_fma_f32 v[10:11], v[12:13], v[36:37], v[8:9] op_sel:[0,0,1] op_sel_hi:[1,1,0] neg_lo:[0,0,1] neg_hi:[0,0,1]
	v_pk_fma_f32 v[8:9], v[12:13], v[36:37], v[8:9] op_sel:[0,0,1] op_sel_hi:[1,0,0]
	v_pk_add_f32 v[6:7], v[6:7], v[22:23]
	s_waitcnt vmcnt(5)
	v_mov_b32_e32 v8, v39
	v_pk_add_f32 v[6:7], v[6:7], v[20:21]
	v_mov_b32_e32 v11, v9
	s_waitcnt lgkmcnt(1)
	v_pk_mul_f32 v[8:9], v[14:15], v[8:9] op_sel_hi:[1,0]
	v_pk_add_f32 v[6:7], v[6:7], v[10:11]
	s_waitcnt vmcnt(4)
	v_pk_fma_f32 v[10:11], v[14:15], v[38:39], v[8:9] op_sel:[0,0,1] op_sel_hi:[1,1,0] neg_lo:[0,0,1] neg_hi:[0,0,1]
	v_pk_fma_f32 v[8:9], v[14:15], v[38:39], v[8:9] op_sel:[0,0,1] op_sel_hi:[1,0,0]
	s_waitcnt vmcnt(3)
	v_mov_b32_e32 v8, v41
	v_mov_b32_e32 v11, v9
	v_pk_mul_f32 v[8:9], v[16:17], v[8:9] op_sel_hi:[1,0]
	v_pk_add_f32 v[6:7], v[6:7], v[10:11]
	s_waitcnt vmcnt(2)
	v_pk_fma_f32 v[10:11], v[16:17], v[40:41], v[8:9] op_sel:[0,0,1] op_sel_hi:[1,1,0] neg_lo:[0,0,1] neg_hi:[0,0,1]
	v_pk_fma_f32 v[8:9], v[16:17], v[40:41], v[8:9] op_sel:[0,0,1] op_sel_hi:[1,0,0]
	s_waitcnt vmcnt(1)
	v_mov_b32_e32 v8, v43
	v_mov_b32_e32 v11, v9
	s_waitcnt lgkmcnt(0)
	v_pk_mul_f32 v[8:9], v[18:19], v[8:9] op_sel_hi:[1,0]
	v_pk_add_f32 v[6:7], v[6:7], v[10:11]
	s_waitcnt vmcnt(0)
	v_pk_fma_f32 v[10:11], v[18:19], v[42:43], v[8:9] op_sel:[0,0,1] op_sel_hi:[1,1,0] neg_lo:[0,0,1] neg_hi:[0,0,1]
	v_pk_fma_f32 v[8:9], v[18:19], v[42:43], v[8:9] op_sel:[0,0,1] op_sel_hi:[1,0,0]
	v_mov_b32_e32 v11, v9
	v_pk_add_f32 v[6:7], v[6:7], v[10:11]
	v_pk_add_f32 v[2:3], v[2:3], v[6:7] neg_lo:[0,1] neg_hi:[0,1]
	buffer_store_dword v3, off, s[0:3], 0 offset:308
	buffer_store_dword v2, off, s[0:3], 0 offset:304
	s_and_saveexec_b64 s[4:5], vcc
	s_cbranch_execz .LBB117_263
; %bb.262:
	buffer_load_dword v2, off, s[0:3], 0 offset:296
	buffer_load_dword v3, off, s[0:3], 0 offset:300
	s_waitcnt vmcnt(0)
	ds_write_b64 v143, v[2:3]
	buffer_store_dword v4, off, s[0:3], 0 offset:296
	buffer_store_dword v4, off, s[0:3], 0 offset:300
.LBB117_263:
	s_or_b64 exec, exec, s[4:5]
	s_waitcnt lgkmcnt(0)
	; wave barrier
	s_waitcnt lgkmcnt(0)
	buffer_load_dword v52, off, s[0:3], 0 offset:308
	buffer_load_dword v54, off, s[0:3], 0 offset:316
	;; [unrolled: 1-line block ×32, first 2 shown]
	ds_read_b128 v[6:9], v4 offset:736
	ds_read_b128 v[10:13], v4 offset:752
	;; [unrolled: 1-line block ×4, first 2 shown]
	buffer_load_dword v51, off, s[0:3], 0 offset:428
	buffer_load_dword v50, off, s[0:3], 0 offset:424
	ds_read_b128 v[22:25], v4 offset:800
	ds_read_b128 v[26:29], v4 offset:816
	;; [unrolled: 1-line block ×4, first 2 shown]
	v_cmp_lt_u32_e32 vcc, 36, v0
	s_waitcnt vmcnt(33) lgkmcnt(7)
	v_mul_f32_e32 v70, v6, v52
	v_mul_f32_e32 v52, v7, v52
	s_waitcnt vmcnt(32)
	v_mul_f32_e32 v71, v8, v54
	s_waitcnt vmcnt(30) lgkmcnt(6)
	v_mul_f32_e32 v73, v12, v57
	v_mul_f32_e32 v54, v9, v54
	;; [unrolled: 1-line block ×5, first 2 shown]
	s_waitcnt vmcnt(25)
	v_fmac_f32_e32 v70, v7, v62
	v_fma_f32 v6, v6, v62, -v52
	s_waitcnt vmcnt(24)
	v_fmac_f32_e32 v71, v9, v63
	v_fma_f32 v7, v8, v63, -v54
	s_waitcnt vmcnt(22)
	v_fma_f32 v9, v12, v65, -v57
	v_add_f32_e32 v12, 0, v70
	v_add_f32_e32 v6, 0, v6
	v_fmac_f32_e32 v72, v11, v64
	v_fma_f32 v8, v10, v64, -v56
	v_add_f32_e32 v12, v12, v71
	v_add_f32_e32 v6, v6, v7
	s_waitcnt lgkmcnt(5)
	v_mul_f32_e32 v74, v14, v58
	v_mul_f32_e32 v58, v15, v58
	v_fmac_f32_e32 v73, v13, v65
	v_add_f32_e32 v7, v12, v72
	v_add_f32_e32 v6, v6, v8
	v_mul_f32_e32 v75, v16, v59
	v_mul_f32_e32 v59, v17, v59
	s_waitcnt vmcnt(21)
	v_fmac_f32_e32 v74, v15, v66
	v_fma_f32 v10, v14, v66, -v58
	v_add_f32_e32 v7, v7, v73
	v_add_f32_e32 v6, v6, v9
	s_waitcnt vmcnt(17)
	v_mov_b32_e32 v8, v35
	s_waitcnt lgkmcnt(4)
	v_mul_f32_e32 v53, v18, v60
	v_mul_f32_e32 v60, v19, v60
	v_fmac_f32_e32 v75, v17, v67
	v_fma_f32 v11, v16, v67, -v59
	v_add_f32_e32 v7, v7, v74
	v_add_f32_e32 v6, v6, v10
	s_waitcnt lgkmcnt(3)
	v_pk_mul_f32 v[8:9], v[22:23], v[8:9] op_sel_hi:[1,0]
	v_mul_f32_e32 v55, v20, v61
	v_mul_f32_e32 v61, v21, v61
	v_fmac_f32_e32 v53, v19, v68
	v_fma_f32 v52, v18, v68, -v60
	v_add_f32_e32 v7, v7, v75
	v_add_f32_e32 v6, v6, v11
	s_waitcnt vmcnt(14)
	v_pk_fma_f32 v[10:11], v[22:23], v[34:35], v[8:9] op_sel:[0,0,1] op_sel_hi:[1,1,0] neg_lo:[0,0,1] neg_hi:[0,0,1]
	v_pk_fma_f32 v[8:9], v[22:23], v[34:35], v[8:9] op_sel:[0,0,1] op_sel_hi:[1,0,0]
	v_fmac_f32_e32 v55, v21, v69
	v_fma_f32 v54, v20, v69, -v61
	v_pk_add_f32 v[6:7], v[6:7], v[52:53]
	s_waitcnt vmcnt(13)
	v_mov_b32_e32 v8, v39
	v_pk_add_f32 v[6:7], v[6:7], v[54:55]
	v_mov_b32_e32 v11, v9
	v_pk_mul_f32 v[8:9], v[24:25], v[8:9] op_sel_hi:[1,0]
	v_pk_add_f32 v[6:7], v[6:7], v[10:11]
	v_pk_fma_f32 v[10:11], v[24:25], v[38:39], v[8:9] op_sel:[0,0,1] op_sel_hi:[1,1,0] neg_lo:[0,0,1] neg_hi:[0,0,1]
	v_pk_fma_f32 v[8:9], v[24:25], v[38:39], v[8:9] op_sel:[0,0,1] op_sel_hi:[1,0,0]
	s_waitcnt vmcnt(12)
	v_mov_b32_e32 v8, v37
	v_mov_b32_e32 v11, v9
	s_waitcnt lgkmcnt(2)
	v_pk_mul_f32 v[8:9], v[26:27], v[8:9] op_sel_hi:[1,0]
	v_pk_add_f32 v[6:7], v[6:7], v[10:11]
	v_pk_fma_f32 v[10:11], v[26:27], v[36:37], v[8:9] op_sel:[0,0,1] op_sel_hi:[1,1,0] neg_lo:[0,0,1] neg_hi:[0,0,1]
	v_pk_fma_f32 v[8:9], v[26:27], v[36:37], v[8:9] op_sel:[0,0,1] op_sel_hi:[1,0,0]
	s_waitcnt vmcnt(11)
	v_mov_b32_e32 v8, v41
	v_mov_b32_e32 v11, v9
	v_pk_mul_f32 v[8:9], v[28:29], v[8:9] op_sel_hi:[1,0]
	v_pk_add_f32 v[6:7], v[6:7], v[10:11]
	s_waitcnt vmcnt(5)
	v_pk_fma_f32 v[10:11], v[28:29], v[40:41], v[8:9] op_sel:[0,0,1] op_sel_hi:[1,1,0] neg_lo:[0,0,1] neg_hi:[0,0,1]
	v_pk_fma_f32 v[8:9], v[28:29], v[40:41], v[8:9] op_sel:[0,0,1] op_sel_hi:[1,0,0]
	v_mov_b32_e32 v8, v47
	v_mov_b32_e32 v11, v9
	s_waitcnt lgkmcnt(1)
	v_pk_mul_f32 v[8:9], v[30:31], v[8:9] op_sel_hi:[1,0]
	v_pk_add_f32 v[6:7], v[6:7], v[10:11]
	v_pk_fma_f32 v[10:11], v[30:31], v[46:47], v[8:9] op_sel:[0,0,1] op_sel_hi:[1,1,0] neg_lo:[0,0,1] neg_hi:[0,0,1]
	v_pk_fma_f32 v[8:9], v[30:31], v[46:47], v[8:9] op_sel:[0,0,1] op_sel_hi:[1,0,0]
	v_mov_b32_e32 v8, v45
	v_mov_b32_e32 v11, v9
	v_pk_mul_f32 v[8:9], v[32:33], v[8:9] op_sel_hi:[1,0]
	v_pk_add_f32 v[6:7], v[6:7], v[10:11]
	v_pk_fma_f32 v[10:11], v[32:33], v[44:45], v[8:9] op_sel:[0,0,1] op_sel_hi:[1,1,0] neg_lo:[0,0,1] neg_hi:[0,0,1]
	v_pk_fma_f32 v[8:9], v[32:33], v[44:45], v[8:9] op_sel:[0,0,1] op_sel_hi:[1,0,0]
	s_waitcnt vmcnt(2)
	v_mov_b32_e32 v8, v43
	v_mov_b32_e32 v11, v9
	s_waitcnt lgkmcnt(0)
	v_pk_mul_f32 v[8:9], v[2:3], v[8:9] op_sel_hi:[1,0]
	v_pk_add_f32 v[6:7], v[6:7], v[10:11]
	v_pk_fma_f32 v[10:11], v[2:3], v[42:43], v[8:9] op_sel:[0,0,1] op_sel_hi:[1,1,0] neg_lo:[0,0,1] neg_hi:[0,0,1]
	v_pk_fma_f32 v[2:3], v[2:3], v[42:43], v[8:9] op_sel:[0,0,1] op_sel_hi:[1,0,0]
	v_mov_b32_e32 v11, v3
	v_pk_add_f32 v[2:3], v[6:7], v[10:11]
	s_waitcnt vmcnt(1)
	v_mov_b32_e32 v6, v51
	v_pk_mul_f32 v[6:7], v[4:5], v[6:7] op_sel_hi:[1,0]
	s_waitcnt vmcnt(0)
	v_pk_fma_f32 v[8:9], v[4:5], v[50:51], v[6:7] op_sel:[0,0,1] op_sel_hi:[1,1,0] neg_lo:[0,0,1] neg_hi:[0,0,1]
	v_pk_fma_f32 v[4:5], v[4:5], v[50:51], v[6:7] op_sel:[0,0,1] op_sel_hi:[1,0,0]
	v_mov_b32_e32 v9, v5
	v_pk_add_f32 v[2:3], v[2:3], v[8:9]
	v_pk_add_f32 v[2:3], v[48:49], v[2:3] neg_lo:[0,1] neg_hi:[0,1]
	buffer_store_dword v3, off, s[0:3], 0 offset:300
	buffer_store_dword v2, off, s[0:3], 0 offset:296
	s_and_saveexec_b64 s[4:5], vcc
	s_cbranch_execz .LBB117_265
; %bb.264:
	buffer_load_dword v2, off, s[0:3], 0 offset:288
	buffer_load_dword v3, off, s[0:3], 0 offset:292
	v_mov_b32_e32 v4, 0
	buffer_store_dword v4, off, s[0:3], 0 offset:288
	buffer_store_dword v4, off, s[0:3], 0 offset:292
	s_waitcnt vmcnt(2)
	ds_write_b64 v143, v[2:3]
.LBB117_265:
	s_or_b64 exec, exec, s[4:5]
	s_waitcnt lgkmcnt(0)
	; wave barrier
	s_waitcnt lgkmcnt(0)
	buffer_load_dword v3, off, s[0:3], 0 offset:300
	buffer_load_dword v46, off, s[0:3], 0 offset:308
	buffer_load_dword v48, off, s[0:3], 0 offset:316
	buffer_load_dword v50, off, s[0:3], 0 offset:324
	buffer_load_dword v51, off, s[0:3], 0 offset:332
	buffer_load_dword v52, off, s[0:3], 0 offset:340
	buffer_load_dword v53, off, s[0:3], 0 offset:348
	buffer_load_dword v54, off, s[0:3], 0 offset:356
	buffer_load_dword v55, off, s[0:3], 0 offset:364
	buffer_load_dword v56, off, s[0:3], 0 offset:296
	buffer_load_dword v57, off, s[0:3], 0 offset:304
	buffer_load_dword v58, off, s[0:3], 0 offset:312
	buffer_load_dword v59, off, s[0:3], 0 offset:320
	buffer_load_dword v60, off, s[0:3], 0 offset:328
	buffer_load_dword v61, off, s[0:3], 0 offset:336
	buffer_load_dword v62, off, s[0:3], 0 offset:344
	buffer_load_dword v63, off, s[0:3], 0 offset:352
	buffer_load_dword v64, off, s[0:3], 0 offset:360
	buffer_load_dword v29, off, s[0:3], 0 offset:372
	buffer_load_dword v30, off, s[0:3], 0 offset:376
	buffer_load_dword v28, off, s[0:3], 0 offset:368
	buffer_load_dword v32, off, s[0:3], 0 offset:288
	buffer_load_dword v33, off, s[0:3], 0 offset:292
	buffer_load_dword v31, off, s[0:3], 0 offset:380
	buffer_load_dword v35, off, s[0:3], 0 offset:388
	buffer_load_dword v37, off, s[0:3], 0 offset:412
	buffer_load_dword v36, off, s[0:3], 0 offset:408
	buffer_load_dword v39, off, s[0:3], 0 offset:404
	buffer_load_dword v38, off, s[0:3], 0 offset:400
	buffer_load_dword v41, off, s[0:3], 0 offset:396
	buffer_load_dword v40, off, s[0:3], 0 offset:392
	buffer_load_dword v34, off, s[0:3], 0 offset:384
	buffer_load_dword v43, off, s[0:3], 0 offset:428
	buffer_load_dword v42, off, s[0:3], 0 offset:424
	buffer_load_dword v45, off, s[0:3], 0 offset:420
	buffer_load_dword v44, off, s[0:3], 0 offset:416
	v_mov_b32_e32 v2, 0
	ds_read2_b64 v[4:7], v2 offset0:91 offset1:92
	ds_read2_b64 v[8:11], v2 offset0:93 offset1:94
	;; [unrolled: 1-line block ×6, first 2 shown]
	v_cmp_lt_u32_e32 vcc, 35, v0
	s_waitcnt vmcnt(35) lgkmcnt(5)
	v_mul_f32_e32 v65, v4, v3
	s_waitcnt vmcnt(34)
	v_mul_f32_e32 v66, v6, v46
	s_waitcnt vmcnt(33) lgkmcnt(4)
	v_mul_f32_e32 v67, v8, v48
	v_mul_f32_e32 v3, v5, v3
	v_mul_f32_e32 v46, v7, v46
	v_mul_f32_e32 v48, v9, v48
	s_waitcnt vmcnt(32)
	v_mul_f32_e32 v68, v10, v50
	s_waitcnt vmcnt(31) lgkmcnt(3)
	v_mul_f32_e32 v69, v12, v51
	v_mul_f32_e32 v50, v11, v50
	s_waitcnt vmcnt(26)
	v_fmac_f32_e32 v65, v5, v56
	s_waitcnt vmcnt(25)
	v_fmac_f32_e32 v66, v7, v57
	;; [unrolled: 2-line block ×3, first 2 shown]
	v_fma_f32 v3, v4, v56, -v3
	v_add_f32_e32 v9, 0, v65
	v_fma_f32 v4, v6, v57, -v46
	v_add_f32_e32 v3, 0, v3
	v_add_f32_e32 v9, v9, v66
	s_waitcnt vmcnt(23)
	v_fmac_f32_e32 v68, v11, v59
	v_fma_f32 v5, v8, v58, -v48
	v_add_f32_e32 v3, v3, v4
	v_add_f32_e32 v4, v9, v67
	v_mul_f32_e32 v70, v14, v52
	v_mul_f32_e32 v51, v13, v51
	s_waitcnt vmcnt(22)
	v_fmac_f32_e32 v69, v13, v60
	v_fma_f32 v6, v10, v59, -v50
	v_add_f32_e32 v3, v3, v5
	v_add_f32_e32 v4, v4, v68
	s_waitcnt lgkmcnt(2)
	v_mul_f32_e32 v71, v16, v53
	v_mul_f32_e32 v52, v15, v52
	s_waitcnt vmcnt(21)
	v_fmac_f32_e32 v70, v15, v61
	v_fma_f32 v7, v12, v60, -v51
	v_add_f32_e32 v3, v3, v6
	v_add_f32_e32 v4, v4, v69
	v_mul_f32_e32 v53, v17, v53
	s_waitcnt vmcnt(20)
	v_fmac_f32_e32 v71, v17, v62
	v_fma_f32 v8, v14, v61, -v52
	v_add_f32_e32 v3, v3, v7
	v_add_f32_e32 v4, v4, v70
	;; [unrolled: 1-line block ×4, first 2 shown]
	v_fma_f32 v4, v16, v62, -v53
	s_waitcnt vmcnt(17)
	v_mov_b32_e32 v16, v29
	v_mul_f32_e32 v47, v18, v54
	v_add_f32_e32 v12, v3, v4
	v_mul_f32_e32 v3, v19, v54
	s_waitcnt lgkmcnt(1)
	v_pk_mul_f32 v[16:17], v[22:23], v[16:17] op_sel_hi:[1,0]
	v_mul_f32_e32 v49, v20, v55
	v_fmac_f32_e32 v47, v19, v63
	v_fma_f32 v46, v18, v63, -v3
	v_mul_f32_e32 v3, v21, v55
	s_waitcnt vmcnt(15)
	v_pk_fma_f32 v[18:19], v[22:23], v[28:29], v[16:17] op_sel:[0,0,1] op_sel_hi:[1,1,0] neg_lo:[0,0,1] neg_hi:[0,0,1]
	v_pk_fma_f32 v[16:17], v[22:23], v[28:29], v[16:17] op_sel:[0,0,1] op_sel_hi:[1,0,0]
	v_fmac_f32_e32 v49, v21, v64
	v_fma_f32 v48, v20, v64, -v3
	v_pk_add_f32 v[12:13], v[12:13], v[46:47]
	s_waitcnt vmcnt(12)
	v_mov_b32_e32 v16, v31
	v_pk_add_f32 v[12:13], v[12:13], v[48:49]
	v_mov_b32_e32 v19, v17
	s_waitcnt lgkmcnt(0)
	v_pk_mul_f32 v[16:17], v[24:25], v[16:17] op_sel_hi:[1,0]
	v_pk_add_f32 v[12:13], v[12:13], v[18:19]
	v_pk_fma_f32 v[18:19], v[24:25], v[30:31], v[16:17] op_sel:[0,0,1] op_sel_hi:[1,1,0] neg_lo:[0,0,1] neg_hi:[0,0,1]
	v_pk_fma_f32 v[16:17], v[24:25], v[30:31], v[16:17] op_sel:[0,0,1] op_sel_hi:[1,0,0]
	s_waitcnt vmcnt(11)
	v_mov_b32_e32 v16, v35
	ds_read2_b64 v[4:7], v2 offset0:103 offset1:104
	ds_read2_b64 v[8:11], v2 offset0:105 offset1:106
	ds_read_b64 v[14:15], v2 offset:856
	v_mov_b32_e32 v19, v17
	v_pk_mul_f32 v[16:17], v[26:27], v[16:17] op_sel_hi:[1,0]
	v_pk_add_f32 v[12:13], v[12:13], v[18:19]
	s_waitcnt vmcnt(4)
	v_pk_fma_f32 v[18:19], v[26:27], v[34:35], v[16:17] op_sel:[0,0,1] op_sel_hi:[1,1,0] neg_lo:[0,0,1] neg_hi:[0,0,1]
	v_pk_fma_f32 v[16:17], v[26:27], v[34:35], v[16:17] op_sel:[0,0,1] op_sel_hi:[1,0,0]
	v_mov_b32_e32 v16, v41
	v_mov_b32_e32 v19, v17
	s_waitcnt lgkmcnt(2)
	v_pk_mul_f32 v[16:17], v[4:5], v[16:17] op_sel_hi:[1,0]
	v_pk_add_f32 v[12:13], v[12:13], v[18:19]
	v_pk_fma_f32 v[18:19], v[4:5], v[40:41], v[16:17] op_sel:[0,0,1] op_sel_hi:[1,1,0] neg_lo:[0,0,1] neg_hi:[0,0,1]
	v_pk_fma_f32 v[4:5], v[4:5], v[40:41], v[16:17] op_sel:[0,0,1] op_sel_hi:[1,0,0]
	v_mov_b32_e32 v19, v5
	v_pk_add_f32 v[4:5], v[12:13], v[18:19]
	v_mov_b32_e32 v12, v39
	v_pk_mul_f32 v[12:13], v[6:7], v[12:13] op_sel_hi:[1,0]
	v_pk_fma_f32 v[16:17], v[6:7], v[38:39], v[12:13] op_sel:[0,0,1] op_sel_hi:[1,1,0] neg_lo:[0,0,1] neg_hi:[0,0,1]
	v_pk_fma_f32 v[6:7], v[6:7], v[38:39], v[12:13] op_sel:[0,0,1] op_sel_hi:[1,0,0]
	v_mov_b32_e32 v6, v37
	v_mov_b32_e32 v17, v7
	s_waitcnt lgkmcnt(1)
	v_pk_mul_f32 v[6:7], v[8:9], v[6:7] op_sel_hi:[1,0]
	v_pk_fma_f32 v[12:13], v[8:9], v[36:37], v[6:7] op_sel:[0,0,1] op_sel_hi:[1,1,0] neg_lo:[0,0,1] neg_hi:[0,0,1]
	v_pk_fma_f32 v[6:7], v[8:9], v[36:37], v[6:7] op_sel:[0,0,1] op_sel_hi:[1,0,0]
	s_waitcnt vmcnt(1)
	v_mov_b32_e32 v6, v45
	v_mov_b32_e32 v13, v7
	v_pk_mul_f32 v[6:7], v[10:11], v[6:7] op_sel_hi:[1,0]
	s_waitcnt vmcnt(0)
	v_pk_fma_f32 v[8:9], v[10:11], v[44:45], v[6:7] op_sel:[0,0,1] op_sel_hi:[1,1,0] neg_lo:[0,0,1] neg_hi:[0,0,1]
	v_pk_fma_f32 v[6:7], v[10:11], v[44:45], v[6:7] op_sel:[0,0,1] op_sel_hi:[1,0,0]
	v_pk_add_f32 v[4:5], v[4:5], v[16:17]
	v_mov_b32_e32 v6, v43
	v_pk_add_f32 v[4:5], v[4:5], v[12:13]
	v_mov_b32_e32 v9, v7
	s_waitcnt lgkmcnt(0)
	v_pk_mul_f32 v[6:7], v[14:15], v[6:7] op_sel_hi:[1,0]
	v_pk_add_f32 v[4:5], v[4:5], v[8:9]
	v_pk_fma_f32 v[8:9], v[14:15], v[42:43], v[6:7] op_sel:[0,0,1] op_sel_hi:[1,1,0] neg_lo:[0,0,1] neg_hi:[0,0,1]
	v_pk_fma_f32 v[6:7], v[14:15], v[42:43], v[6:7] op_sel:[0,0,1] op_sel_hi:[1,0,0]
	v_mov_b32_e32 v9, v7
	v_pk_add_f32 v[4:5], v[4:5], v[8:9]
	v_pk_add_f32 v[4:5], v[32:33], v[4:5] neg_lo:[0,1] neg_hi:[0,1]
	buffer_store_dword v5, off, s[0:3], 0 offset:292
	buffer_store_dword v4, off, s[0:3], 0 offset:288
	s_and_saveexec_b64 s[4:5], vcc
	s_cbranch_execz .LBB117_267
; %bb.266:
	buffer_load_dword v4, off, s[0:3], 0 offset:280
	buffer_load_dword v5, off, s[0:3], 0 offset:284
	s_waitcnt vmcnt(0)
	ds_write_b64 v143, v[4:5]
	buffer_store_dword v2, off, s[0:3], 0 offset:280
	buffer_store_dword v2, off, s[0:3], 0 offset:284
.LBB117_267:
	s_or_b64 exec, exec, s[4:5]
	s_waitcnt lgkmcnt(0)
	; wave barrier
	s_waitcnt lgkmcnt(0)
	buffer_load_dword v3, off, s[0:3], 0 offset:292
	buffer_load_dword v46, off, s[0:3], 0 offset:300
	;; [unrolled: 1-line block ×22, first 2 shown]
	ds_read_b128 v[4:7], v2 offset:720
	ds_read_b128 v[8:11], v2 offset:736
	buffer_load_dword v31, off, s[0:3], 0 offset:372
	buffer_load_dword v30, off, s[0:3], 0 offset:368
	;; [unrolled: 1-line block ×10, first 2 shown]
	ds_read_b128 v[12:15], v2 offset:752
	ds_read_b128 v[16:19], v2 offset:768
	;; [unrolled: 1-line block ×4, first 2 shown]
	buffer_load_dword v41, off, s[0:3], 0 offset:428
	buffer_load_dword v40, off, s[0:3], 0 offset:424
	;; [unrolled: 1-line block ×6, first 2 shown]
	v_cmp_lt_u32_e32 vcc, 34, v0
	s_waitcnt vmcnt(37) lgkmcnt(5)
	v_mul_f32_e32 v67, v4, v3
	s_waitcnt vmcnt(36)
	v_mul_f32_e32 v68, v6, v46
	s_waitcnt vmcnt(35) lgkmcnt(4)
	v_mul_f32_e32 v69, v8, v48
	v_mul_f32_e32 v3, v5, v3
	;; [unrolled: 1-line block ×4, first 2 shown]
	s_waitcnt vmcnt(34)
	v_mul_f32_e32 v70, v10, v50
	s_waitcnt vmcnt(33) lgkmcnt(3)
	v_mul_f32_e32 v71, v12, v51
	s_waitcnt vmcnt(32)
	v_mul_f32_e32 v72, v14, v52
	s_waitcnt vmcnt(31) lgkmcnt(2)
	v_mul_f32_e32 v73, v16, v53
	s_waitcnt vmcnt(27)
	v_fmac_f32_e32 v67, v5, v57
	s_waitcnt vmcnt(26)
	v_fmac_f32_e32 v68, v7, v58
	v_fma_f32 v3, v4, v57, -v3
	s_waitcnt vmcnt(25)
	v_fma_f32 v5, v8, v59, -v48
	v_add_f32_e32 v8, 0, v67
	v_fmac_f32_e32 v69, v9, v59
	v_fma_f32 v4, v6, v58, -v46
	v_add_f32_e32 v3, 0, v3
	v_add_f32_e32 v8, v8, v68
	s_waitcnt vmcnt(24)
	v_fmac_f32_e32 v70, v11, v60
	v_add_f32_e32 v3, v3, v4
	v_add_f32_e32 v4, v8, v69
	s_waitcnt vmcnt(23)
	v_fmac_f32_e32 v71, v13, v61
	v_add_f32_e32 v4, v4, v70
	v_mul_f32_e32 v50, v11, v50
	s_waitcnt vmcnt(22)
	v_fmac_f32_e32 v72, v15, v62
	v_add_f32_e32 v4, v4, v71
	v_mul_f32_e32 v74, v18, v54
	v_mul_f32_e32 v51, v13, v51
	s_waitcnt vmcnt(21)
	v_fmac_f32_e32 v73, v17, v63
	v_fma_f32 v6, v10, v60, -v50
	v_add_f32_e32 v3, v3, v5
	v_add_f32_e32 v4, v4, v72
	v_mul_f32_e32 v52, v15, v52
	s_waitcnt vmcnt(20)
	v_fmac_f32_e32 v74, v19, v64
	v_fma_f32 v7, v12, v61, -v51
	v_add_f32_e32 v3, v3, v6
	v_add_f32_e32 v4, v4, v73
	;; [unrolled: 1-line block ×4, first 2 shown]
	v_fma_f32 v4, v14, v62, -v52
	v_add_f32_e32 v3, v3, v4
	v_mul_f32_e32 v4, v17, v53
	v_fma_f32 v4, v16, v63, -v4
	v_add_f32_e32 v3, v3, v4
	v_mul_f32_e32 v4, v19, v54
	v_fma_f32 v4, v18, v64, -v4
	s_waitcnt vmcnt(15)
	v_mov_b32_e32 v16, v31
	s_waitcnt lgkmcnt(1)
	v_mul_f32_e32 v47, v20, v55
	v_add_f32_e32 v50, v3, v4
	v_mul_f32_e32 v3, v21, v55
	s_waitcnt lgkmcnt(0)
	v_pk_mul_f32 v[16:17], v[24:25], v[16:17] op_sel_hi:[1,0]
	v_mul_f32_e32 v49, v22, v56
	v_fmac_f32_e32 v47, v21, v65
	v_fma_f32 v46, v20, v65, -v3
	v_mul_f32_e32 v3, v23, v56
	s_waitcnt vmcnt(14)
	v_pk_fma_f32 v[18:19], v[24:25], v[30:31], v[16:17] op_sel:[0,0,1] op_sel_hi:[1,1,0] neg_lo:[0,0,1] neg_hi:[0,0,1]
	v_pk_fma_f32 v[16:17], v[24:25], v[30:31], v[16:17] op_sel:[0,0,1] op_sel_hi:[1,0,0]
	v_fmac_f32_e32 v49, v23, v66
	v_fma_f32 v48, v22, v66, -v3
	ds_read_b128 v[4:7], v2 offset:816
	ds_read_b128 v[8:11], v2 offset:832
	ds_read_b128 v[12:15], v2 offset:848
	v_pk_add_f32 v[2:3], v[50:51], v[46:47]
	s_waitcnt vmcnt(13)
	v_mov_b32_e32 v16, v33
	v_pk_add_f32 v[2:3], v[2:3], v[48:49]
	v_mov_b32_e32 v19, v17
	v_pk_mul_f32 v[16:17], v[26:27], v[16:17] op_sel_hi:[1,0]
	v_pk_add_f32 v[2:3], v[2:3], v[18:19]
	s_waitcnt vmcnt(6)
	v_pk_fma_f32 v[18:19], v[26:27], v[32:33], v[16:17] op_sel:[0,0,1] op_sel_hi:[1,1,0] neg_lo:[0,0,1] neg_hi:[0,0,1]
	v_pk_fma_f32 v[16:17], v[26:27], v[32:33], v[16:17] op_sel:[0,0,1] op_sel_hi:[1,0,0]
	v_mov_b32_e32 v16, v39
	v_mov_b32_e32 v19, v17
	s_waitcnt lgkmcnt(2)
	v_pk_mul_f32 v[16:17], v[4:5], v[16:17] op_sel_hi:[1,0]
	v_pk_add_f32 v[2:3], v[2:3], v[18:19]
	v_pk_fma_f32 v[18:19], v[4:5], v[38:39], v[16:17] op_sel:[0,0,1] op_sel_hi:[1,1,0] neg_lo:[0,0,1] neg_hi:[0,0,1]
	v_pk_fma_f32 v[4:5], v[4:5], v[38:39], v[16:17] op_sel:[0,0,1] op_sel_hi:[1,0,0]
	v_mov_b32_e32 v4, v37
	v_mov_b32_e32 v19, v5
	v_pk_mul_f32 v[4:5], v[6:7], v[4:5] op_sel_hi:[1,0]
	v_pk_fma_f32 v[16:17], v[6:7], v[36:37], v[4:5] op_sel:[0,0,1] op_sel_hi:[1,1,0] neg_lo:[0,0,1] neg_hi:[0,0,1]
	v_pk_fma_f32 v[4:5], v[6:7], v[36:37], v[4:5] op_sel:[0,0,1] op_sel_hi:[1,0,0]
	v_mov_b32_e32 v4, v35
	v_mov_b32_e32 v17, v5
	s_waitcnt lgkmcnt(1)
	v_pk_mul_f32 v[4:5], v[8:9], v[4:5] op_sel_hi:[1,0]
	v_pk_fma_f32 v[6:7], v[8:9], v[34:35], v[4:5] op_sel:[0,0,1] op_sel_hi:[1,1,0] neg_lo:[0,0,1] neg_hi:[0,0,1]
	v_pk_fma_f32 v[4:5], v[8:9], v[34:35], v[4:5] op_sel:[0,0,1] op_sel_hi:[1,0,0]
	v_pk_add_f32 v[2:3], v[2:3], v[18:19]
	s_waitcnt vmcnt(1)
	v_mov_b32_e32 v4, v45
	v_pk_add_f32 v[2:3], v[2:3], v[16:17]
	v_mov_b32_e32 v7, v5
	v_pk_mul_f32 v[4:5], v[10:11], v[4:5] op_sel_hi:[1,0]
	v_pk_add_f32 v[2:3], v[2:3], v[6:7]
	s_waitcnt vmcnt(0)
	v_pk_fma_f32 v[6:7], v[10:11], v[44:45], v[4:5] op_sel:[0,0,1] op_sel_hi:[1,1,0] neg_lo:[0,0,1] neg_hi:[0,0,1]
	v_pk_fma_f32 v[4:5], v[10:11], v[44:45], v[4:5] op_sel:[0,0,1] op_sel_hi:[1,0,0]
	v_mov_b32_e32 v4, v43
	v_mov_b32_e32 v7, v5
	s_waitcnt lgkmcnt(0)
	v_pk_mul_f32 v[4:5], v[12:13], v[4:5] op_sel_hi:[1,0]
	v_pk_add_f32 v[2:3], v[2:3], v[6:7]
	v_pk_fma_f32 v[6:7], v[12:13], v[42:43], v[4:5] op_sel:[0,0,1] op_sel_hi:[1,1,0] neg_lo:[0,0,1] neg_hi:[0,0,1]
	v_pk_fma_f32 v[4:5], v[12:13], v[42:43], v[4:5] op_sel:[0,0,1] op_sel_hi:[1,0,0]
	v_mov_b32_e32 v4, v41
	v_mov_b32_e32 v7, v5
	v_pk_mul_f32 v[4:5], v[14:15], v[4:5] op_sel_hi:[1,0]
	v_pk_add_f32 v[2:3], v[2:3], v[6:7]
	v_pk_fma_f32 v[6:7], v[14:15], v[40:41], v[4:5] op_sel:[0,0,1] op_sel_hi:[1,1,0] neg_lo:[0,0,1] neg_hi:[0,0,1]
	v_pk_fma_f32 v[4:5], v[14:15], v[40:41], v[4:5] op_sel:[0,0,1] op_sel_hi:[1,0,0]
	v_mov_b32_e32 v7, v5
	v_pk_add_f32 v[2:3], v[2:3], v[6:7]
	v_pk_add_f32 v[2:3], v[28:29], v[2:3] neg_lo:[0,1] neg_hi:[0,1]
	buffer_store_dword v3, off, s[0:3], 0 offset:284
	buffer_store_dword v2, off, s[0:3], 0 offset:280
	s_and_saveexec_b64 s[4:5], vcc
	s_cbranch_execz .LBB117_269
; %bb.268:
	buffer_load_dword v2, off, s[0:3], 0 offset:272
	buffer_load_dword v3, off, s[0:3], 0 offset:276
	v_mov_b32_e32 v4, 0
	buffer_store_dword v4, off, s[0:3], 0 offset:272
	buffer_store_dword v4, off, s[0:3], 0 offset:276
	s_waitcnt vmcnt(2)
	ds_write_b64 v143, v[2:3]
.LBB117_269:
	s_or_b64 exec, exec, s[4:5]
	s_waitcnt lgkmcnt(0)
	; wave barrier
	s_waitcnt lgkmcnt(0)
	buffer_load_dword v3, off, s[0:3], 0 offset:284
	buffer_load_dword v46, off, s[0:3], 0 offset:292
	;; [unrolled: 1-line block ×40, first 2 shown]
	v_mov_b32_e32 v2, 0
	ds_read2_b64 v[4:7], v2 offset0:89 offset1:90
	ds_read2_b64 v[8:11], v2 offset0:91 offset1:92
	;; [unrolled: 1-line block ×6, first 2 shown]
	v_cmp_lt_u32_e32 vcc, 33, v0
	s_waitcnt vmcnt(39) lgkmcnt(5)
	v_mul_f32_e32 v69, v4, v3
	s_waitcnt vmcnt(38)
	v_mul_f32_e32 v70, v6, v46
	v_mul_f32_e32 v3, v5, v3
	s_waitcnt vmcnt(37) lgkmcnt(4)
	v_mul_f32_e32 v71, v8, v48
	v_mul_f32_e32 v46, v7, v46
	s_waitcnt vmcnt(36)
	v_mul_f32_e32 v72, v10, v50
	s_waitcnt vmcnt(35) lgkmcnt(3)
	v_mul_f32_e32 v73, v12, v52
	s_waitcnt vmcnt(34)
	v_mul_f32_e32 v74, v14, v53
	s_waitcnt vmcnt(33) lgkmcnt(2)
	v_mul_f32_e32 v75, v16, v54
	s_waitcnt vmcnt(32)
	v_mul_f32_e32 v76, v18, v55
	s_waitcnt vmcnt(31) lgkmcnt(1)
	v_mul_f32_e32 v77, v20, v56
	s_waitcnt vmcnt(28)
	v_fmac_f32_e32 v69, v5, v51
	s_waitcnt vmcnt(27)
	v_fmac_f32_e32 v70, v7, v59
	v_fma_f32 v3, v4, v51, -v3
	v_add_f32_e32 v7, 0, v69
	s_waitcnt vmcnt(26)
	v_fmac_f32_e32 v71, v9, v60
	v_fma_f32 v4, v6, v59, -v46
	v_add_f32_e32 v3, 0, v3
	v_add_f32_e32 v7, v7, v70
	s_waitcnt vmcnt(25)
	v_fmac_f32_e32 v72, v11, v61
	v_add_f32_e32 v3, v3, v4
	v_add_f32_e32 v4, v7, v71
	s_waitcnt vmcnt(24)
	v_fmac_f32_e32 v73, v13, v62
	v_add_f32_e32 v4, v4, v72
	s_waitcnt vmcnt(23)
	v_fmac_f32_e32 v74, v15, v63
	;; [unrolled: 3-line block ×3, first 2 shown]
	v_add_f32_e32 v4, v4, v74
	v_mul_f32_e32 v48, v9, v48
	s_waitcnt vmcnt(21)
	v_fmac_f32_e32 v76, v19, v65
	v_add_f32_e32 v4, v4, v75
	v_mul_f32_e32 v50, v11, v50
	s_waitcnt vmcnt(20)
	v_fmac_f32_e32 v77, v21, v66
	v_fma_f32 v5, v8, v60, -v48
	v_add_f32_e32 v4, v4, v76
	v_fma_f32 v6, v10, v61, -v50
	v_add_f32_e32 v3, v3, v5
	v_add_f32_e32 v51, v4, v77
	v_mul_f32_e32 v4, v13, v52
	v_add_f32_e32 v3, v3, v6
	v_fma_f32 v4, v12, v62, -v4
	v_add_f32_e32 v3, v3, v4
	v_mul_f32_e32 v4, v15, v53
	v_fma_f32 v4, v14, v63, -v4
	v_add_f32_e32 v3, v3, v4
	v_mul_f32_e32 v4, v17, v54
	;; [unrolled: 3-line block ×4, first 2 shown]
	v_fma_f32 v4, v20, v66, -v4
	s_waitcnt vmcnt(9)
	v_mov_b32_e32 v20, v37
	v_mul_f32_e32 v47, v22, v57
	v_add_f32_e32 v50, v3, v4
	v_mul_f32_e32 v3, v23, v57
	s_waitcnt lgkmcnt(0)
	v_pk_mul_f32 v[20:21], v[26:27], v[20:21] op_sel_hi:[1,0]
	v_mul_f32_e32 v49, v24, v58
	v_fmac_f32_e32 v47, v23, v67
	v_fma_f32 v46, v22, v67, -v3
	v_mul_f32_e32 v3, v25, v58
	ds_read2_b64 v[4:7], v2 offset0:101 offset1:102
	ds_read2_b64 v[8:11], v2 offset0:103 offset1:104
	;; [unrolled: 1-line block ×3, first 2 shown]
	ds_read_b64 v[16:17], v2 offset:856
	s_waitcnt vmcnt(8)
	v_pk_fma_f32 v[22:23], v[26:27], v[36:37], v[20:21] op_sel:[0,0,1] op_sel_hi:[1,1,0] neg_lo:[0,0,1] neg_hi:[0,0,1]
	v_pk_fma_f32 v[20:21], v[26:27], v[36:37], v[20:21] op_sel:[0,0,1] op_sel_hi:[1,0,0]
	v_fmac_f32_e32 v49, v25, v68
	v_fma_f32 v48, v24, v68, -v3
	v_pk_add_f32 v[18:19], v[50:51], v[46:47]
	v_mov_b32_e32 v20, v35
	v_pk_add_f32 v[18:19], v[18:19], v[48:49]
	v_mov_b32_e32 v23, v21
	s_waitcnt lgkmcnt(3)
	v_pk_mul_f32 v[20:21], v[4:5], v[20:21] op_sel_hi:[1,0]
	v_pk_add_f32 v[18:19], v[18:19], v[22:23]
	v_pk_fma_f32 v[22:23], v[4:5], v[34:35], v[20:21] op_sel:[0,0,1] op_sel_hi:[1,1,0] neg_lo:[0,0,1] neg_hi:[0,0,1]
	v_pk_fma_f32 v[4:5], v[4:5], v[34:35], v[20:21] op_sel:[0,0,1] op_sel_hi:[1,0,0]
	v_mov_b32_e32 v23, v5
	v_pk_add_f32 v[4:5], v[18:19], v[22:23]
	v_mov_b32_e32 v18, v33
	v_pk_mul_f32 v[18:19], v[6:7], v[18:19] op_sel_hi:[1,0]
	v_pk_fma_f32 v[20:21], v[6:7], v[32:33], v[18:19] op_sel:[0,0,1] op_sel_hi:[1,1,0] neg_lo:[0,0,1] neg_hi:[0,0,1]
	v_pk_fma_f32 v[6:7], v[6:7], v[32:33], v[18:19] op_sel:[0,0,1] op_sel_hi:[1,0,0]
	v_mov_b32_e32 v6, v31
	v_mov_b32_e32 v21, v7
	s_waitcnt lgkmcnt(2)
	v_pk_mul_f32 v[6:7], v[8:9], v[6:7] op_sel_hi:[1,0]
	v_pk_fma_f32 v[18:19], v[8:9], v[30:31], v[6:7] op_sel:[0,0,1] op_sel_hi:[1,1,0] neg_lo:[0,0,1] neg_hi:[0,0,1]
	v_pk_fma_f32 v[6:7], v[8:9], v[30:31], v[6:7] op_sel:[0,0,1] op_sel_hi:[1,0,0]
	s_waitcnt vmcnt(1)
	v_mov_b32_e32 v6, v45
	v_mov_b32_e32 v19, v7
	v_pk_mul_f32 v[6:7], v[10:11], v[6:7] op_sel_hi:[1,0]
	s_waitcnt vmcnt(0)
	v_pk_fma_f32 v[8:9], v[10:11], v[44:45], v[6:7] op_sel:[0,0,1] op_sel_hi:[1,1,0] neg_lo:[0,0,1] neg_hi:[0,0,1]
	v_pk_fma_f32 v[6:7], v[10:11], v[44:45], v[6:7] op_sel:[0,0,1] op_sel_hi:[1,0,0]
	v_pk_add_f32 v[4:5], v[4:5], v[20:21]
	v_mov_b32_e32 v6, v43
	v_pk_add_f32 v[4:5], v[4:5], v[18:19]
	v_mov_b32_e32 v9, v7
	s_waitcnt lgkmcnt(1)
	v_pk_mul_f32 v[6:7], v[12:13], v[6:7] op_sel_hi:[1,0]
	v_pk_add_f32 v[4:5], v[4:5], v[8:9]
	v_pk_fma_f32 v[8:9], v[12:13], v[42:43], v[6:7] op_sel:[0,0,1] op_sel_hi:[1,1,0] neg_lo:[0,0,1] neg_hi:[0,0,1]
	v_pk_fma_f32 v[6:7], v[12:13], v[42:43], v[6:7] op_sel:[0,0,1] op_sel_hi:[1,0,0]
	v_mov_b32_e32 v6, v41
	v_mov_b32_e32 v9, v7
	v_pk_mul_f32 v[6:7], v[14:15], v[6:7] op_sel_hi:[1,0]
	v_pk_add_f32 v[4:5], v[4:5], v[8:9]
	v_pk_fma_f32 v[8:9], v[14:15], v[40:41], v[6:7] op_sel:[0,0,1] op_sel_hi:[1,1,0] neg_lo:[0,0,1] neg_hi:[0,0,1]
	v_pk_fma_f32 v[6:7], v[14:15], v[40:41], v[6:7] op_sel:[0,0,1] op_sel_hi:[1,0,0]
	v_mov_b32_e32 v6, v39
	v_mov_b32_e32 v9, v7
	s_waitcnt lgkmcnt(0)
	v_pk_mul_f32 v[6:7], v[16:17], v[6:7] op_sel_hi:[1,0]
	v_pk_add_f32 v[4:5], v[4:5], v[8:9]
	v_pk_fma_f32 v[8:9], v[16:17], v[38:39], v[6:7] op_sel:[0,0,1] op_sel_hi:[1,1,0] neg_lo:[0,0,1] neg_hi:[0,0,1]
	v_pk_fma_f32 v[6:7], v[16:17], v[38:39], v[6:7] op_sel:[0,0,1] op_sel_hi:[1,0,0]
	v_mov_b32_e32 v9, v7
	v_pk_add_f32 v[4:5], v[4:5], v[8:9]
	v_pk_add_f32 v[4:5], v[28:29], v[4:5] neg_lo:[0,1] neg_hi:[0,1]
	buffer_store_dword v5, off, s[0:3], 0 offset:276
	buffer_store_dword v4, off, s[0:3], 0 offset:272
	s_and_saveexec_b64 s[4:5], vcc
	s_cbranch_execz .LBB117_271
; %bb.270:
	buffer_load_dword v4, off, s[0:3], 0 offset:264
	buffer_load_dword v5, off, s[0:3], 0 offset:268
	s_waitcnt vmcnt(0)
	ds_write_b64 v143, v[4:5]
	buffer_store_dword v2, off, s[0:3], 0 offset:264
	buffer_store_dword v2, off, s[0:3], 0 offset:268
.LBB117_271:
	s_or_b64 exec, exec, s[4:5]
	s_waitcnt lgkmcnt(0)
	; wave barrier
	s_waitcnt lgkmcnt(0)
	buffer_load_dword v3, off, s[0:3], 0 offset:276
	buffer_load_dword v46, off, s[0:3], 0 offset:284
	buffer_load_dword v48, off, s[0:3], 0 offset:292
	buffer_load_dword v50, off, s[0:3], 0 offset:300
	buffer_load_dword v52, off, s[0:3], 0 offset:308
	buffer_load_dword v53, off, s[0:3], 0 offset:316
	buffer_load_dword v54, off, s[0:3], 0 offset:324
	buffer_load_dword v55, off, s[0:3], 0 offset:332
	buffer_load_dword v56, off, s[0:3], 0 offset:340
	buffer_load_dword v57, off, s[0:3], 0 offset:348
	buffer_load_dword v58, off, s[0:3], 0 offset:356
	buffer_load_dword v59, off, s[0:3], 0 offset:364
	buffer_load_dword v51, off, s[0:3], 0 offset:272
	buffer_load_dword v60, off, s[0:3], 0 offset:280
	buffer_load_dword v61, off, s[0:3], 0 offset:288
	buffer_load_dword v62, off, s[0:3], 0 offset:296
	buffer_load_dword v63, off, s[0:3], 0 offset:304
	buffer_load_dword v64, off, s[0:3], 0 offset:312
	buffer_load_dword v65, off, s[0:3], 0 offset:320
	buffer_load_dword v66, off, s[0:3], 0 offset:328
	buffer_load_dword v67, off, s[0:3], 0 offset:336
	buffer_load_dword v68, off, s[0:3], 0 offset:344
	buffer_load_dword v69, off, s[0:3], 0 offset:352
	buffer_load_dword v70, off, s[0:3], 0 offset:360
	buffer_load_dword v28, off, s[0:3], 0 offset:264
	buffer_load_dword v29, off, s[0:3], 0 offset:268
	ds_read_b128 v[4:7], v2 offset:704
	ds_read_b128 v[8:11], v2 offset:720
	;; [unrolled: 1-line block ×6, first 2 shown]
	buffer_load_dword v31, off, s[0:3], 0 offset:388
	buffer_load_dword v30, off, s[0:3], 0 offset:384
	;; [unrolled: 1-line block ×16, first 2 shown]
	v_cmp_lt_u32_e32 vcc, 32, v0
	s_waitcnt vmcnt(41) lgkmcnt(5)
	v_mul_f32_e32 v71, v4, v3
	s_waitcnt vmcnt(40)
	v_mul_f32_e32 v72, v6, v46
	v_mul_f32_e32 v3, v5, v3
	;; [unrolled: 1-line block ×3, first 2 shown]
	s_waitcnt vmcnt(39) lgkmcnt(4)
	v_mul_f32_e32 v73, v8, v48
	s_waitcnt vmcnt(38)
	v_mul_f32_e32 v74, v10, v50
	s_waitcnt vmcnt(37) lgkmcnt(3)
	v_mul_f32_e32 v75, v12, v52
	s_waitcnt vmcnt(36)
	v_mul_f32_e32 v76, v14, v53
	;; [unrolled: 4-line block ×4, first 2 shown]
	s_waitcnt vmcnt(29)
	v_fmac_f32_e32 v71, v5, v51
	s_waitcnt vmcnt(28)
	v_fmac_f32_e32 v72, v7, v60
	v_fma_f32 v3, v4, v51, -v3
	v_fma_f32 v4, v6, v60, -v46
	v_add_f32_e32 v6, 0, v71
	s_waitcnt vmcnt(27)
	v_fmac_f32_e32 v73, v9, v61
	v_add_f32_e32 v3, 0, v3
	v_add_f32_e32 v6, v6, v72
	s_waitcnt vmcnt(26)
	v_fmac_f32_e32 v74, v11, v62
	v_add_f32_e32 v3, v3, v4
	v_add_f32_e32 v4, v6, v73
	s_waitcnt vmcnt(25)
	v_fmac_f32_e32 v75, v13, v63
	v_add_f32_e32 v4, v4, v74
	s_waitcnt vmcnt(24)
	v_fmac_f32_e32 v76, v15, v64
	v_add_f32_e32 v4, v4, v75
	s_waitcnt vmcnt(23)
	v_fmac_f32_e32 v77, v17, v65
	v_add_f32_e32 v4, v4, v76
	;; [unrolled: 3-line block ×4, first 2 shown]
	v_mul_f32_e32 v48, v9, v48
	s_waitcnt vmcnt(20)
	v_fmac_f32_e32 v80, v23, v68
	v_add_f32_e32 v4, v4, v79
	v_fma_f32 v5, v8, v61, -v48
	v_add_f32_e32 v51, v4, v80
	v_mul_f32_e32 v4, v11, v50
	v_add_f32_e32 v3, v3, v5
	v_fma_f32 v4, v10, v62, -v4
	v_add_f32_e32 v3, v3, v4
	v_mul_f32_e32 v4, v13, v52
	v_fma_f32 v4, v12, v63, -v4
	v_add_f32_e32 v3, v3, v4
	v_mul_f32_e32 v4, v15, v53
	v_fma_f32 v4, v14, v64, -v4
	v_add_f32_e32 v3, v3, v4
	v_mul_f32_e32 v4, v17, v54
	v_fma_f32 v4, v16, v65, -v4
	v_add_f32_e32 v3, v3, v4
	v_mul_f32_e32 v4, v19, v55
	v_fma_f32 v4, v18, v66, -v4
	v_add_f32_e32 v3, v3, v4
	v_mul_f32_e32 v4, v21, v56
	v_fma_f32 v4, v20, v67, -v4
	v_add_f32_e32 v3, v3, v4
	v_mul_f32_e32 v4, v23, v57
	v_fma_f32 v4, v22, v68, -v4
	v_add_f32_e32 v50, v3, v4
	ds_read_b128 v[4:7], v2 offset:800
	ds_read_b128 v[8:11], v2 offset:816
	;; [unrolled: 1-line block ×4, first 2 shown]
	s_waitcnt vmcnt(11)
	v_mov_b32_e32 v20, v35
	s_waitcnt lgkmcnt(3)
	v_pk_mul_f32 v[20:21], v[4:5], v[20:21] op_sel_hi:[1,0]
	s_waitcnt vmcnt(10)
	v_pk_fma_f32 v[22:23], v[4:5], v[34:35], v[20:21] op_sel:[0,0,1] op_sel_hi:[1,1,0] neg_lo:[0,0,1] neg_hi:[0,0,1]
	v_pk_fma_f32 v[4:5], v[4:5], v[34:35], v[20:21] op_sel:[0,0,1] op_sel_hi:[1,0,0]
	v_mov_b32_e32 v4, v33
	v_mov_b32_e32 v23, v5
	v_pk_mul_f32 v[4:5], v[6:7], v[4:5] op_sel_hi:[1,0]
	v_mul_f32_e32 v47, v24, v58
	v_mul_f32_e32 v3, v25, v58
	v_pk_fma_f32 v[20:21], v[6:7], v[32:33], v[4:5] op_sel:[0,0,1] op_sel_hi:[1,1,0] neg_lo:[0,0,1] neg_hi:[0,0,1]
	v_pk_fma_f32 v[4:5], v[6:7], v[32:33], v[4:5] op_sel:[0,0,1] op_sel_hi:[1,0,0]
	v_mul_f32_e32 v49, v26, v59
	v_fmac_f32_e32 v47, v25, v69
	v_fma_f32 v46, v24, v69, -v3
	v_mul_f32_e32 v3, v27, v59
	v_mov_b32_e32 v4, v31
	v_fmac_f32_e32 v49, v27, v70
	v_fma_f32 v48, v26, v70, -v3
	v_pk_add_f32 v[2:3], v[50:51], v[46:47]
	v_mov_b32_e32 v21, v5
	s_waitcnt lgkmcnt(2)
	v_pk_mul_f32 v[4:5], v[8:9], v[4:5] op_sel_hi:[1,0]
	v_pk_add_f32 v[2:3], v[2:3], v[48:49]
	v_pk_fma_f32 v[6:7], v[8:9], v[30:31], v[4:5] op_sel:[0,0,1] op_sel_hi:[1,1,0] neg_lo:[0,0,1] neg_hi:[0,0,1]
	v_pk_fma_f32 v[4:5], v[8:9], v[30:31], v[4:5] op_sel:[0,0,1] op_sel_hi:[1,0,0]
	v_pk_add_f32 v[2:3], v[2:3], v[22:23]
	s_waitcnt vmcnt(3)
	v_mov_b32_e32 v4, v43
	v_pk_add_f32 v[2:3], v[2:3], v[20:21]
	v_mov_b32_e32 v7, v5
	v_pk_mul_f32 v[4:5], v[10:11], v[4:5] op_sel_hi:[1,0]
	v_pk_add_f32 v[2:3], v[2:3], v[6:7]
	s_waitcnt vmcnt(2)
	v_pk_fma_f32 v[6:7], v[10:11], v[42:43], v[4:5] op_sel:[0,0,1] op_sel_hi:[1,1,0] neg_lo:[0,0,1] neg_hi:[0,0,1]
	v_pk_fma_f32 v[4:5], v[10:11], v[42:43], v[4:5] op_sel:[0,0,1] op_sel_hi:[1,0,0]
	v_mov_b32_e32 v4, v41
	v_mov_b32_e32 v7, v5
	s_waitcnt lgkmcnt(1)
	v_pk_mul_f32 v[4:5], v[12:13], v[4:5] op_sel_hi:[1,0]
	v_pk_add_f32 v[2:3], v[2:3], v[6:7]
	v_pk_fma_f32 v[6:7], v[12:13], v[40:41], v[4:5] op_sel:[0,0,1] op_sel_hi:[1,1,0] neg_lo:[0,0,1] neg_hi:[0,0,1]
	v_pk_fma_f32 v[4:5], v[12:13], v[40:41], v[4:5] op_sel:[0,0,1] op_sel_hi:[1,0,0]
	v_mov_b32_e32 v4, v39
	v_mov_b32_e32 v7, v5
	v_pk_mul_f32 v[4:5], v[14:15], v[4:5] op_sel_hi:[1,0]
	v_pk_add_f32 v[2:3], v[2:3], v[6:7]
	v_pk_fma_f32 v[6:7], v[14:15], v[38:39], v[4:5] op_sel:[0,0,1] op_sel_hi:[1,1,0] neg_lo:[0,0,1] neg_hi:[0,0,1]
	v_pk_fma_f32 v[4:5], v[14:15], v[38:39], v[4:5] op_sel:[0,0,1] op_sel_hi:[1,0,0]
	v_mov_b32_e32 v4, v37
	v_mov_b32_e32 v7, v5
	s_waitcnt lgkmcnt(0)
	v_pk_mul_f32 v[4:5], v[16:17], v[4:5] op_sel_hi:[1,0]
	v_pk_add_f32 v[2:3], v[2:3], v[6:7]
	v_pk_fma_f32 v[6:7], v[16:17], v[36:37], v[4:5] op_sel:[0,0,1] op_sel_hi:[1,1,0] neg_lo:[0,0,1] neg_hi:[0,0,1]
	v_pk_fma_f32 v[4:5], v[16:17], v[36:37], v[4:5] op_sel:[0,0,1] op_sel_hi:[1,0,0]
	s_waitcnt vmcnt(1)
	v_mov_b32_e32 v4, v45
	v_mov_b32_e32 v7, v5
	v_pk_mul_f32 v[4:5], v[18:19], v[4:5] op_sel_hi:[1,0]
	v_pk_add_f32 v[2:3], v[2:3], v[6:7]
	s_waitcnt vmcnt(0)
	v_pk_fma_f32 v[6:7], v[18:19], v[44:45], v[4:5] op_sel:[0,0,1] op_sel_hi:[1,1,0] neg_lo:[0,0,1] neg_hi:[0,0,1]
	v_pk_fma_f32 v[4:5], v[18:19], v[44:45], v[4:5] op_sel:[0,0,1] op_sel_hi:[1,0,0]
	v_mov_b32_e32 v7, v5
	v_pk_add_f32 v[2:3], v[2:3], v[6:7]
	v_pk_add_f32 v[2:3], v[28:29], v[2:3] neg_lo:[0,1] neg_hi:[0,1]
	buffer_store_dword v3, off, s[0:3], 0 offset:268
	buffer_store_dword v2, off, s[0:3], 0 offset:264
	s_and_saveexec_b64 s[4:5], vcc
	s_cbranch_execz .LBB117_273
; %bb.272:
	buffer_load_dword v2, off, s[0:3], 0 offset:256
	buffer_load_dword v3, off, s[0:3], 0 offset:260
	v_mov_b32_e32 v4, 0
	buffer_store_dword v4, off, s[0:3], 0 offset:256
	buffer_store_dword v4, off, s[0:3], 0 offset:260
	s_waitcnt vmcnt(2)
	ds_write_b64 v143, v[2:3]
.LBB117_273:
	s_or_b64 exec, exec, s[4:5]
	s_waitcnt lgkmcnt(0)
	; wave barrier
	s_waitcnt lgkmcnt(0)
	buffer_load_dword v3, off, s[0:3], 0 offset:268
	buffer_load_dword v54, off, s[0:3], 0 offset:276
	buffer_load_dword v56, off, s[0:3], 0 offset:284
	buffer_load_dword v58, off, s[0:3], 0 offset:292
	buffer_load_dword v60, off, s[0:3], 0 offset:300
	buffer_load_dword v61, off, s[0:3], 0 offset:308
	buffer_load_dword v62, off, s[0:3], 0 offset:316
	buffer_load_dword v63, off, s[0:3], 0 offset:324
	buffer_load_dword v64, off, s[0:3], 0 offset:332
	buffer_load_dword v65, off, s[0:3], 0 offset:340
	buffer_load_dword v66, off, s[0:3], 0 offset:348
	buffer_load_dword v67, off, s[0:3], 0 offset:356
	buffer_load_dword v68, off, s[0:3], 0 offset:364
	buffer_load_dword v69, off, s[0:3], 0 offset:264
	buffer_load_dword v70, off, s[0:3], 0 offset:272
	buffer_load_dword v71, off, s[0:3], 0 offset:280
	buffer_load_dword v72, off, s[0:3], 0 offset:288
	buffer_load_dword v73, off, s[0:3], 0 offset:296
	buffer_load_dword v74, off, s[0:3], 0 offset:304
	buffer_load_dword v75, off, s[0:3], 0 offset:312
	buffer_load_dword v76, off, s[0:3], 0 offset:320
	buffer_load_dword v77, off, s[0:3], 0 offset:328
	buffer_load_dword v78, off, s[0:3], 0 offset:336
	buffer_load_dword v79, off, s[0:3], 0 offset:344
	buffer_load_dword v80, off, s[0:3], 0 offset:352
	buffer_load_dword v81, off, s[0:3], 0 offset:360
	buffer_load_dword v36, off, s[0:3], 0 offset:256
	buffer_load_dword v37, off, s[0:3], 0 offset:260
	buffer_load_dword v39, off, s[0:3], 0 offset:380
	buffer_load_dword v38, off, s[0:3], 0 offset:376
	buffer_load_dword v41, off, s[0:3], 0 offset:372
	buffer_load_dword v40, off, s[0:3], 0 offset:368
	buffer_load_dword v43, off, s[0:3], 0 offset:412
	buffer_load_dword v42, off, s[0:3], 0 offset:408
	buffer_load_dword v45, off, s[0:3], 0 offset:404
	buffer_load_dword v44, off, s[0:3], 0 offset:400
	buffer_load_dword v47, off, s[0:3], 0 offset:396
	buffer_load_dword v46, off, s[0:3], 0 offset:392
	buffer_load_dword v49, off, s[0:3], 0 offset:388
	buffer_load_dword v48, off, s[0:3], 0 offset:384
	buffer_load_dword v51, off, s[0:3], 0 offset:428
	buffer_load_dword v50, off, s[0:3], 0 offset:424
	buffer_load_dword v53, off, s[0:3], 0 offset:420
	buffer_load_dword v52, off, s[0:3], 0 offset:416
	v_mov_b32_e32 v2, 0
	ds_read2_b64 v[4:7], v2 offset0:87 offset1:88
	ds_read2_b64 v[8:11], v2 offset0:89 offset1:90
	;; [unrolled: 1-line block ×8, first 2 shown]
	v_cmp_lt_u32_e32 vcc, 31, v0
	s_waitcnt vmcnt(43) lgkmcnt(7)
	v_mul_f32_e32 v59, v4, v3
	v_mul_f32_e32 v3, v5, v3
	s_waitcnt vmcnt(42)
	v_mul_f32_e32 v82, v6, v54
	s_waitcnt vmcnt(41) lgkmcnt(6)
	v_mul_f32_e32 v83, v8, v56
	s_waitcnt vmcnt(40)
	v_mul_f32_e32 v84, v10, v58
	s_waitcnt vmcnt(39) lgkmcnt(5)
	;; [unrolled: 4-line block ×5, first 2 shown]
	v_mul_f32_e32 v91, v24, v66
	s_waitcnt vmcnt(32)
	v_mul_f32_e32 v55, v26, v67
	s_waitcnt vmcnt(30)
	v_fma_f32 v3, v4, v69, -v3
	v_mul_f32_e32 v4, v7, v54
	v_add_f32_e32 v3, 0, v3
	s_waitcnt vmcnt(29)
	v_fma_f32 v4, v6, v70, -v4
	v_add_f32_e32 v3, v3, v4
	v_mul_f32_e32 v4, v9, v56
	s_waitcnt vmcnt(28)
	v_fma_f32 v4, v8, v71, -v4
	v_add_f32_e32 v3, v3, v4
	v_mul_f32_e32 v4, v11, v58
	;; [unrolled: 4-line block ×4, first 2 shown]
	s_waitcnt vmcnt(25)
	v_fma_f32 v4, v14, v74, -v4
	v_fmac_f32_e32 v59, v5, v69
	v_add_f32_e32 v3, v3, v4
	v_mul_f32_e32 v4, v17, v62
	v_fmac_f32_e32 v82, v7, v70
	v_add_f32_e32 v5, 0, v59
	s_waitcnt vmcnt(24)
	v_fma_f32 v4, v16, v75, -v4
	v_fmac_f32_e32 v83, v9, v71
	v_add_f32_e32 v5, v5, v82
	v_add_f32_e32 v3, v3, v4
	v_mul_f32_e32 v4, v19, v63
	v_fmac_f32_e32 v84, v11, v72
	v_add_f32_e32 v5, v5, v83
	s_waitcnt vmcnt(23)
	v_fma_f32 v4, v18, v76, -v4
	v_fmac_f32_e32 v85, v13, v73
	v_add_f32_e32 v5, v5, v84
	;; [unrolled: 8-line block ×4, first 2 shown]
	v_add_f32_e32 v3, v3, v4
	v_mul_f32_e32 v4, v25, v66
	v_fmac_f32_e32 v90, v23, v78
	v_add_f32_e32 v5, v5, v89
	s_waitcnt vmcnt(20)
	v_fma_f32 v4, v24, v79, -v4
	s_waitcnt vmcnt(13)
	v_mov_b32_e32 v16, v41
	v_fmac_f32_e32 v91, v25, v79
	v_add_f32_e32 v5, v5, v90
	v_add_f32_e32 v58, v3, v4
	v_mul_f32_e32 v3, v27, v67
	s_waitcnt lgkmcnt(1)
	v_pk_mul_f32 v[16:17], v[30:31], v[16:17] op_sel_hi:[1,0]
	v_mul_f32_e32 v57, v28, v68
	v_fmac_f32_e32 v55, v27, v80
	v_add_f32_e32 v59, v5, v91
	v_fma_f32 v54, v26, v80, -v3
	v_mul_f32_e32 v3, v29, v68
	s_waitcnt vmcnt(12)
	v_pk_fma_f32 v[18:19], v[30:31], v[40:41], v[16:17] op_sel:[0,0,1] op_sel_hi:[1,1,0] neg_lo:[0,0,1] neg_hi:[0,0,1]
	v_pk_fma_f32 v[16:17], v[30:31], v[40:41], v[16:17] op_sel:[0,0,1] op_sel_hi:[1,0,0]
	v_fmac_f32_e32 v57, v29, v81
	v_fma_f32 v56, v28, v81, -v3
	v_pk_add_f32 v[14:15], v[58:59], v[54:55]
	v_mov_b32_e32 v16, v39
	v_pk_add_f32 v[14:15], v[14:15], v[56:57]
	v_mov_b32_e32 v19, v17
	s_waitcnt lgkmcnt(0)
	v_pk_mul_f32 v[16:17], v[32:33], v[16:17] op_sel_hi:[1,0]
	v_pk_add_f32 v[14:15], v[14:15], v[18:19]
	v_pk_fma_f32 v[18:19], v[32:33], v[38:39], v[16:17] op_sel:[0,0,1] op_sel_hi:[1,1,0] neg_lo:[0,0,1] neg_hi:[0,0,1]
	v_pk_fma_f32 v[16:17], v[32:33], v[38:39], v[16:17] op_sel:[0,0,1] op_sel_hi:[1,0,0]
	s_waitcnt vmcnt(5)
	v_mov_b32_e32 v16, v49
	ds_read2_b64 v[4:7], v2 offset0:103 offset1:104
	ds_read2_b64 v[8:11], v2 offset0:105 offset1:106
	ds_read_b64 v[12:13], v2 offset:856
	v_mov_b32_e32 v19, v17
	v_pk_mul_f32 v[16:17], v[34:35], v[16:17] op_sel_hi:[1,0]
	v_pk_add_f32 v[14:15], v[14:15], v[18:19]
	s_waitcnt vmcnt(4)
	v_pk_fma_f32 v[18:19], v[34:35], v[48:49], v[16:17] op_sel:[0,0,1] op_sel_hi:[1,1,0] neg_lo:[0,0,1] neg_hi:[0,0,1]
	v_pk_fma_f32 v[16:17], v[34:35], v[48:49], v[16:17] op_sel:[0,0,1] op_sel_hi:[1,0,0]
	v_mov_b32_e32 v16, v47
	v_mov_b32_e32 v19, v17
	s_waitcnt lgkmcnt(2)
	v_pk_mul_f32 v[16:17], v[4:5], v[16:17] op_sel_hi:[1,0]
	v_pk_add_f32 v[14:15], v[14:15], v[18:19]
	v_pk_fma_f32 v[18:19], v[4:5], v[46:47], v[16:17] op_sel:[0,0,1] op_sel_hi:[1,1,0] neg_lo:[0,0,1] neg_hi:[0,0,1]
	v_pk_fma_f32 v[4:5], v[4:5], v[46:47], v[16:17] op_sel:[0,0,1] op_sel_hi:[1,0,0]
	v_mov_b32_e32 v19, v5
	v_pk_add_f32 v[4:5], v[14:15], v[18:19]
	v_mov_b32_e32 v14, v45
	v_pk_mul_f32 v[14:15], v[6:7], v[14:15] op_sel_hi:[1,0]
	v_pk_fma_f32 v[16:17], v[6:7], v[44:45], v[14:15] op_sel:[0,0,1] op_sel_hi:[1,1,0] neg_lo:[0,0,1] neg_hi:[0,0,1]
	v_pk_fma_f32 v[6:7], v[6:7], v[44:45], v[14:15] op_sel:[0,0,1] op_sel_hi:[1,0,0]
	v_mov_b32_e32 v6, v43
	v_mov_b32_e32 v17, v7
	s_waitcnt lgkmcnt(1)
	v_pk_mul_f32 v[6:7], v[8:9], v[6:7] op_sel_hi:[1,0]
	v_pk_fma_f32 v[14:15], v[8:9], v[42:43], v[6:7] op_sel:[0,0,1] op_sel_hi:[1,1,0] neg_lo:[0,0,1] neg_hi:[0,0,1]
	v_pk_fma_f32 v[6:7], v[8:9], v[42:43], v[6:7] op_sel:[0,0,1] op_sel_hi:[1,0,0]
	s_waitcnt vmcnt(1)
	v_mov_b32_e32 v6, v53
	v_mov_b32_e32 v15, v7
	v_pk_mul_f32 v[6:7], v[10:11], v[6:7] op_sel_hi:[1,0]
	s_waitcnt vmcnt(0)
	v_pk_fma_f32 v[8:9], v[10:11], v[52:53], v[6:7] op_sel:[0,0,1] op_sel_hi:[1,1,0] neg_lo:[0,0,1] neg_hi:[0,0,1]
	v_pk_fma_f32 v[6:7], v[10:11], v[52:53], v[6:7] op_sel:[0,0,1] op_sel_hi:[1,0,0]
	v_pk_add_f32 v[4:5], v[4:5], v[16:17]
	v_mov_b32_e32 v6, v51
	v_pk_add_f32 v[4:5], v[4:5], v[14:15]
	v_mov_b32_e32 v9, v7
	s_waitcnt lgkmcnt(0)
	v_pk_mul_f32 v[6:7], v[12:13], v[6:7] op_sel_hi:[1,0]
	v_pk_add_f32 v[4:5], v[4:5], v[8:9]
	v_pk_fma_f32 v[8:9], v[12:13], v[50:51], v[6:7] op_sel:[0,0,1] op_sel_hi:[1,1,0] neg_lo:[0,0,1] neg_hi:[0,0,1]
	v_pk_fma_f32 v[6:7], v[12:13], v[50:51], v[6:7] op_sel:[0,0,1] op_sel_hi:[1,0,0]
	v_mov_b32_e32 v9, v7
	v_pk_add_f32 v[4:5], v[4:5], v[8:9]
	v_pk_add_f32 v[4:5], v[36:37], v[4:5] neg_lo:[0,1] neg_hi:[0,1]
	buffer_store_dword v5, off, s[0:3], 0 offset:260
	buffer_store_dword v4, off, s[0:3], 0 offset:256
	s_and_saveexec_b64 s[4:5], vcc
	s_cbranch_execz .LBB117_275
; %bb.274:
	buffer_load_dword v4, off, s[0:3], 0 offset:248
	buffer_load_dword v5, off, s[0:3], 0 offset:252
	s_waitcnt vmcnt(0)
	ds_write_b64 v143, v[4:5]
	buffer_store_dword v2, off, s[0:3], 0 offset:248
	buffer_store_dword v2, off, s[0:3], 0 offset:252
.LBB117_275:
	s_or_b64 exec, exec, s[4:5]
	s_waitcnt lgkmcnt(0)
	; wave barrier
	s_waitcnt lgkmcnt(0)
	buffer_load_dword v3, off, s[0:3], 0 offset:260
	buffer_load_dword v54, off, s[0:3], 0 offset:268
	;; [unrolled: 1-line block ×30, first 2 shown]
	ds_read_b128 v[4:7], v2 offset:688
	ds_read_b128 v[8:11], v2 offset:704
	;; [unrolled: 1-line block ×6, first 2 shown]
	buffer_load_dword v39, off, s[0:3], 0 offset:372
	buffer_load_dword v38, off, s[0:3], 0 offset:368
	ds_read_b128 v[28:31], v2 offset:784
	ds_read_b128 v[32:35], v2 offset:800
	buffer_load_dword v41, off, s[0:3], 0 offset:404
	buffer_load_dword v40, off, s[0:3], 0 offset:400
	;; [unrolled: 1-line block ×14, first 2 shown]
	v_cmp_lt_u32_e32 vcc, 30, v0
	s_waitcnt vmcnt(45) lgkmcnt(7)
	v_mul_f32_e32 v57, v4, v3
	v_mul_f32_e32 v3, v5, v3
	s_waitcnt vmcnt(44)
	v_mul_f32_e32 v59, v6, v54
	s_waitcnt vmcnt(43) lgkmcnt(6)
	v_mul_f32_e32 v84, v8, v56
	s_waitcnt vmcnt(42)
	v_mul_f32_e32 v85, v10, v58
	s_waitcnt vmcnt(41) lgkmcnt(5)
	;; [unrolled: 4-line block ×5, first 2 shown]
	v_mul_f32_e32 v92, v24, v66
	s_waitcnt vmcnt(34)
	v_mul_f32_e32 v93, v26, v67
	s_waitcnt vmcnt(32)
	v_fma_f32 v3, v4, v69, -v3
	v_mul_f32_e32 v4, v7, v54
	v_add_f32_e32 v3, 0, v3
	s_waitcnt vmcnt(31)
	v_fma_f32 v4, v6, v70, -v4
	v_add_f32_e32 v3, v3, v4
	v_mul_f32_e32 v4, v9, v56
	s_waitcnt vmcnt(30)
	v_fma_f32 v4, v8, v71, -v4
	v_add_f32_e32 v3, v3, v4
	v_mul_f32_e32 v4, v11, v58
	;; [unrolled: 4-line block ×5, first 2 shown]
	v_fmac_f32_e32 v57, v5, v69
	s_waitcnt vmcnt(26)
	v_fma_f32 v4, v16, v75, -v4
	v_fmac_f32_e32 v59, v7, v70
	v_add_f32_e32 v57, 0, v57
	v_add_f32_e32 v3, v3, v4
	v_mul_f32_e32 v4, v19, v63
	v_fmac_f32_e32 v84, v9, v71
	v_add_f32_e32 v57, v57, v59
	s_waitcnt vmcnt(25)
	v_fma_f32 v4, v18, v76, -v4
	v_fmac_f32_e32 v85, v11, v72
	v_add_f32_e32 v57, v57, v84
	v_add_f32_e32 v3, v3, v4
	v_mul_f32_e32 v4, v21, v64
	v_fmac_f32_e32 v86, v13, v73
	v_add_f32_e32 v57, v57, v85
	s_waitcnt vmcnt(24)
	v_fma_f32 v4, v20, v77, -v4
	v_fmac_f32_e32 v87, v15, v74
	v_add_f32_e32 v57, v57, v86
	v_add_f32_e32 v3, v3, v4
	v_mul_f32_e32 v4, v23, v65
	v_fmac_f32_e32 v88, v17, v75
	v_add_f32_e32 v57, v57, v87
	s_waitcnt vmcnt(23)
	v_fma_f32 v4, v22, v78, -v4
	v_fmac_f32_e32 v89, v19, v76
	v_add_f32_e32 v57, v57, v88
	v_add_f32_e32 v3, v3, v4
	v_mul_f32_e32 v4, v25, v66
	v_fmac_f32_e32 v90, v21, v77
	v_add_f32_e32 v57, v57, v89
	s_waitcnt vmcnt(22)
	v_fma_f32 v4, v24, v79, -v4
	v_fmac_f32_e32 v91, v23, v78
	v_add_f32_e32 v57, v57, v90
	v_add_f32_e32 v3, v3, v4
	v_mul_f32_e32 v4, v27, v67
	v_fmac_f32_e32 v92, v25, v79
	v_add_f32_e32 v57, v57, v91
	s_waitcnt vmcnt(21)
	v_fma_f32 v4, v26, v80, -v4
	s_waitcnt vmcnt(15)
	v_mov_b32_e32 v16, v39
	s_waitcnt lgkmcnt(1)
	v_mul_f32_e32 v55, v28, v68
	v_fmac_f32_e32 v93, v27, v80
	v_add_f32_e32 v57, v57, v92
	v_add_f32_e32 v56, v3, v4
	v_mul_f32_e32 v3, v29, v68
	s_waitcnt lgkmcnt(0)
	v_pk_mul_f32 v[16:17], v[32:33], v[16:17] op_sel_hi:[1,0]
	v_fmac_f32_e32 v55, v29, v81
	v_add_f32_e32 v57, v57, v93
	v_mul_f32_e32 v59, v30, v82
	v_fma_f32 v54, v28, v81, -v3
	v_mul_f32_e32 v3, v31, v82
	s_waitcnt vmcnt(14)
	v_pk_fma_f32 v[18:19], v[32:33], v[38:39], v[16:17] op_sel:[0,0,1] op_sel_hi:[1,1,0] neg_lo:[0,0,1] neg_hi:[0,0,1]
	v_pk_fma_f32 v[16:17], v[32:33], v[38:39], v[16:17] op_sel:[0,0,1] op_sel_hi:[1,0,0]
	v_fmac_f32_e32 v59, v31, v83
	v_fma_f32 v58, v30, v83, -v3
	ds_read_b128 v[4:7], v2 offset:816
	ds_read_b128 v[8:11], v2 offset:832
	;; [unrolled: 1-line block ×3, first 2 shown]
	v_pk_add_f32 v[2:3], v[56:57], v[54:55]
	s_waitcnt vmcnt(7)
	v_mov_b32_e32 v16, v47
	v_pk_add_f32 v[2:3], v[2:3], v[58:59]
	v_mov_b32_e32 v19, v17
	v_pk_mul_f32 v[16:17], v[34:35], v[16:17] op_sel_hi:[1,0]
	v_pk_add_f32 v[2:3], v[2:3], v[18:19]
	s_waitcnt vmcnt(6)
	v_pk_fma_f32 v[18:19], v[34:35], v[46:47], v[16:17] op_sel:[0,0,1] op_sel_hi:[1,1,0] neg_lo:[0,0,1] neg_hi:[0,0,1]
	v_pk_fma_f32 v[16:17], v[34:35], v[46:47], v[16:17] op_sel:[0,0,1] op_sel_hi:[1,0,0]
	v_mov_b32_e32 v16, v45
	v_mov_b32_e32 v19, v17
	s_waitcnt lgkmcnt(2)
	v_pk_mul_f32 v[16:17], v[4:5], v[16:17] op_sel_hi:[1,0]
	v_pk_add_f32 v[2:3], v[2:3], v[18:19]
	v_pk_fma_f32 v[18:19], v[4:5], v[44:45], v[16:17] op_sel:[0,0,1] op_sel_hi:[1,1,0] neg_lo:[0,0,1] neg_hi:[0,0,1]
	v_pk_fma_f32 v[4:5], v[4:5], v[44:45], v[16:17] op_sel:[0,0,1] op_sel_hi:[1,0,0]
	v_mov_b32_e32 v4, v43
	v_mov_b32_e32 v19, v5
	v_pk_mul_f32 v[4:5], v[6:7], v[4:5] op_sel_hi:[1,0]
	v_pk_fma_f32 v[16:17], v[6:7], v[42:43], v[4:5] op_sel:[0,0,1] op_sel_hi:[1,1,0] neg_lo:[0,0,1] neg_hi:[0,0,1]
	v_pk_fma_f32 v[4:5], v[6:7], v[42:43], v[4:5] op_sel:[0,0,1] op_sel_hi:[1,0,0]
	v_mov_b32_e32 v4, v41
	v_mov_b32_e32 v17, v5
	s_waitcnt lgkmcnt(1)
	v_pk_mul_f32 v[4:5], v[8:9], v[4:5] op_sel_hi:[1,0]
	v_pk_fma_f32 v[6:7], v[8:9], v[40:41], v[4:5] op_sel:[0,0,1] op_sel_hi:[1,1,0] neg_lo:[0,0,1] neg_hi:[0,0,1]
	v_pk_fma_f32 v[4:5], v[8:9], v[40:41], v[4:5] op_sel:[0,0,1] op_sel_hi:[1,0,0]
	v_pk_add_f32 v[2:3], v[2:3], v[18:19]
	s_waitcnt vmcnt(1)
	v_mov_b32_e32 v4, v53
	v_pk_add_f32 v[2:3], v[2:3], v[16:17]
	v_mov_b32_e32 v7, v5
	v_pk_mul_f32 v[4:5], v[10:11], v[4:5] op_sel_hi:[1,0]
	v_pk_add_f32 v[2:3], v[2:3], v[6:7]
	s_waitcnt vmcnt(0)
	v_pk_fma_f32 v[6:7], v[10:11], v[52:53], v[4:5] op_sel:[0,0,1] op_sel_hi:[1,1,0] neg_lo:[0,0,1] neg_hi:[0,0,1]
	v_pk_fma_f32 v[4:5], v[10:11], v[52:53], v[4:5] op_sel:[0,0,1] op_sel_hi:[1,0,0]
	v_mov_b32_e32 v4, v51
	v_mov_b32_e32 v7, v5
	s_waitcnt lgkmcnt(0)
	v_pk_mul_f32 v[4:5], v[12:13], v[4:5] op_sel_hi:[1,0]
	v_pk_add_f32 v[2:3], v[2:3], v[6:7]
	v_pk_fma_f32 v[6:7], v[12:13], v[50:51], v[4:5] op_sel:[0,0,1] op_sel_hi:[1,1,0] neg_lo:[0,0,1] neg_hi:[0,0,1]
	v_pk_fma_f32 v[4:5], v[12:13], v[50:51], v[4:5] op_sel:[0,0,1] op_sel_hi:[1,0,0]
	v_mov_b32_e32 v4, v49
	v_mov_b32_e32 v7, v5
	v_pk_mul_f32 v[4:5], v[14:15], v[4:5] op_sel_hi:[1,0]
	v_pk_add_f32 v[2:3], v[2:3], v[6:7]
	v_pk_fma_f32 v[6:7], v[14:15], v[48:49], v[4:5] op_sel:[0,0,1] op_sel_hi:[1,1,0] neg_lo:[0,0,1] neg_hi:[0,0,1]
	v_pk_fma_f32 v[4:5], v[14:15], v[48:49], v[4:5] op_sel:[0,0,1] op_sel_hi:[1,0,0]
	v_mov_b32_e32 v7, v5
	v_pk_add_f32 v[2:3], v[2:3], v[6:7]
	v_pk_add_f32 v[2:3], v[36:37], v[2:3] neg_lo:[0,1] neg_hi:[0,1]
	buffer_store_dword v3, off, s[0:3], 0 offset:252
	buffer_store_dword v2, off, s[0:3], 0 offset:248
	s_and_saveexec_b64 s[4:5], vcc
	s_cbranch_execz .LBB117_277
; %bb.276:
	buffer_load_dword v2, off, s[0:3], 0 offset:240
	buffer_load_dword v3, off, s[0:3], 0 offset:244
	v_mov_b32_e32 v4, 0
	buffer_store_dword v4, off, s[0:3], 0 offset:240
	buffer_store_dword v4, off, s[0:3], 0 offset:244
	s_waitcnt vmcnt(2)
	ds_write_b64 v143, v[2:3]
.LBB117_277:
	s_or_b64 exec, exec, s[4:5]
	s_waitcnt lgkmcnt(0)
	; wave barrier
	s_waitcnt lgkmcnt(0)
	buffer_load_dword v3, off, s[0:3], 0 offset:252
	buffer_load_dword v52, off, s[0:3], 0 offset:260
	;; [unrolled: 1-line block ×32, first 2 shown]
	v_mov_b32_e32 v2, 0
	buffer_load_dword v39, off, s[0:3], 0 offset:396
	buffer_load_dword v38, off, s[0:3], 0 offset:392
	;; [unrolled: 1-line block ×13, first 2 shown]
	ds_read2_b64 v[4:7], v2 offset0:85 offset1:86
	ds_read2_b64 v[8:11], v2 offset0:87 offset1:88
	;; [unrolled: 1-line block ×8, first 2 shown]
	v_cmp_lt_u32_e32 vcc, 29, v0
	s_waitcnt vmcnt(44) lgkmcnt(7)
	v_mul_f32_e32 v46, v4, v3
	s_waitcnt vmcnt(43)
	v_mul_f32_e32 v53, v6, v52
	s_waitcnt vmcnt(42) lgkmcnt(6)
	v_mul_f32_e32 v54, v8, v56
	s_waitcnt vmcnt(41)
	v_mul_f32_e32 v55, v10, v58
	;; [unrolled: 4-line block ×6, first 2 shown]
	s_waitcnt vmcnt(32) lgkmcnt(1)
	v_mul_f32_e32 v92, v28, v68
	s_waitcnt vmcnt(31)
	v_fmac_f32_e32 v46, v5, v69
	s_waitcnt vmcnt(30)
	v_fmac_f32_e32 v53, v7, v70
	v_add_f32_e32 v46, 0, v46
	s_waitcnt vmcnt(29)
	v_fmac_f32_e32 v54, v9, v71
	v_add_f32_e32 v46, v46, v53
	;; [unrolled: 3-line block ×12, first 2 shown]
	v_add_f32_e32 v53, v46, v92
	buffer_load_dword v55, off, s[0:3], 0 offset:412
	buffer_load_dword v54, off, s[0:3], 0 offset:408
	;; [unrolled: 1-line block ×3, first 2 shown]
	v_mul_f32_e32 v3, v5, v3
	v_fma_f32 v3, v4, v69, -v3
	v_mul_f32_e32 v4, v7, v52
	v_add_f32_e32 v3, 0, v3
	v_fma_f32 v4, v6, v70, -v4
	v_add_f32_e32 v3, v3, v4
	v_mul_f32_e32 v4, v9, v56
	v_fma_f32 v4, v8, v71, -v4
	v_add_f32_e32 v3, v3, v4
	v_mul_f32_e32 v4, v11, v58
	;; [unrolled: 3-line block ×11, first 2 shown]
	v_fma_f32 v4, v28, v81, -v4
	s_waitcnt vmcnt(9)
	v_mov_b32_e32 v20, v45
	v_mul_f32_e32 v57, v30, v82
	v_add_f32_e32 v52, v3, v4
	v_mul_f32_e32 v3, v31, v82
	s_waitcnt lgkmcnt(0)
	v_pk_mul_f32 v[20:21], v[34:35], v[20:21] op_sel_hi:[1,0]
	v_fmac_f32_e32 v57, v31, v83
	v_mul_f32_e32 v59, v32, v84
	v_fma_f32 v56, v30, v83, -v3
	v_mul_f32_e32 v3, v33, v84
	ds_read2_b64 v[4:7], v2 offset0:101 offset1:102
	ds_read2_b64 v[8:11], v2 offset0:103 offset1:104
	;; [unrolled: 1-line block ×3, first 2 shown]
	ds_read_b64 v[16:17], v2 offset:856
	s_waitcnt vmcnt(8)
	v_pk_fma_f32 v[22:23], v[34:35], v[44:45], v[20:21] op_sel:[0,0,1] op_sel_hi:[1,1,0] neg_lo:[0,0,1] neg_hi:[0,0,1]
	v_pk_fma_f32 v[20:21], v[34:35], v[44:45], v[20:21] op_sel:[0,0,1] op_sel_hi:[1,0,0]
	v_fmac_f32_e32 v59, v33, v85
	v_fma_f32 v58, v32, v85, -v3
	v_pk_add_f32 v[18:19], v[52:53], v[56:57]
	v_mov_b32_e32 v20, v43
	v_pk_add_f32 v[18:19], v[18:19], v[58:59]
	v_mov_b32_e32 v23, v21
	s_waitcnt lgkmcnt(3)
	v_pk_mul_f32 v[20:21], v[4:5], v[20:21] op_sel_hi:[1,0]
	v_pk_add_f32 v[18:19], v[18:19], v[22:23]
	v_pk_fma_f32 v[22:23], v[4:5], v[42:43], v[20:21] op_sel:[0,0,1] op_sel_hi:[1,1,0] neg_lo:[0,0,1] neg_hi:[0,0,1]
	v_pk_fma_f32 v[4:5], v[4:5], v[42:43], v[20:21] op_sel:[0,0,1] op_sel_hi:[1,0,0]
	v_mov_b32_e32 v23, v5
	v_pk_add_f32 v[4:5], v[18:19], v[22:23]
	v_mov_b32_e32 v18, v41
	v_pk_mul_f32 v[18:19], v[6:7], v[18:19] op_sel_hi:[1,0]
	v_pk_fma_f32 v[20:21], v[6:7], v[40:41], v[18:19] op_sel:[0,0,1] op_sel_hi:[1,1,0] neg_lo:[0,0,1] neg_hi:[0,0,1]
	v_pk_fma_f32 v[6:7], v[6:7], v[40:41], v[18:19] op_sel:[0,0,1] op_sel_hi:[1,0,0]
	v_mov_b32_e32 v6, v39
	v_mov_b32_e32 v21, v7
	s_waitcnt lgkmcnt(2)
	v_pk_mul_f32 v[6:7], v[8:9], v[6:7] op_sel_hi:[1,0]
	v_pk_fma_f32 v[18:19], v[8:9], v[38:39], v[6:7] op_sel:[0,0,1] op_sel_hi:[1,1,0] neg_lo:[0,0,1] neg_hi:[0,0,1]
	v_pk_fma_f32 v[6:7], v[8:9], v[38:39], v[6:7] op_sel:[0,0,1] op_sel_hi:[1,0,0]
	s_waitcnt vmcnt(7)
	v_mov_b32_e32 v6, v47
	v_mov_b32_e32 v19, v7
	v_pk_mul_f32 v[6:7], v[10:11], v[6:7] op_sel_hi:[1,0]
	v_pk_add_f32 v[4:5], v[4:5], v[20:21]
	v_pk_add_f32 v[4:5], v[4:5], v[18:19]
	s_waitcnt vmcnt(0)
	v_pk_fma_f32 v[8:9], v[10:11], v[46:47], v[6:7] op_sel:[0,0,1] op_sel_hi:[1,1,0] neg_lo:[0,0,1] neg_hi:[0,0,1]
	v_pk_fma_f32 v[6:7], v[10:11], v[46:47], v[6:7] op_sel:[0,0,1] op_sel_hi:[1,0,0]
	v_mov_b32_e32 v6, v55
	v_mov_b32_e32 v9, v7
	s_waitcnt lgkmcnt(1)
	v_pk_mul_f32 v[6:7], v[12:13], v[6:7] op_sel_hi:[1,0]
	v_pk_add_f32 v[4:5], v[4:5], v[8:9]
	v_pk_fma_f32 v[8:9], v[12:13], v[54:55], v[6:7] op_sel:[0,0,1] op_sel_hi:[1,1,0] neg_lo:[0,0,1] neg_hi:[0,0,1]
	v_pk_fma_f32 v[6:7], v[12:13], v[54:55], v[6:7] op_sel:[0,0,1] op_sel_hi:[1,0,0]
	v_mov_b32_e32 v6, v51
	v_mov_b32_e32 v9, v7
	v_pk_mul_f32 v[6:7], v[14:15], v[6:7] op_sel_hi:[1,0]
	v_pk_add_f32 v[4:5], v[4:5], v[8:9]
	v_pk_fma_f32 v[8:9], v[14:15], v[50:51], v[6:7] op_sel:[0,0,1] op_sel_hi:[1,1,0] neg_lo:[0,0,1] neg_hi:[0,0,1]
	v_pk_fma_f32 v[6:7], v[14:15], v[50:51], v[6:7] op_sel:[0,0,1] op_sel_hi:[1,0,0]
	v_mov_b32_e32 v6, v49
	v_mov_b32_e32 v9, v7
	s_waitcnt lgkmcnt(0)
	v_pk_mul_f32 v[6:7], v[16:17], v[6:7] op_sel_hi:[1,0]
	v_pk_add_f32 v[4:5], v[4:5], v[8:9]
	v_pk_fma_f32 v[8:9], v[16:17], v[48:49], v[6:7] op_sel:[0,0,1] op_sel_hi:[1,1,0] neg_lo:[0,0,1] neg_hi:[0,0,1]
	v_pk_fma_f32 v[6:7], v[16:17], v[48:49], v[6:7] op_sel:[0,0,1] op_sel_hi:[1,0,0]
	v_mov_b32_e32 v9, v7
	v_pk_add_f32 v[4:5], v[4:5], v[8:9]
	v_pk_add_f32 v[4:5], v[36:37], v[4:5] neg_lo:[0,1] neg_hi:[0,1]
	buffer_store_dword v5, off, s[0:3], 0 offset:244
	buffer_store_dword v4, off, s[0:3], 0 offset:240
	s_and_saveexec_b64 s[4:5], vcc
	s_cbranch_execz .LBB117_279
; %bb.278:
	buffer_load_dword v4, off, s[0:3], 0 offset:232
	buffer_load_dword v5, off, s[0:3], 0 offset:236
	s_waitcnt vmcnt(0)
	ds_write_b64 v143, v[4:5]
	buffer_store_dword v2, off, s[0:3], 0 offset:232
	buffer_store_dword v2, off, s[0:3], 0 offset:236
.LBB117_279:
	s_or_b64 exec, exec, s[4:5]
	s_waitcnt lgkmcnt(0)
	; wave barrier
	s_waitcnt lgkmcnt(0)
	buffer_load_dword v3, off, s[0:3], 0 offset:244
	buffer_load_dword v52, off, s[0:3], 0 offset:252
	;; [unrolled: 1-line block ×34, first 2 shown]
	ds_read_b128 v[4:7], v2 offset:672
	ds_read_b128 v[8:11], v2 offset:688
	;; [unrolled: 1-line block ×8, first 2 shown]
	buffer_load_dword v39, off, s[0:3], 0 offset:388
	buffer_load_dword v38, off, s[0:3], 0 offset:384
	;; [unrolled: 1-line block ×9, first 2 shown]
	v_cmp_lt_u32_e32 vcc, 28, v0
	s_waitcnt vmcnt(42) lgkmcnt(7)
	v_mul_f32_e32 v44, v4, v3
	s_waitcnt vmcnt(41)
	v_mul_f32_e32 v48, v6, v52
	s_waitcnt vmcnt(40) lgkmcnt(6)
	v_mul_f32_e32 v49, v8, v54
	s_waitcnt vmcnt(39)
	v_mul_f32_e32 v50, v10, v56
	;; [unrolled: 4-line block ×6, first 2 shown]
	s_waitcnt vmcnt(30) lgkmcnt(1)
	v_mul_f32_e32 v90, v28, v68
	v_mul_f32_e32 v3, v5, v3
	s_waitcnt vmcnt(28)
	v_fmac_f32_e32 v44, v5, v70
	s_waitcnt vmcnt(27)
	v_fmac_f32_e32 v48, v7, v71
	v_add_f32_e32 v44, 0, v44
	s_waitcnt vmcnt(26)
	v_fmac_f32_e32 v49, v9, v72
	v_add_f32_e32 v44, v44, v48
	;; [unrolled: 3-line block ×12, first 2 shown]
	v_add_f32_e32 v53, v44, v90
	buffer_load_dword v49, off, s[0:3], 0 offset:412
	buffer_load_dword v48, off, s[0:3], 0 offset:408
	;; [unrolled: 1-line block ×7, first 2 shown]
	v_fma_f32 v3, v4, v70, -v3
	v_mul_f32_e32 v4, v7, v52
	v_add_f32_e32 v3, 0, v3
	v_fma_f32 v4, v6, v71, -v4
	v_add_f32_e32 v3, v3, v4
	v_mul_f32_e32 v4, v9, v54
	v_fma_f32 v4, v8, v72, -v4
	v_add_f32_e32 v3, v3, v4
	v_mul_f32_e32 v4, v11, v56
	;; [unrolled: 3-line block ×12, first 2 shown]
	s_waitcnt vmcnt(22)
	v_fma_f32 v4, v30, v83, -v4
	v_add_f32_e32 v52, v3, v4
	ds_read_b128 v[4:7], v2 offset:800
	ds_read_b128 v[8:11], v2 offset:816
	;; [unrolled: 1-line block ×4, first 2 shown]
	s_waitcnt vmcnt(11)
	v_mov_b32_e32 v20, v43
	s_waitcnt lgkmcnt(3)
	v_pk_mul_f32 v[20:21], v[4:5], v[20:21] op_sel_hi:[1,0]
	s_waitcnt vmcnt(10)
	v_pk_fma_f32 v[22:23], v[4:5], v[42:43], v[20:21] op_sel:[0,0,1] op_sel_hi:[1,1,0] neg_lo:[0,0,1] neg_hi:[0,0,1]
	v_pk_fma_f32 v[4:5], v[4:5], v[42:43], v[20:21] op_sel:[0,0,1] op_sel_hi:[1,0,0]
	v_mov_b32_e32 v4, v41
	v_mul_f32_e32 v91, v30, v69
	v_mov_b32_e32 v23, v5
	v_pk_mul_f32 v[4:5], v[6:7], v[4:5] op_sel_hi:[1,0]
	v_fmac_f32_e32 v91, v31, v83
	v_mul_f32_e32 v55, v32, v84
	v_mul_f32_e32 v3, v33, v84
	v_pk_fma_f32 v[20:21], v[6:7], v[40:41], v[4:5] op_sel:[0,0,1] op_sel_hi:[1,1,0] neg_lo:[0,0,1] neg_hi:[0,0,1]
	v_pk_fma_f32 v[4:5], v[6:7], v[40:41], v[4:5] op_sel:[0,0,1] op_sel_hi:[1,0,0]
	v_add_f32_e32 v53, v53, v91
	v_fmac_f32_e32 v55, v33, v85
	v_mul_f32_e32 v57, v34, v86
	v_fma_f32 v54, v32, v85, -v3
	v_mul_f32_e32 v3, v35, v86
	v_mov_b32_e32 v4, v39
	v_fmac_f32_e32 v57, v35, v87
	v_fma_f32 v56, v34, v87, -v3
	v_pk_add_f32 v[2:3], v[52:53], v[54:55]
	v_mov_b32_e32 v21, v5
	s_waitcnt lgkmcnt(2)
	v_pk_mul_f32 v[4:5], v[8:9], v[4:5] op_sel_hi:[1,0]
	v_pk_add_f32 v[2:3], v[2:3], v[56:57]
	v_pk_fma_f32 v[6:7], v[8:9], v[38:39], v[4:5] op_sel:[0,0,1] op_sel_hi:[1,1,0] neg_lo:[0,0,1] neg_hi:[0,0,1]
	v_pk_fma_f32 v[4:5], v[8:9], v[38:39], v[4:5] op_sel:[0,0,1] op_sel_hi:[1,0,0]
	v_pk_add_f32 v[2:3], v[2:3], v[22:23]
	s_waitcnt vmcnt(9)
	v_mov_b32_e32 v4, v45
	v_pk_add_f32 v[2:3], v[2:3], v[20:21]
	v_mov_b32_e32 v7, v5
	v_pk_mul_f32 v[4:5], v[10:11], v[4:5] op_sel_hi:[1,0]
	v_pk_add_f32 v[2:3], v[2:3], v[6:7]
	s_waitcnt vmcnt(2)
	v_pk_fma_f32 v[6:7], v[10:11], v[44:45], v[4:5] op_sel:[0,0,1] op_sel_hi:[1,1,0] neg_lo:[0,0,1] neg_hi:[0,0,1]
	v_pk_fma_f32 v[4:5], v[10:11], v[44:45], v[4:5] op_sel:[0,0,1] op_sel_hi:[1,0,0]
	v_mov_b32_e32 v4, v51
	v_mov_b32_e32 v7, v5
	s_waitcnt lgkmcnt(1)
	v_pk_mul_f32 v[4:5], v[12:13], v[4:5] op_sel_hi:[1,0]
	v_pk_add_f32 v[2:3], v[2:3], v[6:7]
	v_pk_fma_f32 v[6:7], v[12:13], v[50:51], v[4:5] op_sel:[0,0,1] op_sel_hi:[1,1,0] neg_lo:[0,0,1] neg_hi:[0,0,1]
	v_pk_fma_f32 v[4:5], v[12:13], v[50:51], v[4:5] op_sel:[0,0,1] op_sel_hi:[1,0,0]
	v_mov_b32_e32 v4, v49
	v_mov_b32_e32 v7, v5
	v_pk_mul_f32 v[4:5], v[14:15], v[4:5] op_sel_hi:[1,0]
	v_pk_add_f32 v[2:3], v[2:3], v[6:7]
	v_pk_fma_f32 v[6:7], v[14:15], v[48:49], v[4:5] op_sel:[0,0,1] op_sel_hi:[1,1,0] neg_lo:[0,0,1] neg_hi:[0,0,1]
	v_pk_fma_f32 v[4:5], v[14:15], v[48:49], v[4:5] op_sel:[0,0,1] op_sel_hi:[1,0,0]
	v_mov_b32_e32 v4, v47
	v_mov_b32_e32 v7, v5
	s_waitcnt lgkmcnt(0)
	v_pk_mul_f32 v[4:5], v[16:17], v[4:5] op_sel_hi:[1,0]
	v_pk_add_f32 v[2:3], v[2:3], v[6:7]
	v_pk_fma_f32 v[6:7], v[16:17], v[46:47], v[4:5] op_sel:[0,0,1] op_sel_hi:[1,1,0] neg_lo:[0,0,1] neg_hi:[0,0,1]
	v_pk_fma_f32 v[4:5], v[16:17], v[46:47], v[4:5] op_sel:[0,0,1] op_sel_hi:[1,0,0]
	s_waitcnt vmcnt(1)
	v_mov_b32_e32 v4, v59
	v_mov_b32_e32 v7, v5
	v_pk_mul_f32 v[4:5], v[18:19], v[4:5] op_sel_hi:[1,0]
	v_pk_add_f32 v[2:3], v[2:3], v[6:7]
	s_waitcnt vmcnt(0)
	v_pk_fma_f32 v[6:7], v[18:19], v[58:59], v[4:5] op_sel:[0,0,1] op_sel_hi:[1,1,0] neg_lo:[0,0,1] neg_hi:[0,0,1]
	v_pk_fma_f32 v[4:5], v[18:19], v[58:59], v[4:5] op_sel:[0,0,1] op_sel_hi:[1,0,0]
	v_mov_b32_e32 v7, v5
	v_pk_add_f32 v[2:3], v[2:3], v[6:7]
	v_pk_add_f32 v[2:3], v[36:37], v[2:3] neg_lo:[0,1] neg_hi:[0,1]
	buffer_store_dword v3, off, s[0:3], 0 offset:236
	buffer_store_dword v2, off, s[0:3], 0 offset:232
	s_and_saveexec_b64 s[4:5], vcc
	s_cbranch_execz .LBB117_281
; %bb.280:
	buffer_load_dword v2, off, s[0:3], 0 offset:224
	buffer_load_dword v3, off, s[0:3], 0 offset:228
	v_mov_b32_e32 v4, 0
	buffer_store_dword v4, off, s[0:3], 0 offset:224
	buffer_store_dword v4, off, s[0:3], 0 offset:228
	s_waitcnt vmcnt(2)
	ds_write_b64 v143, v[2:3]
.LBB117_281:
	s_or_b64 exec, exec, s[4:5]
	s_waitcnt lgkmcnt(0)
	; wave barrier
	s_waitcnt lgkmcnt(0)
	buffer_load_dword v5, off, s[0:3], 0 offset:236
	buffer_load_dword v58, off, s[0:3], 0 offset:244
	;; [unrolled: 1-line block ×36, first 2 shown]
	v_mov_b32_e32 v4, 0
	buffer_load_dword v47, off, s[0:3], 0 offset:380
	buffer_load_dword v46, off, s[0:3], 0 offset:376
	buffer_load_dword v49, off, s[0:3], 0 offset:372
	buffer_load_dword v48, off, s[0:3], 0 offset:368
	buffer_load_dword v51, off, s[0:3], 0 offset:388
	ds_read2_b64 v[6:9], v4 offset0:83 offset1:84
	ds_read2_b64 v[10:13], v4 offset0:85 offset1:86
	;; [unrolled: 1-line block ×8, first 2 shown]
	v_cmp_lt_u32_e32 vcc, 27, v0
	s_waitcnt vmcnt(40) lgkmcnt(7)
	v_mul_f32_e32 v38, v6, v5
	s_waitcnt vmcnt(39)
	v_mul_f32_e32 v39, v8, v58
	s_waitcnt vmcnt(38) lgkmcnt(6)
	v_mul_f32_e32 v40, v10, v60
	s_waitcnt vmcnt(37)
	v_mul_f32_e32 v41, v12, v62
	;; [unrolled: 4-line block ×7, first 2 shown]
	s_waitcnt vmcnt(26) lgkmcnt(0)
	v_mul_f32_e32 v59, v34, v78
	s_waitcnt vmcnt(25)
	v_fmac_f32_e32 v38, v7, v79
	s_waitcnt vmcnt(24)
	v_fmac_f32_e32 v39, v9, v80
	v_add_f32_e32 v38, 0, v38
	s_waitcnt vmcnt(23)
	v_fmac_f32_e32 v40, v11, v81
	v_add_f32_e32 v38, v38, v39
	;; [unrolled: 3-line block ×13, first 2 shown]
	v_add_f32_e32 v42, v38, v56
	buffer_load_dword v53, off, s[0:3], 0 offset:412
	buffer_load_dword v52, off, s[0:3], 0 offset:408
	buffer_load_dword v55, off, s[0:3], 0 offset:404
	buffer_load_dword v54, off, s[0:3], 0 offset:400
	buffer_load_dword v57, off, s[0:3], 0 offset:396
	buffer_load_dword v56, off, s[0:3], 0 offset:392
	buffer_load_dword v50, off, s[0:3], 0 offset:384
	s_waitcnt vmcnt(18)
	v_fmac_f32_e32 v59, v35, v93
	ds_read2_b64 v[38:41], v4 offset0:99 offset1:100
	v_add_f32_e32 v59, v42, v59
	ds_read2_b64 v[42:45], v4 offset0:101 offset1:102
	buffer_load_dword v65, off, s[0:3], 0 offset:428
	buffer_load_dword v64, off, s[0:3], 0 offset:424
	;; [unrolled: 1-line block ×4, first 2 shown]
	v_mul_f32_e32 v5, v7, v5
	v_fma_f32 v5, v6, v79, -v5
	v_mul_f32_e32 v6, v9, v58
	v_add_f32_e32 v5, 0, v5
	v_fma_f32 v6, v8, v80, -v6
	v_add_f32_e32 v5, v5, v6
	v_mul_f32_e32 v6, v11, v60
	v_fma_f32 v6, v10, v81, -v6
	v_add_f32_e32 v5, v5, v6
	v_mul_f32_e32 v6, v13, v62
	;; [unrolled: 3-line block ×13, first 2 shown]
	v_fma_f32 v6, v34, v93, -v6
	s_waitcnt vmcnt(13)
	v_mov_b32_e32 v18, v49
	v_mul_f32_e32 v61, v36, v94
	v_add_f32_e32 v58, v5, v6
	v_mul_f32_e32 v5, v37, v94
	s_waitcnt lgkmcnt(1)
	v_pk_mul_f32 v[18:19], v[40:41], v[18:19] op_sel_hi:[1,0]
	v_fmac_f32_e32 v61, v37, v95
	v_mul_f32_e32 v63, v38, v96
	v_fma_f32 v60, v36, v95, -v5
	v_mul_f32_e32 v5, v39, v96
	s_waitcnt vmcnt(12)
	v_pk_fma_f32 v[20:21], v[40:41], v[48:49], v[18:19] op_sel:[0,0,1] op_sel_hi:[1,1,0] neg_lo:[0,0,1] neg_hi:[0,0,1]
	v_pk_fma_f32 v[18:19], v[40:41], v[48:49], v[18:19] op_sel:[0,0,1] op_sel_hi:[1,0,0]
	v_fmac_f32_e32 v63, v39, v97
	v_fma_f32 v62, v38, v97, -v5
	v_pk_add_f32 v[16:17], v[58:59], v[60:61]
	v_mov_b32_e32 v18, v47
	v_pk_add_f32 v[16:17], v[16:17], v[62:63]
	v_mov_b32_e32 v21, v19
	s_waitcnt lgkmcnt(0)
	v_pk_mul_f32 v[18:19], v[42:43], v[18:19] op_sel_hi:[1,0]
	v_pk_add_f32 v[16:17], v[16:17], v[20:21]
	v_pk_fma_f32 v[20:21], v[42:43], v[46:47], v[18:19] op_sel:[0,0,1] op_sel_hi:[1,1,0] neg_lo:[0,0,1] neg_hi:[0,0,1]
	v_pk_fma_f32 v[18:19], v[42:43], v[46:47], v[18:19] op_sel:[0,0,1] op_sel_hi:[1,0,0]
	s_waitcnt vmcnt(11)
	v_mov_b32_e32 v18, v51
	ds_read2_b64 v[6:9], v4 offset0:103 offset1:104
	ds_read2_b64 v[10:13], v4 offset0:105 offset1:106
	ds_read_b64 v[14:15], v4 offset:856
	v_mov_b32_e32 v21, v19
	v_pk_mul_f32 v[18:19], v[44:45], v[18:19] op_sel_hi:[1,0]
	v_pk_add_f32 v[16:17], v[16:17], v[20:21]
	s_waitcnt vmcnt(4)
	v_pk_fma_f32 v[20:21], v[44:45], v[50:51], v[18:19] op_sel:[0,0,1] op_sel_hi:[1,1,0] neg_lo:[0,0,1] neg_hi:[0,0,1]
	v_pk_fma_f32 v[18:19], v[44:45], v[50:51], v[18:19] op_sel:[0,0,1] op_sel_hi:[1,0,0]
	v_mov_b32_e32 v18, v57
	v_mov_b32_e32 v21, v19
	s_waitcnt lgkmcnt(2)
	v_pk_mul_f32 v[18:19], v[6:7], v[18:19] op_sel_hi:[1,0]
	v_pk_add_f32 v[16:17], v[16:17], v[20:21]
	v_pk_fma_f32 v[20:21], v[6:7], v[56:57], v[18:19] op_sel:[0,0,1] op_sel_hi:[1,1,0] neg_lo:[0,0,1] neg_hi:[0,0,1]
	v_pk_fma_f32 v[6:7], v[6:7], v[56:57], v[18:19] op_sel:[0,0,1] op_sel_hi:[1,0,0]
	v_mov_b32_e32 v21, v7
	v_pk_add_f32 v[6:7], v[16:17], v[20:21]
	v_mov_b32_e32 v16, v55
	v_pk_mul_f32 v[16:17], v[8:9], v[16:17] op_sel_hi:[1,0]
	v_pk_fma_f32 v[18:19], v[8:9], v[54:55], v[16:17] op_sel:[0,0,1] op_sel_hi:[1,1,0] neg_lo:[0,0,1] neg_hi:[0,0,1]
	v_pk_fma_f32 v[8:9], v[8:9], v[54:55], v[16:17] op_sel:[0,0,1] op_sel_hi:[1,0,0]
	v_mov_b32_e32 v8, v53
	v_mov_b32_e32 v19, v9
	s_waitcnt lgkmcnt(1)
	v_pk_mul_f32 v[8:9], v[10:11], v[8:9] op_sel_hi:[1,0]
	v_pk_fma_f32 v[16:17], v[10:11], v[52:53], v[8:9] op_sel:[0,0,1] op_sel_hi:[1,1,0] neg_lo:[0,0,1] neg_hi:[0,0,1]
	v_pk_fma_f32 v[8:9], v[10:11], v[52:53], v[8:9] op_sel:[0,0,1] op_sel_hi:[1,0,0]
	s_waitcnt vmcnt(1)
	v_mov_b32_e32 v8, v67
	v_mov_b32_e32 v17, v9
	v_pk_mul_f32 v[8:9], v[12:13], v[8:9] op_sel_hi:[1,0]
	s_waitcnt vmcnt(0)
	v_pk_fma_f32 v[10:11], v[12:13], v[66:67], v[8:9] op_sel:[0,0,1] op_sel_hi:[1,1,0] neg_lo:[0,0,1] neg_hi:[0,0,1]
	v_pk_fma_f32 v[8:9], v[12:13], v[66:67], v[8:9] op_sel:[0,0,1] op_sel_hi:[1,0,0]
	v_pk_add_f32 v[6:7], v[6:7], v[18:19]
	v_mov_b32_e32 v8, v65
	v_pk_add_f32 v[6:7], v[6:7], v[16:17]
	v_mov_b32_e32 v11, v9
	s_waitcnt lgkmcnt(0)
	v_pk_mul_f32 v[8:9], v[14:15], v[8:9] op_sel_hi:[1,0]
	v_pk_add_f32 v[6:7], v[6:7], v[10:11]
	v_pk_fma_f32 v[10:11], v[14:15], v[64:65], v[8:9] op_sel:[0,0,1] op_sel_hi:[1,1,0] neg_lo:[0,0,1] neg_hi:[0,0,1]
	v_pk_fma_f32 v[8:9], v[14:15], v[64:65], v[8:9] op_sel:[0,0,1] op_sel_hi:[1,0,0]
	v_mov_b32_e32 v11, v9
	v_pk_add_f32 v[6:7], v[6:7], v[10:11]
	v_pk_add_f32 v[2:3], v[2:3], v[6:7] neg_lo:[0,1] neg_hi:[0,1]
	buffer_store_dword v3, off, s[0:3], 0 offset:228
	buffer_store_dword v2, off, s[0:3], 0 offset:224
	s_and_saveexec_b64 s[4:5], vcc
	s_cbranch_execz .LBB117_283
; %bb.282:
	buffer_load_dword v2, off, s[0:3], 0 offset:216
	buffer_load_dword v3, off, s[0:3], 0 offset:220
	s_waitcnt vmcnt(0)
	ds_write_b64 v143, v[2:3]
	buffer_store_dword v4, off, s[0:3], 0 offset:216
	buffer_store_dword v4, off, s[0:3], 0 offset:220
.LBB117_283:
	s_or_b64 exec, exec, s[4:5]
	s_waitcnt lgkmcnt(0)
	; wave barrier
	s_waitcnt lgkmcnt(0)
	buffer_load_dword v2, off, s[0:3], 0 offset:228
	buffer_load_dword v3, off, s[0:3], 0 offset:236
	;; [unrolled: 1-line block ×38, first 2 shown]
	ds_read_b128 v[6:9], v4 offset:656
	ds_read_b128 v[10:13], v4 offset:672
	;; [unrolled: 1-line block ×8, first 2 shown]
	buffer_load_dword v49, off, s[0:3], 0 offset:372
	buffer_load_dword v48, off, s[0:3], 0 offset:368
	;; [unrolled: 1-line block ×4, first 2 shown]
	v_cmp_lt_u32_e32 vcc, 26, v0
	s_waitcnt vmcnt(41) lgkmcnt(7)
	v_mul_f32_e32 v38, v6, v2
	s_waitcnt vmcnt(40)
	v_mul_f32_e32 v39, v8, v3
	s_waitcnt vmcnt(39) lgkmcnt(6)
	v_mul_f32_e32 v40, v10, v5
	s_waitcnt vmcnt(38)
	v_mul_f32_e32 v41, v12, v58
	;; [unrolled: 4-line block ×7, first 2 shown]
	s_waitcnt vmcnt(27) lgkmcnt(0)
	v_mul_f32_e32 v59, v34, v78
	s_waitcnt vmcnt(26)
	v_fmac_f32_e32 v38, v7, v79
	s_waitcnt vmcnt(25)
	v_fmac_f32_e32 v39, v9, v80
	v_add_f32_e32 v38, 0, v38
	s_waitcnt vmcnt(24)
	v_fmac_f32_e32 v40, v11, v81
	v_add_f32_e32 v38, v38, v39
	;; [unrolled: 3-line block ×13, first 2 shown]
	v_add_f32_e32 v38, v38, v57
	buffer_load_dword v53, off, s[0:3], 0 offset:396
	buffer_load_dword v52, off, s[0:3], 0 offset:392
	;; [unrolled: 1-line block ×6, first 2 shown]
	s_waitcnt vmcnt(18)
	v_fmac_f32_e32 v59, v35, v93
	s_waitcnt vmcnt(17)
	v_mul_f32_e32 v43, v36, v94
	v_add_f32_e32 v42, v38, v59
	s_waitcnt vmcnt(16)
	v_fmac_f32_e32 v43, v37, v95
	ds_read_b128 v[38:41], v4 offset:784
	v_add_f32_e32 v59, v42, v43
	ds_read_b128 v[42:45], v4 offset:800
	buffer_load_dword v65, off, s[0:3], 0 offset:428
	buffer_load_dword v64, off, s[0:3], 0 offset:424
	;; [unrolled: 1-line block ×6, first 2 shown]
	v_mul_f32_e32 v2, v7, v2
	v_fma_f32 v2, v6, v79, -v2
	v_mul_f32_e32 v3, v9, v3
	v_add_f32_e32 v2, 0, v2
	v_fma_f32 v3, v8, v80, -v3
	v_add_f32_e32 v2, v2, v3
	v_mul_f32_e32 v3, v11, v5
	v_fma_f32 v3, v10, v81, -v3
	v_add_f32_e32 v2, v2, v3
	v_mul_f32_e32 v3, v13, v58
	;; [unrolled: 3-line block ×14, first 2 shown]
	v_fma_f32 v3, v36, v95, -v3
	s_waitcnt vmcnt(15)
	v_mov_b32_e32 v16, v49
	s_waitcnt lgkmcnt(1)
	v_mul_f32_e32 v61, v38, v96
	v_add_f32_e32 v58, v2, v3
	v_mul_f32_e32 v2, v39, v96
	s_waitcnt lgkmcnt(0)
	v_pk_mul_f32 v[16:17], v[42:43], v[16:17] op_sel_hi:[1,0]
	v_fmac_f32_e32 v61, v39, v97
	v_mul_f32_e32 v63, v40, v98
	v_fma_f32 v60, v38, v97, -v2
	v_mul_f32_e32 v2, v41, v98
	s_waitcnt vmcnt(14)
	v_pk_fma_f32 v[18:19], v[42:43], v[48:49], v[16:17] op_sel:[0,0,1] op_sel_hi:[1,1,0] neg_lo:[0,0,1] neg_hi:[0,0,1]
	v_pk_fma_f32 v[16:17], v[42:43], v[48:49], v[16:17] op_sel:[0,0,1] op_sel_hi:[1,0,0]
	v_fmac_f32_e32 v63, v41, v99
	v_fma_f32 v62, v40, v99, -v2
	v_pk_add_f32 v[14:15], v[58:59], v[60:61]
	ds_read_b128 v[6:9], v4 offset:816
	ds_read_b128 v[10:13], v4 offset:832
	;; [unrolled: 1-line block ×3, first 2 shown]
	v_pk_add_f32 v[14:15], v[14:15], v[62:63]
	v_mov_b32_e32 v19, v17
	v_pk_add_f32 v[14:15], v[14:15], v[18:19]
	s_waitcnt vmcnt(7)
	v_mov_b32_e32 v16, v57
	v_pk_mul_f32 v[16:17], v[44:45], v[16:17] op_sel_hi:[1,0]
	s_waitcnt vmcnt(6)
	v_pk_fma_f32 v[18:19], v[44:45], v[56:57], v[16:17] op_sel:[0,0,1] op_sel_hi:[1,1,0] neg_lo:[0,0,1] neg_hi:[0,0,1]
	v_pk_fma_f32 v[16:17], v[44:45], v[56:57], v[16:17] op_sel:[0,0,1] op_sel_hi:[1,0,0]
	v_mov_b32_e32 v16, v55
	v_mov_b32_e32 v19, v17
	s_waitcnt lgkmcnt(2)
	v_pk_mul_f32 v[16:17], v[6:7], v[16:17] op_sel_hi:[1,0]
	v_pk_add_f32 v[14:15], v[14:15], v[18:19]
	v_pk_fma_f32 v[18:19], v[6:7], v[54:55], v[16:17] op_sel:[0,0,1] op_sel_hi:[1,1,0] neg_lo:[0,0,1] neg_hi:[0,0,1]
	v_pk_fma_f32 v[6:7], v[6:7], v[54:55], v[16:17] op_sel:[0,0,1] op_sel_hi:[1,0,0]
	v_mov_b32_e32 v19, v7
	v_pk_add_f32 v[6:7], v[14:15], v[18:19]
	v_mov_b32_e32 v14, v53
	v_pk_mul_f32 v[14:15], v[8:9], v[14:15] op_sel_hi:[1,0]
	v_pk_fma_f32 v[16:17], v[8:9], v[52:53], v[14:15] op_sel:[0,0,1] op_sel_hi:[1,1,0] neg_lo:[0,0,1] neg_hi:[0,0,1]
	v_pk_fma_f32 v[8:9], v[8:9], v[52:53], v[14:15] op_sel:[0,0,1] op_sel_hi:[1,0,0]
	v_mov_b32_e32 v8, v51
	v_mov_b32_e32 v17, v9
	s_waitcnt lgkmcnt(1)
	v_pk_mul_f32 v[8:9], v[10:11], v[8:9] op_sel_hi:[1,0]
	v_pk_fma_f32 v[14:15], v[10:11], v[50:51], v[8:9] op_sel:[0,0,1] op_sel_hi:[1,1,0] neg_lo:[0,0,1] neg_hi:[0,0,1]
	v_pk_fma_f32 v[8:9], v[10:11], v[50:51], v[8:9] op_sel:[0,0,1] op_sel_hi:[1,0,0]
	s_waitcnt vmcnt(1)
	v_mov_b32_e32 v8, v69
	v_mov_b32_e32 v15, v9
	v_pk_mul_f32 v[8:9], v[12:13], v[8:9] op_sel_hi:[1,0]
	s_waitcnt vmcnt(0)
	v_pk_fma_f32 v[10:11], v[12:13], v[68:69], v[8:9] op_sel:[0,0,1] op_sel_hi:[1,1,0] neg_lo:[0,0,1] neg_hi:[0,0,1]
	v_pk_fma_f32 v[8:9], v[12:13], v[68:69], v[8:9] op_sel:[0,0,1] op_sel_hi:[1,0,0]
	v_pk_add_f32 v[6:7], v[6:7], v[16:17]
	v_mov_b32_e32 v8, v67
	v_pk_add_f32 v[6:7], v[6:7], v[14:15]
	v_mov_b32_e32 v11, v9
	s_waitcnt lgkmcnt(0)
	v_pk_mul_f32 v[8:9], v[2:3], v[8:9] op_sel_hi:[1,0]
	v_pk_add_f32 v[6:7], v[6:7], v[10:11]
	v_pk_fma_f32 v[10:11], v[2:3], v[66:67], v[8:9] op_sel:[0,0,1] op_sel_hi:[1,1,0] neg_lo:[0,0,1] neg_hi:[0,0,1]
	v_pk_fma_f32 v[2:3], v[2:3], v[66:67], v[8:9] op_sel:[0,0,1] op_sel_hi:[1,0,0]
	v_mov_b32_e32 v11, v3
	v_pk_add_f32 v[2:3], v[6:7], v[10:11]
	v_mov_b32_e32 v6, v65
	v_pk_mul_f32 v[6:7], v[4:5], v[6:7] op_sel_hi:[1,0]
	v_pk_fma_f32 v[8:9], v[4:5], v[64:65], v[6:7] op_sel:[0,0,1] op_sel_hi:[1,1,0] neg_lo:[0,0,1] neg_hi:[0,0,1]
	v_pk_fma_f32 v[4:5], v[4:5], v[64:65], v[6:7] op_sel:[0,0,1] op_sel_hi:[1,0,0]
	v_mov_b32_e32 v9, v5
	v_pk_add_f32 v[2:3], v[2:3], v[8:9]
	v_pk_add_f32 v[2:3], v[46:47], v[2:3] neg_lo:[0,1] neg_hi:[0,1]
	buffer_store_dword v3, off, s[0:3], 0 offset:220
	buffer_store_dword v2, off, s[0:3], 0 offset:216
	s_and_saveexec_b64 s[4:5], vcc
	s_cbranch_execz .LBB117_285
; %bb.284:
	buffer_load_dword v2, off, s[0:3], 0 offset:208
	buffer_load_dword v3, off, s[0:3], 0 offset:212
	v_mov_b32_e32 v4, 0
	buffer_store_dword v4, off, s[0:3], 0 offset:208
	buffer_store_dword v4, off, s[0:3], 0 offset:212
	s_waitcnt vmcnt(2)
	ds_write_b64 v143, v[2:3]
.LBB117_285:
	s_or_b64 exec, exec, s[4:5]
	s_waitcnt lgkmcnt(0)
	; wave barrier
	s_waitcnt lgkmcnt(0)
	buffer_load_dword v5, off, s[0:3], 0 offset:220
	buffer_load_dword v54, off, s[0:3], 0 offset:228
	;; [unrolled: 1-line block ×40, first 2 shown]
	v_mov_b32_e32 v4, 0
	ds_read2_b64 v[6:9], v4 offset0:81 offset1:82
	ds_read2_b64 v[10:13], v4 offset0:83 offset1:84
	;; [unrolled: 1-line block ×8, first 2 shown]
	v_cmp_lt_u32_e32 vcc, 25, v0
	s_waitcnt vmcnt(39) lgkmcnt(7)
	v_mul_f32_e32 v38, v6, v5
	s_waitcnt vmcnt(38)
	v_mul_f32_e32 v39, v8, v54
	s_waitcnt vmcnt(37) lgkmcnt(6)
	v_mul_f32_e32 v40, v10, v56
	s_waitcnt vmcnt(36)
	v_mul_f32_e32 v41, v12, v58
	s_waitcnt vmcnt(35) lgkmcnt(5)
	v_mul_f32_e32 v42, v14, v68
	s_waitcnt vmcnt(34)
	v_mul_f32_e32 v43, v16, v69
	s_waitcnt vmcnt(33) lgkmcnt(4)
	v_mul_f32_e32 v44, v18, v70
	s_waitcnt vmcnt(32)
	v_mul_f32_e32 v45, v20, v71
	s_waitcnt vmcnt(31) lgkmcnt(3)
	v_mul_f32_e32 v46, v22, v72
	s_waitcnt vmcnt(30)
	v_mul_f32_e32 v47, v24, v73
	s_waitcnt vmcnt(29) lgkmcnt(2)
	v_mul_f32_e32 v48, v26, v74
	s_waitcnt vmcnt(28)
	v_mul_f32_e32 v49, v28, v75
	s_waitcnt vmcnt(27) lgkmcnt(1)
	v_mul_f32_e32 v50, v30, v76
	s_waitcnt vmcnt(26)
	v_mul_f32_e32 v51, v32, v77
	s_waitcnt vmcnt(25) lgkmcnt(0)
	v_mul_f32_e32 v52, v34, v78
	s_waitcnt vmcnt(24)
	v_mul_f32_e32 v53, v36, v79
	s_waitcnt vmcnt(23)
	v_fmac_f32_e32 v38, v7, v80
	s_waitcnt vmcnt(22)
	v_fmac_f32_e32 v39, v9, v81
	v_add_f32_e32 v38, 0, v38
	s_waitcnt vmcnt(21)
	v_fmac_f32_e32 v40, v11, v82
	v_add_f32_e32 v38, v38, v39
	;; [unrolled: 3-line block ×14, first 2 shown]
	v_add_f32_e32 v38, v38, v52
	s_waitcnt vmcnt(8)
	v_fmac_f32_e32 v53, v37, v95
	v_add_f32_e32 v55, v38, v53
	ds_read2_b64 v[38:41], v4 offset0:97 offset1:98
	buffer_load_dword v47, off, s[0:3], 0 offset:372
	buffer_load_dword v49, off, s[0:3], 0 offset:396
	;; [unrolled: 1-line block ×8, first 2 shown]
	ds_read2_b64 v[42:45], v4 offset0:99 offset1:100
	buffer_load_dword v61, off, s[0:3], 0 offset:428
	buffer_load_dword v60, off, s[0:3], 0 offset:424
	;; [unrolled: 1-line block ×8, first 2 shown]
	v_mul_f32_e32 v5, v7, v5
	v_fma_f32 v5, v6, v80, -v5
	v_mul_f32_e32 v6, v9, v54
	v_add_f32_e32 v5, 0, v5
	v_fma_f32 v6, v8, v81, -v6
	v_add_f32_e32 v5, v5, v6
	v_mul_f32_e32 v6, v11, v56
	v_fma_f32 v6, v10, v82, -v6
	v_add_f32_e32 v5, v5, v6
	v_mul_f32_e32 v6, v13, v58
	;; [unrolled: 3-line block ×14, first 2 shown]
	v_fma_f32 v6, v36, v95, -v6
	s_waitcnt vmcnt(23) lgkmcnt(1)
	v_mul_f32_e32 v57, v38, v96
	v_add_f32_e32 v5, v5, v6
	v_mul_f32_e32 v6, v39, v96
	s_waitcnt vmcnt(22)
	v_fmac_f32_e32 v57, v39, v97
	v_fma_f32 v6, v38, v97, -v6
	v_add_f32_e32 v55, v55, v57
	s_waitcnt vmcnt(21)
	v_mul_f32_e32 v57, v40, v98
	v_add_f32_e32 v54, v5, v6
	v_mul_f32_e32 v5, v41, v98
	s_waitcnt vmcnt(20)
	v_fmac_f32_e32 v57, v41, v99
	s_waitcnt vmcnt(19) lgkmcnt(0)
	v_mul_f32_e32 v59, v42, v100
	v_fma_f32 v56, v40, v99, -v5
	v_mul_f32_e32 v5, v43, v100
	ds_read2_b64 v[6:9], v4 offset0:101 offset1:102
	ds_read2_b64 v[10:13], v4 offset0:103 offset1:104
	;; [unrolled: 1-line block ×3, first 2 shown]
	ds_read_b64 v[18:19], v4 offset:856
	s_waitcnt vmcnt(18)
	v_fmac_f32_e32 v59, v43, v101
	v_fma_f32 v58, v42, v101, -v5
	v_pk_add_f32 v[20:21], v[54:55], v[56:57]
	v_pk_add_f32 v[20:21], v[20:21], v[58:59]
	s_waitcnt vmcnt(15)
	v_mov_b32_e32 v22, v47
	v_pk_mul_f32 v[22:23], v[44:45], v[22:23] op_sel_hi:[1,0]
	s_waitcnt vmcnt(8)
	v_pk_fma_f32 v[24:25], v[44:45], v[46:47], v[22:23] op_sel:[0,0,1] op_sel_hi:[1,1,0] neg_lo:[0,0,1] neg_hi:[0,0,1]
	v_pk_fma_f32 v[22:23], v[44:45], v[46:47], v[22:23] op_sel:[0,0,1] op_sel_hi:[1,0,0]
	v_mov_b32_e32 v22, v53
	v_mov_b32_e32 v25, v23
	s_waitcnt lgkmcnt(3)
	v_pk_mul_f32 v[22:23], v[6:7], v[22:23] op_sel_hi:[1,0]
	v_pk_add_f32 v[20:21], v[20:21], v[24:25]
	v_pk_fma_f32 v[24:25], v[6:7], v[52:53], v[22:23] op_sel:[0,0,1] op_sel_hi:[1,1,0] neg_lo:[0,0,1] neg_hi:[0,0,1]
	v_pk_fma_f32 v[6:7], v[6:7], v[52:53], v[22:23] op_sel:[0,0,1] op_sel_hi:[1,0,0]
	v_mov_b32_e32 v25, v7
	v_pk_add_f32 v[6:7], v[20:21], v[24:25]
	v_mov_b32_e32 v20, v51
	v_pk_mul_f32 v[20:21], v[8:9], v[20:21] op_sel_hi:[1,0]
	v_pk_fma_f32 v[22:23], v[8:9], v[50:51], v[20:21] op_sel:[0,0,1] op_sel_hi:[1,1,0] neg_lo:[0,0,1] neg_hi:[0,0,1]
	v_pk_fma_f32 v[8:9], v[8:9], v[50:51], v[20:21] op_sel:[0,0,1] op_sel_hi:[1,0,0]
	v_mov_b32_e32 v8, v49
	v_mov_b32_e32 v23, v9
	s_waitcnt lgkmcnt(2)
	v_pk_mul_f32 v[8:9], v[10:11], v[8:9] op_sel_hi:[1,0]
	v_pk_fma_f32 v[20:21], v[10:11], v[48:49], v[8:9] op_sel:[0,0,1] op_sel_hi:[1,1,0] neg_lo:[0,0,1] neg_hi:[0,0,1]
	v_pk_fma_f32 v[8:9], v[10:11], v[48:49], v[8:9] op_sel:[0,0,1] op_sel_hi:[1,0,0]
	s_waitcnt vmcnt(1)
	v_mov_b32_e32 v8, v67
	v_mov_b32_e32 v21, v9
	v_pk_mul_f32 v[8:9], v[12:13], v[8:9] op_sel_hi:[1,0]
	s_waitcnt vmcnt(0)
	v_pk_fma_f32 v[10:11], v[12:13], v[66:67], v[8:9] op_sel:[0,0,1] op_sel_hi:[1,1,0] neg_lo:[0,0,1] neg_hi:[0,0,1]
	v_pk_fma_f32 v[8:9], v[12:13], v[66:67], v[8:9] op_sel:[0,0,1] op_sel_hi:[1,0,0]
	v_pk_add_f32 v[6:7], v[6:7], v[22:23]
	v_mov_b32_e32 v8, v65
	v_pk_add_f32 v[6:7], v[6:7], v[20:21]
	v_mov_b32_e32 v11, v9
	s_waitcnt lgkmcnt(1)
	v_pk_mul_f32 v[8:9], v[14:15], v[8:9] op_sel_hi:[1,0]
	v_pk_add_f32 v[6:7], v[6:7], v[10:11]
	v_pk_fma_f32 v[10:11], v[14:15], v[64:65], v[8:9] op_sel:[0,0,1] op_sel_hi:[1,1,0] neg_lo:[0,0,1] neg_hi:[0,0,1]
	v_pk_fma_f32 v[8:9], v[14:15], v[64:65], v[8:9] op_sel:[0,0,1] op_sel_hi:[1,0,0]
	v_mov_b32_e32 v8, v63
	v_mov_b32_e32 v11, v9
	v_pk_mul_f32 v[8:9], v[16:17], v[8:9] op_sel_hi:[1,0]
	v_pk_add_f32 v[6:7], v[6:7], v[10:11]
	v_pk_fma_f32 v[10:11], v[16:17], v[62:63], v[8:9] op_sel:[0,0,1] op_sel_hi:[1,1,0] neg_lo:[0,0,1] neg_hi:[0,0,1]
	v_pk_fma_f32 v[8:9], v[16:17], v[62:63], v[8:9] op_sel:[0,0,1] op_sel_hi:[1,0,0]
	v_mov_b32_e32 v8, v61
	v_mov_b32_e32 v11, v9
	s_waitcnt lgkmcnt(0)
	v_pk_mul_f32 v[8:9], v[18:19], v[8:9] op_sel_hi:[1,0]
	v_pk_add_f32 v[6:7], v[6:7], v[10:11]
	v_pk_fma_f32 v[10:11], v[18:19], v[60:61], v[8:9] op_sel:[0,0,1] op_sel_hi:[1,1,0] neg_lo:[0,0,1] neg_hi:[0,0,1]
	v_pk_fma_f32 v[8:9], v[18:19], v[60:61], v[8:9] op_sel:[0,0,1] op_sel_hi:[1,0,0]
	v_mov_b32_e32 v11, v9
	v_pk_add_f32 v[6:7], v[6:7], v[10:11]
	v_pk_add_f32 v[2:3], v[2:3], v[6:7] neg_lo:[0,1] neg_hi:[0,1]
	buffer_store_dword v3, off, s[0:3], 0 offset:212
	buffer_store_dword v2, off, s[0:3], 0 offset:208
	s_and_saveexec_b64 s[4:5], vcc
	s_cbranch_execz .LBB117_287
; %bb.286:
	buffer_load_dword v2, off, s[0:3], 0 offset:200
	buffer_load_dword v3, off, s[0:3], 0 offset:204
	s_waitcnt vmcnt(0)
	ds_write_b64 v143, v[2:3]
	buffer_store_dword v4, off, s[0:3], 0 offset:200
	buffer_store_dword v4, off, s[0:3], 0 offset:204
.LBB117_287:
	s_or_b64 exec, exec, s[4:5]
	s_waitcnt lgkmcnt(0)
	; wave barrier
	s_waitcnt lgkmcnt(0)
	buffer_load_dword v5, off, s[0:3], 0 offset:212
	buffer_load_dword v46, off, s[0:3], 0 offset:220
	;; [unrolled: 1-line block ×42, first 2 shown]
	ds_read_b128 v[6:9], v4 offset:640
	ds_read_b128 v[10:13], v4 offset:656
	;; [unrolled: 1-line block ×8, first 2 shown]
	v_cmp_lt_u32_e32 vcc, 24, v0
	s_waitcnt vmcnt(41) lgkmcnt(7)
	v_mul_f32_e32 v38, v6, v5
	s_waitcnt vmcnt(40)
	v_mul_f32_e32 v39, v8, v46
	s_waitcnt vmcnt(39) lgkmcnt(6)
	v_mul_f32_e32 v40, v10, v48
	s_waitcnt vmcnt(38)
	v_mul_f32_e32 v41, v12, v56
	;; [unrolled: 4-line block ×7, first 2 shown]
	s_waitcnt vmcnt(27) lgkmcnt(0)
	v_mul_f32_e32 v54, v34, v78
	s_waitcnt vmcnt(26)
	v_fmac_f32_e32 v38, v7, v79
	s_waitcnt vmcnt(25)
	v_fmac_f32_e32 v39, v9, v80
	v_add_f32_e32 v38, 0, v38
	s_waitcnt vmcnt(24)
	v_fmac_f32_e32 v40, v11, v81
	v_add_f32_e32 v38, v38, v39
	;; [unrolled: 3-line block ×14, first 2 shown]
	s_waitcnt vmcnt(11)
	v_mul_f32_e32 v43, v36, v94
	v_add_f32_e32 v42, v38, v54
	s_waitcnt vmcnt(10)
	v_fmac_f32_e32 v43, v37, v95
	ds_read_b128 v[38:41], v4 offset:768
	v_add_f32_e32 v47, v42, v43
	ds_read_b128 v[42:45], v4 offset:784
	buffer_load_dword v51, off, s[0:3], 0 offset:372
	buffer_load_dword v53, off, s[0:3], 0 offset:388
	;; [unrolled: 1-line block ×16, first 2 shown]
	v_mul_f32_e32 v5, v7, v5
	v_fma_f32 v5, v6, v79, -v5
	v_mul_f32_e32 v6, v9, v46
	v_add_f32_e32 v5, 0, v5
	v_fma_f32 v6, v8, v80, -v6
	v_add_f32_e32 v5, v5, v6
	v_mul_f32_e32 v6, v11, v48
	v_fma_f32 v6, v10, v81, -v6
	v_add_f32_e32 v5, v5, v6
	v_mul_f32_e32 v6, v13, v56
	;; [unrolled: 3-line block ×14, first 2 shown]
	v_fma_f32 v6, v36, v95, -v6
	v_add_f32_e32 v5, v5, v6
	s_waitcnt vmcnt(25) lgkmcnt(1)
	v_mul_f32_e32 v6, v39, v96
	s_waitcnt vmcnt(24)
	v_fma_f32 v6, v38, v97, -v6
	v_add_f32_e32 v5, v5, v6
	s_waitcnt vmcnt(23)
	v_mul_f32_e32 v6, v41, v98
	s_waitcnt vmcnt(22)
	v_fma_f32 v6, v40, v99, -v6
	v_add_f32_e32 v46, v5, v6
	ds_read_b128 v[6:9], v4 offset:800
	ds_read_b128 v[10:13], v4 offset:816
	;; [unrolled: 1-line block ×4, first 2 shown]
	v_mul_f32_e32 v49, v38, v96
	v_fmac_f32_e32 v49, v39, v97
	v_add_f32_e32 v47, v47, v49
	v_mul_f32_e32 v49, v40, v98
	v_fmac_f32_e32 v49, v41, v99
	v_add_f32_e32 v47, v47, v49
	s_waitcnt vmcnt(21) lgkmcnt(4)
	v_mul_f32_e32 v49, v42, v100
	v_mul_f32_e32 v5, v43, v100
	s_waitcnt vmcnt(20)
	v_fmac_f32_e32 v49, v43, v101
	s_waitcnt vmcnt(19)
	v_mul_f32_e32 v57, v44, v102
	v_fma_f32 v48, v42, v101, -v5
	v_mul_f32_e32 v5, v45, v102
	s_waitcnt vmcnt(18)
	v_fmac_f32_e32 v57, v45, v103
	v_fma_f32 v56, v44, v103, -v5
	v_pk_add_f32 v[4:5], v[46:47], v[48:49]
	v_pk_add_f32 v[4:5], v[4:5], v[56:57]
	s_waitcnt vmcnt(15)
	v_mov_b32_e32 v22, v51
	s_waitcnt lgkmcnt(3)
	v_pk_mul_f32 v[22:23], v[6:7], v[22:23] op_sel_hi:[1,0]
	s_waitcnt vmcnt(10)
	v_pk_fma_f32 v[24:25], v[6:7], v[50:51], v[22:23] op_sel:[0,0,1] op_sel_hi:[1,1,0] neg_lo:[0,0,1] neg_hi:[0,0,1]
	v_pk_fma_f32 v[6:7], v[6:7], v[50:51], v[22:23] op_sel:[0,0,1] op_sel_hi:[1,0,0]
	v_mov_b32_e32 v6, v55
	v_mov_b32_e32 v25, v7
	v_pk_mul_f32 v[6:7], v[8:9], v[6:7] op_sel_hi:[1,0]
	v_pk_fma_f32 v[22:23], v[8:9], v[54:55], v[6:7] op_sel:[0,0,1] op_sel_hi:[1,1,0] neg_lo:[0,0,1] neg_hi:[0,0,1]
	v_pk_fma_f32 v[6:7], v[8:9], v[54:55], v[6:7] op_sel:[0,0,1] op_sel_hi:[1,0,0]
	v_mov_b32_e32 v6, v53
	v_mov_b32_e32 v23, v7
	s_waitcnt lgkmcnt(2)
	v_pk_mul_f32 v[6:7], v[10:11], v[6:7] op_sel_hi:[1,0]
	v_pk_fma_f32 v[8:9], v[10:11], v[52:53], v[6:7] op_sel:[0,0,1] op_sel_hi:[1,1,0] neg_lo:[0,0,1] neg_hi:[0,0,1]
	v_pk_fma_f32 v[6:7], v[10:11], v[52:53], v[6:7] op_sel:[0,0,1] op_sel_hi:[1,0,0]
	v_pk_add_f32 v[4:5], v[4:5], v[24:25]
	s_waitcnt vmcnt(3)
	v_mov_b32_e32 v6, v65
	v_pk_add_f32 v[4:5], v[4:5], v[22:23]
	v_mov_b32_e32 v9, v7
	v_pk_mul_f32 v[6:7], v[12:13], v[6:7] op_sel_hi:[1,0]
	v_pk_add_f32 v[4:5], v[4:5], v[8:9]
	s_waitcnt vmcnt(2)
	v_pk_fma_f32 v[8:9], v[12:13], v[64:65], v[6:7] op_sel:[0,0,1] op_sel_hi:[1,1,0] neg_lo:[0,0,1] neg_hi:[0,0,1]
	v_pk_fma_f32 v[6:7], v[12:13], v[64:65], v[6:7] op_sel:[0,0,1] op_sel_hi:[1,0,0]
	v_mov_b32_e32 v6, v63
	v_mov_b32_e32 v9, v7
	s_waitcnt lgkmcnt(1)
	v_pk_mul_f32 v[6:7], v[14:15], v[6:7] op_sel_hi:[1,0]
	v_pk_add_f32 v[4:5], v[4:5], v[8:9]
	v_pk_fma_f32 v[8:9], v[14:15], v[62:63], v[6:7] op_sel:[0,0,1] op_sel_hi:[1,1,0] neg_lo:[0,0,1] neg_hi:[0,0,1]
	v_pk_fma_f32 v[6:7], v[14:15], v[62:63], v[6:7] op_sel:[0,0,1] op_sel_hi:[1,0,0]
	v_mov_b32_e32 v6, v61
	v_mov_b32_e32 v9, v7
	v_pk_mul_f32 v[6:7], v[16:17], v[6:7] op_sel_hi:[1,0]
	v_pk_add_f32 v[4:5], v[4:5], v[8:9]
	v_pk_fma_f32 v[8:9], v[16:17], v[60:61], v[6:7] op_sel:[0,0,1] op_sel_hi:[1,1,0] neg_lo:[0,0,1] neg_hi:[0,0,1]
	v_pk_fma_f32 v[6:7], v[16:17], v[60:61], v[6:7] op_sel:[0,0,1] op_sel_hi:[1,0,0]
	v_mov_b32_e32 v6, v59
	v_mov_b32_e32 v9, v7
	s_waitcnt lgkmcnt(0)
	v_pk_mul_f32 v[6:7], v[18:19], v[6:7] op_sel_hi:[1,0]
	v_pk_add_f32 v[4:5], v[4:5], v[8:9]
	v_pk_fma_f32 v[8:9], v[18:19], v[58:59], v[6:7] op_sel:[0,0,1] op_sel_hi:[1,1,0] neg_lo:[0,0,1] neg_hi:[0,0,1]
	v_pk_fma_f32 v[6:7], v[18:19], v[58:59], v[6:7] op_sel:[0,0,1] op_sel_hi:[1,0,0]
	s_waitcnt vmcnt(1)
	v_mov_b32_e32 v6, v67
	v_mov_b32_e32 v9, v7
	v_pk_mul_f32 v[6:7], v[20:21], v[6:7] op_sel_hi:[1,0]
	v_pk_add_f32 v[4:5], v[4:5], v[8:9]
	s_waitcnt vmcnt(0)
	v_pk_fma_f32 v[8:9], v[20:21], v[66:67], v[6:7] op_sel:[0,0,1] op_sel_hi:[1,1,0] neg_lo:[0,0,1] neg_hi:[0,0,1]
	v_pk_fma_f32 v[6:7], v[20:21], v[66:67], v[6:7] op_sel:[0,0,1] op_sel_hi:[1,0,0]
	v_mov_b32_e32 v9, v7
	v_pk_add_f32 v[4:5], v[4:5], v[8:9]
	v_pk_add_f32 v[2:3], v[2:3], v[4:5] neg_lo:[0,1] neg_hi:[0,1]
	buffer_store_dword v3, off, s[0:3], 0 offset:204
	buffer_store_dword v2, off, s[0:3], 0 offset:200
	s_and_saveexec_b64 s[4:5], vcc
	s_cbranch_execz .LBB117_289
; %bb.288:
	buffer_load_dword v2, off, s[0:3], 0 offset:192
	buffer_load_dword v3, off, s[0:3], 0 offset:196
	v_mov_b32_e32 v4, 0
	buffer_store_dword v4, off, s[0:3], 0 offset:192
	buffer_store_dword v4, off, s[0:3], 0 offset:196
	s_waitcnt vmcnt(2)
	ds_write_b64 v143, v[2:3]
.LBB117_289:
	s_or_b64 exec, exec, s[4:5]
	s_waitcnt lgkmcnt(0)
	; wave barrier
	s_waitcnt lgkmcnt(0)
	buffer_load_dword v5, off, s[0:3], 0 offset:204
	buffer_load_dword v54, off, s[0:3], 0 offset:212
	;; [unrolled: 1-line block ×44, first 2 shown]
	v_mov_b32_e32 v4, 0
	ds_read2_b64 v[6:9], v4 offset0:79 offset1:80
	ds_read2_b64 v[10:13], v4 offset0:81 offset1:82
	;; [unrolled: 1-line block ×8, first 2 shown]
	v_cmp_lt_u32_e32 vcc, 23, v0
	s_waitcnt vmcnt(43) lgkmcnt(7)
	v_mul_f32_e32 v38, v6, v5
	s_waitcnt vmcnt(42)
	v_mul_f32_e32 v39, v8, v54
	s_waitcnt vmcnt(41) lgkmcnt(6)
	v_mul_f32_e32 v40, v10, v60
	s_waitcnt vmcnt(40)
	v_mul_f32_e32 v41, v12, v62
	;; [unrolled: 4-line block ×7, first 2 shown]
	s_waitcnt vmcnt(29)
	v_fmac_f32_e32 v38, v7, v86
	s_waitcnt vmcnt(28)
	v_fmac_f32_e32 v39, v9, v87
	v_add_f32_e32 v38, 0, v38
	s_waitcnt vmcnt(27)
	v_fmac_f32_e32 v40, v11, v88
	v_add_f32_e32 v38, v38, v39
	;; [unrolled: 3-line block ×12, first 2 shown]
	v_add_f32_e32 v38, v38, v50
	s_waitcnt vmcnt(16)
	v_fmac_f32_e32 v51, v33, v99
	s_waitcnt vmcnt(15) lgkmcnt(0)
	v_mul_f32_e32 v39, v34, v100
	v_add_f32_e32 v38, v38, v51
	s_waitcnt vmcnt(14)
	v_fmac_f32_e32 v39, v35, v101
	v_add_f32_e32 v42, v38, v39
	ds_read2_b64 v[38:41], v4 offset0:95 offset1:96
	s_waitcnt vmcnt(13)
	v_mul_f32_e32 v43, v36, v102
	s_waitcnt vmcnt(12)
	v_fmac_f32_e32 v43, v37, v103
	v_add_f32_e32 v46, v42, v43
	ds_read2_b64 v[42:45], v4 offset0:97 offset1:98
	s_waitcnt vmcnt(11) lgkmcnt(1)
	v_mul_f32_e32 v47, v38, v104
	s_waitcnt vmcnt(10)
	v_fmac_f32_e32 v47, v39, v105
	v_add_f32_e32 v46, v46, v47
	s_waitcnt vmcnt(9)
	v_mul_f32_e32 v47, v40, v106
	s_waitcnt vmcnt(8)
	v_fmac_f32_e32 v47, v41, v107
	v_add_f32_e32 v46, v46, v47
	s_waitcnt vmcnt(7) lgkmcnt(0)
	v_mul_f32_e32 v47, v42, v108
	s_waitcnt vmcnt(6)
	v_fmac_f32_e32 v47, v43, v109
	v_add_f32_e32 v55, v46, v47
	ds_read2_b64 v[46:49], v4 offset0:99 offset1:100
	buffer_load_dword v57, off, s[0:3], 0 offset:380
	buffer_load_dword v56, off, s[0:3], 0 offset:376
	;; [unrolled: 1-line block ×4, first 2 shown]
	ds_read2_b64 v[50:53], v4 offset0:101 offset1:102
	buffer_load_dword v65, off, s[0:3], 0 offset:412
	buffer_load_dword v64, off, s[0:3], 0 offset:408
	buffer_load_dword v67, off, s[0:3], 0 offset:404
	buffer_load_dword v66, off, s[0:3], 0 offset:400
	buffer_load_dword v69, off, s[0:3], 0 offset:396
	buffer_load_dword v68, off, s[0:3], 0 offset:392
	buffer_load_dword v71, off, s[0:3], 0 offset:388
	buffer_load_dword v70, off, s[0:3], 0 offset:384
	buffer_load_dword v73, off, s[0:3], 0 offset:428
	buffer_load_dword v72, off, s[0:3], 0 offset:424
	buffer_load_dword v75, off, s[0:3], 0 offset:420
	buffer_load_dword v74, off, s[0:3], 0 offset:416
	v_mul_f32_e32 v5, v7, v5
	v_fma_f32 v5, v6, v86, -v5
	v_mul_f32_e32 v6, v9, v54
	v_add_f32_e32 v5, 0, v5
	v_fma_f32 v6, v8, v87, -v6
	v_add_f32_e32 v5, v5, v6
	v_mul_f32_e32 v6, v11, v60
	v_fma_f32 v6, v10, v88, -v6
	v_add_f32_e32 v5, v5, v6
	v_mul_f32_e32 v6, v13, v62
	;; [unrolled: 3-line block ×17, first 2 shown]
	v_fma_f32 v6, v42, v109, -v6
	s_waitcnt vmcnt(21)
	v_mul_f32_e32 v61, v44, v110
	v_add_f32_e32 v54, v5, v6
	v_mul_f32_e32 v5, v45, v110
	s_waitcnt vmcnt(20)
	v_fmac_f32_e32 v61, v45, v111
	s_waitcnt vmcnt(19) lgkmcnt(1)
	v_mul_f32_e32 v63, v46, v112
	v_fma_f32 v60, v44, v111, -v5
	v_mul_f32_e32 v5, v47, v112
	s_waitcnt vmcnt(18)
	v_fmac_f32_e32 v63, v47, v113
	v_fma_f32 v62, v46, v113, -v5
	v_pk_add_f32 v[16:17], v[54:55], v[60:61]
	v_pk_add_f32 v[16:17], v[16:17], v[62:63]
	ds_read2_b64 v[6:9], v4 offset0:103 offset1:104
	ds_read2_b64 v[10:13], v4 offset0:105 offset1:106
	ds_read_b64 v[14:15], v4 offset:856
	s_waitcnt vmcnt(13)
	v_mov_b32_e32 v18, v59
	v_pk_mul_f32 v[18:19], v[48:49], v[18:19] op_sel_hi:[1,0]
	s_waitcnt vmcnt(12)
	v_pk_fma_f32 v[20:21], v[48:49], v[58:59], v[18:19] op_sel:[0,0,1] op_sel_hi:[1,1,0] neg_lo:[0,0,1] neg_hi:[0,0,1]
	v_pk_fma_f32 v[18:19], v[48:49], v[58:59], v[18:19] op_sel:[0,0,1] op_sel_hi:[1,0,0]
	v_mov_b32_e32 v18, v57
	v_mov_b32_e32 v21, v19
	s_waitcnt lgkmcnt(3)
	v_pk_mul_f32 v[18:19], v[50:51], v[18:19] op_sel_hi:[1,0]
	v_pk_add_f32 v[16:17], v[16:17], v[20:21]
	v_pk_fma_f32 v[20:21], v[50:51], v[56:57], v[18:19] op_sel:[0,0,1] op_sel_hi:[1,1,0] neg_lo:[0,0,1] neg_hi:[0,0,1]
	v_pk_fma_f32 v[18:19], v[50:51], v[56:57], v[18:19] op_sel:[0,0,1] op_sel_hi:[1,0,0]
	s_waitcnt vmcnt(5)
	v_mov_b32_e32 v18, v71
	v_mov_b32_e32 v21, v19
	v_pk_mul_f32 v[18:19], v[52:53], v[18:19] op_sel_hi:[1,0]
	v_pk_add_f32 v[16:17], v[16:17], v[20:21]
	s_waitcnt vmcnt(4)
	v_pk_fma_f32 v[20:21], v[52:53], v[70:71], v[18:19] op_sel:[0,0,1] op_sel_hi:[1,1,0] neg_lo:[0,0,1] neg_hi:[0,0,1]
	v_pk_fma_f32 v[18:19], v[52:53], v[70:71], v[18:19] op_sel:[0,0,1] op_sel_hi:[1,0,0]
	v_mov_b32_e32 v18, v69
	v_mov_b32_e32 v21, v19
	s_waitcnt lgkmcnt(2)
	v_pk_mul_f32 v[18:19], v[6:7], v[18:19] op_sel_hi:[1,0]
	v_pk_add_f32 v[16:17], v[16:17], v[20:21]
	v_pk_fma_f32 v[20:21], v[6:7], v[68:69], v[18:19] op_sel:[0,0,1] op_sel_hi:[1,1,0] neg_lo:[0,0,1] neg_hi:[0,0,1]
	v_pk_fma_f32 v[6:7], v[6:7], v[68:69], v[18:19] op_sel:[0,0,1] op_sel_hi:[1,0,0]
	v_mov_b32_e32 v21, v7
	v_pk_add_f32 v[6:7], v[16:17], v[20:21]
	v_mov_b32_e32 v16, v67
	v_pk_mul_f32 v[16:17], v[8:9], v[16:17] op_sel_hi:[1,0]
	v_pk_fma_f32 v[18:19], v[8:9], v[66:67], v[16:17] op_sel:[0,0,1] op_sel_hi:[1,1,0] neg_lo:[0,0,1] neg_hi:[0,0,1]
	v_pk_fma_f32 v[8:9], v[8:9], v[66:67], v[16:17] op_sel:[0,0,1] op_sel_hi:[1,0,0]
	v_mov_b32_e32 v8, v65
	v_mov_b32_e32 v19, v9
	s_waitcnt lgkmcnt(1)
	v_pk_mul_f32 v[8:9], v[10:11], v[8:9] op_sel_hi:[1,0]
	v_pk_fma_f32 v[16:17], v[10:11], v[64:65], v[8:9] op_sel:[0,0,1] op_sel_hi:[1,1,0] neg_lo:[0,0,1] neg_hi:[0,0,1]
	v_pk_fma_f32 v[8:9], v[10:11], v[64:65], v[8:9] op_sel:[0,0,1] op_sel_hi:[1,0,0]
	s_waitcnt vmcnt(1)
	v_mov_b32_e32 v8, v75
	v_mov_b32_e32 v17, v9
	v_pk_mul_f32 v[8:9], v[12:13], v[8:9] op_sel_hi:[1,0]
	s_waitcnt vmcnt(0)
	v_pk_fma_f32 v[10:11], v[12:13], v[74:75], v[8:9] op_sel:[0,0,1] op_sel_hi:[1,1,0] neg_lo:[0,0,1] neg_hi:[0,0,1]
	v_pk_fma_f32 v[8:9], v[12:13], v[74:75], v[8:9] op_sel:[0,0,1] op_sel_hi:[1,0,0]
	v_pk_add_f32 v[6:7], v[6:7], v[18:19]
	v_mov_b32_e32 v8, v73
	v_pk_add_f32 v[6:7], v[6:7], v[16:17]
	v_mov_b32_e32 v11, v9
	s_waitcnt lgkmcnt(0)
	v_pk_mul_f32 v[8:9], v[14:15], v[8:9] op_sel_hi:[1,0]
	v_pk_add_f32 v[6:7], v[6:7], v[10:11]
	v_pk_fma_f32 v[10:11], v[14:15], v[72:73], v[8:9] op_sel:[0,0,1] op_sel_hi:[1,1,0] neg_lo:[0,0,1] neg_hi:[0,0,1]
	v_pk_fma_f32 v[8:9], v[14:15], v[72:73], v[8:9] op_sel:[0,0,1] op_sel_hi:[1,0,0]
	v_mov_b32_e32 v11, v9
	v_pk_add_f32 v[6:7], v[6:7], v[10:11]
	v_pk_add_f32 v[2:3], v[2:3], v[6:7] neg_lo:[0,1] neg_hi:[0,1]
	buffer_store_dword v3, off, s[0:3], 0 offset:196
	buffer_store_dword v2, off, s[0:3], 0 offset:192
	s_and_saveexec_b64 s[4:5], vcc
	s_cbranch_execz .LBB117_291
; %bb.290:
	buffer_load_dword v2, off, s[0:3], 0 offset:184
	buffer_load_dword v3, off, s[0:3], 0 offset:188
	s_waitcnt vmcnt(0)
	ds_write_b64 v143, v[2:3]
	buffer_store_dword v4, off, s[0:3], 0 offset:184
	buffer_store_dword v4, off, s[0:3], 0 offset:188
.LBB117_291:
	s_or_b64 exec, exec, s[4:5]
	s_waitcnt lgkmcnt(0)
	; wave barrier
	s_waitcnt lgkmcnt(0)
	buffer_load_dword v5, off, s[0:3], 0 offset:196
	buffer_load_dword v56, off, s[0:3], 0 offset:204
	;; [unrolled: 1-line block ×46, first 2 shown]
	ds_read_b128 v[6:9], v4 offset:624
	ds_read_b128 v[10:13], v4 offset:640
	;; [unrolled: 1-line block ×8, first 2 shown]
	v_cmp_lt_u32_e32 vcc, 22, v0
	s_waitcnt vmcnt(45) lgkmcnt(7)
	v_mul_f32_e32 v38, v6, v5
	s_waitcnt vmcnt(44)
	v_mul_f32_e32 v39, v8, v56
	s_waitcnt vmcnt(43) lgkmcnt(6)
	v_mul_f32_e32 v40, v10, v58
	s_waitcnt vmcnt(42)
	v_mul_f32_e32 v41, v12, v60
	;; [unrolled: 4-line block ×6, first 2 shown]
	s_waitcnt vmcnt(33) lgkmcnt(1)
	v_mul_f32_e32 v50, v30, v84
	s_waitcnt vmcnt(32)
	v_fmac_f32_e32 v38, v7, v85
	s_waitcnt vmcnt(31)
	v_fmac_f32_e32 v39, v9, v86
	v_add_f32_e32 v38, 0, v38
	s_waitcnt vmcnt(30)
	v_fmac_f32_e32 v40, v11, v87
	v_add_f32_e32 v38, v38, v39
	;; [unrolled: 3-line block ×12, first 2 shown]
	s_waitcnt vmcnt(19)
	v_mul_f32_e32 v39, v32, v98
	v_add_f32_e32 v38, v38, v50
	s_waitcnt vmcnt(18)
	v_fmac_f32_e32 v39, v33, v99
	v_add_f32_e32 v38, v38, v39
	s_waitcnt vmcnt(17) lgkmcnt(0)
	v_mul_f32_e32 v39, v34, v100
	s_waitcnt vmcnt(16)
	v_fmac_f32_e32 v39, v35, v101
	v_add_f32_e32 v42, v38, v39
	ds_read_b128 v[38:41], v4 offset:752
	s_waitcnt vmcnt(15)
	v_mul_f32_e32 v43, v36, v102
	s_waitcnt vmcnt(14)
	v_fmac_f32_e32 v43, v37, v103
	v_add_f32_e32 v46, v42, v43
	ds_read_b128 v[42:45], v4 offset:768
	buffer_load_dword v55, off, s[0:3], 0 offset:372
	buffer_load_dword v54, off, s[0:3], 0 offset:368
	s_waitcnt vmcnt(15) lgkmcnt(1)
	v_mul_f32_e32 v47, v38, v104
	s_waitcnt vmcnt(14)
	v_fmac_f32_e32 v47, v39, v105
	v_add_f32_e32 v46, v46, v47
	s_waitcnt vmcnt(13)
	v_mul_f32_e32 v47, v40, v106
	s_waitcnt vmcnt(12)
	v_fmac_f32_e32 v47, v41, v107
	v_add_f32_e32 v46, v46, v47
	s_waitcnt vmcnt(11) lgkmcnt(0)
	v_mul_f32_e32 v47, v42, v108
	s_waitcnt vmcnt(10)
	v_fmac_f32_e32 v47, v43, v109
	s_waitcnt vmcnt(9)
	v_mul_f32_e32 v51, v44, v110
	v_add_f32_e32 v50, v46, v47
	s_waitcnt vmcnt(8)
	v_fmac_f32_e32 v51, v45, v111
	ds_read_b128 v[46:49], v4 offset:784
	v_add_f32_e32 v57, v50, v51
	ds_read_b128 v[50:53], v4 offset:800
	buffer_load_dword v63, off, s[0:3], 0 offset:404
	buffer_load_dword v62, off, s[0:3], 0 offset:400
	;; [unrolled: 1-line block ×14, first 2 shown]
	v_mul_f32_e32 v5, v7, v5
	v_fma_f32 v5, v6, v85, -v5
	v_mul_f32_e32 v6, v9, v56
	v_add_f32_e32 v5, 0, v5
	v_fma_f32 v6, v8, v86, -v6
	v_add_f32_e32 v5, v5, v6
	v_mul_f32_e32 v6, v11, v58
	v_fma_f32 v6, v10, v87, -v6
	v_add_f32_e32 v5, v5, v6
	v_mul_f32_e32 v6, v13, v60
	v_fma_f32 v6, v12, v88, -v6
	v_add_f32_e32 v5, v5, v6
	v_mul_f32_e32 v6, v15, v76
	v_fma_f32 v6, v14, v89, -v6
	v_add_f32_e32 v5, v5, v6
	v_mul_f32_e32 v6, v17, v77
	v_fma_f32 v6, v16, v90, -v6
	v_add_f32_e32 v5, v5, v6
	v_mul_f32_e32 v6, v19, v78
	v_fma_f32 v6, v18, v91, -v6
	v_add_f32_e32 v5, v5, v6
	v_mul_f32_e32 v6, v21, v79
	v_fma_f32 v6, v20, v92, -v6
	v_add_f32_e32 v5, v5, v6
	v_mul_f32_e32 v6, v23, v80
	v_fma_f32 v6, v22, v93, -v6
	v_add_f32_e32 v5, v5, v6
	v_mul_f32_e32 v6, v25, v81
	v_fma_f32 v6, v24, v94, -v6
	v_add_f32_e32 v5, v5, v6
	v_mul_f32_e32 v6, v27, v82
	v_fma_f32 v6, v26, v95, -v6
	v_add_f32_e32 v5, v5, v6
	v_mul_f32_e32 v6, v29, v83
	v_fma_f32 v6, v28, v96, -v6
	v_add_f32_e32 v5, v5, v6
	v_mul_f32_e32 v6, v31, v84
	v_fma_f32 v6, v30, v97, -v6
	v_add_f32_e32 v5, v5, v6
	v_mul_f32_e32 v6, v33, v98
	v_fma_f32 v6, v32, v99, -v6
	v_add_f32_e32 v5, v5, v6
	v_mul_f32_e32 v6, v35, v100
	v_fma_f32 v6, v34, v101, -v6
	v_add_f32_e32 v5, v5, v6
	v_mul_f32_e32 v6, v37, v102
	v_fma_f32 v6, v36, v103, -v6
	v_add_f32_e32 v5, v5, v6
	v_mul_f32_e32 v6, v39, v104
	v_fma_f32 v6, v38, v105, -v6
	v_add_f32_e32 v5, v5, v6
	v_mul_f32_e32 v6, v41, v106
	v_fma_f32 v6, v40, v107, -v6
	v_add_f32_e32 v5, v5, v6
	v_mul_f32_e32 v6, v43, v108
	v_fma_f32 v6, v42, v109, -v6
	v_add_f32_e32 v5, v5, v6
	v_mul_f32_e32 v6, v45, v110
	v_fma_f32 v6, v44, v111, -v6
	s_waitcnt vmcnt(21) lgkmcnt(1)
	v_mul_f32_e32 v59, v46, v112
	v_add_f32_e32 v56, v5, v6
	v_mul_f32_e32 v5, v47, v112
	s_waitcnt vmcnt(20)
	v_fmac_f32_e32 v59, v47, v113
	s_waitcnt vmcnt(15)
	v_mov_b32_e32 v18, v55
	s_waitcnt lgkmcnt(0)
	v_pk_mul_f32 v[18:19], v[50:51], v[18:19] op_sel_hi:[1,0]
	v_mul_f32_e32 v61, v48, v114
	v_fma_f32 v58, v46, v113, -v5
	v_mul_f32_e32 v5, v49, v114
	s_waitcnt vmcnt(14)
	v_pk_fma_f32 v[20:21], v[50:51], v[54:55], v[18:19] op_sel:[0,0,1] op_sel_hi:[1,1,0] neg_lo:[0,0,1] neg_hi:[0,0,1]
	v_pk_fma_f32 v[18:19], v[50:51], v[54:55], v[18:19] op_sel:[0,0,1] op_sel_hi:[1,0,0]
	v_fmac_f32_e32 v61, v49, v115
	v_fma_f32 v60, v48, v115, -v5
	ds_read_b128 v[6:9], v4 offset:816
	ds_read_b128 v[10:13], v4 offset:832
	;; [unrolled: 1-line block ×3, first 2 shown]
	v_pk_add_f32 v[4:5], v[56:57], v[58:59]
	s_waitcnt vmcnt(7)
	v_mov_b32_e32 v18, v69
	v_pk_add_f32 v[4:5], v[4:5], v[60:61]
	v_mov_b32_e32 v21, v19
	v_pk_mul_f32 v[18:19], v[52:53], v[18:19] op_sel_hi:[1,0]
	v_pk_add_f32 v[4:5], v[4:5], v[20:21]
	s_waitcnt vmcnt(6)
	v_pk_fma_f32 v[20:21], v[52:53], v[68:69], v[18:19] op_sel:[0,0,1] op_sel_hi:[1,1,0] neg_lo:[0,0,1] neg_hi:[0,0,1]
	v_pk_fma_f32 v[18:19], v[52:53], v[68:69], v[18:19] op_sel:[0,0,1] op_sel_hi:[1,0,0]
	v_mov_b32_e32 v18, v67
	v_mov_b32_e32 v21, v19
	s_waitcnt lgkmcnt(2)
	v_pk_mul_f32 v[18:19], v[6:7], v[18:19] op_sel_hi:[1,0]
	v_pk_add_f32 v[4:5], v[4:5], v[20:21]
	v_pk_fma_f32 v[20:21], v[6:7], v[66:67], v[18:19] op_sel:[0,0,1] op_sel_hi:[1,1,0] neg_lo:[0,0,1] neg_hi:[0,0,1]
	v_pk_fma_f32 v[6:7], v[6:7], v[66:67], v[18:19] op_sel:[0,0,1] op_sel_hi:[1,0,0]
	v_mov_b32_e32 v6, v65
	v_mov_b32_e32 v21, v7
	v_pk_mul_f32 v[6:7], v[8:9], v[6:7] op_sel_hi:[1,0]
	v_pk_fma_f32 v[18:19], v[8:9], v[64:65], v[6:7] op_sel:[0,0,1] op_sel_hi:[1,1,0] neg_lo:[0,0,1] neg_hi:[0,0,1]
	v_pk_fma_f32 v[6:7], v[8:9], v[64:65], v[6:7] op_sel:[0,0,1] op_sel_hi:[1,0,0]
	v_mov_b32_e32 v6, v63
	v_mov_b32_e32 v19, v7
	s_waitcnt lgkmcnt(1)
	v_pk_mul_f32 v[6:7], v[10:11], v[6:7] op_sel_hi:[1,0]
	v_pk_fma_f32 v[8:9], v[10:11], v[62:63], v[6:7] op_sel:[0,0,1] op_sel_hi:[1,1,0] neg_lo:[0,0,1] neg_hi:[0,0,1]
	v_pk_fma_f32 v[6:7], v[10:11], v[62:63], v[6:7] op_sel:[0,0,1] op_sel_hi:[1,0,0]
	v_pk_add_f32 v[4:5], v[4:5], v[20:21]
	s_waitcnt vmcnt(1)
	v_mov_b32_e32 v6, v75
	v_pk_add_f32 v[4:5], v[4:5], v[18:19]
	v_mov_b32_e32 v9, v7
	v_pk_mul_f32 v[6:7], v[12:13], v[6:7] op_sel_hi:[1,0]
	v_pk_add_f32 v[4:5], v[4:5], v[8:9]
	s_waitcnt vmcnt(0)
	v_pk_fma_f32 v[8:9], v[12:13], v[74:75], v[6:7] op_sel:[0,0,1] op_sel_hi:[1,1,0] neg_lo:[0,0,1] neg_hi:[0,0,1]
	v_pk_fma_f32 v[6:7], v[12:13], v[74:75], v[6:7] op_sel:[0,0,1] op_sel_hi:[1,0,0]
	v_mov_b32_e32 v6, v73
	v_mov_b32_e32 v9, v7
	s_waitcnt lgkmcnt(0)
	v_pk_mul_f32 v[6:7], v[14:15], v[6:7] op_sel_hi:[1,0]
	v_pk_add_f32 v[4:5], v[4:5], v[8:9]
	v_pk_fma_f32 v[8:9], v[14:15], v[72:73], v[6:7] op_sel:[0,0,1] op_sel_hi:[1,1,0] neg_lo:[0,0,1] neg_hi:[0,0,1]
	v_pk_fma_f32 v[6:7], v[14:15], v[72:73], v[6:7] op_sel:[0,0,1] op_sel_hi:[1,0,0]
	v_mov_b32_e32 v6, v71
	v_mov_b32_e32 v9, v7
	v_pk_mul_f32 v[6:7], v[16:17], v[6:7] op_sel_hi:[1,0]
	v_pk_add_f32 v[4:5], v[4:5], v[8:9]
	v_pk_fma_f32 v[8:9], v[16:17], v[70:71], v[6:7] op_sel:[0,0,1] op_sel_hi:[1,1,0] neg_lo:[0,0,1] neg_hi:[0,0,1]
	v_pk_fma_f32 v[6:7], v[16:17], v[70:71], v[6:7] op_sel:[0,0,1] op_sel_hi:[1,0,0]
	v_mov_b32_e32 v9, v7
	v_pk_add_f32 v[4:5], v[4:5], v[8:9]
	v_pk_add_f32 v[2:3], v[2:3], v[4:5] neg_lo:[0,1] neg_hi:[0,1]
	buffer_store_dword v3, off, s[0:3], 0 offset:188
	buffer_store_dword v2, off, s[0:3], 0 offset:184
	s_and_saveexec_b64 s[4:5], vcc
	s_cbranch_execz .LBB117_293
; %bb.292:
	buffer_load_dword v2, off, s[0:3], 0 offset:176
	buffer_load_dword v3, off, s[0:3], 0 offset:180
	v_mov_b32_e32 v4, 0
	buffer_store_dword v4, off, s[0:3], 0 offset:176
	buffer_store_dword v4, off, s[0:3], 0 offset:180
	s_waitcnt vmcnt(2)
	ds_write_b64 v143, v[2:3]
.LBB117_293:
	s_or_b64 exec, exec, s[4:5]
	s_waitcnt lgkmcnt(0)
	; wave barrier
	s_waitcnt lgkmcnt(0)
	buffer_load_dword v5, off, s[0:3], 0 offset:188
	buffer_load_dword v54, off, s[0:3], 0 offset:196
	buffer_load_dword v56, off, s[0:3], 0 offset:204
	buffer_load_dword v58, off, s[0:3], 0 offset:212
	buffer_load_dword v76, off, s[0:3], 0 offset:220
	buffer_load_dword v77, off, s[0:3], 0 offset:228
	buffer_load_dword v78, off, s[0:3], 0 offset:236
	buffer_load_dword v79, off, s[0:3], 0 offset:244
	buffer_load_dword v80, off, s[0:3], 0 offset:252
	buffer_load_dword v81, off, s[0:3], 0 offset:260
	buffer_load_dword v82, off, s[0:3], 0 offset:268
	buffer_load_dword v83, off, s[0:3], 0 offset:276
	buffer_load_dword v84, off, s[0:3], 0 offset:184
	buffer_load_dword v85, off, s[0:3], 0 offset:192
	buffer_load_dword v86, off, s[0:3], 0 offset:200
	buffer_load_dword v87, off, s[0:3], 0 offset:208
	buffer_load_dword v88, off, s[0:3], 0 offset:216
	buffer_load_dword v89, off, s[0:3], 0 offset:224
	buffer_load_dword v90, off, s[0:3], 0 offset:232
	buffer_load_dword v91, off, s[0:3], 0 offset:240
	buffer_load_dword v92, off, s[0:3], 0 offset:248
	buffer_load_dword v93, off, s[0:3], 0 offset:256
	buffer_load_dword v94, off, s[0:3], 0 offset:264
	buffer_load_dword v95, off, s[0:3], 0 offset:272
	buffer_load_dword v96, off, s[0:3], 0 offset:284
	buffer_load_dword v97, off, s[0:3], 0 offset:280
	buffer_load_dword v98, off, s[0:3], 0 offset:292
	buffer_load_dword v99, off, s[0:3], 0 offset:288
	buffer_load_dword v100, off, s[0:3], 0 offset:300
	buffer_load_dword v101, off, s[0:3], 0 offset:296
	buffer_load_dword v102, off, s[0:3], 0 offset:308
	buffer_load_dword v103, off, s[0:3], 0 offset:304
	buffer_load_dword v104, off, s[0:3], 0 offset:316
	buffer_load_dword v105, off, s[0:3], 0 offset:312
	buffer_load_dword v106, off, s[0:3], 0 offset:324
	buffer_load_dword v107, off, s[0:3], 0 offset:320
	buffer_load_dword v108, off, s[0:3], 0 offset:332
	buffer_load_dword v109, off, s[0:3], 0 offset:328
	buffer_load_dword v110, off, s[0:3], 0 offset:340
	buffer_load_dword v111, off, s[0:3], 0 offset:336
	buffer_load_dword v112, off, s[0:3], 0 offset:344
	buffer_load_dword v113, off, s[0:3], 0 offset:348
	buffer_load_dword v2, off, s[0:3], 0 offset:176
	buffer_load_dword v3, off, s[0:3], 0 offset:180
	buffer_load_dword v114, off, s[0:3], 0 offset:356
	buffer_load_dword v115, off, s[0:3], 0 offset:352
	buffer_load_dword v116, off, s[0:3], 0 offset:364
	buffer_load_dword v117, off, s[0:3], 0 offset:360
	v_mov_b32_e32 v4, 0
	ds_read2_b64 v[6:9], v4 offset0:77 offset1:78
	ds_read2_b64 v[10:13], v4 offset0:79 offset1:80
	;; [unrolled: 1-line block ×6, first 2 shown]
	v_cmp_lt_u32_e32 vcc, 21, v0
	s_waitcnt vmcnt(47) lgkmcnt(5)
	v_mul_f32_e32 v30, v6, v5
	s_waitcnt vmcnt(46)
	v_mul_f32_e32 v31, v8, v54
	s_waitcnt vmcnt(45) lgkmcnt(4)
	v_mul_f32_e32 v32, v10, v56
	s_waitcnt vmcnt(44)
	v_mul_f32_e32 v33, v12, v58
	;; [unrolled: 4-line block ×6, first 2 shown]
	s_waitcnt vmcnt(35)
	v_fmac_f32_e32 v30, v7, v84
	s_waitcnt vmcnt(34)
	v_fmac_f32_e32 v31, v9, v85
	v_add_f32_e32 v30, 0, v30
	s_waitcnt vmcnt(33)
	v_fmac_f32_e32 v32, v11, v86
	v_add_f32_e32 v30, v30, v31
	;; [unrolled: 3-line block ×8, first 2 shown]
	v_add_f32_e32 v34, v30, v38
	ds_read2_b64 v[30:33], v4 offset0:89 offset1:90
	s_waitcnt vmcnt(26)
	v_fmac_f32_e32 v39, v25, v93
	s_waitcnt vmcnt(25)
	v_fmac_f32_e32 v40, v27, v94
	v_add_f32_e32 v34, v34, v39
	s_waitcnt vmcnt(24)
	v_fmac_f32_e32 v41, v29, v95
	v_add_f32_e32 v34, v34, v40
	v_add_f32_e32 v38, v34, v41
	ds_read2_b64 v[34:37], v4 offset0:91 offset1:92
	s_waitcnt vmcnt(23) lgkmcnt(1)
	v_mul_f32_e32 v39, v30, v96
	s_waitcnt vmcnt(22)
	v_fmac_f32_e32 v39, v31, v97
	v_add_f32_e32 v38, v38, v39
	s_waitcnt vmcnt(21)
	v_mul_f32_e32 v39, v32, v98
	s_waitcnt vmcnt(20)
	v_fmac_f32_e32 v39, v33, v99
	v_add_f32_e32 v38, v38, v39
	s_waitcnt vmcnt(19) lgkmcnt(0)
	v_mul_f32_e32 v39, v34, v100
	s_waitcnt vmcnt(18)
	v_fmac_f32_e32 v39, v35, v101
	v_add_f32_e32 v42, v38, v39
	ds_read2_b64 v[38:41], v4 offset0:93 offset1:94
	s_waitcnt vmcnt(17)
	v_mul_f32_e32 v43, v36, v102
	s_waitcnt vmcnt(16)
	v_fmac_f32_e32 v43, v37, v103
	v_add_f32_e32 v46, v42, v43
	ds_read2_b64 v[42:45], v4 offset0:95 offset1:96
	s_waitcnt vmcnt(15) lgkmcnt(1)
	v_mul_f32_e32 v47, v38, v104
	s_waitcnt vmcnt(14)
	v_fmac_f32_e32 v47, v39, v105
	v_add_f32_e32 v46, v46, v47
	s_waitcnt vmcnt(13)
	v_mul_f32_e32 v47, v40, v106
	s_waitcnt vmcnt(12)
	v_fmac_f32_e32 v47, v41, v107
	v_add_f32_e32 v46, v46, v47
	s_waitcnt vmcnt(11) lgkmcnt(0)
	v_mul_f32_e32 v47, v42, v108
	s_waitcnt vmcnt(10)
	v_fmac_f32_e32 v47, v43, v109
	s_waitcnt vmcnt(9)
	v_mul_f32_e32 v51, v44, v110
	v_add_f32_e32 v50, v46, v47
	s_waitcnt vmcnt(8)
	v_fmac_f32_e32 v51, v45, v111
	ds_read2_b64 v[46:49], v4 offset0:97 offset1:98
	v_add_f32_e32 v55, v50, v51
	ds_read2_b64 v[50:53], v4 offset0:99 offset1:100
	buffer_load_dword v61, off, s[0:3], 0 offset:396
	buffer_load_dword v60, off, s[0:3], 0 offset:392
	;; [unrolled: 1-line block ×16, first 2 shown]
	v_mul_f32_e32 v5, v7, v5
	v_fma_f32 v5, v6, v84, -v5
	v_mul_f32_e32 v6, v9, v54
	v_add_f32_e32 v5, 0, v5
	v_fma_f32 v6, v8, v85, -v6
	v_add_f32_e32 v5, v5, v6
	v_mul_f32_e32 v6, v11, v56
	v_fma_f32 v6, v10, v86, -v6
	v_add_f32_e32 v5, v5, v6
	v_mul_f32_e32 v6, v13, v58
	;; [unrolled: 3-line block ×18, first 2 shown]
	v_fma_f32 v6, v44, v111, -v6
	s_waitcnt vmcnt(22) lgkmcnt(1)
	v_mul_f32_e32 v57, v46, v113
	v_add_f32_e32 v5, v5, v6
	v_mul_f32_e32 v6, v47, v113
	v_fmac_f32_e32 v57, v47, v112
	v_fma_f32 v6, v46, v112, -v6
	v_add_f32_e32 v55, v55, v57
	s_waitcnt vmcnt(19)
	v_mul_f32_e32 v57, v48, v114
	v_add_f32_e32 v54, v5, v6
	v_mul_f32_e32 v5, v49, v114
	s_waitcnt vmcnt(18)
	v_fmac_f32_e32 v57, v49, v115
	s_waitcnt vmcnt(17) lgkmcnt(0)
	v_mul_f32_e32 v59, v50, v116
	s_waitcnt vmcnt(9)
	v_mov_b32_e32 v22, v67
	v_pk_mul_f32 v[22:23], v[52:53], v[22:23] op_sel_hi:[1,0]
	v_fma_f32 v56, v48, v115, -v5
	v_mul_f32_e32 v5, v51, v116
	ds_read2_b64 v[6:9], v4 offset0:101 offset1:102
	ds_read2_b64 v[10:13], v4 offset0:103 offset1:104
	;; [unrolled: 1-line block ×3, first 2 shown]
	ds_read_b64 v[18:19], v4 offset:856
	s_waitcnt vmcnt(8)
	v_pk_fma_f32 v[24:25], v[52:53], v[66:67], v[22:23] op_sel:[0,0,1] op_sel_hi:[1,1,0] neg_lo:[0,0,1] neg_hi:[0,0,1]
	v_pk_fma_f32 v[22:23], v[52:53], v[66:67], v[22:23] op_sel:[0,0,1] op_sel_hi:[1,0,0]
	v_fmac_f32_e32 v59, v51, v117
	v_fma_f32 v58, v50, v117, -v5
	v_pk_add_f32 v[20:21], v[54:55], v[56:57]
	v_mov_b32_e32 v22, v65
	v_pk_add_f32 v[20:21], v[20:21], v[58:59]
	v_mov_b32_e32 v25, v23
	s_waitcnt lgkmcnt(3)
	v_pk_mul_f32 v[22:23], v[6:7], v[22:23] op_sel_hi:[1,0]
	v_pk_add_f32 v[20:21], v[20:21], v[24:25]
	v_pk_fma_f32 v[24:25], v[6:7], v[64:65], v[22:23] op_sel:[0,0,1] op_sel_hi:[1,1,0] neg_lo:[0,0,1] neg_hi:[0,0,1]
	v_pk_fma_f32 v[6:7], v[6:7], v[64:65], v[22:23] op_sel:[0,0,1] op_sel_hi:[1,0,0]
	v_mov_b32_e32 v25, v7
	v_pk_add_f32 v[6:7], v[20:21], v[24:25]
	v_mov_b32_e32 v20, v63
	v_pk_mul_f32 v[20:21], v[8:9], v[20:21] op_sel_hi:[1,0]
	v_pk_fma_f32 v[22:23], v[8:9], v[62:63], v[20:21] op_sel:[0,0,1] op_sel_hi:[1,1,0] neg_lo:[0,0,1] neg_hi:[0,0,1]
	v_pk_fma_f32 v[8:9], v[8:9], v[62:63], v[20:21] op_sel:[0,0,1] op_sel_hi:[1,0,0]
	v_mov_b32_e32 v8, v61
	v_mov_b32_e32 v23, v9
	s_waitcnt lgkmcnt(2)
	v_pk_mul_f32 v[8:9], v[10:11], v[8:9] op_sel_hi:[1,0]
	v_pk_fma_f32 v[20:21], v[10:11], v[60:61], v[8:9] op_sel:[0,0,1] op_sel_hi:[1,1,0] neg_lo:[0,0,1] neg_hi:[0,0,1]
	v_pk_fma_f32 v[8:9], v[10:11], v[60:61], v[8:9] op_sel:[0,0,1] op_sel_hi:[1,0,0]
	s_waitcnt vmcnt(1)
	v_mov_b32_e32 v8, v75
	v_mov_b32_e32 v21, v9
	v_pk_mul_f32 v[8:9], v[12:13], v[8:9] op_sel_hi:[1,0]
	s_waitcnt vmcnt(0)
	v_pk_fma_f32 v[10:11], v[12:13], v[74:75], v[8:9] op_sel:[0,0,1] op_sel_hi:[1,1,0] neg_lo:[0,0,1] neg_hi:[0,0,1]
	v_pk_fma_f32 v[8:9], v[12:13], v[74:75], v[8:9] op_sel:[0,0,1] op_sel_hi:[1,0,0]
	v_pk_add_f32 v[6:7], v[6:7], v[22:23]
	v_mov_b32_e32 v8, v73
	v_pk_add_f32 v[6:7], v[6:7], v[20:21]
	v_mov_b32_e32 v11, v9
	s_waitcnt lgkmcnt(1)
	v_pk_mul_f32 v[8:9], v[14:15], v[8:9] op_sel_hi:[1,0]
	v_pk_add_f32 v[6:7], v[6:7], v[10:11]
	v_pk_fma_f32 v[10:11], v[14:15], v[72:73], v[8:9] op_sel:[0,0,1] op_sel_hi:[1,1,0] neg_lo:[0,0,1] neg_hi:[0,0,1]
	v_pk_fma_f32 v[8:9], v[14:15], v[72:73], v[8:9] op_sel:[0,0,1] op_sel_hi:[1,0,0]
	v_mov_b32_e32 v8, v71
	v_mov_b32_e32 v11, v9
	v_pk_mul_f32 v[8:9], v[16:17], v[8:9] op_sel_hi:[1,0]
	v_pk_add_f32 v[6:7], v[6:7], v[10:11]
	v_pk_fma_f32 v[10:11], v[16:17], v[70:71], v[8:9] op_sel:[0,0,1] op_sel_hi:[1,1,0] neg_lo:[0,0,1] neg_hi:[0,0,1]
	v_pk_fma_f32 v[8:9], v[16:17], v[70:71], v[8:9] op_sel:[0,0,1] op_sel_hi:[1,0,0]
	v_mov_b32_e32 v8, v69
	v_mov_b32_e32 v11, v9
	s_waitcnt lgkmcnt(0)
	v_pk_mul_f32 v[8:9], v[18:19], v[8:9] op_sel_hi:[1,0]
	v_pk_add_f32 v[6:7], v[6:7], v[10:11]
	v_pk_fma_f32 v[10:11], v[18:19], v[68:69], v[8:9] op_sel:[0,0,1] op_sel_hi:[1,1,0] neg_lo:[0,0,1] neg_hi:[0,0,1]
	v_pk_fma_f32 v[8:9], v[18:19], v[68:69], v[8:9] op_sel:[0,0,1] op_sel_hi:[1,0,0]
	v_mov_b32_e32 v11, v9
	v_pk_add_f32 v[6:7], v[6:7], v[10:11]
	v_pk_add_f32 v[2:3], v[2:3], v[6:7] neg_lo:[0,1] neg_hi:[0,1]
	buffer_store_dword v3, off, s[0:3], 0 offset:180
	buffer_store_dword v2, off, s[0:3], 0 offset:176
	s_and_saveexec_b64 s[4:5], vcc
	s_cbranch_execz .LBB117_295
; %bb.294:
	buffer_load_dword v2, off, s[0:3], 0 offset:168
	buffer_load_dword v3, off, s[0:3], 0 offset:172
	s_waitcnt vmcnt(0)
	ds_write_b64 v143, v[2:3]
	buffer_store_dword v4, off, s[0:3], 0 offset:168
	buffer_store_dword v4, off, s[0:3], 0 offset:172
.LBB117_295:
	s_or_b64 exec, exec, s[4:5]
	s_waitcnt lgkmcnt(0)
	; wave barrier
	s_waitcnt lgkmcnt(0)
	buffer_load_dword v5, off, s[0:3], 0 offset:180
	buffer_load_dword v54, off, s[0:3], 0 offset:188
	;; [unrolled: 1-line block ×48, first 2 shown]
	ds_read_b128 v[6:9], v4 offset:608
	ds_read_b128 v[10:13], v4 offset:624
	ds_read_b128 v[14:17], v4 offset:640
	ds_read_b128 v[18:21], v4 offset:656
	ds_read_b128 v[22:25], v4 offset:672
	ds_read_b128 v[26:29], v4 offset:688
	buffer_load_dword v118, off, s[0:3], 0 offset:360
	buffer_load_dword v119, off, s[0:3], 0 offset:364
	v_cmp_lt_u32_e32 vcc, 20, v0
	s_waitcnt vmcnt(49) lgkmcnt(5)
	v_mul_f32_e32 v30, v6, v5
	s_waitcnt vmcnt(48)
	v_mul_f32_e32 v31, v8, v54
	s_waitcnt vmcnt(47) lgkmcnt(4)
	v_mul_f32_e32 v32, v10, v56
	s_waitcnt vmcnt(46)
	v_mul_f32_e32 v33, v12, v64
	;; [unrolled: 4-line block ×6, first 2 shown]
	s_waitcnt vmcnt(37)
	v_fmac_f32_e32 v30, v7, v84
	s_waitcnt vmcnt(36)
	v_fmac_f32_e32 v31, v9, v85
	v_add_f32_e32 v30, 0, v30
	s_waitcnt vmcnt(35)
	v_fmac_f32_e32 v32, v11, v86
	v_add_f32_e32 v30, v30, v31
	;; [unrolled: 3-line block ×9, first 2 shown]
	v_add_f32_e32 v34, v30, v39
	ds_read_b128 v[30:33], v4 offset:704
	s_waitcnt vmcnt(27)
	v_fmac_f32_e32 v40, v27, v94
	v_add_f32_e32 v34, v34, v40
	s_waitcnt vmcnt(26)
	v_fmac_f32_e32 v41, v29, v95
	v_add_f32_e32 v38, v34, v41
	ds_read_b128 v[34:37], v4 offset:720
	s_waitcnt vmcnt(25) lgkmcnt(1)
	v_mul_f32_e32 v39, v30, v96
	s_waitcnt vmcnt(24)
	v_fmac_f32_e32 v39, v31, v97
	v_add_f32_e32 v38, v38, v39
	s_waitcnt vmcnt(23)
	v_mul_f32_e32 v39, v32, v98
	s_waitcnt vmcnt(22)
	v_fmac_f32_e32 v39, v33, v99
	v_add_f32_e32 v38, v38, v39
	s_waitcnt vmcnt(21) lgkmcnt(0)
	v_mul_f32_e32 v39, v34, v100
	s_waitcnt vmcnt(20)
	v_fmac_f32_e32 v39, v35, v101
	v_add_f32_e32 v42, v38, v39
	ds_read_b128 v[38:41], v4 offset:736
	s_waitcnt vmcnt(19)
	v_mul_f32_e32 v43, v36, v102
	s_waitcnt vmcnt(18)
	v_fmac_f32_e32 v43, v37, v103
	v_add_f32_e32 v46, v42, v43
	ds_read_b128 v[42:45], v4 offset:752
	s_waitcnt vmcnt(17) lgkmcnt(1)
	v_mul_f32_e32 v47, v38, v104
	s_waitcnt vmcnt(16)
	v_fmac_f32_e32 v47, v39, v105
	v_add_f32_e32 v46, v46, v47
	s_waitcnt vmcnt(15)
	v_mul_f32_e32 v47, v40, v106
	s_waitcnt vmcnt(14)
	v_fmac_f32_e32 v47, v41, v107
	v_add_f32_e32 v46, v46, v47
	s_waitcnt vmcnt(13) lgkmcnt(0)
	v_mul_f32_e32 v47, v42, v108
	s_waitcnt vmcnt(12)
	v_fmac_f32_e32 v47, v43, v109
	s_waitcnt vmcnt(11)
	v_mul_f32_e32 v51, v44, v110
	v_add_f32_e32 v50, v46, v47
	s_waitcnt vmcnt(10)
	v_fmac_f32_e32 v51, v45, v111
	ds_read_b128 v[46:49], v4 offset:768
	v_add_f32_e32 v55, v50, v51
	ds_read_b128 v[50:53], v4 offset:784
	buffer_load_dword v59, off, s[0:3], 0 offset:388
	buffer_load_dword v58, off, s[0:3], 0 offset:384
	;; [unrolled: 1-line block ×16, first 2 shown]
	v_mul_f32_e32 v5, v7, v5
	v_fma_f32 v5, v6, v84, -v5
	v_mul_f32_e32 v6, v9, v54
	v_add_f32_e32 v5, 0, v5
	v_fma_f32 v6, v8, v85, -v6
	v_add_f32_e32 v5, v5, v6
	v_mul_f32_e32 v6, v11, v56
	v_fma_f32 v6, v10, v86, -v6
	v_add_f32_e32 v5, v5, v6
	v_mul_f32_e32 v6, v13, v64
	;; [unrolled: 3-line block ×18, first 2 shown]
	v_fma_f32 v6, v44, v111, -v6
	v_add_f32_e32 v5, v5, v6
	s_waitcnt vmcnt(23) lgkmcnt(1)
	v_mul_f32_e32 v6, v47, v112
	s_waitcnt vmcnt(22)
	v_fma_f32 v6, v46, v113, -v6
	v_add_f32_e32 v5, v5, v6
	s_waitcnt vmcnt(20)
	v_mul_f32_e32 v6, v49, v115
	v_fma_f32 v6, v48, v114, -v6
	v_add_f32_e32 v54, v5, v6
	ds_read_b128 v[6:9], v4 offset:800
	ds_read_b128 v[10:13], v4 offset:816
	;; [unrolled: 1-line block ×4, first 2 shown]
	v_mul_f32_e32 v57, v46, v112
	v_fmac_f32_e32 v57, v47, v113
	v_add_f32_e32 v55, v55, v57
	v_mul_f32_e32 v57, v48, v115
	v_fmac_f32_e32 v57, v49, v114
	v_add_f32_e32 v55, v55, v57
	s_waitcnt vmcnt(18) lgkmcnt(4)
	v_mul_f32_e32 v57, v50, v117
	v_mul_f32_e32 v5, v51, v117
	v_fmac_f32_e32 v57, v51, v116
	s_waitcnt vmcnt(16)
	v_mul_f32_e32 v65, v52, v119
	s_waitcnt vmcnt(11)
	v_mov_b32_e32 v22, v63
	s_waitcnt lgkmcnt(3)
	v_pk_mul_f32 v[22:23], v[6:7], v[22:23] op_sel_hi:[1,0]
	s_waitcnt vmcnt(10)
	v_pk_fma_f32 v[24:25], v[6:7], v[62:63], v[22:23] op_sel:[0,0,1] op_sel_hi:[1,1,0] neg_lo:[0,0,1] neg_hi:[0,0,1]
	v_pk_fma_f32 v[6:7], v[6:7], v[62:63], v[22:23] op_sel:[0,0,1] op_sel_hi:[1,0,0]
	v_mov_b32_e32 v6, v61
	v_mov_b32_e32 v25, v7
	v_pk_mul_f32 v[6:7], v[8:9], v[6:7] op_sel_hi:[1,0]
	v_pk_fma_f32 v[22:23], v[8:9], v[60:61], v[6:7] op_sel:[0,0,1] op_sel_hi:[1,1,0] neg_lo:[0,0,1] neg_hi:[0,0,1]
	v_pk_fma_f32 v[6:7], v[8:9], v[60:61], v[6:7] op_sel:[0,0,1] op_sel_hi:[1,0,0]
	v_fma_f32 v56, v50, v116, -v5
	v_mul_f32_e32 v5, v53, v119
	v_mov_b32_e32 v6, v59
	v_fmac_f32_e32 v65, v53, v118
	v_fma_f32 v64, v52, v118, -v5
	v_pk_add_f32 v[4:5], v[54:55], v[56:57]
	v_mov_b32_e32 v23, v7
	s_waitcnt lgkmcnt(2)
	v_pk_mul_f32 v[6:7], v[10:11], v[6:7] op_sel_hi:[1,0]
	v_pk_add_f32 v[4:5], v[4:5], v[64:65]
	v_pk_fma_f32 v[8:9], v[10:11], v[58:59], v[6:7] op_sel:[0,0,1] op_sel_hi:[1,1,0] neg_lo:[0,0,1] neg_hi:[0,0,1]
	v_pk_fma_f32 v[6:7], v[10:11], v[58:59], v[6:7] op_sel:[0,0,1] op_sel_hi:[1,0,0]
	v_pk_add_f32 v[4:5], v[4:5], v[24:25]
	s_waitcnt vmcnt(3)
	v_mov_b32_e32 v6, v73
	v_pk_add_f32 v[4:5], v[4:5], v[22:23]
	v_mov_b32_e32 v9, v7
	v_pk_mul_f32 v[6:7], v[12:13], v[6:7] op_sel_hi:[1,0]
	v_pk_add_f32 v[4:5], v[4:5], v[8:9]
	s_waitcnt vmcnt(2)
	v_pk_fma_f32 v[8:9], v[12:13], v[72:73], v[6:7] op_sel:[0,0,1] op_sel_hi:[1,1,0] neg_lo:[0,0,1] neg_hi:[0,0,1]
	v_pk_fma_f32 v[6:7], v[12:13], v[72:73], v[6:7] op_sel:[0,0,1] op_sel_hi:[1,0,0]
	v_mov_b32_e32 v6, v71
	v_mov_b32_e32 v9, v7
	s_waitcnt lgkmcnt(1)
	v_pk_mul_f32 v[6:7], v[14:15], v[6:7] op_sel_hi:[1,0]
	v_pk_add_f32 v[4:5], v[4:5], v[8:9]
	v_pk_fma_f32 v[8:9], v[14:15], v[70:71], v[6:7] op_sel:[0,0,1] op_sel_hi:[1,1,0] neg_lo:[0,0,1] neg_hi:[0,0,1]
	v_pk_fma_f32 v[6:7], v[14:15], v[70:71], v[6:7] op_sel:[0,0,1] op_sel_hi:[1,0,0]
	v_mov_b32_e32 v6, v69
	v_mov_b32_e32 v9, v7
	v_pk_mul_f32 v[6:7], v[16:17], v[6:7] op_sel_hi:[1,0]
	v_pk_add_f32 v[4:5], v[4:5], v[8:9]
	v_pk_fma_f32 v[8:9], v[16:17], v[68:69], v[6:7] op_sel:[0,0,1] op_sel_hi:[1,1,0] neg_lo:[0,0,1] neg_hi:[0,0,1]
	v_pk_fma_f32 v[6:7], v[16:17], v[68:69], v[6:7] op_sel:[0,0,1] op_sel_hi:[1,0,0]
	v_mov_b32_e32 v6, v67
	v_mov_b32_e32 v9, v7
	s_waitcnt lgkmcnt(0)
	v_pk_mul_f32 v[6:7], v[18:19], v[6:7] op_sel_hi:[1,0]
	v_pk_add_f32 v[4:5], v[4:5], v[8:9]
	v_pk_fma_f32 v[8:9], v[18:19], v[66:67], v[6:7] op_sel:[0,0,1] op_sel_hi:[1,1,0] neg_lo:[0,0,1] neg_hi:[0,0,1]
	v_pk_fma_f32 v[6:7], v[18:19], v[66:67], v[6:7] op_sel:[0,0,1] op_sel_hi:[1,0,0]
	s_waitcnt vmcnt(1)
	v_mov_b32_e32 v6, v75
	v_mov_b32_e32 v9, v7
	v_pk_mul_f32 v[6:7], v[20:21], v[6:7] op_sel_hi:[1,0]
	v_pk_add_f32 v[4:5], v[4:5], v[8:9]
	s_waitcnt vmcnt(0)
	v_pk_fma_f32 v[8:9], v[20:21], v[74:75], v[6:7] op_sel:[0,0,1] op_sel_hi:[1,1,0] neg_lo:[0,0,1] neg_hi:[0,0,1]
	v_pk_fma_f32 v[6:7], v[20:21], v[74:75], v[6:7] op_sel:[0,0,1] op_sel_hi:[1,0,0]
	v_mov_b32_e32 v9, v7
	v_pk_add_f32 v[4:5], v[4:5], v[8:9]
	v_pk_add_f32 v[2:3], v[2:3], v[4:5] neg_lo:[0,1] neg_hi:[0,1]
	buffer_store_dword v3, off, s[0:3], 0 offset:172
	buffer_store_dword v2, off, s[0:3], 0 offset:168
	s_and_saveexec_b64 s[4:5], vcc
	s_cbranch_execz .LBB117_297
; %bb.296:
	buffer_load_dword v2, off, s[0:3], 0 offset:160
	buffer_load_dword v3, off, s[0:3], 0 offset:164
	v_mov_b32_e32 v4, 0
	buffer_store_dword v4, off, s[0:3], 0 offset:160
	buffer_store_dword v4, off, s[0:3], 0 offset:164
	s_waitcnt vmcnt(2)
	ds_write_b64 v143, v[2:3]
.LBB117_297:
	s_or_b64 exec, exec, s[4:5]
	s_waitcnt lgkmcnt(0)
	; wave barrier
	s_waitcnt lgkmcnt(0)
	buffer_load_dword v5, off, s[0:3], 0 offset:172
	buffer_load_dword v62, off, s[0:3], 0 offset:180
	;; [unrolled: 1-line block ×52, first 2 shown]
	v_mov_b32_e32 v4, 0
	ds_read2_b64 v[6:9], v4 offset0:75 offset1:76
	ds_read2_b64 v[10:13], v4 offset0:77 offset1:78
	;; [unrolled: 1-line block ×6, first 2 shown]
	v_cmp_lt_u32_e32 vcc, 19, v0
	s_waitcnt vmcnt(51) lgkmcnt(5)
	v_mul_f32_e32 v30, v6, v5
	s_waitcnt vmcnt(50)
	v_mul_f32_e32 v31, v8, v62
	s_waitcnt vmcnt(49) lgkmcnt(4)
	v_mul_f32_e32 v32, v10, v68
	s_waitcnt vmcnt(48)
	v_mul_f32_e32 v33, v12, v70
	;; [unrolled: 4-line block ×5, first 2 shown]
	s_waitcnt vmcnt(41) lgkmcnt(0)
	v_mul_f32_e32 v40, v26, v90
	s_waitcnt vmcnt(40)
	v_fmac_f32_e32 v30, v7, v91
	s_waitcnt vmcnt(39)
	v_fmac_f32_e32 v31, v9, v92
	v_add_f32_e32 v30, 0, v30
	s_waitcnt vmcnt(38)
	v_fmac_f32_e32 v32, v11, v93
	v_add_f32_e32 v30, v30, v31
	;; [unrolled: 3-line block ×9, first 2 shown]
	v_add_f32_e32 v30, v30, v39
	s_waitcnt vmcnt(30)
	v_fmac_f32_e32 v40, v27, v101
	v_add_f32_e32 v34, v30, v40
	ds_read2_b64 v[30:33], v4 offset0:87 offset1:88
	s_waitcnt vmcnt(29)
	v_mul_f32_e32 v35, v28, v102
	s_waitcnt vmcnt(28)
	v_fmac_f32_e32 v35, v29, v103
	v_add_f32_e32 v38, v34, v35
	ds_read2_b64 v[34:37], v4 offset0:89 offset1:90
	s_waitcnt vmcnt(27) lgkmcnt(1)
	v_mul_f32_e32 v39, v30, v104
	s_waitcnt vmcnt(26)
	v_fmac_f32_e32 v39, v31, v105
	v_add_f32_e32 v38, v38, v39
	s_waitcnt vmcnt(25)
	v_mul_f32_e32 v39, v32, v106
	s_waitcnt vmcnt(24)
	v_fmac_f32_e32 v39, v33, v107
	v_add_f32_e32 v38, v38, v39
	s_waitcnt vmcnt(23) lgkmcnt(0)
	v_mul_f32_e32 v39, v34, v108
	s_waitcnt vmcnt(22)
	v_fmac_f32_e32 v39, v35, v109
	v_add_f32_e32 v42, v38, v39
	ds_read2_b64 v[38:41], v4 offset0:91 offset1:92
	s_waitcnt vmcnt(21)
	v_mul_f32_e32 v43, v36, v110
	s_waitcnt vmcnt(20)
	v_fmac_f32_e32 v43, v37, v111
	v_add_f32_e32 v46, v42, v43
	ds_read2_b64 v[42:45], v4 offset0:93 offset1:94
	s_waitcnt vmcnt(19) lgkmcnt(1)
	v_mul_f32_e32 v47, v38, v112
	s_waitcnt vmcnt(18)
	v_fmac_f32_e32 v47, v39, v113
	v_add_f32_e32 v46, v46, v47
	s_waitcnt vmcnt(17)
	v_mul_f32_e32 v47, v40, v114
	s_waitcnt vmcnt(16)
	v_fmac_f32_e32 v47, v41, v115
	v_add_f32_e32 v46, v46, v47
	s_waitcnt vmcnt(14) lgkmcnt(0)
	v_mul_f32_e32 v47, v42, v117
	v_fmac_f32_e32 v47, v43, v116
	v_add_f32_e32 v50, v46, v47
	ds_read2_b64 v[46:49], v4 offset0:95 offset1:96
	s_waitcnt vmcnt(10)
	v_mul_f32_e32 v51, v44, v119
	v_fmac_f32_e32 v51, v45, v118
	v_add_f32_e32 v54, v50, v51
	ds_read2_b64 v[50:53], v4 offset0:97 offset1:98
	s_waitcnt vmcnt(8) lgkmcnt(1)
	v_mul_f32_e32 v55, v46, v121
	v_fmac_f32_e32 v55, v47, v120
	v_add_f32_e32 v54, v54, v55
	s_waitcnt vmcnt(6)
	v_mul_f32_e32 v55, v48, v123
	v_fmac_f32_e32 v55, v49, v122
	v_add_f32_e32 v54, v54, v55
	s_waitcnt vmcnt(4) lgkmcnt(0)
	v_mul_f32_e32 v55, v50, v125
	v_fmac_f32_e32 v55, v51, v124
	v_add_f32_e32 v63, v54, v55
	ds_read2_b64 v[54:57], v4 offset0:99 offset1:100
	buffer_load_dword v65, off, s[0:3], 0 offset:380
	buffer_load_dword v64, off, s[0:3], 0 offset:376
	;; [unrolled: 1-line block ×4, first 2 shown]
	ds_read2_b64 v[58:61], v4 offset0:101 offset1:102
	buffer_load_dword v73, off, s[0:3], 0 offset:412
	buffer_load_dword v72, off, s[0:3], 0 offset:408
	;; [unrolled: 1-line block ×12, first 2 shown]
	v_mul_f32_e32 v5, v7, v5
	v_fma_f32 v5, v6, v91, -v5
	v_mul_f32_e32 v6, v9, v62
	v_add_f32_e32 v5, 0, v5
	v_fma_f32 v6, v8, v92, -v6
	v_add_f32_e32 v5, v5, v6
	v_mul_f32_e32 v6, v11, v68
	v_fma_f32 v6, v10, v93, -v6
	v_add_f32_e32 v5, v5, v6
	v_mul_f32_e32 v6, v13, v70
	;; [unrolled: 3-line block ×21, first 2 shown]
	v_fma_f32 v6, v50, v124, -v6
	s_waitcnt vmcnt(18)
	v_mul_f32_e32 v69, v52, v127
	v_add_f32_e32 v62, v5, v6
	v_mul_f32_e32 v5, v53, v127
	v_fmac_f32_e32 v69, v53, v126
	s_waitcnt vmcnt(16) lgkmcnt(1)
	v_mul_f32_e32 v71, v54, v129
	v_fma_f32 v68, v52, v126, -v5
	v_mul_f32_e32 v5, v55, v129
	v_fmac_f32_e32 v71, v55, v128
	s_waitcnt vmcnt(13)
	v_mov_b32_e32 v18, v67
	v_pk_mul_f32 v[18:19], v[56:57], v[18:19] op_sel_hi:[1,0]
	s_waitcnt vmcnt(12)
	v_pk_fma_f32 v[20:21], v[56:57], v[66:67], v[18:19] op_sel:[0,0,1] op_sel_hi:[1,1,0] neg_lo:[0,0,1] neg_hi:[0,0,1]
	v_pk_fma_f32 v[18:19], v[56:57], v[66:67], v[18:19] op_sel:[0,0,1] op_sel_hi:[1,0,0]
	v_fma_f32 v70, v54, v128, -v5
	v_pk_add_f32 v[16:17], v[62:63], v[68:69]
	v_mov_b32_e32 v18, v65
	v_pk_add_f32 v[16:17], v[16:17], v[70:71]
	v_mov_b32_e32 v21, v19
	s_waitcnt lgkmcnt(0)
	v_pk_mul_f32 v[18:19], v[58:59], v[18:19] op_sel_hi:[1,0]
	v_pk_add_f32 v[16:17], v[16:17], v[20:21]
	v_pk_fma_f32 v[20:21], v[58:59], v[64:65], v[18:19] op_sel:[0,0,1] op_sel_hi:[1,1,0] neg_lo:[0,0,1] neg_hi:[0,0,1]
	v_pk_fma_f32 v[18:19], v[58:59], v[64:65], v[18:19] op_sel:[0,0,1] op_sel_hi:[1,0,0]
	s_waitcnt vmcnt(5)
	v_mov_b32_e32 v18, v79
	ds_read2_b64 v[6:9], v4 offset0:103 offset1:104
	ds_read2_b64 v[10:13], v4 offset0:105 offset1:106
	ds_read_b64 v[14:15], v4 offset:856
	v_mov_b32_e32 v21, v19
	v_pk_mul_f32 v[18:19], v[60:61], v[18:19] op_sel_hi:[1,0]
	v_pk_add_f32 v[16:17], v[16:17], v[20:21]
	s_waitcnt vmcnt(4)
	v_pk_fma_f32 v[20:21], v[60:61], v[78:79], v[18:19] op_sel:[0,0,1] op_sel_hi:[1,1,0] neg_lo:[0,0,1] neg_hi:[0,0,1]
	v_pk_fma_f32 v[18:19], v[60:61], v[78:79], v[18:19] op_sel:[0,0,1] op_sel_hi:[1,0,0]
	v_mov_b32_e32 v18, v77
	v_mov_b32_e32 v21, v19
	s_waitcnt lgkmcnt(2)
	v_pk_mul_f32 v[18:19], v[6:7], v[18:19] op_sel_hi:[1,0]
	v_pk_add_f32 v[16:17], v[16:17], v[20:21]
	v_pk_fma_f32 v[20:21], v[6:7], v[76:77], v[18:19] op_sel:[0,0,1] op_sel_hi:[1,1,0] neg_lo:[0,0,1] neg_hi:[0,0,1]
	v_pk_fma_f32 v[6:7], v[6:7], v[76:77], v[18:19] op_sel:[0,0,1] op_sel_hi:[1,0,0]
	v_mov_b32_e32 v21, v7
	v_pk_add_f32 v[6:7], v[16:17], v[20:21]
	v_mov_b32_e32 v16, v75
	v_pk_mul_f32 v[16:17], v[8:9], v[16:17] op_sel_hi:[1,0]
	v_pk_fma_f32 v[18:19], v[8:9], v[74:75], v[16:17] op_sel:[0,0,1] op_sel_hi:[1,1,0] neg_lo:[0,0,1] neg_hi:[0,0,1]
	v_pk_fma_f32 v[8:9], v[8:9], v[74:75], v[16:17] op_sel:[0,0,1] op_sel_hi:[1,0,0]
	v_mov_b32_e32 v8, v73
	v_mov_b32_e32 v19, v9
	s_waitcnt lgkmcnt(1)
	v_pk_mul_f32 v[8:9], v[10:11], v[8:9] op_sel_hi:[1,0]
	v_pk_fma_f32 v[16:17], v[10:11], v[72:73], v[8:9] op_sel:[0,0,1] op_sel_hi:[1,1,0] neg_lo:[0,0,1] neg_hi:[0,0,1]
	v_pk_fma_f32 v[8:9], v[10:11], v[72:73], v[8:9] op_sel:[0,0,1] op_sel_hi:[1,0,0]
	s_waitcnt vmcnt(1)
	v_mov_b32_e32 v8, v83
	v_mov_b32_e32 v17, v9
	v_pk_mul_f32 v[8:9], v[12:13], v[8:9] op_sel_hi:[1,0]
	s_waitcnt vmcnt(0)
	v_pk_fma_f32 v[10:11], v[12:13], v[82:83], v[8:9] op_sel:[0,0,1] op_sel_hi:[1,1,0] neg_lo:[0,0,1] neg_hi:[0,0,1]
	v_pk_fma_f32 v[8:9], v[12:13], v[82:83], v[8:9] op_sel:[0,0,1] op_sel_hi:[1,0,0]
	v_pk_add_f32 v[6:7], v[6:7], v[18:19]
	v_mov_b32_e32 v8, v81
	v_pk_add_f32 v[6:7], v[6:7], v[16:17]
	v_mov_b32_e32 v11, v9
	s_waitcnt lgkmcnt(0)
	v_pk_mul_f32 v[8:9], v[14:15], v[8:9] op_sel_hi:[1,0]
	v_pk_add_f32 v[6:7], v[6:7], v[10:11]
	v_pk_fma_f32 v[10:11], v[14:15], v[80:81], v[8:9] op_sel:[0,0,1] op_sel_hi:[1,1,0] neg_lo:[0,0,1] neg_hi:[0,0,1]
	v_pk_fma_f32 v[8:9], v[14:15], v[80:81], v[8:9] op_sel:[0,0,1] op_sel_hi:[1,0,0]
	v_mov_b32_e32 v11, v9
	v_pk_add_f32 v[6:7], v[6:7], v[10:11]
	v_pk_add_f32 v[2:3], v[2:3], v[6:7] neg_lo:[0,1] neg_hi:[0,1]
	buffer_store_dword v3, off, s[0:3], 0 offset:164
	buffer_store_dword v2, off, s[0:3], 0 offset:160
	s_and_saveexec_b64 s[4:5], vcc
	s_cbranch_execz .LBB117_299
; %bb.298:
	buffer_load_dword v2, off, s[0:3], 0 offset:152
	buffer_load_dword v3, off, s[0:3], 0 offset:156
	s_waitcnt vmcnt(0)
	ds_write_b64 v143, v[2:3]
	buffer_store_dword v4, off, s[0:3], 0 offset:152
	buffer_store_dword v4, off, s[0:3], 0 offset:156
.LBB117_299:
	s_or_b64 exec, exec, s[4:5]
	s_waitcnt lgkmcnt(0)
	; wave barrier
	s_waitcnt lgkmcnt(0)
	buffer_load_dword v5, off, s[0:3], 0 offset:164
	buffer_load_dword v64, off, s[0:3], 0 offset:172
	;; [unrolled: 1-line block ×42, first 2 shown]
	ds_read_b128 v[6:9], v4 offset:592
	ds_read_b128 v[10:13], v4 offset:608
	buffer_load_dword v120, off, s[0:3], 0 offset:320
	buffer_load_dword v121, off, s[0:3], 0 offset:324
	ds_read_b128 v[14:17], v4 offset:624
	ds_read_b128 v[18:21], v4 offset:640
	buffer_load_dword v122, off, s[0:3], 0 offset:328
	buffer_load_dword v123, off, s[0:3], 0 offset:332
	;; [unrolled: 1-line block ×4, first 2 shown]
	ds_read_b128 v[22:25], v4 offset:656
	ds_read_b128 v[26:29], v4 offset:672
	buffer_load_dword v126, off, s[0:3], 0 offset:344
	buffer_load_dword v127, off, s[0:3], 0 offset:348
	;; [unrolled: 1-line block ×6, first 2 shown]
	v_cmp_lt_u32_e32 vcc, 18, v0
	s_waitcnt vmcnt(53) lgkmcnt(5)
	v_mul_f32_e32 v30, v6, v5
	s_waitcnt vmcnt(52)
	v_mul_f32_e32 v31, v8, v64
	s_waitcnt vmcnt(51) lgkmcnt(4)
	v_mul_f32_e32 v32, v10, v66
	s_waitcnt vmcnt(50)
	v_mul_f32_e32 v33, v12, v68
	;; [unrolled: 4-line block ×5, first 2 shown]
	s_waitcnt vmcnt(43)
	v_fmac_f32_e32 v30, v7, v90
	s_waitcnt vmcnt(42)
	v_fmac_f32_e32 v31, v9, v91
	v_add_f32_e32 v30, 0, v30
	s_waitcnt vmcnt(41)
	v_fmac_f32_e32 v32, v11, v92
	v_add_f32_e32 v30, v30, v31
	;; [unrolled: 3-line block ×9, first 2 shown]
	s_waitcnt vmcnt(33) lgkmcnt(0)
	v_mul_f32_e32 v31, v26, v100
	v_add_f32_e32 v30, v30, v39
	s_waitcnt vmcnt(32)
	v_fmac_f32_e32 v31, v27, v101
	v_add_f32_e32 v34, v30, v31
	ds_read_b128 v[30:33], v4 offset:688
	s_waitcnt vmcnt(31)
	v_mul_f32_e32 v35, v28, v102
	s_waitcnt vmcnt(30)
	v_fmac_f32_e32 v35, v29, v103
	v_add_f32_e32 v38, v34, v35
	ds_read_b128 v[34:37], v4 offset:704
	s_waitcnt vmcnt(29) lgkmcnt(1)
	v_mul_f32_e32 v39, v30, v104
	s_waitcnt vmcnt(28)
	v_fmac_f32_e32 v39, v31, v105
	v_add_f32_e32 v38, v38, v39
	s_waitcnt vmcnt(27)
	v_mul_f32_e32 v39, v32, v106
	s_waitcnt vmcnt(26)
	v_fmac_f32_e32 v39, v33, v107
	v_add_f32_e32 v38, v38, v39
	s_waitcnt vmcnt(25) lgkmcnt(0)
	v_mul_f32_e32 v39, v34, v108
	s_waitcnt vmcnt(24)
	v_fmac_f32_e32 v39, v35, v109
	v_add_f32_e32 v42, v38, v39
	ds_read_b128 v[38:41], v4 offset:720
	s_waitcnt vmcnt(23)
	v_mul_f32_e32 v43, v36, v110
	s_waitcnt vmcnt(22)
	v_fmac_f32_e32 v43, v37, v111
	v_add_f32_e32 v46, v42, v43
	ds_read_b128 v[42:45], v4 offset:736
	s_waitcnt vmcnt(21) lgkmcnt(1)
	v_mul_f32_e32 v47, v38, v112
	s_waitcnt vmcnt(20)
	v_fmac_f32_e32 v47, v39, v113
	v_add_f32_e32 v46, v46, v47
	s_waitcnt vmcnt(18)
	v_mul_f32_e32 v47, v40, v115
	v_fmac_f32_e32 v47, v41, v114
	v_add_f32_e32 v46, v46, v47
	s_waitcnt vmcnt(15) lgkmcnt(0)
	v_mul_f32_e32 v47, v42, v116
	s_waitcnt vmcnt(14)
	v_fmac_f32_e32 v47, v43, v117
	v_add_f32_e32 v50, v46, v47
	ds_read_b128 v[46:49], v4 offset:752
	s_waitcnt vmcnt(12)
	v_mul_f32_e32 v51, v44, v119
	v_fmac_f32_e32 v51, v45, v118
	v_add_f32_e32 v54, v50, v51
	ds_read_b128 v[50:53], v4 offset:768
	buffer_load_dword v63, off, s[0:3], 0 offset:372
	buffer_load_dword v62, off, s[0:3], 0 offset:368
	s_waitcnt vmcnt(12) lgkmcnt(1)
	v_mul_f32_e32 v55, v46, v121
	v_fmac_f32_e32 v55, v47, v120
	v_add_f32_e32 v54, v54, v55
	s_waitcnt vmcnt(10)
	v_mul_f32_e32 v55, v48, v123
	v_fmac_f32_e32 v55, v49, v122
	v_add_f32_e32 v54, v54, v55
	s_waitcnt vmcnt(8) lgkmcnt(0)
	v_mul_f32_e32 v55, v50, v125
	v_fmac_f32_e32 v55, v51, v124
	s_waitcnt vmcnt(6)
	v_mul_f32_e32 v59, v52, v127
	v_add_f32_e32 v58, v54, v55
	v_fmac_f32_e32 v59, v53, v126
	ds_read_b128 v[54:57], v4 offset:784
	v_add_f32_e32 v65, v58, v59
	ds_read_b128 v[58:61], v4 offset:800
	buffer_load_dword v71, off, s[0:3], 0 offset:404
	buffer_load_dword v70, off, s[0:3], 0 offset:400
	;; [unrolled: 1-line block ×14, first 2 shown]
	v_mul_f32_e32 v5, v7, v5
	v_fma_f32 v5, v6, v90, -v5
	v_mul_f32_e32 v6, v9, v64
	v_add_f32_e32 v5, 0, v5
	v_fma_f32 v6, v8, v91, -v6
	v_add_f32_e32 v5, v5, v6
	v_mul_f32_e32 v6, v11, v66
	v_fma_f32 v6, v10, v92, -v6
	v_add_f32_e32 v5, v5, v6
	v_mul_f32_e32 v6, v13, v68
	v_fma_f32 v6, v12, v93, -v6
	v_add_f32_e32 v5, v5, v6
	v_mul_f32_e32 v6, v15, v84
	v_fma_f32 v6, v14, v94, -v6
	v_add_f32_e32 v5, v5, v6
	v_mul_f32_e32 v6, v17, v85
	v_fma_f32 v6, v16, v95, -v6
	v_add_f32_e32 v5, v5, v6
	v_mul_f32_e32 v6, v19, v86
	v_fma_f32 v6, v18, v96, -v6
	v_add_f32_e32 v5, v5, v6
	v_mul_f32_e32 v6, v21, v87
	v_fma_f32 v6, v20, v97, -v6
	v_add_f32_e32 v5, v5, v6
	v_mul_f32_e32 v6, v23, v88
	v_fma_f32 v6, v22, v98, -v6
	v_add_f32_e32 v5, v5, v6
	v_mul_f32_e32 v6, v25, v89
	v_fma_f32 v6, v24, v99, -v6
	v_add_f32_e32 v5, v5, v6
	v_mul_f32_e32 v6, v27, v100
	v_fma_f32 v6, v26, v101, -v6
	v_add_f32_e32 v5, v5, v6
	v_mul_f32_e32 v6, v29, v102
	v_fma_f32 v6, v28, v103, -v6
	v_add_f32_e32 v5, v5, v6
	v_mul_f32_e32 v6, v31, v104
	v_fma_f32 v6, v30, v105, -v6
	v_add_f32_e32 v5, v5, v6
	v_mul_f32_e32 v6, v33, v106
	v_fma_f32 v6, v32, v107, -v6
	v_add_f32_e32 v5, v5, v6
	v_mul_f32_e32 v6, v35, v108
	v_fma_f32 v6, v34, v109, -v6
	v_add_f32_e32 v5, v5, v6
	v_mul_f32_e32 v6, v37, v110
	v_fma_f32 v6, v36, v111, -v6
	v_add_f32_e32 v5, v5, v6
	v_mul_f32_e32 v6, v39, v112
	v_fma_f32 v6, v38, v113, -v6
	v_add_f32_e32 v5, v5, v6
	v_mul_f32_e32 v6, v41, v115
	v_fma_f32 v6, v40, v114, -v6
	v_add_f32_e32 v5, v5, v6
	v_mul_f32_e32 v6, v43, v116
	v_fma_f32 v6, v42, v117, -v6
	v_add_f32_e32 v5, v5, v6
	v_mul_f32_e32 v6, v45, v119
	v_fma_f32 v6, v44, v118, -v6
	v_add_f32_e32 v5, v5, v6
	v_mul_f32_e32 v6, v47, v121
	v_fma_f32 v6, v46, v120, -v6
	v_add_f32_e32 v5, v5, v6
	v_mul_f32_e32 v6, v49, v123
	v_fma_f32 v6, v48, v122, -v6
	v_add_f32_e32 v5, v5, v6
	v_mul_f32_e32 v6, v51, v125
	v_fma_f32 v6, v50, v124, -v6
	v_add_f32_e32 v5, v5, v6
	v_mul_f32_e32 v6, v53, v127
	v_fma_f32 v6, v52, v126, -v6
	s_waitcnt vmcnt(15)
	v_mov_b32_e32 v18, v63
	s_waitcnt lgkmcnt(1)
	v_mul_f32_e32 v67, v54, v129
	v_add_f32_e32 v64, v5, v6
	v_mul_f32_e32 v5, v55, v129
	s_waitcnt lgkmcnt(0)
	v_pk_mul_f32 v[18:19], v[58:59], v[18:19] op_sel_hi:[1,0]
	v_fmac_f32_e32 v67, v55, v128
	v_mul_f32_e32 v69, v56, v131
	v_fma_f32 v66, v54, v128, -v5
	v_mul_f32_e32 v5, v57, v131
	s_waitcnt vmcnt(14)
	v_pk_fma_f32 v[20:21], v[58:59], v[62:63], v[18:19] op_sel:[0,0,1] op_sel_hi:[1,1,0] neg_lo:[0,0,1] neg_hi:[0,0,1]
	v_pk_fma_f32 v[18:19], v[58:59], v[62:63], v[18:19] op_sel:[0,0,1] op_sel_hi:[1,0,0]
	v_fmac_f32_e32 v69, v57, v130
	v_fma_f32 v68, v56, v130, -v5
	ds_read_b128 v[6:9], v4 offset:816
	ds_read_b128 v[10:13], v4 offset:832
	;; [unrolled: 1-line block ×3, first 2 shown]
	v_pk_add_f32 v[4:5], v[64:65], v[66:67]
	s_waitcnt vmcnt(7)
	v_mov_b32_e32 v18, v77
	v_pk_add_f32 v[4:5], v[4:5], v[68:69]
	v_mov_b32_e32 v21, v19
	v_pk_mul_f32 v[18:19], v[60:61], v[18:19] op_sel_hi:[1,0]
	v_pk_add_f32 v[4:5], v[4:5], v[20:21]
	s_waitcnt vmcnt(6)
	v_pk_fma_f32 v[20:21], v[60:61], v[76:77], v[18:19] op_sel:[0,0,1] op_sel_hi:[1,1,0] neg_lo:[0,0,1] neg_hi:[0,0,1]
	v_pk_fma_f32 v[18:19], v[60:61], v[76:77], v[18:19] op_sel:[0,0,1] op_sel_hi:[1,0,0]
	v_mov_b32_e32 v18, v75
	v_mov_b32_e32 v21, v19
	s_waitcnt lgkmcnt(2)
	v_pk_mul_f32 v[18:19], v[6:7], v[18:19] op_sel_hi:[1,0]
	v_pk_add_f32 v[4:5], v[4:5], v[20:21]
	v_pk_fma_f32 v[20:21], v[6:7], v[74:75], v[18:19] op_sel:[0,0,1] op_sel_hi:[1,1,0] neg_lo:[0,0,1] neg_hi:[0,0,1]
	v_pk_fma_f32 v[6:7], v[6:7], v[74:75], v[18:19] op_sel:[0,0,1] op_sel_hi:[1,0,0]
	v_mov_b32_e32 v6, v73
	v_mov_b32_e32 v21, v7
	v_pk_mul_f32 v[6:7], v[8:9], v[6:7] op_sel_hi:[1,0]
	v_pk_fma_f32 v[18:19], v[8:9], v[72:73], v[6:7] op_sel:[0,0,1] op_sel_hi:[1,1,0] neg_lo:[0,0,1] neg_hi:[0,0,1]
	v_pk_fma_f32 v[6:7], v[8:9], v[72:73], v[6:7] op_sel:[0,0,1] op_sel_hi:[1,0,0]
	v_mov_b32_e32 v6, v71
	v_mov_b32_e32 v19, v7
	s_waitcnt lgkmcnt(1)
	v_pk_mul_f32 v[6:7], v[10:11], v[6:7] op_sel_hi:[1,0]
	v_pk_fma_f32 v[8:9], v[10:11], v[70:71], v[6:7] op_sel:[0,0,1] op_sel_hi:[1,1,0] neg_lo:[0,0,1] neg_hi:[0,0,1]
	v_pk_fma_f32 v[6:7], v[10:11], v[70:71], v[6:7] op_sel:[0,0,1] op_sel_hi:[1,0,0]
	v_pk_add_f32 v[4:5], v[4:5], v[20:21]
	s_waitcnt vmcnt(1)
	v_mov_b32_e32 v6, v83
	v_pk_add_f32 v[4:5], v[4:5], v[18:19]
	v_mov_b32_e32 v9, v7
	v_pk_mul_f32 v[6:7], v[12:13], v[6:7] op_sel_hi:[1,0]
	v_pk_add_f32 v[4:5], v[4:5], v[8:9]
	s_waitcnt vmcnt(0)
	v_pk_fma_f32 v[8:9], v[12:13], v[82:83], v[6:7] op_sel:[0,0,1] op_sel_hi:[1,1,0] neg_lo:[0,0,1] neg_hi:[0,0,1]
	v_pk_fma_f32 v[6:7], v[12:13], v[82:83], v[6:7] op_sel:[0,0,1] op_sel_hi:[1,0,0]
	v_mov_b32_e32 v6, v81
	v_mov_b32_e32 v9, v7
	s_waitcnt lgkmcnt(0)
	v_pk_mul_f32 v[6:7], v[14:15], v[6:7] op_sel_hi:[1,0]
	v_pk_add_f32 v[4:5], v[4:5], v[8:9]
	v_pk_fma_f32 v[8:9], v[14:15], v[80:81], v[6:7] op_sel:[0,0,1] op_sel_hi:[1,1,0] neg_lo:[0,0,1] neg_hi:[0,0,1]
	v_pk_fma_f32 v[6:7], v[14:15], v[80:81], v[6:7] op_sel:[0,0,1] op_sel_hi:[1,0,0]
	v_mov_b32_e32 v6, v79
	v_mov_b32_e32 v9, v7
	v_pk_mul_f32 v[6:7], v[16:17], v[6:7] op_sel_hi:[1,0]
	v_pk_add_f32 v[4:5], v[4:5], v[8:9]
	v_pk_fma_f32 v[8:9], v[16:17], v[78:79], v[6:7] op_sel:[0,0,1] op_sel_hi:[1,1,0] neg_lo:[0,0,1] neg_hi:[0,0,1]
	v_pk_fma_f32 v[6:7], v[16:17], v[78:79], v[6:7] op_sel:[0,0,1] op_sel_hi:[1,0,0]
	v_mov_b32_e32 v9, v7
	v_pk_add_f32 v[4:5], v[4:5], v[8:9]
	v_pk_add_f32 v[2:3], v[2:3], v[4:5] neg_lo:[0,1] neg_hi:[0,1]
	buffer_store_dword v3, off, s[0:3], 0 offset:156
	buffer_store_dword v2, off, s[0:3], 0 offset:152
	s_and_saveexec_b64 s[4:5], vcc
	s_cbranch_execz .LBB117_301
; %bb.300:
	buffer_load_dword v2, off, s[0:3], 0 offset:144
	buffer_load_dword v3, off, s[0:3], 0 offset:148
	v_mov_b32_e32 v4, 0
	buffer_store_dword v4, off, s[0:3], 0 offset:144
	buffer_store_dword v4, off, s[0:3], 0 offset:148
	s_waitcnt vmcnt(2)
	ds_write_b64 v143, v[2:3]
.LBB117_301:
	s_or_b64 exec, exec, s[4:5]
	s_waitcnt lgkmcnt(0)
	; wave barrier
	s_waitcnt lgkmcnt(0)
	buffer_load_dword v5, off, s[0:3], 0 offset:156
	buffer_load_dword v62, off, s[0:3], 0 offset:164
	;; [unrolled: 1-line block ×56, first 2 shown]
	v_mov_b32_e32 v4, 0
	ds_read2_b64 v[6:9], v4 offset0:73 offset1:74
	ds_read2_b64 v[10:13], v4 offset0:75 offset1:76
	;; [unrolled: 1-line block ×6, first 2 shown]
	v_cmp_lt_u32_e32 vcc, 17, v0
	s_waitcnt vmcnt(55) lgkmcnt(5)
	v_mul_f32_e32 v30, v6, v5
	s_waitcnt vmcnt(54)
	v_mul_f32_e32 v31, v8, v62
	s_waitcnt vmcnt(53) lgkmcnt(4)
	v_mul_f32_e32 v32, v10, v64
	s_waitcnt vmcnt(52)
	v_mul_f32_e32 v33, v12, v66
	;; [unrolled: 4-line block ×4, first 2 shown]
	s_waitcnt vmcnt(47) lgkmcnt(1)
	v_mul_f32_e32 v38, v22, v88
	s_waitcnt vmcnt(46)
	v_fmac_f32_e32 v30, v7, v89
	s_waitcnt vmcnt(45)
	v_fmac_f32_e32 v31, v9, v90
	v_add_f32_e32 v30, 0, v30
	s_waitcnt vmcnt(44)
	v_fmac_f32_e32 v32, v11, v91
	v_add_f32_e32 v30, v30, v31
	;; [unrolled: 3-line block ×7, first 2 shown]
	v_add_f32_e32 v30, v30, v37
	s_waitcnt vmcnt(38)
	v_fmac_f32_e32 v38, v23, v97
	s_waitcnt vmcnt(37)
	v_mul_f32_e32 v31, v24, v98
	v_add_f32_e32 v30, v30, v38
	s_waitcnt vmcnt(36)
	v_fmac_f32_e32 v31, v25, v99
	v_add_f32_e32 v30, v30, v31
	s_waitcnt vmcnt(35) lgkmcnt(0)
	v_mul_f32_e32 v31, v26, v100
	s_waitcnt vmcnt(34)
	v_fmac_f32_e32 v31, v27, v101
	v_add_f32_e32 v34, v30, v31
	ds_read2_b64 v[30:33], v4 offset0:85 offset1:86
	s_waitcnt vmcnt(33)
	v_mul_f32_e32 v35, v28, v102
	s_waitcnt vmcnt(32)
	v_fmac_f32_e32 v35, v29, v103
	v_add_f32_e32 v38, v34, v35
	ds_read2_b64 v[34:37], v4 offset0:87 offset1:88
	s_waitcnt vmcnt(31) lgkmcnt(1)
	v_mul_f32_e32 v39, v30, v104
	s_waitcnt vmcnt(30)
	v_fmac_f32_e32 v39, v31, v105
	v_add_f32_e32 v38, v38, v39
	s_waitcnt vmcnt(29)
	v_mul_f32_e32 v39, v32, v106
	s_waitcnt vmcnt(28)
	v_fmac_f32_e32 v39, v33, v107
	v_add_f32_e32 v38, v38, v39
	s_waitcnt vmcnt(27) lgkmcnt(0)
	v_mul_f32_e32 v39, v34, v108
	s_waitcnt vmcnt(26)
	v_fmac_f32_e32 v39, v35, v109
	v_add_f32_e32 v42, v38, v39
	ds_read2_b64 v[38:41], v4 offset0:89 offset1:90
	s_waitcnt vmcnt(24)
	v_mul_f32_e32 v43, v36, v111
	v_fmac_f32_e32 v43, v37, v110
	v_add_f32_e32 v46, v42, v43
	ds_read2_b64 v[42:45], v4 offset0:91 offset1:92
	s_waitcnt vmcnt(20) lgkmcnt(1)
	v_mul_f32_e32 v47, v38, v113
	v_fmac_f32_e32 v47, v39, v112
	v_add_f32_e32 v46, v46, v47
	s_waitcnt vmcnt(18)
	v_mul_f32_e32 v47, v40, v115
	v_fmac_f32_e32 v47, v41, v114
	v_add_f32_e32 v46, v46, v47
	s_waitcnt vmcnt(16) lgkmcnt(0)
	v_mul_f32_e32 v47, v42, v117
	v_fmac_f32_e32 v47, v43, v116
	v_add_f32_e32 v50, v46, v47
	ds_read2_b64 v[46:49], v4 offset0:93 offset1:94
	s_waitcnt vmcnt(14)
	v_mul_f32_e32 v51, v44, v119
	v_fmac_f32_e32 v51, v45, v118
	v_add_f32_e32 v54, v50, v51
	ds_read2_b64 v[50:53], v4 offset0:95 offset1:96
	s_waitcnt vmcnt(12) lgkmcnt(1)
	v_mul_f32_e32 v55, v46, v121
	v_fmac_f32_e32 v55, v47, v120
	v_add_f32_e32 v54, v54, v55
	s_waitcnt vmcnt(10)
	v_mul_f32_e32 v55, v48, v123
	v_fmac_f32_e32 v55, v49, v122
	v_add_f32_e32 v54, v54, v55
	s_waitcnt vmcnt(8) lgkmcnt(0)
	v_mul_f32_e32 v55, v50, v125
	v_fmac_f32_e32 v55, v51, v124
	s_waitcnt vmcnt(6)
	v_mul_f32_e32 v59, v52, v127
	v_add_f32_e32 v58, v54, v55
	v_fmac_f32_e32 v59, v53, v126
	ds_read2_b64 v[54:57], v4 offset0:97 offset1:98
	v_add_f32_e32 v63, v58, v59
	ds_read2_b64 v[58:61], v4 offset0:99 offset1:100
	buffer_load_dword v69, off, s[0:3], 0 offset:396
	buffer_load_dword v68, off, s[0:3], 0 offset:392
	;; [unrolled: 1-line block ×16, first 2 shown]
	v_mul_f32_e32 v5, v7, v5
	v_fma_f32 v5, v6, v89, -v5
	v_mul_f32_e32 v6, v9, v62
	v_add_f32_e32 v5, 0, v5
	v_fma_f32 v6, v8, v90, -v6
	v_add_f32_e32 v5, v5, v6
	v_mul_f32_e32 v6, v11, v64
	v_fma_f32 v6, v10, v91, -v6
	v_add_f32_e32 v5, v5, v6
	v_mul_f32_e32 v6, v13, v66
	;; [unrolled: 3-line block ×22, first 2 shown]
	v_fma_f32 v6, v52, v126, -v6
	s_waitcnt vmcnt(20) lgkmcnt(1)
	v_mul_f32_e32 v65, v54, v129
	v_add_f32_e32 v5, v5, v6
	v_mul_f32_e32 v6, v55, v129
	v_fmac_f32_e32 v65, v55, v128
	v_fma_f32 v6, v54, v128, -v6
	s_waitcnt vmcnt(9)
	v_mov_b32_e32 v22, v75
	v_add_f32_e32 v63, v63, v65
	v_mul_f32_e32 v65, v56, v131
	v_add_f32_e32 v62, v5, v6
	v_mul_f32_e32 v5, v57, v131
	s_waitcnt lgkmcnt(0)
	v_pk_mul_f32 v[22:23], v[60:61], v[22:23] op_sel_hi:[1,0]
	v_fmac_f32_e32 v65, v57, v130
	v_mul_f32_e32 v67, v58, v133
	v_fma_f32 v64, v56, v130, -v5
	v_mul_f32_e32 v5, v59, v133
	ds_read2_b64 v[6:9], v4 offset0:101 offset1:102
	ds_read2_b64 v[10:13], v4 offset0:103 offset1:104
	;; [unrolled: 1-line block ×3, first 2 shown]
	ds_read_b64 v[18:19], v4 offset:856
	s_waitcnt vmcnt(8)
	v_pk_fma_f32 v[24:25], v[60:61], v[74:75], v[22:23] op_sel:[0,0,1] op_sel_hi:[1,1,0] neg_lo:[0,0,1] neg_hi:[0,0,1]
	v_pk_fma_f32 v[22:23], v[60:61], v[74:75], v[22:23] op_sel:[0,0,1] op_sel_hi:[1,0,0]
	v_fmac_f32_e32 v67, v59, v132
	v_fma_f32 v66, v58, v132, -v5
	v_pk_add_f32 v[20:21], v[62:63], v[64:65]
	v_mov_b32_e32 v22, v73
	v_pk_add_f32 v[20:21], v[20:21], v[66:67]
	v_mov_b32_e32 v25, v23
	s_waitcnt lgkmcnt(3)
	v_pk_mul_f32 v[22:23], v[6:7], v[22:23] op_sel_hi:[1,0]
	v_pk_add_f32 v[20:21], v[20:21], v[24:25]
	v_pk_fma_f32 v[24:25], v[6:7], v[72:73], v[22:23] op_sel:[0,0,1] op_sel_hi:[1,1,0] neg_lo:[0,0,1] neg_hi:[0,0,1]
	v_pk_fma_f32 v[6:7], v[6:7], v[72:73], v[22:23] op_sel:[0,0,1] op_sel_hi:[1,0,0]
	v_mov_b32_e32 v25, v7
	v_pk_add_f32 v[6:7], v[20:21], v[24:25]
	v_mov_b32_e32 v20, v71
	v_pk_mul_f32 v[20:21], v[8:9], v[20:21] op_sel_hi:[1,0]
	v_pk_fma_f32 v[22:23], v[8:9], v[70:71], v[20:21] op_sel:[0,0,1] op_sel_hi:[1,1,0] neg_lo:[0,0,1] neg_hi:[0,0,1]
	v_pk_fma_f32 v[8:9], v[8:9], v[70:71], v[20:21] op_sel:[0,0,1] op_sel_hi:[1,0,0]
	v_mov_b32_e32 v8, v69
	v_mov_b32_e32 v23, v9
	s_waitcnt lgkmcnt(2)
	v_pk_mul_f32 v[8:9], v[10:11], v[8:9] op_sel_hi:[1,0]
	v_pk_fma_f32 v[20:21], v[10:11], v[68:69], v[8:9] op_sel:[0,0,1] op_sel_hi:[1,1,0] neg_lo:[0,0,1] neg_hi:[0,0,1]
	v_pk_fma_f32 v[8:9], v[10:11], v[68:69], v[8:9] op_sel:[0,0,1] op_sel_hi:[1,0,0]
	s_waitcnt vmcnt(1)
	v_mov_b32_e32 v8, v83
	v_mov_b32_e32 v21, v9
	v_pk_mul_f32 v[8:9], v[12:13], v[8:9] op_sel_hi:[1,0]
	s_waitcnt vmcnt(0)
	v_pk_fma_f32 v[10:11], v[12:13], v[82:83], v[8:9] op_sel:[0,0,1] op_sel_hi:[1,1,0] neg_lo:[0,0,1] neg_hi:[0,0,1]
	v_pk_fma_f32 v[8:9], v[12:13], v[82:83], v[8:9] op_sel:[0,0,1] op_sel_hi:[1,0,0]
	v_pk_add_f32 v[6:7], v[6:7], v[22:23]
	v_mov_b32_e32 v8, v81
	v_pk_add_f32 v[6:7], v[6:7], v[20:21]
	v_mov_b32_e32 v11, v9
	s_waitcnt lgkmcnt(1)
	v_pk_mul_f32 v[8:9], v[14:15], v[8:9] op_sel_hi:[1,0]
	v_pk_add_f32 v[6:7], v[6:7], v[10:11]
	v_pk_fma_f32 v[10:11], v[14:15], v[80:81], v[8:9] op_sel:[0,0,1] op_sel_hi:[1,1,0] neg_lo:[0,0,1] neg_hi:[0,0,1]
	v_pk_fma_f32 v[8:9], v[14:15], v[80:81], v[8:9] op_sel:[0,0,1] op_sel_hi:[1,0,0]
	v_mov_b32_e32 v8, v79
	v_mov_b32_e32 v11, v9
	v_pk_mul_f32 v[8:9], v[16:17], v[8:9] op_sel_hi:[1,0]
	v_pk_add_f32 v[6:7], v[6:7], v[10:11]
	v_pk_fma_f32 v[10:11], v[16:17], v[78:79], v[8:9] op_sel:[0,0,1] op_sel_hi:[1,1,0] neg_lo:[0,0,1] neg_hi:[0,0,1]
	v_pk_fma_f32 v[8:9], v[16:17], v[78:79], v[8:9] op_sel:[0,0,1] op_sel_hi:[1,0,0]
	v_mov_b32_e32 v8, v77
	v_mov_b32_e32 v11, v9
	s_waitcnt lgkmcnt(0)
	v_pk_mul_f32 v[8:9], v[18:19], v[8:9] op_sel_hi:[1,0]
	v_pk_add_f32 v[6:7], v[6:7], v[10:11]
	v_pk_fma_f32 v[10:11], v[18:19], v[76:77], v[8:9] op_sel:[0,0,1] op_sel_hi:[1,1,0] neg_lo:[0,0,1] neg_hi:[0,0,1]
	v_pk_fma_f32 v[8:9], v[18:19], v[76:77], v[8:9] op_sel:[0,0,1] op_sel_hi:[1,0,0]
	v_mov_b32_e32 v11, v9
	v_pk_add_f32 v[6:7], v[6:7], v[10:11]
	v_pk_add_f32 v[2:3], v[2:3], v[6:7] neg_lo:[0,1] neg_hi:[0,1]
	buffer_store_dword v3, off, s[0:3], 0 offset:148
	buffer_store_dword v2, off, s[0:3], 0 offset:144
	s_and_saveexec_b64 s[4:5], vcc
	s_cbranch_execz .LBB117_303
; %bb.302:
	buffer_load_dword v2, off, s[0:3], 0 offset:136
	buffer_load_dword v3, off, s[0:3], 0 offset:140
	s_waitcnt vmcnt(0)
	ds_write_b64 v143, v[2:3]
	buffer_store_dword v4, off, s[0:3], 0 offset:136
	buffer_store_dword v4, off, s[0:3], 0 offset:140
.LBB117_303:
	s_or_b64 exec, exec, s[4:5]
	s_waitcnt lgkmcnt(0)
	; wave barrier
	s_waitcnt lgkmcnt(0)
	buffer_load_dword v5, off, s[0:3], 0 offset:148
	buffer_load_dword v62, off, s[0:3], 0 offset:156
	;; [unrolled: 1-line block ×36, first 2 shown]
	ds_read_b128 v[6:9], v4 offset:576
	ds_read_b128 v[10:13], v4 offset:592
	buffer_load_dword v114, off, s[0:3], 0 offset:280
	buffer_load_dword v115, off, s[0:3], 0 offset:284
	;; [unrolled: 1-line block ×4, first 2 shown]
	ds_read_b128 v[14:17], v4 offset:608
	ds_read_b128 v[18:21], v4 offset:624
	buffer_load_dword v118, off, s[0:3], 0 offset:296
	buffer_load_dword v119, off, s[0:3], 0 offset:300
	ds_read_b128 v[22:25], v4 offset:640
	ds_read_b128 v[26:29], v4 offset:656
	buffer_load_dword v120, off, s[0:3], 0 offset:304
	buffer_load_dword v121, off, s[0:3], 0 offset:308
	;; [unrolled: 1-line block ×16, first 2 shown]
	v_cmp_lt_u32_e32 vcc, 16, v0
	s_waitcnt vmcnt(57) lgkmcnt(5)
	v_mul_f32_e32 v30, v6, v5
	s_waitcnt vmcnt(56)
	v_mul_f32_e32 v31, v8, v62
	s_waitcnt vmcnt(55) lgkmcnt(4)
	v_mul_f32_e32 v32, v10, v64
	s_waitcnt vmcnt(54)
	v_mul_f32_e32 v33, v12, v72
	;; [unrolled: 4-line block ×4, first 2 shown]
	s_waitcnt vmcnt(49)
	v_fmac_f32_e32 v30, v7, v88
	s_waitcnt vmcnt(48)
	v_fmac_f32_e32 v31, v9, v89
	v_add_f32_e32 v30, 0, v30
	s_waitcnt vmcnt(47)
	v_fmac_f32_e32 v32, v11, v90
	v_add_f32_e32 v30, v30, v31
	;; [unrolled: 3-line block ×7, first 2 shown]
	s_waitcnt vmcnt(41) lgkmcnt(1)
	v_mul_f32_e32 v31, v22, v96
	v_add_f32_e32 v30, v30, v37
	s_waitcnt vmcnt(40)
	v_fmac_f32_e32 v31, v23, v97
	v_add_f32_e32 v30, v30, v31
	s_waitcnt vmcnt(39)
	v_mul_f32_e32 v31, v24, v98
	s_waitcnt vmcnt(38)
	v_fmac_f32_e32 v31, v25, v99
	v_add_f32_e32 v30, v30, v31
	s_waitcnt vmcnt(37) lgkmcnt(0)
	v_mul_f32_e32 v31, v26, v100
	s_waitcnt vmcnt(36)
	v_fmac_f32_e32 v31, v27, v101
	v_add_f32_e32 v34, v30, v31
	ds_read_b128 v[30:33], v4 offset:672
	s_waitcnt vmcnt(35)
	v_mul_f32_e32 v35, v28, v102
	s_waitcnt vmcnt(34)
	v_fmac_f32_e32 v35, v29, v103
	v_add_f32_e32 v38, v34, v35
	ds_read_b128 v[34:37], v4 offset:688
	s_waitcnt vmcnt(33) lgkmcnt(1)
	v_mul_f32_e32 v39, v30, v104
	s_waitcnt vmcnt(32)
	v_fmac_f32_e32 v39, v31, v105
	v_add_f32_e32 v38, v38, v39
	s_waitcnt vmcnt(31)
	v_mul_f32_e32 v39, v32, v106
	s_waitcnt vmcnt(30)
	v_fmac_f32_e32 v39, v33, v107
	v_add_f32_e32 v38, v38, v39
	s_waitcnt vmcnt(29) lgkmcnt(0)
	v_mul_f32_e32 v39, v34, v108
	s_waitcnt vmcnt(28)
	v_fmac_f32_e32 v39, v35, v109
	v_add_f32_e32 v42, v38, v39
	ds_read_b128 v[38:41], v4 offset:704
	s_waitcnt vmcnt(25)
	v_mul_f32_e32 v43, v36, v110
	s_waitcnt vmcnt(24)
	v_fmac_f32_e32 v43, v37, v111
	v_add_f32_e32 v46, v42, v43
	ds_read_b128 v[42:45], v4 offset:720
	s_waitcnt vmcnt(22) lgkmcnt(1)
	v_mul_f32_e32 v47, v38, v113
	v_fmac_f32_e32 v47, v39, v112
	v_add_f32_e32 v46, v46, v47
	s_waitcnt vmcnt(20)
	v_mul_f32_e32 v47, v40, v115
	v_fmac_f32_e32 v47, v41, v114
	v_add_f32_e32 v46, v46, v47
	s_waitcnt vmcnt(18) lgkmcnt(0)
	v_mul_f32_e32 v47, v42, v117
	v_fmac_f32_e32 v47, v43, v116
	v_add_f32_e32 v50, v46, v47
	ds_read_b128 v[46:49], v4 offset:736
	s_waitcnt vmcnt(16)
	v_mul_f32_e32 v51, v44, v119
	v_fmac_f32_e32 v51, v45, v118
	v_add_f32_e32 v54, v50, v51
	ds_read_b128 v[50:53], v4 offset:752
	s_waitcnt vmcnt(14) lgkmcnt(1)
	v_mul_f32_e32 v55, v46, v121
	v_fmac_f32_e32 v55, v47, v120
	v_add_f32_e32 v54, v54, v55
	s_waitcnt vmcnt(12)
	v_mul_f32_e32 v55, v48, v123
	v_fmac_f32_e32 v55, v49, v122
	v_add_f32_e32 v54, v54, v55
	s_waitcnt vmcnt(10) lgkmcnt(0)
	v_mul_f32_e32 v55, v50, v125
	v_fmac_f32_e32 v55, v51, v124
	s_waitcnt vmcnt(8)
	v_mul_f32_e32 v59, v52, v127
	v_add_f32_e32 v58, v54, v55
	v_fmac_f32_e32 v59, v53, v126
	ds_read_b128 v[54:57], v4 offset:768
	v_add_f32_e32 v63, v58, v59
	ds_read_b128 v[58:61], v4 offset:784
	buffer_load_dword v67, off, s[0:3], 0 offset:388
	buffer_load_dword v66, off, s[0:3], 0 offset:384
	;; [unrolled: 1-line block ×16, first 2 shown]
	v_mul_f32_e32 v5, v7, v5
	v_fma_f32 v5, v6, v88, -v5
	v_mul_f32_e32 v6, v9, v62
	v_add_f32_e32 v5, 0, v5
	v_fma_f32 v6, v8, v89, -v6
	v_add_f32_e32 v5, v5, v6
	v_mul_f32_e32 v6, v11, v64
	v_fma_f32 v6, v10, v90, -v6
	v_add_f32_e32 v5, v5, v6
	v_mul_f32_e32 v6, v13, v72
	v_fma_f32 v6, v12, v91, -v6
	v_add_f32_e32 v5, v5, v6
	v_mul_f32_e32 v6, v15, v84
	v_fma_f32 v6, v14, v92, -v6
	v_add_f32_e32 v5, v5, v6
	v_mul_f32_e32 v6, v17, v85
	v_fma_f32 v6, v16, v93, -v6
	v_add_f32_e32 v5, v5, v6
	v_mul_f32_e32 v6, v19, v86
	v_fma_f32 v6, v18, v94, -v6
	v_add_f32_e32 v5, v5, v6
	v_mul_f32_e32 v6, v21, v87
	v_fma_f32 v6, v20, v95, -v6
	v_add_f32_e32 v5, v5, v6
	v_mul_f32_e32 v6, v23, v96
	v_fma_f32 v6, v22, v97, -v6
	v_add_f32_e32 v5, v5, v6
	v_mul_f32_e32 v6, v25, v98
	v_fma_f32 v6, v24, v99, -v6
	v_add_f32_e32 v5, v5, v6
	v_mul_f32_e32 v6, v27, v100
	v_fma_f32 v6, v26, v101, -v6
	v_add_f32_e32 v5, v5, v6
	v_mul_f32_e32 v6, v29, v102
	v_fma_f32 v6, v28, v103, -v6
	v_add_f32_e32 v5, v5, v6
	v_mul_f32_e32 v6, v31, v104
	v_fma_f32 v6, v30, v105, -v6
	v_add_f32_e32 v5, v5, v6
	v_mul_f32_e32 v6, v33, v106
	v_fma_f32 v6, v32, v107, -v6
	v_add_f32_e32 v5, v5, v6
	v_mul_f32_e32 v6, v35, v108
	v_fma_f32 v6, v34, v109, -v6
	v_add_f32_e32 v5, v5, v6
	v_mul_f32_e32 v6, v37, v110
	v_fma_f32 v6, v36, v111, -v6
	v_add_f32_e32 v5, v5, v6
	v_mul_f32_e32 v6, v39, v113
	v_fma_f32 v6, v38, v112, -v6
	v_add_f32_e32 v5, v5, v6
	v_mul_f32_e32 v6, v41, v115
	v_fma_f32 v6, v40, v114, -v6
	v_add_f32_e32 v5, v5, v6
	v_mul_f32_e32 v6, v43, v117
	v_fma_f32 v6, v42, v116, -v6
	v_add_f32_e32 v5, v5, v6
	v_mul_f32_e32 v6, v45, v119
	v_fma_f32 v6, v44, v118, -v6
	v_add_f32_e32 v5, v5, v6
	v_mul_f32_e32 v6, v47, v121
	v_fma_f32 v6, v46, v120, -v6
	v_add_f32_e32 v5, v5, v6
	v_mul_f32_e32 v6, v49, v123
	v_fma_f32 v6, v48, v122, -v6
	v_add_f32_e32 v5, v5, v6
	v_mul_f32_e32 v6, v51, v125
	v_fma_f32 v6, v50, v124, -v6
	v_add_f32_e32 v5, v5, v6
	v_mul_f32_e32 v6, v53, v127
	v_fma_f32 v6, v52, v126, -v6
	v_add_f32_e32 v5, v5, v6
	s_waitcnt vmcnt(22) lgkmcnt(1)
	v_mul_f32_e32 v6, v55, v129
	v_fma_f32 v6, v54, v128, -v6
	v_add_f32_e32 v5, v5, v6
	s_waitcnt vmcnt(20)
	v_mul_f32_e32 v6, v57, v131
	v_fma_f32 v6, v56, v130, -v6
	v_add_f32_e32 v62, v5, v6
	ds_read_b128 v[6:9], v4 offset:800
	ds_read_b128 v[10:13], v4 offset:816
	;; [unrolled: 1-line block ×4, first 2 shown]
	s_waitcnt vmcnt(11)
	v_mov_b32_e32 v22, v71
	v_mul_f32_e32 v65, v54, v129
	s_waitcnt lgkmcnt(3)
	v_pk_mul_f32 v[22:23], v[6:7], v[22:23] op_sel_hi:[1,0]
	v_fmac_f32_e32 v65, v55, v128
	s_waitcnt vmcnt(10)
	v_pk_fma_f32 v[24:25], v[6:7], v[70:71], v[22:23] op_sel:[0,0,1] op_sel_hi:[1,1,0] neg_lo:[0,0,1] neg_hi:[0,0,1]
	v_pk_fma_f32 v[6:7], v[6:7], v[70:71], v[22:23] op_sel:[0,0,1] op_sel_hi:[1,0,0]
	v_add_f32_e32 v63, v63, v65
	v_mul_f32_e32 v65, v56, v131
	v_mov_b32_e32 v6, v69
	v_fmac_f32_e32 v65, v57, v130
	v_mov_b32_e32 v25, v7
	v_pk_mul_f32 v[6:7], v[8:9], v[6:7] op_sel_hi:[1,0]
	v_add_f32_e32 v63, v63, v65
	v_mul_f32_e32 v65, v58, v133
	v_mul_f32_e32 v5, v59, v133
	v_pk_fma_f32 v[22:23], v[8:9], v[68:69], v[6:7] op_sel:[0,0,1] op_sel_hi:[1,1,0] neg_lo:[0,0,1] neg_hi:[0,0,1]
	v_pk_fma_f32 v[6:7], v[8:9], v[68:69], v[6:7] op_sel:[0,0,1] op_sel_hi:[1,0,0]
	v_fmac_f32_e32 v65, v59, v132
	v_mul_f32_e32 v73, v60, v135
	v_fma_f32 v64, v58, v132, -v5
	v_mul_f32_e32 v5, v61, v135
	v_mov_b32_e32 v6, v67
	v_fmac_f32_e32 v73, v61, v134
	v_fma_f32 v72, v60, v134, -v5
	v_pk_add_f32 v[4:5], v[62:63], v[64:65]
	v_mov_b32_e32 v23, v7
	s_waitcnt lgkmcnt(2)
	v_pk_mul_f32 v[6:7], v[10:11], v[6:7] op_sel_hi:[1,0]
	v_pk_add_f32 v[4:5], v[4:5], v[72:73]
	v_pk_fma_f32 v[8:9], v[10:11], v[66:67], v[6:7] op_sel:[0,0,1] op_sel_hi:[1,1,0] neg_lo:[0,0,1] neg_hi:[0,0,1]
	v_pk_fma_f32 v[6:7], v[10:11], v[66:67], v[6:7] op_sel:[0,0,1] op_sel_hi:[1,0,0]
	v_pk_add_f32 v[4:5], v[4:5], v[24:25]
	s_waitcnt vmcnt(3)
	v_mov_b32_e32 v6, v81
	v_pk_add_f32 v[4:5], v[4:5], v[22:23]
	v_mov_b32_e32 v9, v7
	v_pk_mul_f32 v[6:7], v[12:13], v[6:7] op_sel_hi:[1,0]
	v_pk_add_f32 v[4:5], v[4:5], v[8:9]
	s_waitcnt vmcnt(2)
	v_pk_fma_f32 v[8:9], v[12:13], v[80:81], v[6:7] op_sel:[0,0,1] op_sel_hi:[1,1,0] neg_lo:[0,0,1] neg_hi:[0,0,1]
	v_pk_fma_f32 v[6:7], v[12:13], v[80:81], v[6:7] op_sel:[0,0,1] op_sel_hi:[1,0,0]
	v_mov_b32_e32 v6, v79
	v_mov_b32_e32 v9, v7
	s_waitcnt lgkmcnt(1)
	v_pk_mul_f32 v[6:7], v[14:15], v[6:7] op_sel_hi:[1,0]
	v_pk_add_f32 v[4:5], v[4:5], v[8:9]
	v_pk_fma_f32 v[8:9], v[14:15], v[78:79], v[6:7] op_sel:[0,0,1] op_sel_hi:[1,1,0] neg_lo:[0,0,1] neg_hi:[0,0,1]
	v_pk_fma_f32 v[6:7], v[14:15], v[78:79], v[6:7] op_sel:[0,0,1] op_sel_hi:[1,0,0]
	v_mov_b32_e32 v6, v77
	v_mov_b32_e32 v9, v7
	v_pk_mul_f32 v[6:7], v[16:17], v[6:7] op_sel_hi:[1,0]
	v_pk_add_f32 v[4:5], v[4:5], v[8:9]
	v_pk_fma_f32 v[8:9], v[16:17], v[76:77], v[6:7] op_sel:[0,0,1] op_sel_hi:[1,1,0] neg_lo:[0,0,1] neg_hi:[0,0,1]
	v_pk_fma_f32 v[6:7], v[16:17], v[76:77], v[6:7] op_sel:[0,0,1] op_sel_hi:[1,0,0]
	v_mov_b32_e32 v6, v75
	v_mov_b32_e32 v9, v7
	s_waitcnt lgkmcnt(0)
	v_pk_mul_f32 v[6:7], v[18:19], v[6:7] op_sel_hi:[1,0]
	v_pk_add_f32 v[4:5], v[4:5], v[8:9]
	v_pk_fma_f32 v[8:9], v[18:19], v[74:75], v[6:7] op_sel:[0,0,1] op_sel_hi:[1,1,0] neg_lo:[0,0,1] neg_hi:[0,0,1]
	v_pk_fma_f32 v[6:7], v[18:19], v[74:75], v[6:7] op_sel:[0,0,1] op_sel_hi:[1,0,0]
	s_waitcnt vmcnt(1)
	v_mov_b32_e32 v6, v83
	v_mov_b32_e32 v9, v7
	v_pk_mul_f32 v[6:7], v[20:21], v[6:7] op_sel_hi:[1,0]
	v_pk_add_f32 v[4:5], v[4:5], v[8:9]
	s_waitcnt vmcnt(0)
	v_pk_fma_f32 v[8:9], v[20:21], v[82:83], v[6:7] op_sel:[0,0,1] op_sel_hi:[1,1,0] neg_lo:[0,0,1] neg_hi:[0,0,1]
	v_pk_fma_f32 v[6:7], v[20:21], v[82:83], v[6:7] op_sel:[0,0,1] op_sel_hi:[1,0,0]
	v_mov_b32_e32 v9, v7
	v_pk_add_f32 v[4:5], v[4:5], v[8:9]
	v_pk_add_f32 v[2:3], v[2:3], v[4:5] neg_lo:[0,1] neg_hi:[0,1]
	buffer_store_dword v3, off, s[0:3], 0 offset:140
	buffer_store_dword v2, off, s[0:3], 0 offset:136
	s_and_saveexec_b64 s[4:5], vcc
	s_cbranch_execz .LBB117_305
; %bb.304:
	buffer_load_dword v2, off, s[0:3], 0 offset:128
	buffer_load_dword v3, off, s[0:3], 0 offset:132
	v_mov_b32_e32 v4, 0
	buffer_store_dword v4, off, s[0:3], 0 offset:128
	buffer_store_dword v4, off, s[0:3], 0 offset:132
	s_waitcnt vmcnt(2)
	ds_write_b64 v143, v[2:3]
.LBB117_305:
	s_or_b64 exec, exec, s[4:5]
	s_waitcnt lgkmcnt(0)
	; wave barrier
	s_waitcnt lgkmcnt(0)
	buffer_load_dword v17, off, s[0:3], 0 offset:140
	buffer_load_dword v70, off, s[0:3], 0 offset:148
	;; [unrolled: 1-line block ×56, first 2 shown]
	v_mov_b32_e32 v16, 0
	ds_read2_b64 v[2:5], v16 offset0:71 offset1:72
	buffer_load_dword v206, off, s[0:3], 0 offset:352
	buffer_load_dword v207, off, s[0:3], 0 offset:356
	;; [unrolled: 1-line block ×4, first 2 shown]
	ds_read2_b64 v[8:11], v16 offset0:73 offset1:74
	ds_read2_b64 v[12:15], v16 offset0:75 offset1:76
	;; [unrolled: 1-line block ×3, first 2 shown]
	v_cmp_lt_u32_e32 vcc, 15, v0
	s_waitcnt vmcnt(59) lgkmcnt(3)
	v_mul_f32_e32 v22, v2, v17
	s_waitcnt vmcnt(58)
	v_mul_f32_e32 v23, v4, v70
	s_waitcnt vmcnt(57) lgkmcnt(2)
	v_mul_f32_e32 v24, v8, v76
	s_waitcnt vmcnt(56)
	v_mul_f32_e32 v25, v10, v78
	;; [unrolled: 4-line block ×3, first 2 shown]
	s_waitcnt vmcnt(53) lgkmcnt(0)
	v_mul_f32_e32 v28, v18, v94
	s_waitcnt vmcnt(52)
	v_fmac_f32_e32 v22, v3, v95
	s_waitcnt vmcnt(51)
	v_fmac_f32_e32 v23, v5, v96
	v_add_f32_e32 v22, 0, v22
	s_waitcnt vmcnt(50)
	v_fmac_f32_e32 v24, v9, v97
	v_add_f32_e32 v22, v22, v23
	;; [unrolled: 3-line block ×6, first 2 shown]
	v_add_f32_e32 v26, v22, v28
	ds_read2_b64 v[22:25], v16 offset0:79 offset1:80
	s_waitcnt vmcnt(45)
	v_mul_f32_e32 v27, v20, v102
	s_waitcnt vmcnt(44)
	v_fmac_f32_e32 v27, v21, v103
	v_add_f32_e32 v30, v26, v27
	ds_read2_b64 v[26:29], v16 offset0:81 offset1:82
	s_waitcnt vmcnt(43) lgkmcnt(1)
	v_mul_f32_e32 v31, v22, v104
	s_waitcnt vmcnt(42)
	v_fmac_f32_e32 v31, v23, v105
	v_add_f32_e32 v30, v30, v31
	s_waitcnt vmcnt(41)
	v_mul_f32_e32 v31, v24, v106
	s_waitcnt vmcnt(40)
	v_fmac_f32_e32 v31, v25, v107
	v_add_f32_e32 v30, v30, v31
	s_waitcnt vmcnt(39) lgkmcnt(0)
	v_mul_f32_e32 v31, v26, v108
	s_waitcnt vmcnt(38)
	v_fmac_f32_e32 v31, v27, v109
	v_add_f32_e32 v34, v30, v31
	ds_read2_b64 v[30:33], v16 offset0:83 offset1:84
	s_waitcnt vmcnt(37)
	v_mul_f32_e32 v35, v28, v110
	s_waitcnt vmcnt(36)
	v_fmac_f32_e32 v35, v29, v111
	v_add_f32_e32 v38, v34, v35
	ds_read2_b64 v[34:37], v16 offset0:85 offset1:86
	s_waitcnt vmcnt(34) lgkmcnt(1)
	v_mul_f32_e32 v39, v30, v113
	v_fmac_f32_e32 v39, v31, v112
	v_add_f32_e32 v38, v38, v39
	s_waitcnt vmcnt(31)
	v_mul_f32_e32 v39, v32, v114
	s_waitcnt vmcnt(30)
	v_fmac_f32_e32 v39, v33, v115
	v_add_f32_e32 v38, v38, v39
	s_waitcnt vmcnt(28) lgkmcnt(0)
	v_mul_f32_e32 v39, v34, v117
	v_fmac_f32_e32 v39, v35, v116
	v_add_f32_e32 v42, v38, v39
	ds_read2_b64 v[38:41], v16 offset0:87 offset1:88
	s_waitcnt vmcnt(26)
	v_mul_f32_e32 v43, v36, v119
	v_fmac_f32_e32 v43, v37, v118
	v_add_f32_e32 v46, v42, v43
	ds_read2_b64 v[42:45], v16 offset0:89 offset1:90
	s_waitcnt vmcnt(24) lgkmcnt(1)
	v_mul_f32_e32 v47, v38, v121
	v_fmac_f32_e32 v47, v39, v120
	v_add_f32_e32 v46, v46, v47
	s_waitcnt vmcnt(22)
	v_mul_f32_e32 v47, v40, v123
	v_fmac_f32_e32 v47, v41, v122
	v_add_f32_e32 v46, v46, v47
	s_waitcnt vmcnt(20) lgkmcnt(0)
	v_mul_f32_e32 v47, v42, v125
	v_fmac_f32_e32 v47, v43, v124
	v_add_f32_e32 v50, v46, v47
	ds_read2_b64 v[46:49], v16 offset0:91 offset1:92
	s_waitcnt vmcnt(18)
	v_mul_f32_e32 v51, v44, v127
	v_fmac_f32_e32 v51, v45, v126
	v_add_f32_e32 v54, v50, v51
	ds_read2_b64 v[50:53], v16 offset0:93 offset1:94
	s_waitcnt vmcnt(16) lgkmcnt(1)
	v_mul_f32_e32 v55, v46, v129
	v_fmac_f32_e32 v55, v47, v128
	v_add_f32_e32 v54, v54, v55
	s_waitcnt vmcnt(14)
	v_mul_f32_e32 v55, v48, v131
	v_fmac_f32_e32 v55, v49, v130
	v_add_f32_e32 v54, v54, v55
	s_waitcnt vmcnt(12) lgkmcnt(0)
	v_mul_f32_e32 v55, v50, v133
	v_fmac_f32_e32 v55, v51, v132
	v_add_f32_e32 v58, v54, v55
	ds_read2_b64 v[54:57], v16 offset0:95 offset1:96
	s_waitcnt vmcnt(10)
	v_mul_f32_e32 v59, v52, v135
	v_fmac_f32_e32 v59, v53, v134
	v_add_f32_e32 v62, v58, v59
	ds_read2_b64 v[58:61], v16 offset0:97 offset1:98
	s_waitcnt vmcnt(8) lgkmcnt(1)
	v_mul_f32_e32 v63, v54, v201
	v_fmac_f32_e32 v63, v55, v200
	v_add_f32_e32 v62, v62, v63
	s_waitcnt vmcnt(6)
	v_mul_f32_e32 v63, v56, v203
	v_fmac_f32_e32 v63, v57, v202
	v_add_f32_e32 v62, v62, v63
	s_waitcnt vmcnt(4) lgkmcnt(0)
	v_mul_f32_e32 v63, v58, v205
	v_fmac_f32_e32 v63, v59, v204
	v_add_f32_e32 v71, v62, v63
	ds_read2_b64 v[62:65], v16 offset0:99 offset1:100
	buffer_load_dword v73, off, s[0:3], 0 offset:380
	buffer_load_dword v72, off, s[0:3], 0 offset:376
	;; [unrolled: 1-line block ×4, first 2 shown]
	ds_read2_b64 v[66:69], v16 offset0:101 offset1:102
	buffer_load_dword v81, off, s[0:3], 0 offset:412
	buffer_load_dword v80, off, s[0:3], 0 offset:408
	;; [unrolled: 1-line block ×12, first 2 shown]
	v_mul_f32_e32 v3, v3, v17
	v_fma_f32 v2, v2, v95, -v3
	v_mul_f32_e32 v3, v5, v70
	v_add_f32_e32 v2, 0, v2
	v_fma_f32 v3, v4, v96, -v3
	v_add_f32_e32 v2, v2, v3
	v_mul_f32_e32 v3, v9, v76
	v_fma_f32 v3, v8, v97, -v3
	v_add_f32_e32 v2, v2, v3
	v_mul_f32_e32 v3, v11, v78
	;; [unrolled: 3-line block ×25, first 2 shown]
	v_fma_f32 v3, v58, v204, -v3
	s_waitcnt vmcnt(13)
	v_mov_b32_e32 v18, v75
	v_mul_f32_e32 v77, v60, v207
	v_add_f32_e32 v70, v2, v3
	v_mul_f32_e32 v2, v61, v207
	s_waitcnt lgkmcnt(1)
	v_pk_mul_f32 v[18:19], v[64:65], v[18:19] op_sel_hi:[1,0]
	v_fmac_f32_e32 v77, v61, v206
	v_mul_f32_e32 v79, v62, v209
	v_fma_f32 v76, v60, v206, -v2
	v_mul_f32_e32 v2, v63, v209
	s_waitcnt vmcnt(12)
	v_pk_fma_f32 v[20:21], v[64:65], v[74:75], v[18:19] op_sel:[0,0,1] op_sel_hi:[1,1,0] neg_lo:[0,0,1] neg_hi:[0,0,1]
	v_pk_fma_f32 v[18:19], v[64:65], v[74:75], v[18:19] op_sel:[0,0,1] op_sel_hi:[1,0,0]
	v_fmac_f32_e32 v79, v63, v208
	v_fma_f32 v78, v62, v208, -v2
	v_pk_add_f32 v[14:15], v[70:71], v[76:77]
	v_mov_b32_e32 v18, v73
	v_pk_add_f32 v[14:15], v[14:15], v[78:79]
	v_mov_b32_e32 v21, v19
	s_waitcnt lgkmcnt(0)
	v_pk_mul_f32 v[18:19], v[66:67], v[18:19] op_sel_hi:[1,0]
	v_pk_add_f32 v[14:15], v[14:15], v[20:21]
	v_pk_fma_f32 v[20:21], v[66:67], v[72:73], v[18:19] op_sel:[0,0,1] op_sel_hi:[1,1,0] neg_lo:[0,0,1] neg_hi:[0,0,1]
	v_pk_fma_f32 v[18:19], v[66:67], v[72:73], v[18:19] op_sel:[0,0,1] op_sel_hi:[1,0,0]
	s_waitcnt vmcnt(5)
	v_mov_b32_e32 v18, v87
	ds_read2_b64 v[2:5], v16 offset0:103 offset1:104
	ds_read2_b64 v[8:11], v16 offset0:105 offset1:106
	ds_read_b64 v[12:13], v16 offset:856
	v_mov_b32_e32 v21, v19
	v_pk_mul_f32 v[18:19], v[68:69], v[18:19] op_sel_hi:[1,0]
	v_pk_add_f32 v[14:15], v[14:15], v[20:21]
	s_waitcnt vmcnt(4)
	v_pk_fma_f32 v[20:21], v[68:69], v[86:87], v[18:19] op_sel:[0,0,1] op_sel_hi:[1,1,0] neg_lo:[0,0,1] neg_hi:[0,0,1]
	v_pk_fma_f32 v[18:19], v[68:69], v[86:87], v[18:19] op_sel:[0,0,1] op_sel_hi:[1,0,0]
	v_mov_b32_e32 v18, v85
	v_mov_b32_e32 v21, v19
	s_waitcnt lgkmcnt(2)
	v_pk_mul_f32 v[18:19], v[2:3], v[18:19] op_sel_hi:[1,0]
	v_pk_add_f32 v[14:15], v[14:15], v[20:21]
	v_pk_fma_f32 v[20:21], v[2:3], v[84:85], v[18:19] op_sel:[0,0,1] op_sel_hi:[1,1,0] neg_lo:[0,0,1] neg_hi:[0,0,1]
	v_pk_fma_f32 v[2:3], v[2:3], v[84:85], v[18:19] op_sel:[0,0,1] op_sel_hi:[1,0,0]
	v_mov_b32_e32 v21, v3
	v_pk_add_f32 v[2:3], v[14:15], v[20:21]
	v_mov_b32_e32 v14, v83
	v_pk_mul_f32 v[14:15], v[4:5], v[14:15] op_sel_hi:[1,0]
	v_pk_fma_f32 v[18:19], v[4:5], v[82:83], v[14:15] op_sel:[0,0,1] op_sel_hi:[1,1,0] neg_lo:[0,0,1] neg_hi:[0,0,1]
	v_pk_fma_f32 v[4:5], v[4:5], v[82:83], v[14:15] op_sel:[0,0,1] op_sel_hi:[1,0,0]
	v_mov_b32_e32 v4, v81
	v_mov_b32_e32 v19, v5
	s_waitcnt lgkmcnt(1)
	v_pk_mul_f32 v[4:5], v[8:9], v[4:5] op_sel_hi:[1,0]
	v_pk_fma_f32 v[14:15], v[8:9], v[80:81], v[4:5] op_sel:[0,0,1] op_sel_hi:[1,1,0] neg_lo:[0,0,1] neg_hi:[0,0,1]
	v_pk_fma_f32 v[4:5], v[8:9], v[80:81], v[4:5] op_sel:[0,0,1] op_sel_hi:[1,0,0]
	s_waitcnt vmcnt(1)
	v_mov_b32_e32 v4, v91
	v_mov_b32_e32 v15, v5
	v_pk_mul_f32 v[4:5], v[10:11], v[4:5] op_sel_hi:[1,0]
	s_waitcnt vmcnt(0)
	v_pk_fma_f32 v[8:9], v[10:11], v[90:91], v[4:5] op_sel:[0,0,1] op_sel_hi:[1,1,0] neg_lo:[0,0,1] neg_hi:[0,0,1]
	v_pk_fma_f32 v[4:5], v[10:11], v[90:91], v[4:5] op_sel:[0,0,1] op_sel_hi:[1,0,0]
	v_pk_add_f32 v[2:3], v[2:3], v[18:19]
	v_mov_b32_e32 v4, v89
	v_pk_add_f32 v[2:3], v[2:3], v[14:15]
	v_mov_b32_e32 v9, v5
	s_waitcnt lgkmcnt(0)
	v_pk_mul_f32 v[4:5], v[12:13], v[4:5] op_sel_hi:[1,0]
	v_pk_add_f32 v[2:3], v[2:3], v[8:9]
	v_pk_fma_f32 v[8:9], v[12:13], v[88:89], v[4:5] op_sel:[0,0,1] op_sel_hi:[1,1,0] neg_lo:[0,0,1] neg_hi:[0,0,1]
	v_pk_fma_f32 v[4:5], v[12:13], v[88:89], v[4:5] op_sel:[0,0,1] op_sel_hi:[1,0,0]
	v_mov_b32_e32 v9, v5
	v_pk_add_f32 v[2:3], v[2:3], v[8:9]
	v_pk_add_f32 v[2:3], v[6:7], v[2:3] neg_lo:[0,1] neg_hi:[0,1]
	buffer_store_dword v3, off, s[0:3], 0 offset:132
	buffer_store_dword v2, off, s[0:3], 0 offset:128
	s_and_saveexec_b64 s[4:5], vcc
	s_cbranch_execz .LBB117_307
; %bb.306:
	buffer_load_dword v2, off, s[0:3], 0 offset:120
	buffer_load_dword v3, off, s[0:3], 0 offset:124
	s_waitcnt vmcnt(0)
	ds_write_b64 v143, v[2:3]
	buffer_store_dword v16, off, s[0:3], 0 offset:120
	buffer_store_dword v16, off, s[0:3], 0 offset:124
.LBB117_307:
	s_or_b64 exec, exec, s[4:5]
	s_waitcnt lgkmcnt(0)
	; wave barrier
	s_waitcnt lgkmcnt(0)
	buffer_load_dword v17, off, s[0:3], 0 offset:132
	buffer_load_dword v72, off, s[0:3], 0 offset:140
	;; [unrolled: 1-line block ×32, first 2 shown]
	ds_read_b128 v[18:21], v16 offset:560
	ds_read_b128 v[6:9], v16 offset:576
	buffer_load_dword v118, off, s[0:3], 0 offset:248
	buffer_load_dword v119, off, s[0:3], 0 offset:252
	ds_read_b128 v[10:13], v16 offset:592
	ds_read_b128 v[2:5], v16 offset:608
	buffer_load_dword v120, off, s[0:3], 0 offset:256
	buffer_load_dword v121, off, s[0:3], 0 offset:260
	;; [unrolled: 1-line block ×28, first 2 shown]
	v_cmp_lt_u32_e32 vcc, 14, v0
	s_waitcnt vmcnt(61) lgkmcnt(3)
	v_mul_f32_e32 v22, v18, v17
	s_waitcnt vmcnt(60)
	v_mul_f32_e32 v23, v20, v72
	s_waitcnt vmcnt(59) lgkmcnt(2)
	v_mul_f32_e32 v25, v8, v74
	s_waitcnt vmcnt(58) lgkmcnt(1)
	v_mul_f32_e32 v26, v10, v76
	s_waitcnt vmcnt(57)
	v_mul_f32_e32 v27, v12, v92
	s_waitcnt vmcnt(56)
	;; [unrolled: 2-line block ×3, first 2 shown]
	v_fmac_f32_e32 v24, v7, v94
	s_waitcnt vmcnt(54)
	v_fmac_f32_e32 v23, v21, v95
	s_waitcnt vmcnt(53)
	v_fmac_f32_e32 v22, v19, v96
	v_add_f32_e32 v22, 0, v22
	v_add_f32_e32 v22, v22, v23
	;; [unrolled: 1-line block ×3, first 2 shown]
	s_waitcnt vmcnt(49)
	v_fmac_f32_e32 v26, v11, v100
	s_waitcnt vmcnt(48)
	v_fmac_f32_e32 v25, v9, v101
	v_add_f32_e32 v22, v22, v25
	s_waitcnt lgkmcnt(0)
	v_mul_f32_e32 v28, v2, v97
	v_fmac_f32_e32 v27, v13, v99
	v_add_f32_e32 v22, v22, v26
	v_fmac_f32_e32 v28, v3, v98
	v_add_f32_e32 v22, v22, v27
	v_add_f32_e32 v26, v22, v28
	ds_read_b128 v[22:25], v16 offset:624
	s_waitcnt vmcnt(44)
	v_mul_f32_e32 v27, v4, v105
	s_waitcnt vmcnt(43)
	v_fmac_f32_e32 v27, v5, v106
	v_add_f32_e32 v30, v26, v27
	ds_read_b128 v[26:29], v16 offset:640
	s_waitcnt vmcnt(42) lgkmcnt(1)
	v_mul_f32_e32 v31, v22, v107
	v_fmac_f32_e32 v31, v23, v104
	v_add_f32_e32 v30, v30, v31
	s_waitcnt vmcnt(41)
	v_mul_f32_e32 v31, v24, v108
	v_fmac_f32_e32 v31, v25, v103
	v_add_f32_e32 v30, v30, v31
	s_waitcnt vmcnt(40) lgkmcnt(0)
	v_mul_f32_e32 v31, v26, v109
	v_fmac_f32_e32 v31, v27, v102
	v_add_f32_e32 v34, v30, v31
	ds_read_b128 v[30:33], v16 offset:656
	s_waitcnt vmcnt(34)
	v_mul_f32_e32 v35, v28, v115
	s_waitcnt vmcnt(33)
	v_fmac_f32_e32 v35, v29, v116
	v_add_f32_e32 v38, v34, v35
	ds_read_b128 v[34:37], v16 offset:672
	s_waitcnt vmcnt(32) lgkmcnt(1)
	v_mul_f32_e32 v39, v30, v117
	v_fmac_f32_e32 v39, v31, v114
	v_add_f32_e32 v38, v38, v39
	v_mul_f32_e32 v39, v32, v111
	v_fmac_f32_e32 v39, v33, v110
	v_add_f32_e32 v38, v38, v39
	s_waitcnt lgkmcnt(0)
	v_mul_f32_e32 v39, v34, v113
	v_fmac_f32_e32 v39, v35, v112
	v_add_f32_e32 v42, v38, v39
	ds_read_b128 v[38:41], v16 offset:688
	s_waitcnt vmcnt(28)
	v_mul_f32_e32 v43, v36, v119
	v_fmac_f32_e32 v43, v37, v118
	v_add_f32_e32 v46, v42, v43
	ds_read_b128 v[42:45], v16 offset:704
	s_waitcnt vmcnt(26) lgkmcnt(1)
	v_mul_f32_e32 v47, v38, v121
	v_fmac_f32_e32 v47, v39, v120
	v_add_f32_e32 v46, v46, v47
	s_waitcnt vmcnt(24)
	v_mul_f32_e32 v47, v40, v123
	v_fmac_f32_e32 v47, v41, v122
	v_add_f32_e32 v46, v46, v47
	s_waitcnt vmcnt(22) lgkmcnt(0)
	v_mul_f32_e32 v47, v42, v125
	v_fmac_f32_e32 v47, v43, v124
	v_add_f32_e32 v50, v46, v47
	ds_read_b128 v[46:49], v16 offset:720
	s_waitcnt vmcnt(20)
	v_mul_f32_e32 v51, v44, v127
	v_fmac_f32_e32 v51, v45, v126
	v_add_f32_e32 v54, v50, v51
	ds_read_b128 v[50:53], v16 offset:736
	s_waitcnt vmcnt(18) lgkmcnt(1)
	v_mul_f32_e32 v55, v46, v129
	v_fmac_f32_e32 v55, v47, v128
	v_add_f32_e32 v54, v54, v55
	s_waitcnt vmcnt(16)
	v_mul_f32_e32 v55, v48, v131
	v_fmac_f32_e32 v55, v49, v130
	v_add_f32_e32 v54, v54, v55
	s_waitcnt vmcnt(14) lgkmcnt(0)
	v_mul_f32_e32 v55, v50, v133
	v_fmac_f32_e32 v55, v51, v132
	v_add_f32_e32 v58, v54, v55
	ds_read_b128 v[54:57], v16 offset:752
	s_waitcnt vmcnt(12)
	v_mul_f32_e32 v59, v52, v135
	v_fmac_f32_e32 v59, v53, v134
	v_add_f32_e32 v62, v58, v59
	ds_read_b128 v[58:61], v16 offset:768
	buffer_load_dword v71, off, s[0:3], 0 offset:372
	buffer_load_dword v70, off, s[0:3], 0 offset:368
	s_waitcnt vmcnt(12) lgkmcnt(1)
	v_mul_f32_e32 v63, v54, v201
	v_fmac_f32_e32 v63, v55, v200
	v_add_f32_e32 v62, v62, v63
	s_waitcnt vmcnt(10)
	v_mul_f32_e32 v63, v56, v203
	v_fmac_f32_e32 v63, v57, v202
	v_add_f32_e32 v62, v62, v63
	s_waitcnt vmcnt(8) lgkmcnt(0)
	v_mul_f32_e32 v63, v58, v205
	v_fmac_f32_e32 v63, v59, v204
	s_waitcnt vmcnt(6)
	v_mul_f32_e32 v67, v60, v207
	v_add_f32_e32 v66, v62, v63
	v_fmac_f32_e32 v67, v61, v206
	ds_read_b128 v[62:65], v16 offset:784
	v_add_f32_e32 v73, v66, v67
	ds_read_b128 v[66:69], v16 offset:800
	buffer_load_dword v79, off, s[0:3], 0 offset:404
	buffer_load_dword v78, off, s[0:3], 0 offset:400
	buffer_load_dword v81, off, s[0:3], 0 offset:396
	buffer_load_dword v80, off, s[0:3], 0 offset:392
	buffer_load_dword v83, off, s[0:3], 0 offset:388
	buffer_load_dword v82, off, s[0:3], 0 offset:384
	buffer_load_dword v85, off, s[0:3], 0 offset:380
	buffer_load_dword v84, off, s[0:3], 0 offset:376
	buffer_load_dword v87, off, s[0:3], 0 offset:428
	buffer_load_dword v86, off, s[0:3], 0 offset:424
	buffer_load_dword v89, off, s[0:3], 0 offset:420
	buffer_load_dword v88, off, s[0:3], 0 offset:416
	buffer_load_dword v91, off, s[0:3], 0 offset:412
	buffer_load_dword v90, off, s[0:3], 0 offset:408
	v_mul_f32_e32 v17, v19, v17
	v_fma_f32 v17, v18, v96, -v17
	v_mul_f32_e32 v18, v21, v72
	v_add_f32_e32 v17, 0, v17
	v_fma_f32 v18, v20, v95, -v18
	v_mul_f32_e32 v7, v7, v93
	v_add_f32_e32 v17, v17, v18
	;; [unrolled: 3-line block ×3, first 2 shown]
	v_fma_f32 v7, v8, v101, -v7
	v_add_f32_e32 v6, v6, v7
	v_mul_f32_e32 v7, v11, v76
	v_fma_f32 v7, v10, v100, -v7
	v_add_f32_e32 v6, v6, v7
	v_mul_f32_e32 v7, v13, v92
	v_fma_f32 v7, v12, v99, -v7
	v_mul_f32_e32 v3, v3, v97
	v_add_f32_e32 v6, v6, v7
	v_fma_f32 v2, v2, v98, -v3
	v_mul_f32_e32 v3, v5, v105
	v_add_f32_e32 v2, v6, v2
	v_fma_f32 v3, v4, v106, -v3
	v_add_f32_e32 v2, v2, v3
	v_mul_f32_e32 v3, v23, v107
	v_fma_f32 v3, v22, v104, -v3
	v_add_f32_e32 v2, v2, v3
	v_mul_f32_e32 v3, v25, v108
	;; [unrolled: 3-line block ×20, first 2 shown]
	v_fma_f32 v3, v60, v206, -v3
	s_waitcnt vmcnt(15)
	v_mov_b32_e32 v18, v71
	s_waitcnt lgkmcnt(1)
	v_mul_f32_e32 v75, v62, v209
	v_add_f32_e32 v72, v2, v3
	v_mul_f32_e32 v2, v63, v209
	s_waitcnt lgkmcnt(0)
	v_pk_mul_f32 v[18:19], v[66:67], v[18:19] op_sel_hi:[1,0]
	v_fmac_f32_e32 v75, v63, v208
	v_mul_f32_e32 v77, v64, v211
	v_fma_f32 v74, v62, v208, -v2
	v_mul_f32_e32 v2, v65, v211
	s_waitcnt vmcnt(14)
	v_pk_fma_f32 v[20:21], v[66:67], v[70:71], v[18:19] op_sel:[0,0,1] op_sel_hi:[1,1,0] neg_lo:[0,0,1] neg_hi:[0,0,1]
	v_pk_fma_f32 v[18:19], v[66:67], v[70:71], v[18:19] op_sel:[0,0,1] op_sel_hi:[1,0,0]
	v_fmac_f32_e32 v77, v65, v210
	v_fma_f32 v76, v64, v210, -v2
	ds_read_b128 v[2:5], v16 offset:816
	ds_read_b128 v[6:9], v16 offset:832
	ds_read_b128 v[10:13], v16 offset:848
	v_pk_add_f32 v[16:17], v[72:73], v[74:75]
	s_waitcnt vmcnt(7)
	v_mov_b32_e32 v18, v85
	v_pk_add_f32 v[16:17], v[16:17], v[76:77]
	v_mov_b32_e32 v21, v19
	v_pk_mul_f32 v[18:19], v[68:69], v[18:19] op_sel_hi:[1,0]
	v_pk_add_f32 v[16:17], v[16:17], v[20:21]
	s_waitcnt vmcnt(6)
	v_pk_fma_f32 v[20:21], v[68:69], v[84:85], v[18:19] op_sel:[0,0,1] op_sel_hi:[1,1,0] neg_lo:[0,0,1] neg_hi:[0,0,1]
	v_pk_fma_f32 v[18:19], v[68:69], v[84:85], v[18:19] op_sel:[0,0,1] op_sel_hi:[1,0,0]
	v_mov_b32_e32 v18, v83
	v_mov_b32_e32 v21, v19
	s_waitcnt lgkmcnt(2)
	v_pk_mul_f32 v[18:19], v[2:3], v[18:19] op_sel_hi:[1,0]
	v_pk_add_f32 v[16:17], v[16:17], v[20:21]
	v_pk_fma_f32 v[20:21], v[2:3], v[82:83], v[18:19] op_sel:[0,0,1] op_sel_hi:[1,1,0] neg_lo:[0,0,1] neg_hi:[0,0,1]
	v_pk_fma_f32 v[2:3], v[2:3], v[82:83], v[18:19] op_sel:[0,0,1] op_sel_hi:[1,0,0]
	v_mov_b32_e32 v21, v3
	v_pk_add_f32 v[2:3], v[16:17], v[20:21]
	v_mov_b32_e32 v16, v81
	v_pk_mul_f32 v[16:17], v[4:5], v[16:17] op_sel_hi:[1,0]
	v_pk_fma_f32 v[18:19], v[4:5], v[80:81], v[16:17] op_sel:[0,0,1] op_sel_hi:[1,1,0] neg_lo:[0,0,1] neg_hi:[0,0,1]
	v_pk_fma_f32 v[4:5], v[4:5], v[80:81], v[16:17] op_sel:[0,0,1] op_sel_hi:[1,0,0]
	v_mov_b32_e32 v4, v79
	v_mov_b32_e32 v19, v5
	s_waitcnt lgkmcnt(1)
	v_pk_mul_f32 v[4:5], v[6:7], v[4:5] op_sel_hi:[1,0]
	v_pk_fma_f32 v[16:17], v[6:7], v[78:79], v[4:5] op_sel:[0,0,1] op_sel_hi:[1,1,0] neg_lo:[0,0,1] neg_hi:[0,0,1]
	v_pk_fma_f32 v[4:5], v[6:7], v[78:79], v[4:5] op_sel:[0,0,1] op_sel_hi:[1,0,0]
	s_waitcnt vmcnt(1)
	v_mov_b32_e32 v4, v91
	v_mov_b32_e32 v17, v5
	v_pk_mul_f32 v[4:5], v[8:9], v[4:5] op_sel_hi:[1,0]
	s_waitcnt vmcnt(0)
	v_pk_fma_f32 v[6:7], v[8:9], v[90:91], v[4:5] op_sel:[0,0,1] op_sel_hi:[1,1,0] neg_lo:[0,0,1] neg_hi:[0,0,1]
	v_pk_fma_f32 v[4:5], v[8:9], v[90:91], v[4:5] op_sel:[0,0,1] op_sel_hi:[1,0,0]
	v_pk_add_f32 v[2:3], v[2:3], v[18:19]
	v_mov_b32_e32 v4, v89
	v_pk_add_f32 v[2:3], v[2:3], v[16:17]
	v_mov_b32_e32 v7, v5
	s_waitcnt lgkmcnt(0)
	v_pk_mul_f32 v[4:5], v[10:11], v[4:5] op_sel_hi:[1,0]
	v_pk_add_f32 v[2:3], v[2:3], v[6:7]
	v_pk_fma_f32 v[6:7], v[10:11], v[88:89], v[4:5] op_sel:[0,0,1] op_sel_hi:[1,1,0] neg_lo:[0,0,1] neg_hi:[0,0,1]
	v_pk_fma_f32 v[4:5], v[10:11], v[88:89], v[4:5] op_sel:[0,0,1] op_sel_hi:[1,0,0]
	v_mov_b32_e32 v4, v87
	v_mov_b32_e32 v7, v5
	v_pk_mul_f32 v[4:5], v[12:13], v[4:5] op_sel_hi:[1,0]
	v_pk_add_f32 v[2:3], v[2:3], v[6:7]
	v_pk_fma_f32 v[6:7], v[12:13], v[86:87], v[4:5] op_sel:[0,0,1] op_sel_hi:[1,1,0] neg_lo:[0,0,1] neg_hi:[0,0,1]
	v_pk_fma_f32 v[4:5], v[12:13], v[86:87], v[4:5] op_sel:[0,0,1] op_sel_hi:[1,0,0]
	v_mov_b32_e32 v7, v5
	v_pk_add_f32 v[2:3], v[2:3], v[6:7]
	v_pk_add_f32 v[2:3], v[14:15], v[2:3] neg_lo:[0,1] neg_hi:[0,1]
	buffer_store_dword v3, off, s[0:3], 0 offset:124
	buffer_store_dword v2, off, s[0:3], 0 offset:120
	s_and_saveexec_b64 s[4:5], vcc
	s_cbranch_execz .LBB117_309
; %bb.308:
	buffer_load_dword v2, off, s[0:3], 0 offset:112
	buffer_load_dword v3, off, s[0:3], 0 offset:116
	v_mov_b32_e32 v4, 0
	buffer_store_dword v4, off, s[0:3], 0 offset:112
	buffer_store_dword v4, off, s[0:3], 0 offset:116
	s_waitcnt vmcnt(2)
	ds_write_b64 v143, v[2:3]
.LBB117_309:
	s_or_b64 exec, exec, s[4:5]
	s_waitcnt lgkmcnt(0)
	; wave barrier
	s_waitcnt lgkmcnt(0)
	buffer_load_dword v21, off, s[0:3], 0 offset:124
	buffer_load_dword v70, off, s[0:3], 0 offset:132
	;; [unrolled: 1-line block ×48, first 2 shown]
	v_mov_b32_e32 v20, 0
	ds_read2_b64 v[2:5], v20 offset0:69 offset1:70
	buffer_load_dword v134, off, s[0:3], 0 offset:304
	buffer_load_dword v135, off, s[0:3], 0 offset:308
	;; [unrolled: 1-line block ×8, first 2 shown]
	ds_read2_b64 v[8:11], v20 offset0:71 offset1:72
	ds_read2_b64 v[12:15], v20 offset0:73 offset1:74
	;; [unrolled: 1-line block ×3, first 2 shown]
	buffer_load_dword v206, off, s[0:3], 0 offset:336
	buffer_load_dword v207, off, s[0:3], 0 offset:340
	buffer_load_dword v208, off, s[0:3], 0 offset:344
	buffer_load_dword v209, off, s[0:3], 0 offset:348
	buffer_load_dword v210, off, s[0:3], 0 offset:352
	buffer_load_dword v211, off, s[0:3], 0 offset:356
	buffer_load_dword v212, off, s[0:3], 0 offset:360
	buffer_load_dword v213, off, s[0:3], 0 offset:364
	v_cmp_lt_u32_e32 vcc, 13, v0
	s_waitcnt vmcnt(62) lgkmcnt(3)
	v_mul_f32_e32 v22, v2, v21
	v_mul_f32_e32 v23, v4, v70
	s_waitcnt vmcnt(61) lgkmcnt(2)
	v_mul_f32_e32 v25, v10, v72
	s_waitcnt vmcnt(60) lgkmcnt(1)
	v_mul_f32_e32 v26, v12, v74
	s_waitcnt vmcnt(59)
	v_mul_f32_e32 v27, v14, v92
	s_waitcnt vmcnt(58)
	;; [unrolled: 2-line block ×3, first 2 shown]
	v_fmac_f32_e32 v24, v9, v94
	s_waitcnt vmcnt(56)
	v_fmac_f32_e32 v23, v5, v95
	s_waitcnt vmcnt(55)
	v_fmac_f32_e32 v22, v3, v96
	v_add_f32_e32 v22, 0, v22
	v_add_f32_e32 v22, v22, v23
	;; [unrolled: 1-line block ×3, first 2 shown]
	s_waitcnt vmcnt(51)
	v_fmac_f32_e32 v26, v13, v100
	s_waitcnt vmcnt(50)
	v_fmac_f32_e32 v25, v11, v101
	v_add_f32_e32 v22, v22, v25
	s_waitcnt lgkmcnt(0)
	v_mul_f32_e32 v28, v16, v97
	v_fmac_f32_e32 v27, v15, v99
	v_add_f32_e32 v22, v22, v26
	v_fmac_f32_e32 v28, v17, v98
	v_add_f32_e32 v22, v22, v27
	v_add_f32_e32 v26, v22, v28
	ds_read2_b64 v[22:25], v20 offset0:77 offset1:78
	s_waitcnt vmcnt(45)
	v_mul_f32_e32 v27, v18, v106
	s_waitcnt vmcnt(44)
	v_fmac_f32_e32 v27, v19, v107
	v_add_f32_e32 v30, v26, v27
	ds_read2_b64 v[26:29], v20 offset0:79 offset1:80
	s_waitcnt vmcnt(43) lgkmcnt(1)
	v_mul_f32_e32 v31, v22, v108
	v_fmac_f32_e32 v31, v23, v105
	v_add_f32_e32 v30, v30, v31
	s_waitcnt vmcnt(42)
	v_mul_f32_e32 v31, v24, v109
	v_fmac_f32_e32 v31, v25, v104
	v_add_f32_e32 v30, v30, v31
	s_waitcnt lgkmcnt(0)
	v_mul_f32_e32 v31, v26, v103
	v_fmac_f32_e32 v31, v27, v102
	v_add_f32_e32 v34, v30, v31
	ds_read2_b64 v[30:33], v20 offset0:81 offset1:82
	s_waitcnt vmcnt(38)
	v_mul_f32_e32 v35, v28, v111
	v_fmac_f32_e32 v35, v29, v110
	v_add_f32_e32 v38, v34, v35
	ds_read2_b64 v[34:37], v20 offset0:83 offset1:84
	s_waitcnt vmcnt(36) lgkmcnt(1)
	v_mul_f32_e32 v39, v30, v113
	v_fmac_f32_e32 v39, v31, v112
	v_add_f32_e32 v38, v38, v39
	s_waitcnt vmcnt(34)
	v_mul_f32_e32 v39, v32, v115
	v_fmac_f32_e32 v39, v33, v114
	v_add_f32_e32 v38, v38, v39
	s_waitcnt vmcnt(32) lgkmcnt(0)
	v_mul_f32_e32 v39, v34, v117
	v_fmac_f32_e32 v39, v35, v116
	v_add_f32_e32 v42, v38, v39
	ds_read2_b64 v[38:41], v20 offset0:85 offset1:86
	s_waitcnt vmcnt(30)
	v_mul_f32_e32 v43, v36, v119
	v_fmac_f32_e32 v43, v37, v118
	v_add_f32_e32 v46, v42, v43
	ds_read2_b64 v[42:45], v20 offset0:87 offset1:88
	s_waitcnt vmcnt(28) lgkmcnt(1)
	v_mul_f32_e32 v47, v38, v121
	v_fmac_f32_e32 v47, v39, v120
	v_add_f32_e32 v46, v46, v47
	s_waitcnt vmcnt(26)
	v_mul_f32_e32 v47, v40, v123
	v_fmac_f32_e32 v47, v41, v122
	v_add_f32_e32 v46, v46, v47
	s_waitcnt vmcnt(24) lgkmcnt(0)
	v_mul_f32_e32 v47, v42, v125
	v_fmac_f32_e32 v47, v43, v124
	v_add_f32_e32 v50, v46, v47
	ds_read2_b64 v[46:49], v20 offset0:89 offset1:90
	s_waitcnt vmcnt(22)
	v_mul_f32_e32 v51, v44, v127
	v_fmac_f32_e32 v51, v45, v126
	v_add_f32_e32 v54, v50, v51
	ds_read2_b64 v[50:53], v20 offset0:91 offset1:92
	s_waitcnt vmcnt(20) lgkmcnt(1)
	v_mul_f32_e32 v55, v46, v129
	v_fmac_f32_e32 v55, v47, v128
	v_add_f32_e32 v54, v54, v55
	s_waitcnt vmcnt(18)
	v_mul_f32_e32 v55, v48, v131
	v_fmac_f32_e32 v55, v49, v130
	v_add_f32_e32 v54, v54, v55
	s_waitcnt vmcnt(16) lgkmcnt(0)
	v_mul_f32_e32 v55, v50, v133
	v_fmac_f32_e32 v55, v51, v132
	v_add_f32_e32 v58, v54, v55
	ds_read2_b64 v[54:57], v20 offset0:93 offset1:94
	s_waitcnt vmcnt(14)
	v_mul_f32_e32 v59, v52, v135
	v_fmac_f32_e32 v59, v53, v134
	v_add_f32_e32 v62, v58, v59
	ds_read2_b64 v[58:61], v20 offset0:95 offset1:96
	s_waitcnt vmcnt(12) lgkmcnt(1)
	v_mul_f32_e32 v63, v54, v201
	v_fmac_f32_e32 v63, v55, v200
	v_add_f32_e32 v62, v62, v63
	s_waitcnt vmcnt(10)
	v_mul_f32_e32 v63, v56, v203
	v_fmac_f32_e32 v63, v57, v202
	v_add_f32_e32 v62, v62, v63
	s_waitcnt vmcnt(8) lgkmcnt(0)
	v_mul_f32_e32 v63, v58, v205
	v_fmac_f32_e32 v63, v59, v204
	s_waitcnt vmcnt(6)
	v_mul_f32_e32 v67, v60, v207
	v_add_f32_e32 v66, v62, v63
	v_fmac_f32_e32 v67, v61, v206
	ds_read2_b64 v[62:65], v20 offset0:97 offset1:98
	v_add_f32_e32 v71, v66, v67
	ds_read2_b64 v[66:69], v20 offset0:99 offset1:100
	buffer_load_dword v77, off, s[0:3], 0 offset:396
	buffer_load_dword v76, off, s[0:3], 0 offset:392
	;; [unrolled: 1-line block ×16, first 2 shown]
	v_mul_f32_e32 v3, v3, v21
	v_fma_f32 v2, v2, v96, -v3
	v_mul_f32_e32 v3, v5, v70
	v_add_f32_e32 v2, 0, v2
	v_fma_f32 v3, v4, v95, -v3
	v_add_f32_e32 v2, v2, v3
	v_mul_f32_e32 v3, v9, v93
	v_fma_f32 v3, v8, v94, -v3
	v_add_f32_e32 v2, v2, v3
	v_mul_f32_e32 v3, v11, v72
	;; [unrolled: 3-line block ×26, first 2 shown]
	v_fma_f32 v3, v60, v206, -v3
	v_add_f32_e32 v2, v2, v3
	s_waitcnt vmcnt(20) lgkmcnt(1)
	v_mul_f32_e32 v3, v63, v209
	v_mul_f32_e32 v73, v62, v209
	v_fma_f32 v3, v62, v208, -v3
	v_fmac_f32_e32 v73, v63, v208
	v_add_f32_e32 v70, v2, v3
	s_waitcnt vmcnt(18)
	v_mul_f32_e32 v2, v65, v211
	s_waitcnt vmcnt(9)
	v_mov_b32_e32 v22, v83
	v_add_f32_e32 v71, v71, v73
	v_mul_f32_e32 v73, v64, v211
	v_fma_f32 v72, v64, v210, -v2
	s_waitcnt lgkmcnt(0)
	v_mul_f32_e32 v2, v67, v213
	v_pk_mul_f32 v[22:23], v[68:69], v[22:23] op_sel_hi:[1,0]
	v_fmac_f32_e32 v73, v65, v210
	v_mul_f32_e32 v75, v66, v213
	v_fma_f32 v74, v66, v212, -v2
	ds_read2_b64 v[2:5], v20 offset0:101 offset1:102
	ds_read2_b64 v[8:11], v20 offset0:103 offset1:104
	;; [unrolled: 1-line block ×3, first 2 shown]
	ds_read_b64 v[16:17], v20 offset:856
	s_waitcnt vmcnt(8)
	v_pk_fma_f32 v[24:25], v[68:69], v[82:83], v[22:23] op_sel:[0,0,1] op_sel_hi:[1,1,0] neg_lo:[0,0,1] neg_hi:[0,0,1]
	v_pk_fma_f32 v[22:23], v[68:69], v[82:83], v[22:23] op_sel:[0,0,1] op_sel_hi:[1,0,0]
	v_fmac_f32_e32 v75, v67, v212
	v_pk_add_f32 v[18:19], v[70:71], v[72:73]
	v_mov_b32_e32 v22, v81
	v_pk_add_f32 v[18:19], v[18:19], v[74:75]
	v_mov_b32_e32 v25, v23
	s_waitcnt lgkmcnt(3)
	v_pk_mul_f32 v[22:23], v[2:3], v[22:23] op_sel_hi:[1,0]
	v_pk_add_f32 v[18:19], v[18:19], v[24:25]
	v_pk_fma_f32 v[24:25], v[2:3], v[80:81], v[22:23] op_sel:[0,0,1] op_sel_hi:[1,1,0] neg_lo:[0,0,1] neg_hi:[0,0,1]
	v_pk_fma_f32 v[2:3], v[2:3], v[80:81], v[22:23] op_sel:[0,0,1] op_sel_hi:[1,0,0]
	v_mov_b32_e32 v25, v3
	v_pk_add_f32 v[2:3], v[18:19], v[24:25]
	v_mov_b32_e32 v18, v79
	v_pk_mul_f32 v[18:19], v[4:5], v[18:19] op_sel_hi:[1,0]
	v_pk_fma_f32 v[22:23], v[4:5], v[78:79], v[18:19] op_sel:[0,0,1] op_sel_hi:[1,1,0] neg_lo:[0,0,1] neg_hi:[0,0,1]
	v_pk_fma_f32 v[4:5], v[4:5], v[78:79], v[18:19] op_sel:[0,0,1] op_sel_hi:[1,0,0]
	v_mov_b32_e32 v4, v77
	v_mov_b32_e32 v23, v5
	s_waitcnt lgkmcnt(2)
	v_pk_mul_f32 v[4:5], v[8:9], v[4:5] op_sel_hi:[1,0]
	v_pk_fma_f32 v[18:19], v[8:9], v[76:77], v[4:5] op_sel:[0,0,1] op_sel_hi:[1,1,0] neg_lo:[0,0,1] neg_hi:[0,0,1]
	v_pk_fma_f32 v[4:5], v[8:9], v[76:77], v[4:5] op_sel:[0,0,1] op_sel_hi:[1,0,0]
	s_waitcnt vmcnt(1)
	v_mov_b32_e32 v4, v91
	v_mov_b32_e32 v19, v5
	v_pk_mul_f32 v[4:5], v[10:11], v[4:5] op_sel_hi:[1,0]
	s_waitcnt vmcnt(0)
	v_pk_fma_f32 v[8:9], v[10:11], v[90:91], v[4:5] op_sel:[0,0,1] op_sel_hi:[1,1,0] neg_lo:[0,0,1] neg_hi:[0,0,1]
	v_pk_fma_f32 v[4:5], v[10:11], v[90:91], v[4:5] op_sel:[0,0,1] op_sel_hi:[1,0,0]
	v_pk_add_f32 v[2:3], v[2:3], v[22:23]
	v_mov_b32_e32 v4, v89
	v_pk_add_f32 v[2:3], v[2:3], v[18:19]
	v_mov_b32_e32 v9, v5
	s_waitcnt lgkmcnt(1)
	v_pk_mul_f32 v[4:5], v[12:13], v[4:5] op_sel_hi:[1,0]
	v_pk_add_f32 v[2:3], v[2:3], v[8:9]
	v_pk_fma_f32 v[8:9], v[12:13], v[88:89], v[4:5] op_sel:[0,0,1] op_sel_hi:[1,1,0] neg_lo:[0,0,1] neg_hi:[0,0,1]
	v_pk_fma_f32 v[4:5], v[12:13], v[88:89], v[4:5] op_sel:[0,0,1] op_sel_hi:[1,0,0]
	v_mov_b32_e32 v4, v87
	v_mov_b32_e32 v9, v5
	v_pk_mul_f32 v[4:5], v[14:15], v[4:5] op_sel_hi:[1,0]
	v_pk_add_f32 v[2:3], v[2:3], v[8:9]
	v_pk_fma_f32 v[8:9], v[14:15], v[86:87], v[4:5] op_sel:[0,0,1] op_sel_hi:[1,1,0] neg_lo:[0,0,1] neg_hi:[0,0,1]
	v_pk_fma_f32 v[4:5], v[14:15], v[86:87], v[4:5] op_sel:[0,0,1] op_sel_hi:[1,0,0]
	v_mov_b32_e32 v4, v85
	v_mov_b32_e32 v9, v5
	s_waitcnt lgkmcnt(0)
	v_pk_mul_f32 v[4:5], v[16:17], v[4:5] op_sel_hi:[1,0]
	v_pk_add_f32 v[2:3], v[2:3], v[8:9]
	v_pk_fma_f32 v[8:9], v[16:17], v[84:85], v[4:5] op_sel:[0,0,1] op_sel_hi:[1,1,0] neg_lo:[0,0,1] neg_hi:[0,0,1]
	v_pk_fma_f32 v[4:5], v[16:17], v[84:85], v[4:5] op_sel:[0,0,1] op_sel_hi:[1,0,0]
	v_mov_b32_e32 v9, v5
	v_pk_add_f32 v[2:3], v[2:3], v[8:9]
	v_pk_add_f32 v[2:3], v[6:7], v[2:3] neg_lo:[0,1] neg_hi:[0,1]
	buffer_store_dword v3, off, s[0:3], 0 offset:116
	buffer_store_dword v2, off, s[0:3], 0 offset:112
	s_and_saveexec_b64 s[4:5], vcc
	s_cbranch_execz .LBB117_311
; %bb.310:
	buffer_load_dword v2, off, s[0:3], 0 offset:104
	buffer_load_dword v3, off, s[0:3], 0 offset:108
	s_waitcnt vmcnt(0)
	ds_write_b64 v143, v[2:3]
	buffer_store_dword v20, off, s[0:3], 0 offset:104
	buffer_store_dword v20, off, s[0:3], 0 offset:108
.LBB117_311:
	s_or_b64 exec, exec, s[4:5]
	s_waitcnt lgkmcnt(0)
	; wave barrier
	s_waitcnt lgkmcnt(0)
	buffer_load_dword v21, off, s[0:3], 0 offset:116
	buffer_load_dword v70, off, s[0:3], 0 offset:124
	;; [unrolled: 1-line block ×26, first 2 shown]
	ds_read_b128 v[14:17], v20 offset:544
	ds_read_b128 v[6:9], v20 offset:560
	buffer_load_dword v112, off, s[0:3], 0 offset:208
	buffer_load_dword v113, off, s[0:3], 0 offset:212
	ds_read_b128 v[10:13], v20 offset:576
	ds_read_b128 v[2:5], v20 offset:592
	buffer_load_dword v114, off, s[0:3], 0 offset:216
	buffer_load_dword v115, off, s[0:3], 0 offset:220
	;; [unrolled: 1-line block ×32, first 2 shown]
	v_cmp_lt_u32_e32 vcc, 12, v0
	s_waitcnt vmcnt(59) lgkmcnt(3)
	v_mul_f32_e32 v22, v14, v21
	s_waitcnt vmcnt(58)
	v_mul_f32_e32 v23, v16, v70
	s_waitcnt vmcnt(57) lgkmcnt(2)
	v_mul_f32_e32 v25, v8, v72
	s_waitcnt vmcnt(56) lgkmcnt(1)
	v_mul_f32_e32 v26, v10, v80
	s_waitcnt vmcnt(55)
	v_mul_f32_e32 v27, v12, v92
	s_waitcnt vmcnt(54)
	v_mul_f32_e32 v24, v6, v93
	s_waitcnt vmcnt(53) lgkmcnt(0)
	v_mul_f32_e32 v28, v2, v94
	s_waitcnt vmcnt(52)
	v_mul_f32_e32 v29, v4, v95
	s_waitcnt vmcnt(51)
	v_fmac_f32_e32 v24, v7, v96
	s_waitcnt vmcnt(50)
	v_fmac_f32_e32 v23, v17, v97
	;; [unrolled: 2-line block ×3, first 2 shown]
	v_add_f32_e32 v22, 0, v22
	v_add_f32_e32 v22, v22, v23
	;; [unrolled: 1-line block ×3, first 2 shown]
	s_waitcnt vmcnt(45)
	v_fmac_f32_e32 v25, v9, v102
	v_fmac_f32_e32 v26, v11, v101
	v_add_f32_e32 v22, v22, v25
	v_fmac_f32_e32 v27, v13, v100
	v_add_f32_e32 v22, v22, v26
	;; [unrolled: 2-line block ×3, first 2 shown]
	v_add_f32_e32 v26, v22, v28
	ds_read_b128 v[22:25], v20 offset:608
	s_waitcnt vmcnt(41)
	v_fmac_f32_e32 v29, v5, v106
	buffer_load_dword v210, off, s[0:3], 0 offset:344
	buffer_load_dword v211, off, s[0:3], 0 offset:348
	v_add_f32_e32 v30, v26, v29
	buffer_load_dword v212, off, s[0:3], 0 offset:352
	buffer_load_dword v213, off, s[0:3], 0 offset:356
	ds_read_b128 v[26:29], v20 offset:624
	s_waitcnt vmcnt(44) lgkmcnt(1)
	v_mul_f32_e32 v31, v22, v107
	v_fmac_f32_e32 v31, v23, v105
	v_add_f32_e32 v30, v30, v31
	s_waitcnt vmcnt(43)
	v_mul_f32_e32 v31, v24, v108
	v_fmac_f32_e32 v31, v25, v104
	v_add_f32_e32 v30, v30, v31
	s_waitcnt vmcnt(42) lgkmcnt(0)
	v_mul_f32_e32 v31, v26, v109
	v_fmac_f32_e32 v31, v27, v103
	buffer_load_dword v214, off, s[0:3], 0 offset:360
	buffer_load_dword v215, off, s[0:3], 0 offset:364
	v_add_f32_e32 v34, v30, v31
	ds_read_b128 v[30:33], v20 offset:640
	s_waitcnt vmcnt(40)
	v_mul_f32_e32 v35, v28, v111
	v_fmac_f32_e32 v35, v29, v110
	v_add_f32_e32 v38, v34, v35
	ds_read_b128 v[34:37], v20 offset:656
	s_waitcnt vmcnt(38) lgkmcnt(1)
	v_mul_f32_e32 v39, v30, v113
	v_fmac_f32_e32 v39, v31, v112
	v_add_f32_e32 v38, v38, v39
	s_waitcnt vmcnt(36)
	v_mul_f32_e32 v39, v32, v115
	v_fmac_f32_e32 v39, v33, v114
	v_add_f32_e32 v38, v38, v39
	s_waitcnt vmcnt(34) lgkmcnt(0)
	v_mul_f32_e32 v39, v34, v117
	v_fmac_f32_e32 v39, v35, v116
	v_add_f32_e32 v42, v38, v39
	ds_read_b128 v[38:41], v20 offset:672
	s_waitcnt vmcnt(32)
	v_mul_f32_e32 v43, v36, v119
	v_fmac_f32_e32 v43, v37, v118
	v_add_f32_e32 v46, v42, v43
	ds_read_b128 v[42:45], v20 offset:688
	s_waitcnt vmcnt(30) lgkmcnt(1)
	v_mul_f32_e32 v47, v38, v121
	v_fmac_f32_e32 v47, v39, v120
	v_add_f32_e32 v46, v46, v47
	s_waitcnt vmcnt(28)
	v_mul_f32_e32 v47, v40, v123
	v_fmac_f32_e32 v47, v41, v122
	v_add_f32_e32 v46, v46, v47
	s_waitcnt vmcnt(26) lgkmcnt(0)
	v_mul_f32_e32 v47, v42, v125
	v_fmac_f32_e32 v47, v43, v124
	;; [unrolled: 18-line block ×4, first 2 shown]
	s_waitcnt vmcnt(8)
	v_mul_f32_e32 v67, v60, v207
	v_add_f32_e32 v66, v62, v63
	v_fmac_f32_e32 v67, v61, v206
	ds_read_b128 v[62:65], v20 offset:768
	v_add_f32_e32 v71, v66, v67
	ds_read_b128 v[66:69], v20 offset:784
	buffer_load_dword v75, off, s[0:3], 0 offset:388
	buffer_load_dword v74, off, s[0:3], 0 offset:384
	;; [unrolled: 1-line block ×16, first 2 shown]
	v_mul_f32_e32 v15, v15, v21
	v_fma_f32 v14, v14, v98, -v15
	v_mul_f32_e32 v15, v17, v70
	v_add_f32_e32 v14, 0, v14
	v_fma_f32 v15, v16, v97, -v15
	v_mul_f32_e32 v7, v7, v93
	v_add_f32_e32 v14, v14, v15
	;; [unrolled: 3-line block ×3, first 2 shown]
	v_fma_f32 v7, v8, v102, -v7
	v_add_f32_e32 v6, v6, v7
	v_mul_f32_e32 v7, v11, v80
	v_fma_f32 v7, v10, v101, -v7
	v_add_f32_e32 v6, v6, v7
	v_mul_f32_e32 v7, v13, v92
	v_fma_f32 v7, v12, v100, -v7
	v_mul_f32_e32 v3, v3, v94
	v_add_f32_e32 v6, v6, v7
	v_fma_f32 v2, v2, v99, -v3
	v_mul_f32_e32 v3, v5, v95
	v_add_f32_e32 v2, v6, v2
	v_fma_f32 v3, v4, v106, -v3
	v_add_f32_e32 v2, v2, v3
	v_mul_f32_e32 v3, v23, v107
	v_fma_f32 v3, v22, v105, -v3
	v_add_f32_e32 v2, v2, v3
	v_mul_f32_e32 v3, v25, v108
	;; [unrolled: 3-line block ×20, first 2 shown]
	v_fma_f32 v3, v60, v206, -v3
	v_add_f32_e32 v2, v2, v3
	s_waitcnt vmcnt(22) lgkmcnt(1)
	v_mul_f32_e32 v3, v63, v209
	v_fma_f32 v3, v62, v208, -v3
	v_add_f32_e32 v2, v2, v3
	s_waitcnt vmcnt(20)
	v_mul_f32_e32 v3, v65, v211
	v_mul_f32_e32 v73, v62, v209
	v_fma_f32 v3, v64, v210, -v3
	v_fmac_f32_e32 v73, v63, v208
	v_add_f32_e32 v70, v2, v3
	s_waitcnt vmcnt(18) lgkmcnt(0)
	v_mul_f32_e32 v2, v67, v213
	v_add_f32_e32 v71, v71, v73
	v_mul_f32_e32 v73, v64, v211
	v_fma_f32 v72, v66, v212, -v2
	s_waitcnt vmcnt(16)
	v_mul_f32_e32 v2, v69, v215
	v_fmac_f32_e32 v73, v65, v210
	v_fma_f32 v80, v68, v214, -v2
	ds_read_b128 v[2:5], v20 offset:800
	ds_read_b128 v[6:9], v20 offset:816
	;; [unrolled: 1-line block ×4, first 2 shown]
	v_add_f32_e32 v71, v71, v73
	v_mul_f32_e32 v73, v66, v213
	s_waitcnt vmcnt(11)
	v_mov_b32_e32 v22, v79
	v_fmac_f32_e32 v73, v67, v212
	v_mul_f32_e32 v81, v68, v215
	s_waitcnt lgkmcnt(3)
	v_pk_mul_f32 v[22:23], v[2:3], v[22:23] op_sel_hi:[1,0]
	v_fmac_f32_e32 v81, v69, v214
	v_pk_add_f32 v[20:21], v[70:71], v[72:73]
	s_waitcnt vmcnt(10)
	v_pk_fma_f32 v[24:25], v[2:3], v[78:79], v[22:23] op_sel:[0,0,1] op_sel_hi:[1,1,0] neg_lo:[0,0,1] neg_hi:[0,0,1]
	v_pk_fma_f32 v[2:3], v[2:3], v[78:79], v[22:23] op_sel:[0,0,1] op_sel_hi:[1,0,0]
	v_pk_add_f32 v[20:21], v[20:21], v[80:81]
	v_mov_b32_e32 v25, v3
	v_pk_add_f32 v[2:3], v[20:21], v[24:25]
	v_mov_b32_e32 v20, v77
	v_pk_mul_f32 v[20:21], v[4:5], v[20:21] op_sel_hi:[1,0]
	v_pk_fma_f32 v[22:23], v[4:5], v[76:77], v[20:21] op_sel:[0,0,1] op_sel_hi:[1,1,0] neg_lo:[0,0,1] neg_hi:[0,0,1]
	v_pk_fma_f32 v[4:5], v[4:5], v[76:77], v[20:21] op_sel:[0,0,1] op_sel_hi:[1,0,0]
	v_mov_b32_e32 v4, v75
	v_mov_b32_e32 v23, v5
	s_waitcnt lgkmcnt(2)
	v_pk_mul_f32 v[4:5], v[6:7], v[4:5] op_sel_hi:[1,0]
	v_pk_fma_f32 v[20:21], v[6:7], v[74:75], v[4:5] op_sel:[0,0,1] op_sel_hi:[1,1,0] neg_lo:[0,0,1] neg_hi:[0,0,1]
	v_pk_fma_f32 v[4:5], v[6:7], v[74:75], v[4:5] op_sel:[0,0,1] op_sel_hi:[1,0,0]
	s_waitcnt vmcnt(3)
	v_mov_b32_e32 v4, v89
	v_mov_b32_e32 v21, v5
	v_pk_mul_f32 v[4:5], v[8:9], v[4:5] op_sel_hi:[1,0]
	s_waitcnt vmcnt(2)
	v_pk_fma_f32 v[6:7], v[8:9], v[88:89], v[4:5] op_sel:[0,0,1] op_sel_hi:[1,1,0] neg_lo:[0,0,1] neg_hi:[0,0,1]
	v_pk_fma_f32 v[4:5], v[8:9], v[88:89], v[4:5] op_sel:[0,0,1] op_sel_hi:[1,0,0]
	v_pk_add_f32 v[2:3], v[2:3], v[22:23]
	v_mov_b32_e32 v4, v87
	v_pk_add_f32 v[2:3], v[2:3], v[20:21]
	v_mov_b32_e32 v7, v5
	s_waitcnt lgkmcnt(1)
	v_pk_mul_f32 v[4:5], v[10:11], v[4:5] op_sel_hi:[1,0]
	v_pk_add_f32 v[2:3], v[2:3], v[6:7]
	v_pk_fma_f32 v[6:7], v[10:11], v[86:87], v[4:5] op_sel:[0,0,1] op_sel_hi:[1,1,0] neg_lo:[0,0,1] neg_hi:[0,0,1]
	v_pk_fma_f32 v[4:5], v[10:11], v[86:87], v[4:5] op_sel:[0,0,1] op_sel_hi:[1,0,0]
	v_mov_b32_e32 v4, v85
	v_mov_b32_e32 v7, v5
	v_pk_mul_f32 v[4:5], v[12:13], v[4:5] op_sel_hi:[1,0]
	v_pk_add_f32 v[2:3], v[2:3], v[6:7]
	v_pk_fma_f32 v[6:7], v[12:13], v[84:85], v[4:5] op_sel:[0,0,1] op_sel_hi:[1,1,0] neg_lo:[0,0,1] neg_hi:[0,0,1]
	v_pk_fma_f32 v[4:5], v[12:13], v[84:85], v[4:5] op_sel:[0,0,1] op_sel_hi:[1,0,0]
	v_mov_b32_e32 v4, v83
	v_mov_b32_e32 v7, v5
	s_waitcnt lgkmcnt(0)
	v_pk_mul_f32 v[4:5], v[14:15], v[4:5] op_sel_hi:[1,0]
	v_pk_add_f32 v[2:3], v[2:3], v[6:7]
	v_pk_fma_f32 v[6:7], v[14:15], v[82:83], v[4:5] op_sel:[0,0,1] op_sel_hi:[1,1,0] neg_lo:[0,0,1] neg_hi:[0,0,1]
	v_pk_fma_f32 v[4:5], v[14:15], v[82:83], v[4:5] op_sel:[0,0,1] op_sel_hi:[1,0,0]
	s_waitcnt vmcnt(1)
	v_mov_b32_e32 v4, v91
	v_mov_b32_e32 v7, v5
	v_pk_mul_f32 v[4:5], v[16:17], v[4:5] op_sel_hi:[1,0]
	v_pk_add_f32 v[2:3], v[2:3], v[6:7]
	s_waitcnt vmcnt(0)
	v_pk_fma_f32 v[6:7], v[16:17], v[90:91], v[4:5] op_sel:[0,0,1] op_sel_hi:[1,1,0] neg_lo:[0,0,1] neg_hi:[0,0,1]
	v_pk_fma_f32 v[4:5], v[16:17], v[90:91], v[4:5] op_sel:[0,0,1] op_sel_hi:[1,0,0]
	v_mov_b32_e32 v7, v5
	v_pk_add_f32 v[2:3], v[2:3], v[6:7]
	v_pk_add_f32 v[2:3], v[18:19], v[2:3] neg_lo:[0,1] neg_hi:[0,1]
	buffer_store_dword v3, off, s[0:3], 0 offset:108
	buffer_store_dword v2, off, s[0:3], 0 offset:104
	s_and_saveexec_b64 s[4:5], vcc
	s_cbranch_execz .LBB117_313
; %bb.312:
	buffer_load_dword v2, off, s[0:3], 0 offset:96
	buffer_load_dword v3, off, s[0:3], 0 offset:100
	v_mov_b32_e32 v4, 0
	buffer_store_dword v4, off, s[0:3], 0 offset:96
	buffer_store_dword v4, off, s[0:3], 0 offset:100
	s_waitcnt vmcnt(2)
	ds_write_b64 v143, v[2:3]
.LBB117_313:
	s_or_b64 exec, exec, s[4:5]
	v_mov_b32_e32 v202, 0
	s_waitcnt lgkmcnt(0)
	; wave barrier
	s_waitcnt lgkmcnt(0)
	ds_read2_b64 v[2:5], v202 offset0:67 offset1:68
	buffer_load_dword v70, off, s[0:3], 0 offset:96
	buffer_load_dword v71, off, s[0:3], 0 offset:100
	;; [unrolled: 1-line block ×16, first 2 shown]
	v_cmp_lt_u32_e32 vcc, 11, v0
	s_waitcnt vmcnt(12) lgkmcnt(0)
	v_mul_f32_e32 v6, v2, v92
	v_fmac_f32_e32 v6, v3, v72
	s_waitcnt vmcnt(10)
	v_mul_f32_e32 v7, v4, v94
	v_add_f32_e32 v6, 0, v6
	v_fmac_f32_e32 v7, v5, v74
	v_add_f32_e32 v10, v6, v7
	ds_read2_b64 v[6:9], v202 offset0:69 offset1:70
	v_mul_f32_e32 v3, v3, v92
	v_fma_f32 v2, v2, v72, -v3
	v_mul_f32_e32 v3, v5, v94
	v_add_f32_e32 v2, 0, v2
	s_waitcnt vmcnt(8) lgkmcnt(0)
	v_mul_f32_e32 v11, v6, v96
	v_fmac_f32_e32 v11, v7, v78
	v_add_f32_e32 v10, v10, v11
	s_waitcnt vmcnt(6)
	v_mul_f32_e32 v11, v8, v98
	v_fmac_f32_e32 v11, v9, v93
	v_add_f32_e32 v14, v10, v11
	ds_read2_b64 v[10:13], v202 offset0:71 offset1:72
	v_fma_f32 v3, v4, v74, -v3
	v_add_f32_e32 v2, v2, v3
	v_mul_f32_e32 v3, v7, v96
	v_fma_f32 v3, v6, v78, -v3
	s_waitcnt vmcnt(4) lgkmcnt(0)
	v_mul_f32_e32 v15, v10, v100
	v_fmac_f32_e32 v15, v11, v95
	v_add_f32_e32 v14, v14, v15
	s_waitcnt vmcnt(2)
	v_mul_f32_e32 v15, v12, v101
	v_fmac_f32_e32 v15, v13, v97
	v_add_f32_e32 v18, v14, v15
	ds_read2_b64 v[14:17], v202 offset0:73 offset1:74
	buffer_load_dword v103, off, s[0:3], 0 offset:160
	buffer_load_dword v104, off, s[0:3], 0 offset:164
	v_add_f32_e32 v2, v2, v3
	v_mul_f32_e32 v3, v9, v98
	v_fma_f32 v3, v8, v93, -v3
	s_waitcnt vmcnt(2) lgkmcnt(0)
	v_mul_f32_e32 v19, v14, v102
	v_fmac_f32_e32 v19, v15, v99
	v_add_f32_e32 v18, v18, v19
	v_add_f32_e32 v2, v2, v3
	v_mul_f32_e32 v3, v11, v100
	v_fma_f32 v3, v10, v95, -v3
	v_add_f32_e32 v2, v2, v3
	v_mul_f32_e32 v3, v13, v101
	v_fma_f32 v3, v12, v97, -v3
	;; [unrolled: 3-line block ×3, first 2 shown]
	v_add_f32_e32 v2, v2, v3
	s_waitcnt vmcnt(0)
	v_mul_f32_e32 v19, v16, v104
	v_fmac_f32_e32 v19, v17, v103
	v_add_f32_e32 v22, v18, v19
	ds_read2_b64 v[18:21], v202 offset0:75 offset1:76
	buffer_load_dword v105, off, s[0:3], 0 offset:168
	buffer_load_dword v203, off, s[0:3], 0 offset:172
	buffer_load_dword v204, off, s[0:3], 0 offset:176
	buffer_load_dword v106, off, s[0:3], 0 offset:180
	ds_read2_b64 v[26:29], v202 offset0:77 offset1:78
	buffer_load_dword v107, off, s[0:3], 0 offset:184
	buffer_load_dword v108, off, s[0:3], 0 offset:188
	buffer_load_dword v109, off, s[0:3], 0 offset:192
	buffer_load_dword v110, off, s[0:3], 0 offset:196
	;; [unrolled: 5-line block ×12, first 2 shown]
	v_mul_f32_e32 v3, v17, v104
	v_fma_f32 v3, v16, v103, -v3
	v_add_f32_e32 v2, v2, v3
	s_waitcnt vmcnt(46) lgkmcnt(11)
	v_mul_f32_e32 v23, v18, v203
	v_fmac_f32_e32 v23, v19, v105
	v_add_f32_e32 v22, v22, v23
	s_waitcnt vmcnt(44)
	v_mul_f32_e32 v23, v20, v106
	v_fmac_f32_e32 v23, v21, v204
	v_add_f32_e32 v22, v22, v23
	s_waitcnt vmcnt(42) lgkmcnt(10)
	v_mul_f32_e32 v23, v26, v108
	v_fmac_f32_e32 v23, v27, v107
	v_add_f32_e32 v22, v22, v23
	s_waitcnt vmcnt(40)
	v_mul_f32_e32 v23, v28, v110
	v_fmac_f32_e32 v23, v29, v109
	;; [unrolled: 8-line block ×11, first 2 shown]
	v_add_f32_e32 v22, v22, v23
	s_waitcnt vmcnt(2) lgkmcnt(0)
	v_mul_f32_e32 v23, v66, v217
	v_fmac_f32_e32 v23, v67, v216
	v_add_f32_e32 v73, v22, v23
	ds_read2_b64 v[22:25], v202 offset0:99 offset1:100
	buffer_load_dword v220, off, s[0:3], 0 offset:360
	buffer_load_dword v221, off, s[0:3], 0 offset:364
	;; [unrolled: 1-line block ×18, first 2 shown]
	v_mul_f32_e32 v3, v19, v203
	v_fma_f32 v3, v18, v105, -v3
	v_add_f32_e32 v2, v2, v3
	v_mul_f32_e32 v3, v21, v106
	v_fma_f32 v3, v20, v204, -v3
	v_add_f32_e32 v2, v2, v3
	v_mul_f32_e32 v3, v27, v108
	v_fma_f32 v3, v26, v107, -v3
	v_add_f32_e32 v2, v2, v3
	v_mul_f32_e32 v3, v29, v110
	v_fma_f32 v3, v28, v109, -v3
	v_add_f32_e32 v2, v2, v3
	v_mul_f32_e32 v3, v31, v112
	v_fma_f32 v3, v30, v111, -v3
	v_add_f32_e32 v2, v2, v3
	v_mul_f32_e32 v3, v33, v205
	v_fma_f32 v3, v32, v113, -v3
	v_add_f32_e32 v2, v2, v3
	v_mul_f32_e32 v3, v35, v115
	v_fma_f32 v3, v34, v114, -v3
	v_add_f32_e32 v2, v2, v3
	v_mul_f32_e32 v3, v37, v117
	v_fma_f32 v3, v36, v116, -v3
	v_add_f32_e32 v2, v2, v3
	v_mul_f32_e32 v3, v39, v118
	v_fma_f32 v3, v38, v206, -v3
	v_add_f32_e32 v2, v2, v3
	v_mul_f32_e32 v3, v41, v207
	v_fma_f32 v3, v40, v119, -v3
	v_add_f32_e32 v2, v2, v3
	v_mul_f32_e32 v3, v43, v121
	v_fma_f32 v3, v42, v120, -v3
	v_add_f32_e32 v2, v2, v3
	v_mul_f32_e32 v3, v45, v209
	v_fma_f32 v3, v44, v208, -v3
	v_add_f32_e32 v2, v2, v3
	v_mul_f32_e32 v3, v47, v123
	v_fma_f32 v3, v46, v122, -v3
	v_add_f32_e32 v2, v2, v3
	v_mul_f32_e32 v3, v49, v125
	v_fma_f32 v3, v48, v124, -v3
	v_add_f32_e32 v2, v2, v3
	v_mul_f32_e32 v3, v51, v127
	v_fma_f32 v3, v50, v126, -v3
	v_add_f32_e32 v2, v2, v3
	v_mul_f32_e32 v3, v53, v211
	v_fma_f32 v3, v52, v210, -v3
	v_add_f32_e32 v2, v2, v3
	v_mul_f32_e32 v3, v55, v129
	v_fma_f32 v3, v54, v128, -v3
	v_add_f32_e32 v2, v2, v3
	v_mul_f32_e32 v3, v57, v130
	v_fma_f32 v3, v56, v212, -v3
	v_add_f32_e32 v2, v2, v3
	v_mul_f32_e32 v3, v59, v213
	v_fma_f32 v3, v58, v131, -v3
	v_add_f32_e32 v2, v2, v3
	v_mul_f32_e32 v3, v61, v133
	v_fma_f32 v3, v60, v132, -v3
	v_add_f32_e32 v2, v2, v3
	v_mul_f32_e32 v3, v63, v135
	v_fma_f32 v3, v62, v134, -v3
	v_add_f32_e32 v2, v2, v3
	v_mul_f32_e32 v3, v65, v215
	v_fma_f32 v3, v64, v214, -v3
	v_add_f32_e32 v2, v2, v3
	v_mul_f32_e32 v3, v67, v217
	v_fma_f32 v3, v66, v216, -v3
	v_add_f32_e32 v72, v2, v3
	s_waitcnt vmcnt(18)
	v_mul_f32_e32 v2, v69, v219
	s_waitcnt vmcnt(15)
	v_mov_b32_e32 v18, v77
	v_mul_f32_e32 v75, v68, v219
	v_fma_f32 v74, v68, v218, -v2
	s_waitcnt lgkmcnt(0)
	v_pk_mul_f32 v[18:19], v[24:25], v[18:19] op_sel_hi:[1,0]
	v_fmac_f32_e32 v75, v69, v218
	s_waitcnt vmcnt(14)
	v_pk_fma_f32 v[20:21], v[24:25], v[76:77], v[18:19] op_sel:[0,0,1] op_sel_hi:[1,1,0] neg_lo:[0,0,1] neg_hi:[0,0,1]
	v_pk_fma_f32 v[18:19], v[24:25], v[76:77], v[18:19] op_sel:[0,0,1] op_sel_hi:[1,0,0]
	v_pk_add_f32 v[16:17], v[72:73], v[74:75]
	v_mul_f32_e32 v2, v23, v221
	v_mul_f32_e32 v79, v22, v221
	v_fma_f32 v78, v22, v220, -v2
	ds_read2_b64 v[2:5], v202 offset0:101 offset1:102
	ds_read2_b64 v[6:9], v202 offset0:103 offset1:104
	;; [unrolled: 1-line block ×3, first 2 shown]
	ds_read_b64 v[14:15], v202 offset:856
	v_fmac_f32_e32 v79, v23, v220
	s_waitcnt vmcnt(13)
	v_mov_b32_e32 v18, v201
	v_pk_add_f32 v[16:17], v[16:17], v[78:79]
	v_mov_b32_e32 v21, v19
	s_waitcnt lgkmcnt(3)
	v_pk_mul_f32 v[18:19], v[2:3], v[18:19] op_sel_hi:[1,0]
	v_pk_add_f32 v[16:17], v[16:17], v[20:21]
	s_waitcnt vmcnt(12)
	v_pk_fma_f32 v[20:21], v[2:3], v[200:201], v[18:19] op_sel:[0,0,1] op_sel_hi:[1,1,0] neg_lo:[0,0,1] neg_hi:[0,0,1]
	v_pk_fma_f32 v[2:3], v[2:3], v[200:201], v[18:19] op_sel:[0,0,1] op_sel_hi:[1,0,0]
	v_mov_b32_e32 v21, v3
	v_pk_add_f32 v[2:3], v[16:17], v[20:21]
	s_waitcnt vmcnt(11)
	v_mov_b32_e32 v16, v91
	v_pk_mul_f32 v[16:17], v[4:5], v[16:17] op_sel_hi:[1,0]
	s_waitcnt vmcnt(10)
	v_pk_fma_f32 v[18:19], v[4:5], v[90:91], v[16:17] op_sel:[0,0,1] op_sel_hi:[1,1,0] neg_lo:[0,0,1] neg_hi:[0,0,1]
	v_pk_fma_f32 v[4:5], v[4:5], v[90:91], v[16:17] op_sel:[0,0,1] op_sel_hi:[1,0,0]
	s_waitcnt vmcnt(9)
	v_mov_b32_e32 v4, v89
	v_mov_b32_e32 v19, v5
	s_waitcnt lgkmcnt(2)
	v_pk_mul_f32 v[4:5], v[6:7], v[4:5] op_sel_hi:[1,0]
	s_waitcnt vmcnt(8)
	v_pk_fma_f32 v[16:17], v[6:7], v[88:89], v[4:5] op_sel:[0,0,1] op_sel_hi:[1,1,0] neg_lo:[0,0,1] neg_hi:[0,0,1]
	v_pk_fma_f32 v[4:5], v[6:7], v[88:89], v[4:5] op_sel:[0,0,1] op_sel_hi:[1,0,0]
	s_waitcnt vmcnt(7)
	v_mov_b32_e32 v4, v87
	v_mov_b32_e32 v17, v5
	v_pk_mul_f32 v[4:5], v[8:9], v[4:5] op_sel_hi:[1,0]
	s_waitcnt vmcnt(6)
	v_pk_fma_f32 v[6:7], v[8:9], v[86:87], v[4:5] op_sel:[0,0,1] op_sel_hi:[1,1,0] neg_lo:[0,0,1] neg_hi:[0,0,1]
	v_pk_fma_f32 v[4:5], v[8:9], v[86:87], v[4:5] op_sel:[0,0,1] op_sel_hi:[1,0,0]
	v_pk_add_f32 v[2:3], v[2:3], v[18:19]
	s_waitcnt vmcnt(5)
	v_mov_b32_e32 v4, v85
	v_pk_add_f32 v[2:3], v[2:3], v[16:17]
	v_mov_b32_e32 v7, v5
	s_waitcnt lgkmcnt(1)
	v_pk_mul_f32 v[4:5], v[10:11], v[4:5] op_sel_hi:[1,0]
	v_pk_add_f32 v[2:3], v[2:3], v[6:7]
	s_waitcnt vmcnt(4)
	v_pk_fma_f32 v[6:7], v[10:11], v[84:85], v[4:5] op_sel:[0,0,1] op_sel_hi:[1,1,0] neg_lo:[0,0,1] neg_hi:[0,0,1]
	v_pk_fma_f32 v[4:5], v[10:11], v[84:85], v[4:5] op_sel:[0,0,1] op_sel_hi:[1,0,0]
	s_waitcnt vmcnt(3)
	v_mov_b32_e32 v4, v83
	v_mov_b32_e32 v7, v5
	v_pk_mul_f32 v[4:5], v[12:13], v[4:5] op_sel_hi:[1,0]
	v_pk_add_f32 v[2:3], v[2:3], v[6:7]
	s_waitcnt vmcnt(2)
	v_pk_fma_f32 v[6:7], v[12:13], v[82:83], v[4:5] op_sel:[0,0,1] op_sel_hi:[1,1,0] neg_lo:[0,0,1] neg_hi:[0,0,1]
	v_pk_fma_f32 v[4:5], v[12:13], v[82:83], v[4:5] op_sel:[0,0,1] op_sel_hi:[1,0,0]
	s_waitcnt vmcnt(1)
	v_mov_b32_e32 v4, v81
	v_mov_b32_e32 v7, v5
	s_waitcnt lgkmcnt(0)
	v_pk_mul_f32 v[4:5], v[14:15], v[4:5] op_sel_hi:[1,0]
	v_pk_add_f32 v[2:3], v[2:3], v[6:7]
	s_waitcnt vmcnt(0)
	v_pk_fma_f32 v[6:7], v[14:15], v[80:81], v[4:5] op_sel:[0,0,1] op_sel_hi:[1,1,0] neg_lo:[0,0,1] neg_hi:[0,0,1]
	v_pk_fma_f32 v[4:5], v[14:15], v[80:81], v[4:5] op_sel:[0,0,1] op_sel_hi:[1,0,0]
	v_mov_b32_e32 v7, v5
	v_pk_add_f32 v[2:3], v[2:3], v[6:7]
	v_pk_add_f32 v[2:3], v[70:71], v[2:3] neg_lo:[0,1] neg_hi:[0,1]
	buffer_store_dword v3, off, s[0:3], 0 offset:100
	buffer_store_dword v2, off, s[0:3], 0 offset:96
	s_and_saveexec_b64 s[4:5], vcc
	s_cbranch_execz .LBB117_315
; %bb.314:
	buffer_load_dword v2, off, s[0:3], 0 offset:88
	buffer_load_dword v3, off, s[0:3], 0 offset:92
	s_waitcnt vmcnt(0)
	ds_write_b64 v143, v[2:3]
	buffer_store_dword v202, off, s[0:3], 0 offset:88
	buffer_store_dword v202, off, s[0:3], 0 offset:92
.LBB117_315:
	s_or_b64 exec, exec, s[4:5]
	s_waitcnt lgkmcnt(0)
	; wave barrier
	s_waitcnt lgkmcnt(0)
	buffer_load_dword v78, off, s[0:3], 0 offset:100
	buffer_load_dword v80, off, s[0:3], 0 offset:108
	;; [unrolled: 1-line block ×24, first 2 shown]
	ds_read_b128 v[22:25], v202 offset:528
	ds_read_b128 v[18:21], v202 offset:544
	ds_read_b128 v[14:17], v202 offset:560
	ds_read_b128 v[6:9], v202 offset:576
	buffer_load_dword v117, off, s[0:3], 0 offset:184
	buffer_load_dword v118, off, s[0:3], 0 offset:188
	ds_read_b128 v[10:13], v202 offset:592
	ds_read_b128 v[2:5], v202 offset:608
	buffer_load_dword v119, off, s[0:3], 0 offset:192
	buffer_load_dword v120, off, s[0:3], 0 offset:196
	;; [unrolled: 1-line block ×44, first 2 shown]
	v_cmp_lt_u32_e32 vcc, 10, v0
	s_waitcnt vmcnt(62) lgkmcnt(5)
	v_mul_f32_e32 v28, v22, v78
	v_mul_f32_e32 v29, v24, v80
	s_waitcnt lgkmcnt(4)
	v_mul_f32_e32 v31, v20, v82
	s_waitcnt lgkmcnt(3)
	v_mul_f32_e32 v32, v14, v98
	v_mul_f32_e32 v33, v16, v99
	;; [unrolled: 1-line block ×3, first 2 shown]
	s_waitcnt lgkmcnt(2)
	v_mul_f32_e32 v34, v6, v101
	v_mul_f32_e32 v35, v8, v102
	s_waitcnt vmcnt(61)
	v_fmac_f32_e32 v30, v19, v103
	s_waitcnt vmcnt(60)
	v_fmac_f32_e32 v29, v25, v104
	;; [unrolled: 2-line block ×3, first 2 shown]
	v_add_f32_e32 v28, 0, v28
	v_add_f32_e32 v28, v28, v29
	;; [unrolled: 1-line block ×3, first 2 shown]
	s_waitcnt vmcnt(55)
	v_fmac_f32_e32 v31, v21, v109
	v_fmac_f32_e32 v32, v15, v108
	v_add_f32_e32 v28, v28, v31
	v_fmac_f32_e32 v33, v17, v107
	v_add_f32_e32 v28, v28, v32
	;; [unrolled: 2-line block ×3, first 2 shown]
	s_waitcnt vmcnt(51)
	v_fmac_f32_e32 v35, v9, v113
	v_add_f32_e32 v28, v28, v34
	s_waitcnt vmcnt(50) lgkmcnt(1)
	v_mul_f32_e32 v29, v10, v114
	v_add_f32_e32 v28, v28, v35
	v_fmac_f32_e32 v29, v11, v112
	v_add_f32_e32 v28, v28, v29
	s_waitcnt vmcnt(49)
	v_mul_f32_e32 v29, v12, v115
	v_fmac_f32_e32 v29, v13, v111
	v_add_f32_e32 v28, v28, v29
	s_waitcnt vmcnt(48) lgkmcnt(0)
	v_mul_f32_e32 v29, v2, v116
	v_fmac_f32_e32 v29, v3, v110
	v_add_f32_e32 v32, v28, v29
	ds_read_b128 v[28:31], v202 offset:624
	s_waitcnt vmcnt(44)
	v_mul_f32_e32 v33, v4, v118
	v_fmac_f32_e32 v33, v5, v117
	v_add_f32_e32 v36, v32, v33
	ds_read_b128 v[32:35], v202 offset:640
	s_waitcnt vmcnt(42) lgkmcnt(1)
	v_mul_f32_e32 v37, v28, v120
	v_fmac_f32_e32 v37, v29, v119
	v_add_f32_e32 v36, v36, v37
	s_waitcnt vmcnt(40)
	v_mul_f32_e32 v37, v30, v122
	v_fmac_f32_e32 v37, v31, v121
	v_add_f32_e32 v36, v36, v37
	s_waitcnt vmcnt(38) lgkmcnt(0)
	v_mul_f32_e32 v37, v32, v124
	v_fmac_f32_e32 v37, v33, v123
	v_add_f32_e32 v40, v36, v37
	ds_read_b128 v[36:39], v202 offset:656
	s_waitcnt vmcnt(36)
	v_mul_f32_e32 v41, v34, v126
	v_fmac_f32_e32 v41, v35, v125
	v_add_f32_e32 v44, v40, v41
	ds_read_b128 v[40:43], v202 offset:672
	s_waitcnt vmcnt(34) lgkmcnt(1)
	v_mul_f32_e32 v45, v36, v128
	;; [unrolled: 18-line block ×4, first 2 shown]
	v_fmac_f32_e32 v61, v53, v208
	v_add_f32_e32 v60, v60, v61
	s_waitcnt vmcnt(16)
	v_mul_f32_e32 v61, v54, v211
	v_fmac_f32_e32 v61, v55, v210
	v_add_f32_e32 v60, v60, v61
	s_waitcnt vmcnt(14) lgkmcnt(0)
	v_mul_f32_e32 v61, v56, v213
	v_fmac_f32_e32 v61, v57, v212
	v_add_f32_e32 v64, v60, v61
	ds_read_b128 v[60:63], v202 offset:752
	s_waitcnt vmcnt(12)
	v_mul_f32_e32 v65, v58, v215
	v_fmac_f32_e32 v65, v59, v214
	v_add_f32_e32 v68, v64, v65
	ds_read_b128 v[64:67], v202 offset:768
	buffer_load_dword v77, off, s[0:3], 0 offset:372
	buffer_load_dword v76, off, s[0:3], 0 offset:368
	s_waitcnt vmcnt(12) lgkmcnt(1)
	v_mul_f32_e32 v69, v60, v217
	v_fmac_f32_e32 v69, v61, v216
	v_add_f32_e32 v68, v68, v69
	s_waitcnt vmcnt(10)
	v_mul_f32_e32 v69, v62, v219
	v_fmac_f32_e32 v69, v63, v218
	v_add_f32_e32 v68, v68, v69
	s_waitcnt vmcnt(8) lgkmcnt(0)
	v_mul_f32_e32 v69, v64, v221
	v_fmac_f32_e32 v69, v65, v220
	s_waitcnt vmcnt(6)
	v_mul_f32_e32 v73, v66, v223
	v_add_f32_e32 v72, v68, v69
	v_fmac_f32_e32 v73, v67, v222
	ds_read_b128 v[68:71], v202 offset:784
	v_add_f32_e32 v79, v72, v73
	ds_read_b128 v[72:75], v202 offset:800
	buffer_load_dword v85, off, s[0:3], 0 offset:404
	buffer_load_dword v84, off, s[0:3], 0 offset:400
	;; [unrolled: 1-line block ×14, first 2 shown]
	v_mul_f32_e32 v23, v23, v78
	v_fma_f32 v22, v22, v105, -v23
	v_mul_f32_e32 v23, v25, v80
	v_add_f32_e32 v22, 0, v22
	v_fma_f32 v23, v24, v104, -v23
	v_mul_f32_e32 v19, v19, v100
	v_add_f32_e32 v22, v22, v23
	;; [unrolled: 3-line block ×7, first 2 shown]
	v_fma_f32 v7, v8, v113, -v7
	v_add_f32_e32 v6, v6, v7
	v_mul_f32_e32 v7, v11, v114
	v_fma_f32 v7, v10, v112, -v7
	v_add_f32_e32 v6, v6, v7
	v_mul_f32_e32 v7, v13, v115
	v_fma_f32 v7, v12, v111, -v7
	v_mul_f32_e32 v3, v3, v116
	v_add_f32_e32 v6, v6, v7
	v_fma_f32 v2, v2, v110, -v3
	v_mul_f32_e32 v3, v5, v118
	v_add_f32_e32 v2, v6, v2
	v_fma_f32 v3, v4, v117, -v3
	v_add_f32_e32 v2, v2, v3
	v_mul_f32_e32 v3, v29, v120
	v_fma_f32 v3, v28, v119, -v3
	v_add_f32_e32 v2, v2, v3
	v_mul_f32_e32 v3, v31, v122
	;; [unrolled: 3-line block ×20, first 2 shown]
	v_fma_f32 v3, v66, v222, -v3
	s_waitcnt vmcnt(15)
	v_mov_b32_e32 v16, v77
	s_waitcnt lgkmcnt(1)
	v_mul_f32_e32 v81, v68, v225
	v_add_f32_e32 v78, v2, v3
	v_mul_f32_e32 v2, v69, v225
	s_waitcnt lgkmcnt(0)
	v_pk_mul_f32 v[16:17], v[72:73], v[16:17] op_sel_hi:[1,0]
	v_fmac_f32_e32 v81, v69, v224
	v_mul_f32_e32 v83, v70, v227
	v_fma_f32 v80, v68, v224, -v2
	v_mul_f32_e32 v2, v71, v227
	s_waitcnt vmcnt(14)
	v_pk_fma_f32 v[18:19], v[72:73], v[76:77], v[16:17] op_sel:[0,0,1] op_sel_hi:[1,1,0] neg_lo:[0,0,1] neg_hi:[0,0,1]
	v_pk_fma_f32 v[16:17], v[72:73], v[76:77], v[16:17] op_sel:[0,0,1] op_sel_hi:[1,0,0]
	v_fmac_f32_e32 v83, v71, v226
	v_fma_f32 v82, v70, v226, -v2
	v_pk_add_f32 v[14:15], v[78:79], v[80:81]
	s_waitcnt vmcnt(7)
	v_mov_b32_e32 v16, v91
	ds_read_b128 v[2:5], v202 offset:816
	ds_read_b128 v[6:9], v202 offset:832
	;; [unrolled: 1-line block ×3, first 2 shown]
	v_pk_add_f32 v[14:15], v[14:15], v[82:83]
	v_mov_b32_e32 v19, v17
	v_pk_mul_f32 v[16:17], v[74:75], v[16:17] op_sel_hi:[1,0]
	v_pk_add_f32 v[14:15], v[14:15], v[18:19]
	s_waitcnt vmcnt(6)
	v_pk_fma_f32 v[18:19], v[74:75], v[90:91], v[16:17] op_sel:[0,0,1] op_sel_hi:[1,1,0] neg_lo:[0,0,1] neg_hi:[0,0,1]
	v_pk_fma_f32 v[16:17], v[74:75], v[90:91], v[16:17] op_sel:[0,0,1] op_sel_hi:[1,0,0]
	v_mov_b32_e32 v16, v89
	v_mov_b32_e32 v19, v17
	s_waitcnt lgkmcnt(2)
	v_pk_mul_f32 v[16:17], v[2:3], v[16:17] op_sel_hi:[1,0]
	v_pk_add_f32 v[14:15], v[14:15], v[18:19]
	v_pk_fma_f32 v[18:19], v[2:3], v[88:89], v[16:17] op_sel:[0,0,1] op_sel_hi:[1,1,0] neg_lo:[0,0,1] neg_hi:[0,0,1]
	v_pk_fma_f32 v[2:3], v[2:3], v[88:89], v[16:17] op_sel:[0,0,1] op_sel_hi:[1,0,0]
	v_mov_b32_e32 v19, v3
	v_pk_add_f32 v[2:3], v[14:15], v[18:19]
	v_mov_b32_e32 v14, v87
	v_pk_mul_f32 v[14:15], v[4:5], v[14:15] op_sel_hi:[1,0]
	v_pk_fma_f32 v[16:17], v[4:5], v[86:87], v[14:15] op_sel:[0,0,1] op_sel_hi:[1,1,0] neg_lo:[0,0,1] neg_hi:[0,0,1]
	v_pk_fma_f32 v[4:5], v[4:5], v[86:87], v[14:15] op_sel:[0,0,1] op_sel_hi:[1,0,0]
	v_mov_b32_e32 v4, v85
	v_mov_b32_e32 v17, v5
	s_waitcnt lgkmcnt(1)
	v_pk_mul_f32 v[4:5], v[6:7], v[4:5] op_sel_hi:[1,0]
	v_pk_fma_f32 v[14:15], v[6:7], v[84:85], v[4:5] op_sel:[0,0,1] op_sel_hi:[1,1,0] neg_lo:[0,0,1] neg_hi:[0,0,1]
	v_pk_fma_f32 v[4:5], v[6:7], v[84:85], v[4:5] op_sel:[0,0,1] op_sel_hi:[1,0,0]
	s_waitcnt vmcnt(1)
	v_mov_b32_e32 v4, v97
	v_mov_b32_e32 v15, v5
	v_pk_mul_f32 v[4:5], v[8:9], v[4:5] op_sel_hi:[1,0]
	s_waitcnt vmcnt(0)
	v_pk_fma_f32 v[6:7], v[8:9], v[96:97], v[4:5] op_sel:[0,0,1] op_sel_hi:[1,1,0] neg_lo:[0,0,1] neg_hi:[0,0,1]
	v_pk_fma_f32 v[4:5], v[8:9], v[96:97], v[4:5] op_sel:[0,0,1] op_sel_hi:[1,0,0]
	v_pk_add_f32 v[2:3], v[2:3], v[16:17]
	v_mov_b32_e32 v4, v95
	v_pk_add_f32 v[2:3], v[2:3], v[14:15]
	v_mov_b32_e32 v7, v5
	s_waitcnt lgkmcnt(0)
	v_pk_mul_f32 v[4:5], v[10:11], v[4:5] op_sel_hi:[1,0]
	v_pk_add_f32 v[2:3], v[2:3], v[6:7]
	v_pk_fma_f32 v[6:7], v[10:11], v[94:95], v[4:5] op_sel:[0,0,1] op_sel_hi:[1,1,0] neg_lo:[0,0,1] neg_hi:[0,0,1]
	v_pk_fma_f32 v[4:5], v[10:11], v[94:95], v[4:5] op_sel:[0,0,1] op_sel_hi:[1,0,0]
	v_mov_b32_e32 v4, v93
	v_mov_b32_e32 v7, v5
	v_pk_mul_f32 v[4:5], v[12:13], v[4:5] op_sel_hi:[1,0]
	v_pk_add_f32 v[2:3], v[2:3], v[6:7]
	v_pk_fma_f32 v[6:7], v[12:13], v[92:93], v[4:5] op_sel:[0,0,1] op_sel_hi:[1,1,0] neg_lo:[0,0,1] neg_hi:[0,0,1]
	v_pk_fma_f32 v[4:5], v[12:13], v[92:93], v[4:5] op_sel:[0,0,1] op_sel_hi:[1,0,0]
	v_mov_b32_e32 v7, v5
	v_pk_add_f32 v[2:3], v[2:3], v[6:7]
	v_pk_add_f32 v[2:3], v[26:27], v[2:3] neg_lo:[0,1] neg_hi:[0,1]
	buffer_store_dword v3, off, s[0:3], 0 offset:92
	buffer_store_dword v2, off, s[0:3], 0 offset:88
	s_and_saveexec_b64 s[4:5], vcc
	s_cbranch_execz .LBB117_317
; %bb.316:
	buffer_load_dword v2, off, s[0:3], 0 offset:80
	buffer_load_dword v3, off, s[0:3], 0 offset:84
	v_mov_b32_e32 v4, 0
	buffer_store_dword v4, off, s[0:3], 0 offset:80
	buffer_store_dword v4, off, s[0:3], 0 offset:84
	s_waitcnt vmcnt(2)
	ds_write_b64 v143, v[2:3]
.LBB117_317:
	s_or_b64 exec, exec, s[4:5]
	s_waitcnt lgkmcnt(0)
	; wave barrier
	s_waitcnt lgkmcnt(0)
	buffer_load_dword v29, off, s[0:3], 0 offset:92
	buffer_load_dword v78, off, s[0:3], 0 offset:100
	;; [unrolled: 1-line block ×56, first 2 shown]
	v_mov_b32_e32 v28, 0
	ds_read2_b64 v[4:7], v28 offset0:65 offset1:66
	ds_read2_b64 v[8:11], v28 offset0:67 offset1:68
	;; [unrolled: 1-line block ×6, first 2 shown]
	buffer_load_dword v214, off, s[0:3], 0 offset:304
	buffer_load_dword v215, off, s[0:3], 0 offset:308
	;; [unrolled: 1-line block ×16, first 2 shown]
	v_cmp_lt_u32_e32 vcc, 9, v0
	s_waitcnt vmcnt(62) lgkmcnt(5)
	v_mul_f32_e32 v30, v4, v29
	v_mul_f32_e32 v31, v6, v78
	s_waitcnt lgkmcnt(4)
	v_mul_f32_e32 v33, v10, v80
	s_waitcnt lgkmcnt(3)
	v_mul_f32_e32 v34, v12, v82
	v_mul_f32_e32 v35, v14, v100
	;; [unrolled: 1-line block ×3, first 2 shown]
	s_waitcnt lgkmcnt(2)
	v_mul_f32_e32 v36, v16, v102
	v_mul_f32_e32 v37, v18, v103
	s_waitcnt lgkmcnt(1)
	v_mul_f32_e32 v38, v20, v104
	v_fmac_f32_e32 v32, v9, v105
	s_waitcnt vmcnt(61)
	v_fmac_f32_e32 v31, v7, v106
	s_waitcnt vmcnt(60)
	v_fmac_f32_e32 v30, v5, v107
	v_add_f32_e32 v30, 0, v30
	v_add_f32_e32 v30, v30, v31
	;; [unrolled: 1-line block ×3, first 2 shown]
	s_waitcnt vmcnt(56)
	v_fmac_f32_e32 v33, v11, v111
	v_fmac_f32_e32 v34, v13, v110
	v_add_f32_e32 v30, v30, v33
	v_fmac_f32_e32 v35, v15, v109
	v_add_f32_e32 v30, v30, v34
	;; [unrolled: 2-line block ×3, first 2 shown]
	s_waitcnt vmcnt(52)
	v_fmac_f32_e32 v37, v19, v115
	v_add_f32_e32 v30, v30, v36
	v_add_f32_e32 v30, v30, v37
	v_fmac_f32_e32 v38, v21, v114
	s_waitcnt vmcnt(51)
	v_mul_f32_e32 v31, v22, v116
	v_add_f32_e32 v30, v30, v38
	v_fmac_f32_e32 v31, v23, v113
	v_add_f32_e32 v30, v30, v31
	s_waitcnt vmcnt(50) lgkmcnt(0)
	v_mul_f32_e32 v31, v24, v117
	v_fmac_f32_e32 v31, v25, v112
	v_add_f32_e32 v34, v30, v31
	ds_read2_b64 v[30:33], v28 offset0:77 offset1:78
	s_waitcnt vmcnt(46)
	v_mul_f32_e32 v35, v26, v119
	v_fmac_f32_e32 v35, v27, v118
	v_add_f32_e32 v38, v34, v35
	ds_read2_b64 v[34:37], v28 offset0:79 offset1:80
	s_waitcnt vmcnt(44) lgkmcnt(1)
	v_mul_f32_e32 v39, v30, v121
	v_fmac_f32_e32 v39, v31, v120
	v_add_f32_e32 v38, v38, v39
	s_waitcnt vmcnt(42)
	v_mul_f32_e32 v39, v32, v123
	v_fmac_f32_e32 v39, v33, v122
	v_add_f32_e32 v38, v38, v39
	s_waitcnt vmcnt(40) lgkmcnt(0)
	v_mul_f32_e32 v39, v34, v125
	v_fmac_f32_e32 v39, v35, v124
	v_add_f32_e32 v42, v38, v39
	ds_read2_b64 v[38:41], v28 offset0:81 offset1:82
	s_waitcnt vmcnt(38)
	v_mul_f32_e32 v43, v36, v127
	v_fmac_f32_e32 v43, v37, v126
	v_add_f32_e32 v46, v42, v43
	ds_read2_b64 v[42:45], v28 offset0:83 offset1:84
	s_waitcnt vmcnt(36) lgkmcnt(1)
	v_mul_f32_e32 v47, v38, v129
	v_fmac_f32_e32 v47, v39, v128
	v_add_f32_e32 v46, v46, v47
	s_waitcnt vmcnt(34)
	v_mul_f32_e32 v47, v40, v131
	;; [unrolled: 18-line block ×5, first 2 shown]
	v_fmac_f32_e32 v71, v65, v218
	v_add_f32_e32 v70, v70, v71
	s_waitcnt vmcnt(8) lgkmcnt(0)
	v_mul_f32_e32 v71, v66, v221
	v_fmac_f32_e32 v71, v67, v220
	s_waitcnt vmcnt(6)
	v_mul_f32_e32 v75, v68, v223
	v_add_f32_e32 v74, v70, v71
	v_fmac_f32_e32 v75, v69, v222
	ds_read2_b64 v[70:73], v28 offset0:97 offset1:98
	v_add_f32_e32 v79, v74, v75
	ds_read2_b64 v[74:77], v28 offset0:99 offset1:100
	buffer_load_dword v85, off, s[0:3], 0 offset:396
	buffer_load_dword v84, off, s[0:3], 0 offset:392
	;; [unrolled: 1-line block ×16, first 2 shown]
	v_mul_f32_e32 v5, v5, v29
	v_fma_f32 v4, v4, v107, -v5
	v_mul_f32_e32 v5, v7, v78
	v_add_f32_e32 v4, 0, v4
	v_fma_f32 v5, v6, v106, -v5
	v_add_f32_e32 v4, v4, v5
	v_mul_f32_e32 v5, v9, v101
	v_fma_f32 v5, v8, v105, -v5
	v_add_f32_e32 v4, v4, v5
	v_mul_f32_e32 v5, v11, v80
	v_fma_f32 v5, v10, v111, -v5
	v_add_f32_e32 v4, v4, v5
	v_mul_f32_e32 v5, v13, v82
	v_fma_f32 v5, v12, v110, -v5
	v_add_f32_e32 v4, v4, v5
	v_mul_f32_e32 v5, v15, v100
	v_fma_f32 v5, v14, v109, -v5
	v_add_f32_e32 v4, v4, v5
	v_mul_f32_e32 v5, v17, v102
	v_fma_f32 v5, v16, v108, -v5
	v_add_f32_e32 v4, v4, v5
	v_mul_f32_e32 v5, v19, v103
	v_fma_f32 v5, v18, v115, -v5
	v_add_f32_e32 v4, v4, v5
	v_mul_f32_e32 v5, v21, v104
	v_fma_f32 v5, v20, v114, -v5
	v_add_f32_e32 v4, v4, v5
	v_mul_f32_e32 v5, v23, v116
	v_fma_f32 v5, v22, v113, -v5
	v_add_f32_e32 v4, v4, v5
	v_mul_f32_e32 v5, v25, v117
	v_fma_f32 v5, v24, v112, -v5
	v_add_f32_e32 v4, v4, v5
	v_mul_f32_e32 v5, v27, v119
	v_fma_f32 v5, v26, v118, -v5
	v_add_f32_e32 v4, v4, v5
	v_mul_f32_e32 v5, v31, v121
	v_fma_f32 v5, v30, v120, -v5
	v_add_f32_e32 v4, v4, v5
	v_mul_f32_e32 v5, v33, v123
	v_fma_f32 v5, v32, v122, -v5
	v_add_f32_e32 v4, v4, v5
	v_mul_f32_e32 v5, v35, v125
	v_fma_f32 v5, v34, v124, -v5
	v_add_f32_e32 v4, v4, v5
	v_mul_f32_e32 v5, v37, v127
	v_fma_f32 v5, v36, v126, -v5
	v_add_f32_e32 v4, v4, v5
	v_mul_f32_e32 v5, v39, v129
	v_fma_f32 v5, v38, v128, -v5
	v_add_f32_e32 v4, v4, v5
	v_mul_f32_e32 v5, v41, v131
	v_fma_f32 v5, v40, v130, -v5
	v_add_f32_e32 v4, v4, v5
	v_mul_f32_e32 v5, v43, v133
	v_fma_f32 v5, v42, v132, -v5
	v_add_f32_e32 v4, v4, v5
	v_mul_f32_e32 v5, v45, v135
	v_fma_f32 v5, v44, v134, -v5
	v_add_f32_e32 v4, v4, v5
	v_mul_f32_e32 v5, v47, v201
	v_fma_f32 v5, v46, v200, -v5
	v_add_f32_e32 v4, v4, v5
	v_mul_f32_e32 v5, v49, v203
	v_fma_f32 v5, v48, v202, -v5
	v_add_f32_e32 v4, v4, v5
	v_mul_f32_e32 v5, v51, v205
	v_fma_f32 v5, v50, v204, -v5
	v_add_f32_e32 v4, v4, v5
	v_mul_f32_e32 v5, v53, v207
	v_fma_f32 v5, v52, v206, -v5
	v_add_f32_e32 v4, v4, v5
	v_mul_f32_e32 v5, v55, v209
	v_fma_f32 v5, v54, v208, -v5
	v_add_f32_e32 v4, v4, v5
	v_mul_f32_e32 v5, v57, v211
	v_fma_f32 v5, v56, v210, -v5
	v_add_f32_e32 v4, v4, v5
	v_mul_f32_e32 v5, v59, v213
	v_fma_f32 v5, v58, v212, -v5
	v_add_f32_e32 v4, v4, v5
	v_mul_f32_e32 v5, v61, v215
	v_fma_f32 v5, v60, v214, -v5
	v_add_f32_e32 v4, v4, v5
	v_mul_f32_e32 v5, v63, v217
	v_fma_f32 v5, v62, v216, -v5
	v_add_f32_e32 v4, v4, v5
	v_mul_f32_e32 v5, v65, v219
	v_fma_f32 v5, v64, v218, -v5
	v_add_f32_e32 v4, v4, v5
	v_mul_f32_e32 v5, v67, v221
	v_fma_f32 v5, v66, v220, -v5
	v_add_f32_e32 v4, v4, v5
	v_mul_f32_e32 v5, v69, v223
	v_fma_f32 v5, v68, v222, -v5
	v_add_f32_e32 v4, v4, v5
	s_waitcnt vmcnt(20) lgkmcnt(1)
	v_mul_f32_e32 v5, v71, v225
	v_mul_f32_e32 v81, v70, v225
	v_fma_f32 v5, v70, v224, -v5
	v_fmac_f32_e32 v81, v71, v224
	v_add_f32_e32 v78, v4, v5
	s_waitcnt vmcnt(18)
	v_mul_f32_e32 v4, v73, v227
	s_waitcnt vmcnt(9)
	v_mov_b32_e32 v20, v91
	v_add_f32_e32 v79, v79, v81
	v_mul_f32_e32 v81, v72, v227
	v_fma_f32 v80, v72, v226, -v4
	s_waitcnt lgkmcnt(0)
	v_mul_f32_e32 v4, v75, v229
	v_pk_mul_f32 v[20:21], v[76:77], v[20:21] op_sel_hi:[1,0]
	v_fmac_f32_e32 v81, v73, v226
	v_mul_f32_e32 v83, v74, v229
	v_fma_f32 v82, v74, v228, -v4
	ds_read2_b64 v[4:7], v28 offset0:101 offset1:102
	ds_read2_b64 v[8:11], v28 offset0:103 offset1:104
	;; [unrolled: 1-line block ×3, first 2 shown]
	ds_read_b64 v[16:17], v28 offset:856
	s_waitcnt vmcnt(8)
	v_pk_fma_f32 v[22:23], v[76:77], v[90:91], v[20:21] op_sel:[0,0,1] op_sel_hi:[1,1,0] neg_lo:[0,0,1] neg_hi:[0,0,1]
	v_pk_fma_f32 v[20:21], v[76:77], v[90:91], v[20:21] op_sel:[0,0,1] op_sel_hi:[1,0,0]
	v_fmac_f32_e32 v83, v75, v228
	v_pk_add_f32 v[18:19], v[78:79], v[80:81]
	v_mov_b32_e32 v20, v89
	v_pk_add_f32 v[18:19], v[18:19], v[82:83]
	v_mov_b32_e32 v23, v21
	s_waitcnt lgkmcnt(3)
	v_pk_mul_f32 v[20:21], v[4:5], v[20:21] op_sel_hi:[1,0]
	v_pk_add_f32 v[18:19], v[18:19], v[22:23]
	v_pk_fma_f32 v[22:23], v[4:5], v[88:89], v[20:21] op_sel:[0,0,1] op_sel_hi:[1,1,0] neg_lo:[0,0,1] neg_hi:[0,0,1]
	v_pk_fma_f32 v[4:5], v[4:5], v[88:89], v[20:21] op_sel:[0,0,1] op_sel_hi:[1,0,0]
	v_mov_b32_e32 v23, v5
	v_pk_add_f32 v[4:5], v[18:19], v[22:23]
	v_mov_b32_e32 v18, v87
	v_pk_mul_f32 v[18:19], v[6:7], v[18:19] op_sel_hi:[1,0]
	v_pk_fma_f32 v[20:21], v[6:7], v[86:87], v[18:19] op_sel:[0,0,1] op_sel_hi:[1,1,0] neg_lo:[0,0,1] neg_hi:[0,0,1]
	v_pk_fma_f32 v[6:7], v[6:7], v[86:87], v[18:19] op_sel:[0,0,1] op_sel_hi:[1,0,0]
	v_mov_b32_e32 v6, v85
	v_mov_b32_e32 v21, v7
	s_waitcnt lgkmcnt(2)
	v_pk_mul_f32 v[6:7], v[8:9], v[6:7] op_sel_hi:[1,0]
	v_pk_fma_f32 v[18:19], v[8:9], v[84:85], v[6:7] op_sel:[0,0,1] op_sel_hi:[1,1,0] neg_lo:[0,0,1] neg_hi:[0,0,1]
	v_pk_fma_f32 v[6:7], v[8:9], v[84:85], v[6:7] op_sel:[0,0,1] op_sel_hi:[1,0,0]
	s_waitcnt vmcnt(1)
	v_mov_b32_e32 v6, v99
	v_mov_b32_e32 v19, v7
	v_pk_mul_f32 v[6:7], v[10:11], v[6:7] op_sel_hi:[1,0]
	s_waitcnt vmcnt(0)
	v_pk_fma_f32 v[8:9], v[10:11], v[98:99], v[6:7] op_sel:[0,0,1] op_sel_hi:[1,1,0] neg_lo:[0,0,1] neg_hi:[0,0,1]
	v_pk_fma_f32 v[6:7], v[10:11], v[98:99], v[6:7] op_sel:[0,0,1] op_sel_hi:[1,0,0]
	v_pk_add_f32 v[4:5], v[4:5], v[20:21]
	v_mov_b32_e32 v6, v97
	v_pk_add_f32 v[4:5], v[4:5], v[18:19]
	v_mov_b32_e32 v9, v7
	s_waitcnt lgkmcnt(1)
	v_pk_mul_f32 v[6:7], v[12:13], v[6:7] op_sel_hi:[1,0]
	v_pk_add_f32 v[4:5], v[4:5], v[8:9]
	v_pk_fma_f32 v[8:9], v[12:13], v[96:97], v[6:7] op_sel:[0,0,1] op_sel_hi:[1,1,0] neg_lo:[0,0,1] neg_hi:[0,0,1]
	v_pk_fma_f32 v[6:7], v[12:13], v[96:97], v[6:7] op_sel:[0,0,1] op_sel_hi:[1,0,0]
	v_mov_b32_e32 v6, v95
	v_mov_b32_e32 v9, v7
	v_pk_mul_f32 v[6:7], v[14:15], v[6:7] op_sel_hi:[1,0]
	v_pk_add_f32 v[4:5], v[4:5], v[8:9]
	v_pk_fma_f32 v[8:9], v[14:15], v[94:95], v[6:7] op_sel:[0,0,1] op_sel_hi:[1,1,0] neg_lo:[0,0,1] neg_hi:[0,0,1]
	v_pk_fma_f32 v[6:7], v[14:15], v[94:95], v[6:7] op_sel:[0,0,1] op_sel_hi:[1,0,0]
	v_mov_b32_e32 v6, v93
	v_mov_b32_e32 v9, v7
	s_waitcnt lgkmcnt(0)
	v_pk_mul_f32 v[6:7], v[16:17], v[6:7] op_sel_hi:[1,0]
	v_pk_add_f32 v[4:5], v[4:5], v[8:9]
	v_pk_fma_f32 v[8:9], v[16:17], v[92:93], v[6:7] op_sel:[0,0,1] op_sel_hi:[1,1,0] neg_lo:[0,0,1] neg_hi:[0,0,1]
	v_pk_fma_f32 v[6:7], v[16:17], v[92:93], v[6:7] op_sel:[0,0,1] op_sel_hi:[1,0,0]
	v_mov_b32_e32 v9, v7
	v_pk_add_f32 v[4:5], v[4:5], v[8:9]
	v_pk_add_f32 v[2:3], v[2:3], v[4:5] neg_lo:[0,1] neg_hi:[0,1]
	buffer_store_dword v3, off, s[0:3], 0 offset:84
	buffer_store_dword v2, off, s[0:3], 0 offset:80
	s_and_saveexec_b64 s[4:5], vcc
	s_cbranch_execz .LBB117_319
; %bb.318:
	buffer_load_dword v2, off, s[0:3], 0 offset:72
	buffer_load_dword v3, off, s[0:3], 0 offset:76
	s_waitcnt vmcnt(0)
	ds_write_b64 v143, v[2:3]
	buffer_store_dword v28, off, s[0:3], 0 offset:72
	buffer_store_dword v28, off, s[0:3], 0 offset:76
.LBB117_319:
	s_or_b64 exec, exec, s[4:5]
	s_waitcnt lgkmcnt(0)
	; wave barrier
	s_waitcnt lgkmcnt(0)
	buffer_load_dword v29, off, s[0:3], 0 offset:84
	buffer_load_dword v78, off, s[0:3], 0 offset:92
	;; [unrolled: 1-line block ×26, first 2 shown]
	ds_read_b128 v[22:25], v28 offset:512
	ds_read_b128 v[18:21], v28 offset:528
	;; [unrolled: 1-line block ×6, first 2 shown]
	buffer_load_dword v120, off, s[0:3], 0 offset:176
	buffer_load_dword v121, off, s[0:3], 0 offset:180
	;; [unrolled: 1-line block ×42, first 2 shown]
	v_cmp_lt_u32_e32 vcc, 8, v0
	s_waitcnt vmcnt(62) lgkmcnt(5)
	v_mul_f32_e32 v30, v22, v29
	v_mul_f32_e32 v31, v24, v78
	s_waitcnt lgkmcnt(4)
	v_mul_f32_e32 v33, v20, v80
	s_waitcnt lgkmcnt(3)
	v_mul_f32_e32 v34, v14, v88
	v_mul_f32_e32 v35, v16, v100
	;; [unrolled: 1-line block ×3, first 2 shown]
	s_waitcnt vmcnt(61) lgkmcnt(2)
	v_mul_f32_e32 v36, v10, v102
	s_waitcnt vmcnt(60)
	v_mul_f32_e32 v37, v12, v103
	s_waitcnt vmcnt(59) lgkmcnt(1)
	v_mul_f32_e32 v38, v6, v104
	s_waitcnt vmcnt(58)
	v_fmac_f32_e32 v32, v19, v105
	s_waitcnt vmcnt(57)
	v_fmac_f32_e32 v31, v25, v106
	;; [unrolled: 2-line block ×3, first 2 shown]
	v_add_f32_e32 v30, 0, v30
	v_add_f32_e32 v30, v30, v31
	;; [unrolled: 1-line block ×3, first 2 shown]
	s_waitcnt vmcnt(52)
	v_fmac_f32_e32 v33, v21, v111
	v_fmac_f32_e32 v34, v15, v110
	v_add_f32_e32 v30, v30, v33
	v_fmac_f32_e32 v35, v17, v109
	v_add_f32_e32 v30, v30, v34
	;; [unrolled: 2-line block ×3, first 2 shown]
	s_waitcnt vmcnt(48)
	v_fmac_f32_e32 v37, v13, v115
	v_add_f32_e32 v30, v30, v36
	v_fmac_f32_e32 v38, v7, v114
	v_add_f32_e32 v30, v30, v37
	s_waitcnt vmcnt(47)
	v_mul_f32_e32 v31, v8, v116
	v_add_f32_e32 v30, v30, v38
	v_fmac_f32_e32 v31, v9, v113
	v_add_f32_e32 v30, v30, v31
	s_waitcnt vmcnt(46) lgkmcnt(0)
	v_mul_f32_e32 v31, v2, v117
	v_fmac_f32_e32 v31, v3, v112
	v_add_f32_e32 v34, v30, v31
	ds_read_b128 v[30:33], v28 offset:608
	s_waitcnt vmcnt(42)
	v_mul_f32_e32 v35, v4, v119
	v_fmac_f32_e32 v35, v5, v118
	buffer_load_dword v226, off, s[0:3], 0 offset:344
	buffer_load_dword v227, off, s[0:3], 0 offset:348
	v_add_f32_e32 v38, v34, v35
	buffer_load_dword v228, off, s[0:3], 0 offset:352
	buffer_load_dword v229, off, s[0:3], 0 offset:356
	ds_read_b128 v[34:37], v28 offset:624
	s_waitcnt vmcnt(44) lgkmcnt(1)
	v_mul_f32_e32 v39, v30, v121
	v_fmac_f32_e32 v39, v31, v120
	v_add_f32_e32 v38, v38, v39
	s_waitcnt vmcnt(42)
	v_mul_f32_e32 v39, v32, v123
	v_fmac_f32_e32 v39, v33, v122
	v_add_f32_e32 v38, v38, v39
	s_waitcnt vmcnt(40) lgkmcnt(0)
	v_mul_f32_e32 v39, v34, v125
	v_fmac_f32_e32 v39, v35, v124
	buffer_load_dword v230, off, s[0:3], 0 offset:360
	buffer_load_dword v231, off, s[0:3], 0 offset:364
	v_add_f32_e32 v42, v38, v39
	ds_read_b128 v[38:41], v28 offset:640
	s_waitcnt vmcnt(40)
	v_mul_f32_e32 v43, v36, v127
	v_fmac_f32_e32 v43, v37, v126
	v_add_f32_e32 v46, v42, v43
	ds_read_b128 v[42:45], v28 offset:656
	s_waitcnt vmcnt(38) lgkmcnt(1)
	v_mul_f32_e32 v47, v38, v129
	v_fmac_f32_e32 v47, v39, v128
	v_add_f32_e32 v46, v46, v47
	s_waitcnt vmcnt(36)
	v_mul_f32_e32 v47, v40, v131
	v_fmac_f32_e32 v47, v41, v130
	v_add_f32_e32 v46, v46, v47
	s_waitcnt vmcnt(34) lgkmcnt(0)
	v_mul_f32_e32 v47, v42, v133
	v_fmac_f32_e32 v47, v43, v132
	v_add_f32_e32 v50, v46, v47
	ds_read_b128 v[46:49], v28 offset:672
	s_waitcnt vmcnt(32)
	v_mul_f32_e32 v51, v44, v135
	v_fmac_f32_e32 v51, v45, v134
	v_add_f32_e32 v54, v50, v51
	ds_read_b128 v[50:53], v28 offset:688
	s_waitcnt vmcnt(30) lgkmcnt(1)
	v_mul_f32_e32 v55, v46, v201
	v_fmac_f32_e32 v55, v47, v200
	v_add_f32_e32 v54, v54, v55
	s_waitcnt vmcnt(28)
	v_mul_f32_e32 v55, v48, v203
	v_fmac_f32_e32 v55, v49, v202
	v_add_f32_e32 v54, v54, v55
	s_waitcnt vmcnt(26) lgkmcnt(0)
	v_mul_f32_e32 v55, v50, v205
	v_fmac_f32_e32 v55, v51, v204
	;; [unrolled: 18-line block ×4, first 2 shown]
	s_waitcnt vmcnt(8)
	v_mul_f32_e32 v75, v68, v223
	v_add_f32_e32 v74, v70, v71
	v_fmac_f32_e32 v75, v69, v222
	ds_read_b128 v[70:73], v28 offset:768
	v_add_f32_e32 v79, v74, v75
	ds_read_b128 v[74:77], v28 offset:784
	buffer_load_dword v83, off, s[0:3], 0 offset:388
	buffer_load_dword v82, off, s[0:3], 0 offset:384
	;; [unrolled: 1-line block ×16, first 2 shown]
	v_mul_f32_e32 v23, v23, v29
	v_fma_f32 v22, v22, v107, -v23
	v_mul_f32_e32 v23, v25, v78
	v_add_f32_e32 v22, 0, v22
	v_fma_f32 v23, v24, v106, -v23
	v_mul_f32_e32 v19, v19, v101
	v_add_f32_e32 v22, v22, v23
	;; [unrolled: 3-line block ×11, first 2 shown]
	v_fma_f32 v3, v4, v118, -v3
	v_add_f32_e32 v2, v2, v3
	v_mul_f32_e32 v3, v31, v121
	v_fma_f32 v3, v30, v120, -v3
	v_add_f32_e32 v2, v2, v3
	v_mul_f32_e32 v3, v33, v123
	;; [unrolled: 3-line block ×20, first 2 shown]
	v_fma_f32 v3, v68, v222, -v3
	v_add_f32_e32 v2, v2, v3
	s_waitcnt vmcnt(22) lgkmcnt(1)
	v_mul_f32_e32 v3, v71, v225
	v_fma_f32 v3, v70, v224, -v3
	v_add_f32_e32 v2, v2, v3
	s_waitcnt vmcnt(20)
	v_mul_f32_e32 v3, v73, v227
	v_mul_f32_e32 v81, v70, v225
	v_fma_f32 v3, v72, v226, -v3
	v_fmac_f32_e32 v81, v71, v224
	v_add_f32_e32 v78, v2, v3
	s_waitcnt vmcnt(18) lgkmcnt(0)
	v_mul_f32_e32 v2, v75, v229
	v_add_f32_e32 v79, v79, v81
	v_mul_f32_e32 v81, v72, v227
	v_fma_f32 v80, v74, v228, -v2
	s_waitcnt vmcnt(16)
	v_mul_f32_e32 v2, v77, v231
	v_fmac_f32_e32 v81, v73, v226
	v_fma_f32 v88, v76, v230, -v2
	ds_read_b128 v[2:5], v28 offset:800
	ds_read_b128 v[6:9], v28 offset:816
	ds_read_b128 v[10:13], v28 offset:832
	ds_read_b128 v[14:17], v28 offset:848
	v_add_f32_e32 v79, v79, v81
	v_mul_f32_e32 v81, v74, v229
	s_waitcnt vmcnt(11)
	v_mov_b32_e32 v20, v87
	v_fmac_f32_e32 v81, v75, v228
	v_mul_f32_e32 v89, v76, v231
	s_waitcnt lgkmcnt(3)
	v_pk_mul_f32 v[20:21], v[2:3], v[20:21] op_sel_hi:[1,0]
	v_fmac_f32_e32 v89, v77, v230
	v_pk_add_f32 v[18:19], v[78:79], v[80:81]
	s_waitcnt vmcnt(10)
	v_pk_fma_f32 v[22:23], v[2:3], v[86:87], v[20:21] op_sel:[0,0,1] op_sel_hi:[1,1,0] neg_lo:[0,0,1] neg_hi:[0,0,1]
	v_pk_fma_f32 v[2:3], v[2:3], v[86:87], v[20:21] op_sel:[0,0,1] op_sel_hi:[1,0,0]
	v_pk_add_f32 v[18:19], v[18:19], v[88:89]
	v_mov_b32_e32 v23, v3
	v_pk_add_f32 v[2:3], v[18:19], v[22:23]
	v_mov_b32_e32 v18, v85
	v_pk_mul_f32 v[18:19], v[4:5], v[18:19] op_sel_hi:[1,0]
	v_pk_fma_f32 v[20:21], v[4:5], v[84:85], v[18:19] op_sel:[0,0,1] op_sel_hi:[1,1,0] neg_lo:[0,0,1] neg_hi:[0,0,1]
	v_pk_fma_f32 v[4:5], v[4:5], v[84:85], v[18:19] op_sel:[0,0,1] op_sel_hi:[1,0,0]
	v_mov_b32_e32 v4, v83
	v_mov_b32_e32 v21, v5
	s_waitcnt lgkmcnt(2)
	v_pk_mul_f32 v[4:5], v[6:7], v[4:5] op_sel_hi:[1,0]
	v_pk_fma_f32 v[18:19], v[6:7], v[82:83], v[4:5] op_sel:[0,0,1] op_sel_hi:[1,1,0] neg_lo:[0,0,1] neg_hi:[0,0,1]
	v_pk_fma_f32 v[4:5], v[6:7], v[82:83], v[4:5] op_sel:[0,0,1] op_sel_hi:[1,0,0]
	s_waitcnt vmcnt(3)
	v_mov_b32_e32 v4, v97
	v_mov_b32_e32 v19, v5
	v_pk_mul_f32 v[4:5], v[8:9], v[4:5] op_sel_hi:[1,0]
	s_waitcnt vmcnt(2)
	v_pk_fma_f32 v[6:7], v[8:9], v[96:97], v[4:5] op_sel:[0,0,1] op_sel_hi:[1,1,0] neg_lo:[0,0,1] neg_hi:[0,0,1]
	v_pk_fma_f32 v[4:5], v[8:9], v[96:97], v[4:5] op_sel:[0,0,1] op_sel_hi:[1,0,0]
	v_pk_add_f32 v[2:3], v[2:3], v[20:21]
	v_mov_b32_e32 v4, v95
	v_pk_add_f32 v[2:3], v[2:3], v[18:19]
	v_mov_b32_e32 v7, v5
	s_waitcnt lgkmcnt(1)
	v_pk_mul_f32 v[4:5], v[10:11], v[4:5] op_sel_hi:[1,0]
	v_pk_add_f32 v[2:3], v[2:3], v[6:7]
	v_pk_fma_f32 v[6:7], v[10:11], v[94:95], v[4:5] op_sel:[0,0,1] op_sel_hi:[1,1,0] neg_lo:[0,0,1] neg_hi:[0,0,1]
	v_pk_fma_f32 v[4:5], v[10:11], v[94:95], v[4:5] op_sel:[0,0,1] op_sel_hi:[1,0,0]
	v_mov_b32_e32 v4, v93
	v_mov_b32_e32 v7, v5
	v_pk_mul_f32 v[4:5], v[12:13], v[4:5] op_sel_hi:[1,0]
	v_pk_add_f32 v[2:3], v[2:3], v[6:7]
	v_pk_fma_f32 v[6:7], v[12:13], v[92:93], v[4:5] op_sel:[0,0,1] op_sel_hi:[1,1,0] neg_lo:[0,0,1] neg_hi:[0,0,1]
	v_pk_fma_f32 v[4:5], v[12:13], v[92:93], v[4:5] op_sel:[0,0,1] op_sel_hi:[1,0,0]
	v_mov_b32_e32 v4, v91
	v_mov_b32_e32 v7, v5
	s_waitcnt lgkmcnt(0)
	v_pk_mul_f32 v[4:5], v[14:15], v[4:5] op_sel_hi:[1,0]
	v_pk_add_f32 v[2:3], v[2:3], v[6:7]
	v_pk_fma_f32 v[6:7], v[14:15], v[90:91], v[4:5] op_sel:[0,0,1] op_sel_hi:[1,1,0] neg_lo:[0,0,1] neg_hi:[0,0,1]
	v_pk_fma_f32 v[4:5], v[14:15], v[90:91], v[4:5] op_sel:[0,0,1] op_sel_hi:[1,0,0]
	s_waitcnt vmcnt(1)
	v_mov_b32_e32 v4, v99
	v_mov_b32_e32 v7, v5
	v_pk_mul_f32 v[4:5], v[16:17], v[4:5] op_sel_hi:[1,0]
	v_pk_add_f32 v[2:3], v[2:3], v[6:7]
	s_waitcnt vmcnt(0)
	v_pk_fma_f32 v[6:7], v[16:17], v[98:99], v[4:5] op_sel:[0,0,1] op_sel_hi:[1,1,0] neg_lo:[0,0,1] neg_hi:[0,0,1]
	v_pk_fma_f32 v[4:5], v[16:17], v[98:99], v[4:5] op_sel:[0,0,1] op_sel_hi:[1,0,0]
	v_mov_b32_e32 v7, v5
	v_pk_add_f32 v[2:3], v[2:3], v[6:7]
	v_pk_add_f32 v[2:3], v[26:27], v[2:3] neg_lo:[0,1] neg_hi:[0,1]
	buffer_store_dword v3, off, s[0:3], 0 offset:76
	buffer_store_dword v2, off, s[0:3], 0 offset:72
	s_and_saveexec_b64 s[4:5], vcc
	s_cbranch_execz .LBB117_321
; %bb.320:
	buffer_load_dword v2, off, s[0:3], 0 offset:64
	buffer_load_dword v3, off, s[0:3], 0 offset:68
	v_mov_b32_e32 v4, 0
	buffer_store_dword v4, off, s[0:3], 0 offset:64
	buffer_store_dword v4, off, s[0:3], 0 offset:68
	s_waitcnt vmcnt(2)
	ds_write_b64 v143, v[2:3]
.LBB117_321:
	s_or_b64 exec, exec, s[4:5]
	v_mov_b32_e32 v210, 0
	s_waitcnt lgkmcnt(0)
	; wave barrier
	s_waitcnt lgkmcnt(0)
	ds_read2_b64 v[2:5], v210 offset0:63 offset1:64
	buffer_load_dword v78, off, s[0:3], 0 offset:64
	buffer_load_dword v79, off, s[0:3], 0 offset:68
	;; [unrolled: 1-line block ×16, first 2 shown]
	v_cmp_lt_u32_e32 vcc, 7, v0
	s_waitcnt vmcnt(12) lgkmcnt(0)
	v_mul_f32_e32 v6, v2, v211
	v_fmac_f32_e32 v6, v3, v80
	s_waitcnt vmcnt(10)
	v_mul_f32_e32 v7, v4, v213
	v_add_f32_e32 v6, 0, v6
	v_fmac_f32_e32 v7, v5, v82
	v_add_f32_e32 v10, v6, v7
	ds_read2_b64 v[6:9], v210 offset0:65 offset1:66
	v_mul_f32_e32 v3, v3, v211
	v_fma_f32 v2, v2, v80, -v3
	v_mul_f32_e32 v3, v5, v213
	v_add_f32_e32 v2, 0, v2
	s_waitcnt vmcnt(8) lgkmcnt(0)
	v_mul_f32_e32 v11, v6, v215
	v_fmac_f32_e32 v11, v7, v86
	v_add_f32_e32 v10, v10, v11
	s_waitcnt vmcnt(6)
	v_mul_f32_e32 v11, v8, v217
	v_fmac_f32_e32 v11, v9, v212
	v_add_f32_e32 v14, v10, v11
	ds_read2_b64 v[10:13], v210 offset0:67 offset1:68
	v_fma_f32 v3, v4, v82, -v3
	v_add_f32_e32 v2, v2, v3
	v_mul_f32_e32 v3, v7, v215
	v_fma_f32 v3, v6, v86, -v3
	s_waitcnt vmcnt(4) lgkmcnt(0)
	v_mul_f32_e32 v15, v10, v219
	v_fmac_f32_e32 v15, v11, v214
	v_add_f32_e32 v14, v14, v15
	s_waitcnt vmcnt(2)
	v_mul_f32_e32 v15, v12, v220
	v_fmac_f32_e32 v15, v13, v216
	v_add_f32_e32 v18, v14, v15
	ds_read2_b64 v[14:17], v210 offset0:69 offset1:70
	buffer_load_dword v222, off, s[0:3], 0 offset:128
	buffer_load_dword v92, off, s[0:3], 0 offset:132
	v_add_f32_e32 v2, v2, v3
	v_mul_f32_e32 v3, v9, v217
	v_fma_f32 v3, v8, v212, -v3
	s_waitcnt vmcnt(2) lgkmcnt(0)
	v_mul_f32_e32 v19, v14, v221
	v_fmac_f32_e32 v19, v15, v218
	v_add_f32_e32 v18, v18, v19
	v_add_f32_e32 v2, v2, v3
	v_mul_f32_e32 v3, v11, v219
	v_fma_f32 v3, v10, v214, -v3
	v_add_f32_e32 v2, v2, v3
	v_mul_f32_e32 v3, v13, v220
	v_fma_f32 v3, v12, v216, -v3
	;; [unrolled: 3-line block ×3, first 2 shown]
	v_add_f32_e32 v2, v2, v3
	s_waitcnt vmcnt(0)
	v_mul_f32_e32 v19, v16, v92
	v_fmac_f32_e32 v19, v17, v222
	v_add_f32_e32 v22, v18, v19
	ds_read2_b64 v[18:21], v210 offset0:71 offset1:72
	buffer_load_dword v93, off, s[0:3], 0 offset:136
	buffer_load_dword v94, off, s[0:3], 0 offset:140
	;; [unrolled: 1-line block ×4, first 2 shown]
	v_mul_f32_e32 v3, v17, v92
	v_fma_f32 v3, v16, v222, -v3
	v_add_f32_e32 v2, v2, v3
	s_waitcnt vmcnt(2) lgkmcnt(0)
	v_mul_f32_e32 v23, v18, v94
	v_fmac_f32_e32 v23, v19, v93
	v_add_f32_e32 v22, v22, v23
	s_waitcnt vmcnt(0)
	v_mul_f32_e32 v23, v20, v96
	v_fmac_f32_e32 v23, v21, v95
	v_add_f32_e32 v26, v22, v23
	ds_read2_b64 v[22:25], v210 offset0:73 offset1:74
	buffer_load_dword v97, off, s[0:3], 0 offset:152
	buffer_load_dword v98, off, s[0:3], 0 offset:156
	buffer_load_dword v99, off, s[0:3], 0 offset:160
	buffer_load_dword v100, off, s[0:3], 0 offset:164
	ds_read2_b64 v[30:33], v210 offset0:75 offset1:76
	buffer_load_dword v101, off, s[0:3], 0 offset:168
	buffer_load_dword v102, off, s[0:3], 0 offset:172
	buffer_load_dword v103, off, s[0:3], 0 offset:176
	buffer_load_dword v104, off, s[0:3], 0 offset:180
	;; [unrolled: 5-line block ×13, first 2 shown]
	v_mul_f32_e32 v3, v19, v94
	v_fma_f32 v3, v18, v93, -v3
	v_add_f32_e32 v2, v2, v3
	v_mul_f32_e32 v3, v21, v96
	v_fma_f32 v3, v20, v95, -v3
	v_add_f32_e32 v2, v2, v3
	s_waitcnt vmcnt(50) lgkmcnt(12)
	v_mul_f32_e32 v27, v22, v98
	v_fmac_f32_e32 v27, v23, v97
	v_add_f32_e32 v26, v26, v27
	s_waitcnt vmcnt(48)
	v_mul_f32_e32 v27, v24, v100
	v_fmac_f32_e32 v27, v25, v99
	v_add_f32_e32 v26, v26, v27
	s_waitcnt vmcnt(46) lgkmcnt(11)
	v_mul_f32_e32 v27, v30, v102
	v_fmac_f32_e32 v27, v31, v101
	v_add_f32_e32 v26, v26, v27
	s_waitcnt vmcnt(44)
	v_mul_f32_e32 v27, v32, v104
	v_fmac_f32_e32 v27, v33, v103
	;; [unrolled: 8-line block ×12, first 2 shown]
	v_add_f32_e32 v26, v26, v27
	s_waitcnt vmcnt(2) lgkmcnt(0)
	v_mul_f32_e32 v27, v74, v233
	v_fmac_f32_e32 v27, v75, v232
	v_add_f32_e32 v81, v26, v27
	ds_read2_b64 v[26:29], v210 offset0:99 offset1:100
	buffer_load_dword v236, off, s[0:3], 0 offset:360
	buffer_load_dword v237, off, s[0:3], 0 offset:364
	;; [unrolled: 1-line block ×18, first 2 shown]
	v_mul_f32_e32 v3, v23, v98
	v_fma_f32 v3, v22, v97, -v3
	v_add_f32_e32 v2, v2, v3
	v_mul_f32_e32 v3, v25, v100
	v_fma_f32 v3, v24, v99, -v3
	v_add_f32_e32 v2, v2, v3
	;; [unrolled: 3-line block ×25, first 2 shown]
	s_waitcnt vmcnt(18)
	v_mul_f32_e32 v2, v77, v235
	s_waitcnt vmcnt(15)
	v_mov_b32_e32 v18, v85
	v_mul_f32_e32 v83, v76, v235
	v_fma_f32 v82, v76, v234, -v2
	s_waitcnt lgkmcnt(0)
	v_mul_f32_e32 v2, v27, v237
	v_pk_mul_f32 v[18:19], v[28:29], v[18:19] op_sel_hi:[1,0]
	v_fmac_f32_e32 v83, v77, v234
	v_mul_f32_e32 v87, v26, v237
	v_fma_f32 v86, v26, v236, -v2
	ds_read2_b64 v[2:5], v210 offset0:101 offset1:102
	ds_read2_b64 v[6:9], v210 offset0:103 offset1:104
	;; [unrolled: 1-line block ×3, first 2 shown]
	ds_read_b64 v[14:15], v210 offset:856
	s_waitcnt vmcnt(14)
	v_pk_fma_f32 v[20:21], v[28:29], v[84:85], v[18:19] op_sel:[0,0,1] op_sel_hi:[1,1,0] neg_lo:[0,0,1] neg_hi:[0,0,1]
	v_pk_fma_f32 v[18:19], v[28:29], v[84:85], v[18:19] op_sel:[0,0,1] op_sel_hi:[1,0,0]
	v_fmac_f32_e32 v87, v27, v236
	v_pk_add_f32 v[16:17], v[80:81], v[82:83]
	s_waitcnt vmcnt(13)
	v_mov_b32_e32 v18, v209
	v_pk_add_f32 v[16:17], v[16:17], v[86:87]
	v_mov_b32_e32 v21, v19
	s_waitcnt lgkmcnt(3)
	v_pk_mul_f32 v[18:19], v[2:3], v[18:19] op_sel_hi:[1,0]
	v_pk_add_f32 v[16:17], v[16:17], v[20:21]
	s_waitcnt vmcnt(12)
	v_pk_fma_f32 v[20:21], v[2:3], v[208:209], v[18:19] op_sel:[0,0,1] op_sel_hi:[1,1,0] neg_lo:[0,0,1] neg_hi:[0,0,1]
	v_pk_fma_f32 v[2:3], v[2:3], v[208:209], v[18:19] op_sel:[0,0,1] op_sel_hi:[1,0,0]
	v_mov_b32_e32 v21, v3
	v_pk_add_f32 v[2:3], v[16:17], v[20:21]
	s_waitcnt vmcnt(11)
	v_mov_b32_e32 v16, v207
	v_pk_mul_f32 v[16:17], v[4:5], v[16:17] op_sel_hi:[1,0]
	s_waitcnt vmcnt(10)
	v_pk_fma_f32 v[18:19], v[4:5], v[206:207], v[16:17] op_sel:[0,0,1] op_sel_hi:[1,1,0] neg_lo:[0,0,1] neg_hi:[0,0,1]
	v_pk_fma_f32 v[4:5], v[4:5], v[206:207], v[16:17] op_sel:[0,0,1] op_sel_hi:[1,0,0]
	s_waitcnt vmcnt(9)
	v_mov_b32_e32 v4, v205
	v_mov_b32_e32 v19, v5
	s_waitcnt lgkmcnt(2)
	v_pk_mul_f32 v[4:5], v[6:7], v[4:5] op_sel_hi:[1,0]
	s_waitcnt vmcnt(8)
	v_pk_fma_f32 v[16:17], v[6:7], v[204:205], v[4:5] op_sel:[0,0,1] op_sel_hi:[1,1,0] neg_lo:[0,0,1] neg_hi:[0,0,1]
	v_pk_fma_f32 v[4:5], v[6:7], v[204:205], v[4:5] op_sel:[0,0,1] op_sel_hi:[1,0,0]
	s_waitcnt vmcnt(7)
	v_mov_b32_e32 v4, v203
	v_mov_b32_e32 v17, v5
	v_pk_mul_f32 v[4:5], v[8:9], v[4:5] op_sel_hi:[1,0]
	s_waitcnt vmcnt(6)
	v_pk_fma_f32 v[6:7], v[8:9], v[202:203], v[4:5] op_sel:[0,0,1] op_sel_hi:[1,1,0] neg_lo:[0,0,1] neg_hi:[0,0,1]
	v_pk_fma_f32 v[4:5], v[8:9], v[202:203], v[4:5] op_sel:[0,0,1] op_sel_hi:[1,0,0]
	v_pk_add_f32 v[2:3], v[2:3], v[18:19]
	s_waitcnt vmcnt(5)
	v_mov_b32_e32 v4, v201
	v_pk_add_f32 v[2:3], v[2:3], v[16:17]
	v_mov_b32_e32 v7, v5
	s_waitcnt lgkmcnt(1)
	v_pk_mul_f32 v[4:5], v[10:11], v[4:5] op_sel_hi:[1,0]
	v_pk_add_f32 v[2:3], v[2:3], v[6:7]
	s_waitcnt vmcnt(4)
	v_pk_fma_f32 v[6:7], v[10:11], v[200:201], v[4:5] op_sel:[0,0,1] op_sel_hi:[1,1,0] neg_lo:[0,0,1] neg_hi:[0,0,1]
	v_pk_fma_f32 v[4:5], v[10:11], v[200:201], v[4:5] op_sel:[0,0,1] op_sel_hi:[1,0,0]
	s_waitcnt vmcnt(3)
	v_mov_b32_e32 v4, v91
	v_mov_b32_e32 v7, v5
	v_pk_mul_f32 v[4:5], v[12:13], v[4:5] op_sel_hi:[1,0]
	v_pk_add_f32 v[2:3], v[2:3], v[6:7]
	s_waitcnt vmcnt(2)
	v_pk_fma_f32 v[6:7], v[12:13], v[90:91], v[4:5] op_sel:[0,0,1] op_sel_hi:[1,1,0] neg_lo:[0,0,1] neg_hi:[0,0,1]
	v_pk_fma_f32 v[4:5], v[12:13], v[90:91], v[4:5] op_sel:[0,0,1] op_sel_hi:[1,0,0]
	s_waitcnt vmcnt(1)
	v_mov_b32_e32 v4, v89
	v_mov_b32_e32 v7, v5
	s_waitcnt lgkmcnt(0)
	v_pk_mul_f32 v[4:5], v[14:15], v[4:5] op_sel_hi:[1,0]
	v_pk_add_f32 v[2:3], v[2:3], v[6:7]
	s_waitcnt vmcnt(0)
	v_pk_fma_f32 v[6:7], v[14:15], v[88:89], v[4:5] op_sel:[0,0,1] op_sel_hi:[1,1,0] neg_lo:[0,0,1] neg_hi:[0,0,1]
	v_pk_fma_f32 v[4:5], v[14:15], v[88:89], v[4:5] op_sel:[0,0,1] op_sel_hi:[1,0,0]
	v_mov_b32_e32 v7, v5
	v_pk_add_f32 v[2:3], v[2:3], v[6:7]
	v_pk_add_f32 v[2:3], v[78:79], v[2:3] neg_lo:[0,1] neg_hi:[0,1]
	buffer_store_dword v3, off, s[0:3], 0 offset:68
	buffer_store_dword v2, off, s[0:3], 0 offset:64
	s_and_saveexec_b64 s[4:5], vcc
	s_cbranch_execz .LBB117_323
; %bb.322:
	buffer_load_dword v2, off, s[0:3], 0 offset:56
	buffer_load_dword v3, off, s[0:3], 0 offset:60
	s_waitcnt vmcnt(0)
	ds_write_b64 v143, v[2:3]
	buffer_store_dword v210, off, s[0:3], 0 offset:56
	buffer_store_dword v210, off, s[0:3], 0 offset:60
.LBB117_323:
	s_or_b64 exec, exec, s[4:5]
	s_waitcnt lgkmcnt(0)
	; wave barrier
	s_waitcnt lgkmcnt(0)
	buffer_load_dword v86, off, s[0:3], 0 offset:68
	buffer_load_dword v88, off, s[0:3], 0 offset:76
	;; [unrolled: 1-line block ×32, first 2 shown]
	ds_read_b128 v[22:25], v210 offset:496
	ds_read_b128 v[18:21], v210 offset:512
	;; [unrolled: 1-line block ×6, first 2 shown]
	buffer_load_dword v133, off, s[0:3], 0 offset:184
	buffer_load_dword v134, off, s[0:3], 0 offset:188
	;; [unrolled: 1-line block ×32, first 2 shown]
	v_cmp_lt_u32_e32 vcc, 6, v0
	s_waitcnt vmcnt(62) lgkmcnt(5)
	v_mul_f32_e32 v28, v22, v86
	v_mul_f32_e32 v29, v24, v88
	s_waitcnt vmcnt(61) lgkmcnt(4)
	v_mul_f32_e32 v31, v20, v90
	s_waitcnt vmcnt(60) lgkmcnt(3)
	v_mul_f32_e32 v32, v14, v106
	s_waitcnt vmcnt(59)
	v_mul_f32_e32 v33, v16, v107
	s_waitcnt vmcnt(58)
	v_mul_f32_e32 v30, v18, v108
	s_waitcnt vmcnt(57) lgkmcnt(2)
	v_mul_f32_e32 v34, v10, v109
	s_waitcnt vmcnt(56)
	v_mul_f32_e32 v35, v12, v110
	s_waitcnt vmcnt(55) lgkmcnt(1)
	v_mul_f32_e32 v36, v6, v111
	s_waitcnt vmcnt(54)
	v_mul_f32_e32 v37, v8, v112
	s_waitcnt vmcnt(53)
	v_fmac_f32_e32 v30, v19, v113
	s_waitcnt vmcnt(52)
	v_fmac_f32_e32 v29, v25, v114
	;; [unrolled: 2-line block ×3, first 2 shown]
	v_add_f32_e32 v28, 0, v28
	v_add_f32_e32 v28, v28, v29
	;; [unrolled: 1-line block ×3, first 2 shown]
	s_waitcnt vmcnt(47)
	v_fmac_f32_e32 v31, v21, v119
	v_fmac_f32_e32 v32, v15, v118
	v_add_f32_e32 v28, v28, v31
	v_fmac_f32_e32 v33, v17, v117
	v_add_f32_e32 v28, v28, v32
	;; [unrolled: 2-line block ×3, first 2 shown]
	s_waitcnt vmcnt(43)
	v_fmac_f32_e32 v35, v13, v123
	v_add_f32_e32 v28, v28, v34
	v_fmac_f32_e32 v36, v7, v122
	v_add_f32_e32 v28, v28, v35
	;; [unrolled: 2-line block ×3, first 2 shown]
	s_waitcnt vmcnt(42) lgkmcnt(0)
	v_mul_f32_e32 v29, v2, v124
	v_add_f32_e32 v28, v28, v37
	v_fmac_f32_e32 v29, v3, v120
	v_add_f32_e32 v32, v28, v29
	ds_read_b128 v[28:31], v210 offset:592
	buffer_load_dword v230, off, s[0:3], 0 offset:312
	buffer_load_dword v231, off, s[0:3], 0 offset:316
	s_waitcnt vmcnt(43)
	v_mul_f32_e32 v33, v4, v125
	s_waitcnt vmcnt(36)
	v_fmac_f32_e32 v33, v5, v132
	v_add_f32_e32 v36, v32, v33
	ds_read_b128 v[32:35], v210 offset:608
	buffer_load_dword v232, off, s[0:3], 0 offset:320
	buffer_load_dword v233, off, s[0:3], 0 offset:324
	;; [unrolled: 1-line block ×8, first 2 shown]
	s_waitcnt lgkmcnt(1)
	v_mul_f32_e32 v37, v28, v127
	v_fmac_f32_e32 v37, v29, v126
	v_add_f32_e32 v36, v36, v37
	v_mul_f32_e32 v37, v30, v129
	v_fmac_f32_e32 v37, v31, v128
	v_add_f32_e32 v36, v36, v37
	s_waitcnt lgkmcnt(0)
	v_mul_f32_e32 v37, v32, v131
	v_fmac_f32_e32 v37, v33, v130
	v_add_f32_e32 v40, v36, v37
	buffer_load_dword v240, off, s[0:3], 0 offset:352
	buffer_load_dword v241, off, s[0:3], 0 offset:356
	;; [unrolled: 1-line block ×4, first 2 shown]
	ds_read_b128 v[36:39], v210 offset:624
	s_waitcnt vmcnt(44)
	v_mul_f32_e32 v41, v34, v134
	v_fmac_f32_e32 v41, v35, v133
	v_add_f32_e32 v44, v40, v41
	ds_read_b128 v[40:43], v210 offset:640
	s_waitcnt vmcnt(42) lgkmcnt(1)
	v_mul_f32_e32 v45, v36, v200
	v_fmac_f32_e32 v45, v37, v135
	v_add_f32_e32 v44, v44, v45
	s_waitcnt vmcnt(40)
	v_mul_f32_e32 v45, v38, v202
	v_fmac_f32_e32 v45, v39, v201
	v_add_f32_e32 v44, v44, v45
	s_waitcnt vmcnt(38) lgkmcnt(0)
	v_mul_f32_e32 v45, v40, v204
	v_fmac_f32_e32 v45, v41, v203
	v_add_f32_e32 v48, v44, v45
	ds_read_b128 v[44:47], v210 offset:656
	s_waitcnt vmcnt(36)
	v_mul_f32_e32 v49, v42, v206
	v_fmac_f32_e32 v49, v43, v205
	v_add_f32_e32 v52, v48, v49
	ds_read_b128 v[48:51], v210 offset:672
	s_waitcnt vmcnt(34) lgkmcnt(1)
	v_mul_f32_e32 v53, v44, v208
	v_fmac_f32_e32 v53, v45, v207
	v_add_f32_e32 v52, v52, v53
	s_waitcnt vmcnt(32)
	v_mul_f32_e32 v53, v46, v211
	v_fmac_f32_e32 v53, v47, v209
	v_add_f32_e32 v52, v52, v53
	s_waitcnt vmcnt(30) lgkmcnt(0)
	v_mul_f32_e32 v53, v48, v213
	v_fmac_f32_e32 v53, v49, v212
	v_add_f32_e32 v56, v52, v53
	;; [unrolled: 18-line block ×4, first 2 shown]
	ds_read_b128 v[68:71], v210 offset:752
	v_mul_f32_e32 v23, v23, v86
	v_fma_f32 v22, v22, v115, -v23
	v_mul_f32_e32 v23, v25, v88
	v_add_f32_e32 v22, 0, v22
	s_waitcnt vmcnt(12)
	v_mul_f32_e32 v73, v66, v231
	v_fmac_f32_e32 v73, v67, v230
	v_add_f32_e32 v76, v72, v73
	ds_read_b128 v[72:75], v210 offset:768
	buffer_load_dword v85, off, s[0:3], 0 offset:372
	buffer_load_dword v84, off, s[0:3], 0 offset:368
	s_waitcnt vmcnt(12) lgkmcnt(1)
	v_mul_f32_e32 v77, v68, v233
	v_fmac_f32_e32 v77, v69, v232
	v_add_f32_e32 v76, v76, v77
	s_waitcnt vmcnt(10)
	v_mul_f32_e32 v77, v70, v235
	v_fmac_f32_e32 v77, v71, v234
	v_add_f32_e32 v76, v76, v77
	s_waitcnt vmcnt(8) lgkmcnt(0)
	v_mul_f32_e32 v77, v72, v237
	v_fmac_f32_e32 v77, v73, v236
	s_waitcnt vmcnt(6)
	v_mul_f32_e32 v81, v74, v239
	v_add_f32_e32 v80, v76, v77
	v_fmac_f32_e32 v81, v75, v238
	ds_read_b128 v[76:79], v210 offset:784
	v_add_f32_e32 v87, v80, v81
	ds_read_b128 v[80:83], v210 offset:800
	buffer_load_dword v93, off, s[0:3], 0 offset:404
	buffer_load_dword v92, off, s[0:3], 0 offset:400
	;; [unrolled: 1-line block ×14, first 2 shown]
	v_fma_f32 v23, v24, v114, -v23
	v_mul_f32_e32 v19, v19, v108
	v_add_f32_e32 v22, v22, v23
	v_fma_f32 v18, v18, v113, -v19
	v_mul_f32_e32 v19, v21, v90
	v_add_f32_e32 v18, v22, v18
	;; [unrolled: 3-line block ×10, first 2 shown]
	v_fma_f32 v3, v4, v132, -v3
	v_add_f32_e32 v2, v2, v3
	v_mul_f32_e32 v3, v29, v127
	v_fma_f32 v3, v28, v126, -v3
	v_add_f32_e32 v2, v2, v3
	v_mul_f32_e32 v3, v31, v129
	;; [unrolled: 3-line block ×24, first 2 shown]
	v_fma_f32 v3, v74, v238, -v3
	s_waitcnt vmcnt(15)
	v_mov_b32_e32 v16, v85
	s_waitcnt lgkmcnt(1)
	v_mul_f32_e32 v89, v76, v241
	v_add_f32_e32 v86, v2, v3
	v_mul_f32_e32 v2, v77, v241
	s_waitcnt lgkmcnt(0)
	v_pk_mul_f32 v[16:17], v[80:81], v[16:17] op_sel_hi:[1,0]
	v_fmac_f32_e32 v89, v77, v240
	v_mul_f32_e32 v91, v78, v243
	v_fma_f32 v88, v76, v240, -v2
	v_mul_f32_e32 v2, v79, v243
	s_waitcnt vmcnt(14)
	v_pk_fma_f32 v[18:19], v[80:81], v[84:85], v[16:17] op_sel:[0,0,1] op_sel_hi:[1,1,0] neg_lo:[0,0,1] neg_hi:[0,0,1]
	v_pk_fma_f32 v[16:17], v[80:81], v[84:85], v[16:17] op_sel:[0,0,1] op_sel_hi:[1,0,0]
	v_fmac_f32_e32 v91, v79, v242
	v_fma_f32 v90, v78, v242, -v2
	v_pk_add_f32 v[14:15], v[86:87], v[88:89]
	s_waitcnt vmcnt(7)
	v_mov_b32_e32 v16, v99
	ds_read_b128 v[2:5], v210 offset:816
	ds_read_b128 v[6:9], v210 offset:832
	;; [unrolled: 1-line block ×3, first 2 shown]
	v_pk_add_f32 v[14:15], v[14:15], v[90:91]
	v_mov_b32_e32 v19, v17
	v_pk_mul_f32 v[16:17], v[82:83], v[16:17] op_sel_hi:[1,0]
	v_pk_add_f32 v[14:15], v[14:15], v[18:19]
	s_waitcnt vmcnt(6)
	v_pk_fma_f32 v[18:19], v[82:83], v[98:99], v[16:17] op_sel:[0,0,1] op_sel_hi:[1,1,0] neg_lo:[0,0,1] neg_hi:[0,0,1]
	v_pk_fma_f32 v[16:17], v[82:83], v[98:99], v[16:17] op_sel:[0,0,1] op_sel_hi:[1,0,0]
	v_mov_b32_e32 v16, v97
	v_mov_b32_e32 v19, v17
	s_waitcnt lgkmcnt(2)
	v_pk_mul_f32 v[16:17], v[2:3], v[16:17] op_sel_hi:[1,0]
	v_pk_add_f32 v[14:15], v[14:15], v[18:19]
	v_pk_fma_f32 v[18:19], v[2:3], v[96:97], v[16:17] op_sel:[0,0,1] op_sel_hi:[1,1,0] neg_lo:[0,0,1] neg_hi:[0,0,1]
	v_pk_fma_f32 v[2:3], v[2:3], v[96:97], v[16:17] op_sel:[0,0,1] op_sel_hi:[1,0,0]
	v_mov_b32_e32 v19, v3
	v_pk_add_f32 v[2:3], v[14:15], v[18:19]
	v_mov_b32_e32 v14, v95
	v_pk_mul_f32 v[14:15], v[4:5], v[14:15] op_sel_hi:[1,0]
	v_pk_fma_f32 v[16:17], v[4:5], v[94:95], v[14:15] op_sel:[0,0,1] op_sel_hi:[1,1,0] neg_lo:[0,0,1] neg_hi:[0,0,1]
	v_pk_fma_f32 v[4:5], v[4:5], v[94:95], v[14:15] op_sel:[0,0,1] op_sel_hi:[1,0,0]
	v_mov_b32_e32 v4, v93
	v_mov_b32_e32 v17, v5
	s_waitcnt lgkmcnt(1)
	v_pk_mul_f32 v[4:5], v[6:7], v[4:5] op_sel_hi:[1,0]
	v_pk_fma_f32 v[14:15], v[6:7], v[92:93], v[4:5] op_sel:[0,0,1] op_sel_hi:[1,1,0] neg_lo:[0,0,1] neg_hi:[0,0,1]
	v_pk_fma_f32 v[4:5], v[6:7], v[92:93], v[4:5] op_sel:[0,0,1] op_sel_hi:[1,0,0]
	s_waitcnt vmcnt(1)
	v_mov_b32_e32 v4, v105
	v_mov_b32_e32 v15, v5
	v_pk_mul_f32 v[4:5], v[8:9], v[4:5] op_sel_hi:[1,0]
	s_waitcnt vmcnt(0)
	v_pk_fma_f32 v[6:7], v[8:9], v[104:105], v[4:5] op_sel:[0,0,1] op_sel_hi:[1,1,0] neg_lo:[0,0,1] neg_hi:[0,0,1]
	v_pk_fma_f32 v[4:5], v[8:9], v[104:105], v[4:5] op_sel:[0,0,1] op_sel_hi:[1,0,0]
	v_pk_add_f32 v[2:3], v[2:3], v[16:17]
	v_mov_b32_e32 v4, v103
	v_pk_add_f32 v[2:3], v[2:3], v[14:15]
	v_mov_b32_e32 v7, v5
	s_waitcnt lgkmcnt(0)
	v_pk_mul_f32 v[4:5], v[10:11], v[4:5] op_sel_hi:[1,0]
	v_pk_add_f32 v[2:3], v[2:3], v[6:7]
	v_pk_fma_f32 v[6:7], v[10:11], v[102:103], v[4:5] op_sel:[0,0,1] op_sel_hi:[1,1,0] neg_lo:[0,0,1] neg_hi:[0,0,1]
	v_pk_fma_f32 v[4:5], v[10:11], v[102:103], v[4:5] op_sel:[0,0,1] op_sel_hi:[1,0,0]
	v_mov_b32_e32 v4, v101
	v_mov_b32_e32 v7, v5
	v_pk_mul_f32 v[4:5], v[12:13], v[4:5] op_sel_hi:[1,0]
	v_pk_add_f32 v[2:3], v[2:3], v[6:7]
	v_pk_fma_f32 v[6:7], v[12:13], v[100:101], v[4:5] op_sel:[0,0,1] op_sel_hi:[1,1,0] neg_lo:[0,0,1] neg_hi:[0,0,1]
	v_pk_fma_f32 v[4:5], v[12:13], v[100:101], v[4:5] op_sel:[0,0,1] op_sel_hi:[1,0,0]
	v_mov_b32_e32 v7, v5
	v_pk_add_f32 v[2:3], v[2:3], v[6:7]
	v_pk_add_f32 v[2:3], v[26:27], v[2:3] neg_lo:[0,1] neg_hi:[0,1]
	buffer_store_dword v3, off, s[0:3], 0 offset:60
	buffer_store_dword v2, off, s[0:3], 0 offset:56
	s_and_saveexec_b64 s[4:5], vcc
	s_cbranch_execz .LBB117_325
; %bb.324:
	buffer_load_dword v2, off, s[0:3], 0 offset:48
	buffer_load_dword v3, off, s[0:3], 0 offset:52
	v_mov_b32_e32 v4, 0
	buffer_store_dword v4, off, s[0:3], 0 offset:48
	buffer_store_dword v4, off, s[0:3], 0 offset:52
	s_waitcnt vmcnt(2)
	ds_write_b64 v143, v[2:3]
.LBB117_325:
	s_or_b64 exec, exec, s[4:5]
	s_waitcnt lgkmcnt(0)
	; wave barrier
	s_waitcnt lgkmcnt(0)
	buffer_load_dword v33, off, s[0:3], 0 offset:60
	buffer_load_dword v32, off, s[0:3], 0 offset:68
	;; [unrolled: 1-line block ×48, first 2 shown]
	v_mov_b32_e32 v36, 0
	ds_read2_b64 v[22:25], v36 offset0:61 offset1:62
	ds_read2_b64 v[18:21], v36 offset0:63 offset1:64
	;; [unrolled: 1-line block ×6, first 2 shown]
	buffer_load_dword v214, off, s[0:3], 0 offset:240
	buffer_load_dword v215, off, s[0:3], 0 offset:244
	;; [unrolled: 1-line block ×12, first 2 shown]
	v_cmp_lt_u32_e32 vcc, 5, v0
	s_waitcnt vmcnt(59) lgkmcnt(5)
	v_mul_f32_e32 v35, v22, v33
	s_waitcnt vmcnt(58)
	v_mul_f32_e32 v38, v24, v32
	s_waitcnt vmcnt(57) lgkmcnt(4)
	v_mul_f32_e32 v40, v20, v31
	s_waitcnt vmcnt(56) lgkmcnt(3)
	v_mul_f32_e32 v41, v14, v30
	s_waitcnt vmcnt(55)
	v_mul_f32_e32 v42, v16, v28
	s_waitcnt vmcnt(54)
	v_mul_f32_e32 v39, v18, v34
	s_waitcnt vmcnt(53) lgkmcnt(2)
	v_mul_f32_e32 v43, v10, v29
	s_waitcnt vmcnt(52)
	v_mul_f32_e32 v44, v12, v37
	s_waitcnt vmcnt(51) lgkmcnt(1)
	v_mul_f32_e32 v45, v6, v94
	s_waitcnt vmcnt(50)
	v_mul_f32_e32 v46, v8, v96
	s_waitcnt vmcnt(49)
	v_fmac_f32_e32 v39, v19, v114
	s_waitcnt vmcnt(48)
	v_fmac_f32_e32 v38, v25, v115
	;; [unrolled: 2-line block ×3, first 2 shown]
	v_add_f32_e32 v35, 0, v35
	v_add_f32_e32 v35, v35, v38
	v_add_f32_e32 v35, v35, v39
	s_waitcnt vmcnt(43)
	v_fmac_f32_e32 v40, v21, v120
	v_fmac_f32_e32 v41, v15, v119
	v_add_f32_e32 v35, v35, v40
	v_fmac_f32_e32 v42, v17, v118
	v_add_f32_e32 v35, v35, v41
	;; [unrolled: 2-line block ×3, first 2 shown]
	s_waitcnt vmcnt(39)
	v_fmac_f32_e32 v44, v13, v124
	v_add_f32_e32 v35, v35, v43
	v_fmac_f32_e32 v45, v7, v123
	v_add_f32_e32 v35, v35, v44
	v_fmac_f32_e32 v46, v9, v122
	v_add_f32_e32 v35, v35, v45
	s_waitcnt vmcnt(38) lgkmcnt(0)
	v_mul_f32_e32 v38, v2, v125
	v_add_f32_e32 v35, v35, v46
	v_fmac_f32_e32 v38, v3, v121
	v_add_f32_e32 v35, v35, v38
	ds_read2_b64 v[38:41], v36 offset0:73 offset1:74
	buffer_load_dword v226, off, s[0:3], 0 offset:288
	buffer_load_dword v227, off, s[0:3], 0 offset:292
	;; [unrolled: 1-line block ×4, first 2 shown]
	s_waitcnt vmcnt(35)
	v_mul_f32_e32 v42, v4, v132
	s_waitcnt vmcnt(34)
	v_fmac_f32_e32 v42, v5, v133
	v_add_f32_e32 v35, v35, v42
	ds_read2_b64 v[42:45], v36 offset0:75 offset1:76
	buffer_load_dword v230, off, s[0:3], 0 offset:304
	buffer_load_dword v231, off, s[0:3], 0 offset:308
	;; [unrolled: 1-line block ×10, first 2 shown]
	s_waitcnt lgkmcnt(1)
	v_mul_f32_e32 v46, v38, v127
	v_fmac_f32_e32 v46, v39, v126
	v_add_f32_e32 v35, v35, v46
	v_mul_f32_e32 v46, v40, v129
	v_fmac_f32_e32 v46, v41, v128
	v_add_f32_e32 v35, v35, v46
	s_waitcnt lgkmcnt(0)
	v_mul_f32_e32 v46, v42, v131
	v_fmac_f32_e32 v46, v43, v130
	v_add_f32_e32 v35, v35, v46
	buffer_load_dword v240, off, s[0:3], 0 offset:344
	buffer_load_dword v241, off, s[0:3], 0 offset:348
	;; [unrolled: 1-line block ×6, first 2 shown]
	ds_read2_b64 v[46:49], v36 offset0:77 offset1:78
	s_waitcnt vmcnt(46)
	v_mul_f32_e32 v50, v44, v135
	v_fmac_f32_e32 v50, v45, v134
	v_add_f32_e32 v35, v35, v50
	ds_read2_b64 v[50:53], v36 offset0:79 offset1:80
	s_waitcnt vmcnt(44) lgkmcnt(1)
	v_mul_f32_e32 v54, v46, v201
	v_fmac_f32_e32 v54, v47, v200
	v_add_f32_e32 v35, v35, v54
	s_waitcnt vmcnt(42)
	v_mul_f32_e32 v54, v48, v203
	v_fmac_f32_e32 v54, v49, v202
	v_add_f32_e32 v35, v35, v54
	s_waitcnt vmcnt(40) lgkmcnt(0)
	v_mul_f32_e32 v54, v50, v205
	v_fmac_f32_e32 v54, v51, v204
	v_add_f32_e32 v35, v35, v54
	ds_read2_b64 v[54:57], v36 offset0:81 offset1:82
	s_waitcnt vmcnt(38)
	v_mul_f32_e32 v58, v52, v207
	v_fmac_f32_e32 v58, v53, v206
	v_add_f32_e32 v35, v35, v58
	ds_read2_b64 v[58:61], v36 offset0:83 offset1:84
	s_waitcnt vmcnt(36) lgkmcnt(1)
	v_mul_f32_e32 v62, v54, v209
	v_fmac_f32_e32 v62, v55, v208
	v_add_f32_e32 v35, v35, v62
	s_waitcnt vmcnt(34)
	v_mul_f32_e32 v62, v56, v211
	v_fmac_f32_e32 v62, v57, v210
	v_add_f32_e32 v35, v35, v62
	s_waitcnt vmcnt(32) lgkmcnt(0)
	v_mul_f32_e32 v62, v58, v213
	v_fmac_f32_e32 v62, v59, v212
	v_add_f32_e32 v35, v35, v62
	;; [unrolled: 18-line block ×3, first 2 shown]
	ds_read2_b64 v[70:73], v36 offset0:89 offset1:90
	s_waitcnt vmcnt(22)
	v_mul_f32_e32 v74, v68, v223
	v_fmac_f32_e32 v74, v69, v222
	v_add_f32_e32 v35, v35, v74
	ds_read2_b64 v[74:77], v36 offset0:91 offset1:92
	s_waitcnt vmcnt(20) lgkmcnt(1)
	v_mul_f32_e32 v78, v70, v225
	v_fmac_f32_e32 v78, v71, v224
	v_add_f32_e32 v35, v35, v78
	v_mul_f32_e32 v23, v23, v33
	v_fma_f32 v22, v22, v116, -v23
	v_mul_f32_e32 v23, v25, v32
	v_add_f32_e32 v22, 0, v22
	v_fma_f32 v23, v24, v115, -v23
	v_mul_f32_e32 v19, v19, v34
	v_add_f32_e32 v22, v22, v23
	v_fma_f32 v18, v18, v114, -v19
	v_mul_f32_e32 v19, v21, v31
	s_waitcnt vmcnt(18)
	v_mul_f32_e32 v78, v72, v227
	v_fmac_f32_e32 v78, v73, v226
	v_add_f32_e32 v35, v35, v78
	s_waitcnt vmcnt(16) lgkmcnt(0)
	v_mul_f32_e32 v78, v74, v229
	v_fmac_f32_e32 v78, v75, v228
	v_add_f32_e32 v35, v35, v78
	ds_read2_b64 v[78:81], v36 offset0:93 offset1:94
	s_waitcnt vmcnt(14)
	v_mul_f32_e32 v82, v76, v231
	v_fmac_f32_e32 v82, v77, v230
	v_add_f32_e32 v35, v35, v82
	ds_read2_b64 v[82:85], v36 offset0:95 offset1:96
	s_waitcnt vmcnt(12) lgkmcnt(1)
	v_mul_f32_e32 v86, v78, v233
	v_fmac_f32_e32 v86, v79, v232
	v_add_f32_e32 v35, v35, v86
	s_waitcnt vmcnt(10)
	v_mul_f32_e32 v86, v80, v235
	v_fmac_f32_e32 v86, v81, v234
	v_add_f32_e32 v35, v35, v86
	s_waitcnt vmcnt(8) lgkmcnt(0)
	v_mul_f32_e32 v86, v82, v237
	v_fmac_f32_e32 v86, v83, v236
	s_waitcnt vmcnt(6)
	v_mul_f32_e32 v90, v84, v239
	v_add_f32_e32 v35, v35, v86
	v_fmac_f32_e32 v90, v85, v238
	ds_read2_b64 v[86:89], v36 offset0:97 offset1:98
	v_add_f32_e32 v35, v35, v90
	ds_read2_b64 v[90:93], v36 offset0:99 offset1:100
	buffer_load_dword v99, off, s[0:3], 0 offset:396
	buffer_load_dword v98, off, s[0:3], 0 offset:392
	;; [unrolled: 1-line block ×16, first 2 shown]
	v_add_f32_e32 v18, v22, v18
	v_fma_f32 v19, v20, v120, -v19
	v_mul_f32_e32 v15, v15, v30
	v_add_f32_e32 v18, v18, v19
	v_fma_f32 v14, v14, v119, -v15
	v_mul_f32_e32 v15, v17, v28
	;; [unrolled: 3-line block ×8, first 2 shown]
	v_add_f32_e32 v2, v6, v2
	v_fma_f32 v3, v4, v133, -v3
	v_add_f32_e32 v2, v2, v3
	v_mul_f32_e32 v3, v39, v127
	v_fma_f32 v3, v38, v126, -v3
	v_add_f32_e32 v2, v2, v3
	v_mul_f32_e32 v3, v41, v129
	;; [unrolled: 3-line block ×24, first 2 shown]
	v_fma_f32 v3, v84, v238, -v3
	v_add_f32_e32 v2, v2, v3
	s_waitcnt vmcnt(20) lgkmcnt(1)
	v_mul_f32_e32 v3, v87, v241
	v_mul_f32_e32 v95, v86, v241
	v_fma_f32 v3, v86, v240, -v3
	v_fmac_f32_e32 v95, v87, v240
	v_add_f32_e32 v34, v2, v3
	s_waitcnt vmcnt(18)
	v_mul_f32_e32 v2, v89, v243
	s_waitcnt vmcnt(9)
	v_mov_b32_e32 v18, v105
	v_add_f32_e32 v35, v35, v95
	v_mul_f32_e32 v95, v88, v243
	v_fma_f32 v94, v88, v242, -v2
	s_waitcnt lgkmcnt(0)
	v_mul_f32_e32 v2, v91, v245
	v_pk_mul_f32 v[18:19], v[92:93], v[18:19] op_sel_hi:[1,0]
	v_fmac_f32_e32 v95, v89, v242
	v_mul_f32_e32 v97, v90, v245
	v_fma_f32 v96, v90, v244, -v2
	ds_read2_b64 v[2:5], v36 offset0:101 offset1:102
	ds_read2_b64 v[6:9], v36 offset0:103 offset1:104
	ds_read2_b64 v[10:13], v36 offset0:105 offset1:106
	ds_read_b64 v[14:15], v36 offset:856
	s_waitcnt vmcnt(8)
	v_pk_fma_f32 v[20:21], v[92:93], v[104:105], v[18:19] op_sel:[0,0,1] op_sel_hi:[1,1,0] neg_lo:[0,0,1] neg_hi:[0,0,1]
	v_pk_fma_f32 v[18:19], v[92:93], v[104:105], v[18:19] op_sel:[0,0,1] op_sel_hi:[1,0,0]
	v_fmac_f32_e32 v97, v91, v244
	v_pk_add_f32 v[16:17], v[34:35], v[94:95]
	v_mov_b32_e32 v18, v103
	v_pk_add_f32 v[16:17], v[16:17], v[96:97]
	v_mov_b32_e32 v21, v19
	s_waitcnt lgkmcnt(3)
	v_pk_mul_f32 v[18:19], v[2:3], v[18:19] op_sel_hi:[1,0]
	v_pk_add_f32 v[16:17], v[16:17], v[20:21]
	v_pk_fma_f32 v[20:21], v[2:3], v[102:103], v[18:19] op_sel:[0,0,1] op_sel_hi:[1,1,0] neg_lo:[0,0,1] neg_hi:[0,0,1]
	v_pk_fma_f32 v[2:3], v[2:3], v[102:103], v[18:19] op_sel:[0,0,1] op_sel_hi:[1,0,0]
	v_mov_b32_e32 v21, v3
	v_pk_add_f32 v[2:3], v[16:17], v[20:21]
	v_mov_b32_e32 v16, v101
	v_pk_mul_f32 v[16:17], v[4:5], v[16:17] op_sel_hi:[1,0]
	v_pk_fma_f32 v[18:19], v[4:5], v[100:101], v[16:17] op_sel:[0,0,1] op_sel_hi:[1,1,0] neg_lo:[0,0,1] neg_hi:[0,0,1]
	v_pk_fma_f32 v[4:5], v[4:5], v[100:101], v[16:17] op_sel:[0,0,1] op_sel_hi:[1,0,0]
	v_mov_b32_e32 v4, v99
	v_mov_b32_e32 v19, v5
	s_waitcnt lgkmcnt(2)
	v_pk_mul_f32 v[4:5], v[6:7], v[4:5] op_sel_hi:[1,0]
	v_pk_fma_f32 v[16:17], v[6:7], v[98:99], v[4:5] op_sel:[0,0,1] op_sel_hi:[1,1,0] neg_lo:[0,0,1] neg_hi:[0,0,1]
	v_pk_fma_f32 v[4:5], v[6:7], v[98:99], v[4:5] op_sel:[0,0,1] op_sel_hi:[1,0,0]
	s_waitcnt vmcnt(1)
	v_mov_b32_e32 v4, v113
	v_mov_b32_e32 v17, v5
	v_pk_mul_f32 v[4:5], v[8:9], v[4:5] op_sel_hi:[1,0]
	s_waitcnt vmcnt(0)
	v_pk_fma_f32 v[6:7], v[8:9], v[112:113], v[4:5] op_sel:[0,0,1] op_sel_hi:[1,1,0] neg_lo:[0,0,1] neg_hi:[0,0,1]
	v_pk_fma_f32 v[4:5], v[8:9], v[112:113], v[4:5] op_sel:[0,0,1] op_sel_hi:[1,0,0]
	v_pk_add_f32 v[2:3], v[2:3], v[18:19]
	v_mov_b32_e32 v4, v111
	v_pk_add_f32 v[2:3], v[2:3], v[16:17]
	v_mov_b32_e32 v7, v5
	s_waitcnt lgkmcnt(1)
	v_pk_mul_f32 v[4:5], v[10:11], v[4:5] op_sel_hi:[1,0]
	v_pk_add_f32 v[2:3], v[2:3], v[6:7]
	v_pk_fma_f32 v[6:7], v[10:11], v[110:111], v[4:5] op_sel:[0,0,1] op_sel_hi:[1,1,0] neg_lo:[0,0,1] neg_hi:[0,0,1]
	v_pk_fma_f32 v[4:5], v[10:11], v[110:111], v[4:5] op_sel:[0,0,1] op_sel_hi:[1,0,0]
	v_mov_b32_e32 v4, v109
	v_mov_b32_e32 v7, v5
	v_pk_mul_f32 v[4:5], v[12:13], v[4:5] op_sel_hi:[1,0]
	v_pk_add_f32 v[2:3], v[2:3], v[6:7]
	v_pk_fma_f32 v[6:7], v[12:13], v[108:109], v[4:5] op_sel:[0,0,1] op_sel_hi:[1,1,0] neg_lo:[0,0,1] neg_hi:[0,0,1]
	v_pk_fma_f32 v[4:5], v[12:13], v[108:109], v[4:5] op_sel:[0,0,1] op_sel_hi:[1,0,0]
	v_mov_b32_e32 v4, v107
	v_mov_b32_e32 v7, v5
	s_waitcnt lgkmcnt(0)
	v_pk_mul_f32 v[4:5], v[14:15], v[4:5] op_sel_hi:[1,0]
	v_pk_add_f32 v[2:3], v[2:3], v[6:7]
	v_pk_fma_f32 v[6:7], v[14:15], v[106:107], v[4:5] op_sel:[0,0,1] op_sel_hi:[1,1,0] neg_lo:[0,0,1] neg_hi:[0,0,1]
	v_pk_fma_f32 v[4:5], v[14:15], v[106:107], v[4:5] op_sel:[0,0,1] op_sel_hi:[1,0,0]
	v_mov_b32_e32 v7, v5
	v_pk_add_f32 v[2:3], v[2:3], v[6:7]
	v_pk_add_f32 v[2:3], v[26:27], v[2:3] neg_lo:[0,1] neg_hi:[0,1]
	buffer_store_dword v3, off, s[0:3], 0 offset:52
	buffer_store_dword v2, off, s[0:3], 0 offset:48
	s_and_saveexec_b64 s[4:5], vcc
	s_cbranch_execz .LBB117_327
; %bb.326:
	buffer_load_dword v2, off, s[0:3], 0 offset:40
	buffer_load_dword v3, off, s[0:3], 0 offset:44
	s_waitcnt vmcnt(0)
	ds_write_b64 v143, v[2:3]
	buffer_store_dword v36, off, s[0:3], 0 offset:40
	buffer_store_dword v36, off, s[0:3], 0 offset:44
.LBB117_327:
	s_or_b64 exec, exec, s[4:5]
	s_waitcnt lgkmcnt(0)
	; wave barrier
	s_waitcnt lgkmcnt(0)
	buffer_load_dword v42, off, s[0:3], 0 offset:52
	buffer_load_dword v41, off, s[0:3], 0 offset:60
	;; [unrolled: 1-line block ×32, first 2 shown]
	ds_read_b128 v[22:25], v36 offset:480
	ds_read_b128 v[18:21], v36 offset:496
	;; [unrolled: 1-line block ×6, first 2 shown]
	buffer_load_dword v134, off, s[0:3], 0 offset:168
	buffer_load_dword v135, off, s[0:3], 0 offset:172
	;; [unrolled: 1-line block ×26, first 2 shown]
	v_cmp_lt_u32_e32 vcc, 4, v0
	s_waitcnt vmcnt(57) lgkmcnt(5)
	v_mul_f32_e32 v26, v22, v42
	s_waitcnt vmcnt(56)
	v_mul_f32_e32 v27, v24, v41
	s_waitcnt vmcnt(55) lgkmcnt(4)
	v_mul_f32_e32 v29, v20, v40
	s_waitcnt vmcnt(54) lgkmcnt(3)
	v_mul_f32_e32 v30, v14, v39
	s_waitcnt vmcnt(53)
	v_mul_f32_e32 v31, v16, v37
	s_waitcnt vmcnt(52)
	v_mul_f32_e32 v28, v18, v43
	s_waitcnt vmcnt(51) lgkmcnt(2)
	v_mul_f32_e32 v32, v10, v38
	s_waitcnt vmcnt(50)
	v_mul_f32_e32 v33, v12, v44
	s_waitcnt vmcnt(49) lgkmcnt(1)
	v_mul_f32_e32 v45, v6, v94
	s_waitcnt vmcnt(48)
	v_mul_f32_e32 v46, v8, v102
	s_waitcnt vmcnt(47) lgkmcnt(0)
	v_mul_f32_e32 v47, v2, v114
	s_waitcnt vmcnt(46)
	v_fmac_f32_e32 v28, v19, v115
	s_waitcnt vmcnt(45)
	v_fmac_f32_e32 v27, v25, v116
	;; [unrolled: 2-line block ×3, first 2 shown]
	v_add_f32_e32 v26, 0, v26
	v_add_f32_e32 v26, v26, v27
	;; [unrolled: 1-line block ×3, first 2 shown]
	s_waitcnt vmcnt(40)
	v_fmac_f32_e32 v29, v21, v121
	v_fmac_f32_e32 v30, v15, v120
	v_add_f32_e32 v26, v26, v29
	v_fmac_f32_e32 v31, v17, v119
	v_add_f32_e32 v26, v26, v30
	;; [unrolled: 2-line block ×3, first 2 shown]
	s_waitcnt vmcnt(36)
	v_fmac_f32_e32 v33, v13, v125
	v_add_f32_e32 v26, v26, v32
	v_fmac_f32_e32 v45, v7, v124
	v_add_f32_e32 v26, v26, v33
	;; [unrolled: 2-line block ×4, first 2 shown]
	s_waitcnt vmcnt(30)
	v_mul_f32_e32 v27, v4, v131
	v_add_f32_e32 v26, v26, v47
	s_waitcnt vmcnt(29)
	v_fmac_f32_e32 v27, v5, v132
	v_add_f32_e32 v45, v26, v27
	ds_read_b128 v[26:29], v36 offset:576
	buffer_load_dword v224, off, s[0:3], 0 offset:272
	buffer_load_dword v225, off, s[0:3], 0 offset:276
	ds_read_b128 v[30:33], v36 offset:592
	buffer_load_dword v226, off, s[0:3], 0 offset:280
	buffer_load_dword v227, off, s[0:3], 0 offset:284
	;; [unrolled: 1-line block ×14, first 2 shown]
	s_waitcnt vmcnt(44) lgkmcnt(1)
	v_mul_f32_e32 v46, v26, v133
	v_fmac_f32_e32 v46, v27, v130
	v_add_f32_e32 v45, v45, v46
	v_mul_f32_e32 v46, v28, v127
	v_fmac_f32_e32 v46, v29, v126
	v_add_f32_e32 v45, v45, v46
	s_waitcnt lgkmcnt(0)
	v_mul_f32_e32 v46, v30, v129
	v_fmac_f32_e32 v46, v31, v128
	v_add_f32_e32 v45, v45, v46
	buffer_load_dword v240, off, s[0:3], 0 offset:336
	buffer_load_dword v241, off, s[0:3], 0 offset:340
	ds_read_b128 v[46:49], v36 offset:608
	s_waitcnt vmcnt(42)
	v_mul_f32_e32 v50, v32, v135
	v_fmac_f32_e32 v50, v33, v134
	buffer_load_dword v242, off, s[0:3], 0 offset:344
	buffer_load_dword v243, off, s[0:3], 0 offset:348
	v_add_f32_e32 v45, v45, v50
	buffer_load_dword v244, off, s[0:3], 0 offset:352
	buffer_load_dword v245, off, s[0:3], 0 offset:356
	ds_read_b128 v[50:53], v36 offset:624
	s_waitcnt vmcnt(44) lgkmcnt(1)
	v_mul_f32_e32 v54, v46, v201
	v_fmac_f32_e32 v54, v47, v200
	v_add_f32_e32 v45, v45, v54
	s_waitcnt vmcnt(42)
	v_mul_f32_e32 v54, v48, v203
	v_fmac_f32_e32 v54, v49, v202
	v_add_f32_e32 v45, v45, v54
	s_waitcnt vmcnt(40) lgkmcnt(0)
	v_mul_f32_e32 v54, v50, v205
	v_fmac_f32_e32 v54, v51, v204
	buffer_load_dword v246, off, s[0:3], 0 offset:360
	buffer_load_dword v247, off, s[0:3], 0 offset:364
	v_add_f32_e32 v45, v45, v54
	ds_read_b128 v[54:57], v36 offset:640
	s_waitcnt vmcnt(40)
	v_mul_f32_e32 v58, v52, v207
	v_fmac_f32_e32 v58, v53, v206
	v_add_f32_e32 v45, v45, v58
	ds_read_b128 v[58:61], v36 offset:656
	s_waitcnt vmcnt(38) lgkmcnt(1)
	v_mul_f32_e32 v62, v54, v209
	v_fmac_f32_e32 v62, v55, v208
	v_add_f32_e32 v45, v45, v62
	s_waitcnt vmcnt(36)
	v_mul_f32_e32 v62, v56, v211
	v_fmac_f32_e32 v62, v57, v210
	v_add_f32_e32 v45, v45, v62
	s_waitcnt vmcnt(34) lgkmcnt(0)
	v_mul_f32_e32 v62, v58, v213
	v_fmac_f32_e32 v62, v59, v212
	v_add_f32_e32 v45, v45, v62
	ds_read_b128 v[62:65], v36 offset:672
	s_waitcnt vmcnt(32)
	v_mul_f32_e32 v66, v60, v215
	v_fmac_f32_e32 v66, v61, v214
	v_add_f32_e32 v45, v45, v66
	ds_read_b128 v[66:69], v36 offset:688
	s_waitcnt vmcnt(30) lgkmcnt(1)
	v_mul_f32_e32 v70, v62, v217
	v_fmac_f32_e32 v70, v63, v216
	v_add_f32_e32 v45, v45, v70
	s_waitcnt vmcnt(28)
	v_mul_f32_e32 v70, v64, v219
	v_fmac_f32_e32 v70, v65, v218
	v_add_f32_e32 v45, v45, v70
	s_waitcnt vmcnt(26) lgkmcnt(0)
	v_mul_f32_e32 v70, v66, v221
	v_fmac_f32_e32 v70, v67, v220
	v_add_f32_e32 v45, v45, v70
	ds_read_b128 v[70:73], v36 offset:704
	s_waitcnt vmcnt(24)
	v_mul_f32_e32 v74, v68, v223
	v_fmac_f32_e32 v74, v69, v222
	v_add_f32_e32 v45, v45, v74
	ds_read_b128 v[74:77], v36 offset:720
	v_mul_f32_e32 v23, v23, v42
	v_fma_f32 v22, v22, v117, -v23
	v_mul_f32_e32 v23, v25, v41
	v_add_f32_e32 v22, 0, v22
	v_fma_f32 v23, v24, v116, -v23
	v_mul_f32_e32 v19, v19, v43
	v_add_f32_e32 v22, v22, v23
	;; [unrolled: 3-line block ×3, first 2 shown]
	v_fma_f32 v19, v20, v121, -v19
	s_waitcnt vmcnt(22) lgkmcnt(1)
	v_mul_f32_e32 v78, v70, v225
	v_fmac_f32_e32 v78, v71, v224
	v_add_f32_e32 v45, v45, v78
	s_waitcnt vmcnt(20)
	v_mul_f32_e32 v78, v72, v227
	v_fmac_f32_e32 v78, v73, v226
	v_add_f32_e32 v45, v45, v78
	s_waitcnt vmcnt(18) lgkmcnt(0)
	v_mul_f32_e32 v78, v74, v229
	v_fmac_f32_e32 v78, v75, v228
	v_add_f32_e32 v45, v45, v78
	ds_read_b128 v[78:81], v36 offset:736
	s_waitcnt vmcnt(16)
	v_mul_f32_e32 v82, v76, v231
	v_fmac_f32_e32 v82, v77, v230
	v_add_f32_e32 v45, v45, v82
	ds_read_b128 v[82:85], v36 offset:752
	s_waitcnt vmcnt(14) lgkmcnt(1)
	v_mul_f32_e32 v86, v78, v233
	v_fmac_f32_e32 v86, v79, v232
	v_add_f32_e32 v45, v45, v86
	s_waitcnt vmcnt(12)
	v_mul_f32_e32 v86, v80, v235
	v_fmac_f32_e32 v86, v81, v234
	v_add_f32_e32 v45, v45, v86
	s_waitcnt vmcnt(10) lgkmcnt(0)
	v_mul_f32_e32 v86, v82, v237
	v_fmac_f32_e32 v86, v83, v236
	s_waitcnt vmcnt(8)
	v_mul_f32_e32 v90, v84, v239
	v_add_f32_e32 v45, v45, v86
	v_fmac_f32_e32 v90, v85, v238
	ds_read_b128 v[86:89], v36 offset:768
	v_add_f32_e32 v45, v45, v90
	ds_read_b128 v[90:93], v36 offset:784
	buffer_load_dword v97, off, s[0:3], 0 offset:388
	buffer_load_dword v96, off, s[0:3], 0 offset:384
	;; [unrolled: 1-line block ×16, first 2 shown]
	v_mul_f32_e32 v15, v15, v39
	v_add_f32_e32 v18, v18, v19
	v_fma_f32 v14, v14, v120, -v15
	v_mul_f32_e32 v15, v17, v37
	v_add_f32_e32 v14, v18, v14
	v_fma_f32 v15, v16, v119, -v15
	;; [unrolled: 3-line block ×8, first 2 shown]
	v_add_f32_e32 v2, v2, v3
	v_mul_f32_e32 v3, v27, v133
	v_fma_f32 v3, v26, v130, -v3
	v_add_f32_e32 v2, v2, v3
	v_mul_f32_e32 v3, v29, v127
	v_fma_f32 v3, v28, v126, -v3
	;; [unrolled: 3-line block ×24, first 2 shown]
	v_add_f32_e32 v2, v2, v3
	s_waitcnt vmcnt(22) lgkmcnt(1)
	v_mul_f32_e32 v3, v87, v241
	v_fma_f32 v3, v86, v240, -v3
	v_add_f32_e32 v2, v2, v3
	s_waitcnt vmcnt(20)
	v_mul_f32_e32 v3, v89, v243
	v_mul_f32_e32 v95, v86, v241
	v_fma_f32 v3, v88, v242, -v3
	v_fmac_f32_e32 v95, v87, v240
	v_add_f32_e32 v44, v2, v3
	s_waitcnt vmcnt(18) lgkmcnt(0)
	v_mul_f32_e32 v2, v91, v245
	v_add_f32_e32 v45, v45, v95
	v_mul_f32_e32 v95, v88, v243
	v_fma_f32 v94, v90, v244, -v2
	s_waitcnt vmcnt(16)
	v_mul_f32_e32 v2, v93, v247
	v_fmac_f32_e32 v95, v89, v242
	v_fma_f32 v102, v92, v246, -v2
	ds_read_b128 v[2:5], v36 offset:800
	ds_read_b128 v[6:9], v36 offset:816
	;; [unrolled: 1-line block ×4, first 2 shown]
	v_add_f32_e32 v45, v45, v95
	v_mul_f32_e32 v95, v90, v245
	s_waitcnt vmcnt(11)
	v_mov_b32_e32 v20, v101
	v_fmac_f32_e32 v95, v91, v244
	v_mul_f32_e32 v103, v92, v247
	s_waitcnt lgkmcnt(3)
	v_pk_mul_f32 v[20:21], v[2:3], v[20:21] op_sel_hi:[1,0]
	v_fmac_f32_e32 v103, v93, v246
	v_pk_add_f32 v[18:19], v[44:45], v[94:95]
	s_waitcnt vmcnt(10)
	v_pk_fma_f32 v[22:23], v[2:3], v[100:101], v[20:21] op_sel:[0,0,1] op_sel_hi:[1,1,0] neg_lo:[0,0,1] neg_hi:[0,0,1]
	v_pk_fma_f32 v[2:3], v[2:3], v[100:101], v[20:21] op_sel:[0,0,1] op_sel_hi:[1,0,0]
	v_pk_add_f32 v[18:19], v[18:19], v[102:103]
	v_mov_b32_e32 v23, v3
	v_pk_add_f32 v[2:3], v[18:19], v[22:23]
	v_mov_b32_e32 v18, v99
	v_pk_mul_f32 v[18:19], v[4:5], v[18:19] op_sel_hi:[1,0]
	v_pk_fma_f32 v[20:21], v[4:5], v[98:99], v[18:19] op_sel:[0,0,1] op_sel_hi:[1,1,0] neg_lo:[0,0,1] neg_hi:[0,0,1]
	v_pk_fma_f32 v[4:5], v[4:5], v[98:99], v[18:19] op_sel:[0,0,1] op_sel_hi:[1,0,0]
	v_mov_b32_e32 v4, v97
	v_mov_b32_e32 v21, v5
	s_waitcnt lgkmcnt(2)
	v_pk_mul_f32 v[4:5], v[6:7], v[4:5] op_sel_hi:[1,0]
	v_pk_fma_f32 v[18:19], v[6:7], v[96:97], v[4:5] op_sel:[0,0,1] op_sel_hi:[1,1,0] neg_lo:[0,0,1] neg_hi:[0,0,1]
	v_pk_fma_f32 v[4:5], v[6:7], v[96:97], v[4:5] op_sel:[0,0,1] op_sel_hi:[1,0,0]
	s_waitcnt vmcnt(3)
	v_mov_b32_e32 v4, v111
	v_mov_b32_e32 v19, v5
	v_pk_mul_f32 v[4:5], v[8:9], v[4:5] op_sel_hi:[1,0]
	s_waitcnt vmcnt(2)
	v_pk_fma_f32 v[6:7], v[8:9], v[110:111], v[4:5] op_sel:[0,0,1] op_sel_hi:[1,1,0] neg_lo:[0,0,1] neg_hi:[0,0,1]
	v_pk_fma_f32 v[4:5], v[8:9], v[110:111], v[4:5] op_sel:[0,0,1] op_sel_hi:[1,0,0]
	v_pk_add_f32 v[2:3], v[2:3], v[20:21]
	v_mov_b32_e32 v4, v109
	v_pk_add_f32 v[2:3], v[2:3], v[18:19]
	v_mov_b32_e32 v7, v5
	s_waitcnt lgkmcnt(1)
	v_pk_mul_f32 v[4:5], v[10:11], v[4:5] op_sel_hi:[1,0]
	v_pk_add_f32 v[2:3], v[2:3], v[6:7]
	v_pk_fma_f32 v[6:7], v[10:11], v[108:109], v[4:5] op_sel:[0,0,1] op_sel_hi:[1,1,0] neg_lo:[0,0,1] neg_hi:[0,0,1]
	v_pk_fma_f32 v[4:5], v[10:11], v[108:109], v[4:5] op_sel:[0,0,1] op_sel_hi:[1,0,0]
	v_mov_b32_e32 v4, v107
	v_mov_b32_e32 v7, v5
	v_pk_mul_f32 v[4:5], v[12:13], v[4:5] op_sel_hi:[1,0]
	v_pk_add_f32 v[2:3], v[2:3], v[6:7]
	v_pk_fma_f32 v[6:7], v[12:13], v[106:107], v[4:5] op_sel:[0,0,1] op_sel_hi:[1,1,0] neg_lo:[0,0,1] neg_hi:[0,0,1]
	v_pk_fma_f32 v[4:5], v[12:13], v[106:107], v[4:5] op_sel:[0,0,1] op_sel_hi:[1,0,0]
	v_mov_b32_e32 v4, v105
	v_mov_b32_e32 v7, v5
	s_waitcnt lgkmcnt(0)
	v_pk_mul_f32 v[4:5], v[14:15], v[4:5] op_sel_hi:[1,0]
	v_pk_add_f32 v[2:3], v[2:3], v[6:7]
	v_pk_fma_f32 v[6:7], v[14:15], v[104:105], v[4:5] op_sel:[0,0,1] op_sel_hi:[1,1,0] neg_lo:[0,0,1] neg_hi:[0,0,1]
	v_pk_fma_f32 v[4:5], v[14:15], v[104:105], v[4:5] op_sel:[0,0,1] op_sel_hi:[1,0,0]
	s_waitcnt vmcnt(1)
	v_mov_b32_e32 v4, v113
	v_mov_b32_e32 v7, v5
	v_pk_mul_f32 v[4:5], v[16:17], v[4:5] op_sel_hi:[1,0]
	v_pk_add_f32 v[2:3], v[2:3], v[6:7]
	s_waitcnt vmcnt(0)
	v_pk_fma_f32 v[6:7], v[16:17], v[112:113], v[4:5] op_sel:[0,0,1] op_sel_hi:[1,1,0] neg_lo:[0,0,1] neg_hi:[0,0,1]
	v_pk_fma_f32 v[4:5], v[16:17], v[112:113], v[4:5] op_sel:[0,0,1] op_sel_hi:[1,0,0]
	v_mov_b32_e32 v7, v5
	v_pk_add_f32 v[2:3], v[2:3], v[6:7]
	v_pk_add_f32 v[2:3], v[34:35], v[2:3] neg_lo:[0,1] neg_hi:[0,1]
	buffer_store_dword v3, off, s[0:3], 0 offset:44
	buffer_store_dword v2, off, s[0:3], 0 offset:40
	s_and_saveexec_b64 s[4:5], vcc
	s_cbranch_execz .LBB117_329
; %bb.328:
	buffer_load_dword v2, off, s[0:3], 0 offset:32
	buffer_load_dword v3, off, s[0:3], 0 offset:36
	v_mov_b32_e32 v4, 0
	buffer_store_dword v4, off, s[0:3], 0 offset:32
	buffer_store_dword v4, off, s[0:3], 0 offset:36
	s_waitcnt vmcnt(2)
	ds_write_b64 v143, v[2:3]
.LBB117_329:
	s_or_b64 exec, exec, s[4:5]
	v_mov_b32_e32 v218, 0
	s_waitcnt lgkmcnt(0)
	; wave barrier
	s_waitcnt lgkmcnt(0)
	ds_read2_b64 v[2:5], v218 offset0:59 offset1:60
	buffer_load_dword v86, off, s[0:3], 0 offset:32
	buffer_load_dword v87, off, s[0:3], 0 offset:36
	;; [unrolled: 1-line block ×16, first 2 shown]
	v_cmp_lt_u32_e32 vcc, 3, v0
	s_waitcnt vmcnt(12) lgkmcnt(0)
	v_mul_f32_e32 v6, v2, v219
	v_fmac_f32_e32 v6, v3, v88
	s_waitcnt vmcnt(10)
	v_mul_f32_e32 v7, v4, v221
	v_add_f32_e32 v6, 0, v6
	v_fmac_f32_e32 v7, v5, v90
	v_add_f32_e32 v10, v6, v7
	ds_read2_b64 v[6:9], v218 offset0:61 offset1:62
	v_mul_f32_e32 v3, v3, v219
	v_fma_f32 v2, v2, v88, -v3
	v_mul_f32_e32 v3, v5, v221
	v_add_f32_e32 v2, 0, v2
	s_waitcnt vmcnt(8) lgkmcnt(0)
	v_mul_f32_e32 v11, v6, v223
	v_fmac_f32_e32 v11, v7, v202
	v_add_f32_e32 v10, v10, v11
	s_waitcnt vmcnt(6)
	v_mul_f32_e32 v11, v8, v225
	v_fmac_f32_e32 v11, v9, v220
	v_add_f32_e32 v14, v10, v11
	ds_read2_b64 v[10:13], v218 offset0:63 offset1:64
	v_fma_f32 v3, v4, v90, -v3
	v_add_f32_e32 v2, v2, v3
	v_mul_f32_e32 v3, v7, v223
	v_fma_f32 v3, v6, v202, -v3
	s_waitcnt vmcnt(4) lgkmcnt(0)
	v_mul_f32_e32 v15, v10, v227
	v_fmac_f32_e32 v15, v11, v222
	v_add_f32_e32 v14, v14, v15
	s_waitcnt vmcnt(2)
	v_mul_f32_e32 v15, v12, v228
	v_fmac_f32_e32 v15, v13, v224
	v_add_f32_e32 v18, v14, v15
	ds_read2_b64 v[14:17], v218 offset0:65 offset1:66
	buffer_load_dword v230, off, s[0:3], 0 offset:96
	buffer_load_dword v231, off, s[0:3], 0 offset:100
	v_add_f32_e32 v2, v2, v3
	v_mul_f32_e32 v3, v9, v225
	v_fma_f32 v3, v8, v220, -v3
	s_waitcnt vmcnt(2) lgkmcnt(0)
	v_mul_f32_e32 v19, v14, v229
	v_fmac_f32_e32 v19, v15, v226
	v_add_f32_e32 v18, v18, v19
	v_add_f32_e32 v2, v2, v3
	v_mul_f32_e32 v3, v11, v227
	v_fma_f32 v3, v10, v222, -v3
	v_add_f32_e32 v2, v2, v3
	v_mul_f32_e32 v3, v13, v228
	v_fma_f32 v3, v12, v224, -v3
	v_add_f32_e32 v2, v2, v3
	v_mul_f32_e32 v3, v15, v229
	v_fma_f32 v3, v14, v226, -v3
	v_add_f32_e32 v2, v2, v3
	s_waitcnt vmcnt(0)
	v_mul_f32_e32 v19, v16, v231
	v_fmac_f32_e32 v19, v17, v230
	v_add_f32_e32 v22, v18, v19
	ds_read2_b64 v[18:21], v218 offset0:67 offset1:68
	buffer_load_dword v232, off, s[0:3], 0 offset:104
	buffer_load_dword v233, off, s[0:3], 0 offset:108
	;; [unrolled: 1-line block ×4, first 2 shown]
	v_mul_f32_e32 v3, v17, v231
	v_fma_f32 v3, v16, v230, -v3
	v_add_f32_e32 v2, v2, v3
	s_waitcnt vmcnt(2) lgkmcnt(0)
	v_mul_f32_e32 v23, v18, v233
	v_fmac_f32_e32 v23, v19, v232
	v_add_f32_e32 v22, v22, v23
	s_waitcnt vmcnt(0)
	v_mul_f32_e32 v23, v20, v235
	v_fmac_f32_e32 v23, v21, v234
	v_add_f32_e32 v26, v22, v23
	ds_read2_b64 v[22:25], v218 offset0:69 offset1:70
	buffer_load_dword v236, off, s[0:3], 0 offset:120
	buffer_load_dword v237, off, s[0:3], 0 offset:124
	;; [unrolled: 1-line block ×4, first 2 shown]
	v_mul_f32_e32 v3, v19, v233
	v_fma_f32 v3, v18, v232, -v3
	v_add_f32_e32 v2, v2, v3
	v_mul_f32_e32 v3, v21, v235
	v_fma_f32 v3, v20, v234, -v3
	v_add_f32_e32 v2, v2, v3
	s_waitcnt vmcnt(2) lgkmcnt(0)
	v_mul_f32_e32 v27, v22, v237
	v_fmac_f32_e32 v27, v23, v236
	v_add_f32_e32 v26, v26, v27
	s_waitcnt vmcnt(0)
	v_mul_f32_e32 v27, v24, v92
	v_fmac_f32_e32 v27, v25, v238
	v_add_f32_e32 v30, v26, v27
	ds_read2_b64 v[26:29], v218 offset0:71 offset1:72
	buffer_load_dword v93, off, s[0:3], 0 offset:136
	buffer_load_dword v94, off, s[0:3], 0 offset:140
	;; [unrolled: 1-line block ×4, first 2 shown]
	v_mul_f32_e32 v3, v23, v237
	v_fma_f32 v3, v22, v236, -v3
	v_add_f32_e32 v2, v2, v3
	v_mul_f32_e32 v3, v25, v92
	v_fma_f32 v3, v24, v238, -v3
	v_add_f32_e32 v2, v2, v3
	s_waitcnt vmcnt(2) lgkmcnt(0)
	v_mul_f32_e32 v31, v26, v94
	v_fmac_f32_e32 v31, v27, v93
	v_add_f32_e32 v30, v30, v31
	s_waitcnt vmcnt(0)
	v_mul_f32_e32 v31, v28, v96
	v_fmac_f32_e32 v31, v29, v95
	v_add_f32_e32 v34, v30, v31
	ds_read2_b64 v[30:33], v218 offset0:73 offset1:74
	buffer_load_dword v97, off, s[0:3], 0 offset:152
	buffer_load_dword v98, off, s[0:3], 0 offset:156
	buffer_load_dword v99, off, s[0:3], 0 offset:160
	buffer_load_dword v100, off, s[0:3], 0 offset:164
	ds_read2_b64 v[38:41], v218 offset0:75 offset1:76
	buffer_load_dword v101, off, s[0:3], 0 offset:168
	buffer_load_dword v102, off, s[0:3], 0 offset:172
	buffer_load_dword v103, off, s[0:3], 0 offset:176
	buffer_load_dword v104, off, s[0:3], 0 offset:180
	ds_read2_b64 v[42:45], v218 offset0:77 offset1:78
	buffer_load_dword v105, off, s[0:3], 0 offset:184
	buffer_load_dword v239, off, s[0:3], 0 offset:188
	buffer_load_dword v240, off, s[0:3], 0 offset:192
	buffer_load_dword v241, off, s[0:3], 0 offset:196
	ds_read2_b64 v[46:49], v218 offset0:79 offset1:80
	buffer_load_dword v242, off, s[0:3], 0 offset:200
	buffer_load_dword v243, off, s[0:3], 0 offset:204
	buffer_load_dword v244, off, s[0:3], 0 offset:208
	buffer_load_dword v245, off, s[0:3], 0 offset:212
	ds_read2_b64 v[50:53], v218 offset0:81 offset1:82
	buffer_load_dword v246, off, s[0:3], 0 offset:216
	buffer_load_dword v247, off, s[0:3], 0 offset:220
	buffer_load_dword v106, off, s[0:3], 0 offset:224
	buffer_load_dword v107, off, s[0:3], 0 offset:228
	ds_read2_b64 v[54:57], v218 offset0:83 offset1:84
	buffer_load_dword v108, off, s[0:3], 0 offset:232
	buffer_load_dword v109, off, s[0:3], 0 offset:236
	buffer_load_dword v110, off, s[0:3], 0 offset:240
	buffer_load_dword v111, off, s[0:3], 0 offset:244
	ds_read2_b64 v[58:61], v218 offset0:85 offset1:86
	buffer_load_dword v112, off, s[0:3], 0 offset:248
	buffer_load_dword v113, off, s[0:3], 0 offset:252
	buffer_load_dword v114, off, s[0:3], 0 offset:256
	buffer_load_dword v115, off, s[0:3], 0 offset:260
	ds_read2_b64 v[62:65], v218 offset0:87 offset1:88
	buffer_load_dword v116, off, s[0:3], 0 offset:264
	buffer_load_dword v117, off, s[0:3], 0 offset:268
	buffer_load_dword v118, off, s[0:3], 0 offset:272
	buffer_load_dword v119, off, s[0:3], 0 offset:276
	ds_read2_b64 v[66:69], v218 offset0:89 offset1:90
	buffer_load_dword v120, off, s[0:3], 0 offset:280
	buffer_load_dword v121, off, s[0:3], 0 offset:284
	buffer_load_dword v122, off, s[0:3], 0 offset:288
	buffer_load_dword v123, off, s[0:3], 0 offset:292
	ds_read2_b64 v[70:73], v218 offset0:91 offset1:92
	buffer_load_dword v124, off, s[0:3], 0 offset:296
	buffer_load_dword v125, off, s[0:3], 0 offset:300
	buffer_load_dword v126, off, s[0:3], 0 offset:304
	buffer_load_dword v127, off, s[0:3], 0 offset:308
	ds_read2_b64 v[74:77], v218 offset0:93 offset1:94
	buffer_load_dword v128, off, s[0:3], 0 offset:312
	buffer_load_dword v129, off, s[0:3], 0 offset:316
	buffer_load_dword v130, off, s[0:3], 0 offset:320
	buffer_load_dword v131, off, s[0:3], 0 offset:324
	ds_read2_b64 v[78:81], v218 offset0:95 offset1:96
	buffer_load_dword v132, off, s[0:3], 0 offset:328
	buffer_load_dword v133, off, s[0:3], 0 offset:332
	buffer_load_dword v134, off, s[0:3], 0 offset:336
	buffer_load_dword v135, off, s[0:3], 0 offset:340
	ds_read2_b64 v[82:85], v218 offset0:97 offset1:98
	buffer_load_dword v248, off, s[0:3], 0 offset:344
	buffer_load_dword v249, off, s[0:3], 0 offset:348
	buffer_load_dword v250, off, s[0:3], 0 offset:352
	buffer_load_dword v251, off, s[0:3], 0 offset:356
	v_mul_f32_e32 v3, v27, v94
	v_fma_f32 v3, v26, v93, -v3
	v_add_f32_e32 v2, v2, v3
	v_mul_f32_e32 v3, v29, v96
	v_fma_f32 v3, v28, v95, -v3
	v_add_f32_e32 v2, v2, v3
	s_waitcnt vmcnt(50) lgkmcnt(12)
	v_mul_f32_e32 v35, v30, v98
	v_fmac_f32_e32 v35, v31, v97
	v_add_f32_e32 v34, v34, v35
	s_waitcnt vmcnt(48)
	v_mul_f32_e32 v35, v32, v100
	v_fmac_f32_e32 v35, v33, v99
	v_add_f32_e32 v34, v34, v35
	s_waitcnt vmcnt(46) lgkmcnt(11)
	v_mul_f32_e32 v35, v38, v102
	v_fmac_f32_e32 v35, v39, v101
	v_add_f32_e32 v34, v34, v35
	s_waitcnt vmcnt(44)
	v_mul_f32_e32 v35, v40, v104
	v_fmac_f32_e32 v35, v41, v103
	;; [unrolled: 8-line block ×12, first 2 shown]
	v_add_f32_e32 v34, v34, v35
	s_waitcnt vmcnt(2) lgkmcnt(0)
	v_mul_f32_e32 v35, v82, v249
	v_fmac_f32_e32 v35, v83, v248
	v_add_f32_e32 v89, v34, v35
	ds_read2_b64 v[34:37], v218 offset0:99 offset1:100
	buffer_load_dword v252, off, s[0:3], 0 offset:360
	buffer_load_dword v253, off, s[0:3], 0 offset:364
	buffer_load_dword v201, off, s[0:3], 0 offset:372
	buffer_load_dword v200, off, s[0:3], 0 offset:368
	buffer_load_dword v217, off, s[0:3], 0 offset:380
	buffer_load_dword v216, off, s[0:3], 0 offset:376
	buffer_load_dword v215, off, s[0:3], 0 offset:388
	buffer_load_dword v214, off, s[0:3], 0 offset:384
	buffer_load_dword v213, off, s[0:3], 0 offset:396
	buffer_load_dword v212, off, s[0:3], 0 offset:392
	buffer_load_dword v211, off, s[0:3], 0 offset:404
	buffer_load_dword v210, off, s[0:3], 0 offset:400
	buffer_load_dword v209, off, s[0:3], 0 offset:412
	buffer_load_dword v208, off, s[0:3], 0 offset:408
	buffer_load_dword v207, off, s[0:3], 0 offset:420
	buffer_load_dword v206, off, s[0:3], 0 offset:416
	buffer_load_dword v205, off, s[0:3], 0 offset:428
	buffer_load_dword v204, off, s[0:3], 0 offset:424
	v_mul_f32_e32 v3, v31, v98
	v_fma_f32 v3, v30, v97, -v3
	v_add_f32_e32 v2, v2, v3
	v_mul_f32_e32 v3, v33, v100
	v_fma_f32 v3, v32, v99, -v3
	v_add_f32_e32 v2, v2, v3
	;; [unrolled: 3-line block ×25, first 2 shown]
	s_waitcnt vmcnt(18)
	v_mul_f32_e32 v2, v85, v251
	s_waitcnt vmcnt(15)
	v_mov_b32_e32 v18, v201
	v_mul_f32_e32 v91, v84, v251
	v_fma_f32 v90, v84, v250, -v2
	s_waitcnt lgkmcnt(0)
	v_mul_f32_e32 v2, v35, v253
	v_pk_mul_f32 v[18:19], v[36:37], v[18:19] op_sel_hi:[1,0]
	v_fmac_f32_e32 v91, v85, v250
	v_mul_f32_e32 v203, v34, v253
	v_fma_f32 v202, v34, v252, -v2
	ds_read2_b64 v[2:5], v218 offset0:101 offset1:102
	ds_read2_b64 v[6:9], v218 offset0:103 offset1:104
	;; [unrolled: 1-line block ×3, first 2 shown]
	ds_read_b64 v[14:15], v218 offset:856
	s_waitcnt vmcnt(14)
	v_pk_fma_f32 v[20:21], v[36:37], v[200:201], v[18:19] op_sel:[0,0,1] op_sel_hi:[1,1,0] neg_lo:[0,0,1] neg_hi:[0,0,1]
	v_pk_fma_f32 v[18:19], v[36:37], v[200:201], v[18:19] op_sel:[0,0,1] op_sel_hi:[1,0,0]
	v_fmac_f32_e32 v203, v35, v252
	v_pk_add_f32 v[16:17], v[88:89], v[90:91]
	s_waitcnt vmcnt(13)
	v_mov_b32_e32 v18, v217
	v_pk_add_f32 v[16:17], v[16:17], v[202:203]
	v_mov_b32_e32 v21, v19
	s_waitcnt lgkmcnt(3)
	v_pk_mul_f32 v[18:19], v[2:3], v[18:19] op_sel_hi:[1,0]
	v_pk_add_f32 v[16:17], v[16:17], v[20:21]
	s_waitcnt vmcnt(12)
	v_pk_fma_f32 v[20:21], v[2:3], v[216:217], v[18:19] op_sel:[0,0,1] op_sel_hi:[1,1,0] neg_lo:[0,0,1] neg_hi:[0,0,1]
	v_pk_fma_f32 v[2:3], v[2:3], v[216:217], v[18:19] op_sel:[0,0,1] op_sel_hi:[1,0,0]
	v_mov_b32_e32 v21, v3
	v_pk_add_f32 v[2:3], v[16:17], v[20:21]
	s_waitcnt vmcnt(11)
	v_mov_b32_e32 v16, v215
	v_pk_mul_f32 v[16:17], v[4:5], v[16:17] op_sel_hi:[1,0]
	s_waitcnt vmcnt(10)
	v_pk_fma_f32 v[18:19], v[4:5], v[214:215], v[16:17] op_sel:[0,0,1] op_sel_hi:[1,1,0] neg_lo:[0,0,1] neg_hi:[0,0,1]
	v_pk_fma_f32 v[4:5], v[4:5], v[214:215], v[16:17] op_sel:[0,0,1] op_sel_hi:[1,0,0]
	s_waitcnt vmcnt(9)
	v_mov_b32_e32 v4, v213
	v_mov_b32_e32 v19, v5
	s_waitcnt lgkmcnt(2)
	v_pk_mul_f32 v[4:5], v[6:7], v[4:5] op_sel_hi:[1,0]
	s_waitcnt vmcnt(8)
	v_pk_fma_f32 v[16:17], v[6:7], v[212:213], v[4:5] op_sel:[0,0,1] op_sel_hi:[1,1,0] neg_lo:[0,0,1] neg_hi:[0,0,1]
	v_pk_fma_f32 v[4:5], v[6:7], v[212:213], v[4:5] op_sel:[0,0,1] op_sel_hi:[1,0,0]
	s_waitcnt vmcnt(7)
	v_mov_b32_e32 v4, v211
	v_mov_b32_e32 v17, v5
	v_pk_mul_f32 v[4:5], v[8:9], v[4:5] op_sel_hi:[1,0]
	s_waitcnt vmcnt(6)
	v_pk_fma_f32 v[6:7], v[8:9], v[210:211], v[4:5] op_sel:[0,0,1] op_sel_hi:[1,1,0] neg_lo:[0,0,1] neg_hi:[0,0,1]
	v_pk_fma_f32 v[4:5], v[8:9], v[210:211], v[4:5] op_sel:[0,0,1] op_sel_hi:[1,0,0]
	v_pk_add_f32 v[2:3], v[2:3], v[18:19]
	s_waitcnt vmcnt(5)
	v_mov_b32_e32 v4, v209
	v_pk_add_f32 v[2:3], v[2:3], v[16:17]
	v_mov_b32_e32 v7, v5
	s_waitcnt lgkmcnt(1)
	v_pk_mul_f32 v[4:5], v[10:11], v[4:5] op_sel_hi:[1,0]
	v_pk_add_f32 v[2:3], v[2:3], v[6:7]
	s_waitcnt vmcnt(4)
	v_pk_fma_f32 v[6:7], v[10:11], v[208:209], v[4:5] op_sel:[0,0,1] op_sel_hi:[1,1,0] neg_lo:[0,0,1] neg_hi:[0,0,1]
	v_pk_fma_f32 v[4:5], v[10:11], v[208:209], v[4:5] op_sel:[0,0,1] op_sel_hi:[1,0,0]
	s_waitcnt vmcnt(3)
	v_mov_b32_e32 v4, v207
	v_mov_b32_e32 v7, v5
	v_pk_mul_f32 v[4:5], v[12:13], v[4:5] op_sel_hi:[1,0]
	v_pk_add_f32 v[2:3], v[2:3], v[6:7]
	s_waitcnt vmcnt(2)
	v_pk_fma_f32 v[6:7], v[12:13], v[206:207], v[4:5] op_sel:[0,0,1] op_sel_hi:[1,1,0] neg_lo:[0,0,1] neg_hi:[0,0,1]
	v_pk_fma_f32 v[4:5], v[12:13], v[206:207], v[4:5] op_sel:[0,0,1] op_sel_hi:[1,0,0]
	s_waitcnt vmcnt(1)
	v_mov_b32_e32 v4, v205
	v_mov_b32_e32 v7, v5
	s_waitcnt lgkmcnt(0)
	v_pk_mul_f32 v[4:5], v[14:15], v[4:5] op_sel_hi:[1,0]
	v_pk_add_f32 v[2:3], v[2:3], v[6:7]
	s_waitcnt vmcnt(0)
	v_pk_fma_f32 v[6:7], v[14:15], v[204:205], v[4:5] op_sel:[0,0,1] op_sel_hi:[1,1,0] neg_lo:[0,0,1] neg_hi:[0,0,1]
	v_pk_fma_f32 v[4:5], v[14:15], v[204:205], v[4:5] op_sel:[0,0,1] op_sel_hi:[1,0,0]
	v_mov_b32_e32 v7, v5
	v_pk_add_f32 v[2:3], v[2:3], v[6:7]
	v_pk_add_f32 v[2:3], v[86:87], v[2:3] neg_lo:[0,1] neg_hi:[0,1]
	buffer_store_dword v3, off, s[0:3], 0 offset:36
	buffer_store_dword v2, off, s[0:3], 0 offset:32
	s_and_saveexec_b64 s[4:5], vcc
	s_cbranch_execz .LBB117_331
; %bb.330:
	buffer_load_dword v2, off, s[0:3], 0 offset:24
	buffer_load_dword v3, off, s[0:3], 0 offset:28
	s_waitcnt vmcnt(0)
	ds_write_b64 v143, v[2:3]
	buffer_store_dword v218, off, s[0:3], 0 offset:24
	buffer_store_dword v218, off, s[0:3], 0 offset:28
.LBB117_331:
	s_or_b64 exec, exec, s[4:5]
	s_waitcnt lgkmcnt(0)
	; wave barrier
	s_waitcnt lgkmcnt(0)
	buffer_load_dword v41, off, s[0:3], 0 offset:36
	buffer_load_dword v40, off, s[0:3], 0 offset:44
	;; [unrolled: 1-line block ×32, first 2 shown]
	ds_read_b128 v[22:25], v218 offset:464
	ds_read_b128 v[18:21], v218 offset:480
	;; [unrolled: 1-line block ×6, first 2 shown]
	buffer_load_dword v205, off, s[0:3], 0 offset:152
	buffer_load_dword v206, off, s[0:3], 0 offset:156
	;; [unrolled: 1-line block ×20, first 2 shown]
	v_cmp_lt_u32_e32 vcc, 2, v0
	s_waitcnt vmcnt(51) lgkmcnt(5)
	v_mul_f32_e32 v26, v22, v41
	s_waitcnt vmcnt(50)
	v_mul_f32_e32 v27, v24, v40
	s_waitcnt vmcnt(49) lgkmcnt(4)
	v_mul_f32_e32 v29, v20, v39
	s_waitcnt vmcnt(48) lgkmcnt(3)
	v_mul_f32_e32 v30, v14, v38
	s_waitcnt vmcnt(47)
	v_mul_f32_e32 v31, v16, v37
	s_waitcnt vmcnt(46) lgkmcnt(2)
	v_mul_f32_e32 v32, v10, v36
	s_waitcnt vmcnt(45)
	v_mul_f32_e32 v28, v18, v42
	s_waitcnt vmcnt(44)
	v_mul_f32_e32 v33, v12, v43
	s_waitcnt vmcnt(43) lgkmcnt(1)
	v_mul_f32_e32 v48, v6, v44
	s_waitcnt vmcnt(42)
	v_mul_f32_e32 v49, v8, v45
	s_waitcnt vmcnt(41) lgkmcnt(0)
	v_mul_f32_e32 v50, v2, v46
	s_waitcnt vmcnt(40)
	v_mul_f32_e32 v51, v4, v47
	s_waitcnt vmcnt(39)
	v_fmac_f32_e32 v28, v19, v106
	s_waitcnt vmcnt(38)
	v_fmac_f32_e32 v27, v25, v108
	;; [unrolled: 2-line block ×3, first 2 shown]
	v_add_f32_e32 v26, 0, v26
	v_add_f32_e32 v26, v26, v27
	;; [unrolled: 1-line block ×3, first 2 shown]
	s_waitcnt vmcnt(33)
	v_fmac_f32_e32 v29, v21, v129
	v_fmac_f32_e32 v30, v15, v128
	v_add_f32_e32 v26, v26, v29
	v_fmac_f32_e32 v31, v17, v127
	v_add_f32_e32 v26, v26, v30
	;; [unrolled: 2-line block ×3, first 2 shown]
	s_waitcnt vmcnt(29)
	v_fmac_f32_e32 v33, v13, v133
	v_add_f32_e32 v26, v26, v32
	v_fmac_f32_e32 v48, v7, v132
	v_add_f32_e32 v26, v26, v33
	;; [unrolled: 2-line block ×4, first 2 shown]
	v_add_f32_e32 v30, v26, v50
	ds_read_b128 v[26:29], v218 offset:560
	buffer_load_dword v226, off, s[0:3], 0 offset:232
	buffer_load_dword v227, off, s[0:3], 0 offset:236
	;; [unrolled: 1-line block ×4, first 2 shown]
	s_waitcnt vmcnt(28)
	v_fmac_f32_e32 v51, v5, v202
	v_add_f32_e32 v48, v30, v51
	ds_read_b128 v[30:33], v218 offset:576
	buffer_load_dword v230, off, s[0:3], 0 offset:248
	buffer_load_dword v231, off, s[0:3], 0 offset:252
	;; [unrolled: 1-line block ×12, first 2 shown]
	s_waitcnt vmcnt(39) lgkmcnt(1)
	v_mul_f32_e32 v49, v26, v203
	v_fmac_f32_e32 v49, v27, v201
	buffer_load_dword v242, off, s[0:3], 0 offset:296
	buffer_load_dword v243, off, s[0:3], 0 offset:300
	v_add_f32_e32 v48, v48, v49
	s_waitcnt vmcnt(40)
	v_mul_f32_e32 v49, v28, v204
	v_fmac_f32_e32 v49, v29, v200
	buffer_load_dword v244, off, s[0:3], 0 offset:304
	buffer_load_dword v245, off, s[0:3], 0 offset:308
	v_add_f32_e32 v48, v48, v49
	s_waitcnt lgkmcnt(0)
	v_mul_f32_e32 v49, v30, v135
	v_fmac_f32_e32 v49, v31, v134
	v_add_f32_e32 v52, v48, v49
	ds_read_b128 v[48:51], v218 offset:592
	buffer_load_dword v246, off, s[0:3], 0 offset:312
	buffer_load_dword v247, off, s[0:3], 0 offset:316
	s_waitcnt vmcnt(40)
	v_mul_f32_e32 v53, v32, v206
	v_fmac_f32_e32 v53, v33, v205
	v_add_f32_e32 v56, v52, v53
	ds_read_b128 v[52:55], v218 offset:608
	buffer_load_dword v248, off, s[0:3], 0 offset:320
	buffer_load_dword v249, off, s[0:3], 0 offset:324
	;; [unrolled: 1-line block ×8, first 2 shown]
	s_waitcnt vmcnt(46) lgkmcnt(1)
	v_mul_f32_e32 v57, v48, v208
	v_fmac_f32_e32 v57, v49, v207
	v_add_f32_e32 v56, v56, v57
	s_waitcnt vmcnt(44)
	v_mul_f32_e32 v57, v50, v210
	v_fmac_f32_e32 v57, v51, v209
	v_add_f32_e32 v56, v56, v57
	s_waitcnt vmcnt(42) lgkmcnt(0)
	v_mul_f32_e32 v57, v52, v212
	v_fmac_f32_e32 v57, v53, v211
	v_add_f32_e32 v60, v56, v57
	buffer_load_dword v1, off, s[0:3], 0 offset:352
	buffer_load_dword v136, off, s[0:3], 0 offset:356
	;; [unrolled: 1-line block ×4, first 2 shown]
	ds_read_b128 v[56:59], v218 offset:624
	s_waitcnt vmcnt(44)
	v_mul_f32_e32 v61, v54, v214
	v_fmac_f32_e32 v61, v55, v213
	v_add_f32_e32 v64, v60, v61
	ds_read_b128 v[60:63], v218 offset:640
	s_waitcnt vmcnt(42) lgkmcnt(1)
	v_mul_f32_e32 v65, v56, v216
	v_fmac_f32_e32 v65, v57, v215
	v_add_f32_e32 v64, v64, v65
	s_waitcnt vmcnt(40)
	v_mul_f32_e32 v65, v58, v219
	v_fmac_f32_e32 v65, v59, v217
	v_add_f32_e32 v64, v64, v65
	s_waitcnt vmcnt(38) lgkmcnt(0)
	v_mul_f32_e32 v65, v60, v221
	v_fmac_f32_e32 v65, v61, v220
	v_add_f32_e32 v68, v64, v65
	ds_read_b128 v[64:67], v218 offset:656
	s_waitcnt vmcnt(36)
	v_mul_f32_e32 v69, v62, v223
	v_fmac_f32_e32 v69, v63, v222
	v_add_f32_e32 v72, v68, v69
	ds_read_b128 v[68:71], v218 offset:672
	s_waitcnt vmcnt(34) lgkmcnt(1)
	v_mul_f32_e32 v73, v64, v225
	v_fmac_f32_e32 v73, v65, v224
	v_add_f32_e32 v72, v72, v73
	v_mul_f32_e32 v23, v23, v41
	v_fma_f32 v22, v22, v110, -v23
	v_mul_f32_e32 v23, v25, v40
	v_add_f32_e32 v22, 0, v22
	v_fma_f32 v23, v24, v108, -v23
	v_mul_f32_e32 v19, v19, v42
	v_add_f32_e32 v22, v22, v23
	;; [unrolled: 3-line block ×5, first 2 shown]
	s_waitcnt vmcnt(32)
	v_mul_f32_e32 v73, v66, v227
	v_fmac_f32_e32 v73, v67, v226
	v_add_f32_e32 v72, v72, v73
	s_waitcnt vmcnt(30) lgkmcnt(0)
	v_mul_f32_e32 v73, v68, v229
	v_fmac_f32_e32 v73, v69, v228
	v_add_f32_e32 v76, v72, v73
	ds_read_b128 v[72:75], v218 offset:688
	s_waitcnt vmcnt(28)
	v_mul_f32_e32 v77, v70, v231
	v_fmac_f32_e32 v77, v71, v230
	v_add_f32_e32 v80, v76, v77
	ds_read_b128 v[76:79], v218 offset:704
	s_waitcnt vmcnt(26) lgkmcnt(1)
	v_mul_f32_e32 v81, v72, v233
	v_fmac_f32_e32 v81, v73, v232
	v_add_f32_e32 v80, v80, v81
	s_waitcnt vmcnt(24)
	v_mul_f32_e32 v81, v74, v235
	v_fmac_f32_e32 v81, v75, v234
	v_add_f32_e32 v80, v80, v81
	s_waitcnt vmcnt(22) lgkmcnt(0)
	v_mul_f32_e32 v81, v76, v237
	v_fmac_f32_e32 v81, v77, v236
	v_add_f32_e32 v84, v80, v81
	ds_read_b128 v[80:83], v218 offset:720
	s_waitcnt vmcnt(20)
	v_mul_f32_e32 v85, v78, v239
	v_fmac_f32_e32 v85, v79, v238
	v_add_f32_e32 v88, v84, v85
	ds_read_b128 v[84:87], v218 offset:736
	s_waitcnt vmcnt(18) lgkmcnt(1)
	v_mul_f32_e32 v89, v80, v241
	v_fmac_f32_e32 v89, v81, v240
	v_add_f32_e32 v88, v88, v89
	s_waitcnt vmcnt(16)
	v_mul_f32_e32 v89, v82, v243
	v_fmac_f32_e32 v89, v83, v242
	v_add_f32_e32 v88, v88, v89
	s_waitcnt vmcnt(14) lgkmcnt(0)
	v_mul_f32_e32 v89, v84, v245
	v_fmac_f32_e32 v89, v85, v244
	v_add_f32_e32 v92, v88, v89
	ds_read_b128 v[88:91], v218 offset:752
	s_waitcnt vmcnt(12)
	v_mul_f32_e32 v93, v86, v247
	v_fmac_f32_e32 v93, v87, v246
	v_add_f32_e32 v96, v92, v93
	ds_read_b128 v[92:95], v218 offset:768
	buffer_load_dword v105, off, s[0:3], 0 offset:372
	buffer_load_dword v104, off, s[0:3], 0 offset:368
	s_waitcnt vmcnt(12) lgkmcnt(1)
	v_mul_f32_e32 v97, v88, v249
	v_fmac_f32_e32 v97, v89, v248
	v_add_f32_e32 v96, v96, v97
	s_waitcnt vmcnt(10)
	v_mul_f32_e32 v97, v90, v251
	v_fmac_f32_e32 v97, v91, v250
	v_add_f32_e32 v96, v96, v97
	s_waitcnt vmcnt(8) lgkmcnt(0)
	v_mul_f32_e32 v97, v92, v253
	v_fmac_f32_e32 v97, v93, v252
	s_waitcnt vmcnt(6)
	v_mul_f32_e32 v101, v94, v255
	v_add_f32_e32 v100, v96, v97
	v_fmac_f32_e32 v101, v95, v254
	ds_read_b128 v[96:99], v218 offset:784
	v_add_f32_e32 v107, v100, v101
	ds_read_b128 v[100:103], v218 offset:800
	buffer_load_dword v113, off, s[0:3], 0 offset:404
	buffer_load_dword v112, off, s[0:3], 0 offset:400
	;; [unrolled: 1-line block ×14, first 2 shown]
	v_fma_f32 v15, v16, v127, -v15
	v_mul_f32_e32 v11, v11, v36
	v_add_f32_e32 v14, v14, v15
	v_fma_f32 v10, v10, v126, -v11
	v_mul_f32_e32 v11, v13, v43
	v_add_f32_e32 v10, v14, v10
	;; [unrolled: 3-line block ×6, first 2 shown]
	v_fma_f32 v3, v4, v202, -v3
	v_add_f32_e32 v2, v2, v3
	v_mul_f32_e32 v3, v27, v203
	v_fma_f32 v3, v26, v201, -v3
	v_add_f32_e32 v2, v2, v3
	v_mul_f32_e32 v3, v29, v204
	;; [unrolled: 3-line block ×28, first 2 shown]
	v_fma_f32 v3, v94, v254, -v3
	s_waitcnt vmcnt(15)
	v_mov_b32_e32 v16, v105
	s_waitcnt lgkmcnt(1)
	v_mul_f32_e32 v109, v96, v136
	v_add_f32_e32 v106, v2, v3
	v_mul_f32_e32 v2, v97, v136
	s_waitcnt lgkmcnt(0)
	v_pk_mul_f32 v[16:17], v[100:101], v[16:17] op_sel_hi:[1,0]
	v_fmac_f32_e32 v109, v97, v1
	v_mul_f32_e32 v111, v98, v138
	v_fma_f32 v108, v96, v1, -v2
	v_mul_f32_e32 v1, v99, v138
	s_waitcnt vmcnt(14)
	v_pk_fma_f32 v[18:19], v[100:101], v[104:105], v[16:17] op_sel:[0,0,1] op_sel_hi:[1,1,0] neg_lo:[0,0,1] neg_hi:[0,0,1]
	v_pk_fma_f32 v[16:17], v[100:101], v[104:105], v[16:17] op_sel:[0,0,1] op_sel_hi:[1,0,0]
	v_fmac_f32_e32 v111, v99, v137
	v_fma_f32 v110, v98, v137, -v1
	v_pk_add_f32 v[14:15], v[106:107], v[108:109]
	s_waitcnt vmcnt(7)
	v_mov_b32_e32 v16, v119
	ds_read_b128 v[2:5], v218 offset:816
	ds_read_b128 v[6:9], v218 offset:832
	ds_read_b128 v[10:13], v218 offset:848
	v_pk_add_f32 v[14:15], v[14:15], v[110:111]
	v_mov_b32_e32 v19, v17
	v_pk_mul_f32 v[16:17], v[102:103], v[16:17] op_sel_hi:[1,0]
	v_pk_add_f32 v[14:15], v[14:15], v[18:19]
	s_waitcnt vmcnt(6)
	v_pk_fma_f32 v[18:19], v[102:103], v[118:119], v[16:17] op_sel:[0,0,1] op_sel_hi:[1,1,0] neg_lo:[0,0,1] neg_hi:[0,0,1]
	v_pk_fma_f32 v[16:17], v[102:103], v[118:119], v[16:17] op_sel:[0,0,1] op_sel_hi:[1,0,0]
	v_mov_b32_e32 v16, v117
	v_mov_b32_e32 v19, v17
	s_waitcnt lgkmcnt(2)
	v_pk_mul_f32 v[16:17], v[2:3], v[16:17] op_sel_hi:[1,0]
	v_pk_add_f32 v[14:15], v[14:15], v[18:19]
	v_pk_fma_f32 v[18:19], v[2:3], v[116:117], v[16:17] op_sel:[0,0,1] op_sel_hi:[1,1,0] neg_lo:[0,0,1] neg_hi:[0,0,1]
	v_pk_fma_f32 v[2:3], v[2:3], v[116:117], v[16:17] op_sel:[0,0,1] op_sel_hi:[1,0,0]
	v_mov_b32_e32 v19, v3
	v_pk_add_f32 v[2:3], v[14:15], v[18:19]
	v_mov_b32_e32 v14, v115
	v_pk_mul_f32 v[14:15], v[4:5], v[14:15] op_sel_hi:[1,0]
	v_pk_fma_f32 v[16:17], v[4:5], v[114:115], v[14:15] op_sel:[0,0,1] op_sel_hi:[1,1,0] neg_lo:[0,0,1] neg_hi:[0,0,1]
	v_pk_fma_f32 v[4:5], v[4:5], v[114:115], v[14:15] op_sel:[0,0,1] op_sel_hi:[1,0,0]
	v_mov_b32_e32 v4, v113
	v_mov_b32_e32 v17, v5
	s_waitcnt lgkmcnt(1)
	v_pk_mul_f32 v[4:5], v[6:7], v[4:5] op_sel_hi:[1,0]
	v_pk_fma_f32 v[14:15], v[6:7], v[112:113], v[4:5] op_sel:[0,0,1] op_sel_hi:[1,1,0] neg_lo:[0,0,1] neg_hi:[0,0,1]
	v_pk_fma_f32 v[4:5], v[6:7], v[112:113], v[4:5] op_sel:[0,0,1] op_sel_hi:[1,0,0]
	s_waitcnt vmcnt(1)
	v_mov_b32_e32 v4, v125
	v_mov_b32_e32 v15, v5
	v_pk_mul_f32 v[4:5], v[8:9], v[4:5] op_sel_hi:[1,0]
	s_waitcnt vmcnt(0)
	v_pk_fma_f32 v[6:7], v[8:9], v[124:125], v[4:5] op_sel:[0,0,1] op_sel_hi:[1,1,0] neg_lo:[0,0,1] neg_hi:[0,0,1]
	v_pk_fma_f32 v[4:5], v[8:9], v[124:125], v[4:5] op_sel:[0,0,1] op_sel_hi:[1,0,0]
	v_pk_add_f32 v[2:3], v[2:3], v[16:17]
	v_mov_b32_e32 v4, v123
	v_pk_add_f32 v[2:3], v[2:3], v[14:15]
	v_mov_b32_e32 v7, v5
	s_waitcnt lgkmcnt(0)
	v_pk_mul_f32 v[4:5], v[10:11], v[4:5] op_sel_hi:[1,0]
	v_pk_add_f32 v[2:3], v[2:3], v[6:7]
	v_pk_fma_f32 v[6:7], v[10:11], v[122:123], v[4:5] op_sel:[0,0,1] op_sel_hi:[1,1,0] neg_lo:[0,0,1] neg_hi:[0,0,1]
	v_pk_fma_f32 v[4:5], v[10:11], v[122:123], v[4:5] op_sel:[0,0,1] op_sel_hi:[1,0,0]
	v_mov_b32_e32 v4, v121
	v_mov_b32_e32 v7, v5
	v_pk_mul_f32 v[4:5], v[12:13], v[4:5] op_sel_hi:[1,0]
	v_pk_add_f32 v[2:3], v[2:3], v[6:7]
	v_pk_fma_f32 v[6:7], v[12:13], v[120:121], v[4:5] op_sel:[0,0,1] op_sel_hi:[1,1,0] neg_lo:[0,0,1] neg_hi:[0,0,1]
	v_pk_fma_f32 v[4:5], v[12:13], v[120:121], v[4:5] op_sel:[0,0,1] op_sel_hi:[1,0,0]
	v_mov_b32_e32 v7, v5
	v_pk_add_f32 v[2:3], v[2:3], v[6:7]
	v_pk_add_f32 v[2:3], v[34:35], v[2:3] neg_lo:[0,1] neg_hi:[0,1]
	buffer_store_dword v3, off, s[0:3], 0 offset:28
	buffer_store_dword v2, off, s[0:3], 0 offset:24
	s_and_saveexec_b64 s[4:5], vcc
	s_cbranch_execz .LBB117_333
; %bb.332:
	buffer_load_dword v2, off, s[0:3], 0 offset:16
	buffer_load_dword v3, off, s[0:3], 0 offset:20
	v_mov_b32_e32 v1, 0
	buffer_store_dword v1, off, s[0:3], 0 offset:16
	buffer_store_dword v1, off, s[0:3], 0 offset:20
	s_waitcnt vmcnt(2)
	ds_write_b64 v143, v[2:3]
.LBB117_333:
	s_or_b64 exec, exec, s[4:5]
	s_waitcnt lgkmcnt(0)
	; wave barrier
	s_waitcnt lgkmcnt(0)
	buffer_load_dword v46, off, s[0:3], 0 offset:28
	buffer_load_dword v45, off, s[0:3], 0 offset:36
	buffer_load_dword v43, off, s[0:3], 0 offset:52
	buffer_load_dword v42, off, s[0:3], 0 offset:60
	buffer_load_dword v41, off, s[0:3], 0 offset:68
	buffer_load_dword v40, off, s[0:3], 0 offset:76
	buffer_load_dword v47, off, s[0:3], 0 offset:44
	buffer_load_dword v48, off, s[0:3], 0 offset:84
	buffer_load_dword v49, off, s[0:3], 0 offset:92
	buffer_load_dword v50, off, s[0:3], 0 offset:100
	buffer_load_dword v51, off, s[0:3], 0 offset:108
	buffer_load_dword v52, off, s[0:3], 0 offset:116
	buffer_load_dword v58, off, s[0:3], 0 offset:40
	buffer_load_dword v61, off, s[0:3], 0 offset:32
	buffer_load_dword v1, off, s[0:3], 0 offset:24
	buffer_load_dword v55, off, s[0:3], 0 offset:72
	buffer_load_dword v57, off, s[0:3], 0 offset:64
	buffer_load_dword v60, off, s[0:3], 0 offset:56
	buffer_load_dword v63, off, s[0:3], 0 offset:48
	buffer_load_dword v53, off, s[0:3], 0 offset:104
	buffer_load_dword v54, off, s[0:3], 0 offset:96
	buffer_load_dword v56, off, s[0:3], 0 offset:88
	buffer_load_dword v59, off, s[0:3], 0 offset:80
	buffer_load_dword v62, off, s[0:3], 0 offset:136
	buffer_load_dword v116, off, s[0:3], 0 offset:140
	buffer_load_dword v118, off, s[0:3], 0 offset:128
	buffer_load_dword v120, off, s[0:3], 0 offset:120
	buffer_load_dword v136, off, s[0:3], 0 offset:112
	buffer_load_dword v137, off, s[0:3], 0 offset:124
	buffer_load_dword v138, off, s[0:3], 0 offset:132
	buffer_load_dword v38, off, s[0:3], 0 offset:16
	buffer_load_dword v39, off, s[0:3], 0 offset:20
	buffer_load_dword v139, off, s[0:3], 0 offset:144
	buffer_load_dword v202, off, s[0:3], 0 offset:148
	buffer_load_dword v203, off, s[0:3], 0 offset:152
	buffer_load_dword v204, off, s[0:3], 0 offset:156
	buffer_load_dword v205, off, s[0:3], 0 offset:160
	buffer_load_dword v206, off, s[0:3], 0 offset:164
	buffer_load_dword v207, off, s[0:3], 0 offset:168
	buffer_load_dword v208, off, s[0:3], 0 offset:172
	buffer_load_dword v209, off, s[0:3], 0 offset:176
	buffer_load_dword v210, off, s[0:3], 0 offset:180
	buffer_load_dword v211, off, s[0:3], 0 offset:184
	buffer_load_dword v212, off, s[0:3], 0 offset:188
	buffer_load_dword v213, off, s[0:3], 0 offset:192
	buffer_load_dword v214, off, s[0:3], 0 offset:196
	buffer_load_dword v215, off, s[0:3], 0 offset:200
	buffer_load_dword v216, off, s[0:3], 0 offset:204
	v_mov_b32_e32 v44, 0
	ds_read2_b64 v[22:25], v44 offset0:57 offset1:58
	ds_read2_b64 v[18:21], v44 offset0:59 offset1:60
	;; [unrolled: 1-line block ×6, first 2 shown]
	buffer_load_dword v217, off, s[0:3], 0 offset:208
	buffer_load_dword v218, off, s[0:3], 0 offset:212
	v_cmp_lt_u32_e32 vcc, 1, v0
	s_waitcnt vmcnt(49) lgkmcnt(5)
	v_mul_f32_e32 v26, v22, v46
	s_waitcnt vmcnt(48)
	v_mul_f32_e32 v27, v24, v45
	s_waitcnt vmcnt(47) lgkmcnt(4)
	v_mul_f32_e32 v29, v20, v43
	s_waitcnt vmcnt(46) lgkmcnt(3)
	v_mul_f32_e32 v30, v14, v42
	s_waitcnt vmcnt(45)
	v_mul_f32_e32 v31, v16, v41
	s_waitcnt vmcnt(44) lgkmcnt(2)
	v_mul_f32_e32 v32, v10, v40
	s_waitcnt vmcnt(43)
	v_mul_f32_e32 v28, v18, v47
	s_waitcnt vmcnt(42)
	v_mul_f32_e32 v33, v12, v48
	s_waitcnt vmcnt(41) lgkmcnt(1)
	v_mul_f32_e32 v34, v6, v49
	s_waitcnt vmcnt(40)
	v_mul_f32_e32 v35, v8, v50
	s_waitcnt vmcnt(39) lgkmcnt(0)
	v_mul_f32_e32 v36, v2, v51
	s_waitcnt vmcnt(38)
	v_mul_f32_e32 v37, v4, v52
	s_waitcnt vmcnt(37)
	v_fmac_f32_e32 v28, v19, v58
	s_waitcnt vmcnt(36)
	v_fmac_f32_e32 v27, v25, v61
	;; [unrolled: 2-line block ×3, first 2 shown]
	v_add_f32_e32 v26, 0, v26
	v_add_f32_e32 v26, v26, v27
	;; [unrolled: 1-line block ×3, first 2 shown]
	s_waitcnt vmcnt(31)
	v_fmac_f32_e32 v29, v21, v63
	v_fmac_f32_e32 v30, v15, v60
	v_add_f32_e32 v26, v26, v29
	v_fmac_f32_e32 v31, v17, v57
	v_add_f32_e32 v26, v26, v30
	;; [unrolled: 2-line block ×3, first 2 shown]
	s_waitcnt vmcnt(27)
	v_fmac_f32_e32 v33, v13, v59
	v_add_f32_e32 v26, v26, v32
	v_fmac_f32_e32 v34, v7, v56
	v_add_f32_e32 v26, v26, v33
	;; [unrolled: 2-line block ×4, first 2 shown]
	s_waitcnt vmcnt(22)
	v_fmac_f32_e32 v37, v5, v136
	v_add_f32_e32 v26, v26, v36
	v_add_f32_e32 v34, v26, v37
	ds_read2_b64 v[26:29], v44 offset0:69 offset1:70
	buffer_load_dword v219, off, s[0:3], 0 offset:216
	buffer_load_dword v220, off, s[0:3], 0 offset:220
	ds_read2_b64 v[30:33], v44 offset0:71 offset1:72
	buffer_load_dword v221, off, s[0:3], 0 offset:224
	buffer_load_dword v222, off, s[0:3], 0 offset:228
	buffer_load_dword v223, off, s[0:3], 0 offset:232
	buffer_load_dword v224, off, s[0:3], 0 offset:236
	buffer_load_dword v225, off, s[0:3], 0 offset:240
	buffer_load_dword v226, off, s[0:3], 0 offset:244
	buffer_load_dword v227, off, s[0:3], 0 offset:248
	buffer_load_dword v228, off, s[0:3], 0 offset:252
	buffer_load_dword v229, off, s[0:3], 0 offset:256
	buffer_load_dword v230, off, s[0:3], 0 offset:260
	buffer_load_dword v231, off, s[0:3], 0 offset:264
	buffer_load_dword v232, off, s[0:3], 0 offset:268
	s_waitcnt vmcnt(35) lgkmcnt(1)
	v_mul_f32_e32 v35, v26, v137
	v_fmac_f32_e32 v35, v27, v120
	buffer_load_dword v233, off, s[0:3], 0 offset:272
	buffer_load_dword v234, off, s[0:3], 0 offset:276
	v_add_f32_e32 v34, v34, v35
	s_waitcnt vmcnt(36)
	v_mul_f32_e32 v35, v28, v138
	v_fmac_f32_e32 v35, v29, v118
	v_add_f32_e32 v34, v34, v35
	s_waitcnt lgkmcnt(0)
	v_mul_f32_e32 v35, v30, v116
	buffer_load_dword v235, off, s[0:3], 0 offset:280
	buffer_load_dword v236, off, s[0:3], 0 offset:284
	v_fmac_f32_e32 v35, v31, v62
	v_add_f32_e32 v64, v34, v35
	ds_read2_b64 v[34:37], v44 offset0:73 offset1:74
	buffer_load_dword v237, off, s[0:3], 0 offset:288
	buffer_load_dword v238, off, s[0:3], 0 offset:292
	;; [unrolled: 1-line block ×4, first 2 shown]
	s_waitcnt vmcnt(38)
	v_mul_f32_e32 v65, v32, v202
	v_fmac_f32_e32 v65, v33, v139
	v_add_f32_e32 v68, v64, v65
	ds_read2_b64 v[64:67], v44 offset0:75 offset1:76
	buffer_load_dword v241, off, s[0:3], 0 offset:304
	buffer_load_dword v242, off, s[0:3], 0 offset:308
	;; [unrolled: 1-line block ×10, first 2 shown]
	s_waitcnt vmcnt(46) lgkmcnt(1)
	v_mul_f32_e32 v69, v34, v204
	v_fmac_f32_e32 v69, v35, v203
	v_add_f32_e32 v68, v68, v69
	s_waitcnt vmcnt(44)
	v_mul_f32_e32 v69, v36, v206
	v_fmac_f32_e32 v69, v37, v205
	v_add_f32_e32 v68, v68, v69
	s_waitcnt vmcnt(42) lgkmcnt(0)
	v_mul_f32_e32 v69, v64, v208
	v_fmac_f32_e32 v69, v65, v207
	v_add_f32_e32 v72, v68, v69
	buffer_load_dword v251, off, s[0:3], 0 offset:344
	buffer_load_dword v252, off, s[0:3], 0 offset:348
	;; [unrolled: 1-line block ×6, first 2 shown]
	ds_read2_b64 v[68:71], v44 offset0:77 offset1:78
	s_waitcnt vmcnt(46)
	v_mul_f32_e32 v73, v66, v210
	v_fmac_f32_e32 v73, v67, v209
	v_add_f32_e32 v76, v72, v73
	ds_read2_b64 v[72:75], v44 offset0:79 offset1:80
	s_waitcnt vmcnt(44) lgkmcnt(1)
	v_mul_f32_e32 v77, v68, v212
	v_fmac_f32_e32 v77, v69, v211
	v_add_f32_e32 v76, v76, v77
	s_waitcnt vmcnt(42)
	v_mul_f32_e32 v77, v70, v214
	v_fmac_f32_e32 v77, v71, v213
	v_add_f32_e32 v76, v76, v77
	s_waitcnt vmcnt(40) lgkmcnt(0)
	v_mul_f32_e32 v77, v72, v216
	v_fmac_f32_e32 v77, v73, v215
	v_add_f32_e32 v80, v76, v77
	ds_read2_b64 v[76:79], v44 offset0:81 offset1:82
	s_waitcnt vmcnt(38)
	v_mul_f32_e32 v81, v74, v218
	v_fmac_f32_e32 v81, v75, v217
	v_add_f32_e32 v84, v80, v81
	ds_read2_b64 v[80:83], v44 offset0:83 offset1:84
	v_mul_f32_e32 v23, v23, v46
	v_fma_f32 v1, v22, v1, -v23
	v_mul_f32_e32 v22, v25, v45
	v_add_f32_e32 v1, 0, v1
	v_fma_f32 v22, v24, v61, -v22
	v_mul_f32_e32 v19, v19, v47
	v_add_f32_e32 v1, v1, v22
	v_fma_f32 v18, v18, v58, -v19
	v_add_f32_e32 v1, v1, v18
	v_mul_f32_e32 v18, v21, v43
	v_fma_f32 v18, v20, v63, -v18
	v_mul_f32_e32 v15, v15, v42
	v_add_f32_e32 v1, v1, v18
	v_fma_f32 v14, v14, v60, -v15
	v_add_f32_e32 v1, v1, v14
	v_mul_f32_e32 v14, v17, v41
	v_fma_f32 v14, v16, v57, -v14
	v_mul_f32_e32 v11, v11, v40
	v_add_f32_e32 v1, v1, v14
	v_fma_f32 v10, v10, v55, -v11
	s_waitcnt vmcnt(36) lgkmcnt(1)
	v_mul_f32_e32 v85, v76, v220
	v_fmac_f32_e32 v85, v77, v219
	v_add_f32_e32 v84, v84, v85
	s_waitcnt vmcnt(34)
	v_mul_f32_e32 v85, v78, v222
	v_fmac_f32_e32 v85, v79, v221
	v_add_f32_e32 v84, v84, v85
	s_waitcnt vmcnt(32) lgkmcnt(0)
	v_mul_f32_e32 v85, v80, v224
	v_fmac_f32_e32 v85, v81, v223
	v_add_f32_e32 v88, v84, v85
	ds_read2_b64 v[84:87], v44 offset0:85 offset1:86
	s_waitcnt vmcnt(30)
	v_mul_f32_e32 v89, v82, v226
	v_fmac_f32_e32 v89, v83, v225
	v_add_f32_e32 v92, v88, v89
	ds_read2_b64 v[88:91], v44 offset0:87 offset1:88
	s_waitcnt vmcnt(28) lgkmcnt(1)
	v_mul_f32_e32 v93, v84, v228
	v_fmac_f32_e32 v93, v85, v227
	v_add_f32_e32 v92, v92, v93
	s_waitcnt vmcnt(26)
	v_mul_f32_e32 v93, v86, v230
	v_fmac_f32_e32 v93, v87, v229
	v_add_f32_e32 v92, v92, v93
	s_waitcnt vmcnt(24) lgkmcnt(0)
	v_mul_f32_e32 v93, v88, v232
	v_fmac_f32_e32 v93, v89, v231
	v_add_f32_e32 v96, v92, v93
	ds_read2_b64 v[92:95], v44 offset0:89 offset1:90
	s_waitcnt vmcnt(22)
	v_mul_f32_e32 v97, v90, v234
	v_fmac_f32_e32 v97, v91, v233
	v_add_f32_e32 v100, v96, v97
	ds_read2_b64 v[96:99], v44 offset0:91 offset1:92
	;; [unrolled: 18-line block ×3, first 2 shown]
	s_waitcnt vmcnt(12) lgkmcnt(1)
	v_mul_f32_e32 v109, v100, v244
	v_fmac_f32_e32 v109, v101, v243
	v_add_f32_e32 v108, v108, v109
	s_waitcnt vmcnt(10)
	v_mul_f32_e32 v109, v102, v246
	v_fmac_f32_e32 v109, v103, v245
	v_add_f32_e32 v108, v108, v109
	s_waitcnt vmcnt(8) lgkmcnt(0)
	v_mul_f32_e32 v109, v104, v248
	v_fmac_f32_e32 v109, v105, v247
	s_waitcnt vmcnt(6)
	v_mul_f32_e32 v113, v106, v250
	v_add_f32_e32 v112, v108, v109
	v_fmac_f32_e32 v113, v107, v249
	ds_read2_b64 v[108:111], v44 offset0:97 offset1:98
	v_add_f32_e32 v117, v112, v113
	ds_read2_b64 v[112:115], v44 offset0:99 offset1:100
	buffer_load_dword v123, off, s[0:3], 0 offset:396
	buffer_load_dword v122, off, s[0:3], 0 offset:392
	;; [unrolled: 1-line block ×16, first 2 shown]
	v_add_f32_e32 v1, v1, v10
	v_mul_f32_e32 v10, v13, v48
	v_fma_f32 v10, v12, v59, -v10
	v_mul_f32_e32 v7, v7, v49
	v_add_f32_e32 v1, v1, v10
	v_fma_f32 v6, v6, v56, -v7
	v_add_f32_e32 v1, v1, v6
	v_mul_f32_e32 v6, v9, v50
	v_fma_f32 v6, v8, v54, -v6
	v_mul_f32_e32 v3, v3, v51
	v_add_f32_e32 v1, v1, v6
	v_fma_f32 v2, v2, v53, -v3
	v_add_f32_e32 v1, v1, v2
	v_mul_f32_e32 v2, v5, v52
	v_fma_f32 v2, v4, v136, -v2
	v_add_f32_e32 v1, v1, v2
	v_mul_f32_e32 v2, v27, v137
	;; [unrolled: 3-line block ×29, first 2 shown]
	v_fma_f32 v2, v106, v249, -v2
	s_waitcnt vmcnt(20) lgkmcnt(1)
	v_mul_f32_e32 v119, v108, v252
	v_add_f32_e32 v1, v1, v2
	v_mul_f32_e32 v2, v109, v252
	v_fmac_f32_e32 v119, v109, v251
	v_fma_f32 v2, v108, v251, -v2
	s_waitcnt vmcnt(9)
	v_mov_b32_e32 v18, v129
	v_add_f32_e32 v117, v117, v119
	v_mul_f32_e32 v119, v110, v254
	v_add_f32_e32 v116, v1, v2
	v_mul_f32_e32 v1, v111, v254
	s_waitcnt lgkmcnt(0)
	v_pk_mul_f32 v[18:19], v[114:115], v[18:19] op_sel_hi:[1,0]
	v_fmac_f32_e32 v119, v111, v253
	v_mul_f32_e32 v121, v112, v140
	v_fma_f32 v118, v110, v253, -v1
	v_mul_f32_e32 v1, v113, v140
	ds_read2_b64 v[2:5], v44 offset0:101 offset1:102
	ds_read2_b64 v[6:9], v44 offset0:103 offset1:104
	;; [unrolled: 1-line block ×3, first 2 shown]
	ds_read_b64 v[14:15], v44 offset:856
	s_waitcnt vmcnt(8)
	v_pk_fma_f32 v[20:21], v[114:115], v[128:129], v[18:19] op_sel:[0,0,1] op_sel_hi:[1,1,0] neg_lo:[0,0,1] neg_hi:[0,0,1]
	v_pk_fma_f32 v[18:19], v[114:115], v[128:129], v[18:19] op_sel:[0,0,1] op_sel_hi:[1,0,0]
	v_fmac_f32_e32 v121, v113, v255
	v_fma_f32 v120, v112, v255, -v1
	v_pk_add_f32 v[16:17], v[116:117], v[118:119]
	v_mov_b32_e32 v18, v127
	v_pk_add_f32 v[16:17], v[16:17], v[120:121]
	v_mov_b32_e32 v21, v19
	s_waitcnt lgkmcnt(3)
	v_pk_mul_f32 v[18:19], v[2:3], v[18:19] op_sel_hi:[1,0]
	v_pk_add_f32 v[16:17], v[16:17], v[20:21]
	v_pk_fma_f32 v[20:21], v[2:3], v[126:127], v[18:19] op_sel:[0,0,1] op_sel_hi:[1,1,0] neg_lo:[0,0,1] neg_hi:[0,0,1]
	v_pk_fma_f32 v[2:3], v[2:3], v[126:127], v[18:19] op_sel:[0,0,1] op_sel_hi:[1,0,0]
	v_mov_b32_e32 v21, v3
	v_pk_add_f32 v[2:3], v[16:17], v[20:21]
	v_mov_b32_e32 v16, v125
	v_pk_mul_f32 v[16:17], v[4:5], v[16:17] op_sel_hi:[1,0]
	v_pk_fma_f32 v[18:19], v[4:5], v[124:125], v[16:17] op_sel:[0,0,1] op_sel_hi:[1,1,0] neg_lo:[0,0,1] neg_hi:[0,0,1]
	v_pk_fma_f32 v[4:5], v[4:5], v[124:125], v[16:17] op_sel:[0,0,1] op_sel_hi:[1,0,0]
	v_mov_b32_e32 v4, v123
	v_mov_b32_e32 v19, v5
	s_waitcnt lgkmcnt(2)
	v_pk_mul_f32 v[4:5], v[6:7], v[4:5] op_sel_hi:[1,0]
	v_pk_fma_f32 v[16:17], v[6:7], v[122:123], v[4:5] op_sel:[0,0,1] op_sel_hi:[1,1,0] neg_lo:[0,0,1] neg_hi:[0,0,1]
	v_pk_fma_f32 v[4:5], v[6:7], v[122:123], v[4:5] op_sel:[0,0,1] op_sel_hi:[1,0,0]
	s_waitcnt vmcnt(1)
	v_mov_b32_e32 v4, v201
	v_mov_b32_e32 v17, v5
	v_pk_mul_f32 v[4:5], v[8:9], v[4:5] op_sel_hi:[1,0]
	s_waitcnt vmcnt(0)
	v_pk_fma_f32 v[6:7], v[8:9], v[200:201], v[4:5] op_sel:[0,0,1] op_sel_hi:[1,1,0] neg_lo:[0,0,1] neg_hi:[0,0,1]
	v_pk_fma_f32 v[4:5], v[8:9], v[200:201], v[4:5] op_sel:[0,0,1] op_sel_hi:[1,0,0]
	v_pk_add_f32 v[2:3], v[2:3], v[18:19]
	v_mov_b32_e32 v4, v135
	v_pk_add_f32 v[2:3], v[2:3], v[16:17]
	v_mov_b32_e32 v7, v5
	s_waitcnt lgkmcnt(1)
	v_pk_mul_f32 v[4:5], v[10:11], v[4:5] op_sel_hi:[1,0]
	v_pk_add_f32 v[2:3], v[2:3], v[6:7]
	v_pk_fma_f32 v[6:7], v[10:11], v[134:135], v[4:5] op_sel:[0,0,1] op_sel_hi:[1,1,0] neg_lo:[0,0,1] neg_hi:[0,0,1]
	v_pk_fma_f32 v[4:5], v[10:11], v[134:135], v[4:5] op_sel:[0,0,1] op_sel_hi:[1,0,0]
	v_mov_b32_e32 v4, v133
	v_mov_b32_e32 v7, v5
	v_pk_mul_f32 v[4:5], v[12:13], v[4:5] op_sel_hi:[1,0]
	v_pk_add_f32 v[2:3], v[2:3], v[6:7]
	v_pk_fma_f32 v[6:7], v[12:13], v[132:133], v[4:5] op_sel:[0,0,1] op_sel_hi:[1,1,0] neg_lo:[0,0,1] neg_hi:[0,0,1]
	v_pk_fma_f32 v[4:5], v[12:13], v[132:133], v[4:5] op_sel:[0,0,1] op_sel_hi:[1,0,0]
	v_mov_b32_e32 v4, v131
	v_mov_b32_e32 v7, v5
	s_waitcnt lgkmcnt(0)
	v_pk_mul_f32 v[4:5], v[14:15], v[4:5] op_sel_hi:[1,0]
	v_pk_add_f32 v[2:3], v[2:3], v[6:7]
	v_pk_fma_f32 v[6:7], v[14:15], v[130:131], v[4:5] op_sel:[0,0,1] op_sel_hi:[1,1,0] neg_lo:[0,0,1] neg_hi:[0,0,1]
	v_pk_fma_f32 v[4:5], v[14:15], v[130:131], v[4:5] op_sel:[0,0,1] op_sel_hi:[1,0,0]
	v_mov_b32_e32 v7, v5
	v_pk_add_f32 v[2:3], v[2:3], v[6:7]
	v_pk_add_f32 v[2:3], v[38:39], v[2:3] neg_lo:[0,1] neg_hi:[0,1]
	buffer_store_dword v3, off, s[0:3], 0 offset:20
	buffer_store_dword v2, off, s[0:3], 0 offset:16
	s_and_saveexec_b64 s[4:5], vcc
	s_cbranch_execz .LBB117_335
; %bb.334:
	buffer_load_dword v2, off, s[0:3], 0 offset:8
	buffer_load_dword v3, off, s[0:3], 0 offset:12
	s_waitcnt vmcnt(0)
	ds_write_b64 v143, v[2:3]
	buffer_store_dword v44, off, s[0:3], 0 offset:8
	buffer_store_dword v44, off, s[0:3], 0 offset:12
.LBB117_335:
	s_or_b64 exec, exec, s[4:5]
	s_waitcnt lgkmcnt(0)
	; wave barrier
	s_waitcnt lgkmcnt(0)
	buffer_load_dword v50, off, s[0:3], 0 offset:20
	buffer_load_dword v49, off, s[0:3], 0 offset:28
	;; [unrolled: 1-line block ×32, first 2 shown]
	ds_read_b128 v[26:29], v44 offset:448
	ds_read_b128 v[22:25], v44 offset:464
	;; [unrolled: 1-line block ×4, first 2 shown]
	buffer_load_dword v139, off, s[0:3], 0 offset:136
	buffer_load_dword v140, off, s[0:3], 0 offset:140
	ds_read_b128 v[14:17], v44 offset:512
	ds_read_b128 v[6:9], v44 offset:528
	;; [unrolled: 1-line block ×3, first 2 shown]
	buffer_load_dword v141, off, s[0:3], 0 offset:144
	buffer_load_dword v202, off, s[0:3], 0 offset:148
	;; [unrolled: 1-line block ×16, first 2 shown]
	v_cmp_ne_u32_e32 vcc, 0, v0
	s_waitcnt vmcnt(49) lgkmcnt(6)
	v_mul_f32_e32 v30, v26, v50
	s_waitcnt vmcnt(48)
	v_mul_f32_e32 v31, v28, v49
	s_waitcnt vmcnt(47) lgkmcnt(5)
	v_mul_f32_e32 v33, v24, v48
	s_waitcnt vmcnt(46) lgkmcnt(4)
	v_mul_f32_e32 v34, v18, v47
	s_waitcnt vmcnt(45)
	v_mul_f32_e32 v35, v20, v45
	s_waitcnt vmcnt(44)
	v_mul_f32_e32 v32, v22, v51
	s_waitcnt vmcnt(43) lgkmcnt(3)
	v_mul_f32_e32 v36, v10, v46
	s_waitcnt vmcnt(42)
	v_mul_f32_e32 v37, v12, v52
	s_waitcnt vmcnt(41) lgkmcnt(2)
	v_mul_f32_e32 v38, v14, v53
	s_waitcnt vmcnt(40)
	v_mul_f32_e32 v39, v16, v54
	s_waitcnt vmcnt(39) lgkmcnt(1)
	v_mul_f32_e32 v40, v6, v55
	s_waitcnt vmcnt(38)
	v_mul_f32_e32 v41, v8, v56
	s_waitcnt vmcnt(37)
	v_fmac_f32_e32 v32, v23, v62
	s_waitcnt vmcnt(36)
	v_fmac_f32_e32 v31, v29, v65
	;; [unrolled: 2-line block ×3, first 2 shown]
	v_add_f32_e32 v30, 0, v30
	v_add_f32_e32 v30, v30, v31
	;; [unrolled: 1-line block ×3, first 2 shown]
	s_waitcnt vmcnt(31)
	v_fmac_f32_e32 v33, v25, v66
	v_fmac_f32_e32 v34, v19, v64
	v_add_f32_e32 v30, v30, v33
	v_fmac_f32_e32 v35, v21, v61
	v_add_f32_e32 v30, v30, v34
	;; [unrolled: 2-line block ×3, first 2 shown]
	s_waitcnt vmcnt(27)
	v_fmac_f32_e32 v37, v13, v63
	v_add_f32_e32 v30, v30, v36
	v_fmac_f32_e32 v38, v15, v60
	v_add_f32_e32 v30, v30, v37
	;; [unrolled: 2-line block ×4, first 2 shown]
	s_waitcnt vmcnt(23)
	v_fmac_f32_e32 v41, v9, v126
	v_add_f32_e32 v30, v30, v40
	v_add_f32_e32 v34, v30, v41
	ds_read_b128 v[30:33], v44 offset:560
	buffer_load_dword v217, off, s[0:3], 0 offset:208
	buffer_load_dword v218, off, s[0:3], 0 offset:212
	;; [unrolled: 1-line block ×12, first 2 shown]
	s_waitcnt vmcnt(34) lgkmcnt(1)
	v_mul_f32_e32 v35, v2, v136
	v_fmac_f32_e32 v35, v3, v118
	buffer_load_dword v229, off, s[0:3], 0 offset:256
	buffer_load_dword v230, off, s[0:3], 0 offset:260
	v_add_f32_e32 v34, v34, v35
	s_waitcnt vmcnt(35)
	v_mul_f32_e32 v35, v4, v137
	v_fmac_f32_e32 v35, v5, v116
	v_add_f32_e32 v34, v34, v35
	s_waitcnt vmcnt(34) lgkmcnt(0)
	v_mul_f32_e32 v35, v30, v138
	v_fmac_f32_e32 v35, v31, v67
	buffer_load_dword v231, off, s[0:3], 0 offset:264
	buffer_load_dword v232, off, s[0:3], 0 offset:268
	v_add_f32_e32 v34, v34, v35
	s_waitcnt vmcnt(32)
	v_mul_f32_e32 v35, v32, v140
	v_fmac_f32_e32 v35, v33, v139
	v_add_f32_e32 v68, v34, v35
	ds_read_b128 v[34:37], v44 offset:576
	buffer_load_dword v233, off, s[0:3], 0 offset:272
	buffer_load_dword v234, off, s[0:3], 0 offset:276
	ds_read_b128 v[38:41], v44 offset:592
	buffer_load_dword v235, off, s[0:3], 0 offset:280
	buffer_load_dword v236, off, s[0:3], 0 offset:284
	;; [unrolled: 1-line block ×14, first 2 shown]
	s_waitcnt vmcnt(46) lgkmcnt(1)
	v_mul_f32_e32 v69, v34, v202
	v_fmac_f32_e32 v69, v35, v141
	v_add_f32_e32 v68, v68, v69
	s_waitcnt vmcnt(44)
	v_mul_f32_e32 v69, v36, v204
	v_fmac_f32_e32 v69, v37, v203
	v_add_f32_e32 v68, v68, v69
	s_waitcnt vmcnt(42) lgkmcnt(0)
	v_mul_f32_e32 v69, v38, v206
	v_fmac_f32_e32 v69, v39, v205
	v_add_f32_e32 v72, v68, v69
	buffer_load_dword v249, off, s[0:3], 0 offset:336
	buffer_load_dword v250, off, s[0:3], 0 offset:340
	ds_read_b128 v[68:71], v44 offset:608
	s_waitcnt vmcnt(42)
	v_mul_f32_e32 v73, v40, v208
	v_fmac_f32_e32 v73, v41, v207
	buffer_load_dword v251, off, s[0:3], 0 offset:344
	buffer_load_dword v252, off, s[0:3], 0 offset:348
	v_add_f32_e32 v76, v72, v73
	buffer_load_dword v253, off, s[0:3], 0 offset:352
	buffer_load_dword v254, off, s[0:3], 0 offset:356
	ds_read_b128 v[72:75], v44 offset:624
	s_waitcnt vmcnt(44) lgkmcnt(1)
	v_mul_f32_e32 v77, v68, v210
	v_fmac_f32_e32 v77, v69, v209
	v_add_f32_e32 v76, v76, v77
	s_waitcnt vmcnt(42)
	v_mul_f32_e32 v77, v70, v212
	v_fmac_f32_e32 v77, v71, v211
	v_add_f32_e32 v76, v76, v77
	s_waitcnt vmcnt(40) lgkmcnt(0)
	v_mul_f32_e32 v77, v72, v214
	v_fmac_f32_e32 v77, v73, v213
	buffer_load_dword v255, off, s[0:3], 0 offset:360
	buffer_load_dword v142, off, s[0:3], 0 offset:364
	v_add_f32_e32 v80, v76, v77
	ds_read_b128 v[76:79], v44 offset:640
	s_waitcnt vmcnt(40)
	v_mul_f32_e32 v81, v74, v216
	v_fmac_f32_e32 v81, v75, v215
	v_add_f32_e32 v84, v80, v81
	ds_read_b128 v[80:83], v44 offset:656
	v_mul_f32_e32 v27, v27, v50
	v_fma_f32 v1, v26, v1, -v27
	v_mul_f32_e32 v26, v29, v49
	v_add_f32_e32 v1, 0, v1
	v_fma_f32 v26, v28, v65, -v26
	v_mul_f32_e32 v23, v23, v51
	v_add_f32_e32 v1, v1, v26
	v_fma_f32 v22, v22, v62, -v23
	v_add_f32_e32 v1, v1, v22
	v_mul_f32_e32 v22, v25, v48
	v_fma_f32 v22, v24, v66, -v22
	v_mul_f32_e32 v19, v19, v47
	v_add_f32_e32 v1, v1, v22
	v_fma_f32 v18, v18, v64, -v19
	v_add_f32_e32 v1, v1, v18
	v_mul_f32_e32 v18, v21, v45
	v_fma_f32 v18, v20, v61, -v18
	v_mul_f32_e32 v11, v11, v46
	s_waitcnt vmcnt(38) lgkmcnt(1)
	v_mul_f32_e32 v85, v76, v218
	v_fmac_f32_e32 v85, v77, v217
	v_add_f32_e32 v84, v84, v85
	s_waitcnt vmcnt(36)
	v_mul_f32_e32 v85, v78, v220
	v_fmac_f32_e32 v85, v79, v219
	v_add_f32_e32 v84, v84, v85
	s_waitcnt vmcnt(34) lgkmcnt(0)
	v_mul_f32_e32 v85, v80, v222
	v_fmac_f32_e32 v85, v81, v221
	v_add_f32_e32 v88, v84, v85
	ds_read_b128 v[84:87], v44 offset:672
	s_waitcnt vmcnt(32)
	v_mul_f32_e32 v89, v82, v224
	v_fmac_f32_e32 v89, v83, v223
	v_add_f32_e32 v92, v88, v89
	ds_read_b128 v[88:91], v44 offset:688
	s_waitcnt vmcnt(30) lgkmcnt(1)
	v_mul_f32_e32 v93, v84, v226
	v_fmac_f32_e32 v93, v85, v225
	v_add_f32_e32 v92, v92, v93
	s_waitcnt vmcnt(28)
	v_mul_f32_e32 v93, v86, v228
	v_fmac_f32_e32 v93, v87, v227
	v_add_f32_e32 v92, v92, v93
	s_waitcnt vmcnt(26) lgkmcnt(0)
	v_mul_f32_e32 v93, v88, v230
	v_fmac_f32_e32 v93, v89, v229
	v_add_f32_e32 v96, v92, v93
	ds_read_b128 v[92:95], v44 offset:704
	s_waitcnt vmcnt(24)
	v_mul_f32_e32 v97, v90, v232
	v_fmac_f32_e32 v97, v91, v231
	v_add_f32_e32 v100, v96, v97
	ds_read_b128 v[96:99], v44 offset:720
	;; [unrolled: 18-line block ×3, first 2 shown]
	s_waitcnt vmcnt(14) lgkmcnt(1)
	v_mul_f32_e32 v109, v100, v242
	v_fmac_f32_e32 v109, v101, v241
	v_add_f32_e32 v108, v108, v109
	s_waitcnt vmcnt(12)
	v_mul_f32_e32 v109, v102, v244
	v_fmac_f32_e32 v109, v103, v243
	v_add_f32_e32 v108, v108, v109
	s_waitcnt vmcnt(10) lgkmcnt(0)
	v_mul_f32_e32 v109, v104, v246
	v_fmac_f32_e32 v109, v105, v245
	s_waitcnt vmcnt(8)
	v_mul_f32_e32 v113, v106, v248
	v_add_f32_e32 v112, v108, v109
	v_fmac_f32_e32 v113, v107, v247
	ds_read_b128 v[108:111], v44 offset:768
	v_add_f32_e32 v117, v112, v113
	ds_read_b128 v[112:115], v44 offset:784
	buffer_load_dword v121, off, s[0:3], 0 offset:388
	buffer_load_dword v120, off, s[0:3], 0 offset:384
	;; [unrolled: 1-line block ×6, first 2 shown]
	v_add_f32_e32 v1, v1, v18
	v_fma_f32 v10, v10, v59, -v11
	v_add_f32_e32 v1, v1, v10
	v_mul_f32_e32 v10, v13, v52
	v_fma_f32 v10, v12, v63, -v10
	buffer_load_dword v129, off, s[0:3], 0 offset:420
	buffer_load_dword v128, off, s[0:3], 0 offset:416
	;; [unrolled: 1-line block ×10, first 2 shown]
	v_add_f32_e32 v1, v1, v10
	v_mul_f32_e32 v10, v15, v53
	v_fma_f32 v10, v14, v60, -v10
	v_add_f32_e32 v1, v1, v10
	v_mul_f32_e32 v10, v17, v54
	v_fma_f32 v10, v16, v58, -v10
	v_mul_f32_e32 v7, v7, v55
	v_add_f32_e32 v1, v1, v10
	v_fma_f32 v6, v6, v57, -v7
	v_add_f32_e32 v1, v1, v6
	v_mul_f32_e32 v6, v9, v56
	v_fma_f32 v6, v8, v126, -v6
	v_mul_f32_e32 v3, v3, v136
	v_add_f32_e32 v1, v1, v6
	v_fma_f32 v2, v2, v118, -v3
	v_add_f32_e32 v1, v1, v2
	v_mul_f32_e32 v2, v5, v137
	v_fma_f32 v2, v4, v116, -v2
	v_add_f32_e32 v1, v1, v2
	v_mul_f32_e32 v2, v31, v138
	;; [unrolled: 3-line block ×27, first 2 shown]
	v_fma_f32 v2, v106, v247, -v2
	v_add_f32_e32 v1, v1, v2
	s_waitcnt vmcnt(22) lgkmcnt(1)
	v_mul_f32_e32 v2, v109, v250
	v_mul_f32_e32 v119, v108, v250
	v_fma_f32 v2, v108, v249, -v2
	v_fmac_f32_e32 v119, v109, v249
	v_add_f32_e32 v1, v1, v2
	s_waitcnt vmcnt(20)
	v_mul_f32_e32 v2, v111, v252
	v_add_f32_e32 v117, v117, v119
	v_mul_f32_e32 v119, v110, v252
	v_fma_f32 v2, v110, v251, -v2
	v_fmac_f32_e32 v119, v111, v251
	v_add_f32_e32 v116, v1, v2
	ds_read_b128 v[2:5], v44 offset:800
	ds_read_b128 v[6:9], v44 offset:816
	;; [unrolled: 1-line block ×4, first 2 shown]
	v_add_f32_e32 v117, v117, v119
	s_waitcnt vmcnt(18) lgkmcnt(4)
	v_mul_f32_e32 v119, v112, v254
	v_mul_f32_e32 v1, v113, v254
	s_waitcnt vmcnt(11)
	v_mov_b32_e32 v20, v125
	v_fmac_f32_e32 v119, v113, v253
	v_mul_f32_e32 v127, v114, v142
	v_fma_f32 v118, v112, v253, -v1
	v_mul_f32_e32 v1, v115, v142
	s_waitcnt lgkmcnt(3)
	v_pk_mul_f32 v[20:21], v[2:3], v[20:21] op_sel_hi:[1,0]
	v_fmac_f32_e32 v127, v115, v255
	v_fma_f32 v126, v114, v255, -v1
	v_pk_add_f32 v[18:19], v[116:117], v[118:119]
	s_waitcnt vmcnt(10)
	v_pk_fma_f32 v[22:23], v[2:3], v[124:125], v[20:21] op_sel:[0,0,1] op_sel_hi:[1,1,0] neg_lo:[0,0,1] neg_hi:[0,0,1]
	v_pk_fma_f32 v[2:3], v[2:3], v[124:125], v[20:21] op_sel:[0,0,1] op_sel_hi:[1,0,0]
	v_pk_add_f32 v[18:19], v[18:19], v[126:127]
	v_mov_b32_e32 v23, v3
	v_pk_add_f32 v[2:3], v[18:19], v[22:23]
	v_mov_b32_e32 v18, v123
	v_pk_mul_f32 v[18:19], v[4:5], v[18:19] op_sel_hi:[1,0]
	v_pk_fma_f32 v[20:21], v[4:5], v[122:123], v[18:19] op_sel:[0,0,1] op_sel_hi:[1,1,0] neg_lo:[0,0,1] neg_hi:[0,0,1]
	v_pk_fma_f32 v[4:5], v[4:5], v[122:123], v[18:19] op_sel:[0,0,1] op_sel_hi:[1,0,0]
	v_mov_b32_e32 v4, v121
	v_mov_b32_e32 v21, v5
	s_waitcnt lgkmcnt(2)
	v_pk_mul_f32 v[4:5], v[6:7], v[4:5] op_sel_hi:[1,0]
	v_pk_fma_f32 v[18:19], v[6:7], v[120:121], v[4:5] op_sel:[0,0,1] op_sel_hi:[1,1,0] neg_lo:[0,0,1] neg_hi:[0,0,1]
	v_pk_fma_f32 v[4:5], v[6:7], v[120:121], v[4:5] op_sel:[0,0,1] op_sel_hi:[1,0,0]
	s_waitcnt vmcnt(3)
	v_mov_b32_e32 v4, v135
	v_mov_b32_e32 v19, v5
	v_pk_mul_f32 v[4:5], v[8:9], v[4:5] op_sel_hi:[1,0]
	s_waitcnt vmcnt(2)
	v_pk_fma_f32 v[6:7], v[8:9], v[134:135], v[4:5] op_sel:[0,0,1] op_sel_hi:[1,1,0] neg_lo:[0,0,1] neg_hi:[0,0,1]
	v_pk_fma_f32 v[4:5], v[8:9], v[134:135], v[4:5] op_sel:[0,0,1] op_sel_hi:[1,0,0]
	v_pk_add_f32 v[2:3], v[2:3], v[20:21]
	v_mov_b32_e32 v4, v133
	v_pk_add_f32 v[2:3], v[2:3], v[18:19]
	v_mov_b32_e32 v7, v5
	s_waitcnt lgkmcnt(1)
	v_pk_mul_f32 v[4:5], v[10:11], v[4:5] op_sel_hi:[1,0]
	v_pk_add_f32 v[2:3], v[2:3], v[6:7]
	v_pk_fma_f32 v[6:7], v[10:11], v[132:133], v[4:5] op_sel:[0,0,1] op_sel_hi:[1,1,0] neg_lo:[0,0,1] neg_hi:[0,0,1]
	v_pk_fma_f32 v[4:5], v[10:11], v[132:133], v[4:5] op_sel:[0,0,1] op_sel_hi:[1,0,0]
	v_mov_b32_e32 v4, v131
	v_mov_b32_e32 v7, v5
	v_pk_mul_f32 v[4:5], v[12:13], v[4:5] op_sel_hi:[1,0]
	v_pk_add_f32 v[2:3], v[2:3], v[6:7]
	v_pk_fma_f32 v[6:7], v[12:13], v[130:131], v[4:5] op_sel:[0,0,1] op_sel_hi:[1,1,0] neg_lo:[0,0,1] neg_hi:[0,0,1]
	v_pk_fma_f32 v[4:5], v[12:13], v[130:131], v[4:5] op_sel:[0,0,1] op_sel_hi:[1,0,0]
	v_mov_b32_e32 v4, v129
	v_mov_b32_e32 v7, v5
	s_waitcnt lgkmcnt(0)
	v_pk_mul_f32 v[4:5], v[14:15], v[4:5] op_sel_hi:[1,0]
	v_pk_add_f32 v[2:3], v[2:3], v[6:7]
	v_pk_fma_f32 v[6:7], v[14:15], v[128:129], v[4:5] op_sel:[0,0,1] op_sel_hi:[1,1,0] neg_lo:[0,0,1] neg_hi:[0,0,1]
	v_pk_fma_f32 v[4:5], v[14:15], v[128:129], v[4:5] op_sel:[0,0,1] op_sel_hi:[1,0,0]
	s_waitcnt vmcnt(1)
	v_mov_b32_e32 v4, v201
	v_mov_b32_e32 v7, v5
	v_pk_mul_f32 v[4:5], v[16:17], v[4:5] op_sel_hi:[1,0]
	v_pk_add_f32 v[2:3], v[2:3], v[6:7]
	s_waitcnt vmcnt(0)
	v_pk_fma_f32 v[6:7], v[16:17], v[200:201], v[4:5] op_sel:[0,0,1] op_sel_hi:[1,1,0] neg_lo:[0,0,1] neg_hi:[0,0,1]
	v_pk_fma_f32 v[4:5], v[16:17], v[200:201], v[4:5] op_sel:[0,0,1] op_sel_hi:[1,0,0]
	v_mov_b32_e32 v7, v5
	v_pk_add_f32 v[2:3], v[2:3], v[6:7]
	v_pk_add_f32 v[2:3], v[42:43], v[2:3] neg_lo:[0,1] neg_hi:[0,1]
	buffer_store_dword v3, off, s[0:3], 0 offset:12
	buffer_store_dword v2, off, s[0:3], 0 offset:8
	s_and_saveexec_b64 s[4:5], vcc
	s_cbranch_execz .LBB117_337
; %bb.336:
	buffer_load_dword v2, off, s[0:3], 0
	buffer_load_dword v3, off, s[0:3], 0 offset:4
	v_mov_b32_e32 v0, 0
	buffer_store_dword v0, off, s[0:3], 0
	buffer_store_dword v0, off, s[0:3], 0 offset:4
	s_waitcnt vmcnt(2)
	ds_write_b64 v143, v[2:3]
.LBB117_337:
	s_or_b64 exec, exec, s[4:5]
	v_mov_b32_e32 v224, 0
	s_waitcnt lgkmcnt(0)
	; wave barrier
	s_waitcnt lgkmcnt(0)
	ds_read2_b64 v[0:3], v224 offset0:55 offset1:56
	buffer_load_dword v200, off, s[0:3], 0
	buffer_load_dword v201, off, s[0:3], 0 offset:4
	buffer_load_dword v202, off, s[0:3], 0 offset:8
	;; [unrolled: 1-line block ×15, first 2 shown]
	s_and_b64 vcc, exec, s[16:17]
	s_waitcnt vmcnt(12) lgkmcnt(0)
	v_mul_f32_e32 v4, v0, v225
	v_fmac_f32_e32 v4, v1, v202
	s_waitcnt vmcnt(10)
	v_mul_f32_e32 v5, v2, v227
	v_add_f32_e32 v4, 0, v4
	v_fmac_f32_e32 v5, v3, v204
	v_add_f32_e32 v8, v4, v5
	ds_read2_b64 v[4:7], v224 offset0:57 offset1:58
	v_mul_f32_e32 v1, v1, v225
	v_fma_f32 v0, v0, v202, -v1
	v_mul_f32_e32 v1, v3, v227
	v_add_f32_e32 v0, 0, v0
	s_waitcnt vmcnt(8) lgkmcnt(0)
	v_mul_f32_e32 v9, v4, v229
	v_fmac_f32_e32 v9, v5, v208
	v_add_f32_e32 v8, v8, v9
	s_waitcnt vmcnt(6)
	v_mul_f32_e32 v9, v6, v231
	v_fmac_f32_e32 v9, v7, v226
	v_add_f32_e32 v12, v8, v9
	ds_read2_b64 v[8:11], v224 offset0:59 offset1:60
	v_fma_f32 v1, v2, v204, -v1
	v_add_f32_e32 v0, v0, v1
	v_mul_f32_e32 v1, v5, v229
	v_fma_f32 v1, v4, v208, -v1
	s_waitcnt vmcnt(4) lgkmcnt(0)
	v_mul_f32_e32 v13, v8, v233
	v_fmac_f32_e32 v13, v9, v228
	v_add_f32_e32 v12, v12, v13
	s_waitcnt vmcnt(2)
	v_mul_f32_e32 v13, v10, v234
	v_fmac_f32_e32 v13, v11, v230
	v_add_f32_e32 v16, v12, v13
	ds_read2_b64 v[12:15], v224 offset0:61 offset1:62
	buffer_load_dword v236, off, s[0:3], 0 offset:64
	buffer_load_dword v237, off, s[0:3], 0 offset:68
	v_add_f32_e32 v0, v0, v1
	v_mul_f32_e32 v1, v7, v231
	v_fma_f32 v1, v6, v226, -v1
	s_waitcnt vmcnt(2) lgkmcnt(0)
	v_mul_f32_e32 v17, v12, v235
	v_fmac_f32_e32 v17, v13, v232
	v_add_f32_e32 v16, v16, v17
	v_add_f32_e32 v0, v0, v1
	v_mul_f32_e32 v1, v9, v233
	v_fma_f32 v1, v8, v228, -v1
	v_add_f32_e32 v0, v0, v1
	v_mul_f32_e32 v1, v11, v234
	v_fma_f32 v1, v10, v230, -v1
	;; [unrolled: 3-line block ×3, first 2 shown]
	v_add_f32_e32 v0, v0, v1
	s_waitcnt vmcnt(0)
	v_mul_f32_e32 v17, v14, v237
	v_fmac_f32_e32 v17, v15, v236
	v_add_f32_e32 v20, v16, v17
	ds_read2_b64 v[16:19], v224 offset0:63 offset1:64
	buffer_load_dword v238, off, s[0:3], 0 offset:72
	buffer_load_dword v239, off, s[0:3], 0 offset:76
	;; [unrolled: 1-line block ×4, first 2 shown]
	v_mul_f32_e32 v1, v15, v237
	v_fma_f32 v1, v14, v236, -v1
	v_add_f32_e32 v0, v0, v1
	s_waitcnt vmcnt(2) lgkmcnt(0)
	v_mul_f32_e32 v21, v16, v239
	v_fmac_f32_e32 v21, v17, v238
	v_add_f32_e32 v20, v20, v21
	s_waitcnt vmcnt(0)
	v_mul_f32_e32 v21, v18, v241
	v_fmac_f32_e32 v21, v19, v240
	v_add_f32_e32 v24, v20, v21
	ds_read2_b64 v[20:23], v224 offset0:65 offset1:66
	buffer_load_dword v242, off, s[0:3], 0 offset:88
	buffer_load_dword v243, off, s[0:3], 0 offset:92
	buffer_load_dword v244, off, s[0:3], 0 offset:96
	buffer_load_dword v245, off, s[0:3], 0 offset:100
	v_mul_f32_e32 v1, v17, v239
	v_fma_f32 v1, v16, v238, -v1
	v_add_f32_e32 v0, v0, v1
	v_mul_f32_e32 v1, v19, v241
	v_fma_f32 v1, v18, v240, -v1
	v_add_f32_e32 v0, v0, v1
	s_waitcnt vmcnt(2) lgkmcnt(0)
	v_mul_f32_e32 v25, v20, v243
	v_fmac_f32_e32 v25, v21, v242
	v_add_f32_e32 v24, v24, v25
	s_waitcnt vmcnt(0)
	v_mul_f32_e32 v25, v22, v245
	v_fmac_f32_e32 v25, v23, v244
	v_add_f32_e32 v28, v24, v25
	ds_read2_b64 v[24:27], v224 offset0:67 offset1:68
	buffer_load_dword v246, off, s[0:3], 0 offset:104
	buffer_load_dword v247, off, s[0:3], 0 offset:108
	buffer_load_dword v248, off, s[0:3], 0 offset:112
	buffer_load_dword v249, off, s[0:3], 0 offset:116
	v_mul_f32_e32 v1, v21, v243
	v_fma_f32 v1, v20, v242, -v1
	v_add_f32_e32 v0, v0, v1
	;; [unrolled: 19-line block ×4, first 2 shown]
	v_mul_f32_e32 v1, v31, v253
	v_fma_f32 v1, v30, v252, -v1
	v_add_f32_e32 v0, v0, v1
	s_waitcnt vmcnt(2) lgkmcnt(0)
	v_mul_f32_e32 v37, v32, v255
	v_fmac_f32_e32 v37, v33, v254
	v_add_f32_e32 v36, v36, v37
	s_waitcnt vmcnt(0)
	v_mul_f32_e32 v37, v34, v93
	v_fmac_f32_e32 v37, v35, v92
	v_add_f32_e32 v40, v36, v37
	ds_read2_b64 v[36:39], v224 offset0:73 offset1:74
	buffer_load_dword v94, off, s[0:3], 0 offset:152
	buffer_load_dword v95, off, s[0:3], 0 offset:156
	buffer_load_dword v96, off, s[0:3], 0 offset:160
	buffer_load_dword v97, off, s[0:3], 0 offset:164
	ds_read2_b64 v[44:47], v224 offset0:75 offset1:76
	buffer_load_dword v98, off, s[0:3], 0 offset:168
	buffer_load_dword v99, off, s[0:3], 0 offset:172
	buffer_load_dword v100, off, s[0:3], 0 offset:176
	buffer_load_dword v101, off, s[0:3], 0 offset:180
	ds_read2_b64 v[48:51], v224 offset0:77 offset1:78
	buffer_load_dword v102, off, s[0:3], 0 offset:184
	buffer_load_dword v103, off, s[0:3], 0 offset:188
	buffer_load_dword v104, off, s[0:3], 0 offset:192
	buffer_load_dword v105, off, s[0:3], 0 offset:196
	ds_read2_b64 v[52:55], v224 offset0:79 offset1:80
	buffer_load_dword v106, off, s[0:3], 0 offset:200
	buffer_load_dword v107, off, s[0:3], 0 offset:204
	buffer_load_dword v108, off, s[0:3], 0 offset:208
	buffer_load_dword v109, off, s[0:3], 0 offset:212
	ds_read2_b64 v[56:59], v224 offset0:81 offset1:82
	buffer_load_dword v110, off, s[0:3], 0 offset:216
	buffer_load_dword v111, off, s[0:3], 0 offset:220
	buffer_load_dword v112, off, s[0:3], 0 offset:224
	buffer_load_dword v113, off, s[0:3], 0 offset:228
	ds_read2_b64 v[60:63], v224 offset0:83 offset1:84
	buffer_load_dword v114, off, s[0:3], 0 offset:232
	buffer_load_dword v115, off, s[0:3], 0 offset:236
	buffer_load_dword v116, off, s[0:3], 0 offset:240
	buffer_load_dword v117, off, s[0:3], 0 offset:244
	ds_read2_b64 v[64:67], v224 offset0:85 offset1:86
	buffer_load_dword v118, off, s[0:3], 0 offset:248
	buffer_load_dword v119, off, s[0:3], 0 offset:252
	buffer_load_dword v120, off, s[0:3], 0 offset:256
	buffer_load_dword v121, off, s[0:3], 0 offset:260
	ds_read2_b64 v[68:71], v224 offset0:87 offset1:88
	buffer_load_dword v122, off, s[0:3], 0 offset:264
	buffer_load_dword v123, off, s[0:3], 0 offset:268
	buffer_load_dword v124, off, s[0:3], 0 offset:272
	buffer_load_dword v125, off, s[0:3], 0 offset:276
	ds_read2_b64 v[72:75], v224 offset0:89 offset1:90
	buffer_load_dword v126, off, s[0:3], 0 offset:280
	buffer_load_dword v127, off, s[0:3], 0 offset:284
	buffer_load_dword v128, off, s[0:3], 0 offset:288
	buffer_load_dword v129, off, s[0:3], 0 offset:292
	ds_read2_b64 v[76:79], v224 offset0:91 offset1:92
	buffer_load_dword v130, off, s[0:3], 0 offset:296
	buffer_load_dword v131, off, s[0:3], 0 offset:300
	buffer_load_dword v132, off, s[0:3], 0 offset:304
	buffer_load_dword v133, off, s[0:3], 0 offset:308
	ds_read2_b64 v[80:83], v224 offset0:93 offset1:94
	buffer_load_dword v134, off, s[0:3], 0 offset:312
	buffer_load_dword v135, off, s[0:3], 0 offset:316
	buffer_load_dword v136, off, s[0:3], 0 offset:320
	buffer_load_dword v137, off, s[0:3], 0 offset:324
	ds_read2_b64 v[84:87], v224 offset0:95 offset1:96
	buffer_load_dword v138, off, s[0:3], 0 offset:328
	buffer_load_dword v139, off, s[0:3], 0 offset:332
	buffer_load_dword v140, off, s[0:3], 0 offset:336
	buffer_load_dword v141, off, s[0:3], 0 offset:340
	ds_read2_b64 v[88:91], v224 offset0:97 offset1:98
	buffer_load_dword v142, off, s[0:3], 0 offset:344
	buffer_load_dword v143, off, s[0:3], 0 offset:348
	buffer_load_dword v144, off, s[0:3], 0 offset:352
	buffer_load_dword v145, off, s[0:3], 0 offset:356
	v_mul_f32_e32 v1, v33, v255
	v_fma_f32 v1, v32, v254, -v1
	v_add_f32_e32 v0, v0, v1
	v_mul_f32_e32 v1, v35, v93
	v_fma_f32 v1, v34, v92, -v1
	v_add_f32_e32 v0, v0, v1
	s_waitcnt vmcnt(50) lgkmcnt(12)
	v_mul_f32_e32 v41, v36, v95
	v_fmac_f32_e32 v41, v37, v94
	v_add_f32_e32 v40, v40, v41
	s_waitcnt vmcnt(48)
	v_mul_f32_e32 v41, v38, v97
	v_fmac_f32_e32 v41, v39, v96
	v_add_f32_e32 v40, v40, v41
	s_waitcnt vmcnt(46) lgkmcnt(11)
	v_mul_f32_e32 v41, v44, v99
	v_fmac_f32_e32 v41, v45, v98
	v_add_f32_e32 v40, v40, v41
	s_waitcnt vmcnt(44)
	v_mul_f32_e32 v41, v46, v101
	v_fmac_f32_e32 v41, v47, v100
	;; [unrolled: 8-line block ×12, first 2 shown]
	v_add_f32_e32 v40, v40, v41
	s_waitcnt vmcnt(2) lgkmcnt(0)
	v_mul_f32_e32 v41, v88, v143
	v_fmac_f32_e32 v41, v89, v142
	v_add_f32_e32 v203, v40, v41
	ds_read2_b64 v[40:43], v224 offset0:99 offset1:100
	buffer_load_dword v146, off, s[0:3], 0 offset:360
	buffer_load_dword v147, off, s[0:3], 0 offset:364
	;; [unrolled: 1-line block ×18, first 2 shown]
	v_mul_f32_e32 v1, v37, v95
	v_fma_f32 v1, v36, v94, -v1
	v_add_f32_e32 v0, v0, v1
	v_mul_f32_e32 v1, v39, v97
	v_fma_f32 v1, v38, v96, -v1
	v_add_f32_e32 v0, v0, v1
	;; [unrolled: 3-line block ×25, first 2 shown]
	s_waitcnt vmcnt(18)
	v_mul_f32_e32 v0, v91, v145
	s_waitcnt vmcnt(15)
	v_mov_b32_e32 v16, v207
	v_mul_f32_e32 v205, v90, v145
	v_fma_f32 v204, v90, v144, -v0
	s_waitcnt lgkmcnt(0)
	v_mul_f32_e32 v0, v41, v147
	v_pk_mul_f32 v[16:17], v[42:43], v[16:17] op_sel_hi:[1,0]
	v_fmac_f32_e32 v205, v91, v144
	v_mul_f32_e32 v209, v40, v147
	v_fma_f32 v208, v40, v146, -v0
	ds_read2_b64 v[0:3], v224 offset0:101 offset1:102
	ds_read2_b64 v[4:7], v224 offset0:103 offset1:104
	;; [unrolled: 1-line block ×3, first 2 shown]
	ds_read_b64 v[12:13], v224 offset:856
	s_waitcnt vmcnt(14)
	v_pk_fma_f32 v[18:19], v[42:43], v[206:207], v[16:17] op_sel:[0,0,1] op_sel_hi:[1,1,0] neg_lo:[0,0,1] neg_hi:[0,0,1]
	v_pk_fma_f32 v[16:17], v[42:43], v[206:207], v[16:17] op_sel:[0,0,1] op_sel_hi:[1,0,0]
	v_fmac_f32_e32 v209, v41, v146
	v_pk_add_f32 v[14:15], v[202:203], v[204:205]
	s_waitcnt vmcnt(13)
	v_mov_b32_e32 v16, v223
	v_pk_add_f32 v[14:15], v[14:15], v[208:209]
	v_mov_b32_e32 v19, v17
	s_waitcnt lgkmcnt(3)
	v_pk_mul_f32 v[16:17], v[0:1], v[16:17] op_sel_hi:[1,0]
	v_pk_add_f32 v[14:15], v[14:15], v[18:19]
	s_waitcnt vmcnt(12)
	v_pk_fma_f32 v[18:19], v[0:1], v[222:223], v[16:17] op_sel:[0,0,1] op_sel_hi:[1,1,0] neg_lo:[0,0,1] neg_hi:[0,0,1]
	v_pk_fma_f32 v[0:1], v[0:1], v[222:223], v[16:17] op_sel:[0,0,1] op_sel_hi:[1,0,0]
	v_mov_b32_e32 v19, v1
	v_pk_add_f32 v[0:1], v[14:15], v[18:19]
	s_waitcnt vmcnt(11)
	v_mov_b32_e32 v14, v221
	v_pk_mul_f32 v[14:15], v[2:3], v[14:15] op_sel_hi:[1,0]
	s_waitcnt vmcnt(10)
	v_pk_fma_f32 v[16:17], v[2:3], v[220:221], v[14:15] op_sel:[0,0,1] op_sel_hi:[1,1,0] neg_lo:[0,0,1] neg_hi:[0,0,1]
	v_pk_fma_f32 v[2:3], v[2:3], v[220:221], v[14:15] op_sel:[0,0,1] op_sel_hi:[1,0,0]
	s_waitcnt vmcnt(9)
	v_mov_b32_e32 v2, v219
	v_mov_b32_e32 v17, v3
	s_waitcnt lgkmcnt(2)
	v_pk_mul_f32 v[2:3], v[4:5], v[2:3] op_sel_hi:[1,0]
	s_waitcnt vmcnt(8)
	v_pk_fma_f32 v[14:15], v[4:5], v[218:219], v[2:3] op_sel:[0,0,1] op_sel_hi:[1,1,0] neg_lo:[0,0,1] neg_hi:[0,0,1]
	v_pk_fma_f32 v[2:3], v[4:5], v[218:219], v[2:3] op_sel:[0,0,1] op_sel_hi:[1,0,0]
	s_waitcnt vmcnt(7)
	v_mov_b32_e32 v2, v217
	v_mov_b32_e32 v15, v3
	v_pk_mul_f32 v[2:3], v[6:7], v[2:3] op_sel_hi:[1,0]
	s_waitcnt vmcnt(6)
	v_pk_fma_f32 v[4:5], v[6:7], v[216:217], v[2:3] op_sel:[0,0,1] op_sel_hi:[1,1,0] neg_lo:[0,0,1] neg_hi:[0,0,1]
	v_pk_fma_f32 v[2:3], v[6:7], v[216:217], v[2:3] op_sel:[0,0,1] op_sel_hi:[1,0,0]
	v_pk_add_f32 v[0:1], v[0:1], v[16:17]
	s_waitcnt vmcnt(5)
	v_mov_b32_e32 v2, v215
	v_pk_add_f32 v[0:1], v[0:1], v[14:15]
	v_mov_b32_e32 v5, v3
	s_waitcnt lgkmcnt(1)
	v_pk_mul_f32 v[2:3], v[8:9], v[2:3] op_sel_hi:[1,0]
	v_pk_add_f32 v[0:1], v[0:1], v[4:5]
	s_waitcnt vmcnt(4)
	v_pk_fma_f32 v[4:5], v[8:9], v[214:215], v[2:3] op_sel:[0,0,1] op_sel_hi:[1,1,0] neg_lo:[0,0,1] neg_hi:[0,0,1]
	v_pk_fma_f32 v[2:3], v[8:9], v[214:215], v[2:3] op_sel:[0,0,1] op_sel_hi:[1,0,0]
	s_waitcnt vmcnt(3)
	v_mov_b32_e32 v2, v213
	v_mov_b32_e32 v5, v3
	v_pk_mul_f32 v[2:3], v[10:11], v[2:3] op_sel_hi:[1,0]
	v_pk_add_f32 v[0:1], v[0:1], v[4:5]
	s_waitcnt vmcnt(2)
	v_pk_fma_f32 v[4:5], v[10:11], v[212:213], v[2:3] op_sel:[0,0,1] op_sel_hi:[1,1,0] neg_lo:[0,0,1] neg_hi:[0,0,1]
	v_pk_fma_f32 v[2:3], v[10:11], v[212:213], v[2:3] op_sel:[0,0,1] op_sel_hi:[1,0,0]
	s_waitcnt vmcnt(1)
	v_mov_b32_e32 v2, v211
	v_mov_b32_e32 v5, v3
	s_waitcnt lgkmcnt(0)
	v_pk_mul_f32 v[2:3], v[12:13], v[2:3] op_sel_hi:[1,0]
	v_pk_add_f32 v[0:1], v[0:1], v[4:5]
	s_waitcnt vmcnt(0)
	v_pk_fma_f32 v[4:5], v[12:13], v[210:211], v[2:3] op_sel:[0,0,1] op_sel_hi:[1,1,0] neg_lo:[0,0,1] neg_hi:[0,0,1]
	v_pk_fma_f32 v[2:3], v[12:13], v[210:211], v[2:3] op_sel:[0,0,1] op_sel_hi:[1,0,0]
	v_mov_b32_e32 v5, v3
	v_pk_add_f32 v[0:1], v[0:1], v[4:5]
	v_pk_add_f32 v[0:1], v[200:201], v[0:1] neg_lo:[0,1] neg_hi:[0,1]
	buffer_store_dword v1, off, s[0:3], 0 offset:4
	buffer_store_dword v0, off, s[0:3], 0
	s_cbranch_vccz .LBB117_445
; %bb.338:
	v_pk_mov_b32 v[0:1], s[10:11], s[10:11] op_sel:[0,1]
	flat_load_dword v0, v[0:1] offset:208
	s_waitcnt vmcnt(0) lgkmcnt(0)
	v_add_u32_e32 v0, -1, v0
	v_cmp_ne_u32_e32 vcc, 52, v0
	s_and_saveexec_b64 s[4:5], vcc
	s_cbranch_execz .LBB117_340
; %bb.339:
	v_mov_b32_e32 v1, 0
	v_lshl_add_u32 v0, v0, 3, v1
	buffer_load_dword v1, v0, s[0:3], 0 offen
	buffer_load_dword v2, v0, s[0:3], 0 offen offset:4
	buffer_load_dword v3, off, s[0:3], 0 offset:420
	buffer_load_dword v4, off, s[0:3], 0 offset:416
	s_waitcnt vmcnt(3)
	buffer_store_dword v1, off, s[0:3], 0 offset:416
	s_waitcnt vmcnt(3)
	buffer_store_dword v2, off, s[0:3], 0 offset:420
	s_waitcnt vmcnt(3)
	buffer_store_dword v3, v0, s[0:3], 0 offen offset:4
	s_waitcnt vmcnt(3)
	buffer_store_dword v4, v0, s[0:3], 0 offen
.LBB117_340:
	s_or_b64 exec, exec, s[4:5]
	v_pk_mov_b32 v[0:1], s[10:11], s[10:11] op_sel:[0,1]
	flat_load_dword v0, v[0:1] offset:204
	s_waitcnt vmcnt(0) lgkmcnt(0)
	v_add_u32_e32 v0, -1, v0
	v_cmp_ne_u32_e32 vcc, 51, v0
	s_and_saveexec_b64 s[4:5], vcc
	s_cbranch_execz .LBB117_342
; %bb.341:
	v_mov_b32_e32 v1, 0
	v_lshl_add_u32 v0, v0, 3, v1
	buffer_load_dword v1, v0, s[0:3], 0 offen
	buffer_load_dword v2, v0, s[0:3], 0 offen offset:4
	buffer_load_dword v3, off, s[0:3], 0 offset:408
	buffer_load_dword v4, off, s[0:3], 0 offset:412
	s_waitcnt vmcnt(3)
	buffer_store_dword v1, off, s[0:3], 0 offset:408
	s_waitcnt vmcnt(3)
	buffer_store_dword v2, off, s[0:3], 0 offset:412
	s_waitcnt vmcnt(3)
	buffer_store_dword v3, v0, s[0:3], 0 offen
	s_waitcnt vmcnt(3)
	buffer_store_dword v4, v0, s[0:3], 0 offen offset:4
.LBB117_342:
	s_or_b64 exec, exec, s[4:5]
	v_pk_mov_b32 v[0:1], s[10:11], s[10:11] op_sel:[0,1]
	flat_load_dword v0, v[0:1] offset:200
	s_waitcnt vmcnt(0) lgkmcnt(0)
	v_add_u32_e32 v0, -1, v0
	v_cmp_ne_u32_e32 vcc, 50, v0
	s_and_saveexec_b64 s[4:5], vcc
	s_cbranch_execz .LBB117_344
; %bb.343:
	v_mov_b32_e32 v1, 0
	v_lshl_add_u32 v0, v0, 3, v1
	buffer_load_dword v1, v0, s[0:3], 0 offen
	buffer_load_dword v2, v0, s[0:3], 0 offen offset:4
	buffer_load_dword v3, off, s[0:3], 0 offset:404
	buffer_load_dword v4, off, s[0:3], 0 offset:400
	s_waitcnt vmcnt(3)
	buffer_store_dword v1, off, s[0:3], 0 offset:400
	s_waitcnt vmcnt(3)
	buffer_store_dword v2, off, s[0:3], 0 offset:404
	s_waitcnt vmcnt(3)
	buffer_store_dword v3, v0, s[0:3], 0 offen offset:4
	s_waitcnt vmcnt(3)
	buffer_store_dword v4, v0, s[0:3], 0 offen
.LBB117_344:
	s_or_b64 exec, exec, s[4:5]
	v_pk_mov_b32 v[0:1], s[10:11], s[10:11] op_sel:[0,1]
	flat_load_dword v0, v[0:1] offset:196
	s_waitcnt vmcnt(0) lgkmcnt(0)
	v_add_u32_e32 v0, -1, v0
	v_cmp_ne_u32_e32 vcc, 49, v0
	s_and_saveexec_b64 s[4:5], vcc
	s_cbranch_execz .LBB117_346
; %bb.345:
	v_mov_b32_e32 v1, 0
	v_lshl_add_u32 v0, v0, 3, v1
	buffer_load_dword v1, v0, s[0:3], 0 offen
	buffer_load_dword v2, v0, s[0:3], 0 offen offset:4
	buffer_load_dword v3, off, s[0:3], 0 offset:392
	buffer_load_dword v4, off, s[0:3], 0 offset:396
	s_waitcnt vmcnt(3)
	buffer_store_dword v1, off, s[0:3], 0 offset:392
	s_waitcnt vmcnt(3)
	buffer_store_dword v2, off, s[0:3], 0 offset:396
	s_waitcnt vmcnt(3)
	buffer_store_dword v3, v0, s[0:3], 0 offen
	s_waitcnt vmcnt(3)
	buffer_store_dword v4, v0, s[0:3], 0 offen offset:4
.LBB117_346:
	s_or_b64 exec, exec, s[4:5]
	;; [unrolled: 48-line block ×26, first 2 shown]
	v_pk_mov_b32 v[0:1], s[10:11], s[10:11] op_sel:[0,1]
	flat_load_dword v2, v[0:1]
	s_nop 0
	buffer_load_dword v0, off, s[0:3], 0
	buffer_load_dword v1, off, s[0:3], 0 offset:4
	s_waitcnt vmcnt(0) lgkmcnt(0)
	v_add_u32_e32 v2, -1, v2
	v_cmp_ne_u32_e32 vcc, 0, v2
	s_and_saveexec_b64 s[4:5], vcc
	s_cbranch_execz .LBB117_444
; %bb.443:
	v_mov_b32_e32 v3, 0
	v_lshl_add_u32 v2, v2, 3, v3
	buffer_load_dword v3, v2, s[0:3], 0 offen offset:4
	buffer_load_dword v4, v2, s[0:3], 0 offen
	s_waitcnt vmcnt(1)
	buffer_store_dword v3, off, s[0:3], 0 offset:4
	s_waitcnt vmcnt(1)
	buffer_store_dword v4, off, s[0:3], 0
	buffer_store_dword v1, v2, s[0:3], 0 offen offset:4
	buffer_store_dword v0, v2, s[0:3], 0 offen
	buffer_load_dword v0, off, s[0:3], 0
	s_nop 0
	buffer_load_dword v1, off, s[0:3], 0 offset:4
.LBB117_444:
	s_or_b64 exec, exec, s[4:5]
.LBB117_445:
	buffer_load_dword v2, off, s[0:3], 0 offset:8
	buffer_load_dword v3, off, s[0:3], 0 offset:12
	;; [unrolled: 1-line block ×106, first 2 shown]
	s_waitcnt vmcnt(62)
	global_store_dwordx2 v[190:191], v[0:1], off
	global_store_dwordx2 v[192:193], v[2:3], off
	v_accvgpr_read_b32 v0, a0
	v_accvgpr_read_b32 v1, a1
	global_store_dwordx2 v[0:1], v[4:5], off
	v_accvgpr_read_b32 v0, a2
	v_accvgpr_read_b32 v1, a3
	;; [unrolled: 3-line block ×22, first 2 shown]
	s_waitcnt vmcnt(62)
	global_store_dwordx2 v[0:1], v[46:47], off
	v_accvgpr_read_b32 v0, a44
	v_accvgpr_read_b32 v1, a45
	global_store_dwordx2 v[0:1], v[48:49], off
	v_accvgpr_read_b32 v0, a46
	v_accvgpr_read_b32 v1, a47
	;; [unrolled: 3-line block ×6, first 2 shown]
	global_store_dwordx2 v[0:1], v[58:59], off
	global_store_dwordx2 v[148:149], v[60:61], off
	;; [unrolled: 1-line block ×5, first 2 shown]
	s_waitcnt vmcnt(62)
	global_store_dwordx2 v[156:157], v[68:69], off
	global_store_dwordx2 v[158:159], v[70:71], off
	;; [unrolled: 1-line block ×6, first 2 shown]
	s_waitcnt vmcnt(62)
	global_store_dwordx2 v[168:169], v[80:81], off
	global_store_dwordx2 v[170:171], v[82:83], off
	;; [unrolled: 1-line block ×3, first 2 shown]
	s_waitcnt vmcnt(62)
	global_store_dwordx2 v[174:175], v[86:87], off
	s_waitcnt vmcnt(62)
	global_store_dwordx2 v[176:177], v[88:89], off
	;; [unrolled: 2-line block ×11, first 2 shown]
	s_endpgm
	.section	.rodata,"a",@progbits
	.p2align	6, 0x0
	.amdhsa_kernel _ZN9rocsolver6v33100L18getri_kernel_smallILi54E19rocblas_complex_numIfEPKPS3_EEvT1_iilPiilS8_bb
		.amdhsa_group_segment_fixed_size 868
		.amdhsa_private_segment_fixed_size 448
		.amdhsa_kernarg_size 60
		.amdhsa_user_sgpr_count 8
		.amdhsa_user_sgpr_private_segment_buffer 1
		.amdhsa_user_sgpr_dispatch_ptr 0
		.amdhsa_user_sgpr_queue_ptr 0
		.amdhsa_user_sgpr_kernarg_segment_ptr 1
		.amdhsa_user_sgpr_dispatch_id 0
		.amdhsa_user_sgpr_flat_scratch_init 1
		.amdhsa_user_sgpr_kernarg_preload_length 0
		.amdhsa_user_sgpr_kernarg_preload_offset 0
		.amdhsa_user_sgpr_private_segment_size 0
		.amdhsa_uses_dynamic_stack 0
		.amdhsa_system_sgpr_private_segment_wavefront_offset 1
		.amdhsa_system_sgpr_workgroup_id_x 1
		.amdhsa_system_sgpr_workgroup_id_y 0
		.amdhsa_system_sgpr_workgroup_id_z 0
		.amdhsa_system_sgpr_workgroup_info 0
		.amdhsa_system_vgpr_workitem_id 0
		.amdhsa_next_free_vgpr 312
		.amdhsa_next_free_sgpr 22
		.amdhsa_accum_offset 256
		.amdhsa_reserve_vcc 1
		.amdhsa_reserve_flat_scratch 1
		.amdhsa_float_round_mode_32 0
		.amdhsa_float_round_mode_16_64 0
		.amdhsa_float_denorm_mode_32 3
		.amdhsa_float_denorm_mode_16_64 3
		.amdhsa_dx10_clamp 1
		.amdhsa_ieee_mode 1
		.amdhsa_fp16_overflow 0
		.amdhsa_tg_split 0
		.amdhsa_exception_fp_ieee_invalid_op 0
		.amdhsa_exception_fp_denorm_src 0
		.amdhsa_exception_fp_ieee_div_zero 0
		.amdhsa_exception_fp_ieee_overflow 0
		.amdhsa_exception_fp_ieee_underflow 0
		.amdhsa_exception_fp_ieee_inexact 0
		.amdhsa_exception_int_div_zero 0
	.end_amdhsa_kernel
	.section	.text._ZN9rocsolver6v33100L18getri_kernel_smallILi54E19rocblas_complex_numIfEPKPS3_EEvT1_iilPiilS8_bb,"axG",@progbits,_ZN9rocsolver6v33100L18getri_kernel_smallILi54E19rocblas_complex_numIfEPKPS3_EEvT1_iilPiilS8_bb,comdat
.Lfunc_end117:
	.size	_ZN9rocsolver6v33100L18getri_kernel_smallILi54E19rocblas_complex_numIfEPKPS3_EEvT1_iilPiilS8_bb, .Lfunc_end117-_ZN9rocsolver6v33100L18getri_kernel_smallILi54E19rocblas_complex_numIfEPKPS3_EEvT1_iilPiilS8_bb
                                        ; -- End function
	.section	.AMDGPU.csdata,"",@progbits
; Kernel info:
; codeLenInByte = 112464
; NumSgprs: 28
; NumVgprs: 256
; NumAgprs: 56
; TotalNumVgprs: 312
; ScratchSize: 448
; MemoryBound: 0
; FloatMode: 240
; IeeeMode: 1
; LDSByteSize: 868 bytes/workgroup (compile time only)
; SGPRBlocks: 3
; VGPRBlocks: 38
; NumSGPRsForWavesPerEU: 28
; NumVGPRsForWavesPerEU: 312
; AccumOffset: 256
; Occupancy: 1
; WaveLimiterHint : 1
; COMPUTE_PGM_RSRC2:SCRATCH_EN: 1
; COMPUTE_PGM_RSRC2:USER_SGPR: 8
; COMPUTE_PGM_RSRC2:TRAP_HANDLER: 0
; COMPUTE_PGM_RSRC2:TGID_X_EN: 1
; COMPUTE_PGM_RSRC2:TGID_Y_EN: 0
; COMPUTE_PGM_RSRC2:TGID_Z_EN: 0
; COMPUTE_PGM_RSRC2:TIDIG_COMP_CNT: 0
; COMPUTE_PGM_RSRC3_GFX90A:ACCUM_OFFSET: 63
; COMPUTE_PGM_RSRC3_GFX90A:TG_SPLIT: 0
	.section	.text._ZN9rocsolver6v33100L18getri_kernel_smallILi55E19rocblas_complex_numIfEPKPS3_EEvT1_iilPiilS8_bb,"axG",@progbits,_ZN9rocsolver6v33100L18getri_kernel_smallILi55E19rocblas_complex_numIfEPKPS3_EEvT1_iilPiilS8_bb,comdat
	.globl	_ZN9rocsolver6v33100L18getri_kernel_smallILi55E19rocblas_complex_numIfEPKPS3_EEvT1_iilPiilS8_bb ; -- Begin function _ZN9rocsolver6v33100L18getri_kernel_smallILi55E19rocblas_complex_numIfEPKPS3_EEvT1_iilPiilS8_bb
	.p2align	8
	.type	_ZN9rocsolver6v33100L18getri_kernel_smallILi55E19rocblas_complex_numIfEPKPS3_EEvT1_iilPiilS8_bb,@function
_ZN9rocsolver6v33100L18getri_kernel_smallILi55E19rocblas_complex_numIfEPKPS3_EEvT1_iilPiilS8_bb: ; @_ZN9rocsolver6v33100L18getri_kernel_smallILi55E19rocblas_complex_numIfEPKPS3_EEvT1_iilPiilS8_bb
; %bb.0:
	s_add_u32 flat_scratch_lo, s6, s9
	s_addc_u32 flat_scratch_hi, s7, 0
	s_add_u32 s0, s0, s9
	s_addc_u32 s1, s1, 0
	v_cmp_gt_u32_e32 vcc, 55, v0
	s_and_saveexec_b64 s[6:7], vcc
	s_cbranch_execz .LBB118_234
; %bb.1:
	s_load_dword s20, s[4:5], 0x38
	s_load_dwordx2 s[6:7], s[4:5], 0x0
	s_load_dwordx4 s[12:15], s[4:5], 0x28
	s_waitcnt lgkmcnt(0)
	s_bitcmp1_b32 s20, 8
	s_cselect_b64 s[16:17], -1, 0
	s_ashr_i32 s9, s8, 31
	s_lshl_b64 s[10:11], s[8:9], 3
	s_add_u32 s6, s6, s10
	s_addc_u32 s7, s7, s11
	s_load_dwordx2 s[18:19], s[6:7], 0x0
	s_bfe_u32 s6, s20, 0x10008
	s_cmp_eq_u32 s6, 0
                                        ; implicit-def: $sgpr10_sgpr11
	s_cbranch_scc1 .LBB118_3
; %bb.2:
	s_load_dword s6, s[4:5], 0x20
	s_load_dwordx2 s[10:11], s[4:5], 0x18
	s_mul_i32 s7, s8, s13
	s_mul_hi_u32 s13, s8, s12
	s_add_i32 s13, s13, s7
	s_mul_i32 s21, s9, s12
	s_add_i32 s13, s13, s21
	s_mul_i32 s12, s8, s12
	s_waitcnt lgkmcnt(0)
	s_ashr_i32 s7, s6, 31
	s_lshl_b64 s[12:13], s[12:13], 2
	s_add_u32 s10, s10, s12
	s_addc_u32 s11, s11, s13
	s_lshl_b64 s[6:7], s[6:7], 2
	s_add_u32 s10, s10, s6
	s_addc_u32 s11, s11, s7
.LBB118_3:
	s_load_dwordx2 s[6:7], s[4:5], 0x8
	v_lshlrev_b32_e32 v6, 3, v0
	s_waitcnt lgkmcnt(0)
	s_ashr_i32 s5, s6, 31
	s_mov_b32 s4, s6
	s_lshl_b64 s[4:5], s[4:5], 3
	s_add_u32 s4, s18, s4
	s_addc_u32 s5, s19, s5
	s_add_i32 s6, s7, s7
	v_add_u32_e32 v2, s6, v0
	v_ashrrev_i32_e32 v3, 31, v2
	v_lshlrev_b64 v[4:5], 3, v[2:3]
	v_add_u32_e32 v2, s7, v2
	v_mov_b32_e32 v1, s5
	v_add_co_u32_e32 v12, vcc, s4, v4
	v_ashrrev_i32_e32 v3, 31, v2
	v_addc_co_u32_e32 v13, vcc, v1, v5, vcc
	v_lshlrev_b64 v[4:5], 3, v[2:3]
	v_add_u32_e32 v2, s7, v2
	v_add_co_u32_e32 v14, vcc, s4, v4
	v_ashrrev_i32_e32 v3, 31, v2
	v_addc_co_u32_e32 v15, vcc, v1, v5, vcc
	v_lshlrev_b64 v[4:5], 3, v[2:3]
	v_add_u32_e32 v2, s7, v2
	;; [unrolled: 5-line block ×44, first 2 shown]
	v_add_co_u32_e32 v182, vcc, s4, v4
	v_ashrrev_i32_e32 v3, 31, v2
	v_addc_co_u32_e32 v183, vcc, v1, v5, vcc
	v_lshlrev_b64 v[4:5], 3, v[2:3]
	v_add_co_u32_e32 v184, vcc, s4, v4
	v_add_u32_e32 v2, s7, v2
	v_addc_co_u32_e32 v185, vcc, v1, v5, vcc
	v_ashrrev_i32_e32 v3, 31, v2
	v_lshlrev_b64 v[4:5], 3, v[2:3]
	v_mov_b32_e32 v3, s5
	v_add_co_u32_e32 v192, vcc, s4, v6
	s_ashr_i32 s13, s7, 31
	s_mov_b32 s12, s7
	v_addc_co_u32_e32 v193, vcc, 0, v3, vcc
	s_lshl_b64 s[12:13], s[12:13], 3
	v_mov_b32_e32 v3, s13
	v_add_co_u32_e32 v196, vcc, s12, v192
	v_addc_co_u32_e32 v197, vcc, v193, v3, vcc
	v_add_u32_e32 v2, s7, v2
	v_add_co_u32_e32 v186, vcc, s4, v4
	v_ashrrev_i32_e32 v3, 31, v2
	v_accvgpr_write_b32 a0, v12
	v_accvgpr_write_b32 a2, v14
	;; [unrolled: 1-line block ×3, first 2 shown]
	global_load_dwordx2 v[8:9], v6, s[4:5]
	v_addc_co_u32_e32 v187, vcc, v1, v5, vcc
	global_load_dwordx2 v[4:5], v[12:13], off
	v_accvgpr_write_b32 a1, v13
	v_accvgpr_write_b32 a3, v15
	global_load_dwordx2 v[14:15], v[14:15], off
	v_accvgpr_write_b32 a9, v21
	global_load_dwordx2 v[20:21], v[20:21], off
	v_lshlrev_b64 v[12:13], 3, v[2:3]
	v_add_co_u32_e32 v188, vcc, s4, v12
	v_addc_co_u32_e32 v189, vcc, v1, v13, vcc
	global_load_dwordx2 v[12:13], v[16:17], off
	v_accvgpr_write_b32 a4, v16
	v_accvgpr_write_b32 a12, v24
	;; [unrolled: 1-line block ×3, first 2 shown]
	global_load_dwordx2 v[10:11], v[196:197], off
	v_accvgpr_write_b32 a5, v17
	v_accvgpr_write_b32 a13, v25
	global_load_dwordx2 v[24:25], v[24:25], off
	v_accvgpr_write_b32 a25, v37
	global_load_dwordx2 v[36:37], v[36:37], off
	v_add_u32_e32 v2, s7, v2
	global_load_dwordx2 v[16:17], v[18:19], off
	v_ashrrev_i32_e32 v3, 31, v2
	v_accvgpr_write_b32 a6, v18
	v_accvgpr_write_b32 a14, v26
	;; [unrolled: 1-line block ×5, first 2 shown]
	global_load_dwordx2 v[26:27], v[26:27], off
	v_accvgpr_write_b32 a27, v39
	global_load_dwordx2 v[38:39], v[38:39], off
	v_lshlrev_b64 v[18:19], 3, v[2:3]
	v_add_co_u32_e32 v190, vcc, s4, v18
	v_addc_co_u32_e32 v191, vcc, v1, v19, vcc
	global_load_dwordx2 v[18:19], v[22:23], off
	v_add_u32_e32 v2, s7, v2
	v_accvgpr_write_b32 a10, v22
	v_ashrrev_i32_e32 v3, 31, v2
	v_accvgpr_write_b32 a18, v30
	v_accvgpr_write_b32 a11, v23
	;; [unrolled: 1-line block ×3, first 2 shown]
	global_load_dwordx2 v[30:31], v[30:31], off
	v_lshlrev_b64 v[22:23], 3, v[2:3]
	v_add_co_u32_e32 v194, vcc, s4, v22
	v_addc_co_u32_e32 v195, vcc, v1, v23, vcc
	global_load_dwordx2 v[22:23], v[28:29], off
	v_add_u32_e32 v2, s7, v2
	v_ashrrev_i32_e32 v3, 31, v2
	v_accvgpr_write_b32 a16, v28
	v_accvgpr_write_b32 a28, v40
	;; [unrolled: 1-line block ×4, first 2 shown]
	global_load_dwordx2 v[40:41], v[40:41], off
	v_lshlrev_b64 v[28:29], 3, v[2:3]
	v_add_u32_e32 v2, s7, v2
	v_add_co_u32_e32 v198, vcc, s4, v28
	v_accvgpr_write_b32 a20, v32
	v_ashrrev_i32_e32 v3, 31, v2
	v_accvgpr_write_b32 a22, v34
	v_addc_co_u32_e32 v199, vcc, v1, v29, vcc
	v_accvgpr_write_b32 a21, v33
	global_load_dwordx2 v[28:29], v[32:33], off
	v_accvgpr_write_b32 a23, v35
	global_load_dwordx2 v[32:33], v[34:35], off
	v_lshlrev_b64 v[34:35], 3, v[2:3]
	v_add_u32_e32 v2, s7, v2
	v_add_co_u32_e32 v200, vcc, s4, v34
	v_ashrrev_i32_e32 v3, 31, v2
	v_addc_co_u32_e32 v201, vcc, v1, v35, vcc
	v_lshlrev_b64 v[2:3], 3, v[2:3]
	v_accvgpr_write_b32 a30, v42
	v_accvgpr_write_b32 a32, v44
	;; [unrolled: 1-line block ×8, first 2 shown]
	v_add_co_u32_e32 v202, vcc, s4, v2
	v_accvgpr_write_b32 a31, v43
	global_load_dwordx2 v[34:35], v[42:43], off
	v_accvgpr_write_b32 a33, v45
	global_load_dwordx2 v[42:43], v[44:45], off
	v_accvgpr_write_b32 a35, v47
	global_load_dwordx2 v[44:45], v[46:47], off
	v_accvgpr_write_b32 a37, v49
	global_load_dwordx2 v[46:47], v[48:49], off
	v_accvgpr_write_b32 a39, v51
	global_load_dwordx2 v[48:49], v[50:51], off
	v_accvgpr_write_b32 a41, v53
	global_load_dwordx2 v[50:51], v[52:53], off
	v_accvgpr_write_b32 a43, v55
	global_load_dwordx2 v[52:53], v[54:55], off
	v_accvgpr_write_b32 a45, v57
	global_load_dwordx2 v[54:55], v[56:57], off
	v_addc_co_u32_e32 v203, vcc, v1, v3, vcc
	global_load_dwordx2 v[2:3], v[58:59], off
	global_load_dwordx2 v[56:57], v[202:203], off
	v_accvgpr_write_b32 a46, v58
	v_accvgpr_write_b32 a47, v59
	global_load_dwordx2 v[58:59], v[60:61], off
	v_accvgpr_write_b32 a48, v60
	v_accvgpr_write_b32 a49, v61
	s_waitcnt vmcnt(27)
	buffer_store_dword v9, off, s[0:3], 0 offset:4
	buffer_store_dword v8, off, s[0:3], 0
	global_load_dwordx2 v[8:9], v[64:65], off
	v_accvgpr_write_b32 a50, v62
	s_waitcnt vmcnt(29)
	buffer_store_dword v5, off, s[0:3], 0 offset:20
	buffer_store_dword v4, off, s[0:3], 0 offset:16
	global_load_dwordx2 v[4:5], v[72:73], off
	v_accvgpr_write_b32 a51, v63
	s_waitcnt vmcnt(29)
	buffer_store_dword v13, off, s[0:3], 0 offset:36
	buffer_store_dword v12, off, s[0:3], 0 offset:32
	global_load_dwordx2 v[12:13], v[162:163], off
	v_accvgpr_write_b32 a52, v64
	global_load_dwordx2 v[60:61], v[62:63], off
	v_accvgpr_write_b32 a53, v65
	s_waitcnt vmcnt(32)
	buffer_store_dword v11, off, s[0:3], 0 offset:12
	buffer_store_dword v10, off, s[0:3], 0 offset:8
	global_load_dwordx2 v[10:11], v[68:69], off
	v_accvgpr_write_b32 a54, v66
	buffer_store_dword v15, off, s[0:3], 0 offset:28
	buffer_store_dword v14, off, s[0:3], 0 offset:24
	global_load_dwordx2 v[14:15], v[158:159], off
	v_accvgpr_write_b32 a56, v68
	s_waitcnt vmcnt(35)
	buffer_store_dword v17, off, s[0:3], 0 offset:44
	buffer_store_dword v16, off, s[0:3], 0 offset:40
	global_load_dwordx2 v[16:17], v[166:167], off
	v_accvgpr_write_b32 a60, v72
	global_load_dwordx2 v[62:63], v[66:67], off
	global_load_dwordx2 v[64:65], v[70:71], off
	v_accvgpr_write_b32 a55, v67
	v_accvgpr_write_b32 a57, v69
	global_load_dwordx2 v[68:69], v[160:161], off
	v_accvgpr_write_b32 a61, v73
	global_load_dwordx2 v[72:73], v[168:169], off
	global_load_dwordx2 v[66:67], v[74:75], off
	v_accvgpr_write_b32 a58, v70
	v_accvgpr_write_b32 a59, v71
	global_load_dwordx2 v[70:71], v[164:165], off
	v_accvgpr_write_b32 a62, v74
	buffer_store_dword v21, off, s[0:3], 0 offset:52
	buffer_store_dword v20, off, s[0:3], 0 offset:48
	global_load_dwordx2 v[20:21], v[170:171], off
	v_accvgpr_write_b32 a63, v75
	s_waitcnt vmcnt(44)
	buffer_store_dword v19, off, s[0:3], 0 offset:60
	buffer_store_dword v18, off, s[0:3], 0 offset:56
	global_load_dwordx2 v[18:19], v[174:175], off
	s_bitcmp0_b32 s20, 0
	global_load_dwordx2 v[74:75], v[172:173], off
	global_load_dwordx2 v[76:77], v[176:177], off
	;; [unrolled: 1-line block ×7, first 2 shown]
	s_mov_b64 s[6:7], -1
	buffer_store_dword v25, off, s[0:3], 0 offset:68
	buffer_store_dword v24, off, s[0:3], 0 offset:64
	global_load_dwordx2 v[24:25], v[178:179], off
	s_nop 0
	buffer_store_dword v26, off, s[0:3], 0 offset:72
	buffer_store_dword v27, off, s[0:3], 0 offset:76
	global_load_dwordx2 v[26:27], v[182:183], off
	s_waitcnt vmcnt(58)
	buffer_store_dword v22, off, s[0:3], 0 offset:80
	buffer_store_dword v23, off, s[0:3], 0 offset:84
	global_load_dwordx2 v[22:23], v[186:187], off
	s_nop 0
	buffer_store_dword v30, off, s[0:3], 0 offset:88
	buffer_store_dword v31, off, s[0:3], 0 offset:92
	global_load_dwordx2 v[30:31], v[190:191], off
	s_waitcnt vmcnt(62)
	buffer_store_dword v28, off, s[0:3], 0 offset:96
	buffer_store_dword v29, off, s[0:3], 0 offset:100
	global_load_dwordx2 v[28:29], v[198:199], off
	s_waitcnt vmcnt(62)
	buffer_store_dword v32, off, s[0:3], 0 offset:104
	buffer_store_dword v33, off, s[0:3], 0 offset:108
	;; [unrolled: 1-line block ×12, first 2 shown]
	s_waitcnt vmcnt(62)
	buffer_store_dword v45, off, s[0:3], 0 offset:156
	buffer_store_dword v44, off, s[0:3], 0 offset:152
	;; [unrolled: 1-line block ×16, first 2 shown]
	s_waitcnt vmcnt(62)
	buffer_store_dword v60, off, s[0:3], 0 offset:216
	buffer_store_dword v61, off, s[0:3], 0 offset:220
	;; [unrolled: 1-line block ×4, first 2 shown]
	s_waitcnt vmcnt(62)
	buffer_store_dword v62, off, s[0:3], 0 offset:232
	buffer_store_dword v63, off, s[0:3], 0 offset:236
	;; [unrolled: 1-line block ×8, first 2 shown]
	s_waitcnt vmcnt(62)
	buffer_store_dword v66, off, s[0:3], 0 offset:264
	buffer_store_dword v67, off, s[0:3], 0 offset:268
	buffer_store_dword v14, off, s[0:3], 0 offset:272
	buffer_store_dword v15, off, s[0:3], 0 offset:276
	buffer_store_dword v68, off, s[0:3], 0 offset:280
	buffer_store_dword v69, off, s[0:3], 0 offset:284
	buffer_store_dword v12, off, s[0:3], 0 offset:288
	buffer_store_dword v13, off, s[0:3], 0 offset:292
	buffer_store_dword v71, off, s[0:3], 0 offset:300
	buffer_store_dword v70, off, s[0:3], 0 offset:296
	buffer_store_dword v17, off, s[0:3], 0 offset:308
	buffer_store_dword v16, off, s[0:3], 0 offset:304
	buffer_store_dword v72, off, s[0:3], 0 offset:312
	buffer_store_dword v73, off, s[0:3], 0 offset:316
	buffer_store_dword v20, off, s[0:3], 0 offset:320
	buffer_store_dword v21, off, s[0:3], 0 offset:324
	s_waitcnt vmcnt(62)
	buffer_store_dword v74, off, s[0:3], 0 offset:328
	buffer_store_dword v75, off, s[0:3], 0 offset:332
	;; [unrolled: 1-line block ×18, first 2 shown]
	s_waitcnt vmcnt(62)
	buffer_store_dword v31, off, s[0:3], 0 offset:404
	buffer_store_dword v30, off, s[0:3], 0 offset:400
	;; [unrolled: 1-line block ×10, first 2 shown]
	s_cbranch_scc1 .LBB118_232
; %bb.4:
	v_cmp_eq_u32_e64 s[4:5], 0, v0
	s_and_saveexec_b64 s[6:7], s[4:5]
	s_cbranch_execz .LBB118_6
; %bb.5:
	v_mov_b32_e32 v1, 0
	ds_write_b32 v1, v1 offset:440
.LBB118_6:
	s_or_b64 exec, exec, s[6:7]
	v_mov_b32_e32 v1, 0
	v_lshl_add_u32 v7, v0, 3, v1
	s_waitcnt lgkmcnt(0)
	; wave barrier
	s_waitcnt lgkmcnt(0)
	buffer_load_dword v1, v7, s[0:3], 0 offen
	buffer_load_dword v2, v7, s[0:3], 0 offen offset:4
	s_waitcnt vmcnt(1)
	v_cmp_eq_f32_e32 vcc, 0, v1
	s_waitcnt vmcnt(0)
	v_cmp_eq_f32_e64 s[6:7], 0, v2
	s_and_b64 s[6:7], vcc, s[6:7]
	s_and_saveexec_b64 s[12:13], s[6:7]
	s_cbranch_execz .LBB118_10
; %bb.7:
	v_mov_b32_e32 v1, 0
	ds_read_b32 v3, v1 offset:440
	v_add_u32_e32 v2, 1, v0
	s_waitcnt lgkmcnt(0)
	v_readfirstlane_b32 s6, v3
	s_cmp_eq_u32 s6, 0
	s_cselect_b64 s[18:19], -1, 0
	v_cmp_gt_i32_e32 vcc, s6, v2
	s_or_b64 s[18:19], s[18:19], vcc
	s_and_b64 exec, exec, s[18:19]
	s_cbranch_execz .LBB118_10
; %bb.8:
	s_mov_b64 s[18:19], 0
	v_mov_b32_e32 v3, s6
.LBB118_9:                              ; =>This Inner Loop Header: Depth=1
	ds_cmpst_rtn_b32 v3, v1, v3, v2 offset:440
	s_waitcnt lgkmcnt(0)
	v_cmp_ne_u32_e32 vcc, 0, v3
	v_cmp_le_i32_e64 s[6:7], v3, v2
	s_and_b64 s[6:7], vcc, s[6:7]
	s_and_b64 s[6:7], exec, s[6:7]
	s_or_b64 s[18:19], s[6:7], s[18:19]
	s_andn2_b64 exec, exec, s[18:19]
	s_cbranch_execnz .LBB118_9
.LBB118_10:
	s_or_b64 exec, exec, s[12:13]
	v_mov_b32_e32 v2, 0
	s_waitcnt lgkmcnt(0)
	; wave barrier
	ds_read_b32 v1, v2 offset:440
	s_and_saveexec_b64 s[6:7], s[4:5]
	s_cbranch_execz .LBB118_12
; %bb.11:
	s_lshl_b64 s[12:13], s[8:9], 2
	s_add_u32 s12, s14, s12
	s_addc_u32 s13, s15, s13
	s_waitcnt lgkmcnt(0)
	global_store_dword v2, v1, s[12:13]
.LBB118_12:
	s_or_b64 exec, exec, s[6:7]
	s_waitcnt lgkmcnt(0)
	v_cmp_ne_u32_e32 vcc, 0, v1
	s_mov_b64 s[6:7], 0
	s_cbranch_vccnz .LBB118_232
; %bb.13:
	buffer_load_dword v8, v7, s[0:3], 0 offen offset:4
	buffer_load_dword v3, v7, s[0:3], 0 offen
	s_waitcnt vmcnt(1)
	v_cmp_gt_f32_e32 vcc, 0, v8
	v_cndmask_b32_e64 v1, v8, -v8, vcc
	s_waitcnt vmcnt(0)
	v_cmp_gt_f32_e32 vcc, 0, v3
	v_cndmask_b32_e64 v2, v3, -v3, vcc
	v_cmp_ngt_f32_e32 vcc, v2, v1
                                        ; implicit-def: $vgpr1
                                        ; implicit-def: $vgpr2
	s_and_saveexec_b64 s[6:7], vcc
	s_xor_b64 s[6:7], exec, s[6:7]
                                        ; implicit-def: $vgpr4_vgpr5
	s_cbranch_execz .LBB118_15
; %bb.14:
	v_div_scale_f32 v1, s[12:13], v8, v8, v3
	v_rcp_f32_e32 v2, v1
	v_div_scale_f32 v4, vcc, v3, v8, v3
	v_fma_f32 v5, -v1, v2, 1.0
	v_fmac_f32_e32 v2, v5, v2
	v_mul_f32_e32 v5, v4, v2
	v_fma_f32 v9, -v1, v5, v4
	v_fmac_f32_e32 v5, v9, v2
	v_fma_f32 v1, -v1, v5, v4
	v_div_fmas_f32 v1, v1, v2, v5
	v_div_fixup_f32 v2, v1, v8, v3
	v_fmac_f32_e32 v8, v3, v2
	v_div_scale_f32 v1, s[12:13], v8, v8, -1.0
	v_rcp_f32_e32 v3, v1
	v_fma_f32 v4, -v1, v3, 1.0
	v_fmac_f32_e32 v3, v4, v3
	v_div_scale_f32 v4, vcc, -1.0, v8, -1.0
	v_mul_f32_e32 v5, v4, v3
	v_fma_f32 v9, -v1, v5, v4
	v_fmac_f32_e32 v5, v9, v3
	v_fma_f32 v1, -v1, v5, v4
	v_div_fmas_f32 v1, v1, v3, v5
	v_div_fixup_f32 v1, v1, v8, -1.0
	v_mul_f32_e32 v2, v2, v1
	v_xor_b32_e32 v4, 0x80000000, v2
                                        ; implicit-def: $vgpr3
                                        ; implicit-def: $vgpr8
.LBB118_15:
	s_andn2_saveexec_b64 s[6:7], s[6:7]
	s_cbranch_execz .LBB118_17
; %bb.16:
	v_div_scale_f32 v1, s[12:13], v3, v3, v8
	v_rcp_f32_e32 v2, v1
	v_div_scale_f32 v4, vcc, v8, v3, v8
	v_fma_f32 v5, -v1, v2, 1.0
	v_fmac_f32_e32 v2, v5, v2
	v_mul_f32_e32 v5, v4, v2
	v_fma_f32 v9, -v1, v5, v4
	v_fmac_f32_e32 v5, v9, v2
	v_fma_f32 v1, -v1, v5, v4
	v_div_fmas_f32 v1, v1, v2, v5
	v_div_fixup_f32 v1, v1, v3, v8
	v_fmac_f32_e32 v3, v8, v1
	v_div_scale_f32 v2, s[12:13], v3, v3, 1.0
	v_rcp_f32_e32 v4, v2
	v_fma_f32 v5, -v2, v4, 1.0
	v_fmac_f32_e32 v4, v5, v4
	v_div_scale_f32 v5, vcc, 1.0, v3, 1.0
	v_mul_f32_e32 v8, v5, v4
	v_fma_f32 v9, -v2, v8, v5
	v_fmac_f32_e32 v8, v9, v4
	v_fma_f32 v2, -v2, v8, v5
	v_div_fmas_f32 v2, v2, v4, v8
	v_div_fixup_f32 v4, v2, v3, 1.0
	v_xor_b32_e32 v2, 0x80000000, v4
	v_mul_f32_e64 v1, v1, -v4
.LBB118_17:
	s_or_b64 exec, exec, s[6:7]
	buffer_store_dword v1, v7, s[0:3], 0 offen offset:4
	buffer_store_dword v4, v7, s[0:3], 0 offen
	buffer_load_dword v5, off, s[0:3], 0 offset:12
	s_nop 0
	buffer_load_dword v4, off, s[0:3], 0 offset:8
	v_xor_b32_e32 v3, 0x80000000, v1
	v_add_u32_e32 v1, 0x1c0, v6
	s_waitcnt vmcnt(0)
	ds_write2_b64 v6, v[2:3], v[4:5] offset1:56
	s_waitcnt lgkmcnt(0)
	; wave barrier
	s_waitcnt lgkmcnt(0)
	s_and_saveexec_b64 s[6:7], s[4:5]
	s_cbranch_execz .LBB118_19
; %bb.18:
	buffer_load_dword v8, v7, s[0:3], 0 offen offset:4
	buffer_load_dword v9, v7, s[0:3], 0 offen
	ds_read_b64 v[2:3], v1
	v_mov_b32_e32 v4, 0
	ds_read_b64 v[4:5], v4 offset:8
	s_waitcnt vmcnt(1) lgkmcnt(1)
	v_mul_f32_e32 v10, v3, v8
	v_mul_f32_e32 v8, v2, v8
	s_waitcnt vmcnt(0)
	v_fmac_f32_e32 v8, v3, v9
	v_fma_f32 v2, v2, v9, -v10
	v_add_f32_e32 v3, 0, v8
	v_add_f32_e32 v2, 0, v2
	s_waitcnt lgkmcnt(0)
	v_mul_f32_e32 v8, v3, v5
	v_mul_f32_e32 v5, v2, v5
	v_fma_f32 v2, v2, v4, -v8
	v_fmac_f32_e32 v5, v3, v4
	buffer_store_dword v2, off, s[0:3], 0 offset:8
	buffer_store_dword v5, off, s[0:3], 0 offset:12
.LBB118_19:
	s_or_b64 exec, exec, s[6:7]
	s_waitcnt lgkmcnt(0)
	; wave barrier
	buffer_load_dword v2, off, s[0:3], 0 offset:16
	buffer_load_dword v3, off, s[0:3], 0 offset:20
	v_cmp_gt_u32_e32 vcc, 2, v0
	s_waitcnt vmcnt(0)
	ds_write_b64 v1, v[2:3]
	s_waitcnt lgkmcnt(0)
	; wave barrier
	s_waitcnt lgkmcnt(0)
	s_and_saveexec_b64 s[6:7], vcc
	s_cbranch_execz .LBB118_23
; %bb.20:
	buffer_load_dword v4, v7, s[0:3], 0 offen offset:4
	buffer_load_dword v5, v7, s[0:3], 0 offen
	ds_read_b64 v[2:3], v1
	s_waitcnt vmcnt(1) lgkmcnt(0)
	v_mul_f32_e32 v7, v3, v4
	v_mul_f32_e32 v4, v2, v4
	s_waitcnt vmcnt(0)
	v_fma_f32 v2, v2, v5, -v7
	v_fmac_f32_e32 v4, v3, v5
	v_add_f32_e32 v3, 0, v2
	v_add_f32_e32 v2, 0, v4
	s_and_saveexec_b64 s[12:13], s[4:5]
	s_cbranch_execz .LBB118_22
; %bb.21:
	buffer_load_dword v7, off, s[0:3], 0 offset:12
	buffer_load_dword v8, off, s[0:3], 0 offset:8
	v_mov_b32_e32 v4, 0
	ds_read_b64 v[4:5], v4 offset:456
	s_waitcnt vmcnt(1) lgkmcnt(0)
	v_mul_f32_e32 v9, v4, v7
	v_mul_f32_e32 v7, v5, v7
	s_waitcnt vmcnt(0)
	v_fmac_f32_e32 v9, v5, v8
	v_fma_f32 v4, v4, v8, -v7
	v_add_f32_e32 v2, v2, v9
	v_add_f32_e32 v3, v3, v4
.LBB118_22:
	s_or_b64 exec, exec, s[12:13]
	v_mov_b32_e32 v4, 0
	ds_read_b64 v[4:5], v4 offset:16
	s_waitcnt lgkmcnt(0)
	v_mul_f32_e32 v7, v2, v5
	v_mul_f32_e32 v5, v3, v5
	v_fma_f32 v3, v3, v4, -v7
	v_fmac_f32_e32 v5, v2, v4
	buffer_store_dword v3, off, s[0:3], 0 offset:16
	buffer_store_dword v5, off, s[0:3], 0 offset:20
.LBB118_23:
	s_or_b64 exec, exec, s[6:7]
	s_waitcnt lgkmcnt(0)
	; wave barrier
	buffer_load_dword v2, off, s[0:3], 0 offset:24
	buffer_load_dword v3, off, s[0:3], 0 offset:28
	v_cmp_gt_u32_e32 vcc, 3, v0
	s_waitcnt vmcnt(0)
	ds_write_b64 v1, v[2:3]
	v_add_u32_e32 v2, -1, v0
	s_waitcnt lgkmcnt(0)
	; wave barrier
	s_waitcnt lgkmcnt(0)
	s_and_saveexec_b64 s[4:5], vcc
	s_cbranch_execz .LBB118_27
; %bb.24:
	v_add_u32_e32 v4, -1, v0
	v_add_u32_e32 v5, 0x1c0, v6
	v_add_u32_e32 v7, 0, v6
	s_mov_b64 s[6:7], 0
	v_mov_b32_e32 v3, 0
	v_mov_b32_e32 v8, 0
.LBB118_25:                             ; =>This Inner Loop Header: Depth=1
	buffer_load_dword v9, v7, s[0:3], 0 offen offset:4
	buffer_load_dword v12, v7, s[0:3], 0 offen
	ds_read_b64 v[10:11], v5
	v_add_u32_e32 v4, 1, v4
	v_cmp_lt_u32_e32 vcc, 1, v4
	v_add_u32_e32 v5, 8, v5
	v_add_u32_e32 v7, 8, v7
	s_or_b64 s[6:7], vcc, s[6:7]
	s_waitcnt vmcnt(1) lgkmcnt(0)
	v_mul_f32_e32 v13, v11, v9
	v_mul_f32_e32 v9, v10, v9
	s_waitcnt vmcnt(0)
	v_fma_f32 v10, v10, v12, -v13
	v_fmac_f32_e32 v9, v11, v12
	v_add_f32_e32 v8, v8, v10
	v_add_f32_e32 v3, v3, v9
	s_andn2_b64 exec, exec, s[6:7]
	s_cbranch_execnz .LBB118_25
; %bb.26:
	s_or_b64 exec, exec, s[6:7]
	v_mov_b32_e32 v4, 0
	ds_read_b64 v[4:5], v4 offset:24
	s_waitcnt lgkmcnt(0)
	v_mul_f32_e32 v7, v3, v5
	v_mul_f32_e32 v5, v8, v5
	v_fma_f32 v7, v8, v4, -v7
	v_fmac_f32_e32 v5, v3, v4
	buffer_store_dword v7, off, s[0:3], 0 offset:24
	buffer_store_dword v5, off, s[0:3], 0 offset:28
.LBB118_27:
	s_or_b64 exec, exec, s[4:5]
	s_waitcnt lgkmcnt(0)
	; wave barrier
	buffer_load_dword v4, off, s[0:3], 0 offset:32
	buffer_load_dword v5, off, s[0:3], 0 offset:36
	v_cmp_gt_u32_e32 vcc, 4, v0
	s_waitcnt vmcnt(0)
	ds_write_b64 v1, v[4:5]
	s_waitcnt lgkmcnt(0)
	; wave barrier
	s_waitcnt lgkmcnt(0)
	s_and_saveexec_b64 s[4:5], vcc
	s_cbranch_execz .LBB118_31
; %bb.28:
	v_add_u32_e32 v4, -1, v0
	v_add_u32_e32 v5, 0x1c0, v6
	v_add_u32_e32 v7, 0, v6
	s_mov_b64 s[6:7], 0
	v_mov_b32_e32 v3, 0
	v_mov_b32_e32 v8, 0
.LBB118_29:                             ; =>This Inner Loop Header: Depth=1
	buffer_load_dword v9, v7, s[0:3], 0 offen offset:4
	buffer_load_dword v12, v7, s[0:3], 0 offen
	ds_read_b64 v[10:11], v5
	v_add_u32_e32 v4, 1, v4
	v_cmp_lt_u32_e32 vcc, 2, v4
	v_add_u32_e32 v5, 8, v5
	v_add_u32_e32 v7, 8, v7
	s_or_b64 s[6:7], vcc, s[6:7]
	s_waitcnt vmcnt(1) lgkmcnt(0)
	v_mul_f32_e32 v13, v11, v9
	v_mul_f32_e32 v9, v10, v9
	s_waitcnt vmcnt(0)
	v_fma_f32 v10, v10, v12, -v13
	v_fmac_f32_e32 v9, v11, v12
	v_add_f32_e32 v8, v8, v10
	v_add_f32_e32 v3, v3, v9
	s_andn2_b64 exec, exec, s[6:7]
	s_cbranch_execnz .LBB118_29
; %bb.30:
	s_or_b64 exec, exec, s[6:7]
	v_mov_b32_e32 v4, 0
	ds_read_b64 v[4:5], v4 offset:32
	s_waitcnt lgkmcnt(0)
	v_mul_f32_e32 v7, v3, v5
	v_mul_f32_e32 v5, v8, v5
	v_fma_f32 v7, v8, v4, -v7
	v_fmac_f32_e32 v5, v3, v4
	buffer_store_dword v7, off, s[0:3], 0 offset:32
	buffer_store_dword v5, off, s[0:3], 0 offset:36
.LBB118_31:
	s_or_b64 exec, exec, s[4:5]
	s_waitcnt lgkmcnt(0)
	; wave barrier
	buffer_load_dword v4, off, s[0:3], 0 offset:40
	buffer_load_dword v5, off, s[0:3], 0 offset:44
	v_cmp_gt_u32_e32 vcc, 5, v0
	s_waitcnt vmcnt(0)
	ds_write_b64 v1, v[4:5]
	;; [unrolled: 51-line block ×19, first 2 shown]
	s_waitcnt lgkmcnt(0)
	; wave barrier
	s_waitcnt lgkmcnt(0)
	s_and_saveexec_b64 s[4:5], vcc
	s_cbranch_execz .LBB118_103
; %bb.100:
	v_add_u32_e32 v4, -1, v0
	v_add_u32_e32 v5, 0x1c0, v6
	v_add_u32_e32 v7, 0, v6
	s_mov_b64 s[6:7], 0
	v_mov_b32_e32 v3, 0
	v_mov_b32_e32 v8, 0
.LBB118_101:                            ; =>This Inner Loop Header: Depth=1
	buffer_load_dword v9, v7, s[0:3], 0 offen offset:4
	buffer_load_dword v12, v7, s[0:3], 0 offen
	ds_read_b64 v[10:11], v5
	v_add_u32_e32 v4, 1, v4
	v_cmp_lt_u32_e32 vcc, 20, v4
	v_add_u32_e32 v5, 8, v5
	v_add_u32_e32 v7, 8, v7
	s_or_b64 s[6:7], vcc, s[6:7]
	s_waitcnt vmcnt(1) lgkmcnt(0)
	v_mul_f32_e32 v13, v11, v9
	v_mul_f32_e32 v9, v10, v9
	s_waitcnt vmcnt(0)
	v_fma_f32 v10, v10, v12, -v13
	v_fmac_f32_e32 v9, v11, v12
	v_add_f32_e32 v8, v8, v10
	v_add_f32_e32 v3, v3, v9
	s_andn2_b64 exec, exec, s[6:7]
	s_cbranch_execnz .LBB118_101
; %bb.102:
	s_or_b64 exec, exec, s[6:7]
	v_mov_b32_e32 v4, 0
	ds_read_b64 v[4:5], v4 offset:176
	s_waitcnt lgkmcnt(0)
	v_mul_f32_e32 v7, v3, v5
	v_mul_f32_e32 v5, v8, v5
	v_fma_f32 v7, v8, v4, -v7
	v_fmac_f32_e32 v5, v3, v4
	buffer_store_dword v7, off, s[0:3], 0 offset:176
	buffer_store_dword v5, off, s[0:3], 0 offset:180
.LBB118_103:
	s_or_b64 exec, exec, s[4:5]
	s_waitcnt lgkmcnt(0)
	; wave barrier
	buffer_load_dword v4, off, s[0:3], 0 offset:184
	buffer_load_dword v5, off, s[0:3], 0 offset:188
	v_cmp_gt_u32_e32 vcc, 23, v0
	s_waitcnt vmcnt(0)
	ds_write_b64 v1, v[4:5]
	s_waitcnt lgkmcnt(0)
	; wave barrier
	s_waitcnt lgkmcnt(0)
	s_and_saveexec_b64 s[4:5], vcc
	s_cbranch_execz .LBB118_107
; %bb.104:
	v_add_u32_e32 v4, -1, v0
	v_add_u32_e32 v5, 0x1c0, v6
	v_add_u32_e32 v7, 0, v6
	s_mov_b64 s[6:7], 0
	v_mov_b32_e32 v3, 0
	v_mov_b32_e32 v8, 0
.LBB118_105:                            ; =>This Inner Loop Header: Depth=1
	buffer_load_dword v9, v7, s[0:3], 0 offen offset:4
	buffer_load_dword v12, v7, s[0:3], 0 offen
	ds_read_b64 v[10:11], v5
	v_add_u32_e32 v4, 1, v4
	v_cmp_lt_u32_e32 vcc, 21, v4
	v_add_u32_e32 v5, 8, v5
	v_add_u32_e32 v7, 8, v7
	s_or_b64 s[6:7], vcc, s[6:7]
	s_waitcnt vmcnt(1) lgkmcnt(0)
	v_mul_f32_e32 v13, v11, v9
	v_mul_f32_e32 v9, v10, v9
	s_waitcnt vmcnt(0)
	v_fma_f32 v10, v10, v12, -v13
	v_fmac_f32_e32 v9, v11, v12
	v_add_f32_e32 v8, v8, v10
	v_add_f32_e32 v3, v3, v9
	s_andn2_b64 exec, exec, s[6:7]
	s_cbranch_execnz .LBB118_105
; %bb.106:
	s_or_b64 exec, exec, s[6:7]
	v_mov_b32_e32 v4, 0
	ds_read_b64 v[4:5], v4 offset:184
	s_waitcnt lgkmcnt(0)
	v_mul_f32_e32 v7, v3, v5
	v_mul_f32_e32 v5, v8, v5
	v_fma_f32 v7, v8, v4, -v7
	v_fmac_f32_e32 v5, v3, v4
	buffer_store_dword v7, off, s[0:3], 0 offset:184
	buffer_store_dword v5, off, s[0:3], 0 offset:188
.LBB118_107:
	s_or_b64 exec, exec, s[4:5]
	s_waitcnt lgkmcnt(0)
	; wave barrier
	buffer_load_dword v4, off, s[0:3], 0 offset:192
	buffer_load_dword v5, off, s[0:3], 0 offset:196
	v_cmp_gt_u32_e32 vcc, 24, v0
	s_waitcnt vmcnt(0)
	ds_write_b64 v1, v[4:5]
	s_waitcnt lgkmcnt(0)
	; wave barrier
	s_waitcnt lgkmcnt(0)
	s_and_saveexec_b64 s[4:5], vcc
	s_cbranch_execz .LBB118_111
; %bb.108:
	v_add_u32_e32 v4, -1, v0
	v_add_u32_e32 v5, 0x1c0, v6
	v_add_u32_e32 v7, 0, v6
	s_mov_b64 s[6:7], 0
	v_mov_b32_e32 v3, 0
	v_mov_b32_e32 v8, 0
.LBB118_109:                            ; =>This Inner Loop Header: Depth=1
	buffer_load_dword v9, v7, s[0:3], 0 offen offset:4
	buffer_load_dword v12, v7, s[0:3], 0 offen
	ds_read_b64 v[10:11], v5
	v_add_u32_e32 v4, 1, v4
	v_cmp_lt_u32_e32 vcc, 22, v4
	v_add_u32_e32 v5, 8, v5
	v_add_u32_e32 v7, 8, v7
	s_or_b64 s[6:7], vcc, s[6:7]
	s_waitcnt vmcnt(1) lgkmcnt(0)
	v_mul_f32_e32 v13, v11, v9
	v_mul_f32_e32 v9, v10, v9
	s_waitcnt vmcnt(0)
	v_fma_f32 v10, v10, v12, -v13
	v_fmac_f32_e32 v9, v11, v12
	v_add_f32_e32 v8, v8, v10
	v_add_f32_e32 v3, v3, v9
	s_andn2_b64 exec, exec, s[6:7]
	s_cbranch_execnz .LBB118_109
; %bb.110:
	s_or_b64 exec, exec, s[6:7]
	v_mov_b32_e32 v4, 0
	ds_read_b64 v[4:5], v4 offset:192
	s_waitcnt lgkmcnt(0)
	v_mul_f32_e32 v7, v3, v5
	v_mul_f32_e32 v5, v8, v5
	v_fma_f32 v7, v8, v4, -v7
	v_fmac_f32_e32 v5, v3, v4
	buffer_store_dword v7, off, s[0:3], 0 offset:192
	buffer_store_dword v5, off, s[0:3], 0 offset:196
.LBB118_111:
	s_or_b64 exec, exec, s[4:5]
	s_waitcnt lgkmcnt(0)
	; wave barrier
	buffer_load_dword v4, off, s[0:3], 0 offset:200
	buffer_load_dword v5, off, s[0:3], 0 offset:204
	v_cmp_gt_u32_e32 vcc, 25, v0
	s_waitcnt vmcnt(0)
	ds_write_b64 v1, v[4:5]
	s_waitcnt lgkmcnt(0)
	; wave barrier
	s_waitcnt lgkmcnt(0)
	s_and_saveexec_b64 s[4:5], vcc
	s_cbranch_execz .LBB118_115
; %bb.112:
	v_add_u32_e32 v4, -1, v0
	v_add_u32_e32 v5, 0x1c0, v6
	v_add_u32_e32 v7, 0, v6
	s_mov_b64 s[6:7], 0
	v_mov_b32_e32 v3, 0
	v_mov_b32_e32 v8, 0
.LBB118_113:                            ; =>This Inner Loop Header: Depth=1
	buffer_load_dword v9, v7, s[0:3], 0 offen offset:4
	buffer_load_dword v12, v7, s[0:3], 0 offen
	ds_read_b64 v[10:11], v5
	v_add_u32_e32 v4, 1, v4
	v_cmp_lt_u32_e32 vcc, 23, v4
	v_add_u32_e32 v5, 8, v5
	v_add_u32_e32 v7, 8, v7
	s_or_b64 s[6:7], vcc, s[6:7]
	s_waitcnt vmcnt(1) lgkmcnt(0)
	v_mul_f32_e32 v13, v11, v9
	v_mul_f32_e32 v9, v10, v9
	s_waitcnt vmcnt(0)
	v_fma_f32 v10, v10, v12, -v13
	v_fmac_f32_e32 v9, v11, v12
	v_add_f32_e32 v8, v8, v10
	v_add_f32_e32 v3, v3, v9
	s_andn2_b64 exec, exec, s[6:7]
	s_cbranch_execnz .LBB118_113
; %bb.114:
	s_or_b64 exec, exec, s[6:7]
	v_mov_b32_e32 v4, 0
	ds_read_b64 v[4:5], v4 offset:200
	s_waitcnt lgkmcnt(0)
	v_mul_f32_e32 v7, v3, v5
	v_mul_f32_e32 v5, v8, v5
	v_fma_f32 v7, v8, v4, -v7
	v_fmac_f32_e32 v5, v3, v4
	buffer_store_dword v7, off, s[0:3], 0 offset:200
	buffer_store_dword v5, off, s[0:3], 0 offset:204
.LBB118_115:
	s_or_b64 exec, exec, s[4:5]
	s_waitcnt lgkmcnt(0)
	; wave barrier
	buffer_load_dword v4, off, s[0:3], 0 offset:208
	buffer_load_dword v5, off, s[0:3], 0 offset:212
	v_cmp_gt_u32_e32 vcc, 26, v0
	s_waitcnt vmcnt(0)
	ds_write_b64 v1, v[4:5]
	s_waitcnt lgkmcnt(0)
	; wave barrier
	s_waitcnt lgkmcnt(0)
	s_and_saveexec_b64 s[4:5], vcc
	s_cbranch_execz .LBB118_119
; %bb.116:
	v_add_u32_e32 v4, -1, v0
	v_add_u32_e32 v5, 0x1c0, v6
	v_add_u32_e32 v7, 0, v6
	s_mov_b64 s[6:7], 0
	v_mov_b32_e32 v3, 0
	v_mov_b32_e32 v8, 0
.LBB118_117:                            ; =>This Inner Loop Header: Depth=1
	buffer_load_dword v9, v7, s[0:3], 0 offen offset:4
	buffer_load_dword v12, v7, s[0:3], 0 offen
	ds_read_b64 v[10:11], v5
	v_add_u32_e32 v4, 1, v4
	v_cmp_lt_u32_e32 vcc, 24, v4
	v_add_u32_e32 v5, 8, v5
	v_add_u32_e32 v7, 8, v7
	s_or_b64 s[6:7], vcc, s[6:7]
	s_waitcnt vmcnt(1) lgkmcnt(0)
	v_mul_f32_e32 v13, v11, v9
	v_mul_f32_e32 v9, v10, v9
	s_waitcnt vmcnt(0)
	v_fma_f32 v10, v10, v12, -v13
	v_fmac_f32_e32 v9, v11, v12
	v_add_f32_e32 v8, v8, v10
	v_add_f32_e32 v3, v3, v9
	s_andn2_b64 exec, exec, s[6:7]
	s_cbranch_execnz .LBB118_117
; %bb.118:
	s_or_b64 exec, exec, s[6:7]
	v_mov_b32_e32 v4, 0
	ds_read_b64 v[4:5], v4 offset:208
	s_waitcnt lgkmcnt(0)
	v_mul_f32_e32 v7, v3, v5
	v_mul_f32_e32 v5, v8, v5
	v_fma_f32 v7, v8, v4, -v7
	v_fmac_f32_e32 v5, v3, v4
	buffer_store_dword v7, off, s[0:3], 0 offset:208
	buffer_store_dword v5, off, s[0:3], 0 offset:212
.LBB118_119:
	s_or_b64 exec, exec, s[4:5]
	s_waitcnt lgkmcnt(0)
	; wave barrier
	buffer_load_dword v4, off, s[0:3], 0 offset:216
	buffer_load_dword v5, off, s[0:3], 0 offset:220
	v_cmp_gt_u32_e32 vcc, 27, v0
	s_waitcnt vmcnt(0)
	ds_write_b64 v1, v[4:5]
	s_waitcnt lgkmcnt(0)
	; wave barrier
	s_waitcnt lgkmcnt(0)
	s_and_saveexec_b64 s[4:5], vcc
	s_cbranch_execz .LBB118_123
; %bb.120:
	v_add_u32_e32 v4, -1, v0
	v_add_u32_e32 v5, 0x1c0, v6
	v_add_u32_e32 v7, 0, v6
	s_mov_b64 s[6:7], 0
	v_mov_b32_e32 v3, 0
	v_mov_b32_e32 v8, 0
.LBB118_121:                            ; =>This Inner Loop Header: Depth=1
	buffer_load_dword v9, v7, s[0:3], 0 offen offset:4
	buffer_load_dword v12, v7, s[0:3], 0 offen
	ds_read_b64 v[10:11], v5
	v_add_u32_e32 v4, 1, v4
	v_cmp_lt_u32_e32 vcc, 25, v4
	v_add_u32_e32 v5, 8, v5
	v_add_u32_e32 v7, 8, v7
	s_or_b64 s[6:7], vcc, s[6:7]
	s_waitcnt vmcnt(1) lgkmcnt(0)
	v_mul_f32_e32 v13, v11, v9
	v_mul_f32_e32 v9, v10, v9
	s_waitcnt vmcnt(0)
	v_fma_f32 v10, v10, v12, -v13
	v_fmac_f32_e32 v9, v11, v12
	v_add_f32_e32 v8, v8, v10
	v_add_f32_e32 v3, v3, v9
	s_andn2_b64 exec, exec, s[6:7]
	s_cbranch_execnz .LBB118_121
; %bb.122:
	s_or_b64 exec, exec, s[6:7]
	v_mov_b32_e32 v4, 0
	ds_read_b64 v[4:5], v4 offset:216
	s_waitcnt lgkmcnt(0)
	v_mul_f32_e32 v7, v3, v5
	v_mul_f32_e32 v5, v8, v5
	v_fma_f32 v7, v8, v4, -v7
	v_fmac_f32_e32 v5, v3, v4
	buffer_store_dword v7, off, s[0:3], 0 offset:216
	buffer_store_dword v5, off, s[0:3], 0 offset:220
.LBB118_123:
	s_or_b64 exec, exec, s[4:5]
	s_waitcnt lgkmcnt(0)
	; wave barrier
	buffer_load_dword v4, off, s[0:3], 0 offset:224
	buffer_load_dword v5, off, s[0:3], 0 offset:228
	v_cmp_gt_u32_e32 vcc, 28, v0
	s_waitcnt vmcnt(0)
	ds_write_b64 v1, v[4:5]
	s_waitcnt lgkmcnt(0)
	; wave barrier
	s_waitcnt lgkmcnt(0)
	s_and_saveexec_b64 s[4:5], vcc
	s_cbranch_execz .LBB118_127
; %bb.124:
	v_add_u32_e32 v4, -1, v0
	v_add_u32_e32 v5, 0x1c0, v6
	v_add_u32_e32 v7, 0, v6
	s_mov_b64 s[6:7], 0
	v_mov_b32_e32 v3, 0
	v_mov_b32_e32 v8, 0
.LBB118_125:                            ; =>This Inner Loop Header: Depth=1
	buffer_load_dword v9, v7, s[0:3], 0 offen offset:4
	buffer_load_dword v12, v7, s[0:3], 0 offen
	ds_read_b64 v[10:11], v5
	v_add_u32_e32 v4, 1, v4
	v_cmp_lt_u32_e32 vcc, 26, v4
	v_add_u32_e32 v5, 8, v5
	v_add_u32_e32 v7, 8, v7
	s_or_b64 s[6:7], vcc, s[6:7]
	s_waitcnt vmcnt(1) lgkmcnt(0)
	v_mul_f32_e32 v13, v11, v9
	v_mul_f32_e32 v9, v10, v9
	s_waitcnt vmcnt(0)
	v_fma_f32 v10, v10, v12, -v13
	v_fmac_f32_e32 v9, v11, v12
	v_add_f32_e32 v8, v8, v10
	v_add_f32_e32 v3, v3, v9
	s_andn2_b64 exec, exec, s[6:7]
	s_cbranch_execnz .LBB118_125
; %bb.126:
	s_or_b64 exec, exec, s[6:7]
	v_mov_b32_e32 v4, 0
	ds_read_b64 v[4:5], v4 offset:224
	s_waitcnt lgkmcnt(0)
	v_mul_f32_e32 v7, v3, v5
	v_mul_f32_e32 v5, v8, v5
	v_fma_f32 v7, v8, v4, -v7
	v_fmac_f32_e32 v5, v3, v4
	buffer_store_dword v7, off, s[0:3], 0 offset:224
	buffer_store_dword v5, off, s[0:3], 0 offset:228
.LBB118_127:
	s_or_b64 exec, exec, s[4:5]
	s_waitcnt lgkmcnt(0)
	; wave barrier
	buffer_load_dword v4, off, s[0:3], 0 offset:232
	buffer_load_dword v5, off, s[0:3], 0 offset:236
	v_cmp_gt_u32_e32 vcc, 29, v0
	s_waitcnt vmcnt(0)
	ds_write_b64 v1, v[4:5]
	s_waitcnt lgkmcnt(0)
	; wave barrier
	s_waitcnt lgkmcnt(0)
	s_and_saveexec_b64 s[4:5], vcc
	s_cbranch_execz .LBB118_131
; %bb.128:
	v_add_u32_e32 v4, -1, v0
	v_add_u32_e32 v5, 0x1c0, v6
	v_add_u32_e32 v7, 0, v6
	s_mov_b64 s[6:7], 0
	v_mov_b32_e32 v3, 0
	v_mov_b32_e32 v8, 0
.LBB118_129:                            ; =>This Inner Loop Header: Depth=1
	buffer_load_dword v9, v7, s[0:3], 0 offen offset:4
	buffer_load_dword v12, v7, s[0:3], 0 offen
	ds_read_b64 v[10:11], v5
	v_add_u32_e32 v4, 1, v4
	v_cmp_lt_u32_e32 vcc, 27, v4
	v_add_u32_e32 v5, 8, v5
	v_add_u32_e32 v7, 8, v7
	s_or_b64 s[6:7], vcc, s[6:7]
	s_waitcnt vmcnt(1) lgkmcnt(0)
	v_mul_f32_e32 v13, v11, v9
	v_mul_f32_e32 v9, v10, v9
	s_waitcnt vmcnt(0)
	v_fma_f32 v10, v10, v12, -v13
	v_fmac_f32_e32 v9, v11, v12
	v_add_f32_e32 v8, v8, v10
	v_add_f32_e32 v3, v3, v9
	s_andn2_b64 exec, exec, s[6:7]
	s_cbranch_execnz .LBB118_129
; %bb.130:
	s_or_b64 exec, exec, s[6:7]
	v_mov_b32_e32 v4, 0
	ds_read_b64 v[4:5], v4 offset:232
	s_waitcnt lgkmcnt(0)
	v_mul_f32_e32 v7, v3, v5
	v_mul_f32_e32 v5, v8, v5
	v_fma_f32 v7, v8, v4, -v7
	v_fmac_f32_e32 v5, v3, v4
	buffer_store_dword v7, off, s[0:3], 0 offset:232
	buffer_store_dword v5, off, s[0:3], 0 offset:236
.LBB118_131:
	s_or_b64 exec, exec, s[4:5]
	s_waitcnt lgkmcnt(0)
	; wave barrier
	buffer_load_dword v4, off, s[0:3], 0 offset:240
	buffer_load_dword v5, off, s[0:3], 0 offset:244
	v_cmp_gt_u32_e32 vcc, 30, v0
	s_waitcnt vmcnt(0)
	ds_write_b64 v1, v[4:5]
	s_waitcnt lgkmcnt(0)
	; wave barrier
	s_waitcnt lgkmcnt(0)
	s_and_saveexec_b64 s[4:5], vcc
	s_cbranch_execz .LBB118_135
; %bb.132:
	v_add_u32_e32 v4, -1, v0
	v_add_u32_e32 v5, 0x1c0, v6
	v_add_u32_e32 v7, 0, v6
	s_mov_b64 s[6:7], 0
	v_mov_b32_e32 v3, 0
	v_mov_b32_e32 v8, 0
.LBB118_133:                            ; =>This Inner Loop Header: Depth=1
	buffer_load_dword v9, v7, s[0:3], 0 offen offset:4
	buffer_load_dword v12, v7, s[0:3], 0 offen
	ds_read_b64 v[10:11], v5
	v_add_u32_e32 v4, 1, v4
	v_cmp_lt_u32_e32 vcc, 28, v4
	v_add_u32_e32 v5, 8, v5
	v_add_u32_e32 v7, 8, v7
	s_or_b64 s[6:7], vcc, s[6:7]
	s_waitcnt vmcnt(1) lgkmcnt(0)
	v_mul_f32_e32 v13, v11, v9
	v_mul_f32_e32 v9, v10, v9
	s_waitcnt vmcnt(0)
	v_fma_f32 v10, v10, v12, -v13
	v_fmac_f32_e32 v9, v11, v12
	v_add_f32_e32 v8, v8, v10
	v_add_f32_e32 v3, v3, v9
	s_andn2_b64 exec, exec, s[6:7]
	s_cbranch_execnz .LBB118_133
; %bb.134:
	s_or_b64 exec, exec, s[6:7]
	v_mov_b32_e32 v4, 0
	ds_read_b64 v[4:5], v4 offset:240
	s_waitcnt lgkmcnt(0)
	v_mul_f32_e32 v7, v3, v5
	v_mul_f32_e32 v5, v8, v5
	v_fma_f32 v7, v8, v4, -v7
	v_fmac_f32_e32 v5, v3, v4
	buffer_store_dword v7, off, s[0:3], 0 offset:240
	buffer_store_dword v5, off, s[0:3], 0 offset:244
.LBB118_135:
	s_or_b64 exec, exec, s[4:5]
	s_waitcnt lgkmcnt(0)
	; wave barrier
	buffer_load_dword v4, off, s[0:3], 0 offset:248
	buffer_load_dword v5, off, s[0:3], 0 offset:252
	v_cmp_gt_u32_e32 vcc, 31, v0
	s_waitcnt vmcnt(0)
	ds_write_b64 v1, v[4:5]
	s_waitcnt lgkmcnt(0)
	; wave barrier
	s_waitcnt lgkmcnt(0)
	s_and_saveexec_b64 s[4:5], vcc
	s_cbranch_execz .LBB118_139
; %bb.136:
	v_add_u32_e32 v4, -1, v0
	v_add_u32_e32 v5, 0x1c0, v6
	v_add_u32_e32 v7, 0, v6
	s_mov_b64 s[6:7], 0
	v_mov_b32_e32 v3, 0
	v_mov_b32_e32 v8, 0
.LBB118_137:                            ; =>This Inner Loop Header: Depth=1
	buffer_load_dword v9, v7, s[0:3], 0 offen offset:4
	buffer_load_dword v12, v7, s[0:3], 0 offen
	ds_read_b64 v[10:11], v5
	v_add_u32_e32 v4, 1, v4
	v_cmp_lt_u32_e32 vcc, 29, v4
	v_add_u32_e32 v5, 8, v5
	v_add_u32_e32 v7, 8, v7
	s_or_b64 s[6:7], vcc, s[6:7]
	s_waitcnt vmcnt(1) lgkmcnt(0)
	v_mul_f32_e32 v13, v11, v9
	v_mul_f32_e32 v9, v10, v9
	s_waitcnt vmcnt(0)
	v_fma_f32 v10, v10, v12, -v13
	v_fmac_f32_e32 v9, v11, v12
	v_add_f32_e32 v8, v8, v10
	v_add_f32_e32 v3, v3, v9
	s_andn2_b64 exec, exec, s[6:7]
	s_cbranch_execnz .LBB118_137
; %bb.138:
	s_or_b64 exec, exec, s[6:7]
	v_mov_b32_e32 v4, 0
	ds_read_b64 v[4:5], v4 offset:248
	s_waitcnt lgkmcnt(0)
	v_mul_f32_e32 v7, v3, v5
	v_mul_f32_e32 v5, v8, v5
	v_fma_f32 v7, v8, v4, -v7
	v_fmac_f32_e32 v5, v3, v4
	buffer_store_dword v7, off, s[0:3], 0 offset:248
	buffer_store_dword v5, off, s[0:3], 0 offset:252
.LBB118_139:
	s_or_b64 exec, exec, s[4:5]
	s_waitcnt lgkmcnt(0)
	; wave barrier
	buffer_load_dword v4, off, s[0:3], 0 offset:256
	buffer_load_dword v5, off, s[0:3], 0 offset:260
	v_cmp_gt_u32_e32 vcc, 32, v0
	s_waitcnt vmcnt(0)
	ds_write_b64 v1, v[4:5]
	s_waitcnt lgkmcnt(0)
	; wave barrier
	s_waitcnt lgkmcnt(0)
	s_and_saveexec_b64 s[4:5], vcc
	s_cbranch_execz .LBB118_143
; %bb.140:
	v_add_u32_e32 v4, -1, v0
	v_add_u32_e32 v5, 0x1c0, v6
	v_add_u32_e32 v7, 0, v6
	s_mov_b64 s[6:7], 0
	v_mov_b32_e32 v3, 0
	v_mov_b32_e32 v8, 0
.LBB118_141:                            ; =>This Inner Loop Header: Depth=1
	buffer_load_dword v9, v7, s[0:3], 0 offen offset:4
	buffer_load_dword v12, v7, s[0:3], 0 offen
	ds_read_b64 v[10:11], v5
	v_add_u32_e32 v4, 1, v4
	v_cmp_lt_u32_e32 vcc, 30, v4
	v_add_u32_e32 v5, 8, v5
	v_add_u32_e32 v7, 8, v7
	s_or_b64 s[6:7], vcc, s[6:7]
	s_waitcnt vmcnt(1) lgkmcnt(0)
	v_mul_f32_e32 v13, v11, v9
	v_mul_f32_e32 v9, v10, v9
	s_waitcnt vmcnt(0)
	v_fma_f32 v10, v10, v12, -v13
	v_fmac_f32_e32 v9, v11, v12
	v_add_f32_e32 v8, v8, v10
	v_add_f32_e32 v3, v3, v9
	s_andn2_b64 exec, exec, s[6:7]
	s_cbranch_execnz .LBB118_141
; %bb.142:
	s_or_b64 exec, exec, s[6:7]
	v_mov_b32_e32 v4, 0
	ds_read_b64 v[4:5], v4 offset:256
	s_waitcnt lgkmcnt(0)
	v_mul_f32_e32 v7, v3, v5
	v_mul_f32_e32 v5, v8, v5
	v_fma_f32 v7, v8, v4, -v7
	v_fmac_f32_e32 v5, v3, v4
	buffer_store_dword v7, off, s[0:3], 0 offset:256
	buffer_store_dword v5, off, s[0:3], 0 offset:260
.LBB118_143:
	s_or_b64 exec, exec, s[4:5]
	s_waitcnt lgkmcnt(0)
	; wave barrier
	buffer_load_dword v4, off, s[0:3], 0 offset:264
	buffer_load_dword v5, off, s[0:3], 0 offset:268
	v_cmp_gt_u32_e32 vcc, 33, v0
	s_waitcnt vmcnt(0)
	ds_write_b64 v1, v[4:5]
	s_waitcnt lgkmcnt(0)
	; wave barrier
	s_waitcnt lgkmcnt(0)
	s_and_saveexec_b64 s[4:5], vcc
	s_cbranch_execz .LBB118_147
; %bb.144:
	v_add_u32_e32 v4, -1, v0
	v_add_u32_e32 v5, 0x1c0, v6
	v_add_u32_e32 v7, 0, v6
	s_mov_b64 s[6:7], 0
	v_mov_b32_e32 v3, 0
	v_mov_b32_e32 v8, 0
.LBB118_145:                            ; =>This Inner Loop Header: Depth=1
	buffer_load_dword v9, v7, s[0:3], 0 offen offset:4
	buffer_load_dword v12, v7, s[0:3], 0 offen
	ds_read_b64 v[10:11], v5
	v_add_u32_e32 v4, 1, v4
	v_cmp_lt_u32_e32 vcc, 31, v4
	v_add_u32_e32 v5, 8, v5
	v_add_u32_e32 v7, 8, v7
	s_or_b64 s[6:7], vcc, s[6:7]
	s_waitcnt vmcnt(1) lgkmcnt(0)
	v_mul_f32_e32 v13, v11, v9
	v_mul_f32_e32 v9, v10, v9
	s_waitcnt vmcnt(0)
	v_fma_f32 v10, v10, v12, -v13
	v_fmac_f32_e32 v9, v11, v12
	v_add_f32_e32 v8, v8, v10
	v_add_f32_e32 v3, v3, v9
	s_andn2_b64 exec, exec, s[6:7]
	s_cbranch_execnz .LBB118_145
; %bb.146:
	s_or_b64 exec, exec, s[6:7]
	v_mov_b32_e32 v4, 0
	ds_read_b64 v[4:5], v4 offset:264
	s_waitcnt lgkmcnt(0)
	v_mul_f32_e32 v7, v3, v5
	v_mul_f32_e32 v5, v8, v5
	v_fma_f32 v7, v8, v4, -v7
	v_fmac_f32_e32 v5, v3, v4
	buffer_store_dword v7, off, s[0:3], 0 offset:264
	buffer_store_dword v5, off, s[0:3], 0 offset:268
.LBB118_147:
	s_or_b64 exec, exec, s[4:5]
	s_waitcnt lgkmcnt(0)
	; wave barrier
	buffer_load_dword v4, off, s[0:3], 0 offset:272
	buffer_load_dword v5, off, s[0:3], 0 offset:276
	v_cmp_gt_u32_e32 vcc, 34, v0
	s_waitcnt vmcnt(0)
	ds_write_b64 v1, v[4:5]
	s_waitcnt lgkmcnt(0)
	; wave barrier
	s_waitcnt lgkmcnt(0)
	s_and_saveexec_b64 s[4:5], vcc
	s_cbranch_execz .LBB118_151
; %bb.148:
	v_add_u32_e32 v4, -1, v0
	v_add_u32_e32 v5, 0x1c0, v6
	v_add_u32_e32 v7, 0, v6
	s_mov_b64 s[6:7], 0
	v_mov_b32_e32 v3, 0
	v_mov_b32_e32 v8, 0
.LBB118_149:                            ; =>This Inner Loop Header: Depth=1
	buffer_load_dword v9, v7, s[0:3], 0 offen offset:4
	buffer_load_dword v12, v7, s[0:3], 0 offen
	ds_read_b64 v[10:11], v5
	v_add_u32_e32 v4, 1, v4
	v_cmp_lt_u32_e32 vcc, 32, v4
	v_add_u32_e32 v5, 8, v5
	v_add_u32_e32 v7, 8, v7
	s_or_b64 s[6:7], vcc, s[6:7]
	s_waitcnt vmcnt(1) lgkmcnt(0)
	v_mul_f32_e32 v13, v11, v9
	v_mul_f32_e32 v9, v10, v9
	s_waitcnt vmcnt(0)
	v_fma_f32 v10, v10, v12, -v13
	v_fmac_f32_e32 v9, v11, v12
	v_add_f32_e32 v8, v8, v10
	v_add_f32_e32 v3, v3, v9
	s_andn2_b64 exec, exec, s[6:7]
	s_cbranch_execnz .LBB118_149
; %bb.150:
	s_or_b64 exec, exec, s[6:7]
	v_mov_b32_e32 v4, 0
	ds_read_b64 v[4:5], v4 offset:272
	s_waitcnt lgkmcnt(0)
	v_mul_f32_e32 v7, v3, v5
	v_mul_f32_e32 v5, v8, v5
	v_fma_f32 v7, v8, v4, -v7
	v_fmac_f32_e32 v5, v3, v4
	buffer_store_dword v7, off, s[0:3], 0 offset:272
	buffer_store_dword v5, off, s[0:3], 0 offset:276
.LBB118_151:
	s_or_b64 exec, exec, s[4:5]
	s_waitcnt lgkmcnt(0)
	; wave barrier
	buffer_load_dword v4, off, s[0:3], 0 offset:280
	buffer_load_dword v5, off, s[0:3], 0 offset:284
	v_cmp_gt_u32_e32 vcc, 35, v0
	s_waitcnt vmcnt(0)
	ds_write_b64 v1, v[4:5]
	s_waitcnt lgkmcnt(0)
	; wave barrier
	s_waitcnt lgkmcnt(0)
	s_and_saveexec_b64 s[4:5], vcc
	s_cbranch_execz .LBB118_155
; %bb.152:
	v_add_u32_e32 v4, -1, v0
	v_add_u32_e32 v5, 0x1c0, v6
	v_add_u32_e32 v7, 0, v6
	s_mov_b64 s[6:7], 0
	v_mov_b32_e32 v3, 0
	v_mov_b32_e32 v8, 0
.LBB118_153:                            ; =>This Inner Loop Header: Depth=1
	buffer_load_dword v9, v7, s[0:3], 0 offen offset:4
	buffer_load_dword v12, v7, s[0:3], 0 offen
	ds_read_b64 v[10:11], v5
	v_add_u32_e32 v4, 1, v4
	v_cmp_lt_u32_e32 vcc, 33, v4
	v_add_u32_e32 v5, 8, v5
	v_add_u32_e32 v7, 8, v7
	s_or_b64 s[6:7], vcc, s[6:7]
	s_waitcnt vmcnt(1) lgkmcnt(0)
	v_mul_f32_e32 v13, v11, v9
	v_mul_f32_e32 v9, v10, v9
	s_waitcnt vmcnt(0)
	v_fma_f32 v10, v10, v12, -v13
	v_fmac_f32_e32 v9, v11, v12
	v_add_f32_e32 v8, v8, v10
	v_add_f32_e32 v3, v3, v9
	s_andn2_b64 exec, exec, s[6:7]
	s_cbranch_execnz .LBB118_153
; %bb.154:
	s_or_b64 exec, exec, s[6:7]
	v_mov_b32_e32 v4, 0
	ds_read_b64 v[4:5], v4 offset:280
	s_waitcnt lgkmcnt(0)
	v_mul_f32_e32 v7, v3, v5
	v_mul_f32_e32 v5, v8, v5
	v_fma_f32 v7, v8, v4, -v7
	v_fmac_f32_e32 v5, v3, v4
	buffer_store_dword v7, off, s[0:3], 0 offset:280
	buffer_store_dword v5, off, s[0:3], 0 offset:284
.LBB118_155:
	s_or_b64 exec, exec, s[4:5]
	s_waitcnt lgkmcnt(0)
	; wave barrier
	buffer_load_dword v4, off, s[0:3], 0 offset:288
	buffer_load_dword v5, off, s[0:3], 0 offset:292
	v_cmp_gt_u32_e32 vcc, 36, v0
	s_waitcnt vmcnt(0)
	ds_write_b64 v1, v[4:5]
	s_waitcnt lgkmcnt(0)
	; wave barrier
	s_waitcnt lgkmcnt(0)
	s_and_saveexec_b64 s[4:5], vcc
	s_cbranch_execz .LBB118_159
; %bb.156:
	v_add_u32_e32 v4, -1, v0
	v_add_u32_e32 v5, 0x1c0, v6
	v_add_u32_e32 v7, 0, v6
	s_mov_b64 s[6:7], 0
	v_mov_b32_e32 v3, 0
	v_mov_b32_e32 v8, 0
.LBB118_157:                            ; =>This Inner Loop Header: Depth=1
	buffer_load_dword v9, v7, s[0:3], 0 offen offset:4
	buffer_load_dword v12, v7, s[0:3], 0 offen
	ds_read_b64 v[10:11], v5
	v_add_u32_e32 v4, 1, v4
	v_cmp_lt_u32_e32 vcc, 34, v4
	v_add_u32_e32 v5, 8, v5
	v_add_u32_e32 v7, 8, v7
	s_or_b64 s[6:7], vcc, s[6:7]
	s_waitcnt vmcnt(1) lgkmcnt(0)
	v_mul_f32_e32 v13, v11, v9
	v_mul_f32_e32 v9, v10, v9
	s_waitcnt vmcnt(0)
	v_fma_f32 v10, v10, v12, -v13
	v_fmac_f32_e32 v9, v11, v12
	v_add_f32_e32 v8, v8, v10
	v_add_f32_e32 v3, v3, v9
	s_andn2_b64 exec, exec, s[6:7]
	s_cbranch_execnz .LBB118_157
; %bb.158:
	s_or_b64 exec, exec, s[6:7]
	v_mov_b32_e32 v4, 0
	ds_read_b64 v[4:5], v4 offset:288
	s_waitcnt lgkmcnt(0)
	v_mul_f32_e32 v7, v3, v5
	v_mul_f32_e32 v5, v8, v5
	v_fma_f32 v7, v8, v4, -v7
	v_fmac_f32_e32 v5, v3, v4
	buffer_store_dword v7, off, s[0:3], 0 offset:288
	buffer_store_dword v5, off, s[0:3], 0 offset:292
.LBB118_159:
	s_or_b64 exec, exec, s[4:5]
	s_waitcnt lgkmcnt(0)
	; wave barrier
	buffer_load_dword v4, off, s[0:3], 0 offset:296
	buffer_load_dword v5, off, s[0:3], 0 offset:300
	v_cmp_gt_u32_e32 vcc, 37, v0
	s_waitcnt vmcnt(0)
	ds_write_b64 v1, v[4:5]
	s_waitcnt lgkmcnt(0)
	; wave barrier
	s_waitcnt lgkmcnt(0)
	s_and_saveexec_b64 s[4:5], vcc
	s_cbranch_execz .LBB118_163
; %bb.160:
	v_add_u32_e32 v4, -1, v0
	v_add_u32_e32 v5, 0x1c0, v6
	v_add_u32_e32 v7, 0, v6
	s_mov_b64 s[6:7], 0
	v_mov_b32_e32 v3, 0
	v_mov_b32_e32 v8, 0
.LBB118_161:                            ; =>This Inner Loop Header: Depth=1
	buffer_load_dword v9, v7, s[0:3], 0 offen offset:4
	buffer_load_dword v12, v7, s[0:3], 0 offen
	ds_read_b64 v[10:11], v5
	v_add_u32_e32 v4, 1, v4
	v_cmp_lt_u32_e32 vcc, 35, v4
	v_add_u32_e32 v5, 8, v5
	v_add_u32_e32 v7, 8, v7
	s_or_b64 s[6:7], vcc, s[6:7]
	s_waitcnt vmcnt(1) lgkmcnt(0)
	v_mul_f32_e32 v13, v11, v9
	v_mul_f32_e32 v9, v10, v9
	s_waitcnt vmcnt(0)
	v_fma_f32 v10, v10, v12, -v13
	v_fmac_f32_e32 v9, v11, v12
	v_add_f32_e32 v8, v8, v10
	v_add_f32_e32 v3, v3, v9
	s_andn2_b64 exec, exec, s[6:7]
	s_cbranch_execnz .LBB118_161
; %bb.162:
	s_or_b64 exec, exec, s[6:7]
	v_mov_b32_e32 v4, 0
	ds_read_b64 v[4:5], v4 offset:296
	s_waitcnt lgkmcnt(0)
	v_mul_f32_e32 v7, v3, v5
	v_mul_f32_e32 v5, v8, v5
	v_fma_f32 v7, v8, v4, -v7
	v_fmac_f32_e32 v5, v3, v4
	buffer_store_dword v7, off, s[0:3], 0 offset:296
	buffer_store_dword v5, off, s[0:3], 0 offset:300
.LBB118_163:
	s_or_b64 exec, exec, s[4:5]
	s_waitcnt lgkmcnt(0)
	; wave barrier
	buffer_load_dword v4, off, s[0:3], 0 offset:304
	buffer_load_dword v5, off, s[0:3], 0 offset:308
	v_cmp_gt_u32_e32 vcc, 38, v0
	s_waitcnt vmcnt(0)
	ds_write_b64 v1, v[4:5]
	s_waitcnt lgkmcnt(0)
	; wave barrier
	s_waitcnt lgkmcnt(0)
	s_and_saveexec_b64 s[4:5], vcc
	s_cbranch_execz .LBB118_167
; %bb.164:
	v_add_u32_e32 v4, -1, v0
	v_add_u32_e32 v5, 0x1c0, v6
	v_add_u32_e32 v7, 0, v6
	s_mov_b64 s[6:7], 0
	v_mov_b32_e32 v3, 0
	v_mov_b32_e32 v8, 0
.LBB118_165:                            ; =>This Inner Loop Header: Depth=1
	buffer_load_dword v9, v7, s[0:3], 0 offen offset:4
	buffer_load_dword v12, v7, s[0:3], 0 offen
	ds_read_b64 v[10:11], v5
	v_add_u32_e32 v4, 1, v4
	v_cmp_lt_u32_e32 vcc, 36, v4
	v_add_u32_e32 v5, 8, v5
	v_add_u32_e32 v7, 8, v7
	s_or_b64 s[6:7], vcc, s[6:7]
	s_waitcnt vmcnt(1) lgkmcnt(0)
	v_mul_f32_e32 v13, v11, v9
	v_mul_f32_e32 v9, v10, v9
	s_waitcnt vmcnt(0)
	v_fma_f32 v10, v10, v12, -v13
	v_fmac_f32_e32 v9, v11, v12
	v_add_f32_e32 v8, v8, v10
	v_add_f32_e32 v3, v3, v9
	s_andn2_b64 exec, exec, s[6:7]
	s_cbranch_execnz .LBB118_165
; %bb.166:
	s_or_b64 exec, exec, s[6:7]
	v_mov_b32_e32 v4, 0
	ds_read_b64 v[4:5], v4 offset:304
	s_waitcnt lgkmcnt(0)
	v_mul_f32_e32 v7, v3, v5
	v_mul_f32_e32 v5, v8, v5
	v_fma_f32 v7, v8, v4, -v7
	v_fmac_f32_e32 v5, v3, v4
	buffer_store_dword v7, off, s[0:3], 0 offset:304
	buffer_store_dword v5, off, s[0:3], 0 offset:308
.LBB118_167:
	s_or_b64 exec, exec, s[4:5]
	s_waitcnt lgkmcnt(0)
	; wave barrier
	buffer_load_dword v4, off, s[0:3], 0 offset:312
	buffer_load_dword v5, off, s[0:3], 0 offset:316
	v_cmp_gt_u32_e32 vcc, 39, v0
	s_waitcnt vmcnt(0)
	ds_write_b64 v1, v[4:5]
	s_waitcnt lgkmcnt(0)
	; wave barrier
	s_waitcnt lgkmcnt(0)
	s_and_saveexec_b64 s[4:5], vcc
	s_cbranch_execz .LBB118_171
; %bb.168:
	v_add_u32_e32 v4, -1, v0
	v_add_u32_e32 v5, 0x1c0, v6
	v_add_u32_e32 v7, 0, v6
	s_mov_b64 s[6:7], 0
	v_mov_b32_e32 v3, 0
	v_mov_b32_e32 v8, 0
.LBB118_169:                            ; =>This Inner Loop Header: Depth=1
	buffer_load_dword v9, v7, s[0:3], 0 offen offset:4
	buffer_load_dword v12, v7, s[0:3], 0 offen
	ds_read_b64 v[10:11], v5
	v_add_u32_e32 v4, 1, v4
	v_cmp_lt_u32_e32 vcc, 37, v4
	v_add_u32_e32 v5, 8, v5
	v_add_u32_e32 v7, 8, v7
	s_or_b64 s[6:7], vcc, s[6:7]
	s_waitcnt vmcnt(1) lgkmcnt(0)
	v_mul_f32_e32 v13, v11, v9
	v_mul_f32_e32 v9, v10, v9
	s_waitcnt vmcnt(0)
	v_fma_f32 v10, v10, v12, -v13
	v_fmac_f32_e32 v9, v11, v12
	v_add_f32_e32 v8, v8, v10
	v_add_f32_e32 v3, v3, v9
	s_andn2_b64 exec, exec, s[6:7]
	s_cbranch_execnz .LBB118_169
; %bb.170:
	s_or_b64 exec, exec, s[6:7]
	v_mov_b32_e32 v4, 0
	ds_read_b64 v[4:5], v4 offset:312
	s_waitcnt lgkmcnt(0)
	v_mul_f32_e32 v7, v3, v5
	v_mul_f32_e32 v5, v8, v5
	v_fma_f32 v7, v8, v4, -v7
	v_fmac_f32_e32 v5, v3, v4
	buffer_store_dword v7, off, s[0:3], 0 offset:312
	buffer_store_dword v5, off, s[0:3], 0 offset:316
.LBB118_171:
	s_or_b64 exec, exec, s[4:5]
	s_waitcnt lgkmcnt(0)
	; wave barrier
	buffer_load_dword v4, off, s[0:3], 0 offset:320
	buffer_load_dword v5, off, s[0:3], 0 offset:324
	v_cmp_gt_u32_e32 vcc, 40, v0
	s_waitcnt vmcnt(0)
	ds_write_b64 v1, v[4:5]
	s_waitcnt lgkmcnt(0)
	; wave barrier
	s_waitcnt lgkmcnt(0)
	s_and_saveexec_b64 s[4:5], vcc
	s_cbranch_execz .LBB118_175
; %bb.172:
	v_add_u32_e32 v4, -1, v0
	v_add_u32_e32 v5, 0x1c0, v6
	v_add_u32_e32 v7, 0, v6
	s_mov_b64 s[6:7], 0
	v_mov_b32_e32 v3, 0
	v_mov_b32_e32 v8, 0
.LBB118_173:                            ; =>This Inner Loop Header: Depth=1
	buffer_load_dword v9, v7, s[0:3], 0 offen offset:4
	buffer_load_dword v12, v7, s[0:3], 0 offen
	ds_read_b64 v[10:11], v5
	v_add_u32_e32 v4, 1, v4
	v_cmp_lt_u32_e32 vcc, 38, v4
	v_add_u32_e32 v5, 8, v5
	v_add_u32_e32 v7, 8, v7
	s_or_b64 s[6:7], vcc, s[6:7]
	s_waitcnt vmcnt(1) lgkmcnt(0)
	v_mul_f32_e32 v13, v11, v9
	v_mul_f32_e32 v9, v10, v9
	s_waitcnt vmcnt(0)
	v_fma_f32 v10, v10, v12, -v13
	v_fmac_f32_e32 v9, v11, v12
	v_add_f32_e32 v8, v8, v10
	v_add_f32_e32 v3, v3, v9
	s_andn2_b64 exec, exec, s[6:7]
	s_cbranch_execnz .LBB118_173
; %bb.174:
	s_or_b64 exec, exec, s[6:7]
	v_mov_b32_e32 v4, 0
	ds_read_b64 v[4:5], v4 offset:320
	s_waitcnt lgkmcnt(0)
	v_mul_f32_e32 v7, v3, v5
	v_mul_f32_e32 v5, v8, v5
	v_fma_f32 v7, v8, v4, -v7
	v_fmac_f32_e32 v5, v3, v4
	buffer_store_dword v7, off, s[0:3], 0 offset:320
	buffer_store_dword v5, off, s[0:3], 0 offset:324
.LBB118_175:
	s_or_b64 exec, exec, s[4:5]
	s_waitcnt lgkmcnt(0)
	; wave barrier
	buffer_load_dword v4, off, s[0:3], 0 offset:328
	buffer_load_dword v5, off, s[0:3], 0 offset:332
	v_cmp_gt_u32_e32 vcc, 41, v0
	s_waitcnt vmcnt(0)
	ds_write_b64 v1, v[4:5]
	s_waitcnt lgkmcnt(0)
	; wave barrier
	s_waitcnt lgkmcnt(0)
	s_and_saveexec_b64 s[4:5], vcc
	s_cbranch_execz .LBB118_179
; %bb.176:
	v_add_u32_e32 v4, -1, v0
	v_add_u32_e32 v5, 0x1c0, v6
	v_add_u32_e32 v7, 0, v6
	s_mov_b64 s[6:7], 0
	v_mov_b32_e32 v3, 0
	v_mov_b32_e32 v8, 0
.LBB118_177:                            ; =>This Inner Loop Header: Depth=1
	buffer_load_dword v9, v7, s[0:3], 0 offen offset:4
	buffer_load_dword v12, v7, s[0:3], 0 offen
	ds_read_b64 v[10:11], v5
	v_add_u32_e32 v4, 1, v4
	v_cmp_lt_u32_e32 vcc, 39, v4
	v_add_u32_e32 v5, 8, v5
	v_add_u32_e32 v7, 8, v7
	s_or_b64 s[6:7], vcc, s[6:7]
	s_waitcnt vmcnt(1) lgkmcnt(0)
	v_mul_f32_e32 v13, v11, v9
	v_mul_f32_e32 v9, v10, v9
	s_waitcnt vmcnt(0)
	v_fma_f32 v10, v10, v12, -v13
	v_fmac_f32_e32 v9, v11, v12
	v_add_f32_e32 v8, v8, v10
	v_add_f32_e32 v3, v3, v9
	s_andn2_b64 exec, exec, s[6:7]
	s_cbranch_execnz .LBB118_177
; %bb.178:
	s_or_b64 exec, exec, s[6:7]
	v_mov_b32_e32 v4, 0
	ds_read_b64 v[4:5], v4 offset:328
	s_waitcnt lgkmcnt(0)
	v_mul_f32_e32 v7, v3, v5
	v_mul_f32_e32 v5, v8, v5
	v_fma_f32 v7, v8, v4, -v7
	v_fmac_f32_e32 v5, v3, v4
	buffer_store_dword v7, off, s[0:3], 0 offset:328
	buffer_store_dword v5, off, s[0:3], 0 offset:332
.LBB118_179:
	s_or_b64 exec, exec, s[4:5]
	s_waitcnt lgkmcnt(0)
	; wave barrier
	buffer_load_dword v4, off, s[0:3], 0 offset:336
	buffer_load_dword v5, off, s[0:3], 0 offset:340
	v_cmp_gt_u32_e32 vcc, 42, v0
	s_waitcnt vmcnt(0)
	ds_write_b64 v1, v[4:5]
	s_waitcnt lgkmcnt(0)
	; wave barrier
	s_waitcnt lgkmcnt(0)
	s_and_saveexec_b64 s[4:5], vcc
	s_cbranch_execz .LBB118_183
; %bb.180:
	v_add_u32_e32 v4, -1, v0
	v_add_u32_e32 v5, 0x1c0, v6
	v_add_u32_e32 v7, 0, v6
	s_mov_b64 s[6:7], 0
	v_mov_b32_e32 v3, 0
	v_mov_b32_e32 v8, 0
.LBB118_181:                            ; =>This Inner Loop Header: Depth=1
	buffer_load_dword v9, v7, s[0:3], 0 offen offset:4
	buffer_load_dword v12, v7, s[0:3], 0 offen
	ds_read_b64 v[10:11], v5
	v_add_u32_e32 v4, 1, v4
	v_cmp_lt_u32_e32 vcc, 40, v4
	v_add_u32_e32 v5, 8, v5
	v_add_u32_e32 v7, 8, v7
	s_or_b64 s[6:7], vcc, s[6:7]
	s_waitcnt vmcnt(1) lgkmcnt(0)
	v_mul_f32_e32 v13, v11, v9
	v_mul_f32_e32 v9, v10, v9
	s_waitcnt vmcnt(0)
	v_fma_f32 v10, v10, v12, -v13
	v_fmac_f32_e32 v9, v11, v12
	v_add_f32_e32 v8, v8, v10
	v_add_f32_e32 v3, v3, v9
	s_andn2_b64 exec, exec, s[6:7]
	s_cbranch_execnz .LBB118_181
; %bb.182:
	s_or_b64 exec, exec, s[6:7]
	v_mov_b32_e32 v4, 0
	ds_read_b64 v[4:5], v4 offset:336
	s_waitcnt lgkmcnt(0)
	v_mul_f32_e32 v7, v3, v5
	v_mul_f32_e32 v5, v8, v5
	v_fma_f32 v7, v8, v4, -v7
	v_fmac_f32_e32 v5, v3, v4
	buffer_store_dword v7, off, s[0:3], 0 offset:336
	buffer_store_dword v5, off, s[0:3], 0 offset:340
.LBB118_183:
	s_or_b64 exec, exec, s[4:5]
	s_waitcnt lgkmcnt(0)
	; wave barrier
	buffer_load_dword v4, off, s[0:3], 0 offset:344
	buffer_load_dword v5, off, s[0:3], 0 offset:348
	v_cmp_gt_u32_e32 vcc, 43, v0
	s_waitcnt vmcnt(0)
	ds_write_b64 v1, v[4:5]
	s_waitcnt lgkmcnt(0)
	; wave barrier
	s_waitcnt lgkmcnt(0)
	s_and_saveexec_b64 s[4:5], vcc
	s_cbranch_execz .LBB118_187
; %bb.184:
	v_add_u32_e32 v4, -1, v0
	v_add_u32_e32 v5, 0x1c0, v6
	v_add_u32_e32 v7, 0, v6
	s_mov_b64 s[6:7], 0
	v_mov_b32_e32 v3, 0
	v_mov_b32_e32 v8, 0
.LBB118_185:                            ; =>This Inner Loop Header: Depth=1
	buffer_load_dword v9, v7, s[0:3], 0 offen offset:4
	buffer_load_dword v12, v7, s[0:3], 0 offen
	ds_read_b64 v[10:11], v5
	v_add_u32_e32 v4, 1, v4
	v_cmp_lt_u32_e32 vcc, 41, v4
	v_add_u32_e32 v5, 8, v5
	v_add_u32_e32 v7, 8, v7
	s_or_b64 s[6:7], vcc, s[6:7]
	s_waitcnt vmcnt(1) lgkmcnt(0)
	v_mul_f32_e32 v13, v11, v9
	v_mul_f32_e32 v9, v10, v9
	s_waitcnt vmcnt(0)
	v_fma_f32 v10, v10, v12, -v13
	v_fmac_f32_e32 v9, v11, v12
	v_add_f32_e32 v8, v8, v10
	v_add_f32_e32 v3, v3, v9
	s_andn2_b64 exec, exec, s[6:7]
	s_cbranch_execnz .LBB118_185
; %bb.186:
	s_or_b64 exec, exec, s[6:7]
	v_mov_b32_e32 v4, 0
	ds_read_b64 v[4:5], v4 offset:344
	s_waitcnt lgkmcnt(0)
	v_mul_f32_e32 v7, v3, v5
	v_mul_f32_e32 v5, v8, v5
	v_fma_f32 v7, v8, v4, -v7
	v_fmac_f32_e32 v5, v3, v4
	buffer_store_dword v7, off, s[0:3], 0 offset:344
	buffer_store_dword v5, off, s[0:3], 0 offset:348
.LBB118_187:
	s_or_b64 exec, exec, s[4:5]
	s_waitcnt lgkmcnt(0)
	; wave barrier
	buffer_load_dword v4, off, s[0:3], 0 offset:352
	buffer_load_dword v5, off, s[0:3], 0 offset:356
	v_cmp_gt_u32_e32 vcc, 44, v0
	s_waitcnt vmcnt(0)
	ds_write_b64 v1, v[4:5]
	s_waitcnt lgkmcnt(0)
	; wave barrier
	s_waitcnt lgkmcnt(0)
	s_and_saveexec_b64 s[4:5], vcc
	s_cbranch_execz .LBB118_191
; %bb.188:
	v_add_u32_e32 v4, -1, v0
	v_add_u32_e32 v5, 0x1c0, v6
	v_add_u32_e32 v7, 0, v6
	s_mov_b64 s[6:7], 0
	v_mov_b32_e32 v3, 0
	v_mov_b32_e32 v8, 0
.LBB118_189:                            ; =>This Inner Loop Header: Depth=1
	buffer_load_dword v9, v7, s[0:3], 0 offen offset:4
	buffer_load_dword v12, v7, s[0:3], 0 offen
	ds_read_b64 v[10:11], v5
	v_add_u32_e32 v4, 1, v4
	v_cmp_lt_u32_e32 vcc, 42, v4
	v_add_u32_e32 v5, 8, v5
	v_add_u32_e32 v7, 8, v7
	s_or_b64 s[6:7], vcc, s[6:7]
	s_waitcnt vmcnt(1) lgkmcnt(0)
	v_mul_f32_e32 v13, v11, v9
	v_mul_f32_e32 v9, v10, v9
	s_waitcnt vmcnt(0)
	v_fma_f32 v10, v10, v12, -v13
	v_fmac_f32_e32 v9, v11, v12
	v_add_f32_e32 v8, v8, v10
	v_add_f32_e32 v3, v3, v9
	s_andn2_b64 exec, exec, s[6:7]
	s_cbranch_execnz .LBB118_189
; %bb.190:
	s_or_b64 exec, exec, s[6:7]
	v_mov_b32_e32 v4, 0
	ds_read_b64 v[4:5], v4 offset:352
	s_waitcnt lgkmcnt(0)
	v_mul_f32_e32 v7, v3, v5
	v_mul_f32_e32 v5, v8, v5
	v_fma_f32 v7, v8, v4, -v7
	v_fmac_f32_e32 v5, v3, v4
	buffer_store_dword v7, off, s[0:3], 0 offset:352
	buffer_store_dword v5, off, s[0:3], 0 offset:356
.LBB118_191:
	s_or_b64 exec, exec, s[4:5]
	s_waitcnt lgkmcnt(0)
	; wave barrier
	buffer_load_dword v4, off, s[0:3], 0 offset:360
	buffer_load_dword v5, off, s[0:3], 0 offset:364
	v_cmp_gt_u32_e32 vcc, 45, v0
	s_waitcnt vmcnt(0)
	ds_write_b64 v1, v[4:5]
	s_waitcnt lgkmcnt(0)
	; wave barrier
	s_waitcnt lgkmcnt(0)
	s_and_saveexec_b64 s[4:5], vcc
	s_cbranch_execz .LBB118_195
; %bb.192:
	v_add_u32_e32 v4, -1, v0
	v_add_u32_e32 v5, 0x1c0, v6
	v_add_u32_e32 v7, 0, v6
	s_mov_b64 s[6:7], 0
	v_mov_b32_e32 v3, 0
	v_mov_b32_e32 v8, 0
.LBB118_193:                            ; =>This Inner Loop Header: Depth=1
	buffer_load_dword v9, v7, s[0:3], 0 offen offset:4
	buffer_load_dword v12, v7, s[0:3], 0 offen
	ds_read_b64 v[10:11], v5
	v_add_u32_e32 v4, 1, v4
	v_cmp_lt_u32_e32 vcc, 43, v4
	v_add_u32_e32 v5, 8, v5
	v_add_u32_e32 v7, 8, v7
	s_or_b64 s[6:7], vcc, s[6:7]
	s_waitcnt vmcnt(1) lgkmcnt(0)
	v_mul_f32_e32 v13, v11, v9
	v_mul_f32_e32 v9, v10, v9
	s_waitcnt vmcnt(0)
	v_fma_f32 v10, v10, v12, -v13
	v_fmac_f32_e32 v9, v11, v12
	v_add_f32_e32 v8, v8, v10
	v_add_f32_e32 v3, v3, v9
	s_andn2_b64 exec, exec, s[6:7]
	s_cbranch_execnz .LBB118_193
; %bb.194:
	s_or_b64 exec, exec, s[6:7]
	v_mov_b32_e32 v4, 0
	ds_read_b64 v[4:5], v4 offset:360
	s_waitcnt lgkmcnt(0)
	v_mul_f32_e32 v7, v3, v5
	v_mul_f32_e32 v5, v8, v5
	v_fma_f32 v7, v8, v4, -v7
	v_fmac_f32_e32 v5, v3, v4
	buffer_store_dword v7, off, s[0:3], 0 offset:360
	buffer_store_dword v5, off, s[0:3], 0 offset:364
.LBB118_195:
	s_or_b64 exec, exec, s[4:5]
	s_waitcnt lgkmcnt(0)
	; wave barrier
	buffer_load_dword v4, off, s[0:3], 0 offset:368
	buffer_load_dword v5, off, s[0:3], 0 offset:372
	v_cmp_gt_u32_e32 vcc, 46, v0
	s_waitcnt vmcnt(0)
	ds_write_b64 v1, v[4:5]
	s_waitcnt lgkmcnt(0)
	; wave barrier
	s_waitcnt lgkmcnt(0)
	s_and_saveexec_b64 s[4:5], vcc
	s_cbranch_execz .LBB118_199
; %bb.196:
	v_add_u32_e32 v4, -1, v0
	v_add_u32_e32 v5, 0x1c0, v6
	v_add_u32_e32 v7, 0, v6
	s_mov_b64 s[6:7], 0
	v_mov_b32_e32 v3, 0
	v_mov_b32_e32 v8, 0
.LBB118_197:                            ; =>This Inner Loop Header: Depth=1
	buffer_load_dword v9, v7, s[0:3], 0 offen offset:4
	buffer_load_dword v12, v7, s[0:3], 0 offen
	ds_read_b64 v[10:11], v5
	v_add_u32_e32 v4, 1, v4
	v_cmp_lt_u32_e32 vcc, 44, v4
	v_add_u32_e32 v5, 8, v5
	v_add_u32_e32 v7, 8, v7
	s_or_b64 s[6:7], vcc, s[6:7]
	s_waitcnt vmcnt(1) lgkmcnt(0)
	v_mul_f32_e32 v13, v11, v9
	v_mul_f32_e32 v9, v10, v9
	s_waitcnt vmcnt(0)
	v_fma_f32 v10, v10, v12, -v13
	v_fmac_f32_e32 v9, v11, v12
	v_add_f32_e32 v8, v8, v10
	v_add_f32_e32 v3, v3, v9
	s_andn2_b64 exec, exec, s[6:7]
	s_cbranch_execnz .LBB118_197
; %bb.198:
	s_or_b64 exec, exec, s[6:7]
	v_mov_b32_e32 v4, 0
	ds_read_b64 v[4:5], v4 offset:368
	s_waitcnt lgkmcnt(0)
	v_mul_f32_e32 v7, v3, v5
	v_mul_f32_e32 v5, v8, v5
	v_fma_f32 v7, v8, v4, -v7
	v_fmac_f32_e32 v5, v3, v4
	buffer_store_dword v7, off, s[0:3], 0 offset:368
	buffer_store_dword v5, off, s[0:3], 0 offset:372
.LBB118_199:
	s_or_b64 exec, exec, s[4:5]
	s_waitcnt lgkmcnt(0)
	; wave barrier
	buffer_load_dword v4, off, s[0:3], 0 offset:376
	buffer_load_dword v5, off, s[0:3], 0 offset:380
	v_cmp_gt_u32_e32 vcc, 47, v0
	s_waitcnt vmcnt(0)
	ds_write_b64 v1, v[4:5]
	s_waitcnt lgkmcnt(0)
	; wave barrier
	s_waitcnt lgkmcnt(0)
	s_and_saveexec_b64 s[4:5], vcc
	s_cbranch_execz .LBB118_203
; %bb.200:
	v_add_u32_e32 v4, -1, v0
	v_add_u32_e32 v5, 0x1c0, v6
	v_add_u32_e32 v7, 0, v6
	s_mov_b64 s[6:7], 0
	v_mov_b32_e32 v3, 0
	v_mov_b32_e32 v8, 0
.LBB118_201:                            ; =>This Inner Loop Header: Depth=1
	buffer_load_dword v9, v7, s[0:3], 0 offen offset:4
	buffer_load_dword v12, v7, s[0:3], 0 offen
	ds_read_b64 v[10:11], v5
	v_add_u32_e32 v4, 1, v4
	v_cmp_lt_u32_e32 vcc, 45, v4
	v_add_u32_e32 v5, 8, v5
	v_add_u32_e32 v7, 8, v7
	s_or_b64 s[6:7], vcc, s[6:7]
	s_waitcnt vmcnt(1) lgkmcnt(0)
	v_mul_f32_e32 v13, v11, v9
	v_mul_f32_e32 v9, v10, v9
	s_waitcnt vmcnt(0)
	v_fma_f32 v10, v10, v12, -v13
	v_fmac_f32_e32 v9, v11, v12
	v_add_f32_e32 v8, v8, v10
	v_add_f32_e32 v3, v3, v9
	s_andn2_b64 exec, exec, s[6:7]
	s_cbranch_execnz .LBB118_201
; %bb.202:
	s_or_b64 exec, exec, s[6:7]
	v_mov_b32_e32 v4, 0
	ds_read_b64 v[4:5], v4 offset:376
	s_waitcnt lgkmcnt(0)
	v_mul_f32_e32 v7, v3, v5
	v_mul_f32_e32 v5, v8, v5
	v_fma_f32 v7, v8, v4, -v7
	v_fmac_f32_e32 v5, v3, v4
	buffer_store_dword v7, off, s[0:3], 0 offset:376
	buffer_store_dword v5, off, s[0:3], 0 offset:380
.LBB118_203:
	s_or_b64 exec, exec, s[4:5]
	s_waitcnt lgkmcnt(0)
	; wave barrier
	buffer_load_dword v4, off, s[0:3], 0 offset:384
	buffer_load_dword v5, off, s[0:3], 0 offset:388
	v_cmp_gt_u32_e32 vcc, 48, v0
	s_waitcnt vmcnt(0)
	ds_write_b64 v1, v[4:5]
	s_waitcnt lgkmcnt(0)
	; wave barrier
	s_waitcnt lgkmcnt(0)
	s_and_saveexec_b64 s[4:5], vcc
	s_cbranch_execz .LBB118_207
; %bb.204:
	v_add_u32_e32 v4, -1, v0
	v_add_u32_e32 v5, 0x1c0, v6
	v_add_u32_e32 v7, 0, v6
	s_mov_b64 s[6:7], 0
	v_mov_b32_e32 v3, 0
	v_mov_b32_e32 v8, 0
.LBB118_205:                            ; =>This Inner Loop Header: Depth=1
	buffer_load_dword v9, v7, s[0:3], 0 offen offset:4
	buffer_load_dword v12, v7, s[0:3], 0 offen
	ds_read_b64 v[10:11], v5
	v_add_u32_e32 v4, 1, v4
	v_cmp_lt_u32_e32 vcc, 46, v4
	v_add_u32_e32 v5, 8, v5
	v_add_u32_e32 v7, 8, v7
	s_or_b64 s[6:7], vcc, s[6:7]
	s_waitcnt vmcnt(1) lgkmcnt(0)
	v_mul_f32_e32 v13, v11, v9
	v_mul_f32_e32 v9, v10, v9
	s_waitcnt vmcnt(0)
	v_fma_f32 v10, v10, v12, -v13
	v_fmac_f32_e32 v9, v11, v12
	v_add_f32_e32 v8, v8, v10
	v_add_f32_e32 v3, v3, v9
	s_andn2_b64 exec, exec, s[6:7]
	s_cbranch_execnz .LBB118_205
; %bb.206:
	s_or_b64 exec, exec, s[6:7]
	v_mov_b32_e32 v4, 0
	ds_read_b64 v[4:5], v4 offset:384
	s_waitcnt lgkmcnt(0)
	v_mul_f32_e32 v7, v3, v5
	v_mul_f32_e32 v5, v8, v5
	v_fma_f32 v7, v8, v4, -v7
	v_fmac_f32_e32 v5, v3, v4
	buffer_store_dword v7, off, s[0:3], 0 offset:384
	buffer_store_dword v5, off, s[0:3], 0 offset:388
.LBB118_207:
	s_or_b64 exec, exec, s[4:5]
	s_waitcnt lgkmcnt(0)
	; wave barrier
	buffer_load_dword v4, off, s[0:3], 0 offset:392
	buffer_load_dword v5, off, s[0:3], 0 offset:396
	v_cmp_gt_u32_e32 vcc, 49, v0
	s_waitcnt vmcnt(0)
	ds_write_b64 v1, v[4:5]
	s_waitcnt lgkmcnt(0)
	; wave barrier
	s_waitcnt lgkmcnt(0)
	s_and_saveexec_b64 s[4:5], vcc
	s_cbranch_execz .LBB118_211
; %bb.208:
	v_add_u32_e32 v4, -1, v0
	v_add_u32_e32 v5, 0x1c0, v6
	v_add_u32_e32 v7, 0, v6
	s_mov_b64 s[6:7], 0
	v_mov_b32_e32 v3, 0
	v_mov_b32_e32 v8, 0
.LBB118_209:                            ; =>This Inner Loop Header: Depth=1
	buffer_load_dword v9, v7, s[0:3], 0 offen offset:4
	buffer_load_dword v12, v7, s[0:3], 0 offen
	ds_read_b64 v[10:11], v5
	v_add_u32_e32 v4, 1, v4
	v_cmp_lt_u32_e32 vcc, 47, v4
	v_add_u32_e32 v5, 8, v5
	v_add_u32_e32 v7, 8, v7
	s_or_b64 s[6:7], vcc, s[6:7]
	s_waitcnt vmcnt(1) lgkmcnt(0)
	v_mul_f32_e32 v13, v11, v9
	v_mul_f32_e32 v9, v10, v9
	s_waitcnt vmcnt(0)
	v_fma_f32 v10, v10, v12, -v13
	v_fmac_f32_e32 v9, v11, v12
	v_add_f32_e32 v8, v8, v10
	v_add_f32_e32 v3, v3, v9
	s_andn2_b64 exec, exec, s[6:7]
	s_cbranch_execnz .LBB118_209
; %bb.210:
	s_or_b64 exec, exec, s[6:7]
	v_mov_b32_e32 v4, 0
	ds_read_b64 v[4:5], v4 offset:392
	s_waitcnt lgkmcnt(0)
	v_mul_f32_e32 v7, v3, v5
	v_mul_f32_e32 v5, v8, v5
	v_fma_f32 v7, v8, v4, -v7
	v_fmac_f32_e32 v5, v3, v4
	buffer_store_dword v7, off, s[0:3], 0 offset:392
	buffer_store_dword v5, off, s[0:3], 0 offset:396
.LBB118_211:
	s_or_b64 exec, exec, s[4:5]
	s_waitcnt lgkmcnt(0)
	; wave barrier
	buffer_load_dword v4, off, s[0:3], 0 offset:400
	buffer_load_dword v5, off, s[0:3], 0 offset:404
	v_cmp_gt_u32_e32 vcc, 50, v0
	s_waitcnt vmcnt(0)
	ds_write_b64 v1, v[4:5]
	s_waitcnt lgkmcnt(0)
	; wave barrier
	s_waitcnt lgkmcnt(0)
	s_and_saveexec_b64 s[4:5], vcc
	s_cbranch_execz .LBB118_215
; %bb.212:
	v_add_u32_e32 v4, -1, v0
	v_add_u32_e32 v5, 0x1c0, v6
	v_add_u32_e32 v7, 0, v6
	s_mov_b64 s[6:7], 0
	v_mov_b32_e32 v3, 0
	v_mov_b32_e32 v8, 0
.LBB118_213:                            ; =>This Inner Loop Header: Depth=1
	buffer_load_dword v9, v7, s[0:3], 0 offen offset:4
	buffer_load_dword v12, v7, s[0:3], 0 offen
	ds_read_b64 v[10:11], v5
	v_add_u32_e32 v4, 1, v4
	v_cmp_lt_u32_e32 vcc, 48, v4
	v_add_u32_e32 v5, 8, v5
	v_add_u32_e32 v7, 8, v7
	s_or_b64 s[6:7], vcc, s[6:7]
	s_waitcnt vmcnt(1) lgkmcnt(0)
	v_mul_f32_e32 v13, v11, v9
	v_mul_f32_e32 v9, v10, v9
	s_waitcnt vmcnt(0)
	v_fma_f32 v10, v10, v12, -v13
	v_fmac_f32_e32 v9, v11, v12
	v_add_f32_e32 v8, v8, v10
	v_add_f32_e32 v3, v3, v9
	s_andn2_b64 exec, exec, s[6:7]
	s_cbranch_execnz .LBB118_213
; %bb.214:
	s_or_b64 exec, exec, s[6:7]
	v_mov_b32_e32 v4, 0
	ds_read_b64 v[4:5], v4 offset:400
	s_waitcnt lgkmcnt(0)
	v_mul_f32_e32 v7, v3, v5
	v_mul_f32_e32 v5, v8, v5
	v_fma_f32 v7, v8, v4, -v7
	v_fmac_f32_e32 v5, v3, v4
	buffer_store_dword v7, off, s[0:3], 0 offset:400
	buffer_store_dword v5, off, s[0:3], 0 offset:404
.LBB118_215:
	s_or_b64 exec, exec, s[4:5]
	s_waitcnt lgkmcnt(0)
	; wave barrier
	buffer_load_dword v4, off, s[0:3], 0 offset:408
	buffer_load_dword v5, off, s[0:3], 0 offset:412
	v_cmp_gt_u32_e32 vcc, 51, v0
	s_waitcnt vmcnt(0)
	ds_write_b64 v1, v[4:5]
	s_waitcnt lgkmcnt(0)
	; wave barrier
	s_waitcnt lgkmcnt(0)
	s_and_saveexec_b64 s[4:5], vcc
	s_cbranch_execz .LBB118_219
; %bb.216:
	v_add_u32_e32 v4, -1, v0
	v_add_u32_e32 v5, 0x1c0, v6
	v_add_u32_e32 v7, 0, v6
	s_mov_b64 s[6:7], 0
	v_mov_b32_e32 v3, 0
	v_mov_b32_e32 v8, 0
.LBB118_217:                            ; =>This Inner Loop Header: Depth=1
	buffer_load_dword v9, v7, s[0:3], 0 offen offset:4
	buffer_load_dword v12, v7, s[0:3], 0 offen
	ds_read_b64 v[10:11], v5
	v_add_u32_e32 v4, 1, v4
	v_cmp_lt_u32_e32 vcc, 49, v4
	v_add_u32_e32 v5, 8, v5
	v_add_u32_e32 v7, 8, v7
	s_or_b64 s[6:7], vcc, s[6:7]
	s_waitcnt vmcnt(1) lgkmcnt(0)
	v_mul_f32_e32 v13, v11, v9
	v_mul_f32_e32 v9, v10, v9
	s_waitcnt vmcnt(0)
	v_fma_f32 v10, v10, v12, -v13
	v_fmac_f32_e32 v9, v11, v12
	v_add_f32_e32 v8, v8, v10
	v_add_f32_e32 v3, v3, v9
	s_andn2_b64 exec, exec, s[6:7]
	s_cbranch_execnz .LBB118_217
; %bb.218:
	s_or_b64 exec, exec, s[6:7]
	v_mov_b32_e32 v4, 0
	ds_read_b64 v[4:5], v4 offset:408
	s_waitcnt lgkmcnt(0)
	v_mul_f32_e32 v7, v3, v5
	v_mul_f32_e32 v5, v8, v5
	v_fma_f32 v7, v8, v4, -v7
	v_fmac_f32_e32 v5, v3, v4
	buffer_store_dword v7, off, s[0:3], 0 offset:408
	buffer_store_dword v5, off, s[0:3], 0 offset:412
.LBB118_219:
	s_or_b64 exec, exec, s[4:5]
	s_waitcnt lgkmcnt(0)
	; wave barrier
	buffer_load_dword v4, off, s[0:3], 0 offset:416
	buffer_load_dword v5, off, s[0:3], 0 offset:420
	v_cmp_gt_u32_e32 vcc, 52, v0
	s_waitcnt vmcnt(0)
	ds_write_b64 v1, v[4:5]
	s_waitcnt lgkmcnt(0)
	; wave barrier
	s_waitcnt lgkmcnt(0)
	s_and_saveexec_b64 s[4:5], vcc
	s_cbranch_execz .LBB118_223
; %bb.220:
	v_add_u32_e32 v4, -1, v0
	v_add_u32_e32 v5, 0x1c0, v6
	v_add_u32_e32 v7, 0, v6
	s_mov_b64 s[6:7], 0
	v_mov_b32_e32 v3, 0
	v_mov_b32_e32 v8, 0
.LBB118_221:                            ; =>This Inner Loop Header: Depth=1
	buffer_load_dword v9, v7, s[0:3], 0 offen offset:4
	buffer_load_dword v12, v7, s[0:3], 0 offen
	ds_read_b64 v[10:11], v5
	v_add_u32_e32 v4, 1, v4
	v_cmp_lt_u32_e32 vcc, 50, v4
	v_add_u32_e32 v5, 8, v5
	v_add_u32_e32 v7, 8, v7
	s_or_b64 s[6:7], vcc, s[6:7]
	s_waitcnt vmcnt(1) lgkmcnt(0)
	v_mul_f32_e32 v13, v11, v9
	v_mul_f32_e32 v9, v10, v9
	s_waitcnt vmcnt(0)
	v_fma_f32 v10, v10, v12, -v13
	v_fmac_f32_e32 v9, v11, v12
	v_add_f32_e32 v8, v8, v10
	v_add_f32_e32 v3, v3, v9
	s_andn2_b64 exec, exec, s[6:7]
	s_cbranch_execnz .LBB118_221
; %bb.222:
	s_or_b64 exec, exec, s[6:7]
	v_mov_b32_e32 v4, 0
	ds_read_b64 v[4:5], v4 offset:416
	s_waitcnt lgkmcnt(0)
	v_mul_f32_e32 v7, v3, v5
	v_mul_f32_e32 v5, v8, v5
	v_fma_f32 v7, v8, v4, -v7
	v_fmac_f32_e32 v5, v3, v4
	buffer_store_dword v7, off, s[0:3], 0 offset:416
	buffer_store_dword v5, off, s[0:3], 0 offset:420
.LBB118_223:
	s_or_b64 exec, exec, s[4:5]
	s_waitcnt lgkmcnt(0)
	; wave barrier
	buffer_load_dword v4, off, s[0:3], 0 offset:424
	buffer_load_dword v5, off, s[0:3], 0 offset:428
	v_cmp_gt_u32_e32 vcc, 53, v0
	s_waitcnt vmcnt(0)
	ds_write_b64 v1, v[4:5]
	s_waitcnt lgkmcnt(0)
	; wave barrier
	s_waitcnt lgkmcnt(0)
	s_and_saveexec_b64 s[4:5], vcc
	s_cbranch_execz .LBB118_227
; %bb.224:
	v_add_u32_e32 v4, -1, v0
	v_add_u32_e32 v5, 0x1c0, v6
	v_add_u32_e32 v7, 0, v6
	s_mov_b64 s[6:7], 0
	v_mov_b32_e32 v3, 0
	v_mov_b32_e32 v8, 0
.LBB118_225:                            ; =>This Inner Loop Header: Depth=1
	buffer_load_dword v9, v7, s[0:3], 0 offen offset:4
	buffer_load_dword v12, v7, s[0:3], 0 offen
	ds_read_b64 v[10:11], v5
	v_add_u32_e32 v4, 1, v4
	v_cmp_lt_u32_e32 vcc, 51, v4
	v_add_u32_e32 v5, 8, v5
	v_add_u32_e32 v7, 8, v7
	s_or_b64 s[6:7], vcc, s[6:7]
	s_waitcnt vmcnt(1) lgkmcnt(0)
	v_mul_f32_e32 v13, v11, v9
	v_mul_f32_e32 v9, v10, v9
	s_waitcnt vmcnt(0)
	v_fma_f32 v10, v10, v12, -v13
	v_fmac_f32_e32 v9, v11, v12
	v_add_f32_e32 v8, v8, v10
	v_add_f32_e32 v3, v3, v9
	s_andn2_b64 exec, exec, s[6:7]
	s_cbranch_execnz .LBB118_225
; %bb.226:
	s_or_b64 exec, exec, s[6:7]
	v_mov_b32_e32 v4, 0
	ds_read_b64 v[4:5], v4 offset:424
	s_waitcnt lgkmcnt(0)
	v_mul_f32_e32 v7, v3, v5
	v_mul_f32_e32 v5, v8, v5
	v_fma_f32 v7, v8, v4, -v7
	v_fmac_f32_e32 v5, v3, v4
	buffer_store_dword v7, off, s[0:3], 0 offset:424
	buffer_store_dword v5, off, s[0:3], 0 offset:428
.LBB118_227:
	s_or_b64 exec, exec, s[4:5]
	s_waitcnt lgkmcnt(0)
	; wave barrier
	buffer_load_dword v4, off, s[0:3], 0 offset:432
	buffer_load_dword v5, off, s[0:3], 0 offset:436
	v_cmp_ne_u32_e32 vcc, 54, v0
	s_waitcnt vmcnt(0)
	ds_write_b64 v1, v[4:5]
	s_waitcnt lgkmcnt(0)
	; wave barrier
	s_waitcnt lgkmcnt(0)
	s_and_saveexec_b64 s[4:5], vcc
	s_cbranch_execz .LBB118_231
; %bb.228:
	v_add_u32_e32 v3, 0x1c0, v6
	v_add_u32_e32 v4, 0, v6
	s_mov_b64 s[6:7], 0
	v_mov_b32_e32 v1, 0
	v_mov_b32_e32 v5, 0
.LBB118_229:                            ; =>This Inner Loop Header: Depth=1
	buffer_load_dword v8, v4, s[0:3], 0 offen offset:4
	buffer_load_dword v9, v4, s[0:3], 0 offen
	ds_read_b64 v[6:7], v3
	v_add_u32_e32 v2, 1, v2
	v_cmp_lt_u32_e32 vcc, 52, v2
	v_add_u32_e32 v3, 8, v3
	v_add_u32_e32 v4, 8, v4
	s_or_b64 s[6:7], vcc, s[6:7]
	s_waitcnt vmcnt(1) lgkmcnt(0)
	v_mul_f32_e32 v10, v7, v8
	v_mul_f32_e32 v8, v6, v8
	s_waitcnt vmcnt(0)
	v_fma_f32 v6, v6, v9, -v10
	v_fmac_f32_e32 v8, v7, v9
	v_add_f32_e32 v5, v5, v6
	v_add_f32_e32 v1, v1, v8
	s_andn2_b64 exec, exec, s[6:7]
	s_cbranch_execnz .LBB118_229
; %bb.230:
	s_or_b64 exec, exec, s[6:7]
	v_mov_b32_e32 v2, 0
	ds_read_b64 v[2:3], v2 offset:432
	s_waitcnt lgkmcnt(0)
	v_mul_f32_e32 v4, v1, v3
	v_mul_f32_e32 v3, v5, v3
	v_fma_f32 v4, v5, v2, -v4
	v_fmac_f32_e32 v3, v1, v2
	buffer_store_dword v4, off, s[0:3], 0 offset:432
	buffer_store_dword v3, off, s[0:3], 0 offset:436
.LBB118_231:
	s_or_b64 exec, exec, s[4:5]
	s_mov_b64 s[6:7], -1
	s_waitcnt lgkmcnt(0)
	; wave barrier
.LBB118_232:
	s_and_b64 vcc, exec, s[6:7]
	s_cbranch_vccz .LBB118_234
; %bb.233:
	s_lshl_b64 s[4:5], s[8:9], 2
	s_add_u32 s4, s14, s4
	s_addc_u32 s5, s15, s5
	v_mov_b32_e32 v1, 0
	global_load_dword v1, v1, s[4:5]
	s_waitcnt vmcnt(0)
	v_cmp_ne_u32_e32 vcc, 0, v1
	s_cbranch_vccz .LBB118_235
.LBB118_234:
	s_endpgm
.LBB118_235:
	v_mov_b32_e32 v1, 0x1c0
	v_lshl_add_u32 v153, v0, 3, v1
	v_cmp_eq_u32_e32 vcc, 54, v0
	s_and_saveexec_b64 s[4:5], vcc
	s_cbranch_execz .LBB118_237
; %bb.236:
	buffer_load_dword v2, off, s[0:3], 0 offset:424
	buffer_load_dword v3, off, s[0:3], 0 offset:428
	v_mov_b32_e32 v1, 0
	buffer_store_dword v1, off, s[0:3], 0 offset:424
	buffer_store_dword v1, off, s[0:3], 0 offset:428
	s_waitcnt vmcnt(2)
	ds_write_b64 v153, v[2:3]
.LBB118_237:
	s_or_b64 exec, exec, s[4:5]
	s_waitcnt lgkmcnt(0)
	; wave barrier
	s_waitcnt lgkmcnt(0)
	buffer_load_dword v3, off, s[0:3], 0 offset:436
	buffer_load_dword v2, off, s[0:3], 0 offset:432
	;; [unrolled: 1-line block ×4, first 2 shown]
	v_mov_b32_e32 v1, 0
	ds_read_b64 v[6:7], v1 offset:880
	v_cmp_lt_u32_e32 vcc, 52, v0
	s_waitcnt vmcnt(3)
	v_mov_b32_e32 v8, v3
	s_waitcnt lgkmcnt(0)
	v_pk_mul_f32 v[8:9], v[6:7], v[8:9] op_sel_hi:[1,0]
	s_waitcnt vmcnt(2)
	v_pk_fma_f32 v[10:11], v[6:7], v[2:3], v[8:9] op_sel:[0,0,1] op_sel_hi:[1,1,0] neg_lo:[0,0,1] neg_hi:[0,0,1]
	v_pk_fma_f32 v[2:3], v[6:7], v[2:3], v[8:9] op_sel:[0,0,1] op_sel_hi:[1,0,0]
	v_mov_b32_e32 v11, v3
	v_pk_add_f32 v[2:3], v[10:11], 0 op_sel_hi:[1,0]
	s_waitcnt vmcnt(0)
	v_pk_add_f32 v[2:3], v[4:5], v[2:3] neg_lo:[0,1] neg_hi:[0,1]
	buffer_store_dword v2, off, s[0:3], 0 offset:424
	buffer_store_dword v3, off, s[0:3], 0 offset:428
	s_and_saveexec_b64 s[4:5], vcc
	s_cbranch_execz .LBB118_239
; %bb.238:
	buffer_load_dword v2, off, s[0:3], 0 offset:416
	buffer_load_dword v3, off, s[0:3], 0 offset:420
	s_waitcnt vmcnt(0)
	ds_write_b64 v153, v[2:3]
	buffer_store_dword v1, off, s[0:3], 0 offset:416
	buffer_store_dword v1, off, s[0:3], 0 offset:420
.LBB118_239:
	s_or_b64 exec, exec, s[4:5]
	s_waitcnt lgkmcnt(0)
	; wave barrier
	s_waitcnt lgkmcnt(0)
	buffer_load_dword v7, off, s[0:3], 0 offset:428
	buffer_load_dword v9, off, s[0:3], 0 offset:436
	;; [unrolled: 1-line block ×6, first 2 shown]
	ds_read2_b64 v[2:5], v1 offset0:109 offset1:110
	v_cmp_lt_u32_e32 vcc, 51, v0
	s_waitcnt vmcnt(5)
	v_mov_b32_e32 v12, v7
	s_waitcnt vmcnt(4)
	v_mov_b32_e32 v14, v9
	s_waitcnt lgkmcnt(0)
	v_pk_mul_f32 v[12:13], v[2:3], v[12:13] op_sel_hi:[1,0]
	v_pk_mul_f32 v[14:15], v[4:5], v[14:15] op_sel_hi:[1,0]
	s_waitcnt vmcnt(3)
	v_pk_fma_f32 v[16:17], v[2:3], v[6:7], v[12:13] op_sel:[0,0,1] op_sel_hi:[1,1,0] neg_lo:[0,0,1] neg_hi:[0,0,1]
	v_pk_fma_f32 v[2:3], v[2:3], v[6:7], v[12:13] op_sel:[0,0,1] op_sel_hi:[1,0,0]
	s_waitcnt vmcnt(2)
	v_pk_fma_f32 v[6:7], v[4:5], v[8:9], v[14:15] op_sel:[0,0,1] op_sel_hi:[1,1,0] neg_lo:[0,0,1] neg_hi:[0,0,1]
	v_pk_fma_f32 v[4:5], v[4:5], v[8:9], v[14:15] op_sel:[0,0,1] op_sel_hi:[1,0,0]
	v_mov_b32_e32 v17, v3
	v_mov_b32_e32 v7, v5
	v_pk_add_f32 v[2:3], v[16:17], 0 op_sel_hi:[1,0]
	v_pk_add_f32 v[2:3], v[2:3], v[6:7]
	s_waitcnt vmcnt(0)
	v_pk_add_f32 v[2:3], v[10:11], v[2:3] neg_lo:[0,1] neg_hi:[0,1]
	buffer_store_dword v2, off, s[0:3], 0 offset:416
	buffer_store_dword v3, off, s[0:3], 0 offset:420
	s_and_saveexec_b64 s[4:5], vcc
	s_cbranch_execz .LBB118_241
; %bb.240:
	buffer_load_dword v2, off, s[0:3], 0 offset:408
	buffer_load_dword v3, off, s[0:3], 0 offset:412
	v_mov_b32_e32 v1, 0
	buffer_store_dword v1, off, s[0:3], 0 offset:408
	buffer_store_dword v1, off, s[0:3], 0 offset:412
	s_waitcnt vmcnt(2)
	ds_write_b64 v153, v[2:3]
.LBB118_241:
	s_or_b64 exec, exec, s[4:5]
	s_waitcnt lgkmcnt(0)
	; wave barrier
	s_waitcnt lgkmcnt(0)
	buffer_load_dword v7, off, s[0:3], 0 offset:420
	buffer_load_dword v9, off, s[0:3], 0 offset:428
	;; [unrolled: 1-line block ×8, first 2 shown]
	v_mov_b32_e32 v1, 0
	ds_read_b128 v[2:5], v1 offset:864
	ds_read_b64 v[14:15], v1 offset:880
	v_cmp_lt_u32_e32 vcc, 50, v0
	s_waitcnt vmcnt(7)
	v_mov_b32_e32 v16, v7
	s_waitcnt vmcnt(6)
	v_mov_b32_e32 v18, v9
	s_waitcnt lgkmcnt(1)
	v_pk_mul_f32 v[16:17], v[2:3], v[16:17] op_sel_hi:[1,0]
	s_waitcnt vmcnt(5)
	v_mov_b32_e32 v20, v11
	v_pk_mul_f32 v[18:19], v[4:5], v[18:19] op_sel_hi:[1,0]
	s_waitcnt vmcnt(4)
	v_pk_fma_f32 v[22:23], v[2:3], v[6:7], v[16:17] op_sel:[0,0,1] op_sel_hi:[1,1,0] neg_lo:[0,0,1] neg_hi:[0,0,1]
	v_pk_fma_f32 v[2:3], v[2:3], v[6:7], v[16:17] op_sel:[0,0,1] op_sel_hi:[1,0,0]
	s_waitcnt lgkmcnt(0)
	v_pk_mul_f32 v[20:21], v[14:15], v[20:21] op_sel_hi:[1,0]
	s_waitcnt vmcnt(3)
	v_pk_fma_f32 v[6:7], v[4:5], v[8:9], v[18:19] op_sel:[0,0,1] op_sel_hi:[1,1,0] neg_lo:[0,0,1] neg_hi:[0,0,1]
	v_pk_fma_f32 v[4:5], v[4:5], v[8:9], v[18:19] op_sel:[0,0,1] op_sel_hi:[1,0,0]
	v_mov_b32_e32 v23, v3
	s_waitcnt vmcnt(2)
	v_pk_fma_f32 v[8:9], v[14:15], v[10:11], v[20:21] op_sel:[0,0,1] op_sel_hi:[1,1,0] neg_lo:[0,0,1] neg_hi:[0,0,1]
	v_pk_fma_f32 v[10:11], v[14:15], v[10:11], v[20:21] op_sel:[0,0,1] op_sel_hi:[1,0,0]
	v_mov_b32_e32 v7, v5
	v_pk_add_f32 v[2:3], v[22:23], 0 op_sel_hi:[1,0]
	v_mov_b32_e32 v9, v11
	v_pk_add_f32 v[2:3], v[2:3], v[6:7]
	v_pk_add_f32 v[2:3], v[2:3], v[8:9]
	s_waitcnt vmcnt(0)
	v_pk_add_f32 v[2:3], v[12:13], v[2:3] neg_lo:[0,1] neg_hi:[0,1]
	buffer_store_dword v2, off, s[0:3], 0 offset:408
	buffer_store_dword v3, off, s[0:3], 0 offset:412
	s_and_saveexec_b64 s[4:5], vcc
	s_cbranch_execz .LBB118_243
; %bb.242:
	buffer_load_dword v2, off, s[0:3], 0 offset:400
	buffer_load_dword v3, off, s[0:3], 0 offset:404
	s_waitcnt vmcnt(0)
	ds_write_b64 v153, v[2:3]
	buffer_store_dword v1, off, s[0:3], 0 offset:400
	buffer_store_dword v1, off, s[0:3], 0 offset:404
.LBB118_243:
	s_or_b64 exec, exec, s[4:5]
	s_waitcnt lgkmcnt(0)
	; wave barrier
	s_waitcnt lgkmcnt(0)
	buffer_load_dword v11, off, s[0:3], 0 offset:412
	buffer_load_dword v13, off, s[0:3], 0 offset:420
	;; [unrolled: 1-line block ×10, first 2 shown]
	ds_read2_b64 v[2:5], v1 offset0:107 offset1:108
	ds_read2_b64 v[6:9], v1 offset0:109 offset1:110
	v_cmp_lt_u32_e32 vcc, 49, v0
	s_waitcnt vmcnt(9)
	v_mov_b32_e32 v20, v11
	s_waitcnt vmcnt(8)
	v_mov_b32_e32 v22, v13
	s_waitcnt lgkmcnt(1)
	v_pk_mul_f32 v[20:21], v[2:3], v[20:21] op_sel_hi:[1,0]
	s_waitcnt vmcnt(7)
	v_mov_b32_e32 v24, v15
	v_pk_mul_f32 v[22:23], v[4:5], v[22:23] op_sel_hi:[1,0]
	s_waitcnt vmcnt(5)
	v_pk_fma_f32 v[28:29], v[2:3], v[10:11], v[20:21] op_sel:[0,0,1] op_sel_hi:[1,1,0] neg_lo:[0,0,1] neg_hi:[0,0,1]
	v_pk_fma_f32 v[2:3], v[2:3], v[10:11], v[20:21] op_sel:[0,0,1] op_sel_hi:[1,0,0]
	v_mov_b32_e32 v26, v17
	s_waitcnt lgkmcnt(0)
	v_pk_mul_f32 v[24:25], v[6:7], v[24:25] op_sel_hi:[1,0]
	s_waitcnt vmcnt(4)
	v_pk_fma_f32 v[10:11], v[4:5], v[12:13], v[22:23] op_sel:[0,0,1] op_sel_hi:[1,1,0] neg_lo:[0,0,1] neg_hi:[0,0,1]
	v_pk_fma_f32 v[4:5], v[4:5], v[12:13], v[22:23] op_sel:[0,0,1] op_sel_hi:[1,0,0]
	v_mov_b32_e32 v29, v3
	v_pk_mul_f32 v[26:27], v[8:9], v[26:27] op_sel_hi:[1,0]
	s_waitcnt vmcnt(3)
	v_pk_fma_f32 v[12:13], v[6:7], v[14:15], v[24:25] op_sel:[0,0,1] op_sel_hi:[1,1,0] neg_lo:[0,0,1] neg_hi:[0,0,1]
	v_pk_fma_f32 v[6:7], v[6:7], v[14:15], v[24:25] op_sel:[0,0,1] op_sel_hi:[1,0,0]
	v_mov_b32_e32 v11, v5
	v_pk_add_f32 v[2:3], v[28:29], 0 op_sel_hi:[1,0]
	s_waitcnt vmcnt(2)
	v_pk_fma_f32 v[14:15], v[8:9], v[16:17], v[26:27] op_sel:[0,0,1] op_sel_hi:[1,1,0] neg_lo:[0,0,1] neg_hi:[0,0,1]
	v_pk_fma_f32 v[8:9], v[8:9], v[16:17], v[26:27] op_sel:[0,0,1] op_sel_hi:[1,0,0]
	v_mov_b32_e32 v13, v7
	v_pk_add_f32 v[2:3], v[2:3], v[10:11]
	v_mov_b32_e32 v15, v9
	v_pk_add_f32 v[2:3], v[2:3], v[12:13]
	v_pk_add_f32 v[2:3], v[2:3], v[14:15]
	s_waitcnt vmcnt(0)
	v_pk_add_f32 v[2:3], v[18:19], v[2:3] neg_lo:[0,1] neg_hi:[0,1]
	buffer_store_dword v2, off, s[0:3], 0 offset:400
	buffer_store_dword v3, off, s[0:3], 0 offset:404
	s_and_saveexec_b64 s[4:5], vcc
	s_cbranch_execz .LBB118_245
; %bb.244:
	buffer_load_dword v2, off, s[0:3], 0 offset:392
	buffer_load_dword v3, off, s[0:3], 0 offset:396
	v_mov_b32_e32 v1, 0
	buffer_store_dword v1, off, s[0:3], 0 offset:392
	buffer_store_dword v1, off, s[0:3], 0 offset:396
	s_waitcnt vmcnt(2)
	ds_write_b64 v153, v[2:3]
.LBB118_245:
	s_or_b64 exec, exec, s[4:5]
	s_waitcnt lgkmcnt(0)
	; wave barrier
	s_waitcnt lgkmcnt(0)
	buffer_load_dword v11, off, s[0:3], 0 offset:404
	buffer_load_dword v13, off, s[0:3], 0 offset:412
	;; [unrolled: 1-line block ×12, first 2 shown]
	v_mov_b32_e32 v1, 0
	ds_read_b128 v[2:5], v1 offset:848
	ds_read_b128 v[6:9], v1 offset:864
	ds_read_b64 v[22:23], v1 offset:880
	v_cmp_lt_u32_e32 vcc, 48, v0
	s_waitcnt vmcnt(11)
	v_mov_b32_e32 v24, v11
	s_waitcnt vmcnt(10)
	v_mov_b32_e32 v26, v13
	s_waitcnt lgkmcnt(2)
	v_pk_mul_f32 v[24:25], v[2:3], v[24:25] op_sel_hi:[1,0]
	s_waitcnt vmcnt(9)
	v_mov_b32_e32 v28, v15
	v_pk_mul_f32 v[26:27], v[4:5], v[26:27] op_sel_hi:[1,0]
	s_waitcnt vmcnt(6)
	v_pk_fma_f32 v[34:35], v[2:3], v[10:11], v[24:25] op_sel:[0,0,1] op_sel_hi:[1,1,0] neg_lo:[0,0,1] neg_hi:[0,0,1]
	v_pk_fma_f32 v[2:3], v[2:3], v[10:11], v[24:25] op_sel:[0,0,1] op_sel_hi:[1,0,0]
	v_mov_b32_e32 v30, v17
	s_waitcnt lgkmcnt(1)
	v_pk_mul_f32 v[28:29], v[6:7], v[28:29] op_sel_hi:[1,0]
	s_waitcnt vmcnt(5)
	v_pk_fma_f32 v[10:11], v[4:5], v[12:13], v[26:27] op_sel:[0,0,1] op_sel_hi:[1,1,0] neg_lo:[0,0,1] neg_hi:[0,0,1]
	v_pk_fma_f32 v[4:5], v[4:5], v[12:13], v[26:27] op_sel:[0,0,1] op_sel_hi:[1,0,0]
	v_mov_b32_e32 v35, v3
	v_mov_b32_e32 v32, v19
	v_pk_mul_f32 v[30:31], v[8:9], v[30:31] op_sel_hi:[1,0]
	s_waitcnt vmcnt(4)
	v_pk_fma_f32 v[12:13], v[6:7], v[14:15], v[28:29] op_sel:[0,0,1] op_sel_hi:[1,1,0] neg_lo:[0,0,1] neg_hi:[0,0,1]
	v_pk_fma_f32 v[6:7], v[6:7], v[14:15], v[28:29] op_sel:[0,0,1] op_sel_hi:[1,0,0]
	v_mov_b32_e32 v11, v5
	v_pk_add_f32 v[2:3], v[34:35], 0 op_sel_hi:[1,0]
	s_waitcnt lgkmcnt(0)
	v_pk_mul_f32 v[32:33], v[22:23], v[32:33] op_sel_hi:[1,0]
	s_waitcnt vmcnt(3)
	v_pk_fma_f32 v[14:15], v[8:9], v[16:17], v[30:31] op_sel:[0,0,1] op_sel_hi:[1,1,0] neg_lo:[0,0,1] neg_hi:[0,0,1]
	v_pk_fma_f32 v[8:9], v[8:9], v[16:17], v[30:31] op_sel:[0,0,1] op_sel_hi:[1,0,0]
	v_mov_b32_e32 v13, v7
	v_pk_add_f32 v[2:3], v[2:3], v[10:11]
	s_waitcnt vmcnt(2)
	v_pk_fma_f32 v[16:17], v[22:23], v[18:19], v[32:33] op_sel:[0,0,1] op_sel_hi:[1,1,0] neg_lo:[0,0,1] neg_hi:[0,0,1]
	v_pk_fma_f32 v[18:19], v[22:23], v[18:19], v[32:33] op_sel:[0,0,1] op_sel_hi:[1,0,0]
	v_mov_b32_e32 v15, v9
	v_pk_add_f32 v[2:3], v[2:3], v[12:13]
	v_mov_b32_e32 v17, v19
	v_pk_add_f32 v[2:3], v[2:3], v[14:15]
	v_pk_add_f32 v[2:3], v[2:3], v[16:17]
	s_waitcnt vmcnt(0)
	v_pk_add_f32 v[2:3], v[20:21], v[2:3] neg_lo:[0,1] neg_hi:[0,1]
	buffer_store_dword v2, off, s[0:3], 0 offset:392
	buffer_store_dword v3, off, s[0:3], 0 offset:396
	s_and_saveexec_b64 s[4:5], vcc
	s_cbranch_execz .LBB118_247
; %bb.246:
	buffer_load_dword v2, off, s[0:3], 0 offset:384
	buffer_load_dword v3, off, s[0:3], 0 offset:388
	s_waitcnt vmcnt(0)
	ds_write_b64 v153, v[2:3]
	buffer_store_dword v1, off, s[0:3], 0 offset:384
	buffer_store_dword v1, off, s[0:3], 0 offset:388
.LBB118_247:
	s_or_b64 exec, exec, s[4:5]
	s_waitcnt lgkmcnt(0)
	; wave barrier
	s_waitcnt lgkmcnt(0)
	buffer_load_dword v15, off, s[0:3], 0 offset:396
	buffer_load_dword v17, off, s[0:3], 0 offset:404
	;; [unrolled: 1-line block ×14, first 2 shown]
	ds_read2_b64 v[2:5], v1 offset0:105 offset1:106
	ds_read2_b64 v[6:9], v1 offset0:107 offset1:108
	ds_read2_b64 v[10:13], v1 offset0:109 offset1:110
	v_cmp_lt_u32_e32 vcc, 47, v0
	s_waitcnt vmcnt(13)
	v_mov_b32_e32 v28, v15
	s_waitcnt vmcnt(12)
	v_mov_b32_e32 v30, v17
	s_waitcnt lgkmcnt(2)
	v_pk_mul_f32 v[28:29], v[2:3], v[28:29] op_sel_hi:[1,0]
	s_waitcnt vmcnt(11)
	v_mov_b32_e32 v32, v19
	v_pk_mul_f32 v[30:31], v[4:5], v[30:31] op_sel_hi:[1,0]
	s_waitcnt vmcnt(10)
	v_mov_b32_e32 v34, v21
	s_waitcnt vmcnt(7)
	v_pk_fma_f32 v[40:41], v[2:3], v[14:15], v[28:29] op_sel:[0,0,1] op_sel_hi:[1,1,0] neg_lo:[0,0,1] neg_hi:[0,0,1]
	v_pk_fma_f32 v[2:3], v[2:3], v[14:15], v[28:29] op_sel:[0,0,1] op_sel_hi:[1,0,0]
	s_waitcnt lgkmcnt(1)
	v_pk_mul_f32 v[32:33], v[6:7], v[32:33] op_sel_hi:[1,0]
	s_waitcnt vmcnt(6)
	v_pk_fma_f32 v[14:15], v[4:5], v[16:17], v[30:31] op_sel:[0,0,1] op_sel_hi:[1,1,0] neg_lo:[0,0,1] neg_hi:[0,0,1]
	v_pk_fma_f32 v[4:5], v[4:5], v[16:17], v[30:31] op_sel:[0,0,1] op_sel_hi:[1,0,0]
	v_mov_b32_e32 v41, v3
	v_mov_b32_e32 v36, v23
	v_pk_mul_f32 v[34:35], v[8:9], v[34:35] op_sel_hi:[1,0]
	s_waitcnt vmcnt(5)
	v_pk_fma_f32 v[16:17], v[6:7], v[18:19], v[32:33] op_sel:[0,0,1] op_sel_hi:[1,1,0] neg_lo:[0,0,1] neg_hi:[0,0,1]
	v_pk_fma_f32 v[6:7], v[6:7], v[18:19], v[32:33] op_sel:[0,0,1] op_sel_hi:[1,0,0]
	v_mov_b32_e32 v15, v5
	v_pk_add_f32 v[2:3], v[40:41], 0 op_sel_hi:[1,0]
	v_mov_b32_e32 v38, v25
	s_waitcnt lgkmcnt(0)
	v_pk_mul_f32 v[36:37], v[10:11], v[36:37] op_sel_hi:[1,0]
	s_waitcnt vmcnt(4)
	v_pk_fma_f32 v[18:19], v[8:9], v[20:21], v[34:35] op_sel:[0,0,1] op_sel_hi:[1,1,0] neg_lo:[0,0,1] neg_hi:[0,0,1]
	v_pk_fma_f32 v[8:9], v[8:9], v[20:21], v[34:35] op_sel:[0,0,1] op_sel_hi:[1,0,0]
	v_mov_b32_e32 v17, v7
	v_pk_add_f32 v[2:3], v[2:3], v[14:15]
	v_pk_mul_f32 v[38:39], v[12:13], v[38:39] op_sel_hi:[1,0]
	s_waitcnt vmcnt(3)
	v_pk_fma_f32 v[20:21], v[10:11], v[22:23], v[36:37] op_sel:[0,0,1] op_sel_hi:[1,1,0] neg_lo:[0,0,1] neg_hi:[0,0,1]
	v_pk_fma_f32 v[10:11], v[10:11], v[22:23], v[36:37] op_sel:[0,0,1] op_sel_hi:[1,0,0]
	v_mov_b32_e32 v19, v9
	v_pk_add_f32 v[2:3], v[2:3], v[16:17]
	s_waitcnt vmcnt(2)
	v_pk_fma_f32 v[22:23], v[12:13], v[24:25], v[38:39] op_sel:[0,0,1] op_sel_hi:[1,1,0] neg_lo:[0,0,1] neg_hi:[0,0,1]
	v_pk_fma_f32 v[12:13], v[12:13], v[24:25], v[38:39] op_sel:[0,0,1] op_sel_hi:[1,0,0]
	v_mov_b32_e32 v21, v11
	v_pk_add_f32 v[2:3], v[2:3], v[18:19]
	v_mov_b32_e32 v23, v13
	v_pk_add_f32 v[2:3], v[2:3], v[20:21]
	v_pk_add_f32 v[2:3], v[2:3], v[22:23]
	s_waitcnt vmcnt(0)
	v_pk_add_f32 v[2:3], v[26:27], v[2:3] neg_lo:[0,1] neg_hi:[0,1]
	buffer_store_dword v2, off, s[0:3], 0 offset:384
	buffer_store_dword v3, off, s[0:3], 0 offset:388
	s_and_saveexec_b64 s[4:5], vcc
	s_cbranch_execz .LBB118_249
; %bb.248:
	buffer_load_dword v2, off, s[0:3], 0 offset:376
	buffer_load_dword v3, off, s[0:3], 0 offset:380
	v_mov_b32_e32 v1, 0
	buffer_store_dword v1, off, s[0:3], 0 offset:376
	buffer_store_dword v1, off, s[0:3], 0 offset:380
	s_waitcnt vmcnt(2)
	ds_write_b64 v153, v[2:3]
.LBB118_249:
	s_or_b64 exec, exec, s[4:5]
	s_waitcnt lgkmcnt(0)
	; wave barrier
	s_waitcnt lgkmcnt(0)
	buffer_load_dword v15, off, s[0:3], 0 offset:388
	buffer_load_dword v17, off, s[0:3], 0 offset:396
	;; [unrolled: 1-line block ×16, first 2 shown]
	v_mov_b32_e32 v1, 0
	ds_read_b128 v[2:5], v1 offset:832
	ds_read_b128 v[6:9], v1 offset:848
	;; [unrolled: 1-line block ×3, first 2 shown]
	ds_read_b64 v[30:31], v1 offset:880
	v_cmp_lt_u32_e32 vcc, 46, v0
	s_waitcnt vmcnt(15)
	v_mov_b32_e32 v32, v15
	s_waitcnt vmcnt(14)
	v_mov_b32_e32 v34, v17
	s_waitcnt lgkmcnt(3)
	v_pk_mul_f32 v[32:33], v[2:3], v[32:33] op_sel_hi:[1,0]
	s_waitcnt vmcnt(13)
	v_mov_b32_e32 v36, v19
	v_pk_mul_f32 v[34:35], v[4:5], v[34:35] op_sel_hi:[1,0]
	s_waitcnt vmcnt(12)
	v_mov_b32_e32 v38, v21
	s_waitcnt lgkmcnt(2)
	v_pk_mul_f32 v[36:37], v[6:7], v[36:37] op_sel_hi:[1,0]
	s_waitcnt vmcnt(8)
	v_pk_fma_f32 v[46:47], v[2:3], v[14:15], v[32:33] op_sel:[0,0,1] op_sel_hi:[1,1,0] neg_lo:[0,0,1] neg_hi:[0,0,1]
	v_pk_fma_f32 v[2:3], v[2:3], v[14:15], v[32:33] op_sel:[0,0,1] op_sel_hi:[1,0,0]
	s_waitcnt vmcnt(7)
	v_pk_fma_f32 v[14:15], v[4:5], v[16:17], v[34:35] op_sel:[0,0,1] op_sel_hi:[1,1,0] neg_lo:[0,0,1] neg_hi:[0,0,1]
	v_pk_fma_f32 v[4:5], v[4:5], v[16:17], v[34:35] op_sel:[0,0,1] op_sel_hi:[1,0,0]
	v_mov_b32_e32 v47, v3
	v_mov_b32_e32 v40, v23
	v_pk_mul_f32 v[38:39], v[8:9], v[38:39] op_sel_hi:[1,0]
	s_waitcnt vmcnt(6)
	v_pk_fma_f32 v[16:17], v[6:7], v[18:19], v[36:37] op_sel:[0,0,1] op_sel_hi:[1,1,0] neg_lo:[0,0,1] neg_hi:[0,0,1]
	v_pk_fma_f32 v[6:7], v[6:7], v[18:19], v[36:37] op_sel:[0,0,1] op_sel_hi:[1,0,0]
	v_mov_b32_e32 v15, v5
	v_pk_add_f32 v[2:3], v[46:47], 0 op_sel_hi:[1,0]
	v_mov_b32_e32 v42, v25
	s_waitcnt lgkmcnt(1)
	v_pk_mul_f32 v[40:41], v[10:11], v[40:41] op_sel_hi:[1,0]
	s_waitcnt vmcnt(5)
	v_pk_fma_f32 v[18:19], v[8:9], v[20:21], v[38:39] op_sel:[0,0,1] op_sel_hi:[1,1,0] neg_lo:[0,0,1] neg_hi:[0,0,1]
	v_pk_fma_f32 v[8:9], v[8:9], v[20:21], v[38:39] op_sel:[0,0,1] op_sel_hi:[1,0,0]
	v_mov_b32_e32 v17, v7
	v_pk_add_f32 v[2:3], v[2:3], v[14:15]
	v_mov_b32_e32 v44, v27
	v_pk_mul_f32 v[42:43], v[12:13], v[42:43] op_sel_hi:[1,0]
	s_waitcnt vmcnt(4)
	v_pk_fma_f32 v[20:21], v[10:11], v[22:23], v[40:41] op_sel:[0,0,1] op_sel_hi:[1,1,0] neg_lo:[0,0,1] neg_hi:[0,0,1]
	v_pk_fma_f32 v[10:11], v[10:11], v[22:23], v[40:41] op_sel:[0,0,1] op_sel_hi:[1,0,0]
	v_mov_b32_e32 v19, v9
	v_pk_add_f32 v[2:3], v[2:3], v[16:17]
	s_waitcnt lgkmcnt(0)
	v_pk_mul_f32 v[44:45], v[30:31], v[44:45] op_sel_hi:[1,0]
	s_waitcnt vmcnt(3)
	v_pk_fma_f32 v[22:23], v[12:13], v[24:25], v[42:43] op_sel:[0,0,1] op_sel_hi:[1,1,0] neg_lo:[0,0,1] neg_hi:[0,0,1]
	v_pk_fma_f32 v[12:13], v[12:13], v[24:25], v[42:43] op_sel:[0,0,1] op_sel_hi:[1,0,0]
	v_mov_b32_e32 v21, v11
	v_pk_add_f32 v[2:3], v[2:3], v[18:19]
	s_waitcnt vmcnt(2)
	v_pk_fma_f32 v[24:25], v[30:31], v[26:27], v[44:45] op_sel:[0,0,1] op_sel_hi:[1,1,0] neg_lo:[0,0,1] neg_hi:[0,0,1]
	v_pk_fma_f32 v[26:27], v[30:31], v[26:27], v[44:45] op_sel:[0,0,1] op_sel_hi:[1,0,0]
	v_mov_b32_e32 v23, v13
	v_pk_add_f32 v[2:3], v[2:3], v[20:21]
	v_mov_b32_e32 v25, v27
	v_pk_add_f32 v[2:3], v[2:3], v[22:23]
	v_pk_add_f32 v[2:3], v[2:3], v[24:25]
	s_waitcnt vmcnt(0)
	v_pk_add_f32 v[2:3], v[28:29], v[2:3] neg_lo:[0,1] neg_hi:[0,1]
	buffer_store_dword v2, off, s[0:3], 0 offset:376
	buffer_store_dword v3, off, s[0:3], 0 offset:380
	s_and_saveexec_b64 s[4:5], vcc
	s_cbranch_execz .LBB118_251
; %bb.250:
	buffer_load_dword v2, off, s[0:3], 0 offset:368
	buffer_load_dword v3, off, s[0:3], 0 offset:372
	s_waitcnt vmcnt(0)
	ds_write_b64 v153, v[2:3]
	buffer_store_dword v1, off, s[0:3], 0 offset:368
	buffer_store_dword v1, off, s[0:3], 0 offset:372
.LBB118_251:
	s_or_b64 exec, exec, s[4:5]
	s_waitcnt lgkmcnt(0)
	; wave barrier
	s_waitcnt lgkmcnt(0)
	buffer_load_dword v19, off, s[0:3], 0 offset:380
	buffer_load_dword v21, off, s[0:3], 0 offset:388
	;; [unrolled: 1-line block ×18, first 2 shown]
	ds_read2_b64 v[2:5], v1 offset0:103 offset1:104
	ds_read2_b64 v[6:9], v1 offset0:105 offset1:106
	;; [unrolled: 1-line block ×4, first 2 shown]
	v_cmp_lt_u32_e32 vcc, 45, v0
	s_waitcnt vmcnt(17)
	v_mov_b32_e32 v36, v19
	s_waitcnt vmcnt(16)
	v_mov_b32_e32 v38, v21
	s_waitcnt lgkmcnt(3)
	v_pk_mul_f32 v[36:37], v[2:3], v[36:37] op_sel_hi:[1,0]
	s_waitcnt vmcnt(15)
	v_mov_b32_e32 v40, v23
	v_pk_mul_f32 v[38:39], v[4:5], v[38:39] op_sel_hi:[1,0]
	s_waitcnt vmcnt(14)
	v_mov_b32_e32 v42, v25
	s_waitcnt lgkmcnt(2)
	v_pk_mul_f32 v[40:41], v[6:7], v[40:41] op_sel_hi:[1,0]
	s_waitcnt vmcnt(13)
	v_mov_b32_e32 v44, v27
	s_waitcnt vmcnt(9)
	v_pk_fma_f32 v[52:53], v[2:3], v[18:19], v[36:37] op_sel:[0,0,1] op_sel_hi:[1,1,0] neg_lo:[0,0,1] neg_hi:[0,0,1]
	v_pk_fma_f32 v[2:3], v[2:3], v[18:19], v[36:37] op_sel:[0,0,1] op_sel_hi:[1,0,0]
	s_waitcnt vmcnt(8)
	v_pk_fma_f32 v[18:19], v[4:5], v[20:21], v[38:39] op_sel:[0,0,1] op_sel_hi:[1,1,0] neg_lo:[0,0,1] neg_hi:[0,0,1]
	v_pk_fma_f32 v[4:5], v[4:5], v[20:21], v[38:39] op_sel:[0,0,1] op_sel_hi:[1,0,0]
	v_mov_b32_e32 v53, v3
	v_pk_mul_f32 v[42:43], v[8:9], v[42:43] op_sel_hi:[1,0]
	s_waitcnt vmcnt(7)
	v_pk_fma_f32 v[20:21], v[6:7], v[22:23], v[40:41] op_sel:[0,0,1] op_sel_hi:[1,1,0] neg_lo:[0,0,1] neg_hi:[0,0,1]
	v_pk_fma_f32 v[6:7], v[6:7], v[22:23], v[40:41] op_sel:[0,0,1] op_sel_hi:[1,0,0]
	v_mov_b32_e32 v19, v5
	v_pk_add_f32 v[2:3], v[52:53], 0 op_sel_hi:[1,0]
	v_mov_b32_e32 v46, v29
	s_waitcnt lgkmcnt(1)
	v_pk_mul_f32 v[44:45], v[10:11], v[44:45] op_sel_hi:[1,0]
	s_waitcnt vmcnt(6)
	v_pk_fma_f32 v[22:23], v[8:9], v[24:25], v[42:43] op_sel:[0,0,1] op_sel_hi:[1,1,0] neg_lo:[0,0,1] neg_hi:[0,0,1]
	v_pk_fma_f32 v[8:9], v[8:9], v[24:25], v[42:43] op_sel:[0,0,1] op_sel_hi:[1,0,0]
	v_mov_b32_e32 v21, v7
	v_pk_add_f32 v[2:3], v[2:3], v[18:19]
	v_mov_b32_e32 v48, v31
	v_pk_mul_f32 v[46:47], v[12:13], v[46:47] op_sel_hi:[1,0]
	s_waitcnt vmcnt(5)
	v_pk_fma_f32 v[24:25], v[10:11], v[26:27], v[44:45] op_sel:[0,0,1] op_sel_hi:[1,1,0] neg_lo:[0,0,1] neg_hi:[0,0,1]
	v_pk_fma_f32 v[10:11], v[10:11], v[26:27], v[44:45] op_sel:[0,0,1] op_sel_hi:[1,0,0]
	v_mov_b32_e32 v23, v9
	v_pk_add_f32 v[2:3], v[2:3], v[20:21]
	v_mov_b32_e32 v50, v33
	s_waitcnt lgkmcnt(0)
	v_pk_mul_f32 v[48:49], v[14:15], v[48:49] op_sel_hi:[1,0]
	s_waitcnt vmcnt(4)
	v_pk_fma_f32 v[26:27], v[12:13], v[28:29], v[46:47] op_sel:[0,0,1] op_sel_hi:[1,1,0] neg_lo:[0,0,1] neg_hi:[0,0,1]
	v_pk_fma_f32 v[12:13], v[12:13], v[28:29], v[46:47] op_sel:[0,0,1] op_sel_hi:[1,0,0]
	v_mov_b32_e32 v25, v11
	v_pk_add_f32 v[2:3], v[2:3], v[22:23]
	v_pk_mul_f32 v[50:51], v[16:17], v[50:51] op_sel_hi:[1,0]
	s_waitcnt vmcnt(3)
	v_pk_fma_f32 v[28:29], v[14:15], v[30:31], v[48:49] op_sel:[0,0,1] op_sel_hi:[1,1,0] neg_lo:[0,0,1] neg_hi:[0,0,1]
	v_pk_fma_f32 v[14:15], v[14:15], v[30:31], v[48:49] op_sel:[0,0,1] op_sel_hi:[1,0,0]
	v_mov_b32_e32 v27, v13
	v_pk_add_f32 v[2:3], v[2:3], v[24:25]
	s_waitcnt vmcnt(2)
	v_pk_fma_f32 v[30:31], v[16:17], v[32:33], v[50:51] op_sel:[0,0,1] op_sel_hi:[1,1,0] neg_lo:[0,0,1] neg_hi:[0,0,1]
	v_pk_fma_f32 v[16:17], v[16:17], v[32:33], v[50:51] op_sel:[0,0,1] op_sel_hi:[1,0,0]
	v_mov_b32_e32 v29, v15
	v_pk_add_f32 v[2:3], v[2:3], v[26:27]
	v_mov_b32_e32 v31, v17
	v_pk_add_f32 v[2:3], v[2:3], v[28:29]
	v_pk_add_f32 v[2:3], v[2:3], v[30:31]
	s_waitcnt vmcnt(0)
	v_pk_add_f32 v[2:3], v[34:35], v[2:3] neg_lo:[0,1] neg_hi:[0,1]
	buffer_store_dword v2, off, s[0:3], 0 offset:368
	buffer_store_dword v3, off, s[0:3], 0 offset:372
	s_and_saveexec_b64 s[4:5], vcc
	s_cbranch_execz .LBB118_253
; %bb.252:
	buffer_load_dword v2, off, s[0:3], 0 offset:360
	buffer_load_dword v3, off, s[0:3], 0 offset:364
	v_mov_b32_e32 v1, 0
	buffer_store_dword v1, off, s[0:3], 0 offset:360
	buffer_store_dword v1, off, s[0:3], 0 offset:364
	s_waitcnt vmcnt(2)
	ds_write_b64 v153, v[2:3]
.LBB118_253:
	s_or_b64 exec, exec, s[4:5]
	s_waitcnt lgkmcnt(0)
	; wave barrier
	s_waitcnt lgkmcnt(0)
	buffer_load_dword v38, off, s[0:3], 0 offset:372
	buffer_load_dword v19, off, s[0:3], 0 offset:380
	;; [unrolled: 1-line block ×20, first 2 shown]
	v_mov_b32_e32 v1, 0
	ds_read_b128 v[2:5], v1 offset:816
	ds_read_b128 v[6:9], v1 offset:832
	;; [unrolled: 1-line block ×4, first 2 shown]
	ds_read_b64 v[36:37], v1 offset:880
	v_cmp_lt_u32_e32 vcc, 44, v0
	s_waitcnt vmcnt(19) lgkmcnt(4)
	v_mul_f32_e32 v39, v2, v38
	v_mul_f32_e32 v38, v3, v38
	s_waitcnt vmcnt(18)
	v_mov_b32_e32 v40, v19
	s_waitcnt vmcnt(17)
	v_mov_b32_e32 v42, v21
	;; [unrolled: 2-line block ×8, first 2 shown]
	s_waitcnt vmcnt(10)
	v_fmac_f32_e32 v39, v3, v41
	v_fma_f32 v38, v2, v41, -v38
	v_pk_mul_f32 v[2:3], v[4:5], v[40:41] op_sel_hi:[1,0]
	s_waitcnt lgkmcnt(3)
	v_pk_mul_f32 v[40:41], v[6:7], v[42:43] op_sel_hi:[1,0]
	v_pk_mul_f32 v[42:43], v[8:9], v[44:45] op_sel_hi:[1,0]
	s_waitcnt lgkmcnt(2)
	v_pk_mul_f32 v[44:45], v[10:11], v[46:47] op_sel_hi:[1,0]
	;; [unrolled: 3-line block ×4, first 2 shown]
	s_waitcnt vmcnt(9)
	v_pk_fma_f32 v[54:55], v[4:5], v[18:19], v[2:3] op_sel:[0,0,1] op_sel_hi:[1,1,0] neg_lo:[0,0,1] neg_hi:[0,0,1]
	v_pk_fma_f32 v[2:3], v[4:5], v[18:19], v[2:3] op_sel:[0,0,1] op_sel_hi:[1,0,0]
	v_pk_add_f32 v[38:39], v[38:39], 0 op_sel_hi:[1,0]
	s_waitcnt vmcnt(8)
	v_pk_fma_f32 v[4:5], v[6:7], v[20:21], v[40:41] op_sel:[0,0,1] op_sel_hi:[1,1,0] neg_lo:[0,0,1] neg_hi:[0,0,1]
	v_pk_fma_f32 v[6:7], v[6:7], v[20:21], v[40:41] op_sel:[0,0,1] op_sel_hi:[1,0,0]
	v_mov_b32_e32 v55, v3
	s_waitcnt vmcnt(7)
	v_pk_fma_f32 v[18:19], v[8:9], v[22:23], v[42:43] op_sel:[0,0,1] op_sel_hi:[1,1,0] neg_lo:[0,0,1] neg_hi:[0,0,1]
	v_pk_fma_f32 v[8:9], v[8:9], v[22:23], v[42:43] op_sel:[0,0,1] op_sel_hi:[1,0,0]
	v_mov_b32_e32 v5, v7
	v_pk_add_f32 v[2:3], v[38:39], v[54:55]
	s_waitcnt vmcnt(6)
	v_pk_fma_f32 v[20:21], v[10:11], v[24:25], v[44:45] op_sel:[0,0,1] op_sel_hi:[1,1,0] neg_lo:[0,0,1] neg_hi:[0,0,1]
	v_pk_fma_f32 v[10:11], v[10:11], v[24:25], v[44:45] op_sel:[0,0,1] op_sel_hi:[1,0,0]
	v_mov_b32_e32 v19, v9
	v_pk_add_f32 v[2:3], v[2:3], v[4:5]
	;; [unrolled: 5-line block ×5, first 2 shown]
	v_pk_fma_f32 v[28:29], v[36:37], v[32:33], v[52:53] op_sel:[0,0,1] op_sel_hi:[1,1,0] neg_lo:[0,0,1] neg_hi:[0,0,1]
	v_pk_fma_f32 v[30:31], v[36:37], v[32:33], v[52:53] op_sel:[0,0,1] op_sel_hi:[1,0,0]
	v_mov_b32_e32 v27, v17
	v_pk_add_f32 v[2:3], v[2:3], v[24:25]
	v_mov_b32_e32 v29, v31
	v_pk_add_f32 v[2:3], v[2:3], v[26:27]
	v_pk_add_f32 v[2:3], v[2:3], v[28:29]
	s_waitcnt vmcnt(0)
	v_pk_add_f32 v[2:3], v[34:35], v[2:3] neg_lo:[0,1] neg_hi:[0,1]
	buffer_store_dword v2, off, s[0:3], 0 offset:360
	buffer_store_dword v3, off, s[0:3], 0 offset:364
	s_and_saveexec_b64 s[4:5], vcc
	s_cbranch_execz .LBB118_255
; %bb.254:
	buffer_load_dword v2, off, s[0:3], 0 offset:352
	buffer_load_dword v3, off, s[0:3], 0 offset:356
	s_waitcnt vmcnt(0)
	ds_write_b64 v153, v[2:3]
	buffer_store_dword v1, off, s[0:3], 0 offset:352
	buffer_store_dword v1, off, s[0:3], 0 offset:356
.LBB118_255:
	s_or_b64 exec, exec, s[4:5]
	s_waitcnt lgkmcnt(0)
	; wave barrier
	s_waitcnt lgkmcnt(0)
	buffer_load_dword v40, off, s[0:3], 0 offset:364
	buffer_load_dword v42, off, s[0:3], 0 offset:372
	;; [unrolled: 1-line block ×22, first 2 shown]
	ds_read2_b64 v[2:5], v1 offset0:101 offset1:102
	ds_read2_b64 v[6:9], v1 offset0:103 offset1:104
	;; [unrolled: 1-line block ×5, first 2 shown]
	v_cmp_lt_u32_e32 vcc, 43, v0
	s_waitcnt vmcnt(21) lgkmcnt(4)
	v_mul_f32_e32 v41, v2, v40
	v_mul_f32_e32 v1, v3, v40
	s_waitcnt vmcnt(19)
	v_mov_b32_e32 v44, v23
	v_mul_f32_e32 v43, v4, v42
	v_mul_f32_e32 v42, v5, v42
	s_waitcnt vmcnt(18)
	v_mov_b32_e32 v46, v25
	s_waitcnt vmcnt(17)
	v_mov_b32_e32 v48, v27
	;; [unrolled: 2-line block ×6, first 2 shown]
	s_waitcnt vmcnt(11)
	v_fmac_f32_e32 v41, v3, v45
	v_fma_f32 v40, v2, v45, -v1
	s_waitcnt lgkmcnt(3)
	v_pk_mul_f32 v[2:3], v[6:7], v[44:45] op_sel_hi:[1,0]
	s_waitcnt vmcnt(10)
	v_fmac_f32_e32 v43, v5, v47
	v_fma_f32 v42, v4, v47, -v42
	v_pk_mul_f32 v[4:5], v[8:9], v[46:47] op_sel_hi:[1,0]
	s_waitcnt lgkmcnt(2)
	v_pk_mul_f32 v[44:45], v[10:11], v[48:49] op_sel_hi:[1,0]
	v_pk_mul_f32 v[46:47], v[12:13], v[50:51] op_sel_hi:[1,0]
	s_waitcnt lgkmcnt(1)
	v_pk_mul_f32 v[48:49], v[14:15], v[52:53] op_sel_hi:[1,0]
	;; [unrolled: 3-line block ×3, first 2 shown]
	v_pk_add_f32 v[40:41], v[40:41], 0 op_sel_hi:[1,0]
	s_waitcnt vmcnt(9)
	v_pk_fma_f32 v[56:57], v[6:7], v[22:23], v[2:3] op_sel:[0,0,1] op_sel_hi:[1,1,0] neg_lo:[0,0,1] neg_hi:[0,0,1]
	v_pk_fma_f32 v[2:3], v[6:7], v[22:23], v[2:3] op_sel:[0,0,1] op_sel_hi:[1,0,0]
	s_waitcnt vmcnt(8)
	v_pk_fma_f32 v[6:7], v[8:9], v[24:25], v[4:5] op_sel:[0,0,1] op_sel_hi:[1,1,0] neg_lo:[0,0,1] neg_hi:[0,0,1]
	v_pk_fma_f32 v[4:5], v[8:9], v[24:25], v[4:5] op_sel:[0,0,1] op_sel_hi:[1,0,0]
	;; [unrolled: 3-line block ×4, first 2 shown]
	v_pk_add_f32 v[32:33], v[40:41], v[42:43]
	v_mov_b32_e32 v57, v3
	v_mov_b32_e32 v7, v5
	v_pk_add_f32 v[2:3], v[32:33], v[56:57]
	v_pk_fma_f32 v[22:23], v[12:13], v[28:29], v[46:47] op_sel:[0,0,1] op_sel_hi:[1,1,0] neg_lo:[0,0,1] neg_hi:[0,0,1]
	v_pk_fma_f32 v[12:13], v[12:13], v[28:29], v[46:47] op_sel:[0,0,1] op_sel_hi:[1,0,0]
	v_mov_b32_e32 v9, v11
	v_pk_add_f32 v[2:3], v[2:3], v[6:7]
	v_pk_fma_f32 v[24:25], v[14:15], v[30:31], v[48:49] op_sel:[0,0,1] op_sel_hi:[1,1,0] neg_lo:[0,0,1] neg_hi:[0,0,1]
	v_pk_fma_f32 v[14:15], v[14:15], v[30:31], v[48:49] op_sel:[0,0,1] op_sel_hi:[1,0,0]
	v_mov_b32_e32 v23, v13
	v_pk_add_f32 v[2:3], v[2:3], v[8:9]
	v_mov_b32_e32 v58, v37
	v_mov_b32_e32 v25, v15
	v_pk_add_f32 v[2:3], v[2:3], v[22:23]
	v_pk_mul_f32 v[54:55], v[20:21], v[58:59] op_sel_hi:[1,0]
	v_pk_fma_f32 v[28:29], v[18:19], v[34:35], v[52:53] op_sel:[0,0,1] op_sel_hi:[1,1,0] neg_lo:[0,0,1] neg_hi:[0,0,1]
	v_pk_fma_f32 v[18:19], v[18:19], v[34:35], v[52:53] op_sel:[0,0,1] op_sel_hi:[1,0,0]
	v_mov_b32_e32 v27, v17
	v_pk_add_f32 v[2:3], v[2:3], v[24:25]
	v_pk_fma_f32 v[30:31], v[20:21], v[36:37], v[54:55] op_sel:[0,0,1] op_sel_hi:[1,1,0] neg_lo:[0,0,1] neg_hi:[0,0,1]
	v_pk_fma_f32 v[20:21], v[20:21], v[36:37], v[54:55] op_sel:[0,0,1] op_sel_hi:[1,0,0]
	v_mov_b32_e32 v29, v19
	v_pk_add_f32 v[2:3], v[2:3], v[26:27]
	v_mov_b32_e32 v31, v21
	v_pk_add_f32 v[2:3], v[2:3], v[28:29]
	v_pk_add_f32 v[2:3], v[2:3], v[30:31]
	s_waitcnt vmcnt(0)
	v_pk_add_f32 v[2:3], v[38:39], v[2:3] neg_lo:[0,1] neg_hi:[0,1]
	buffer_store_dword v2, off, s[0:3], 0 offset:352
	buffer_store_dword v3, off, s[0:3], 0 offset:356
	s_and_saveexec_b64 s[4:5], vcc
	s_cbranch_execz .LBB118_257
; %bb.256:
	buffer_load_dword v2, off, s[0:3], 0 offset:344
	buffer_load_dword v3, off, s[0:3], 0 offset:348
	v_mov_b32_e32 v1, 0
	buffer_store_dword v1, off, s[0:3], 0 offset:344
	buffer_store_dword v1, off, s[0:3], 0 offset:348
	s_waitcnt vmcnt(2)
	ds_write_b64 v153, v[2:3]
.LBB118_257:
	s_or_b64 exec, exec, s[4:5]
	v_mov_b32_e32 v1, 0
	s_waitcnt lgkmcnt(0)
	; wave barrier
	s_waitcnt lgkmcnt(0)
	ds_read_b128 v[4:7], v1 offset:800
	ds_read_b128 v[8:11], v1 offset:816
	;; [unrolled: 1-line block ×4, first 2 shown]
	buffer_load_dword v2, off, s[0:3], 0 offset:344
	buffer_load_dword v3, off, s[0:3], 0 offset:348
	;; [unrolled: 1-line block ×24, first 2 shown]
	v_cmp_lt_u32_e32 vcc, 42, v0
	s_waitcnt vmcnt(20) lgkmcnt(3)
	v_mul_f32_e32 v29, v4, v30
	v_fmac_f32_e32 v29, v5, v28
	v_mul_f32_e32 v5, v5, v30
	v_fma_f32 v4, v4, v28, -v5
	s_waitcnt vmcnt(18)
	v_mul_f32_e32 v31, v6, v42
	v_add_f32_e32 v28, 0, v4
	v_mul_f32_e32 v4, v7, v42
	v_add_f32_e32 v29, 0, v29
	v_fmac_f32_e32 v31, v7, v32
	v_fma_f32 v30, v6, v32, -v4
	s_waitcnt vmcnt(16) lgkmcnt(2)
	v_mul_f32_e32 v33, v8, v44
	v_mul_f32_e32 v4, v9, v44
	v_pk_add_f32 v[28:29], v[28:29], v[30:31]
	s_waitcnt vmcnt(14)
	v_mov_b32_e32 v30, v21
	v_fmac_f32_e32 v33, v9, v43
	v_fma_f32 v32, v8, v43, -v4
	v_pk_mul_f32 v[30:31], v[10:11], v[30:31] op_sel_hi:[1,0]
	v_pk_add_f32 v[28:29], v[28:29], v[32:33]
	v_pk_fma_f32 v[32:33], v[10:11], v[20:21], v[30:31] op_sel:[0,0,1] op_sel_hi:[1,1,0] neg_lo:[0,0,1] neg_hi:[0,0,1]
	v_pk_fma_f32 v[10:11], v[10:11], v[20:21], v[30:31] op_sel:[0,0,1] op_sel_hi:[1,0,0]
	s_waitcnt vmcnt(12)
	v_mov_b32_e32 v20, v23
	v_mov_b32_e32 v33, v11
	s_waitcnt lgkmcnt(1)
	v_pk_mul_f32 v[20:21], v[12:13], v[20:21] op_sel_hi:[1,0]
	v_pk_add_f32 v[10:11], v[28:29], v[32:33]
	v_pk_fma_f32 v[28:29], v[12:13], v[22:23], v[20:21] op_sel:[0,0,1] op_sel_hi:[1,1,0] neg_lo:[0,0,1] neg_hi:[0,0,1]
	v_pk_fma_f32 v[12:13], v[12:13], v[22:23], v[20:21] op_sel:[0,0,1] op_sel_hi:[1,0,0]
	s_waitcnt vmcnt(10)
	v_mov_b32_e32 v12, v25
	v_mov_b32_e32 v29, v13
	v_pk_mul_f32 v[12:13], v[14:15], v[12:13] op_sel_hi:[1,0]
	v_pk_fma_f32 v[20:21], v[14:15], v[24:25], v[12:13] op_sel:[0,0,1] op_sel_hi:[1,1,0] neg_lo:[0,0,1] neg_hi:[0,0,1]
	v_pk_fma_f32 v[12:13], v[14:15], v[24:25], v[12:13] op_sel:[0,0,1] op_sel_hi:[1,0,0]
	s_waitcnt vmcnt(8)
	v_mov_b32_e32 v12, v27
	v_mov_b32_e32 v21, v13
	s_waitcnt lgkmcnt(0)
	v_pk_mul_f32 v[12:13], v[16:17], v[12:13] op_sel_hi:[1,0]
	v_pk_fma_f32 v[14:15], v[16:17], v[26:27], v[12:13] op_sel:[0,0,1] op_sel_hi:[1,1,0] neg_lo:[0,0,1] neg_hi:[0,0,1]
	v_pk_fma_f32 v[12:13], v[16:17], v[26:27], v[12:13] op_sel:[0,0,1] op_sel_hi:[1,0,0]
	ds_read_b128 v[4:7], v1 offset:864
	ds_read_b64 v[8:9], v1 offset:880
	v_pk_add_f32 v[10:11], v[10:11], v[28:29]
	s_waitcnt vmcnt(7)
	v_mov_b32_e32 v12, v35
	v_pk_add_f32 v[10:11], v[10:11], v[20:21]
	v_mov_b32_e32 v15, v13
	v_pk_mul_f32 v[12:13], v[18:19], v[12:13] op_sel_hi:[1,0]
	v_pk_add_f32 v[10:11], v[10:11], v[14:15]
	s_waitcnt vmcnt(6)
	v_pk_fma_f32 v[14:15], v[18:19], v[34:35], v[12:13] op_sel:[0,0,1] op_sel_hi:[1,1,0] neg_lo:[0,0,1] neg_hi:[0,0,1]
	v_pk_fma_f32 v[12:13], v[18:19], v[34:35], v[12:13] op_sel:[0,0,1] op_sel_hi:[1,0,0]
	s_waitcnt vmcnt(5)
	v_mov_b32_e32 v12, v37
	v_mov_b32_e32 v15, v13
	s_waitcnt lgkmcnt(1)
	v_pk_mul_f32 v[12:13], v[4:5], v[12:13] op_sel_hi:[1,0]
	v_pk_add_f32 v[10:11], v[10:11], v[14:15]
	s_waitcnt vmcnt(4)
	v_pk_fma_f32 v[14:15], v[4:5], v[36:37], v[12:13] op_sel:[0,0,1] op_sel_hi:[1,1,0] neg_lo:[0,0,1] neg_hi:[0,0,1]
	v_pk_fma_f32 v[4:5], v[4:5], v[36:37], v[12:13] op_sel:[0,0,1] op_sel_hi:[1,0,0]
	v_mov_b32_e32 v15, v5
	v_pk_add_f32 v[4:5], v[10:11], v[14:15]
	s_waitcnt vmcnt(3)
	v_mov_b32_e32 v10, v39
	v_pk_mul_f32 v[10:11], v[6:7], v[10:11] op_sel_hi:[1,0]
	s_waitcnt vmcnt(2)
	v_pk_fma_f32 v[12:13], v[6:7], v[38:39], v[10:11] op_sel:[0,0,1] op_sel_hi:[1,1,0] neg_lo:[0,0,1] neg_hi:[0,0,1]
	v_pk_fma_f32 v[6:7], v[6:7], v[38:39], v[10:11] op_sel:[0,0,1] op_sel_hi:[1,0,0]
	s_waitcnt vmcnt(1)
	v_mov_b32_e32 v6, v41
	v_mov_b32_e32 v13, v7
	s_waitcnt lgkmcnt(0)
	v_pk_mul_f32 v[6:7], v[8:9], v[6:7] op_sel_hi:[1,0]
	s_waitcnt vmcnt(0)
	v_pk_fma_f32 v[10:11], v[8:9], v[40:41], v[6:7] op_sel:[0,0,1] op_sel_hi:[1,1,0] neg_lo:[0,0,1] neg_hi:[0,0,1]
	v_pk_fma_f32 v[6:7], v[8:9], v[40:41], v[6:7] op_sel:[0,0,1] op_sel_hi:[1,0,0]
	v_pk_add_f32 v[4:5], v[4:5], v[12:13]
	v_mov_b32_e32 v11, v7
	v_pk_add_f32 v[4:5], v[4:5], v[10:11]
	v_pk_add_f32 v[2:3], v[2:3], v[4:5] neg_lo:[0,1] neg_hi:[0,1]
	buffer_store_dword v3, off, s[0:3], 0 offset:348
	buffer_store_dword v2, off, s[0:3], 0 offset:344
	s_and_saveexec_b64 s[4:5], vcc
	s_cbranch_execz .LBB118_259
; %bb.258:
	buffer_load_dword v2, off, s[0:3], 0 offset:336
	buffer_load_dword v3, off, s[0:3], 0 offset:340
	s_waitcnt vmcnt(0)
	ds_write_b64 v153, v[2:3]
	buffer_store_dword v1, off, s[0:3], 0 offset:336
	buffer_store_dword v1, off, s[0:3], 0 offset:340
.LBB118_259:
	s_or_b64 exec, exec, s[4:5]
	s_waitcnt lgkmcnt(0)
	; wave barrier
	s_waitcnt lgkmcnt(0)
	ds_read2_b64 v[4:7], v1 offset0:99 offset1:100
	buffer_load_dword v2, off, s[0:3], 0 offset:336
	buffer_load_dword v3, off, s[0:3], 0 offset:340
	;; [unrolled: 1-line block ×16, first 2 shown]
	v_cmp_lt_u32_e32 vcc, 41, v0
	ds_read2_b64 v[12:15], v1 offset0:103 offset1:104
	s_waitcnt vmcnt(12) lgkmcnt(1)
	v_mul_f32_e32 v8, v4, v17
	v_fmac_f32_e32 v8, v5, v16
	s_waitcnt vmcnt(10)
	v_mul_f32_e32 v9, v6, v19
	v_add_f32_e32 v8, 0, v8
	v_fmac_f32_e32 v9, v7, v18
	v_add_f32_e32 v27, v8, v9
	ds_read2_b64 v[8:11], v1 offset0:101 offset1:102
	buffer_load_dword v33, off, s[0:3], 0 offset:404
	buffer_load_dword v32, off, s[0:3], 0 offset:400
	;; [unrolled: 1-line block ×10, first 2 shown]
	v_mul_f32_e32 v5, v5, v17
	v_fma_f32 v4, v4, v16, -v5
	v_mul_f32_e32 v5, v7, v19
	v_add_f32_e32 v4, 0, v4
	v_fma_f32 v5, v6, v18, -v5
	s_waitcnt vmcnt(18) lgkmcnt(0)
	v_mul_f32_e32 v29, v8, v30
	v_add_f32_e32 v26, v4, v5
	v_mul_f32_e32 v4, v9, v30
	v_fmac_f32_e32 v29, v9, v28
	v_fma_f32 v28, v8, v28, -v4
	s_waitcnt vmcnt(16)
	v_mul_f32_e32 v31, v10, v43
	v_mul_f32_e32 v4, v11, v43
	v_pk_add_f32 v[26:27], v[26:27], v[28:29]
	s_waitcnt vmcnt(14)
	v_mov_b32_e32 v28, v21
	v_fmac_f32_e32 v31, v11, v42
	v_fma_f32 v30, v10, v42, -v4
	v_pk_mul_f32 v[28:29], v[12:13], v[28:29] op_sel_hi:[1,0]
	v_pk_add_f32 v[26:27], v[26:27], v[30:31]
	v_pk_fma_f32 v[30:31], v[12:13], v[20:21], v[28:29] op_sel:[0,0,1] op_sel_hi:[1,1,0] neg_lo:[0,0,1] neg_hi:[0,0,1]
	v_pk_fma_f32 v[12:13], v[12:13], v[20:21], v[28:29] op_sel:[0,0,1] op_sel_hi:[1,0,0]
	s_waitcnt vmcnt(12)
	v_mov_b32_e32 v20, v23
	ds_read2_b64 v[4:7], v1 offset0:105 offset1:106
	ds_read2_b64 v[8:11], v1 offset0:107 offset1:108
	;; [unrolled: 1-line block ×3, first 2 shown]
	v_mov_b32_e32 v31, v13
	v_pk_mul_f32 v[20:21], v[14:15], v[20:21] op_sel_hi:[1,0]
	v_pk_add_f32 v[12:13], v[26:27], v[30:31]
	v_pk_fma_f32 v[26:27], v[14:15], v[22:23], v[20:21] op_sel:[0,0,1] op_sel_hi:[1,1,0] neg_lo:[0,0,1] neg_hi:[0,0,1]
	v_pk_fma_f32 v[14:15], v[14:15], v[22:23], v[20:21] op_sel:[0,0,1] op_sel_hi:[1,0,0]
	s_waitcnt vmcnt(10)
	v_mov_b32_e32 v14, v25
	v_mov_b32_e32 v27, v15
	s_waitcnt lgkmcnt(2)
	v_pk_mul_f32 v[14:15], v[4:5], v[14:15] op_sel_hi:[1,0]
	v_pk_fma_f32 v[20:21], v[4:5], v[24:25], v[14:15] op_sel:[0,0,1] op_sel_hi:[1,1,0] neg_lo:[0,0,1] neg_hi:[0,0,1]
	v_pk_fma_f32 v[4:5], v[4:5], v[24:25], v[14:15] op_sel:[0,0,1] op_sel_hi:[1,0,0]
	v_pk_add_f32 v[12:13], v[12:13], v[26:27]
	v_mov_b32_e32 v21, v5
	v_pk_add_f32 v[4:5], v[12:13], v[20:21]
	s_waitcnt vmcnt(9)
	v_mov_b32_e32 v12, v33
	v_pk_mul_f32 v[12:13], v[6:7], v[12:13] op_sel_hi:[1,0]
	s_waitcnt vmcnt(8)
	v_pk_fma_f32 v[14:15], v[6:7], v[32:33], v[12:13] op_sel:[0,0,1] op_sel_hi:[1,1,0] neg_lo:[0,0,1] neg_hi:[0,0,1]
	v_pk_fma_f32 v[6:7], v[6:7], v[32:33], v[12:13] op_sel:[0,0,1] op_sel_hi:[1,0,0]
	s_waitcnt vmcnt(7)
	v_mov_b32_e32 v6, v35
	v_mov_b32_e32 v15, v7
	s_waitcnt lgkmcnt(1)
	v_pk_mul_f32 v[6:7], v[8:9], v[6:7] op_sel_hi:[1,0]
	s_waitcnt vmcnt(6)
	v_pk_fma_f32 v[12:13], v[8:9], v[34:35], v[6:7] op_sel:[0,0,1] op_sel_hi:[1,1,0] neg_lo:[0,0,1] neg_hi:[0,0,1]
	v_pk_fma_f32 v[6:7], v[8:9], v[34:35], v[6:7] op_sel:[0,0,1] op_sel_hi:[1,0,0]
	s_waitcnt vmcnt(5)
	v_mov_b32_e32 v6, v37
	v_mov_b32_e32 v13, v7
	v_pk_mul_f32 v[6:7], v[10:11], v[6:7] op_sel_hi:[1,0]
	s_waitcnt vmcnt(4)
	v_pk_fma_f32 v[8:9], v[10:11], v[36:37], v[6:7] op_sel:[0,0,1] op_sel_hi:[1,1,0] neg_lo:[0,0,1] neg_hi:[0,0,1]
	v_pk_fma_f32 v[6:7], v[10:11], v[36:37], v[6:7] op_sel:[0,0,1] op_sel_hi:[1,0,0]
	v_pk_add_f32 v[4:5], v[4:5], v[14:15]
	s_waitcnt vmcnt(3)
	v_mov_b32_e32 v6, v39
	v_pk_add_f32 v[4:5], v[4:5], v[12:13]
	v_mov_b32_e32 v9, v7
	s_waitcnt lgkmcnt(0)
	v_pk_mul_f32 v[6:7], v[16:17], v[6:7] op_sel_hi:[1,0]
	v_pk_add_f32 v[4:5], v[4:5], v[8:9]
	s_waitcnt vmcnt(2)
	v_pk_fma_f32 v[8:9], v[16:17], v[38:39], v[6:7] op_sel:[0,0,1] op_sel_hi:[1,1,0] neg_lo:[0,0,1] neg_hi:[0,0,1]
	v_pk_fma_f32 v[6:7], v[16:17], v[38:39], v[6:7] op_sel:[0,0,1] op_sel_hi:[1,0,0]
	s_waitcnt vmcnt(1)
	v_mov_b32_e32 v6, v41
	v_mov_b32_e32 v9, v7
	v_pk_mul_f32 v[6:7], v[18:19], v[6:7] op_sel_hi:[1,0]
	v_pk_add_f32 v[4:5], v[4:5], v[8:9]
	s_waitcnt vmcnt(0)
	v_pk_fma_f32 v[8:9], v[18:19], v[40:41], v[6:7] op_sel:[0,0,1] op_sel_hi:[1,1,0] neg_lo:[0,0,1] neg_hi:[0,0,1]
	v_pk_fma_f32 v[6:7], v[18:19], v[40:41], v[6:7] op_sel:[0,0,1] op_sel_hi:[1,0,0]
	v_mov_b32_e32 v9, v7
	v_pk_add_f32 v[4:5], v[4:5], v[8:9]
	v_pk_add_f32 v[2:3], v[2:3], v[4:5] neg_lo:[0,1] neg_hi:[0,1]
	buffer_store_dword v3, off, s[0:3], 0 offset:340
	buffer_store_dword v2, off, s[0:3], 0 offset:336
	s_and_saveexec_b64 s[4:5], vcc
	s_cbranch_execz .LBB118_261
; %bb.260:
	buffer_load_dword v2, off, s[0:3], 0 offset:328
	buffer_load_dword v3, off, s[0:3], 0 offset:332
	v_mov_b32_e32 v1, 0
	buffer_store_dword v1, off, s[0:3], 0 offset:328
	buffer_store_dword v1, off, s[0:3], 0 offset:332
	s_waitcnt vmcnt(2)
	ds_write_b64 v153, v[2:3]
.LBB118_261:
	s_or_b64 exec, exec, s[4:5]
	v_mov_b32_e32 v1, 0
	s_waitcnt lgkmcnt(0)
	; wave barrier
	s_waitcnt lgkmcnt(0)
	ds_read_b128 v[4:7], v1 offset:784
	ds_read_b128 v[8:11], v1 offset:800
	;; [unrolled: 1-line block ×4, first 2 shown]
	buffer_load_dword v2, off, s[0:3], 0 offset:328
	buffer_load_dword v3, off, s[0:3], 0 offset:332
	;; [unrolled: 1-line block ×28, first 2 shown]
	v_cmp_lt_u32_e32 vcc, 40, v0
	s_waitcnt vmcnt(24) lgkmcnt(3)
	v_mul_f32_e32 v25, v4, v26
	v_fmac_f32_e32 v25, v5, v24
	v_mul_f32_e32 v5, v5, v26
	s_waitcnt vmcnt(22)
	v_mul_f32_e32 v27, v6, v42
	v_fma_f32 v4, v4, v24, -v5
	v_mul_f32_e32 v5, v7, v42
	v_add_f32_e32 v25, 0, v25
	v_fmac_f32_e32 v27, v7, v28
	v_add_f32_e32 v4, 0, v4
	v_fma_f32 v5, v6, v28, -v5
	v_add_f32_e32 v25, v25, v27
	s_waitcnt vmcnt(20) lgkmcnt(2)
	v_mul_f32_e32 v27, v8, v44
	v_add_f32_e32 v4, v4, v5
	v_mul_f32_e32 v5, v9, v44
	v_fmac_f32_e32 v27, v9, v43
	v_fma_f32 v5, v8, v43, -v5
	v_add_f32_e32 v25, v25, v27
	s_waitcnt vmcnt(18)
	v_mul_f32_e32 v27, v10, v46
	v_add_f32_e32 v24, v4, v5
	v_mul_f32_e32 v4, v11, v46
	v_fmac_f32_e32 v27, v11, v45
	v_fma_f32 v26, v10, v45, -v4
	s_waitcnt vmcnt(16) lgkmcnt(1)
	v_mul_f32_e32 v29, v12, v48
	v_mul_f32_e32 v4, v13, v48
	v_pk_add_f32 v[24:25], v[24:25], v[26:27]
	s_waitcnt vmcnt(14)
	v_mov_b32_e32 v26, v21
	v_fmac_f32_e32 v29, v13, v47
	v_fma_f32 v28, v12, v47, -v4
	v_pk_mul_f32 v[26:27], v[14:15], v[26:27] op_sel_hi:[1,0]
	v_pk_add_f32 v[24:25], v[24:25], v[28:29]
	v_pk_fma_f32 v[28:29], v[14:15], v[20:21], v[26:27] op_sel:[0,0,1] op_sel_hi:[1,1,0] neg_lo:[0,0,1] neg_hi:[0,0,1]
	v_pk_fma_f32 v[14:15], v[14:15], v[20:21], v[26:27] op_sel:[0,0,1] op_sel_hi:[1,0,0]
	s_waitcnt vmcnt(12)
	v_mov_b32_e32 v20, v23
	v_mov_b32_e32 v29, v15
	s_waitcnt lgkmcnt(0)
	v_pk_mul_f32 v[20:21], v[16:17], v[20:21] op_sel_hi:[1,0]
	v_pk_add_f32 v[14:15], v[24:25], v[28:29]
	v_pk_fma_f32 v[24:25], v[16:17], v[22:23], v[20:21] op_sel:[0,0,1] op_sel_hi:[1,1,0] neg_lo:[0,0,1] neg_hi:[0,0,1]
	v_pk_fma_f32 v[16:17], v[16:17], v[22:23], v[20:21] op_sel:[0,0,1] op_sel_hi:[1,0,0]
	s_waitcnt vmcnt(11)
	v_mov_b32_e32 v16, v31
	ds_read_b128 v[4:7], v1 offset:848
	ds_read_b128 v[8:11], v1 offset:864
	ds_read_b64 v[12:13], v1 offset:880
	v_mov_b32_e32 v25, v17
	v_pk_mul_f32 v[16:17], v[18:19], v[16:17] op_sel_hi:[1,0]
	s_waitcnt vmcnt(10)
	v_pk_fma_f32 v[20:21], v[18:19], v[30:31], v[16:17] op_sel:[0,0,1] op_sel_hi:[1,1,0] neg_lo:[0,0,1] neg_hi:[0,0,1]
	v_pk_fma_f32 v[16:17], v[18:19], v[30:31], v[16:17] op_sel:[0,0,1] op_sel_hi:[1,0,0]
	s_waitcnt vmcnt(9)
	v_mov_b32_e32 v16, v33
	v_mov_b32_e32 v21, v17
	s_waitcnt lgkmcnt(2)
	v_pk_mul_f32 v[16:17], v[4:5], v[16:17] op_sel_hi:[1,0]
	v_pk_add_f32 v[14:15], v[14:15], v[24:25]
	s_waitcnt vmcnt(8)
	v_pk_fma_f32 v[18:19], v[4:5], v[32:33], v[16:17] op_sel:[0,0,1] op_sel_hi:[1,1,0] neg_lo:[0,0,1] neg_hi:[0,0,1]
	v_pk_fma_f32 v[4:5], v[4:5], v[32:33], v[16:17] op_sel:[0,0,1] op_sel_hi:[1,0,0]
	v_pk_add_f32 v[14:15], v[14:15], v[20:21]
	v_mov_b32_e32 v19, v5
	v_pk_add_f32 v[4:5], v[14:15], v[18:19]
	s_waitcnt vmcnt(7)
	v_mov_b32_e32 v14, v35
	v_pk_mul_f32 v[14:15], v[6:7], v[14:15] op_sel_hi:[1,0]
	s_waitcnt vmcnt(6)
	v_pk_fma_f32 v[16:17], v[6:7], v[34:35], v[14:15] op_sel:[0,0,1] op_sel_hi:[1,1,0] neg_lo:[0,0,1] neg_hi:[0,0,1]
	v_pk_fma_f32 v[6:7], v[6:7], v[34:35], v[14:15] op_sel:[0,0,1] op_sel_hi:[1,0,0]
	s_waitcnt vmcnt(5)
	v_mov_b32_e32 v6, v37
	v_mov_b32_e32 v17, v7
	s_waitcnt lgkmcnt(1)
	v_pk_mul_f32 v[6:7], v[8:9], v[6:7] op_sel_hi:[1,0]
	s_waitcnt vmcnt(4)
	v_pk_fma_f32 v[14:15], v[8:9], v[36:37], v[6:7] op_sel:[0,0,1] op_sel_hi:[1,1,0] neg_lo:[0,0,1] neg_hi:[0,0,1]
	v_pk_fma_f32 v[6:7], v[8:9], v[36:37], v[6:7] op_sel:[0,0,1] op_sel_hi:[1,0,0]
	s_waitcnt vmcnt(3)
	v_mov_b32_e32 v6, v39
	v_mov_b32_e32 v15, v7
	v_pk_mul_f32 v[6:7], v[10:11], v[6:7] op_sel_hi:[1,0]
	s_waitcnt vmcnt(2)
	v_pk_fma_f32 v[8:9], v[10:11], v[38:39], v[6:7] op_sel:[0,0,1] op_sel_hi:[1,1,0] neg_lo:[0,0,1] neg_hi:[0,0,1]
	v_pk_fma_f32 v[6:7], v[10:11], v[38:39], v[6:7] op_sel:[0,0,1] op_sel_hi:[1,0,0]
	v_pk_add_f32 v[4:5], v[4:5], v[16:17]
	s_waitcnt vmcnt(1)
	v_mov_b32_e32 v6, v41
	v_pk_add_f32 v[4:5], v[4:5], v[14:15]
	v_mov_b32_e32 v9, v7
	s_waitcnt lgkmcnt(0)
	v_pk_mul_f32 v[6:7], v[12:13], v[6:7] op_sel_hi:[1,0]
	v_pk_add_f32 v[4:5], v[4:5], v[8:9]
	s_waitcnt vmcnt(0)
	v_pk_fma_f32 v[8:9], v[12:13], v[40:41], v[6:7] op_sel:[0,0,1] op_sel_hi:[1,1,0] neg_lo:[0,0,1] neg_hi:[0,0,1]
	v_pk_fma_f32 v[6:7], v[12:13], v[40:41], v[6:7] op_sel:[0,0,1] op_sel_hi:[1,0,0]
	v_mov_b32_e32 v9, v7
	v_pk_add_f32 v[4:5], v[4:5], v[8:9]
	v_pk_add_f32 v[2:3], v[2:3], v[4:5] neg_lo:[0,1] neg_hi:[0,1]
	buffer_store_dword v3, off, s[0:3], 0 offset:332
	buffer_store_dword v2, off, s[0:3], 0 offset:328
	s_and_saveexec_b64 s[4:5], vcc
	s_cbranch_execz .LBB118_263
; %bb.262:
	buffer_load_dword v2, off, s[0:3], 0 offset:320
	buffer_load_dword v3, off, s[0:3], 0 offset:324
	s_waitcnt vmcnt(0)
	ds_write_b64 v153, v[2:3]
	buffer_store_dword v1, off, s[0:3], 0 offset:320
	buffer_store_dword v1, off, s[0:3], 0 offset:324
.LBB118_263:
	s_or_b64 exec, exec, s[4:5]
	s_waitcnt lgkmcnt(0)
	; wave barrier
	s_waitcnt lgkmcnt(0)
	ds_read2_b64 v[4:7], v1 offset0:97 offset1:98
	buffer_load_dword v2, off, s[0:3], 0 offset:320
	buffer_load_dword v3, off, s[0:3], 0 offset:324
	buffer_load_dword v22, off, s[0:3], 0 offset:328
	buffer_load_dword v24, off, s[0:3], 0 offset:332
	buffer_load_dword v26, off, s[0:3], 0 offset:336
	buffer_load_dword v42, off, s[0:3], 0 offset:340
	buffer_load_dword v43, off, s[0:3], 0 offset:344
	buffer_load_dword v44, off, s[0:3], 0 offset:348
	buffer_load_dword v45, off, s[0:3], 0 offset:352
	buffer_load_dword v46, off, s[0:3], 0 offset:356
	buffer_load_dword v47, off, s[0:3], 0 offset:360
	buffer_load_dword v48, off, s[0:3], 0 offset:364
	buffer_load_dword v49, off, s[0:3], 0 offset:368
	buffer_load_dword v50, off, s[0:3], 0 offset:372
	buffer_load_dword v20, off, s[0:3], 0 offset:376
	buffer_load_dword v21, off, s[0:3], 0 offset:380
	v_cmp_lt_u32_e32 vcc, 39, v0
	ds_read2_b64 v[16:19], v1 offset0:103 offset1:104
	s_waitcnt vmcnt(12) lgkmcnt(1)
	v_mul_f32_e32 v8, v4, v24
	v_fmac_f32_e32 v8, v5, v22
	s_waitcnt vmcnt(10)
	v_mul_f32_e32 v9, v6, v42
	v_add_f32_e32 v8, 0, v8
	v_fmac_f32_e32 v9, v7, v26
	v_add_f32_e32 v12, v8, v9
	ds_read2_b64 v[8:11], v1 offset0:99 offset1:100
	v_mul_f32_e32 v5, v5, v24
	v_fma_f32 v4, v4, v22, -v5
	v_mul_f32_e32 v5, v7, v42
	v_add_f32_e32 v4, 0, v4
	s_waitcnt vmcnt(8) lgkmcnt(0)
	v_mul_f32_e32 v13, v8, v44
	v_fmac_f32_e32 v13, v9, v43
	v_add_f32_e32 v12, v12, v13
	s_waitcnt vmcnt(6)
	v_mul_f32_e32 v13, v10, v46
	v_fmac_f32_e32 v13, v11, v45
	v_add_f32_e32 v23, v12, v13
	ds_read2_b64 v[12:15], v1 offset0:101 offset1:102
	buffer_load_dword v29, off, s[0:3], 0 offset:388
	buffer_load_dword v28, off, s[0:3], 0 offset:384
	;; [unrolled: 1-line block ×14, first 2 shown]
	v_fma_f32 v5, v6, v26, -v5
	v_add_f32_e32 v4, v4, v5
	v_mul_f32_e32 v5, v9, v44
	v_fma_f32 v5, v8, v43, -v5
	v_add_f32_e32 v4, v4, v5
	v_mul_f32_e32 v5, v11, v46
	v_fma_f32 v5, v10, v45, -v5
	s_waitcnt vmcnt(18) lgkmcnt(0)
	v_mul_f32_e32 v25, v12, v48
	v_add_f32_e32 v22, v4, v5
	v_mul_f32_e32 v4, v13, v48
	v_fmac_f32_e32 v25, v13, v47
	v_fma_f32 v24, v12, v47, -v4
	s_waitcnt vmcnt(16)
	v_mul_f32_e32 v27, v14, v50
	v_mul_f32_e32 v4, v15, v50
	v_pk_add_f32 v[22:23], v[22:23], v[24:25]
	s_waitcnt vmcnt(14)
	v_mov_b32_e32 v24, v21
	v_fmac_f32_e32 v27, v15, v49
	v_fma_f32 v26, v14, v49, -v4
	v_pk_mul_f32 v[24:25], v[16:17], v[24:25] op_sel_hi:[1,0]
	v_pk_add_f32 v[22:23], v[22:23], v[26:27]
	v_pk_fma_f32 v[26:27], v[16:17], v[20:21], v[24:25] op_sel:[0,0,1] op_sel_hi:[1,1,0] neg_lo:[0,0,1] neg_hi:[0,0,1]
	v_pk_fma_f32 v[16:17], v[16:17], v[20:21], v[24:25] op_sel:[0,0,1] op_sel_hi:[1,0,0]
	ds_read2_b64 v[4:7], v1 offset0:105 offset1:106
	ds_read2_b64 v[8:11], v1 offset0:107 offset1:108
	ds_read2_b64 v[12:15], v1 offset0:109 offset1:110
	v_mov_b32_e32 v27, v17
	v_pk_add_f32 v[16:17], v[22:23], v[26:27]
	s_waitcnt vmcnt(13)
	v_mov_b32_e32 v20, v29
	v_pk_mul_f32 v[20:21], v[18:19], v[20:21] op_sel_hi:[1,0]
	s_waitcnt vmcnt(12)
	v_pk_fma_f32 v[22:23], v[18:19], v[28:29], v[20:21] op_sel:[0,0,1] op_sel_hi:[1,1,0] neg_lo:[0,0,1] neg_hi:[0,0,1]
	v_pk_fma_f32 v[18:19], v[18:19], v[28:29], v[20:21] op_sel:[0,0,1] op_sel_hi:[1,0,0]
	s_waitcnt vmcnt(11)
	v_mov_b32_e32 v18, v31
	v_mov_b32_e32 v23, v19
	s_waitcnt lgkmcnt(2)
	v_pk_mul_f32 v[18:19], v[4:5], v[18:19] op_sel_hi:[1,0]
	s_waitcnt vmcnt(10)
	v_pk_fma_f32 v[20:21], v[4:5], v[30:31], v[18:19] op_sel:[0,0,1] op_sel_hi:[1,1,0] neg_lo:[0,0,1] neg_hi:[0,0,1]
	v_pk_fma_f32 v[4:5], v[4:5], v[30:31], v[18:19] op_sel:[0,0,1] op_sel_hi:[1,0,0]
	v_pk_add_f32 v[16:17], v[16:17], v[22:23]
	v_mov_b32_e32 v21, v5
	v_pk_add_f32 v[4:5], v[16:17], v[20:21]
	s_waitcnt vmcnt(9)
	v_mov_b32_e32 v16, v33
	v_pk_mul_f32 v[16:17], v[6:7], v[16:17] op_sel_hi:[1,0]
	s_waitcnt vmcnt(8)
	v_pk_fma_f32 v[18:19], v[6:7], v[32:33], v[16:17] op_sel:[0,0,1] op_sel_hi:[1,1,0] neg_lo:[0,0,1] neg_hi:[0,0,1]
	v_pk_fma_f32 v[6:7], v[6:7], v[32:33], v[16:17] op_sel:[0,0,1] op_sel_hi:[1,0,0]
	s_waitcnt vmcnt(7)
	v_mov_b32_e32 v6, v35
	v_mov_b32_e32 v19, v7
	s_waitcnt lgkmcnt(1)
	v_pk_mul_f32 v[6:7], v[8:9], v[6:7] op_sel_hi:[1,0]
	s_waitcnt vmcnt(6)
	v_pk_fma_f32 v[16:17], v[8:9], v[34:35], v[6:7] op_sel:[0,0,1] op_sel_hi:[1,1,0] neg_lo:[0,0,1] neg_hi:[0,0,1]
	v_pk_fma_f32 v[6:7], v[8:9], v[34:35], v[6:7] op_sel:[0,0,1] op_sel_hi:[1,0,0]
	s_waitcnt vmcnt(5)
	v_mov_b32_e32 v6, v37
	v_mov_b32_e32 v17, v7
	v_pk_mul_f32 v[6:7], v[10:11], v[6:7] op_sel_hi:[1,0]
	s_waitcnt vmcnt(4)
	v_pk_fma_f32 v[8:9], v[10:11], v[36:37], v[6:7] op_sel:[0,0,1] op_sel_hi:[1,1,0] neg_lo:[0,0,1] neg_hi:[0,0,1]
	v_pk_fma_f32 v[6:7], v[10:11], v[36:37], v[6:7] op_sel:[0,0,1] op_sel_hi:[1,0,0]
	v_pk_add_f32 v[4:5], v[4:5], v[18:19]
	s_waitcnt vmcnt(3)
	v_mov_b32_e32 v6, v39
	v_pk_add_f32 v[4:5], v[4:5], v[16:17]
	v_mov_b32_e32 v9, v7
	s_waitcnt lgkmcnt(0)
	v_pk_mul_f32 v[6:7], v[12:13], v[6:7] op_sel_hi:[1,0]
	v_pk_add_f32 v[4:5], v[4:5], v[8:9]
	s_waitcnt vmcnt(2)
	v_pk_fma_f32 v[8:9], v[12:13], v[38:39], v[6:7] op_sel:[0,0,1] op_sel_hi:[1,1,0] neg_lo:[0,0,1] neg_hi:[0,0,1]
	v_pk_fma_f32 v[6:7], v[12:13], v[38:39], v[6:7] op_sel:[0,0,1] op_sel_hi:[1,0,0]
	s_waitcnt vmcnt(1)
	v_mov_b32_e32 v6, v41
	v_mov_b32_e32 v9, v7
	v_pk_mul_f32 v[6:7], v[14:15], v[6:7] op_sel_hi:[1,0]
	v_pk_add_f32 v[4:5], v[4:5], v[8:9]
	s_waitcnt vmcnt(0)
	v_pk_fma_f32 v[8:9], v[14:15], v[40:41], v[6:7] op_sel:[0,0,1] op_sel_hi:[1,1,0] neg_lo:[0,0,1] neg_hi:[0,0,1]
	v_pk_fma_f32 v[6:7], v[14:15], v[40:41], v[6:7] op_sel:[0,0,1] op_sel_hi:[1,0,0]
	v_mov_b32_e32 v9, v7
	v_pk_add_f32 v[4:5], v[4:5], v[8:9]
	v_pk_add_f32 v[2:3], v[2:3], v[4:5] neg_lo:[0,1] neg_hi:[0,1]
	buffer_store_dword v3, off, s[0:3], 0 offset:324
	buffer_store_dword v2, off, s[0:3], 0 offset:320
	s_and_saveexec_b64 s[4:5], vcc
	s_cbranch_execz .LBB118_265
; %bb.264:
	buffer_load_dword v2, off, s[0:3], 0 offset:312
	buffer_load_dword v3, off, s[0:3], 0 offset:316
	v_mov_b32_e32 v1, 0
	buffer_store_dword v1, off, s[0:3], 0 offset:312
	buffer_store_dword v1, off, s[0:3], 0 offset:316
	s_waitcnt vmcnt(2)
	ds_write_b64 v153, v[2:3]
.LBB118_265:
	s_or_b64 exec, exec, s[4:5]
	v_mov_b32_e32 v1, 0
	s_waitcnt lgkmcnt(0)
	; wave barrier
	s_waitcnt lgkmcnt(0)
	ds_read_b128 v[4:7], v1 offset:768
	ds_read_b128 v[8:11], v1 offset:784
	;; [unrolled: 1-line block ×4, first 2 shown]
	buffer_load_dword v2, off, s[0:3], 0 offset:312
	buffer_load_dword v3, off, s[0:3], 0 offset:316
	buffer_load_dword v20, off, s[0:3], 0 offset:320
	buffer_load_dword v22, off, s[0:3], 0 offset:324
	buffer_load_dword v24, off, s[0:3], 0 offset:328
	buffer_load_dword v42, off, s[0:3], 0 offset:332
	buffer_load_dword v43, off, s[0:3], 0 offset:336
	buffer_load_dword v44, off, s[0:3], 0 offset:340
	buffer_load_dword v45, off, s[0:3], 0 offset:344
	buffer_load_dword v46, off, s[0:3], 0 offset:348
	buffer_load_dword v47, off, s[0:3], 0 offset:352
	buffer_load_dword v48, off, s[0:3], 0 offset:356
	buffer_load_dword v49, off, s[0:3], 0 offset:360
	buffer_load_dword v50, off, s[0:3], 0 offset:364
	buffer_load_dword v51, off, s[0:3], 0 offset:368
	buffer_load_dword v52, off, s[0:3], 0 offset:372
	buffer_load_dword v27, off, s[0:3], 0 offset:380
	buffer_load_dword v26, off, s[0:3], 0 offset:376
	buffer_load_dword v29, off, s[0:3], 0 offset:388
	buffer_load_dword v28, off, s[0:3], 0 offset:384
	buffer_load_dword v31, off, s[0:3], 0 offset:396
	buffer_load_dword v30, off, s[0:3], 0 offset:392
	buffer_load_dword v33, off, s[0:3], 0 offset:404
	buffer_load_dword v32, off, s[0:3], 0 offset:400
	buffer_load_dword v35, off, s[0:3], 0 offset:412
	buffer_load_dword v34, off, s[0:3], 0 offset:408
	buffer_load_dword v37, off, s[0:3], 0 offset:420
	buffer_load_dword v36, off, s[0:3], 0 offset:416
	buffer_load_dword v39, off, s[0:3], 0 offset:428
	buffer_load_dword v38, off, s[0:3], 0 offset:424
	buffer_load_dword v41, off, s[0:3], 0 offset:436
	buffer_load_dword v40, off, s[0:3], 0 offset:432
	v_cmp_lt_u32_e32 vcc, 38, v0
	s_waitcnt vmcnt(28) lgkmcnt(3)
	v_mul_f32_e32 v21, v4, v22
	v_fmac_f32_e32 v21, v5, v20
	v_mul_f32_e32 v5, v5, v22
	s_waitcnt vmcnt(26)
	v_mul_f32_e32 v23, v6, v42
	v_fma_f32 v4, v4, v20, -v5
	v_mul_f32_e32 v5, v7, v42
	v_add_f32_e32 v21, 0, v21
	v_fmac_f32_e32 v23, v7, v24
	v_add_f32_e32 v4, 0, v4
	v_fma_f32 v5, v6, v24, -v5
	v_add_f32_e32 v21, v21, v23
	s_waitcnt vmcnt(24) lgkmcnt(2)
	v_mul_f32_e32 v23, v8, v44
	v_add_f32_e32 v4, v4, v5
	v_mul_f32_e32 v5, v9, v44
	v_fmac_f32_e32 v23, v9, v43
	v_fma_f32 v5, v8, v43, -v5
	v_add_f32_e32 v21, v21, v23
	s_waitcnt vmcnt(22)
	v_mul_f32_e32 v23, v10, v46
	v_add_f32_e32 v4, v4, v5
	v_mul_f32_e32 v5, v11, v46
	v_fmac_f32_e32 v23, v11, v45
	v_fma_f32 v5, v10, v45, -v5
	v_add_f32_e32 v21, v21, v23
	s_waitcnt vmcnt(20) lgkmcnt(1)
	v_mul_f32_e32 v23, v12, v48
	v_add_f32_e32 v4, v4, v5
	v_mul_f32_e32 v5, v13, v48
	v_fmac_f32_e32 v23, v13, v47
	v_fma_f32 v5, v12, v47, -v5
	v_add_f32_e32 v21, v21, v23
	s_waitcnt vmcnt(18)
	v_mul_f32_e32 v23, v14, v50
	v_add_f32_e32 v20, v4, v5
	v_mul_f32_e32 v4, v15, v50
	v_fmac_f32_e32 v23, v15, v49
	v_fma_f32 v22, v14, v49, -v4
	s_waitcnt vmcnt(16) lgkmcnt(0)
	v_mul_f32_e32 v25, v16, v52
	v_mul_f32_e32 v4, v17, v52
	v_pk_add_f32 v[20:21], v[20:21], v[22:23]
	s_waitcnt vmcnt(15)
	v_mov_b32_e32 v22, v27
	v_fmac_f32_e32 v25, v17, v51
	v_fma_f32 v24, v16, v51, -v4
	v_pk_mul_f32 v[22:23], v[18:19], v[22:23] op_sel_hi:[1,0]
	v_pk_add_f32 v[20:21], v[20:21], v[24:25]
	s_waitcnt vmcnt(14)
	v_pk_fma_f32 v[24:25], v[18:19], v[26:27], v[22:23] op_sel:[0,0,1] op_sel_hi:[1,1,0] neg_lo:[0,0,1] neg_hi:[0,0,1]
	v_pk_fma_f32 v[18:19], v[18:19], v[26:27], v[22:23] op_sel:[0,0,1] op_sel_hi:[1,0,0]
	ds_read_b128 v[4:7], v1 offset:832
	ds_read_b128 v[8:11], v1 offset:848
	;; [unrolled: 1-line block ×3, first 2 shown]
	ds_read_b64 v[16:17], v1 offset:880
	v_mov_b32_e32 v25, v19
	v_pk_add_f32 v[18:19], v[20:21], v[24:25]
	s_waitcnt vmcnt(13)
	v_mov_b32_e32 v20, v29
	s_waitcnt lgkmcnt(3)
	v_pk_mul_f32 v[20:21], v[4:5], v[20:21] op_sel_hi:[1,0]
	s_waitcnt vmcnt(12)
	v_pk_fma_f32 v[22:23], v[4:5], v[28:29], v[20:21] op_sel:[0,0,1] op_sel_hi:[1,1,0] neg_lo:[0,0,1] neg_hi:[0,0,1]
	v_pk_fma_f32 v[4:5], v[4:5], v[28:29], v[20:21] op_sel:[0,0,1] op_sel_hi:[1,0,0]
	v_mov_b32_e32 v23, v5
	v_pk_add_f32 v[4:5], v[18:19], v[22:23]
	s_waitcnt vmcnt(11)
	v_mov_b32_e32 v18, v31
	v_pk_mul_f32 v[18:19], v[6:7], v[18:19] op_sel_hi:[1,0]
	s_waitcnt vmcnt(10)
	v_pk_fma_f32 v[20:21], v[6:7], v[30:31], v[18:19] op_sel:[0,0,1] op_sel_hi:[1,1,0] neg_lo:[0,0,1] neg_hi:[0,0,1]
	v_pk_fma_f32 v[6:7], v[6:7], v[30:31], v[18:19] op_sel:[0,0,1] op_sel_hi:[1,0,0]
	s_waitcnt vmcnt(9)
	v_mov_b32_e32 v6, v33
	v_mov_b32_e32 v21, v7
	s_waitcnt lgkmcnt(2)
	v_pk_mul_f32 v[6:7], v[8:9], v[6:7] op_sel_hi:[1,0]
	s_waitcnt vmcnt(8)
	v_pk_fma_f32 v[18:19], v[8:9], v[32:33], v[6:7] op_sel:[0,0,1] op_sel_hi:[1,1,0] neg_lo:[0,0,1] neg_hi:[0,0,1]
	v_pk_fma_f32 v[6:7], v[8:9], v[32:33], v[6:7] op_sel:[0,0,1] op_sel_hi:[1,0,0]
	s_waitcnt vmcnt(7)
	v_mov_b32_e32 v6, v35
	v_mov_b32_e32 v19, v7
	v_pk_mul_f32 v[6:7], v[10:11], v[6:7] op_sel_hi:[1,0]
	s_waitcnt vmcnt(6)
	v_pk_fma_f32 v[8:9], v[10:11], v[34:35], v[6:7] op_sel:[0,0,1] op_sel_hi:[1,1,0] neg_lo:[0,0,1] neg_hi:[0,0,1]
	v_pk_fma_f32 v[6:7], v[10:11], v[34:35], v[6:7] op_sel:[0,0,1] op_sel_hi:[1,0,0]
	v_pk_add_f32 v[4:5], v[4:5], v[20:21]
	s_waitcnt vmcnt(5)
	v_mov_b32_e32 v6, v37
	v_pk_add_f32 v[4:5], v[4:5], v[18:19]
	v_mov_b32_e32 v9, v7
	s_waitcnt lgkmcnt(1)
	v_pk_mul_f32 v[6:7], v[12:13], v[6:7] op_sel_hi:[1,0]
	v_pk_add_f32 v[4:5], v[4:5], v[8:9]
	s_waitcnt vmcnt(4)
	v_pk_fma_f32 v[8:9], v[12:13], v[36:37], v[6:7] op_sel:[0,0,1] op_sel_hi:[1,1,0] neg_lo:[0,0,1] neg_hi:[0,0,1]
	v_pk_fma_f32 v[6:7], v[12:13], v[36:37], v[6:7] op_sel:[0,0,1] op_sel_hi:[1,0,0]
	s_waitcnt vmcnt(3)
	v_mov_b32_e32 v6, v39
	v_mov_b32_e32 v9, v7
	v_pk_mul_f32 v[6:7], v[14:15], v[6:7] op_sel_hi:[1,0]
	v_pk_add_f32 v[4:5], v[4:5], v[8:9]
	s_waitcnt vmcnt(2)
	v_pk_fma_f32 v[8:9], v[14:15], v[38:39], v[6:7] op_sel:[0,0,1] op_sel_hi:[1,1,0] neg_lo:[0,0,1] neg_hi:[0,0,1]
	v_pk_fma_f32 v[6:7], v[14:15], v[38:39], v[6:7] op_sel:[0,0,1] op_sel_hi:[1,0,0]
	s_waitcnt vmcnt(1)
	v_mov_b32_e32 v6, v41
	v_mov_b32_e32 v9, v7
	s_waitcnt lgkmcnt(0)
	v_pk_mul_f32 v[6:7], v[16:17], v[6:7] op_sel_hi:[1,0]
	v_pk_add_f32 v[4:5], v[4:5], v[8:9]
	s_waitcnt vmcnt(0)
	v_pk_fma_f32 v[8:9], v[16:17], v[40:41], v[6:7] op_sel:[0,0,1] op_sel_hi:[1,1,0] neg_lo:[0,0,1] neg_hi:[0,0,1]
	v_pk_fma_f32 v[6:7], v[16:17], v[40:41], v[6:7] op_sel:[0,0,1] op_sel_hi:[1,0,0]
	v_mov_b32_e32 v9, v7
	v_pk_add_f32 v[4:5], v[4:5], v[8:9]
	v_pk_add_f32 v[2:3], v[2:3], v[4:5] neg_lo:[0,1] neg_hi:[0,1]
	buffer_store_dword v3, off, s[0:3], 0 offset:316
	buffer_store_dword v2, off, s[0:3], 0 offset:312
	s_and_saveexec_b64 s[4:5], vcc
	s_cbranch_execz .LBB118_267
; %bb.266:
	buffer_load_dword v2, off, s[0:3], 0 offset:304
	buffer_load_dword v3, off, s[0:3], 0 offset:308
	s_waitcnt vmcnt(0)
	ds_write_b64 v153, v[2:3]
	buffer_store_dword v1, off, s[0:3], 0 offset:304
	buffer_store_dword v1, off, s[0:3], 0 offset:308
.LBB118_267:
	s_or_b64 exec, exec, s[4:5]
	s_waitcnt lgkmcnt(0)
	; wave barrier
	s_waitcnt lgkmcnt(0)
	buffer_load_dword v52, off, s[0:3], 0 offset:316
	buffer_load_dword v54, off, s[0:3], 0 offset:324
	;; [unrolled: 1-line block ×32, first 2 shown]
	ds_read2_b64 v[2:5], v1 offset0:95 offset1:96
	ds_read2_b64 v[6:9], v1 offset0:97 offset1:98
	;; [unrolled: 1-line block ×4, first 2 shown]
	buffer_load_dword v51, off, s[0:3], 0 offset:436
	buffer_load_dword v50, off, s[0:3], 0 offset:432
	ds_read2_b64 v[18:21], v1 offset0:103 offset1:104
	ds_read2_b64 v[22:25], v1 offset0:105 offset1:106
	;; [unrolled: 1-line block ×4, first 2 shown]
	v_cmp_lt_u32_e32 vcc, 37, v0
	s_waitcnt vmcnt(33) lgkmcnt(7)
	v_mul_f32_e32 v1, v2, v52
	v_mul_f32_e32 v52, v3, v52
	s_waitcnt vmcnt(32)
	v_mul_f32_e32 v70, v4, v54
	v_mul_f32_e32 v54, v5, v54
	s_waitcnt vmcnt(31) lgkmcnt(6)
	v_mul_f32_e32 v71, v6, v56
	v_mul_f32_e32 v56, v7, v56
	s_waitcnt vmcnt(30)
	v_mul_f32_e32 v72, v8, v57
	v_mul_f32_e32 v57, v9, v57
	s_waitcnt vmcnt(25)
	v_fmac_f32_e32 v1, v3, v62
	v_fma_f32 v2, v2, v62, -v52
	s_waitcnt vmcnt(24)
	v_fmac_f32_e32 v70, v5, v63
	v_fma_f32 v3, v4, v63, -v54
	v_add_f32_e32 v1, 0, v1
	v_add_f32_e32 v2, 0, v2
	s_waitcnt vmcnt(23)
	v_fmac_f32_e32 v71, v7, v64
	v_fma_f32 v4, v6, v64, -v56
	v_add_f32_e32 v1, v1, v70
	v_add_f32_e32 v2, v2, v3
	s_waitcnt lgkmcnt(5)
	v_mul_f32_e32 v73, v10, v58
	v_mul_f32_e32 v58, v11, v58
	s_waitcnt vmcnt(22)
	v_fmac_f32_e32 v72, v9, v65
	v_fma_f32 v5, v8, v65, -v57
	v_add_f32_e32 v1, v1, v71
	v_add_f32_e32 v2, v2, v4
	v_mul_f32_e32 v74, v12, v59
	v_mul_f32_e32 v59, v13, v59
	s_waitcnt vmcnt(21)
	v_fmac_f32_e32 v73, v11, v66
	v_fma_f32 v6, v10, v66, -v58
	v_add_f32_e32 v1, v1, v72
	v_add_f32_e32 v2, v2, v5
	s_waitcnt vmcnt(17)
	v_mov_b32_e32 v4, v35
	s_waitcnt lgkmcnt(4)
	v_mul_f32_e32 v53, v14, v60
	v_mul_f32_e32 v60, v15, v60
	v_fmac_f32_e32 v74, v13, v67
	v_fma_f32 v7, v12, v67, -v59
	v_add_f32_e32 v1, v1, v73
	v_add_f32_e32 v2, v2, v6
	s_waitcnt lgkmcnt(3)
	v_pk_mul_f32 v[4:5], v[18:19], v[4:5] op_sel_hi:[1,0]
	v_mul_f32_e32 v55, v16, v61
	v_mul_f32_e32 v61, v17, v61
	v_fmac_f32_e32 v53, v15, v68
	v_fma_f32 v52, v14, v68, -v60
	v_add_f32_e32 v3, v1, v74
	v_add_f32_e32 v2, v2, v7
	s_waitcnt vmcnt(14)
	v_pk_fma_f32 v[6:7], v[18:19], v[34:35], v[4:5] op_sel:[0,0,1] op_sel_hi:[1,1,0] neg_lo:[0,0,1] neg_hi:[0,0,1]
	v_pk_fma_f32 v[4:5], v[18:19], v[34:35], v[4:5] op_sel:[0,0,1] op_sel_hi:[1,0,0]
	v_fmac_f32_e32 v55, v17, v69
	v_fma_f32 v54, v16, v69, -v61
	v_pk_add_f32 v[2:3], v[2:3], v[52:53]
	s_waitcnt vmcnt(13)
	v_mov_b32_e32 v4, v39
	v_pk_add_f32 v[2:3], v[2:3], v[54:55]
	v_mov_b32_e32 v7, v5
	v_pk_mul_f32 v[4:5], v[20:21], v[4:5] op_sel_hi:[1,0]
	v_pk_add_f32 v[2:3], v[2:3], v[6:7]
	v_pk_fma_f32 v[6:7], v[20:21], v[38:39], v[4:5] op_sel:[0,0,1] op_sel_hi:[1,1,0] neg_lo:[0,0,1] neg_hi:[0,0,1]
	v_pk_fma_f32 v[4:5], v[20:21], v[38:39], v[4:5] op_sel:[0,0,1] op_sel_hi:[1,0,0]
	s_waitcnt vmcnt(12)
	v_mov_b32_e32 v4, v37
	v_mov_b32_e32 v7, v5
	s_waitcnt lgkmcnt(2)
	v_pk_mul_f32 v[4:5], v[22:23], v[4:5] op_sel_hi:[1,0]
	v_pk_add_f32 v[2:3], v[2:3], v[6:7]
	v_pk_fma_f32 v[6:7], v[22:23], v[36:37], v[4:5] op_sel:[0,0,1] op_sel_hi:[1,1,0] neg_lo:[0,0,1] neg_hi:[0,0,1]
	v_pk_fma_f32 v[4:5], v[22:23], v[36:37], v[4:5] op_sel:[0,0,1] op_sel_hi:[1,0,0]
	s_waitcnt vmcnt(11)
	v_mov_b32_e32 v4, v41
	v_mov_b32_e32 v7, v5
	v_pk_mul_f32 v[4:5], v[24:25], v[4:5] op_sel_hi:[1,0]
	v_pk_add_f32 v[2:3], v[2:3], v[6:7]
	s_waitcnt vmcnt(5)
	v_pk_fma_f32 v[6:7], v[24:25], v[40:41], v[4:5] op_sel:[0,0,1] op_sel_hi:[1,1,0] neg_lo:[0,0,1] neg_hi:[0,0,1]
	v_pk_fma_f32 v[4:5], v[24:25], v[40:41], v[4:5] op_sel:[0,0,1] op_sel_hi:[1,0,0]
	v_mov_b32_e32 v4, v47
	v_mov_b32_e32 v7, v5
	s_waitcnt lgkmcnt(1)
	v_pk_mul_f32 v[4:5], v[26:27], v[4:5] op_sel_hi:[1,0]
	v_pk_add_f32 v[2:3], v[2:3], v[6:7]
	v_pk_fma_f32 v[6:7], v[26:27], v[46:47], v[4:5] op_sel:[0,0,1] op_sel_hi:[1,1,0] neg_lo:[0,0,1] neg_hi:[0,0,1]
	v_pk_fma_f32 v[4:5], v[26:27], v[46:47], v[4:5] op_sel:[0,0,1] op_sel_hi:[1,0,0]
	v_mov_b32_e32 v4, v45
	v_mov_b32_e32 v7, v5
	v_pk_mul_f32 v[4:5], v[28:29], v[4:5] op_sel_hi:[1,0]
	v_pk_add_f32 v[2:3], v[2:3], v[6:7]
	v_pk_fma_f32 v[6:7], v[28:29], v[44:45], v[4:5] op_sel:[0,0,1] op_sel_hi:[1,1,0] neg_lo:[0,0,1] neg_hi:[0,0,1]
	v_pk_fma_f32 v[4:5], v[28:29], v[44:45], v[4:5] op_sel:[0,0,1] op_sel_hi:[1,0,0]
	s_waitcnt vmcnt(2)
	v_mov_b32_e32 v4, v43
	v_mov_b32_e32 v7, v5
	s_waitcnt lgkmcnt(0)
	v_pk_mul_f32 v[4:5], v[30:31], v[4:5] op_sel_hi:[1,0]
	v_pk_add_f32 v[2:3], v[2:3], v[6:7]
	v_pk_fma_f32 v[6:7], v[30:31], v[42:43], v[4:5] op_sel:[0,0,1] op_sel_hi:[1,1,0] neg_lo:[0,0,1] neg_hi:[0,0,1]
	v_pk_fma_f32 v[4:5], v[30:31], v[42:43], v[4:5] op_sel:[0,0,1] op_sel_hi:[1,0,0]
	s_waitcnt vmcnt(1)
	v_mov_b32_e32 v4, v51
	v_mov_b32_e32 v7, v5
	v_pk_mul_f32 v[4:5], v[32:33], v[4:5] op_sel_hi:[1,0]
	v_pk_add_f32 v[2:3], v[2:3], v[6:7]
	s_waitcnt vmcnt(0)
	v_pk_fma_f32 v[6:7], v[32:33], v[50:51], v[4:5] op_sel:[0,0,1] op_sel_hi:[1,1,0] neg_lo:[0,0,1] neg_hi:[0,0,1]
	v_pk_fma_f32 v[4:5], v[32:33], v[50:51], v[4:5] op_sel:[0,0,1] op_sel_hi:[1,0,0]
	v_mov_b32_e32 v7, v5
	v_pk_add_f32 v[2:3], v[2:3], v[6:7]
	v_pk_add_f32 v[2:3], v[48:49], v[2:3] neg_lo:[0,1] neg_hi:[0,1]
	buffer_store_dword v3, off, s[0:3], 0 offset:308
	buffer_store_dword v2, off, s[0:3], 0 offset:304
	s_and_saveexec_b64 s[4:5], vcc
	s_cbranch_execz .LBB118_269
; %bb.268:
	buffer_load_dword v2, off, s[0:3], 0 offset:296
	buffer_load_dword v3, off, s[0:3], 0 offset:300
	v_mov_b32_e32 v1, 0
	buffer_store_dword v1, off, s[0:3], 0 offset:296
	buffer_store_dword v1, off, s[0:3], 0 offset:300
	s_waitcnt vmcnt(2)
	ds_write_b64 v153, v[2:3]
.LBB118_269:
	s_or_b64 exec, exec, s[4:5]
	s_waitcnt lgkmcnt(0)
	; wave barrier
	s_waitcnt lgkmcnt(0)
	buffer_load_dword v44, off, s[0:3], 0 offset:308
	buffer_load_dword v46, off, s[0:3], 0 offset:316
	;; [unrolled: 1-line block ×36, first 2 shown]
	v_mov_b32_e32 v1, 0
	ds_read_b128 v[2:5], v1 offset:752
	ds_read_b128 v[6:9], v1 offset:768
	;; [unrolled: 1-line block ×6, first 2 shown]
	v_cmp_lt_u32_e32 vcc, 36, v0
	s_waitcnt vmcnt(35) lgkmcnt(5)
	v_mul_f32_e32 v64, v2, v44
	s_waitcnt vmcnt(34)
	v_mul_f32_e32 v65, v4, v46
	v_mul_f32_e32 v44, v3, v44
	s_waitcnt vmcnt(32) lgkmcnt(4)
	v_mul_f32_e32 v67, v8, v49
	v_mul_f32_e32 v49, v9, v49
	;; [unrolled: 1-line block ×5, first 2 shown]
	s_waitcnt vmcnt(31) lgkmcnt(3)
	v_mul_f32_e32 v68, v10, v50
	s_waitcnt vmcnt(26)
	v_fmac_f32_e32 v64, v3, v55
	s_waitcnt vmcnt(25)
	v_fmac_f32_e32 v65, v5, v56
	v_fma_f32 v2, v2, v55, -v44
	s_waitcnt vmcnt(23)
	v_fma_f32 v5, v8, v58, -v49
	v_add_f32_e32 v8, 0, v64
	v_fmac_f32_e32 v66, v7, v57
	v_fma_f32 v3, v4, v56, -v46
	v_add_f32_e32 v2, 0, v2
	v_add_f32_e32 v8, v8, v65
	v_fmac_f32_e32 v67, v9, v58
	v_fma_f32 v4, v6, v57, -v48
	v_add_f32_e32 v2, v2, v3
	v_add_f32_e32 v3, v8, v66
	v_mul_f32_e32 v69, v12, v51
	v_mul_f32_e32 v50, v11, v50
	s_waitcnt vmcnt(22)
	v_fmac_f32_e32 v68, v11, v59
	v_add_f32_e32 v2, v2, v4
	v_add_f32_e32 v3, v3, v67
	s_waitcnt lgkmcnt(2)
	v_mul_f32_e32 v70, v14, v52
	v_mul_f32_e32 v51, v13, v51
	s_waitcnt vmcnt(21)
	v_fmac_f32_e32 v69, v13, v60
	v_fma_f32 v6, v10, v59, -v50
	v_add_f32_e32 v2, v2, v5
	v_add_f32_e32 v3, v3, v68
	v_mul_f32_e32 v52, v15, v52
	s_waitcnt vmcnt(20)
	v_fmac_f32_e32 v70, v15, v61
	v_fma_f32 v7, v12, v60, -v51
	v_add_f32_e32 v2, v2, v6
	v_add_f32_e32 v3, v3, v69
	;; [unrolled: 1-line block ×4, first 2 shown]
	v_fma_f32 v3, v14, v61, -v52
	s_waitcnt vmcnt(17)
	v_mov_b32_e32 v14, v27
	v_mul_f32_e32 v45, v16, v53
	v_add_f32_e32 v10, v2, v3
	v_mul_f32_e32 v2, v17, v53
	s_waitcnt lgkmcnt(1)
	v_pk_mul_f32 v[14:15], v[20:21], v[14:15] op_sel_hi:[1,0]
	v_mul_f32_e32 v47, v18, v54
	v_fmac_f32_e32 v45, v17, v62
	v_fma_f32 v44, v16, v62, -v2
	v_mul_f32_e32 v2, v19, v54
	s_waitcnt vmcnt(15)
	v_pk_fma_f32 v[16:17], v[20:21], v[26:27], v[14:15] op_sel:[0,0,1] op_sel_hi:[1,1,0] neg_lo:[0,0,1] neg_hi:[0,0,1]
	v_pk_fma_f32 v[14:15], v[20:21], v[26:27], v[14:15] op_sel:[0,0,1] op_sel_hi:[1,0,0]
	v_fmac_f32_e32 v47, v19, v63
	v_fma_f32 v46, v18, v63, -v2
	v_pk_add_f32 v[10:11], v[10:11], v[44:45]
	s_waitcnt vmcnt(12)
	v_mov_b32_e32 v14, v29
	v_pk_add_f32 v[10:11], v[10:11], v[46:47]
	v_mov_b32_e32 v17, v15
	s_waitcnt lgkmcnt(0)
	v_pk_mul_f32 v[14:15], v[22:23], v[14:15] op_sel_hi:[1,0]
	v_pk_add_f32 v[10:11], v[10:11], v[16:17]
	v_pk_fma_f32 v[16:17], v[22:23], v[28:29], v[14:15] op_sel:[0,0,1] op_sel_hi:[1,1,0] neg_lo:[0,0,1] neg_hi:[0,0,1]
	v_pk_fma_f32 v[14:15], v[22:23], v[28:29], v[14:15] op_sel:[0,0,1] op_sel_hi:[1,0,0]
	s_waitcnt vmcnt(11)
	v_mov_b32_e32 v14, v33
	ds_read_b128 v[2:5], v1 offset:848
	ds_read_b128 v[6:9], v1 offset:864
	ds_read_b64 v[12:13], v1 offset:880
	v_mov_b32_e32 v17, v15
	v_pk_mul_f32 v[14:15], v[24:25], v[14:15] op_sel_hi:[1,0]
	v_pk_add_f32 v[10:11], v[10:11], v[16:17]
	s_waitcnt vmcnt(4)
	v_pk_fma_f32 v[16:17], v[24:25], v[32:33], v[14:15] op_sel:[0,0,1] op_sel_hi:[1,1,0] neg_lo:[0,0,1] neg_hi:[0,0,1]
	v_pk_fma_f32 v[14:15], v[24:25], v[32:33], v[14:15] op_sel:[0,0,1] op_sel_hi:[1,0,0]
	v_mov_b32_e32 v14, v39
	v_mov_b32_e32 v17, v15
	s_waitcnt lgkmcnt(2)
	v_pk_mul_f32 v[14:15], v[2:3], v[14:15] op_sel_hi:[1,0]
	v_pk_add_f32 v[10:11], v[10:11], v[16:17]
	v_pk_fma_f32 v[16:17], v[2:3], v[38:39], v[14:15] op_sel:[0,0,1] op_sel_hi:[1,1,0] neg_lo:[0,0,1] neg_hi:[0,0,1]
	v_pk_fma_f32 v[2:3], v[2:3], v[38:39], v[14:15] op_sel:[0,0,1] op_sel_hi:[1,0,0]
	v_mov_b32_e32 v17, v3
	v_pk_add_f32 v[2:3], v[10:11], v[16:17]
	v_mov_b32_e32 v10, v37
	v_pk_mul_f32 v[10:11], v[4:5], v[10:11] op_sel_hi:[1,0]
	v_pk_fma_f32 v[14:15], v[4:5], v[36:37], v[10:11] op_sel:[0,0,1] op_sel_hi:[1,1,0] neg_lo:[0,0,1] neg_hi:[0,0,1]
	v_pk_fma_f32 v[4:5], v[4:5], v[36:37], v[10:11] op_sel:[0,0,1] op_sel_hi:[1,0,0]
	v_mov_b32_e32 v4, v35
	v_mov_b32_e32 v15, v5
	s_waitcnt lgkmcnt(1)
	v_pk_mul_f32 v[4:5], v[6:7], v[4:5] op_sel_hi:[1,0]
	v_pk_fma_f32 v[10:11], v[6:7], v[34:35], v[4:5] op_sel:[0,0,1] op_sel_hi:[1,1,0] neg_lo:[0,0,1] neg_hi:[0,0,1]
	v_pk_fma_f32 v[4:5], v[6:7], v[34:35], v[4:5] op_sel:[0,0,1] op_sel_hi:[1,0,0]
	s_waitcnt vmcnt(1)
	v_mov_b32_e32 v4, v43
	v_mov_b32_e32 v11, v5
	v_pk_mul_f32 v[4:5], v[8:9], v[4:5] op_sel_hi:[1,0]
	s_waitcnt vmcnt(0)
	v_pk_fma_f32 v[6:7], v[8:9], v[42:43], v[4:5] op_sel:[0,0,1] op_sel_hi:[1,1,0] neg_lo:[0,0,1] neg_hi:[0,0,1]
	v_pk_fma_f32 v[4:5], v[8:9], v[42:43], v[4:5] op_sel:[0,0,1] op_sel_hi:[1,0,0]
	v_pk_add_f32 v[2:3], v[2:3], v[14:15]
	v_mov_b32_e32 v4, v41
	v_pk_add_f32 v[2:3], v[2:3], v[10:11]
	v_mov_b32_e32 v7, v5
	s_waitcnt lgkmcnt(0)
	v_pk_mul_f32 v[4:5], v[12:13], v[4:5] op_sel_hi:[1,0]
	v_pk_add_f32 v[2:3], v[2:3], v[6:7]
	v_pk_fma_f32 v[6:7], v[12:13], v[40:41], v[4:5] op_sel:[0,0,1] op_sel_hi:[1,1,0] neg_lo:[0,0,1] neg_hi:[0,0,1]
	v_pk_fma_f32 v[4:5], v[12:13], v[40:41], v[4:5] op_sel:[0,0,1] op_sel_hi:[1,0,0]
	v_mov_b32_e32 v7, v5
	v_pk_add_f32 v[2:3], v[2:3], v[6:7]
	v_pk_add_f32 v[2:3], v[30:31], v[2:3] neg_lo:[0,1] neg_hi:[0,1]
	buffer_store_dword v3, off, s[0:3], 0 offset:300
	buffer_store_dword v2, off, s[0:3], 0 offset:296
	s_and_saveexec_b64 s[4:5], vcc
	s_cbranch_execz .LBB118_271
; %bb.270:
	buffer_load_dword v2, off, s[0:3], 0 offset:288
	buffer_load_dword v3, off, s[0:3], 0 offset:292
	s_waitcnt vmcnt(0)
	ds_write_b64 v153, v[2:3]
	buffer_store_dword v1, off, s[0:3], 0 offset:288
	buffer_store_dword v1, off, s[0:3], 0 offset:292
.LBB118_271:
	s_or_b64 exec, exec, s[4:5]
	s_waitcnt lgkmcnt(0)
	; wave barrier
	s_waitcnt lgkmcnt(0)
	buffer_load_dword v44, off, s[0:3], 0 offset:300
	buffer_load_dword v46, off, s[0:3], 0 offset:308
	buffer_load_dword v48, off, s[0:3], 0 offset:316
	buffer_load_dword v49, off, s[0:3], 0 offset:324
	buffer_load_dword v50, off, s[0:3], 0 offset:332
	buffer_load_dword v51, off, s[0:3], 0 offset:340
	buffer_load_dword v52, off, s[0:3], 0 offset:348
	buffer_load_dword v53, off, s[0:3], 0 offset:356
	buffer_load_dword v54, off, s[0:3], 0 offset:364
	buffer_load_dword v55, off, s[0:3], 0 offset:372
	buffer_load_dword v56, off, s[0:3], 0 offset:296
	buffer_load_dword v57, off, s[0:3], 0 offset:304
	buffer_load_dword v58, off, s[0:3], 0 offset:312
	buffer_load_dword v59, off, s[0:3], 0 offset:320
	buffer_load_dword v60, off, s[0:3], 0 offset:328
	buffer_load_dword v61, off, s[0:3], 0 offset:336
	buffer_load_dword v62, off, s[0:3], 0 offset:344
	buffer_load_dword v63, off, s[0:3], 0 offset:352
	buffer_load_dword v64, off, s[0:3], 0 offset:360
	buffer_load_dword v65, off, s[0:3], 0 offset:368
	buffer_load_dword v26, off, s[0:3], 0 offset:288
	buffer_load_dword v27, off, s[0:3], 0 offset:292
	ds_read2_b64 v[2:5], v1 offset0:93 offset1:94
	ds_read2_b64 v[6:9], v1 offset0:95 offset1:96
	buffer_load_dword v29, off, s[0:3], 0 offset:380
	buffer_load_dword v28, off, s[0:3], 0 offset:376
	;; [unrolled: 1-line block ×10, first 2 shown]
	ds_read2_b64 v[10:13], v1 offset0:97 offset1:98
	ds_read2_b64 v[14:17], v1 offset0:99 offset1:100
	;; [unrolled: 1-line block ×4, first 2 shown]
	buffer_load_dword v39, off, s[0:3], 0 offset:436
	buffer_load_dword v38, off, s[0:3], 0 offset:432
	;; [unrolled: 1-line block ×6, first 2 shown]
	v_cmp_lt_u32_e32 vcc, 35, v0
	s_waitcnt vmcnt(37) lgkmcnt(5)
	v_mul_f32_e32 v66, v2, v44
	s_waitcnt vmcnt(36)
	v_mul_f32_e32 v67, v4, v46
	s_waitcnt vmcnt(35) lgkmcnt(4)
	v_mul_f32_e32 v68, v6, v48
	v_mul_f32_e32 v44, v3, v44
	;; [unrolled: 1-line block ×4, first 2 shown]
	s_waitcnt vmcnt(34)
	v_mul_f32_e32 v69, v8, v49
	s_waitcnt vmcnt(33) lgkmcnt(3)
	v_mul_f32_e32 v70, v10, v50
	s_waitcnt vmcnt(32)
	v_mul_f32_e32 v71, v12, v51
	s_waitcnt vmcnt(31) lgkmcnt(2)
	v_mul_f32_e32 v72, v14, v52
	s_waitcnt vmcnt(27)
	v_fmac_f32_e32 v66, v3, v56
	s_waitcnt vmcnt(26)
	v_fmac_f32_e32 v67, v5, v57
	;; [unrolled: 2-line block ×3, first 2 shown]
	v_fma_f32 v2, v2, v56, -v44
	v_add_f32_e32 v7, 0, v66
	v_fma_f32 v3, v4, v57, -v46
	v_add_f32_e32 v2, 0, v2
	v_add_f32_e32 v7, v7, v67
	s_waitcnt vmcnt(24)
	v_fmac_f32_e32 v69, v9, v59
	v_add_f32_e32 v2, v2, v3
	v_add_f32_e32 v3, v7, v68
	s_waitcnt vmcnt(23)
	v_fmac_f32_e32 v70, v11, v60
	v_add_f32_e32 v3, v3, v69
	v_mul_f32_e32 v49, v9, v49
	s_waitcnt vmcnt(22)
	v_fmac_f32_e32 v71, v13, v61
	v_fma_f32 v4, v6, v58, -v48
	v_add_f32_e32 v3, v3, v70
	v_mul_f32_e32 v73, v16, v53
	v_mul_f32_e32 v50, v11, v50
	s_waitcnt vmcnt(21)
	v_fmac_f32_e32 v72, v15, v62
	v_fma_f32 v5, v8, v59, -v49
	v_add_f32_e32 v2, v2, v4
	v_add_f32_e32 v3, v3, v71
	v_mul_f32_e32 v51, v13, v51
	s_waitcnt vmcnt(20)
	v_fmac_f32_e32 v73, v17, v63
	v_fma_f32 v6, v10, v60, -v50
	v_add_f32_e32 v2, v2, v5
	v_add_f32_e32 v3, v3, v72
	;; [unrolled: 1-line block ×4, first 2 shown]
	v_fma_f32 v3, v12, v61, -v51
	v_add_f32_e32 v2, v2, v3
	v_mul_f32_e32 v3, v15, v52
	v_fma_f32 v3, v14, v62, -v3
	v_add_f32_e32 v2, v2, v3
	v_mul_f32_e32 v3, v17, v53
	v_fma_f32 v3, v16, v63, -v3
	s_waitcnt vmcnt(15)
	v_mov_b32_e32 v16, v29
	s_waitcnt lgkmcnt(1)
	v_mul_f32_e32 v45, v18, v54
	v_add_f32_e32 v48, v2, v3
	v_mul_f32_e32 v2, v19, v54
	s_waitcnt lgkmcnt(0)
	v_pk_mul_f32 v[16:17], v[22:23], v[16:17] op_sel_hi:[1,0]
	v_mul_f32_e32 v47, v20, v55
	v_fmac_f32_e32 v45, v19, v64
	v_fma_f32 v44, v18, v64, -v2
	v_mul_f32_e32 v2, v21, v55
	s_waitcnt vmcnt(14)
	v_pk_fma_f32 v[18:19], v[22:23], v[28:29], v[16:17] op_sel:[0,0,1] op_sel_hi:[1,1,0] neg_lo:[0,0,1] neg_hi:[0,0,1]
	v_pk_fma_f32 v[16:17], v[22:23], v[28:29], v[16:17] op_sel:[0,0,1] op_sel_hi:[1,0,0]
	v_fmac_f32_e32 v47, v21, v65
	v_fma_f32 v46, v20, v65, -v2
	v_pk_add_f32 v[14:15], v[48:49], v[44:45]
	s_waitcnt vmcnt(13)
	v_mov_b32_e32 v16, v31
	ds_read2_b64 v[2:5], v1 offset0:105 offset1:106
	ds_read2_b64 v[6:9], v1 offset0:107 offset1:108
	;; [unrolled: 1-line block ×3, first 2 shown]
	v_pk_add_f32 v[14:15], v[14:15], v[46:47]
	v_mov_b32_e32 v19, v17
	v_pk_mul_f32 v[16:17], v[24:25], v[16:17] op_sel_hi:[1,0]
	v_pk_add_f32 v[14:15], v[14:15], v[18:19]
	s_waitcnt vmcnt(6)
	v_pk_fma_f32 v[18:19], v[24:25], v[30:31], v[16:17] op_sel:[0,0,1] op_sel_hi:[1,1,0] neg_lo:[0,0,1] neg_hi:[0,0,1]
	v_pk_fma_f32 v[16:17], v[24:25], v[30:31], v[16:17] op_sel:[0,0,1] op_sel_hi:[1,0,0]
	v_mov_b32_e32 v16, v37
	v_mov_b32_e32 v19, v17
	s_waitcnt lgkmcnt(2)
	v_pk_mul_f32 v[16:17], v[2:3], v[16:17] op_sel_hi:[1,0]
	v_pk_add_f32 v[14:15], v[14:15], v[18:19]
	v_pk_fma_f32 v[18:19], v[2:3], v[36:37], v[16:17] op_sel:[0,0,1] op_sel_hi:[1,1,0] neg_lo:[0,0,1] neg_hi:[0,0,1]
	v_pk_fma_f32 v[2:3], v[2:3], v[36:37], v[16:17] op_sel:[0,0,1] op_sel_hi:[1,0,0]
	v_mov_b32_e32 v19, v3
	v_pk_add_f32 v[2:3], v[14:15], v[18:19]
	v_mov_b32_e32 v14, v35
	v_pk_mul_f32 v[14:15], v[4:5], v[14:15] op_sel_hi:[1,0]
	v_pk_fma_f32 v[16:17], v[4:5], v[34:35], v[14:15] op_sel:[0,0,1] op_sel_hi:[1,1,0] neg_lo:[0,0,1] neg_hi:[0,0,1]
	v_pk_fma_f32 v[4:5], v[4:5], v[34:35], v[14:15] op_sel:[0,0,1] op_sel_hi:[1,0,0]
	v_mov_b32_e32 v4, v33
	v_mov_b32_e32 v17, v5
	s_waitcnt lgkmcnt(1)
	v_pk_mul_f32 v[4:5], v[6:7], v[4:5] op_sel_hi:[1,0]
	v_pk_fma_f32 v[14:15], v[6:7], v[32:33], v[4:5] op_sel:[0,0,1] op_sel_hi:[1,1,0] neg_lo:[0,0,1] neg_hi:[0,0,1]
	v_pk_fma_f32 v[4:5], v[6:7], v[32:33], v[4:5] op_sel:[0,0,1] op_sel_hi:[1,0,0]
	s_waitcnt vmcnt(1)
	v_mov_b32_e32 v4, v43
	v_mov_b32_e32 v15, v5
	v_pk_mul_f32 v[4:5], v[8:9], v[4:5] op_sel_hi:[1,0]
	s_waitcnt vmcnt(0)
	v_pk_fma_f32 v[6:7], v[8:9], v[42:43], v[4:5] op_sel:[0,0,1] op_sel_hi:[1,1,0] neg_lo:[0,0,1] neg_hi:[0,0,1]
	v_pk_fma_f32 v[4:5], v[8:9], v[42:43], v[4:5] op_sel:[0,0,1] op_sel_hi:[1,0,0]
	v_pk_add_f32 v[2:3], v[2:3], v[16:17]
	v_mov_b32_e32 v4, v41
	v_pk_add_f32 v[2:3], v[2:3], v[14:15]
	v_mov_b32_e32 v7, v5
	s_waitcnt lgkmcnt(0)
	v_pk_mul_f32 v[4:5], v[10:11], v[4:5] op_sel_hi:[1,0]
	v_pk_add_f32 v[2:3], v[2:3], v[6:7]
	v_pk_fma_f32 v[6:7], v[10:11], v[40:41], v[4:5] op_sel:[0,0,1] op_sel_hi:[1,1,0] neg_lo:[0,0,1] neg_hi:[0,0,1]
	v_pk_fma_f32 v[4:5], v[10:11], v[40:41], v[4:5] op_sel:[0,0,1] op_sel_hi:[1,0,0]
	v_mov_b32_e32 v4, v39
	v_mov_b32_e32 v7, v5
	v_pk_mul_f32 v[4:5], v[12:13], v[4:5] op_sel_hi:[1,0]
	v_pk_add_f32 v[2:3], v[2:3], v[6:7]
	v_pk_fma_f32 v[6:7], v[12:13], v[38:39], v[4:5] op_sel:[0,0,1] op_sel_hi:[1,1,0] neg_lo:[0,0,1] neg_hi:[0,0,1]
	v_pk_fma_f32 v[4:5], v[12:13], v[38:39], v[4:5] op_sel:[0,0,1] op_sel_hi:[1,0,0]
	v_mov_b32_e32 v7, v5
	v_pk_add_f32 v[2:3], v[2:3], v[6:7]
	v_pk_add_f32 v[2:3], v[26:27], v[2:3] neg_lo:[0,1] neg_hi:[0,1]
	buffer_store_dword v3, off, s[0:3], 0 offset:292
	buffer_store_dword v2, off, s[0:3], 0 offset:288
	s_and_saveexec_b64 s[4:5], vcc
	s_cbranch_execz .LBB118_273
; %bb.272:
	buffer_load_dword v2, off, s[0:3], 0 offset:280
	buffer_load_dword v3, off, s[0:3], 0 offset:284
	v_mov_b32_e32 v1, 0
	buffer_store_dword v1, off, s[0:3], 0 offset:280
	buffer_store_dword v1, off, s[0:3], 0 offset:284
	s_waitcnt vmcnt(2)
	ds_write_b64 v153, v[2:3]
.LBB118_273:
	s_or_b64 exec, exec, s[4:5]
	s_waitcnt lgkmcnt(0)
	; wave barrier
	s_waitcnt lgkmcnt(0)
	buffer_load_dword v44, off, s[0:3], 0 offset:292
	buffer_load_dword v46, off, s[0:3], 0 offset:300
	;; [unrolled: 1-line block ×40, first 2 shown]
	v_mov_b32_e32 v1, 0
	ds_read_b128 v[2:5], v1 offset:736
	ds_read_b128 v[6:9], v1 offset:752
	;; [unrolled: 1-line block ×6, first 2 shown]
	v_cmp_lt_u32_e32 vcc, 34, v0
	s_waitcnt vmcnt(39) lgkmcnt(5)
	v_mul_f32_e32 v68, v2, v44
	s_waitcnt vmcnt(38)
	v_mul_f32_e32 v69, v4, v46
	s_waitcnt vmcnt(37) lgkmcnt(4)
	v_mul_f32_e32 v70, v6, v48
	v_mul_f32_e32 v44, v3, v44
	;; [unrolled: 1-line block ×4, first 2 shown]
	s_waitcnt vmcnt(36)
	v_mul_f32_e32 v71, v8, v49
	s_waitcnt vmcnt(35) lgkmcnt(3)
	v_mul_f32_e32 v72, v10, v50
	s_waitcnt vmcnt(34)
	v_mul_f32_e32 v73, v12, v51
	s_waitcnt vmcnt(33) lgkmcnt(2)
	v_mul_f32_e32 v74, v14, v52
	s_waitcnt vmcnt(32)
	v_mul_f32_e32 v75, v16, v53
	s_waitcnt vmcnt(28)
	v_fmac_f32_e32 v68, v3, v57
	s_waitcnt vmcnt(27)
	v_fmac_f32_e32 v69, v5, v58
	v_fma_f32 v2, v2, v57, -v44
	v_fma_f32 v3, v4, v58, -v46
	s_waitcnt vmcnt(26)
	v_fma_f32 v4, v6, v59, -v48
	v_add_f32_e32 v6, 0, v68
	v_fmac_f32_e32 v70, v7, v59
	v_add_f32_e32 v2, 0, v2
	v_add_f32_e32 v6, v6, v69
	s_waitcnt vmcnt(25)
	v_fmac_f32_e32 v71, v9, v60
	v_add_f32_e32 v2, v2, v3
	v_add_f32_e32 v3, v6, v70
	s_waitcnt vmcnt(24)
	v_fmac_f32_e32 v72, v11, v61
	v_add_f32_e32 v3, v3, v71
	s_waitcnt vmcnt(23)
	v_fmac_f32_e32 v73, v13, v62
	;; [unrolled: 3-line block ×3, first 2 shown]
	v_add_f32_e32 v3, v3, v73
	s_waitcnt lgkmcnt(1)
	v_mul_f32_e32 v76, v18, v54
	s_waitcnt vmcnt(21)
	v_fmac_f32_e32 v75, v17, v64
	v_add_f32_e32 v3, v3, v74
	v_mul_f32_e32 v49, v9, v49
	s_waitcnt vmcnt(20)
	v_fmac_f32_e32 v76, v19, v65
	v_add_f32_e32 v3, v3, v75
	v_fma_f32 v5, v8, v60, -v49
	v_add_f32_e32 v2, v2, v4
	v_add_f32_e32 v49, v3, v76
	v_mul_f32_e32 v3, v11, v50
	v_add_f32_e32 v2, v2, v5
	v_fma_f32 v3, v10, v61, -v3
	v_add_f32_e32 v2, v2, v3
	v_mul_f32_e32 v3, v13, v51
	v_fma_f32 v3, v12, v62, -v3
	v_add_f32_e32 v2, v2, v3
	v_mul_f32_e32 v3, v15, v52
	;; [unrolled: 3-line block ×5, first 2 shown]
	s_waitcnt vmcnt(9)
	v_mov_b32_e32 v18, v35
	v_mul_f32_e32 v45, v20, v55
	v_fma_f32 v44, v20, v66, -v2
	s_waitcnt lgkmcnt(0)
	v_mul_f32_e32 v2, v23, v56
	v_pk_mul_f32 v[18:19], v[24:25], v[18:19] op_sel_hi:[1,0]
	v_mul_f32_e32 v47, v22, v56
	v_fmac_f32_e32 v45, v21, v66
	v_fma_f32 v46, v22, v67, -v2
	ds_read_b128 v[2:5], v1 offset:832
	ds_read_b128 v[6:9], v1 offset:848
	;; [unrolled: 1-line block ×3, first 2 shown]
	ds_read_b64 v[14:15], v1 offset:880
	s_waitcnt vmcnt(8)
	v_pk_fma_f32 v[20:21], v[24:25], v[34:35], v[18:19] op_sel:[0,0,1] op_sel_hi:[1,1,0] neg_lo:[0,0,1] neg_hi:[0,0,1]
	v_pk_fma_f32 v[18:19], v[24:25], v[34:35], v[18:19] op_sel:[0,0,1] op_sel_hi:[1,0,0]
	v_fmac_f32_e32 v47, v23, v67
	v_pk_add_f32 v[16:17], v[48:49], v[44:45]
	v_mov_b32_e32 v18, v33
	v_pk_add_f32 v[16:17], v[16:17], v[46:47]
	v_mov_b32_e32 v21, v19
	s_waitcnt lgkmcnt(3)
	v_pk_mul_f32 v[18:19], v[2:3], v[18:19] op_sel_hi:[1,0]
	v_pk_add_f32 v[16:17], v[16:17], v[20:21]
	v_pk_fma_f32 v[20:21], v[2:3], v[32:33], v[18:19] op_sel:[0,0,1] op_sel_hi:[1,1,0] neg_lo:[0,0,1] neg_hi:[0,0,1]
	v_pk_fma_f32 v[2:3], v[2:3], v[32:33], v[18:19] op_sel:[0,0,1] op_sel_hi:[1,0,0]
	v_mov_b32_e32 v21, v3
	v_pk_add_f32 v[2:3], v[16:17], v[20:21]
	v_mov_b32_e32 v16, v31
	v_pk_mul_f32 v[16:17], v[4:5], v[16:17] op_sel_hi:[1,0]
	v_pk_fma_f32 v[18:19], v[4:5], v[30:31], v[16:17] op_sel:[0,0,1] op_sel_hi:[1,1,0] neg_lo:[0,0,1] neg_hi:[0,0,1]
	v_pk_fma_f32 v[4:5], v[4:5], v[30:31], v[16:17] op_sel:[0,0,1] op_sel_hi:[1,0,0]
	v_mov_b32_e32 v4, v29
	v_mov_b32_e32 v19, v5
	s_waitcnt lgkmcnt(2)
	v_pk_mul_f32 v[4:5], v[6:7], v[4:5] op_sel_hi:[1,0]
	v_pk_fma_f32 v[16:17], v[6:7], v[28:29], v[4:5] op_sel:[0,0,1] op_sel_hi:[1,1,0] neg_lo:[0,0,1] neg_hi:[0,0,1]
	v_pk_fma_f32 v[4:5], v[6:7], v[28:29], v[4:5] op_sel:[0,0,1] op_sel_hi:[1,0,0]
	s_waitcnt vmcnt(1)
	v_mov_b32_e32 v4, v43
	v_mov_b32_e32 v17, v5
	v_pk_mul_f32 v[4:5], v[8:9], v[4:5] op_sel_hi:[1,0]
	s_waitcnt vmcnt(0)
	v_pk_fma_f32 v[6:7], v[8:9], v[42:43], v[4:5] op_sel:[0,0,1] op_sel_hi:[1,1,0] neg_lo:[0,0,1] neg_hi:[0,0,1]
	v_pk_fma_f32 v[4:5], v[8:9], v[42:43], v[4:5] op_sel:[0,0,1] op_sel_hi:[1,0,0]
	v_pk_add_f32 v[2:3], v[2:3], v[18:19]
	v_mov_b32_e32 v4, v41
	v_pk_add_f32 v[2:3], v[2:3], v[16:17]
	v_mov_b32_e32 v7, v5
	s_waitcnt lgkmcnt(1)
	v_pk_mul_f32 v[4:5], v[10:11], v[4:5] op_sel_hi:[1,0]
	v_pk_add_f32 v[2:3], v[2:3], v[6:7]
	v_pk_fma_f32 v[6:7], v[10:11], v[40:41], v[4:5] op_sel:[0,0,1] op_sel_hi:[1,1,0] neg_lo:[0,0,1] neg_hi:[0,0,1]
	v_pk_fma_f32 v[4:5], v[10:11], v[40:41], v[4:5] op_sel:[0,0,1] op_sel_hi:[1,0,0]
	v_mov_b32_e32 v4, v39
	v_mov_b32_e32 v7, v5
	v_pk_mul_f32 v[4:5], v[12:13], v[4:5] op_sel_hi:[1,0]
	v_pk_add_f32 v[2:3], v[2:3], v[6:7]
	v_pk_fma_f32 v[6:7], v[12:13], v[38:39], v[4:5] op_sel:[0,0,1] op_sel_hi:[1,1,0] neg_lo:[0,0,1] neg_hi:[0,0,1]
	v_pk_fma_f32 v[4:5], v[12:13], v[38:39], v[4:5] op_sel:[0,0,1] op_sel_hi:[1,0,0]
	v_mov_b32_e32 v4, v37
	v_mov_b32_e32 v7, v5
	s_waitcnt lgkmcnt(0)
	v_pk_mul_f32 v[4:5], v[14:15], v[4:5] op_sel_hi:[1,0]
	v_pk_add_f32 v[2:3], v[2:3], v[6:7]
	v_pk_fma_f32 v[6:7], v[14:15], v[36:37], v[4:5] op_sel:[0,0,1] op_sel_hi:[1,1,0] neg_lo:[0,0,1] neg_hi:[0,0,1]
	v_pk_fma_f32 v[4:5], v[14:15], v[36:37], v[4:5] op_sel:[0,0,1] op_sel_hi:[1,0,0]
	v_mov_b32_e32 v7, v5
	v_pk_add_f32 v[2:3], v[2:3], v[6:7]
	v_pk_add_f32 v[2:3], v[26:27], v[2:3] neg_lo:[0,1] neg_hi:[0,1]
	buffer_store_dword v3, off, s[0:3], 0 offset:284
	buffer_store_dword v2, off, s[0:3], 0 offset:280
	s_and_saveexec_b64 s[4:5], vcc
	s_cbranch_execz .LBB118_275
; %bb.274:
	buffer_load_dword v2, off, s[0:3], 0 offset:272
	buffer_load_dword v3, off, s[0:3], 0 offset:276
	s_waitcnt vmcnt(0)
	ds_write_b64 v153, v[2:3]
	buffer_store_dword v1, off, s[0:3], 0 offset:272
	buffer_store_dword v1, off, s[0:3], 0 offset:276
.LBB118_275:
	s_or_b64 exec, exec, s[4:5]
	s_waitcnt lgkmcnt(0)
	; wave barrier
	s_waitcnt lgkmcnt(0)
	buffer_load_dword v44, off, s[0:3], 0 offset:284
	buffer_load_dword v46, off, s[0:3], 0 offset:292
	;; [unrolled: 1-line block ×26, first 2 shown]
	ds_read2_b64 v[2:5], v1 offset0:91 offset1:92
	ds_read2_b64 v[6:9], v1 offset0:93 offset1:94
	;; [unrolled: 1-line block ×6, first 2 shown]
	buffer_load_dword v29, off, s[0:3], 0 offset:396
	buffer_load_dword v28, off, s[0:3], 0 offset:392
	;; [unrolled: 1-line block ×16, first 2 shown]
	v_cmp_lt_u32_e32 vcc, 33, v0
	s_waitcnt vmcnt(41) lgkmcnt(5)
	v_mul_f32_e32 v70, v2, v44
	s_waitcnt vmcnt(40)
	v_mul_f32_e32 v71, v4, v46
	v_mul_f32_e32 v44, v3, v44
	s_waitcnt vmcnt(39) lgkmcnt(4)
	v_mul_f32_e32 v72, v6, v48
	v_mul_f32_e32 v46, v5, v46
	s_waitcnt vmcnt(38)
	v_mul_f32_e32 v73, v8, v50
	s_waitcnt vmcnt(37) lgkmcnt(3)
	v_mul_f32_e32 v74, v10, v51
	s_waitcnt vmcnt(36)
	v_mul_f32_e32 v75, v12, v52
	s_waitcnt vmcnt(35) lgkmcnt(2)
	;; [unrolled: 4-line block ×3, first 2 shown]
	v_mul_f32_e32 v78, v18, v55
	s_waitcnt vmcnt(32)
	v_mul_f32_e32 v79, v20, v56
	s_waitcnt vmcnt(29)
	v_fmac_f32_e32 v70, v3, v49
	s_waitcnt vmcnt(28)
	v_fmac_f32_e32 v71, v5, v59
	v_fma_f32 v2, v2, v49, -v44
	v_add_f32_e32 v5, 0, v70
	s_waitcnt vmcnt(27)
	v_fmac_f32_e32 v72, v7, v60
	v_fma_f32 v3, v4, v59, -v46
	v_add_f32_e32 v2, 0, v2
	v_add_f32_e32 v5, v5, v71
	s_waitcnt vmcnt(26)
	v_fmac_f32_e32 v73, v9, v61
	v_add_f32_e32 v2, v2, v3
	v_add_f32_e32 v3, v5, v72
	s_waitcnt vmcnt(25)
	v_fmac_f32_e32 v74, v11, v62
	v_add_f32_e32 v3, v3, v73
	s_waitcnt vmcnt(24)
	v_fmac_f32_e32 v75, v13, v63
	;; [unrolled: 3-line block ×5, first 2 shown]
	v_add_f32_e32 v3, v3, v77
	v_mul_f32_e32 v48, v7, v48
	s_waitcnt vmcnt(20)
	v_fmac_f32_e32 v79, v21, v67
	v_add_f32_e32 v3, v3, v78
	v_fma_f32 v4, v6, v60, -v48
	v_add_f32_e32 v49, v3, v79
	v_mul_f32_e32 v3, v9, v50
	v_add_f32_e32 v2, v2, v4
	v_fma_f32 v3, v8, v61, -v3
	v_add_f32_e32 v2, v2, v3
	v_mul_f32_e32 v3, v11, v51
	v_fma_f32 v3, v10, v62, -v3
	v_add_f32_e32 v2, v2, v3
	v_mul_f32_e32 v3, v13, v52
	;; [unrolled: 3-line block ×6, first 2 shown]
	v_fma_f32 v3, v20, v67, -v3
	v_add_f32_e32 v48, v2, v3
	s_waitcnt lgkmcnt(0)
	v_mul_f32_e32 v2, v23, v57
	s_waitcnt vmcnt(19)
	v_fma_f32 v44, v22, v68, -v2
	v_mul_f32_e32 v2, v25, v58
	s_waitcnt vmcnt(18)
	v_fma_f32 v46, v24, v69, -v2
	ds_read2_b64 v[2:5], v1 offset0:103 offset1:104
	ds_read2_b64 v[6:9], v1 offset0:105 offset1:106
	ds_read2_b64 v[10:13], v1 offset0:107 offset1:108
	ds_read2_b64 v[14:17], v1 offset0:109 offset1:110
	v_mul_f32_e32 v45, v22, v57
	s_waitcnt vmcnt(11)
	v_mov_b32_e32 v20, v33
	v_mul_f32_e32 v47, v24, v58
	v_fmac_f32_e32 v45, v23, v68
	s_waitcnt lgkmcnt(3)
	v_pk_mul_f32 v[20:21], v[2:3], v[20:21] op_sel_hi:[1,0]
	v_fmac_f32_e32 v47, v25, v69
	v_pk_add_f32 v[18:19], v[48:49], v[44:45]
	s_waitcnt vmcnt(10)
	v_pk_fma_f32 v[22:23], v[2:3], v[32:33], v[20:21] op_sel:[0,0,1] op_sel_hi:[1,1,0] neg_lo:[0,0,1] neg_hi:[0,0,1]
	v_pk_fma_f32 v[2:3], v[2:3], v[32:33], v[20:21] op_sel:[0,0,1] op_sel_hi:[1,0,0]
	v_pk_add_f32 v[18:19], v[18:19], v[46:47]
	v_mov_b32_e32 v23, v3
	v_pk_add_f32 v[2:3], v[18:19], v[22:23]
	v_mov_b32_e32 v18, v31
	v_pk_mul_f32 v[18:19], v[4:5], v[18:19] op_sel_hi:[1,0]
	v_pk_fma_f32 v[20:21], v[4:5], v[30:31], v[18:19] op_sel:[0,0,1] op_sel_hi:[1,1,0] neg_lo:[0,0,1] neg_hi:[0,0,1]
	v_pk_fma_f32 v[4:5], v[4:5], v[30:31], v[18:19] op_sel:[0,0,1] op_sel_hi:[1,0,0]
	v_mov_b32_e32 v4, v29
	v_mov_b32_e32 v21, v5
	s_waitcnt lgkmcnt(2)
	v_pk_mul_f32 v[4:5], v[6:7], v[4:5] op_sel_hi:[1,0]
	v_pk_fma_f32 v[18:19], v[6:7], v[28:29], v[4:5] op_sel:[0,0,1] op_sel_hi:[1,1,0] neg_lo:[0,0,1] neg_hi:[0,0,1]
	v_pk_fma_f32 v[4:5], v[6:7], v[28:29], v[4:5] op_sel:[0,0,1] op_sel_hi:[1,0,0]
	s_waitcnt vmcnt(3)
	v_mov_b32_e32 v4, v41
	v_mov_b32_e32 v19, v5
	v_pk_mul_f32 v[4:5], v[8:9], v[4:5] op_sel_hi:[1,0]
	s_waitcnt vmcnt(2)
	v_pk_fma_f32 v[6:7], v[8:9], v[40:41], v[4:5] op_sel:[0,0,1] op_sel_hi:[1,1,0] neg_lo:[0,0,1] neg_hi:[0,0,1]
	v_pk_fma_f32 v[4:5], v[8:9], v[40:41], v[4:5] op_sel:[0,0,1] op_sel_hi:[1,0,0]
	v_pk_add_f32 v[2:3], v[2:3], v[20:21]
	v_mov_b32_e32 v4, v39
	v_pk_add_f32 v[2:3], v[2:3], v[18:19]
	v_mov_b32_e32 v7, v5
	s_waitcnt lgkmcnt(1)
	v_pk_mul_f32 v[4:5], v[10:11], v[4:5] op_sel_hi:[1,0]
	v_pk_add_f32 v[2:3], v[2:3], v[6:7]
	v_pk_fma_f32 v[6:7], v[10:11], v[38:39], v[4:5] op_sel:[0,0,1] op_sel_hi:[1,1,0] neg_lo:[0,0,1] neg_hi:[0,0,1]
	v_pk_fma_f32 v[4:5], v[10:11], v[38:39], v[4:5] op_sel:[0,0,1] op_sel_hi:[1,0,0]
	v_mov_b32_e32 v4, v37
	v_mov_b32_e32 v7, v5
	v_pk_mul_f32 v[4:5], v[12:13], v[4:5] op_sel_hi:[1,0]
	v_pk_add_f32 v[2:3], v[2:3], v[6:7]
	v_pk_fma_f32 v[6:7], v[12:13], v[36:37], v[4:5] op_sel:[0,0,1] op_sel_hi:[1,1,0] neg_lo:[0,0,1] neg_hi:[0,0,1]
	v_pk_fma_f32 v[4:5], v[12:13], v[36:37], v[4:5] op_sel:[0,0,1] op_sel_hi:[1,0,0]
	v_mov_b32_e32 v4, v35
	v_mov_b32_e32 v7, v5
	s_waitcnt lgkmcnt(0)
	v_pk_mul_f32 v[4:5], v[14:15], v[4:5] op_sel_hi:[1,0]
	v_pk_add_f32 v[2:3], v[2:3], v[6:7]
	v_pk_fma_f32 v[6:7], v[14:15], v[34:35], v[4:5] op_sel:[0,0,1] op_sel_hi:[1,1,0] neg_lo:[0,0,1] neg_hi:[0,0,1]
	v_pk_fma_f32 v[4:5], v[14:15], v[34:35], v[4:5] op_sel:[0,0,1] op_sel_hi:[1,0,0]
	s_waitcnt vmcnt(1)
	v_mov_b32_e32 v4, v43
	v_mov_b32_e32 v7, v5
	v_pk_mul_f32 v[4:5], v[16:17], v[4:5] op_sel_hi:[1,0]
	v_pk_add_f32 v[2:3], v[2:3], v[6:7]
	s_waitcnt vmcnt(0)
	v_pk_fma_f32 v[6:7], v[16:17], v[42:43], v[4:5] op_sel:[0,0,1] op_sel_hi:[1,1,0] neg_lo:[0,0,1] neg_hi:[0,0,1]
	v_pk_fma_f32 v[4:5], v[16:17], v[42:43], v[4:5] op_sel:[0,0,1] op_sel_hi:[1,0,0]
	v_mov_b32_e32 v7, v5
	v_pk_add_f32 v[2:3], v[2:3], v[6:7]
	v_pk_add_f32 v[2:3], v[26:27], v[2:3] neg_lo:[0,1] neg_hi:[0,1]
	buffer_store_dword v3, off, s[0:3], 0 offset:276
	buffer_store_dword v2, off, s[0:3], 0 offset:272
	s_and_saveexec_b64 s[4:5], vcc
	s_cbranch_execz .LBB118_277
; %bb.276:
	buffer_load_dword v2, off, s[0:3], 0 offset:264
	buffer_load_dword v3, off, s[0:3], 0 offset:268
	v_mov_b32_e32 v1, 0
	buffer_store_dword v1, off, s[0:3], 0 offset:264
	buffer_store_dword v1, off, s[0:3], 0 offset:268
	s_waitcnt vmcnt(2)
	ds_write_b64 v153, v[2:3]
.LBB118_277:
	s_or_b64 exec, exec, s[4:5]
	s_waitcnt lgkmcnt(0)
	; wave barrier
	s_waitcnt lgkmcnt(0)
	buffer_load_dword v52, off, s[0:3], 0 offset:276
	buffer_load_dword v54, off, s[0:3], 0 offset:284
	;; [unrolled: 1-line block ×44, first 2 shown]
	v_mov_b32_e32 v1, 0
	ds_read_b128 v[2:5], v1 offset:720
	ds_read_b128 v[6:9], v1 offset:736
	;; [unrolled: 1-line block ×8, first 2 shown]
	v_cmp_lt_u32_e32 vcc, 32, v0
	s_waitcnt vmcnt(43) lgkmcnt(7)
	v_mul_f32_e32 v57, v2, v52
	s_waitcnt vmcnt(42)
	v_mul_f32_e32 v81, v4, v54
	s_waitcnt vmcnt(41) lgkmcnt(6)
	v_mul_f32_e32 v82, v6, v56
	v_mul_f32_e32 v52, v3, v52
	s_waitcnt vmcnt(40)
	v_mul_f32_e32 v83, v8, v58
	s_waitcnt vmcnt(39) lgkmcnt(5)
	v_mul_f32_e32 v84, v10, v59
	s_waitcnt vmcnt(38)
	v_mul_f32_e32 v85, v12, v60
	s_waitcnt vmcnt(37) lgkmcnt(4)
	;; [unrolled: 4-line block ×4, first 2 shown]
	v_mul_f32_e32 v90, v22, v65
	s_waitcnt vmcnt(32)
	v_mul_f32_e32 v53, v24, v66
	s_waitcnt vmcnt(30)
	v_fmac_f32_e32 v57, v3, v68
	s_waitcnt vmcnt(29)
	v_fmac_f32_e32 v81, v5, v69
	v_add_f32_e32 v3, 0, v57
	s_waitcnt vmcnt(28)
	v_fmac_f32_e32 v82, v7, v70
	v_add_f32_e32 v3, v3, v81
	s_waitcnt vmcnt(27)
	v_fmac_f32_e32 v83, v9, v71
	v_add_f32_e32 v3, v3, v82
	s_waitcnt vmcnt(26)
	v_fmac_f32_e32 v84, v11, v72
	v_add_f32_e32 v3, v3, v83
	s_waitcnt vmcnt(25)
	v_fmac_f32_e32 v85, v13, v73
	v_add_f32_e32 v3, v3, v84
	s_waitcnt vmcnt(24)
	v_fmac_f32_e32 v86, v15, v74
	v_add_f32_e32 v3, v3, v85
	s_waitcnt vmcnt(23)
	v_fmac_f32_e32 v87, v17, v75
	v_add_f32_e32 v3, v3, v86
	s_waitcnt vmcnt(22)
	v_fmac_f32_e32 v88, v19, v76
	v_add_f32_e32 v3, v3, v87
	s_waitcnt vmcnt(21)
	v_fmac_f32_e32 v89, v21, v77
	v_add_f32_e32 v3, v3, v88
	s_waitcnt vmcnt(20)
	v_fmac_f32_e32 v90, v23, v78
	v_add_f32_e32 v3, v3, v89
	v_add_f32_e32 v57, v3, v90
	v_fma_f32 v2, v2, v68, -v52
	v_mul_f32_e32 v3, v5, v54
	v_add_f32_e32 v2, 0, v2
	v_fma_f32 v3, v4, v69, -v3
	v_add_f32_e32 v2, v2, v3
	v_mul_f32_e32 v3, v7, v56
	v_fma_f32 v3, v6, v70, -v3
	v_add_f32_e32 v2, v2, v3
	v_mul_f32_e32 v3, v9, v58
	v_fma_f32 v3, v8, v71, -v3
	v_add_f32_e32 v2, v2, v3
	v_mul_f32_e32 v3, v11, v59
	v_fma_f32 v3, v10, v72, -v3
	v_add_f32_e32 v2, v2, v3
	v_mul_f32_e32 v3, v13, v60
	v_fma_f32 v3, v12, v73, -v3
	v_add_f32_e32 v2, v2, v3
	v_mul_f32_e32 v3, v15, v61
	v_fma_f32 v3, v14, v74, -v3
	v_add_f32_e32 v2, v2, v3
	v_mul_f32_e32 v3, v17, v62
	v_fma_f32 v3, v16, v75, -v3
	v_add_f32_e32 v2, v2, v3
	v_mul_f32_e32 v3, v19, v63
	v_fma_f32 v3, v18, v76, -v3
	v_add_f32_e32 v2, v2, v3
	v_mul_f32_e32 v3, v21, v64
	v_fma_f32 v3, v20, v77, -v3
	v_add_f32_e32 v2, v2, v3
	v_mul_f32_e32 v3, v23, v65
	v_fma_f32 v3, v22, v78, -v3
	s_waitcnt vmcnt(13)
	v_mov_b32_e32 v14, v39
	v_add_f32_e32 v56, v2, v3
	v_mul_f32_e32 v2, v25, v66
	s_waitcnt lgkmcnt(1)
	v_pk_mul_f32 v[14:15], v[28:29], v[14:15] op_sel_hi:[1,0]
	v_mul_f32_e32 v55, v26, v67
	v_fmac_f32_e32 v53, v25, v79
	v_fma_f32 v52, v24, v79, -v2
	v_mul_f32_e32 v2, v27, v67
	s_waitcnt vmcnt(12)
	v_pk_fma_f32 v[16:17], v[28:29], v[38:39], v[14:15] op_sel:[0,0,1] op_sel_hi:[1,1,0] neg_lo:[0,0,1] neg_hi:[0,0,1]
	v_pk_fma_f32 v[14:15], v[28:29], v[38:39], v[14:15] op_sel:[0,0,1] op_sel_hi:[1,0,0]
	v_fmac_f32_e32 v55, v27, v80
	v_fma_f32 v54, v26, v80, -v2
	v_pk_add_f32 v[12:13], v[56:57], v[52:53]
	v_mov_b32_e32 v14, v37
	v_pk_add_f32 v[12:13], v[12:13], v[54:55]
	v_mov_b32_e32 v17, v15
	s_waitcnt lgkmcnt(0)
	v_pk_mul_f32 v[14:15], v[30:31], v[14:15] op_sel_hi:[1,0]
	v_pk_add_f32 v[12:13], v[12:13], v[16:17]
	v_pk_fma_f32 v[16:17], v[30:31], v[36:37], v[14:15] op_sel:[0,0,1] op_sel_hi:[1,1,0] neg_lo:[0,0,1] neg_hi:[0,0,1]
	v_pk_fma_f32 v[14:15], v[30:31], v[36:37], v[14:15] op_sel:[0,0,1] op_sel_hi:[1,0,0]
	s_waitcnt vmcnt(5)
	v_mov_b32_e32 v14, v47
	ds_read_b128 v[2:5], v1 offset:848
	ds_read_b128 v[6:9], v1 offset:864
	ds_read_b64 v[10:11], v1 offset:880
	v_mov_b32_e32 v17, v15
	v_pk_mul_f32 v[14:15], v[32:33], v[14:15] op_sel_hi:[1,0]
	v_pk_add_f32 v[12:13], v[12:13], v[16:17]
	s_waitcnt vmcnt(4)
	v_pk_fma_f32 v[16:17], v[32:33], v[46:47], v[14:15] op_sel:[0,0,1] op_sel_hi:[1,1,0] neg_lo:[0,0,1] neg_hi:[0,0,1]
	v_pk_fma_f32 v[14:15], v[32:33], v[46:47], v[14:15] op_sel:[0,0,1] op_sel_hi:[1,0,0]
	v_mov_b32_e32 v14, v45
	v_mov_b32_e32 v17, v15
	s_waitcnt lgkmcnt(2)
	v_pk_mul_f32 v[14:15], v[2:3], v[14:15] op_sel_hi:[1,0]
	v_pk_add_f32 v[12:13], v[12:13], v[16:17]
	v_pk_fma_f32 v[16:17], v[2:3], v[44:45], v[14:15] op_sel:[0,0,1] op_sel_hi:[1,1,0] neg_lo:[0,0,1] neg_hi:[0,0,1]
	v_pk_fma_f32 v[2:3], v[2:3], v[44:45], v[14:15] op_sel:[0,0,1] op_sel_hi:[1,0,0]
	v_mov_b32_e32 v17, v3
	v_pk_add_f32 v[2:3], v[12:13], v[16:17]
	v_mov_b32_e32 v12, v43
	v_pk_mul_f32 v[12:13], v[4:5], v[12:13] op_sel_hi:[1,0]
	v_pk_fma_f32 v[14:15], v[4:5], v[42:43], v[12:13] op_sel:[0,0,1] op_sel_hi:[1,1,0] neg_lo:[0,0,1] neg_hi:[0,0,1]
	v_pk_fma_f32 v[4:5], v[4:5], v[42:43], v[12:13] op_sel:[0,0,1] op_sel_hi:[1,0,0]
	v_mov_b32_e32 v4, v41
	v_mov_b32_e32 v15, v5
	s_waitcnt lgkmcnt(1)
	v_pk_mul_f32 v[4:5], v[6:7], v[4:5] op_sel_hi:[1,0]
	v_pk_fma_f32 v[12:13], v[6:7], v[40:41], v[4:5] op_sel:[0,0,1] op_sel_hi:[1,1,0] neg_lo:[0,0,1] neg_hi:[0,0,1]
	v_pk_fma_f32 v[4:5], v[6:7], v[40:41], v[4:5] op_sel:[0,0,1] op_sel_hi:[1,0,0]
	s_waitcnt vmcnt(1)
	v_mov_b32_e32 v4, v51
	v_mov_b32_e32 v13, v5
	v_pk_mul_f32 v[4:5], v[8:9], v[4:5] op_sel_hi:[1,0]
	s_waitcnt vmcnt(0)
	v_pk_fma_f32 v[6:7], v[8:9], v[50:51], v[4:5] op_sel:[0,0,1] op_sel_hi:[1,1,0] neg_lo:[0,0,1] neg_hi:[0,0,1]
	v_pk_fma_f32 v[4:5], v[8:9], v[50:51], v[4:5] op_sel:[0,0,1] op_sel_hi:[1,0,0]
	v_pk_add_f32 v[2:3], v[2:3], v[14:15]
	v_mov_b32_e32 v4, v49
	v_pk_add_f32 v[2:3], v[2:3], v[12:13]
	v_mov_b32_e32 v7, v5
	s_waitcnt lgkmcnt(0)
	v_pk_mul_f32 v[4:5], v[10:11], v[4:5] op_sel_hi:[1,0]
	v_pk_add_f32 v[2:3], v[2:3], v[6:7]
	v_pk_fma_f32 v[6:7], v[10:11], v[48:49], v[4:5] op_sel:[0,0,1] op_sel_hi:[1,1,0] neg_lo:[0,0,1] neg_hi:[0,0,1]
	v_pk_fma_f32 v[4:5], v[10:11], v[48:49], v[4:5] op_sel:[0,0,1] op_sel_hi:[1,0,0]
	v_mov_b32_e32 v7, v5
	v_pk_add_f32 v[2:3], v[2:3], v[6:7]
	v_pk_add_f32 v[2:3], v[34:35], v[2:3] neg_lo:[0,1] neg_hi:[0,1]
	buffer_store_dword v3, off, s[0:3], 0 offset:268
	buffer_store_dword v2, off, s[0:3], 0 offset:264
	s_and_saveexec_b64 s[4:5], vcc
	s_cbranch_execz .LBB118_279
; %bb.278:
	buffer_load_dword v2, off, s[0:3], 0 offset:256
	buffer_load_dword v3, off, s[0:3], 0 offset:260
	s_waitcnt vmcnt(0)
	ds_write_b64 v153, v[2:3]
	buffer_store_dword v1, off, s[0:3], 0 offset:256
	buffer_store_dword v1, off, s[0:3], 0 offset:260
.LBB118_279:
	s_or_b64 exec, exec, s[4:5]
	s_waitcnt lgkmcnt(0)
	; wave barrier
	s_waitcnt lgkmcnt(0)
	buffer_load_dword v52, off, s[0:3], 0 offset:268
	buffer_load_dword v54, off, s[0:3], 0 offset:276
	buffer_load_dword v56, off, s[0:3], 0 offset:284
	buffer_load_dword v58, off, s[0:3], 0 offset:292
	buffer_load_dword v59, off, s[0:3], 0 offset:300
	buffer_load_dword v60, off, s[0:3], 0 offset:308
	buffer_load_dword v61, off, s[0:3], 0 offset:316
	buffer_load_dword v62, off, s[0:3], 0 offset:324
	buffer_load_dword v63, off, s[0:3], 0 offset:332
	buffer_load_dword v64, off, s[0:3], 0 offset:340
	buffer_load_dword v65, off, s[0:3], 0 offset:348
	buffer_load_dword v66, off, s[0:3], 0 offset:356
	buffer_load_dword v67, off, s[0:3], 0 offset:364
	buffer_load_dword v68, off, s[0:3], 0 offset:264
	buffer_load_dword v69, off, s[0:3], 0 offset:272
	buffer_load_dword v70, off, s[0:3], 0 offset:280
	buffer_load_dword v71, off, s[0:3], 0 offset:288
	buffer_load_dword v72, off, s[0:3], 0 offset:296
	buffer_load_dword v73, off, s[0:3], 0 offset:304
	buffer_load_dword v74, off, s[0:3], 0 offset:312
	buffer_load_dword v75, off, s[0:3], 0 offset:320
	buffer_load_dword v76, off, s[0:3], 0 offset:328
	buffer_load_dword v77, off, s[0:3], 0 offset:336
	buffer_load_dword v78, off, s[0:3], 0 offset:344
	buffer_load_dword v79, off, s[0:3], 0 offset:352
	buffer_load_dword v80, off, s[0:3], 0 offset:360
	buffer_load_dword v81, off, s[0:3], 0 offset:372
	buffer_load_dword v82, off, s[0:3], 0 offset:368
	buffer_load_dword v34, off, s[0:3], 0 offset:256
	buffer_load_dword v35, off, s[0:3], 0 offset:260
	ds_read2_b64 v[2:5], v1 offset0:89 offset1:90
	ds_read2_b64 v[6:9], v1 offset0:91 offset1:92
	ds_read2_b64 v[10:13], v1 offset0:93 offset1:94
	ds_read2_b64 v[14:17], v1 offset0:95 offset1:96
	ds_read2_b64 v[18:21], v1 offset0:97 offset1:98
	ds_read2_b64 v[22:25], v1 offset0:99 offset1:100
	buffer_load_dword v37, off, s[0:3], 0 offset:380
	buffer_load_dword v36, off, s[0:3], 0 offset:376
	ds_read2_b64 v[26:29], v1 offset0:101 offset1:102
	ds_read2_b64 v[30:33], v1 offset0:103 offset1:104
	buffer_load_dword v39, off, s[0:3], 0 offset:412
	buffer_load_dword v38, off, s[0:3], 0 offset:408
	;; [unrolled: 1-line block ×14, first 2 shown]
	v_cmp_lt_u32_e32 vcc, 31, v0
	s_waitcnt vmcnt(45) lgkmcnt(7)
	v_mul_f32_e32 v55, v2, v52
	s_waitcnt vmcnt(44)
	v_mul_f32_e32 v57, v4, v54
	s_waitcnt vmcnt(43) lgkmcnt(6)
	v_mul_f32_e32 v83, v6, v56
	s_waitcnt vmcnt(42)
	v_mul_f32_e32 v84, v8, v58
	s_waitcnt vmcnt(41) lgkmcnt(5)
	v_mul_f32_e32 v85, v10, v59
	s_waitcnt vmcnt(40)
	v_mul_f32_e32 v86, v12, v60
	s_waitcnt vmcnt(39) lgkmcnt(4)
	v_mul_f32_e32 v87, v14, v61
	s_waitcnt vmcnt(38)
	v_mul_f32_e32 v88, v16, v62
	s_waitcnt vmcnt(37) lgkmcnt(3)
	v_mul_f32_e32 v89, v18, v63
	s_waitcnt vmcnt(36)
	v_mul_f32_e32 v90, v20, v64
	s_waitcnt vmcnt(35) lgkmcnt(2)
	v_mul_f32_e32 v91, v22, v65
	s_waitcnt vmcnt(34)
	v_mul_f32_e32 v92, v24, v66
	s_waitcnt vmcnt(33) lgkmcnt(1)
	v_mul_f32_e32 v53, v26, v67
	s_waitcnt vmcnt(32)
	v_fmac_f32_e32 v55, v3, v68
	v_mul_f32_e32 v3, v3, v52
	v_fma_f32 v2, v2, v68, -v3
	v_mul_f32_e32 v3, v5, v54
	v_add_f32_e32 v2, 0, v2
	s_waitcnt vmcnt(31)
	v_fma_f32 v3, v4, v69, -v3
	v_add_f32_e32 v2, v2, v3
	v_mul_f32_e32 v3, v7, v56
	s_waitcnt vmcnt(30)
	v_fma_f32 v3, v6, v70, -v3
	v_add_f32_e32 v2, v2, v3
	v_mul_f32_e32 v3, v9, v58
	;; [unrolled: 4-line block ×5, first 2 shown]
	s_waitcnt vmcnt(26)
	v_fma_f32 v3, v14, v74, -v3
	v_fmac_f32_e32 v57, v5, v69
	v_add_f32_e32 v55, 0, v55
	v_add_f32_e32 v2, v2, v3
	v_mul_f32_e32 v3, v17, v62
	v_fmac_f32_e32 v83, v7, v70
	v_add_f32_e32 v55, v55, v57
	s_waitcnt vmcnt(25)
	v_fma_f32 v3, v16, v75, -v3
	v_fmac_f32_e32 v84, v9, v71
	v_add_f32_e32 v55, v55, v83
	v_add_f32_e32 v2, v2, v3
	v_mul_f32_e32 v3, v19, v63
	v_fmac_f32_e32 v85, v11, v72
	v_add_f32_e32 v55, v55, v84
	;; [unrolled: 8-line block ×5, first 2 shown]
	s_waitcnt vmcnt(21)
	v_fma_f32 v3, v24, v79, -v3
	s_waitcnt vmcnt(15)
	v_mov_b32_e32 v16, v37
	v_fmac_f32_e32 v92, v25, v79
	v_add_f32_e32 v55, v55, v91
	v_add_f32_e32 v54, v2, v3
	v_mul_f32_e32 v2, v27, v67
	s_waitcnt lgkmcnt(0)
	v_pk_mul_f32 v[16:17], v[30:31], v[16:17] op_sel_hi:[1,0]
	v_fmac_f32_e32 v53, v27, v80
	v_add_f32_e32 v55, v55, v92
	v_mul_f32_e32 v57, v28, v81
	v_fma_f32 v52, v26, v80, -v2
	v_mul_f32_e32 v2, v29, v81
	s_waitcnt vmcnt(14)
	v_pk_fma_f32 v[18:19], v[30:31], v[36:37], v[16:17] op_sel:[0,0,1] op_sel_hi:[1,1,0] neg_lo:[0,0,1] neg_hi:[0,0,1]
	v_pk_fma_f32 v[16:17], v[30:31], v[36:37], v[16:17] op_sel:[0,0,1] op_sel_hi:[1,0,0]
	v_fmac_f32_e32 v57, v29, v82
	v_fma_f32 v56, v28, v82, -v2
	v_pk_add_f32 v[14:15], v[54:55], v[52:53]
	s_waitcnt vmcnt(7)
	v_mov_b32_e32 v16, v45
	ds_read2_b64 v[2:5], v1 offset0:105 offset1:106
	ds_read2_b64 v[6:9], v1 offset0:107 offset1:108
	ds_read2_b64 v[10:13], v1 offset0:109 offset1:110
	v_pk_add_f32 v[14:15], v[14:15], v[56:57]
	v_mov_b32_e32 v19, v17
	v_pk_mul_f32 v[16:17], v[32:33], v[16:17] op_sel_hi:[1,0]
	v_pk_add_f32 v[14:15], v[14:15], v[18:19]
	s_waitcnt vmcnt(6)
	v_pk_fma_f32 v[18:19], v[32:33], v[44:45], v[16:17] op_sel:[0,0,1] op_sel_hi:[1,1,0] neg_lo:[0,0,1] neg_hi:[0,0,1]
	v_pk_fma_f32 v[16:17], v[32:33], v[44:45], v[16:17] op_sel:[0,0,1] op_sel_hi:[1,0,0]
	v_mov_b32_e32 v16, v43
	v_mov_b32_e32 v19, v17
	s_waitcnt lgkmcnt(2)
	v_pk_mul_f32 v[16:17], v[2:3], v[16:17] op_sel_hi:[1,0]
	v_pk_add_f32 v[14:15], v[14:15], v[18:19]
	v_pk_fma_f32 v[18:19], v[2:3], v[42:43], v[16:17] op_sel:[0,0,1] op_sel_hi:[1,1,0] neg_lo:[0,0,1] neg_hi:[0,0,1]
	v_pk_fma_f32 v[2:3], v[2:3], v[42:43], v[16:17] op_sel:[0,0,1] op_sel_hi:[1,0,0]
	v_mov_b32_e32 v19, v3
	v_pk_add_f32 v[2:3], v[14:15], v[18:19]
	v_mov_b32_e32 v14, v41
	v_pk_mul_f32 v[14:15], v[4:5], v[14:15] op_sel_hi:[1,0]
	v_pk_fma_f32 v[16:17], v[4:5], v[40:41], v[14:15] op_sel:[0,0,1] op_sel_hi:[1,1,0] neg_lo:[0,0,1] neg_hi:[0,0,1]
	v_pk_fma_f32 v[4:5], v[4:5], v[40:41], v[14:15] op_sel:[0,0,1] op_sel_hi:[1,0,0]
	v_mov_b32_e32 v4, v39
	v_mov_b32_e32 v17, v5
	s_waitcnt lgkmcnt(1)
	v_pk_mul_f32 v[4:5], v[6:7], v[4:5] op_sel_hi:[1,0]
	v_pk_fma_f32 v[14:15], v[6:7], v[38:39], v[4:5] op_sel:[0,0,1] op_sel_hi:[1,1,0] neg_lo:[0,0,1] neg_hi:[0,0,1]
	v_pk_fma_f32 v[4:5], v[6:7], v[38:39], v[4:5] op_sel:[0,0,1] op_sel_hi:[1,0,0]
	s_waitcnt vmcnt(1)
	v_mov_b32_e32 v4, v51
	v_mov_b32_e32 v15, v5
	v_pk_mul_f32 v[4:5], v[8:9], v[4:5] op_sel_hi:[1,0]
	s_waitcnt vmcnt(0)
	v_pk_fma_f32 v[6:7], v[8:9], v[50:51], v[4:5] op_sel:[0,0,1] op_sel_hi:[1,1,0] neg_lo:[0,0,1] neg_hi:[0,0,1]
	v_pk_fma_f32 v[4:5], v[8:9], v[50:51], v[4:5] op_sel:[0,0,1] op_sel_hi:[1,0,0]
	v_pk_add_f32 v[2:3], v[2:3], v[16:17]
	v_mov_b32_e32 v4, v49
	v_pk_add_f32 v[2:3], v[2:3], v[14:15]
	v_mov_b32_e32 v7, v5
	s_waitcnt lgkmcnt(0)
	v_pk_mul_f32 v[4:5], v[10:11], v[4:5] op_sel_hi:[1,0]
	v_pk_add_f32 v[2:3], v[2:3], v[6:7]
	v_pk_fma_f32 v[6:7], v[10:11], v[48:49], v[4:5] op_sel:[0,0,1] op_sel_hi:[1,1,0] neg_lo:[0,0,1] neg_hi:[0,0,1]
	v_pk_fma_f32 v[4:5], v[10:11], v[48:49], v[4:5] op_sel:[0,0,1] op_sel_hi:[1,0,0]
	v_mov_b32_e32 v4, v47
	v_mov_b32_e32 v7, v5
	v_pk_mul_f32 v[4:5], v[12:13], v[4:5] op_sel_hi:[1,0]
	v_pk_add_f32 v[2:3], v[2:3], v[6:7]
	v_pk_fma_f32 v[6:7], v[12:13], v[46:47], v[4:5] op_sel:[0,0,1] op_sel_hi:[1,1,0] neg_lo:[0,0,1] neg_hi:[0,0,1]
	v_pk_fma_f32 v[4:5], v[12:13], v[46:47], v[4:5] op_sel:[0,0,1] op_sel_hi:[1,0,0]
	v_mov_b32_e32 v7, v5
	v_pk_add_f32 v[2:3], v[2:3], v[6:7]
	v_pk_add_f32 v[2:3], v[34:35], v[2:3] neg_lo:[0,1] neg_hi:[0,1]
	buffer_store_dword v3, off, s[0:3], 0 offset:260
	buffer_store_dword v2, off, s[0:3], 0 offset:256
	s_and_saveexec_b64 s[4:5], vcc
	s_cbranch_execz .LBB118_281
; %bb.280:
	buffer_load_dword v2, off, s[0:3], 0 offset:248
	buffer_load_dword v3, off, s[0:3], 0 offset:252
	v_mov_b32_e32 v1, 0
	buffer_store_dword v1, off, s[0:3], 0 offset:248
	buffer_store_dword v1, off, s[0:3], 0 offset:252
	s_waitcnt vmcnt(2)
	ds_write_b64 v153, v[2:3]
.LBB118_281:
	s_or_b64 exec, exec, s[4:5]
	s_waitcnt lgkmcnt(0)
	; wave barrier
	s_waitcnt lgkmcnt(0)
	buffer_load_dword v50, off, s[0:3], 0 offset:260
	buffer_load_dword v54, off, s[0:3], 0 offset:268
	;; [unrolled: 1-line block ×32, first 2 shown]
	v_mov_b32_e32 v1, 0
	buffer_load_dword v37, off, s[0:3], 0 offset:404
	buffer_load_dword v36, off, s[0:3], 0 offset:400
	;; [unrolled: 1-line block ×13, first 2 shown]
	ds_read_b128 v[2:5], v1 offset:704
	ds_read_b128 v[6:9], v1 offset:720
	ds_read_b128 v[10:13], v1 offset:736
	ds_read_b128 v[14:17], v1 offset:752
	ds_read_b128 v[18:21], v1 offset:768
	ds_read_b128 v[22:25], v1 offset:784
	ds_read_b128 v[26:29], v1 offset:800
	ds_read_b128 v[30:33], v1 offset:816
	v_cmp_lt_u32_e32 vcc, 30, v0
	s_waitcnt vmcnt(44) lgkmcnt(7)
	v_mul_f32_e32 v44, v2, v50
	s_waitcnt vmcnt(43)
	v_mul_f32_e32 v51, v4, v54
	s_waitcnt vmcnt(42) lgkmcnt(6)
	v_mul_f32_e32 v52, v6, v56
	s_waitcnt vmcnt(41)
	v_mul_f32_e32 v53, v8, v58
	;; [unrolled: 4-line block ×6, first 2 shown]
	s_waitcnt vmcnt(32) lgkmcnt(1)
	v_mul_f32_e32 v91, v26, v67
	s_waitcnt vmcnt(31)
	v_fmac_f32_e32 v44, v3, v68
	s_waitcnt vmcnt(30)
	v_fmac_f32_e32 v51, v5, v69
	v_add_f32_e32 v44, 0, v44
	s_waitcnt vmcnt(29)
	v_fmac_f32_e32 v52, v7, v70
	v_add_f32_e32 v44, v44, v51
	;; [unrolled: 3-line block ×12, first 2 shown]
	v_add_f32_e32 v51, v44, v91
	buffer_load_dword v53, off, s[0:3], 0 offset:420
	buffer_load_dword v52, off, s[0:3], 0 offset:416
	buffer_load_dword v44, off, s[0:3], 0 offset:408
	v_mul_f32_e32 v3, v3, v50
	v_fma_f32 v2, v2, v68, -v3
	v_mul_f32_e32 v3, v5, v54
	v_add_f32_e32 v2, 0, v2
	v_fma_f32 v3, v4, v69, -v3
	v_add_f32_e32 v2, v2, v3
	v_mul_f32_e32 v3, v7, v56
	v_fma_f32 v3, v6, v70, -v3
	v_add_f32_e32 v2, v2, v3
	v_mul_f32_e32 v3, v9, v58
	;; [unrolled: 3-line block ×11, first 2 shown]
	v_fma_f32 v3, v26, v80, -v3
	v_add_f32_e32 v50, v2, v3
	s_waitcnt vmcnt(21)
	v_mul_f32_e32 v2, v29, v81
	s_waitcnt vmcnt(9)
	v_mov_b32_e32 v18, v43
	v_mul_f32_e32 v55, v28, v81
	v_fma_f32 v54, v28, v82, -v2
	s_waitcnt lgkmcnt(0)
	v_mul_f32_e32 v2, v31, v83
	v_pk_mul_f32 v[18:19], v[32:33], v[18:19] op_sel_hi:[1,0]
	v_fmac_f32_e32 v55, v29, v82
	v_mul_f32_e32 v57, v30, v83
	v_fma_f32 v56, v30, v84, -v2
	ds_read_b128 v[2:5], v1 offset:832
	ds_read_b128 v[6:9], v1 offset:848
	;; [unrolled: 1-line block ×3, first 2 shown]
	ds_read_b64 v[14:15], v1 offset:880
	s_waitcnt vmcnt(8)
	v_pk_fma_f32 v[20:21], v[32:33], v[42:43], v[18:19] op_sel:[0,0,1] op_sel_hi:[1,1,0] neg_lo:[0,0,1] neg_hi:[0,0,1]
	v_pk_fma_f32 v[18:19], v[32:33], v[42:43], v[18:19] op_sel:[0,0,1] op_sel_hi:[1,0,0]
	v_fmac_f32_e32 v57, v31, v84
	v_pk_add_f32 v[16:17], v[50:51], v[54:55]
	v_mov_b32_e32 v18, v41
	v_pk_add_f32 v[16:17], v[16:17], v[56:57]
	v_mov_b32_e32 v21, v19
	s_waitcnt lgkmcnt(3)
	v_pk_mul_f32 v[18:19], v[2:3], v[18:19] op_sel_hi:[1,0]
	v_pk_add_f32 v[16:17], v[16:17], v[20:21]
	v_pk_fma_f32 v[20:21], v[2:3], v[40:41], v[18:19] op_sel:[0,0,1] op_sel_hi:[1,1,0] neg_lo:[0,0,1] neg_hi:[0,0,1]
	v_pk_fma_f32 v[2:3], v[2:3], v[40:41], v[18:19] op_sel:[0,0,1] op_sel_hi:[1,0,0]
	v_mov_b32_e32 v21, v3
	v_pk_add_f32 v[2:3], v[16:17], v[20:21]
	v_mov_b32_e32 v16, v39
	v_pk_mul_f32 v[16:17], v[4:5], v[16:17] op_sel_hi:[1,0]
	v_pk_fma_f32 v[18:19], v[4:5], v[38:39], v[16:17] op_sel:[0,0,1] op_sel_hi:[1,1,0] neg_lo:[0,0,1] neg_hi:[0,0,1]
	v_pk_fma_f32 v[4:5], v[4:5], v[38:39], v[16:17] op_sel:[0,0,1] op_sel_hi:[1,0,0]
	v_mov_b32_e32 v4, v37
	v_mov_b32_e32 v19, v5
	s_waitcnt lgkmcnt(2)
	v_pk_mul_f32 v[4:5], v[6:7], v[4:5] op_sel_hi:[1,0]
	v_pk_fma_f32 v[16:17], v[6:7], v[36:37], v[4:5] op_sel:[0,0,1] op_sel_hi:[1,1,0] neg_lo:[0,0,1] neg_hi:[0,0,1]
	v_pk_fma_f32 v[4:5], v[6:7], v[36:37], v[4:5] op_sel:[0,0,1] op_sel_hi:[1,0,0]
	s_waitcnt vmcnt(7)
	v_mov_b32_e32 v4, v45
	v_mov_b32_e32 v17, v5
	v_pk_mul_f32 v[4:5], v[8:9], v[4:5] op_sel_hi:[1,0]
	v_pk_add_f32 v[2:3], v[2:3], v[18:19]
	v_pk_add_f32 v[2:3], v[2:3], v[16:17]
	s_waitcnt vmcnt(0)
	v_pk_fma_f32 v[6:7], v[8:9], v[44:45], v[4:5] op_sel:[0,0,1] op_sel_hi:[1,1,0] neg_lo:[0,0,1] neg_hi:[0,0,1]
	v_pk_fma_f32 v[4:5], v[8:9], v[44:45], v[4:5] op_sel:[0,0,1] op_sel_hi:[1,0,0]
	v_mov_b32_e32 v4, v53
	v_mov_b32_e32 v7, v5
	s_waitcnt lgkmcnt(1)
	v_pk_mul_f32 v[4:5], v[10:11], v[4:5] op_sel_hi:[1,0]
	v_pk_add_f32 v[2:3], v[2:3], v[6:7]
	v_pk_fma_f32 v[6:7], v[10:11], v[52:53], v[4:5] op_sel:[0,0,1] op_sel_hi:[1,1,0] neg_lo:[0,0,1] neg_hi:[0,0,1]
	v_pk_fma_f32 v[4:5], v[10:11], v[52:53], v[4:5] op_sel:[0,0,1] op_sel_hi:[1,0,0]
	v_mov_b32_e32 v4, v49
	v_mov_b32_e32 v7, v5
	v_pk_mul_f32 v[4:5], v[12:13], v[4:5] op_sel_hi:[1,0]
	v_pk_add_f32 v[2:3], v[2:3], v[6:7]
	v_pk_fma_f32 v[6:7], v[12:13], v[48:49], v[4:5] op_sel:[0,0,1] op_sel_hi:[1,1,0] neg_lo:[0,0,1] neg_hi:[0,0,1]
	v_pk_fma_f32 v[4:5], v[12:13], v[48:49], v[4:5] op_sel:[0,0,1] op_sel_hi:[1,0,0]
	v_mov_b32_e32 v4, v47
	v_mov_b32_e32 v7, v5
	s_waitcnt lgkmcnt(0)
	v_pk_mul_f32 v[4:5], v[14:15], v[4:5] op_sel_hi:[1,0]
	v_pk_add_f32 v[2:3], v[2:3], v[6:7]
	v_pk_fma_f32 v[6:7], v[14:15], v[46:47], v[4:5] op_sel:[0,0,1] op_sel_hi:[1,1,0] neg_lo:[0,0,1] neg_hi:[0,0,1]
	v_pk_fma_f32 v[4:5], v[14:15], v[46:47], v[4:5] op_sel:[0,0,1] op_sel_hi:[1,0,0]
	v_mov_b32_e32 v7, v5
	v_pk_add_f32 v[2:3], v[2:3], v[6:7]
	v_pk_add_f32 v[2:3], v[34:35], v[2:3] neg_lo:[0,1] neg_hi:[0,1]
	buffer_store_dword v3, off, s[0:3], 0 offset:252
	buffer_store_dword v2, off, s[0:3], 0 offset:248
	s_and_saveexec_b64 s[4:5], vcc
	s_cbranch_execz .LBB118_283
; %bb.282:
	buffer_load_dword v2, off, s[0:3], 0 offset:240
	buffer_load_dword v3, off, s[0:3], 0 offset:244
	s_waitcnt vmcnt(0)
	ds_write_b64 v153, v[2:3]
	buffer_store_dword v1, off, s[0:3], 0 offset:240
	buffer_store_dword v1, off, s[0:3], 0 offset:244
.LBB118_283:
	s_or_b64 exec, exec, s[4:5]
	s_waitcnt lgkmcnt(0)
	; wave barrier
	s_waitcnt lgkmcnt(0)
	buffer_load_dword v50, off, s[0:3], 0 offset:252
	buffer_load_dword v52, off, s[0:3], 0 offset:260
	;; [unrolled: 1-line block ×34, first 2 shown]
	ds_read2_b64 v[2:5], v1 offset0:87 offset1:88
	ds_read2_b64 v[6:9], v1 offset0:89 offset1:90
	;; [unrolled: 1-line block ×8, first 2 shown]
	buffer_load_dword v37, off, s[0:3], 0 offset:396
	buffer_load_dword v36, off, s[0:3], 0 offset:392
	;; [unrolled: 1-line block ×9, first 2 shown]
	v_cmp_lt_u32_e32 vcc, 29, v0
	s_waitcnt vmcnt(42) lgkmcnt(7)
	v_mul_f32_e32 v42, v2, v50
	s_waitcnt vmcnt(41)
	v_mul_f32_e32 v46, v4, v52
	s_waitcnt vmcnt(40) lgkmcnt(6)
	v_mul_f32_e32 v47, v6, v54
	s_waitcnt vmcnt(39)
	v_mul_f32_e32 v48, v8, v58
	;; [unrolled: 4-line block ×7, first 2 shown]
	s_waitcnt vmcnt(28)
	v_fmac_f32_e32 v42, v3, v69
	s_waitcnt vmcnt(27)
	v_fmac_f32_e32 v46, v5, v70
	v_add_f32_e32 v42, 0, v42
	s_waitcnt vmcnt(26)
	v_fmac_f32_e32 v47, v7, v71
	v_add_f32_e32 v42, v42, v46
	;; [unrolled: 3-line block ×12, first 2 shown]
	v_add_f32_e32 v51, v42, v89
	buffer_load_dword v47, off, s[0:3], 0 offset:420
	buffer_load_dword v46, off, s[0:3], 0 offset:416
	buffer_load_dword v49, off, s[0:3], 0 offset:412
	buffer_load_dword v48, off, s[0:3], 0 offset:408
	buffer_load_dword v42, off, s[0:3], 0 offset:400
	buffer_load_dword v57, off, s[0:3], 0 offset:436
	buffer_load_dword v56, off, s[0:3], 0 offset:432
	v_mul_f32_e32 v3, v3, v50
	v_fma_f32 v2, v2, v69, -v3
	v_mul_f32_e32 v3, v5, v52
	v_add_f32_e32 v2, 0, v2
	v_fma_f32 v3, v4, v70, -v3
	v_add_f32_e32 v2, v2, v3
	v_mul_f32_e32 v3, v7, v54
	v_fma_f32 v3, v6, v71, -v3
	v_add_f32_e32 v2, v2, v3
	v_mul_f32_e32 v3, v9, v58
	;; [unrolled: 3-line block ×12, first 2 shown]
	s_waitcnt vmcnt(22)
	v_fma_f32 v3, v28, v82, -v3
	v_add_f32_e32 v50, v2, v3
	s_waitcnt vmcnt(21) lgkmcnt(0)
	v_mul_f32_e32 v2, v31, v83
	s_waitcnt vmcnt(20)
	v_fma_f32 v52, v30, v84, -v2
	s_waitcnt vmcnt(19)
	v_mul_f32_e32 v2, v33, v85
	s_waitcnt vmcnt(18)
	v_fma_f32 v54, v32, v86, -v2
	ds_read2_b64 v[2:5], v1 offset0:103 offset1:104
	ds_read2_b64 v[6:9], v1 offset0:105 offset1:106
	;; [unrolled: 1-line block ×4, first 2 shown]
	v_fmac_f32_e32 v90, v29, v82
	v_mul_f32_e32 v53, v30, v83
	s_waitcnt vmcnt(11)
	v_mov_b32_e32 v20, v41
	v_add_f32_e32 v51, v51, v90
	v_fmac_f32_e32 v53, v31, v84
	v_mul_f32_e32 v55, v32, v85
	s_waitcnt lgkmcnt(3)
	v_pk_mul_f32 v[20:21], v[2:3], v[20:21] op_sel_hi:[1,0]
	v_fmac_f32_e32 v55, v33, v86
	v_pk_add_f32 v[18:19], v[50:51], v[52:53]
	s_waitcnt vmcnt(10)
	v_pk_fma_f32 v[22:23], v[2:3], v[40:41], v[20:21] op_sel:[0,0,1] op_sel_hi:[1,1,0] neg_lo:[0,0,1] neg_hi:[0,0,1]
	v_pk_fma_f32 v[2:3], v[2:3], v[40:41], v[20:21] op_sel:[0,0,1] op_sel_hi:[1,0,0]
	v_pk_add_f32 v[18:19], v[18:19], v[54:55]
	v_mov_b32_e32 v23, v3
	v_pk_add_f32 v[2:3], v[18:19], v[22:23]
	v_mov_b32_e32 v18, v39
	v_pk_mul_f32 v[18:19], v[4:5], v[18:19] op_sel_hi:[1,0]
	v_pk_fma_f32 v[20:21], v[4:5], v[38:39], v[18:19] op_sel:[0,0,1] op_sel_hi:[1,1,0] neg_lo:[0,0,1] neg_hi:[0,0,1]
	v_pk_fma_f32 v[4:5], v[4:5], v[38:39], v[18:19] op_sel:[0,0,1] op_sel_hi:[1,0,0]
	v_mov_b32_e32 v4, v37
	v_mov_b32_e32 v21, v5
	s_waitcnt lgkmcnt(2)
	v_pk_mul_f32 v[4:5], v[6:7], v[4:5] op_sel_hi:[1,0]
	v_pk_fma_f32 v[18:19], v[6:7], v[36:37], v[4:5] op_sel:[0,0,1] op_sel_hi:[1,1,0] neg_lo:[0,0,1] neg_hi:[0,0,1]
	v_pk_fma_f32 v[4:5], v[6:7], v[36:37], v[4:5] op_sel:[0,0,1] op_sel_hi:[1,0,0]
	s_waitcnt vmcnt(9)
	v_mov_b32_e32 v4, v43
	v_mov_b32_e32 v19, v5
	v_pk_mul_f32 v[4:5], v[8:9], v[4:5] op_sel_hi:[1,0]
	v_pk_add_f32 v[2:3], v[2:3], v[20:21]
	v_pk_add_f32 v[2:3], v[2:3], v[18:19]
	s_waitcnt vmcnt(2)
	v_pk_fma_f32 v[6:7], v[8:9], v[42:43], v[4:5] op_sel:[0,0,1] op_sel_hi:[1,1,0] neg_lo:[0,0,1] neg_hi:[0,0,1]
	v_pk_fma_f32 v[4:5], v[8:9], v[42:43], v[4:5] op_sel:[0,0,1] op_sel_hi:[1,0,0]
	v_mov_b32_e32 v4, v49
	v_mov_b32_e32 v7, v5
	s_waitcnt lgkmcnt(1)
	v_pk_mul_f32 v[4:5], v[10:11], v[4:5] op_sel_hi:[1,0]
	v_pk_add_f32 v[2:3], v[2:3], v[6:7]
	v_pk_fma_f32 v[6:7], v[10:11], v[48:49], v[4:5] op_sel:[0,0,1] op_sel_hi:[1,1,0] neg_lo:[0,0,1] neg_hi:[0,0,1]
	v_pk_fma_f32 v[4:5], v[10:11], v[48:49], v[4:5] op_sel:[0,0,1] op_sel_hi:[1,0,0]
	v_mov_b32_e32 v4, v47
	v_mov_b32_e32 v7, v5
	v_pk_mul_f32 v[4:5], v[12:13], v[4:5] op_sel_hi:[1,0]
	v_pk_add_f32 v[2:3], v[2:3], v[6:7]
	v_pk_fma_f32 v[6:7], v[12:13], v[46:47], v[4:5] op_sel:[0,0,1] op_sel_hi:[1,1,0] neg_lo:[0,0,1] neg_hi:[0,0,1]
	v_pk_fma_f32 v[4:5], v[12:13], v[46:47], v[4:5] op_sel:[0,0,1] op_sel_hi:[1,0,0]
	v_mov_b32_e32 v4, v45
	v_mov_b32_e32 v7, v5
	s_waitcnt lgkmcnt(0)
	v_pk_mul_f32 v[4:5], v[14:15], v[4:5] op_sel_hi:[1,0]
	v_pk_add_f32 v[2:3], v[2:3], v[6:7]
	v_pk_fma_f32 v[6:7], v[14:15], v[44:45], v[4:5] op_sel:[0,0,1] op_sel_hi:[1,1,0] neg_lo:[0,0,1] neg_hi:[0,0,1]
	v_pk_fma_f32 v[4:5], v[14:15], v[44:45], v[4:5] op_sel:[0,0,1] op_sel_hi:[1,0,0]
	s_waitcnt vmcnt(1)
	v_mov_b32_e32 v4, v57
	v_mov_b32_e32 v7, v5
	v_pk_mul_f32 v[4:5], v[16:17], v[4:5] op_sel_hi:[1,0]
	v_pk_add_f32 v[2:3], v[2:3], v[6:7]
	s_waitcnt vmcnt(0)
	v_pk_fma_f32 v[6:7], v[16:17], v[56:57], v[4:5] op_sel:[0,0,1] op_sel_hi:[1,1,0] neg_lo:[0,0,1] neg_hi:[0,0,1]
	v_pk_fma_f32 v[4:5], v[16:17], v[56:57], v[4:5] op_sel:[0,0,1] op_sel_hi:[1,0,0]
	v_mov_b32_e32 v7, v5
	v_pk_add_f32 v[2:3], v[2:3], v[6:7]
	v_pk_add_f32 v[2:3], v[34:35], v[2:3] neg_lo:[0,1] neg_hi:[0,1]
	buffer_store_dword v3, off, s[0:3], 0 offset:244
	buffer_store_dword v2, off, s[0:3], 0 offset:240
	s_and_saveexec_b64 s[4:5], vcc
	s_cbranch_execz .LBB118_285
; %bb.284:
	buffer_load_dword v2, off, s[0:3], 0 offset:232
	buffer_load_dword v3, off, s[0:3], 0 offset:236
	v_mov_b32_e32 v1, 0
	buffer_store_dword v1, off, s[0:3], 0 offset:232
	buffer_store_dword v1, off, s[0:3], 0 offset:236
	s_waitcnt vmcnt(2)
	ds_write_b64 v153, v[2:3]
.LBB118_285:
	s_or_b64 exec, exec, s[4:5]
	s_waitcnt lgkmcnt(0)
	; wave barrier
	s_waitcnt lgkmcnt(0)
	buffer_load_dword v56, off, s[0:3], 0 offset:244
	buffer_load_dword v58, off, s[0:3], 0 offset:252
	;; [unrolled: 1-line block ×36, first 2 shown]
	v_mov_b32_e32 v1, 0
	buffer_load_dword v45, off, s[0:3], 0 offset:388
	buffer_load_dword v44, off, s[0:3], 0 offset:384
	;; [unrolled: 1-line block ×5, first 2 shown]
	ds_read_b128 v[4:7], v1 offset:688
	ds_read_b128 v[8:11], v1 offset:704
	;; [unrolled: 1-line block ×8, first 2 shown]
	v_cmp_lt_u32_e32 vcc, 28, v0
	s_waitcnt vmcnt(40) lgkmcnt(7)
	v_mul_f32_e32 v36, v4, v56
	s_waitcnt vmcnt(39)
	v_mul_f32_e32 v37, v6, v58
	s_waitcnt vmcnt(38) lgkmcnt(6)
	v_mul_f32_e32 v38, v8, v60
	s_waitcnt vmcnt(37)
	v_mul_f32_e32 v39, v10, v66
	;; [unrolled: 4-line block ×7, first 2 shown]
	s_waitcnt vmcnt(26) lgkmcnt(0)
	v_mul_f32_e32 v57, v32, v77
	s_waitcnt vmcnt(25)
	v_fmac_f32_e32 v36, v5, v78
	s_waitcnt vmcnt(24)
	v_fmac_f32_e32 v37, v7, v79
	v_add_f32_e32 v36, 0, v36
	s_waitcnt vmcnt(23)
	v_fmac_f32_e32 v38, v9, v80
	v_add_f32_e32 v36, v36, v37
	;; [unrolled: 3-line block ×13, first 2 shown]
	v_add_f32_e32 v40, v36, v54
	buffer_load_dword v51, off, s[0:3], 0 offset:420
	buffer_load_dword v50, off, s[0:3], 0 offset:416
	;; [unrolled: 1-line block ×7, first 2 shown]
	s_waitcnt vmcnt(18)
	v_fmac_f32_e32 v57, v33, v92
	ds_read_b128 v[36:39], v1 offset:816
	v_add_f32_e32 v57, v40, v57
	ds_read_b128 v[40:43], v1 offset:832
	buffer_load_dword v63, off, s[0:3], 0 offset:436
	buffer_load_dword v62, off, s[0:3], 0 offset:432
	;; [unrolled: 1-line block ×4, first 2 shown]
	v_mul_f32_e32 v5, v5, v56
	v_fma_f32 v4, v4, v78, -v5
	v_mul_f32_e32 v5, v7, v58
	v_add_f32_e32 v4, 0, v4
	v_fma_f32 v5, v6, v79, -v5
	v_add_f32_e32 v4, v4, v5
	v_mul_f32_e32 v5, v9, v60
	v_fma_f32 v5, v8, v80, -v5
	v_add_f32_e32 v4, v4, v5
	v_mul_f32_e32 v5, v11, v66
	v_fma_f32 v5, v10, v81, -v5
	v_add_f32_e32 v4, v4, v5
	v_mul_f32_e32 v5, v13, v67
	v_fma_f32 v5, v12, v82, -v5
	v_add_f32_e32 v4, v4, v5
	v_mul_f32_e32 v5, v15, v68
	v_fma_f32 v5, v14, v83, -v5
	v_add_f32_e32 v4, v4, v5
	v_mul_f32_e32 v5, v17, v69
	v_fma_f32 v5, v16, v84, -v5
	v_add_f32_e32 v4, v4, v5
	v_mul_f32_e32 v5, v19, v70
	v_fma_f32 v5, v18, v85, -v5
	v_add_f32_e32 v4, v4, v5
	v_mul_f32_e32 v5, v21, v71
	v_fma_f32 v5, v20, v86, -v5
	v_add_f32_e32 v4, v4, v5
	v_mul_f32_e32 v5, v23, v72
	v_fma_f32 v5, v22, v87, -v5
	v_add_f32_e32 v4, v4, v5
	v_mul_f32_e32 v5, v25, v73
	v_fma_f32 v5, v24, v88, -v5
	v_add_f32_e32 v4, v4, v5
	v_mul_f32_e32 v5, v27, v74
	v_fma_f32 v5, v26, v89, -v5
	v_add_f32_e32 v4, v4, v5
	v_mul_f32_e32 v5, v29, v75
	v_fma_f32 v5, v28, v90, -v5
	v_add_f32_e32 v4, v4, v5
	v_mul_f32_e32 v5, v31, v76
	v_fma_f32 v5, v30, v91, -v5
	v_add_f32_e32 v4, v4, v5
	v_mul_f32_e32 v5, v33, v77
	v_fma_f32 v5, v32, v92, -v5
	s_waitcnt vmcnt(13)
	v_mov_b32_e32 v16, v47
	v_mul_f32_e32 v59, v34, v93
	v_add_f32_e32 v56, v4, v5
	v_mul_f32_e32 v4, v35, v93
	s_waitcnt lgkmcnt(1)
	v_pk_mul_f32 v[16:17], v[38:39], v[16:17] op_sel_hi:[1,0]
	v_fmac_f32_e32 v59, v35, v94
	v_mul_f32_e32 v61, v36, v95
	v_fma_f32 v58, v34, v94, -v4
	v_mul_f32_e32 v4, v37, v95
	s_waitcnt vmcnt(12)
	v_pk_fma_f32 v[18:19], v[38:39], v[46:47], v[16:17] op_sel:[0,0,1] op_sel_hi:[1,1,0] neg_lo:[0,0,1] neg_hi:[0,0,1]
	v_pk_fma_f32 v[16:17], v[38:39], v[46:47], v[16:17] op_sel:[0,0,1] op_sel_hi:[1,0,0]
	v_fmac_f32_e32 v61, v37, v96
	v_fma_f32 v60, v36, v96, -v4
	v_pk_add_f32 v[14:15], v[56:57], v[58:59]
	v_mov_b32_e32 v16, v45
	v_pk_add_f32 v[14:15], v[14:15], v[60:61]
	v_mov_b32_e32 v19, v17
	s_waitcnt lgkmcnt(0)
	v_pk_mul_f32 v[16:17], v[40:41], v[16:17] op_sel_hi:[1,0]
	v_pk_add_f32 v[14:15], v[14:15], v[18:19]
	v_pk_fma_f32 v[18:19], v[40:41], v[44:45], v[16:17] op_sel:[0,0,1] op_sel_hi:[1,1,0] neg_lo:[0,0,1] neg_hi:[0,0,1]
	v_pk_fma_f32 v[16:17], v[40:41], v[44:45], v[16:17] op_sel:[0,0,1] op_sel_hi:[1,0,0]
	s_waitcnt vmcnt(11)
	v_mov_b32_e32 v16, v49
	ds_read_b128 v[4:7], v1 offset:848
	ds_read_b128 v[8:11], v1 offset:864
	ds_read_b64 v[12:13], v1 offset:880
	v_mov_b32_e32 v19, v17
	v_pk_mul_f32 v[16:17], v[42:43], v[16:17] op_sel_hi:[1,0]
	v_pk_add_f32 v[14:15], v[14:15], v[18:19]
	s_waitcnt vmcnt(4)
	v_pk_fma_f32 v[18:19], v[42:43], v[48:49], v[16:17] op_sel:[0,0,1] op_sel_hi:[1,1,0] neg_lo:[0,0,1] neg_hi:[0,0,1]
	v_pk_fma_f32 v[16:17], v[42:43], v[48:49], v[16:17] op_sel:[0,0,1] op_sel_hi:[1,0,0]
	v_mov_b32_e32 v16, v55
	v_mov_b32_e32 v19, v17
	s_waitcnt lgkmcnt(2)
	v_pk_mul_f32 v[16:17], v[4:5], v[16:17] op_sel_hi:[1,0]
	v_pk_add_f32 v[14:15], v[14:15], v[18:19]
	v_pk_fma_f32 v[18:19], v[4:5], v[54:55], v[16:17] op_sel:[0,0,1] op_sel_hi:[1,1,0] neg_lo:[0,0,1] neg_hi:[0,0,1]
	v_pk_fma_f32 v[4:5], v[4:5], v[54:55], v[16:17] op_sel:[0,0,1] op_sel_hi:[1,0,0]
	v_mov_b32_e32 v19, v5
	v_pk_add_f32 v[4:5], v[14:15], v[18:19]
	v_mov_b32_e32 v14, v53
	v_pk_mul_f32 v[14:15], v[6:7], v[14:15] op_sel_hi:[1,0]
	v_pk_fma_f32 v[16:17], v[6:7], v[52:53], v[14:15] op_sel:[0,0,1] op_sel_hi:[1,1,0] neg_lo:[0,0,1] neg_hi:[0,0,1]
	v_pk_fma_f32 v[6:7], v[6:7], v[52:53], v[14:15] op_sel:[0,0,1] op_sel_hi:[1,0,0]
	v_mov_b32_e32 v6, v51
	v_mov_b32_e32 v17, v7
	s_waitcnt lgkmcnt(1)
	v_pk_mul_f32 v[6:7], v[8:9], v[6:7] op_sel_hi:[1,0]
	v_pk_fma_f32 v[14:15], v[8:9], v[50:51], v[6:7] op_sel:[0,0,1] op_sel_hi:[1,1,0] neg_lo:[0,0,1] neg_hi:[0,0,1]
	v_pk_fma_f32 v[6:7], v[8:9], v[50:51], v[6:7] op_sel:[0,0,1] op_sel_hi:[1,0,0]
	s_waitcnt vmcnt(1)
	v_mov_b32_e32 v6, v65
	v_mov_b32_e32 v15, v7
	v_pk_mul_f32 v[6:7], v[10:11], v[6:7] op_sel_hi:[1,0]
	s_waitcnt vmcnt(0)
	v_pk_fma_f32 v[8:9], v[10:11], v[64:65], v[6:7] op_sel:[0,0,1] op_sel_hi:[1,1,0] neg_lo:[0,0,1] neg_hi:[0,0,1]
	v_pk_fma_f32 v[6:7], v[10:11], v[64:65], v[6:7] op_sel:[0,0,1] op_sel_hi:[1,0,0]
	v_pk_add_f32 v[4:5], v[4:5], v[16:17]
	v_mov_b32_e32 v6, v63
	v_pk_add_f32 v[4:5], v[4:5], v[14:15]
	v_mov_b32_e32 v9, v7
	s_waitcnt lgkmcnt(0)
	v_pk_mul_f32 v[6:7], v[12:13], v[6:7] op_sel_hi:[1,0]
	v_pk_add_f32 v[4:5], v[4:5], v[8:9]
	v_pk_fma_f32 v[8:9], v[12:13], v[62:63], v[6:7] op_sel:[0,0,1] op_sel_hi:[1,1,0] neg_lo:[0,0,1] neg_hi:[0,0,1]
	v_pk_fma_f32 v[6:7], v[12:13], v[62:63], v[6:7] op_sel:[0,0,1] op_sel_hi:[1,0,0]
	v_mov_b32_e32 v9, v7
	v_pk_add_f32 v[4:5], v[4:5], v[8:9]
	v_pk_add_f32 v[2:3], v[2:3], v[4:5] neg_lo:[0,1] neg_hi:[0,1]
	buffer_store_dword v3, off, s[0:3], 0 offset:236
	buffer_store_dword v2, off, s[0:3], 0 offset:232
	s_and_saveexec_b64 s[4:5], vcc
	s_cbranch_execz .LBB118_287
; %bb.286:
	buffer_load_dword v2, off, s[0:3], 0 offset:224
	buffer_load_dword v3, off, s[0:3], 0 offset:228
	s_waitcnt vmcnt(0)
	ds_write_b64 v153, v[2:3]
	buffer_store_dword v1, off, s[0:3], 0 offset:224
	buffer_store_dword v1, off, s[0:3], 0 offset:228
.LBB118_287:
	s_or_b64 exec, exec, s[4:5]
	s_waitcnt lgkmcnt(0)
	; wave barrier
	s_waitcnt lgkmcnt(0)
	buffer_load_dword v54, off, s[0:3], 0 offset:236
	buffer_load_dword v56, off, s[0:3], 0 offset:244
	;; [unrolled: 1-line block ×38, first 2 shown]
	ds_read2_b64 v[2:5], v1 offset0:85 offset1:86
	ds_read2_b64 v[6:9], v1 offset0:87 offset1:88
	;; [unrolled: 1-line block ×8, first 2 shown]
	buffer_load_dword v45, off, s[0:3], 0 offset:380
	buffer_load_dword v44, off, s[0:3], 0 offset:376
	buffer_load_dword v47, off, s[0:3], 0 offset:412
	buffer_load_dword v46, off, s[0:3], 0 offset:408
	v_cmp_lt_u32_e32 vcc, 27, v0
	s_waitcnt vmcnt(41) lgkmcnt(7)
	v_mul_f32_e32 v34, v2, v54
	s_waitcnt vmcnt(40)
	v_mul_f32_e32 v35, v4, v56
	s_waitcnt vmcnt(39) lgkmcnt(6)
	v_mul_f32_e32 v36, v6, v58
	s_waitcnt vmcnt(38)
	v_mul_f32_e32 v37, v8, v66
	;; [unrolled: 4-line block ×7, first 2 shown]
	s_waitcnt vmcnt(27) lgkmcnt(0)
	v_mul_f32_e32 v55, v30, v77
	s_waitcnt vmcnt(26)
	v_fmac_f32_e32 v34, v3, v78
	s_waitcnt vmcnt(25)
	v_fmac_f32_e32 v35, v5, v79
	v_add_f32_e32 v34, 0, v34
	s_waitcnt vmcnt(24)
	v_fmac_f32_e32 v36, v7, v80
	v_add_f32_e32 v34, v34, v35
	;; [unrolled: 3-line block ×13, first 2 shown]
	v_add_f32_e32 v34, v34, v53
	buffer_load_dword v49, off, s[0:3], 0 offset:404
	buffer_load_dword v48, off, s[0:3], 0 offset:400
	;; [unrolled: 1-line block ×6, first 2 shown]
	s_waitcnt vmcnt(18)
	v_fmac_f32_e32 v55, v31, v92
	s_waitcnt vmcnt(17)
	v_mul_f32_e32 v39, v32, v93
	v_add_f32_e32 v38, v34, v55
	s_waitcnt vmcnt(16)
	v_fmac_f32_e32 v39, v33, v94
	ds_read2_b64 v[34:37], v1 offset0:101 offset1:102
	v_add_f32_e32 v55, v38, v39
	ds_read2_b64 v[38:41], v1 offset0:103 offset1:104
	buffer_load_dword v61, off, s[0:3], 0 offset:436
	buffer_load_dword v60, off, s[0:3], 0 offset:432
	;; [unrolled: 1-line block ×6, first 2 shown]
	v_mul_f32_e32 v3, v3, v54
	v_fma_f32 v2, v2, v78, -v3
	v_mul_f32_e32 v3, v5, v56
	v_add_f32_e32 v2, 0, v2
	v_fma_f32 v3, v4, v79, -v3
	v_add_f32_e32 v2, v2, v3
	v_mul_f32_e32 v3, v7, v58
	v_fma_f32 v3, v6, v80, -v3
	v_add_f32_e32 v2, v2, v3
	v_mul_f32_e32 v3, v9, v66
	;; [unrolled: 3-line block ×14, first 2 shown]
	v_fma_f32 v3, v32, v94, -v3
	s_waitcnt vmcnt(15)
	v_mov_b32_e32 v16, v45
	s_waitcnt lgkmcnt(1)
	v_mul_f32_e32 v57, v34, v95
	v_add_f32_e32 v54, v2, v3
	v_mul_f32_e32 v2, v35, v95
	s_waitcnt lgkmcnt(0)
	v_pk_mul_f32 v[16:17], v[38:39], v[16:17] op_sel_hi:[1,0]
	v_fmac_f32_e32 v57, v35, v96
	v_mul_f32_e32 v59, v36, v97
	v_fma_f32 v56, v34, v96, -v2
	v_mul_f32_e32 v2, v37, v97
	s_waitcnt vmcnt(14)
	v_pk_fma_f32 v[18:19], v[38:39], v[44:45], v[16:17] op_sel:[0,0,1] op_sel_hi:[1,1,0] neg_lo:[0,0,1] neg_hi:[0,0,1]
	v_pk_fma_f32 v[16:17], v[38:39], v[44:45], v[16:17] op_sel:[0,0,1] op_sel_hi:[1,0,0]
	v_fmac_f32_e32 v59, v37, v98
	v_fma_f32 v58, v36, v98, -v2
	v_pk_add_f32 v[14:15], v[54:55], v[56:57]
	ds_read2_b64 v[2:5], v1 offset0:105 offset1:106
	ds_read2_b64 v[6:9], v1 offset0:107 offset1:108
	;; [unrolled: 1-line block ×3, first 2 shown]
	v_pk_add_f32 v[14:15], v[14:15], v[58:59]
	v_mov_b32_e32 v19, v17
	v_pk_add_f32 v[14:15], v[14:15], v[18:19]
	s_waitcnt vmcnt(7)
	v_mov_b32_e32 v16, v53
	v_pk_mul_f32 v[16:17], v[40:41], v[16:17] op_sel_hi:[1,0]
	s_waitcnt vmcnt(6)
	v_pk_fma_f32 v[18:19], v[40:41], v[52:53], v[16:17] op_sel:[0,0,1] op_sel_hi:[1,1,0] neg_lo:[0,0,1] neg_hi:[0,0,1]
	v_pk_fma_f32 v[16:17], v[40:41], v[52:53], v[16:17] op_sel:[0,0,1] op_sel_hi:[1,0,0]
	v_mov_b32_e32 v16, v51
	v_mov_b32_e32 v19, v17
	s_waitcnt lgkmcnt(2)
	v_pk_mul_f32 v[16:17], v[2:3], v[16:17] op_sel_hi:[1,0]
	v_pk_add_f32 v[14:15], v[14:15], v[18:19]
	v_pk_fma_f32 v[18:19], v[2:3], v[50:51], v[16:17] op_sel:[0,0,1] op_sel_hi:[1,1,0] neg_lo:[0,0,1] neg_hi:[0,0,1]
	v_pk_fma_f32 v[2:3], v[2:3], v[50:51], v[16:17] op_sel:[0,0,1] op_sel_hi:[1,0,0]
	v_mov_b32_e32 v19, v3
	v_pk_add_f32 v[2:3], v[14:15], v[18:19]
	v_mov_b32_e32 v14, v49
	v_pk_mul_f32 v[14:15], v[4:5], v[14:15] op_sel_hi:[1,0]
	v_pk_fma_f32 v[16:17], v[4:5], v[48:49], v[14:15] op_sel:[0,0,1] op_sel_hi:[1,1,0] neg_lo:[0,0,1] neg_hi:[0,0,1]
	v_pk_fma_f32 v[4:5], v[4:5], v[48:49], v[14:15] op_sel:[0,0,1] op_sel_hi:[1,0,0]
	v_mov_b32_e32 v4, v47
	v_mov_b32_e32 v17, v5
	s_waitcnt lgkmcnt(1)
	v_pk_mul_f32 v[4:5], v[6:7], v[4:5] op_sel_hi:[1,0]
	v_pk_fma_f32 v[14:15], v[6:7], v[46:47], v[4:5] op_sel:[0,0,1] op_sel_hi:[1,1,0] neg_lo:[0,0,1] neg_hi:[0,0,1]
	v_pk_fma_f32 v[4:5], v[6:7], v[46:47], v[4:5] op_sel:[0,0,1] op_sel_hi:[1,0,0]
	s_waitcnt vmcnt(1)
	v_mov_b32_e32 v4, v65
	v_mov_b32_e32 v15, v5
	v_pk_mul_f32 v[4:5], v[8:9], v[4:5] op_sel_hi:[1,0]
	s_waitcnt vmcnt(0)
	v_pk_fma_f32 v[6:7], v[8:9], v[64:65], v[4:5] op_sel:[0,0,1] op_sel_hi:[1,1,0] neg_lo:[0,0,1] neg_hi:[0,0,1]
	v_pk_fma_f32 v[4:5], v[8:9], v[64:65], v[4:5] op_sel:[0,0,1] op_sel_hi:[1,0,0]
	v_pk_add_f32 v[2:3], v[2:3], v[16:17]
	v_mov_b32_e32 v4, v63
	v_pk_add_f32 v[2:3], v[2:3], v[14:15]
	v_mov_b32_e32 v7, v5
	s_waitcnt lgkmcnt(0)
	v_pk_mul_f32 v[4:5], v[10:11], v[4:5] op_sel_hi:[1,0]
	v_pk_add_f32 v[2:3], v[2:3], v[6:7]
	v_pk_fma_f32 v[6:7], v[10:11], v[62:63], v[4:5] op_sel:[0,0,1] op_sel_hi:[1,1,0] neg_lo:[0,0,1] neg_hi:[0,0,1]
	v_pk_fma_f32 v[4:5], v[10:11], v[62:63], v[4:5] op_sel:[0,0,1] op_sel_hi:[1,0,0]
	v_mov_b32_e32 v4, v61
	v_mov_b32_e32 v7, v5
	v_pk_mul_f32 v[4:5], v[12:13], v[4:5] op_sel_hi:[1,0]
	v_pk_add_f32 v[2:3], v[2:3], v[6:7]
	v_pk_fma_f32 v[6:7], v[12:13], v[60:61], v[4:5] op_sel:[0,0,1] op_sel_hi:[1,1,0] neg_lo:[0,0,1] neg_hi:[0,0,1]
	v_pk_fma_f32 v[4:5], v[12:13], v[60:61], v[4:5] op_sel:[0,0,1] op_sel_hi:[1,0,0]
	v_mov_b32_e32 v7, v5
	v_pk_add_f32 v[2:3], v[2:3], v[6:7]
	v_pk_add_f32 v[2:3], v[42:43], v[2:3] neg_lo:[0,1] neg_hi:[0,1]
	buffer_store_dword v3, off, s[0:3], 0 offset:228
	buffer_store_dword v2, off, s[0:3], 0 offset:224
	s_and_saveexec_b64 s[4:5], vcc
	s_cbranch_execz .LBB118_289
; %bb.288:
	buffer_load_dword v2, off, s[0:3], 0 offset:216
	buffer_load_dword v3, off, s[0:3], 0 offset:220
	v_mov_b32_e32 v1, 0
	buffer_store_dword v1, off, s[0:3], 0 offset:216
	buffer_store_dword v1, off, s[0:3], 0 offset:220
	s_waitcnt vmcnt(2)
	ds_write_b64 v153, v[2:3]
.LBB118_289:
	s_or_b64 exec, exec, s[4:5]
	s_waitcnt lgkmcnt(0)
	; wave barrier
	s_waitcnt lgkmcnt(0)
	buffer_load_dword v52, off, s[0:3], 0 offset:228
	buffer_load_dword v54, off, s[0:3], 0 offset:236
	;; [unrolled: 1-line block ×40, first 2 shown]
	v_mov_b32_e32 v1, 0
	ds_read_b128 v[4:7], v1 offset:672
	ds_read_b128 v[8:11], v1 offset:688
	;; [unrolled: 1-line block ×8, first 2 shown]
	v_cmp_lt_u32_e32 vcc, 26, v0
	s_waitcnt vmcnt(39) lgkmcnt(7)
	v_mul_f32_e32 v36, v4, v52
	s_waitcnt vmcnt(38)
	v_mul_f32_e32 v37, v6, v54
	s_waitcnt vmcnt(37) lgkmcnt(6)
	v_mul_f32_e32 v38, v8, v56
	s_waitcnt vmcnt(36)
	v_mul_f32_e32 v39, v10, v66
	;; [unrolled: 4-line block ×8, first 2 shown]
	s_waitcnt vmcnt(23)
	v_fmac_f32_e32 v36, v5, v79
	s_waitcnt vmcnt(22)
	v_fmac_f32_e32 v37, v7, v80
	v_add_f32_e32 v36, 0, v36
	s_waitcnt vmcnt(21)
	v_fmac_f32_e32 v38, v9, v81
	v_add_f32_e32 v36, v36, v37
	;; [unrolled: 3-line block ×14, first 2 shown]
	v_add_f32_e32 v36, v36, v50
	s_waitcnt vmcnt(8)
	v_fmac_f32_e32 v51, v35, v94
	v_add_f32_e32 v53, v36, v51
	ds_read_b128 v[36:39], v1 offset:800
	buffer_load_dword v45, off, s[0:3], 0 offset:380
	buffer_load_dword v47, off, s[0:3], 0 offset:404
	;; [unrolled: 1-line block ×8, first 2 shown]
	ds_read_b128 v[40:43], v1 offset:816
	buffer_load_dword v59, off, s[0:3], 0 offset:436
	buffer_load_dword v58, off, s[0:3], 0 offset:432
	;; [unrolled: 1-line block ×8, first 2 shown]
	v_mul_f32_e32 v5, v5, v52
	v_fma_f32 v4, v4, v79, -v5
	v_mul_f32_e32 v5, v7, v54
	v_add_f32_e32 v4, 0, v4
	v_fma_f32 v5, v6, v80, -v5
	v_add_f32_e32 v4, v4, v5
	v_mul_f32_e32 v5, v9, v56
	v_fma_f32 v5, v8, v81, -v5
	v_add_f32_e32 v4, v4, v5
	v_mul_f32_e32 v5, v11, v66
	;; [unrolled: 3-line block ×14, first 2 shown]
	v_fma_f32 v5, v34, v94, -v5
	v_add_f32_e32 v4, v4, v5
	s_waitcnt vmcnt(23) lgkmcnt(1)
	v_mul_f32_e32 v5, v37, v95
	v_mul_f32_e32 v55, v36, v95
	s_waitcnt vmcnt(22)
	v_fma_f32 v5, v36, v96, -v5
	v_fmac_f32_e32 v55, v37, v96
	v_add_f32_e32 v52, v4, v5
	s_waitcnt vmcnt(21)
	v_mul_f32_e32 v4, v39, v97
	v_add_f32_e32 v53, v53, v55
	v_mul_f32_e32 v55, v38, v97
	s_waitcnt vmcnt(20)
	v_fma_f32 v54, v38, v98, -v4
	s_waitcnt vmcnt(19) lgkmcnt(0)
	v_mul_f32_e32 v4, v41, v99
	v_fmac_f32_e32 v55, v39, v98
	v_mul_f32_e32 v57, v40, v99
	s_waitcnt vmcnt(18)
	v_fma_f32 v56, v40, v100, -v4
	ds_read_b128 v[4:7], v1 offset:832
	ds_read_b128 v[8:11], v1 offset:848
	;; [unrolled: 1-line block ×3, first 2 shown]
	ds_read_b64 v[16:17], v1 offset:880
	v_fmac_f32_e32 v57, v41, v100
	v_pk_add_f32 v[18:19], v[52:53], v[54:55]
	v_pk_add_f32 v[18:19], v[18:19], v[56:57]
	s_waitcnt vmcnt(15)
	v_mov_b32_e32 v20, v45
	v_pk_mul_f32 v[20:21], v[42:43], v[20:21] op_sel_hi:[1,0]
	s_waitcnt vmcnt(8)
	v_pk_fma_f32 v[22:23], v[42:43], v[44:45], v[20:21] op_sel:[0,0,1] op_sel_hi:[1,1,0] neg_lo:[0,0,1] neg_hi:[0,0,1]
	v_pk_fma_f32 v[20:21], v[42:43], v[44:45], v[20:21] op_sel:[0,0,1] op_sel_hi:[1,0,0]
	v_mov_b32_e32 v20, v51
	v_mov_b32_e32 v23, v21
	s_waitcnt lgkmcnt(3)
	v_pk_mul_f32 v[20:21], v[4:5], v[20:21] op_sel_hi:[1,0]
	v_pk_add_f32 v[18:19], v[18:19], v[22:23]
	v_pk_fma_f32 v[22:23], v[4:5], v[50:51], v[20:21] op_sel:[0,0,1] op_sel_hi:[1,1,0] neg_lo:[0,0,1] neg_hi:[0,0,1]
	v_pk_fma_f32 v[4:5], v[4:5], v[50:51], v[20:21] op_sel:[0,0,1] op_sel_hi:[1,0,0]
	v_mov_b32_e32 v23, v5
	v_pk_add_f32 v[4:5], v[18:19], v[22:23]
	v_mov_b32_e32 v18, v49
	v_pk_mul_f32 v[18:19], v[6:7], v[18:19] op_sel_hi:[1,0]
	v_pk_fma_f32 v[20:21], v[6:7], v[48:49], v[18:19] op_sel:[0,0,1] op_sel_hi:[1,1,0] neg_lo:[0,0,1] neg_hi:[0,0,1]
	v_pk_fma_f32 v[6:7], v[6:7], v[48:49], v[18:19] op_sel:[0,0,1] op_sel_hi:[1,0,0]
	v_mov_b32_e32 v6, v47
	v_mov_b32_e32 v21, v7
	s_waitcnt lgkmcnt(2)
	v_pk_mul_f32 v[6:7], v[8:9], v[6:7] op_sel_hi:[1,0]
	v_pk_fma_f32 v[18:19], v[8:9], v[46:47], v[6:7] op_sel:[0,0,1] op_sel_hi:[1,1,0] neg_lo:[0,0,1] neg_hi:[0,0,1]
	v_pk_fma_f32 v[6:7], v[8:9], v[46:47], v[6:7] op_sel:[0,0,1] op_sel_hi:[1,0,0]
	s_waitcnt vmcnt(1)
	v_mov_b32_e32 v6, v65
	v_mov_b32_e32 v19, v7
	v_pk_mul_f32 v[6:7], v[10:11], v[6:7] op_sel_hi:[1,0]
	s_waitcnt vmcnt(0)
	v_pk_fma_f32 v[8:9], v[10:11], v[64:65], v[6:7] op_sel:[0,0,1] op_sel_hi:[1,1,0] neg_lo:[0,0,1] neg_hi:[0,0,1]
	v_pk_fma_f32 v[6:7], v[10:11], v[64:65], v[6:7] op_sel:[0,0,1] op_sel_hi:[1,0,0]
	v_pk_add_f32 v[4:5], v[4:5], v[20:21]
	v_mov_b32_e32 v6, v63
	v_pk_add_f32 v[4:5], v[4:5], v[18:19]
	v_mov_b32_e32 v9, v7
	s_waitcnt lgkmcnt(1)
	v_pk_mul_f32 v[6:7], v[12:13], v[6:7] op_sel_hi:[1,0]
	v_pk_add_f32 v[4:5], v[4:5], v[8:9]
	v_pk_fma_f32 v[8:9], v[12:13], v[62:63], v[6:7] op_sel:[0,0,1] op_sel_hi:[1,1,0] neg_lo:[0,0,1] neg_hi:[0,0,1]
	v_pk_fma_f32 v[6:7], v[12:13], v[62:63], v[6:7] op_sel:[0,0,1] op_sel_hi:[1,0,0]
	v_mov_b32_e32 v6, v61
	v_mov_b32_e32 v9, v7
	v_pk_mul_f32 v[6:7], v[14:15], v[6:7] op_sel_hi:[1,0]
	v_pk_add_f32 v[4:5], v[4:5], v[8:9]
	v_pk_fma_f32 v[8:9], v[14:15], v[60:61], v[6:7] op_sel:[0,0,1] op_sel_hi:[1,1,0] neg_lo:[0,0,1] neg_hi:[0,0,1]
	v_pk_fma_f32 v[6:7], v[14:15], v[60:61], v[6:7] op_sel:[0,0,1] op_sel_hi:[1,0,0]
	v_mov_b32_e32 v6, v59
	v_mov_b32_e32 v9, v7
	s_waitcnt lgkmcnt(0)
	v_pk_mul_f32 v[6:7], v[16:17], v[6:7] op_sel_hi:[1,0]
	v_pk_add_f32 v[4:5], v[4:5], v[8:9]
	v_pk_fma_f32 v[8:9], v[16:17], v[58:59], v[6:7] op_sel:[0,0,1] op_sel_hi:[1,1,0] neg_lo:[0,0,1] neg_hi:[0,0,1]
	v_pk_fma_f32 v[6:7], v[16:17], v[58:59], v[6:7] op_sel:[0,0,1] op_sel_hi:[1,0,0]
	v_mov_b32_e32 v9, v7
	v_pk_add_f32 v[4:5], v[4:5], v[8:9]
	v_pk_add_f32 v[2:3], v[2:3], v[4:5] neg_lo:[0,1] neg_hi:[0,1]
	buffer_store_dword v3, off, s[0:3], 0 offset:220
	buffer_store_dword v2, off, s[0:3], 0 offset:216
	s_and_saveexec_b64 s[4:5], vcc
	s_cbranch_execz .LBB118_291
; %bb.290:
	buffer_load_dword v2, off, s[0:3], 0 offset:208
	buffer_load_dword v3, off, s[0:3], 0 offset:212
	s_waitcnt vmcnt(0)
	ds_write_b64 v153, v[2:3]
	buffer_store_dword v1, off, s[0:3], 0 offset:208
	buffer_store_dword v1, off, s[0:3], 0 offset:212
.LBB118_291:
	s_or_b64 exec, exec, s[4:5]
	s_waitcnt lgkmcnt(0)
	; wave barrier
	s_waitcnt lgkmcnt(0)
	buffer_load_dword v44, off, s[0:3], 0 offset:220
	buffer_load_dword v46, off, s[0:3], 0 offset:228
	buffer_load_dword v54, off, s[0:3], 0 offset:236
	buffer_load_dword v66, off, s[0:3], 0 offset:244
	buffer_load_dword v67, off, s[0:3], 0 offset:252
	buffer_load_dword v68, off, s[0:3], 0 offset:260
	buffer_load_dword v69, off, s[0:3], 0 offset:268
	buffer_load_dword v70, off, s[0:3], 0 offset:276
	buffer_load_dword v71, off, s[0:3], 0 offset:284
	buffer_load_dword v72, off, s[0:3], 0 offset:292
	buffer_load_dword v73, off, s[0:3], 0 offset:300
	buffer_load_dword v74, off, s[0:3], 0 offset:308
	buffer_load_dword v75, off, s[0:3], 0 offset:316
	buffer_load_dword v76, off, s[0:3], 0 offset:324
	buffer_load_dword v77, off, s[0:3], 0 offset:332
	buffer_load_dword v78, off, s[0:3], 0 offset:216
	buffer_load_dword v79, off, s[0:3], 0 offset:224
	buffer_load_dword v80, off, s[0:3], 0 offset:232
	buffer_load_dword v81, off, s[0:3], 0 offset:240
	buffer_load_dword v82, off, s[0:3], 0 offset:248
	buffer_load_dword v83, off, s[0:3], 0 offset:256
	buffer_load_dword v84, off, s[0:3], 0 offset:264
	buffer_load_dword v85, off, s[0:3], 0 offset:272
	buffer_load_dword v86, off, s[0:3], 0 offset:280
	buffer_load_dword v87, off, s[0:3], 0 offset:288
	buffer_load_dword v88, off, s[0:3], 0 offset:296
	buffer_load_dword v89, off, s[0:3], 0 offset:304
	buffer_load_dword v90, off, s[0:3], 0 offset:312
	buffer_load_dword v91, off, s[0:3], 0 offset:320
	buffer_load_dword v92, off, s[0:3], 0 offset:328
	buffer_load_dword v93, off, s[0:3], 0 offset:340
	buffer_load_dword v94, off, s[0:3], 0 offset:336
	buffer_load_dword v95, off, s[0:3], 0 offset:348
	buffer_load_dword v96, off, s[0:3], 0 offset:344
	buffer_load_dword v97, off, s[0:3], 0 offset:356
	buffer_load_dword v98, off, s[0:3], 0 offset:352
	buffer_load_dword v99, off, s[0:3], 0 offset:364
	buffer_load_dword v100, off, s[0:3], 0 offset:360
	buffer_load_dword v101, off, s[0:3], 0 offset:372
	buffer_load_dword v102, off, s[0:3], 0 offset:368
	buffer_load_dword v2, off, s[0:3], 0 offset:208
	buffer_load_dword v3, off, s[0:3], 0 offset:212
	ds_read2_b64 v[4:7], v1 offset0:83 offset1:84
	ds_read2_b64 v[8:11], v1 offset0:85 offset1:86
	;; [unrolled: 1-line block ×8, first 2 shown]
	v_cmp_lt_u32_e32 vcc, 25, v0
	s_waitcnt vmcnt(41) lgkmcnt(7)
	v_mul_f32_e32 v36, v4, v44
	s_waitcnt vmcnt(40)
	v_mul_f32_e32 v37, v6, v46
	s_waitcnt vmcnt(39) lgkmcnt(6)
	v_mul_f32_e32 v38, v8, v54
	s_waitcnt vmcnt(38)
	v_mul_f32_e32 v39, v10, v66
	;; [unrolled: 4-line block ×7, first 2 shown]
	s_waitcnt vmcnt(27) lgkmcnt(0)
	v_mul_f32_e32 v52, v32, v77
	s_waitcnt vmcnt(26)
	v_fmac_f32_e32 v36, v5, v78
	s_waitcnt vmcnt(25)
	v_fmac_f32_e32 v37, v7, v79
	v_add_f32_e32 v36, 0, v36
	s_waitcnt vmcnt(24)
	v_fmac_f32_e32 v38, v9, v80
	v_add_f32_e32 v36, v36, v37
	;; [unrolled: 3-line block ×14, first 2 shown]
	s_waitcnt vmcnt(11)
	v_mul_f32_e32 v41, v34, v93
	v_add_f32_e32 v40, v36, v52
	s_waitcnt vmcnt(10)
	v_fmac_f32_e32 v41, v35, v94
	ds_read2_b64 v[36:39], v1 offset0:99 offset1:100
	v_add_f32_e32 v45, v40, v41
	ds_read2_b64 v[40:43], v1 offset0:101 offset1:102
	buffer_load_dword v49, off, s[0:3], 0 offset:380
	buffer_load_dword v51, off, s[0:3], 0 offset:396
	;; [unrolled: 1-line block ×16, first 2 shown]
	v_mul_f32_e32 v5, v5, v44
	v_fma_f32 v4, v4, v78, -v5
	v_mul_f32_e32 v5, v7, v46
	v_add_f32_e32 v4, 0, v4
	v_fma_f32 v5, v6, v79, -v5
	v_add_f32_e32 v4, v4, v5
	v_mul_f32_e32 v5, v9, v54
	v_fma_f32 v5, v8, v80, -v5
	v_add_f32_e32 v4, v4, v5
	v_mul_f32_e32 v5, v11, v66
	;; [unrolled: 3-line block ×14, first 2 shown]
	v_fma_f32 v5, v34, v94, -v5
	v_add_f32_e32 v4, v4, v5
	s_waitcnt vmcnt(25) lgkmcnt(1)
	v_mul_f32_e32 v5, v37, v95
	s_waitcnt vmcnt(24)
	v_fma_f32 v5, v36, v96, -v5
	v_add_f32_e32 v4, v4, v5
	s_waitcnt vmcnt(23)
	v_mul_f32_e32 v5, v39, v97
	v_mul_f32_e32 v47, v36, v95
	s_waitcnt vmcnt(22)
	v_fma_f32 v5, v38, v98, -v5
	v_fmac_f32_e32 v47, v37, v96
	v_add_f32_e32 v44, v4, v5
	s_waitcnt vmcnt(21) lgkmcnt(0)
	v_mul_f32_e32 v4, v41, v99
	v_add_f32_e32 v45, v45, v47
	v_mul_f32_e32 v47, v38, v97
	s_waitcnt vmcnt(20)
	v_fma_f32 v46, v40, v100, -v4
	s_waitcnt vmcnt(19)
	v_mul_f32_e32 v4, v43, v101
	v_fmac_f32_e32 v47, v39, v98
	s_waitcnt vmcnt(18)
	v_fma_f32 v54, v42, v102, -v4
	ds_read2_b64 v[4:7], v1 offset0:103 offset1:104
	ds_read2_b64 v[8:11], v1 offset0:105 offset1:106
	;; [unrolled: 1-line block ×4, first 2 shown]
	v_add_f32_e32 v45, v45, v47
	v_mul_f32_e32 v47, v40, v99
	v_fmac_f32_e32 v47, v41, v100
	v_mul_f32_e32 v55, v42, v101
	v_fmac_f32_e32 v55, v43, v102
	v_pk_add_f32 v[20:21], v[44:45], v[46:47]
	v_pk_add_f32 v[20:21], v[20:21], v[54:55]
	s_waitcnt vmcnt(15)
	v_mov_b32_e32 v22, v49
	s_waitcnt lgkmcnt(3)
	v_pk_mul_f32 v[22:23], v[4:5], v[22:23] op_sel_hi:[1,0]
	s_waitcnt vmcnt(10)
	v_pk_fma_f32 v[24:25], v[4:5], v[48:49], v[22:23] op_sel:[0,0,1] op_sel_hi:[1,1,0] neg_lo:[0,0,1] neg_hi:[0,0,1]
	v_pk_fma_f32 v[4:5], v[4:5], v[48:49], v[22:23] op_sel:[0,0,1] op_sel_hi:[1,0,0]
	v_mov_b32_e32 v25, v5
	v_pk_add_f32 v[4:5], v[20:21], v[24:25]
	v_mov_b32_e32 v20, v53
	v_pk_mul_f32 v[20:21], v[6:7], v[20:21] op_sel_hi:[1,0]
	v_pk_fma_f32 v[22:23], v[6:7], v[52:53], v[20:21] op_sel:[0,0,1] op_sel_hi:[1,1,0] neg_lo:[0,0,1] neg_hi:[0,0,1]
	v_pk_fma_f32 v[6:7], v[6:7], v[52:53], v[20:21] op_sel:[0,0,1] op_sel_hi:[1,0,0]
	v_mov_b32_e32 v6, v51
	v_mov_b32_e32 v23, v7
	s_waitcnt lgkmcnt(2)
	v_pk_mul_f32 v[6:7], v[8:9], v[6:7] op_sel_hi:[1,0]
	v_pk_fma_f32 v[20:21], v[8:9], v[50:51], v[6:7] op_sel:[0,0,1] op_sel_hi:[1,1,0] neg_lo:[0,0,1] neg_hi:[0,0,1]
	v_pk_fma_f32 v[6:7], v[8:9], v[50:51], v[6:7] op_sel:[0,0,1] op_sel_hi:[1,0,0]
	s_waitcnt vmcnt(3)
	v_mov_b32_e32 v6, v63
	v_mov_b32_e32 v21, v7
	v_pk_mul_f32 v[6:7], v[10:11], v[6:7] op_sel_hi:[1,0]
	s_waitcnt vmcnt(2)
	v_pk_fma_f32 v[8:9], v[10:11], v[62:63], v[6:7] op_sel:[0,0,1] op_sel_hi:[1,1,0] neg_lo:[0,0,1] neg_hi:[0,0,1]
	v_pk_fma_f32 v[6:7], v[10:11], v[62:63], v[6:7] op_sel:[0,0,1] op_sel_hi:[1,0,0]
	v_pk_add_f32 v[4:5], v[4:5], v[22:23]
	v_mov_b32_e32 v6, v61
	v_pk_add_f32 v[4:5], v[4:5], v[20:21]
	v_mov_b32_e32 v9, v7
	s_waitcnt lgkmcnt(1)
	v_pk_mul_f32 v[6:7], v[12:13], v[6:7] op_sel_hi:[1,0]
	v_pk_add_f32 v[4:5], v[4:5], v[8:9]
	v_pk_fma_f32 v[8:9], v[12:13], v[60:61], v[6:7] op_sel:[0,0,1] op_sel_hi:[1,1,0] neg_lo:[0,0,1] neg_hi:[0,0,1]
	v_pk_fma_f32 v[6:7], v[12:13], v[60:61], v[6:7] op_sel:[0,0,1] op_sel_hi:[1,0,0]
	v_mov_b32_e32 v6, v59
	v_mov_b32_e32 v9, v7
	v_pk_mul_f32 v[6:7], v[14:15], v[6:7] op_sel_hi:[1,0]
	v_pk_add_f32 v[4:5], v[4:5], v[8:9]
	v_pk_fma_f32 v[8:9], v[14:15], v[58:59], v[6:7] op_sel:[0,0,1] op_sel_hi:[1,1,0] neg_lo:[0,0,1] neg_hi:[0,0,1]
	v_pk_fma_f32 v[6:7], v[14:15], v[58:59], v[6:7] op_sel:[0,0,1] op_sel_hi:[1,0,0]
	v_mov_b32_e32 v6, v57
	v_mov_b32_e32 v9, v7
	s_waitcnt lgkmcnt(0)
	v_pk_mul_f32 v[6:7], v[16:17], v[6:7] op_sel_hi:[1,0]
	v_pk_add_f32 v[4:5], v[4:5], v[8:9]
	v_pk_fma_f32 v[8:9], v[16:17], v[56:57], v[6:7] op_sel:[0,0,1] op_sel_hi:[1,1,0] neg_lo:[0,0,1] neg_hi:[0,0,1]
	v_pk_fma_f32 v[6:7], v[16:17], v[56:57], v[6:7] op_sel:[0,0,1] op_sel_hi:[1,0,0]
	s_waitcnt vmcnt(1)
	v_mov_b32_e32 v6, v65
	v_mov_b32_e32 v9, v7
	v_pk_mul_f32 v[6:7], v[18:19], v[6:7] op_sel_hi:[1,0]
	v_pk_add_f32 v[4:5], v[4:5], v[8:9]
	s_waitcnt vmcnt(0)
	v_pk_fma_f32 v[8:9], v[18:19], v[64:65], v[6:7] op_sel:[0,0,1] op_sel_hi:[1,1,0] neg_lo:[0,0,1] neg_hi:[0,0,1]
	v_pk_fma_f32 v[6:7], v[18:19], v[64:65], v[6:7] op_sel:[0,0,1] op_sel_hi:[1,0,0]
	v_mov_b32_e32 v9, v7
	v_pk_add_f32 v[4:5], v[4:5], v[8:9]
	v_pk_add_f32 v[2:3], v[2:3], v[4:5] neg_lo:[0,1] neg_hi:[0,1]
	buffer_store_dword v3, off, s[0:3], 0 offset:212
	buffer_store_dword v2, off, s[0:3], 0 offset:208
	s_and_saveexec_b64 s[4:5], vcc
	s_cbranch_execz .LBB118_293
; %bb.292:
	buffer_load_dword v2, off, s[0:3], 0 offset:200
	buffer_load_dword v3, off, s[0:3], 0 offset:204
	v_mov_b32_e32 v1, 0
	buffer_store_dword v1, off, s[0:3], 0 offset:200
	buffer_store_dword v1, off, s[0:3], 0 offset:204
	s_waitcnt vmcnt(2)
	ds_write_b64 v153, v[2:3]
.LBB118_293:
	s_or_b64 exec, exec, s[4:5]
	s_waitcnt lgkmcnt(0)
	; wave barrier
	s_waitcnt lgkmcnt(0)
	buffer_load_dword v52, off, s[0:3], 0 offset:212
	buffer_load_dword v58, off, s[0:3], 0 offset:220
	;; [unrolled: 1-line block ×44, first 2 shown]
	v_mov_b32_e32 v1, 0
	ds_read_b128 v[4:7], v1 offset:656
	ds_read_b128 v[8:11], v1 offset:672
	;; [unrolled: 1-line block ×8, first 2 shown]
	v_cmp_lt_u32_e32 vcc, 24, v0
	s_waitcnt vmcnt(43) lgkmcnt(7)
	v_mul_f32_e32 v36, v4, v52
	s_waitcnt vmcnt(42)
	v_mul_f32_e32 v37, v6, v58
	s_waitcnt vmcnt(41) lgkmcnt(6)
	v_mul_f32_e32 v38, v8, v60
	s_waitcnt vmcnt(40)
	v_mul_f32_e32 v39, v10, v74
	;; [unrolled: 4-line block ×7, first 2 shown]
	s_waitcnt vmcnt(29)
	v_fmac_f32_e32 v36, v5, v85
	s_waitcnt vmcnt(28)
	v_fmac_f32_e32 v37, v7, v86
	v_add_f32_e32 v36, 0, v36
	s_waitcnt vmcnt(27)
	v_fmac_f32_e32 v38, v9, v87
	v_add_f32_e32 v36, v36, v37
	;; [unrolled: 3-line block ×12, first 2 shown]
	v_add_f32_e32 v36, v36, v48
	s_waitcnt vmcnt(16)
	v_fmac_f32_e32 v49, v31, v98
	s_waitcnt vmcnt(15) lgkmcnt(0)
	v_mul_f32_e32 v37, v32, v99
	v_add_f32_e32 v36, v36, v49
	s_waitcnt vmcnt(14)
	v_fmac_f32_e32 v37, v33, v100
	v_add_f32_e32 v40, v36, v37
	ds_read_b128 v[36:39], v1 offset:784
	s_waitcnt vmcnt(13)
	v_mul_f32_e32 v41, v34, v101
	s_waitcnt vmcnt(12)
	v_fmac_f32_e32 v41, v35, v102
	v_add_f32_e32 v44, v40, v41
	ds_read_b128 v[40:43], v1 offset:800
	s_waitcnt vmcnt(11) lgkmcnt(1)
	v_mul_f32_e32 v45, v36, v103
	s_waitcnt vmcnt(10)
	v_fmac_f32_e32 v45, v37, v104
	v_add_f32_e32 v44, v44, v45
	s_waitcnt vmcnt(9)
	v_mul_f32_e32 v45, v38, v105
	s_waitcnt vmcnt(8)
	v_fmac_f32_e32 v45, v39, v106
	v_add_f32_e32 v44, v44, v45
	s_waitcnt vmcnt(7) lgkmcnt(0)
	v_mul_f32_e32 v45, v40, v107
	s_waitcnt vmcnt(6)
	v_fmac_f32_e32 v45, v41, v108
	v_add_f32_e32 v53, v44, v45
	ds_read_b128 v[44:47], v1 offset:816
	buffer_load_dword v55, off, s[0:3], 0 offset:388
	buffer_load_dword v54, off, s[0:3], 0 offset:384
	;; [unrolled: 1-line block ×4, first 2 shown]
	ds_read_b128 v[48:51], v1 offset:832
	buffer_load_dword v63, off, s[0:3], 0 offset:420
	buffer_load_dword v62, off, s[0:3], 0 offset:416
	;; [unrolled: 1-line block ×12, first 2 shown]
	v_mul_f32_e32 v5, v5, v52
	v_fma_f32 v4, v4, v85, -v5
	v_mul_f32_e32 v5, v7, v58
	v_add_f32_e32 v4, 0, v4
	v_fma_f32 v5, v6, v86, -v5
	v_add_f32_e32 v4, v4, v5
	v_mul_f32_e32 v5, v9, v60
	v_fma_f32 v5, v8, v87, -v5
	v_add_f32_e32 v4, v4, v5
	v_mul_f32_e32 v5, v11, v74
	;; [unrolled: 3-line block ×17, first 2 shown]
	v_fma_f32 v5, v40, v108, -v5
	s_waitcnt vmcnt(21)
	v_mul_f32_e32 v59, v42, v109
	v_add_f32_e32 v52, v4, v5
	v_mul_f32_e32 v4, v43, v109
	s_waitcnt vmcnt(20)
	v_fmac_f32_e32 v59, v43, v110
	s_waitcnt vmcnt(19) lgkmcnt(1)
	v_mul_f32_e32 v61, v44, v111
	v_fma_f32 v58, v42, v110, -v4
	v_mul_f32_e32 v4, v45, v111
	s_waitcnt vmcnt(18)
	v_fmac_f32_e32 v61, v45, v112
	v_fma_f32 v60, v44, v112, -v4
	v_pk_add_f32 v[14:15], v[52:53], v[58:59]
	v_pk_add_f32 v[14:15], v[14:15], v[60:61]
	ds_read_b128 v[4:7], v1 offset:848
	ds_read_b128 v[8:11], v1 offset:864
	ds_read_b64 v[12:13], v1 offset:880
	s_waitcnt vmcnt(13)
	v_mov_b32_e32 v16, v57
	v_pk_mul_f32 v[16:17], v[46:47], v[16:17] op_sel_hi:[1,0]
	s_waitcnt vmcnt(12)
	v_pk_fma_f32 v[18:19], v[46:47], v[56:57], v[16:17] op_sel:[0,0,1] op_sel_hi:[1,1,0] neg_lo:[0,0,1] neg_hi:[0,0,1]
	v_pk_fma_f32 v[16:17], v[46:47], v[56:57], v[16:17] op_sel:[0,0,1] op_sel_hi:[1,0,0]
	v_mov_b32_e32 v16, v55
	v_mov_b32_e32 v19, v17
	s_waitcnt lgkmcnt(3)
	v_pk_mul_f32 v[16:17], v[48:49], v[16:17] op_sel_hi:[1,0]
	v_pk_add_f32 v[14:15], v[14:15], v[18:19]
	v_pk_fma_f32 v[18:19], v[48:49], v[54:55], v[16:17] op_sel:[0,0,1] op_sel_hi:[1,1,0] neg_lo:[0,0,1] neg_hi:[0,0,1]
	v_pk_fma_f32 v[16:17], v[48:49], v[54:55], v[16:17] op_sel:[0,0,1] op_sel_hi:[1,0,0]
	s_waitcnt vmcnt(5)
	v_mov_b32_e32 v16, v69
	v_mov_b32_e32 v19, v17
	v_pk_mul_f32 v[16:17], v[50:51], v[16:17] op_sel_hi:[1,0]
	v_pk_add_f32 v[14:15], v[14:15], v[18:19]
	s_waitcnt vmcnt(4)
	v_pk_fma_f32 v[18:19], v[50:51], v[68:69], v[16:17] op_sel:[0,0,1] op_sel_hi:[1,1,0] neg_lo:[0,0,1] neg_hi:[0,0,1]
	v_pk_fma_f32 v[16:17], v[50:51], v[68:69], v[16:17] op_sel:[0,0,1] op_sel_hi:[1,0,0]
	v_mov_b32_e32 v16, v67
	v_mov_b32_e32 v19, v17
	s_waitcnt lgkmcnt(2)
	v_pk_mul_f32 v[16:17], v[4:5], v[16:17] op_sel_hi:[1,0]
	v_pk_add_f32 v[14:15], v[14:15], v[18:19]
	v_pk_fma_f32 v[18:19], v[4:5], v[66:67], v[16:17] op_sel:[0,0,1] op_sel_hi:[1,1,0] neg_lo:[0,0,1] neg_hi:[0,0,1]
	v_pk_fma_f32 v[4:5], v[4:5], v[66:67], v[16:17] op_sel:[0,0,1] op_sel_hi:[1,0,0]
	v_mov_b32_e32 v19, v5
	v_pk_add_f32 v[4:5], v[14:15], v[18:19]
	v_mov_b32_e32 v14, v65
	v_pk_mul_f32 v[14:15], v[6:7], v[14:15] op_sel_hi:[1,0]
	v_pk_fma_f32 v[16:17], v[6:7], v[64:65], v[14:15] op_sel:[0,0,1] op_sel_hi:[1,1,0] neg_lo:[0,0,1] neg_hi:[0,0,1]
	v_pk_fma_f32 v[6:7], v[6:7], v[64:65], v[14:15] op_sel:[0,0,1] op_sel_hi:[1,0,0]
	v_mov_b32_e32 v6, v63
	v_mov_b32_e32 v17, v7
	s_waitcnt lgkmcnt(1)
	v_pk_mul_f32 v[6:7], v[8:9], v[6:7] op_sel_hi:[1,0]
	v_pk_fma_f32 v[14:15], v[8:9], v[62:63], v[6:7] op_sel:[0,0,1] op_sel_hi:[1,1,0] neg_lo:[0,0,1] neg_hi:[0,0,1]
	v_pk_fma_f32 v[6:7], v[8:9], v[62:63], v[6:7] op_sel:[0,0,1] op_sel_hi:[1,0,0]
	s_waitcnt vmcnt(1)
	v_mov_b32_e32 v6, v73
	v_mov_b32_e32 v15, v7
	v_pk_mul_f32 v[6:7], v[10:11], v[6:7] op_sel_hi:[1,0]
	s_waitcnt vmcnt(0)
	v_pk_fma_f32 v[8:9], v[10:11], v[72:73], v[6:7] op_sel:[0,0,1] op_sel_hi:[1,1,0] neg_lo:[0,0,1] neg_hi:[0,0,1]
	v_pk_fma_f32 v[6:7], v[10:11], v[72:73], v[6:7] op_sel:[0,0,1] op_sel_hi:[1,0,0]
	v_pk_add_f32 v[4:5], v[4:5], v[16:17]
	v_mov_b32_e32 v6, v71
	v_pk_add_f32 v[4:5], v[4:5], v[14:15]
	v_mov_b32_e32 v9, v7
	s_waitcnt lgkmcnt(0)
	v_pk_mul_f32 v[6:7], v[12:13], v[6:7] op_sel_hi:[1,0]
	v_pk_add_f32 v[4:5], v[4:5], v[8:9]
	v_pk_fma_f32 v[8:9], v[12:13], v[70:71], v[6:7] op_sel:[0,0,1] op_sel_hi:[1,1,0] neg_lo:[0,0,1] neg_hi:[0,0,1]
	v_pk_fma_f32 v[6:7], v[12:13], v[70:71], v[6:7] op_sel:[0,0,1] op_sel_hi:[1,0,0]
	v_mov_b32_e32 v9, v7
	v_pk_add_f32 v[4:5], v[4:5], v[8:9]
	v_pk_add_f32 v[2:3], v[2:3], v[4:5] neg_lo:[0,1] neg_hi:[0,1]
	buffer_store_dword v3, off, s[0:3], 0 offset:204
	buffer_store_dword v2, off, s[0:3], 0 offset:200
	s_and_saveexec_b64 s[4:5], vcc
	s_cbranch_execz .LBB118_295
; %bb.294:
	buffer_load_dword v2, off, s[0:3], 0 offset:192
	buffer_load_dword v3, off, s[0:3], 0 offset:196
	s_waitcnt vmcnt(0)
	ds_write_b64 v153, v[2:3]
	buffer_store_dword v1, off, s[0:3], 0 offset:192
	buffer_store_dword v1, off, s[0:3], 0 offset:196
.LBB118_295:
	s_or_b64 exec, exec, s[4:5]
	s_waitcnt lgkmcnt(0)
	; wave barrier
	s_waitcnt lgkmcnt(0)
	buffer_load_dword v54, off, s[0:3], 0 offset:204
	buffer_load_dword v56, off, s[0:3], 0 offset:212
	buffer_load_dword v58, off, s[0:3], 0 offset:220
	buffer_load_dword v74, off, s[0:3], 0 offset:228
	buffer_load_dword v75, off, s[0:3], 0 offset:236
	buffer_load_dword v76, off, s[0:3], 0 offset:244
	buffer_load_dword v77, off, s[0:3], 0 offset:252
	buffer_load_dword v78, off, s[0:3], 0 offset:260
	buffer_load_dword v79, off, s[0:3], 0 offset:268
	buffer_load_dword v80, off, s[0:3], 0 offset:276
	buffer_load_dword v81, off, s[0:3], 0 offset:284
	buffer_load_dword v82, off, s[0:3], 0 offset:292
	buffer_load_dword v83, off, s[0:3], 0 offset:300
	buffer_load_dword v84, off, s[0:3], 0 offset:200
	buffer_load_dword v85, off, s[0:3], 0 offset:208
	buffer_load_dword v86, off, s[0:3], 0 offset:216
	buffer_load_dword v87, off, s[0:3], 0 offset:224
	buffer_load_dword v88, off, s[0:3], 0 offset:232
	buffer_load_dword v89, off, s[0:3], 0 offset:240
	buffer_load_dword v90, off, s[0:3], 0 offset:248
	buffer_load_dword v91, off, s[0:3], 0 offset:256
	buffer_load_dword v92, off, s[0:3], 0 offset:264
	buffer_load_dword v93, off, s[0:3], 0 offset:272
	buffer_load_dword v94, off, s[0:3], 0 offset:280
	buffer_load_dword v95, off, s[0:3], 0 offset:288
	buffer_load_dword v96, off, s[0:3], 0 offset:296
	buffer_load_dword v97, off, s[0:3], 0 offset:308
	buffer_load_dword v98, off, s[0:3], 0 offset:304
	buffer_load_dword v99, off, s[0:3], 0 offset:316
	buffer_load_dword v100, off, s[0:3], 0 offset:312
	buffer_load_dword v101, off, s[0:3], 0 offset:324
	buffer_load_dword v102, off, s[0:3], 0 offset:320
	buffer_load_dword v103, off, s[0:3], 0 offset:332
	buffer_load_dword v104, off, s[0:3], 0 offset:328
	buffer_load_dword v105, off, s[0:3], 0 offset:340
	buffer_load_dword v106, off, s[0:3], 0 offset:336
	buffer_load_dword v107, off, s[0:3], 0 offset:348
	buffer_load_dword v108, off, s[0:3], 0 offset:344
	buffer_load_dword v109, off, s[0:3], 0 offset:356
	buffer_load_dword v110, off, s[0:3], 0 offset:352
	buffer_load_dword v111, off, s[0:3], 0 offset:364
	buffer_load_dword v112, off, s[0:3], 0 offset:360
	buffer_load_dword v113, off, s[0:3], 0 offset:372
	buffer_load_dword v114, off, s[0:3], 0 offset:368
	buffer_load_dword v2, off, s[0:3], 0 offset:192
	buffer_load_dword v3, off, s[0:3], 0 offset:196
	ds_read2_b64 v[4:7], v1 offset0:81 offset1:82
	ds_read2_b64 v[8:11], v1 offset0:83 offset1:84
	;; [unrolled: 1-line block ×8, first 2 shown]
	v_cmp_lt_u32_e32 vcc, 23, v0
	s_waitcnt vmcnt(45) lgkmcnt(7)
	v_mul_f32_e32 v36, v4, v54
	s_waitcnt vmcnt(44)
	v_mul_f32_e32 v37, v6, v56
	s_waitcnt vmcnt(43) lgkmcnt(6)
	v_mul_f32_e32 v38, v8, v58
	s_waitcnt vmcnt(42)
	v_mul_f32_e32 v39, v10, v74
	;; [unrolled: 4-line block ×6, first 2 shown]
	s_waitcnt vmcnt(33) lgkmcnt(1)
	v_mul_f32_e32 v48, v28, v83
	s_waitcnt vmcnt(32)
	v_fmac_f32_e32 v36, v5, v84
	s_waitcnt vmcnt(31)
	v_fmac_f32_e32 v37, v7, v85
	v_add_f32_e32 v36, 0, v36
	s_waitcnt vmcnt(30)
	v_fmac_f32_e32 v38, v9, v86
	v_add_f32_e32 v36, v36, v37
	;; [unrolled: 3-line block ×12, first 2 shown]
	s_waitcnt vmcnt(19)
	v_mul_f32_e32 v37, v30, v97
	v_add_f32_e32 v36, v36, v48
	s_waitcnt vmcnt(18)
	v_fmac_f32_e32 v37, v31, v98
	v_add_f32_e32 v36, v36, v37
	s_waitcnt vmcnt(17) lgkmcnt(0)
	v_mul_f32_e32 v37, v32, v99
	s_waitcnt vmcnt(16)
	v_fmac_f32_e32 v37, v33, v100
	v_add_f32_e32 v40, v36, v37
	ds_read2_b64 v[36:39], v1 offset0:97 offset1:98
	s_waitcnt vmcnt(15)
	v_mul_f32_e32 v41, v34, v101
	s_waitcnt vmcnt(14)
	v_fmac_f32_e32 v41, v35, v102
	v_add_f32_e32 v44, v40, v41
	ds_read2_b64 v[40:43], v1 offset0:99 offset1:100
	buffer_load_dword v53, off, s[0:3], 0 offset:380
	buffer_load_dword v52, off, s[0:3], 0 offset:376
	s_waitcnt vmcnt(15) lgkmcnt(1)
	v_mul_f32_e32 v45, v36, v103
	s_waitcnt vmcnt(14)
	v_fmac_f32_e32 v45, v37, v104
	v_add_f32_e32 v44, v44, v45
	s_waitcnt vmcnt(13)
	v_mul_f32_e32 v45, v38, v105
	s_waitcnt vmcnt(12)
	v_fmac_f32_e32 v45, v39, v106
	v_add_f32_e32 v44, v44, v45
	s_waitcnt vmcnt(11) lgkmcnt(0)
	v_mul_f32_e32 v45, v40, v107
	s_waitcnt vmcnt(10)
	v_fmac_f32_e32 v45, v41, v108
	s_waitcnt vmcnt(9)
	v_mul_f32_e32 v49, v42, v109
	v_add_f32_e32 v48, v44, v45
	s_waitcnt vmcnt(8)
	v_fmac_f32_e32 v49, v43, v110
	ds_read2_b64 v[44:47], v1 offset0:101 offset1:102
	v_add_f32_e32 v55, v48, v49
	ds_read2_b64 v[48:51], v1 offset0:103 offset1:104
	buffer_load_dword v61, off, s[0:3], 0 offset:412
	buffer_load_dword v60, off, s[0:3], 0 offset:408
	buffer_load_dword v63, off, s[0:3], 0 offset:404
	buffer_load_dword v62, off, s[0:3], 0 offset:400
	buffer_load_dword v65, off, s[0:3], 0 offset:396
	buffer_load_dword v64, off, s[0:3], 0 offset:392
	buffer_load_dword v67, off, s[0:3], 0 offset:388
	buffer_load_dword v66, off, s[0:3], 0 offset:384
	buffer_load_dword v69, off, s[0:3], 0 offset:436
	buffer_load_dword v68, off, s[0:3], 0 offset:432
	buffer_load_dword v71, off, s[0:3], 0 offset:428
	buffer_load_dword v70, off, s[0:3], 0 offset:424
	buffer_load_dword v73, off, s[0:3], 0 offset:420
	buffer_load_dword v72, off, s[0:3], 0 offset:416
	v_mul_f32_e32 v5, v5, v54
	v_fma_f32 v4, v4, v84, -v5
	v_mul_f32_e32 v5, v7, v56
	v_add_f32_e32 v4, 0, v4
	v_fma_f32 v5, v6, v85, -v5
	v_add_f32_e32 v4, v4, v5
	v_mul_f32_e32 v5, v9, v58
	v_fma_f32 v5, v8, v86, -v5
	v_add_f32_e32 v4, v4, v5
	v_mul_f32_e32 v5, v11, v74
	;; [unrolled: 3-line block ×18, first 2 shown]
	v_fma_f32 v5, v42, v110, -v5
	s_waitcnt vmcnt(21) lgkmcnt(1)
	v_mul_f32_e32 v57, v44, v111
	v_add_f32_e32 v54, v4, v5
	v_mul_f32_e32 v4, v45, v111
	s_waitcnt vmcnt(20)
	v_fmac_f32_e32 v57, v45, v112
	s_waitcnt vmcnt(15)
	v_mov_b32_e32 v18, v53
	s_waitcnt lgkmcnt(0)
	v_pk_mul_f32 v[18:19], v[48:49], v[18:19] op_sel_hi:[1,0]
	v_mul_f32_e32 v59, v46, v113
	v_fma_f32 v56, v44, v112, -v4
	v_mul_f32_e32 v4, v47, v113
	s_waitcnt vmcnt(14)
	v_pk_fma_f32 v[20:21], v[48:49], v[52:53], v[18:19] op_sel:[0,0,1] op_sel_hi:[1,1,0] neg_lo:[0,0,1] neg_hi:[0,0,1]
	v_pk_fma_f32 v[18:19], v[48:49], v[52:53], v[18:19] op_sel:[0,0,1] op_sel_hi:[1,0,0]
	v_fmac_f32_e32 v59, v47, v114
	v_fma_f32 v58, v46, v114, -v4
	v_pk_add_f32 v[16:17], v[54:55], v[56:57]
	s_waitcnt vmcnt(7)
	v_mov_b32_e32 v18, v67
	ds_read2_b64 v[4:7], v1 offset0:105 offset1:106
	ds_read2_b64 v[8:11], v1 offset0:107 offset1:108
	;; [unrolled: 1-line block ×3, first 2 shown]
	v_pk_add_f32 v[16:17], v[16:17], v[58:59]
	v_mov_b32_e32 v21, v19
	v_pk_mul_f32 v[18:19], v[50:51], v[18:19] op_sel_hi:[1,0]
	v_pk_add_f32 v[16:17], v[16:17], v[20:21]
	s_waitcnt vmcnt(6)
	v_pk_fma_f32 v[20:21], v[50:51], v[66:67], v[18:19] op_sel:[0,0,1] op_sel_hi:[1,1,0] neg_lo:[0,0,1] neg_hi:[0,0,1]
	v_pk_fma_f32 v[18:19], v[50:51], v[66:67], v[18:19] op_sel:[0,0,1] op_sel_hi:[1,0,0]
	v_mov_b32_e32 v18, v65
	v_mov_b32_e32 v21, v19
	s_waitcnt lgkmcnt(2)
	v_pk_mul_f32 v[18:19], v[4:5], v[18:19] op_sel_hi:[1,0]
	v_pk_add_f32 v[16:17], v[16:17], v[20:21]
	v_pk_fma_f32 v[20:21], v[4:5], v[64:65], v[18:19] op_sel:[0,0,1] op_sel_hi:[1,1,0] neg_lo:[0,0,1] neg_hi:[0,0,1]
	v_pk_fma_f32 v[4:5], v[4:5], v[64:65], v[18:19] op_sel:[0,0,1] op_sel_hi:[1,0,0]
	v_mov_b32_e32 v21, v5
	v_pk_add_f32 v[4:5], v[16:17], v[20:21]
	v_mov_b32_e32 v16, v63
	v_pk_mul_f32 v[16:17], v[6:7], v[16:17] op_sel_hi:[1,0]
	v_pk_fma_f32 v[18:19], v[6:7], v[62:63], v[16:17] op_sel:[0,0,1] op_sel_hi:[1,1,0] neg_lo:[0,0,1] neg_hi:[0,0,1]
	v_pk_fma_f32 v[6:7], v[6:7], v[62:63], v[16:17] op_sel:[0,0,1] op_sel_hi:[1,0,0]
	v_mov_b32_e32 v6, v61
	v_mov_b32_e32 v19, v7
	s_waitcnt lgkmcnt(1)
	v_pk_mul_f32 v[6:7], v[8:9], v[6:7] op_sel_hi:[1,0]
	v_pk_fma_f32 v[16:17], v[8:9], v[60:61], v[6:7] op_sel:[0,0,1] op_sel_hi:[1,1,0] neg_lo:[0,0,1] neg_hi:[0,0,1]
	v_pk_fma_f32 v[6:7], v[8:9], v[60:61], v[6:7] op_sel:[0,0,1] op_sel_hi:[1,0,0]
	s_waitcnt vmcnt(1)
	v_mov_b32_e32 v6, v73
	v_mov_b32_e32 v17, v7
	v_pk_mul_f32 v[6:7], v[10:11], v[6:7] op_sel_hi:[1,0]
	s_waitcnt vmcnt(0)
	v_pk_fma_f32 v[8:9], v[10:11], v[72:73], v[6:7] op_sel:[0,0,1] op_sel_hi:[1,1,0] neg_lo:[0,0,1] neg_hi:[0,0,1]
	v_pk_fma_f32 v[6:7], v[10:11], v[72:73], v[6:7] op_sel:[0,0,1] op_sel_hi:[1,0,0]
	v_pk_add_f32 v[4:5], v[4:5], v[18:19]
	v_mov_b32_e32 v6, v71
	v_pk_add_f32 v[4:5], v[4:5], v[16:17]
	v_mov_b32_e32 v9, v7
	s_waitcnt lgkmcnt(0)
	v_pk_mul_f32 v[6:7], v[12:13], v[6:7] op_sel_hi:[1,0]
	v_pk_add_f32 v[4:5], v[4:5], v[8:9]
	v_pk_fma_f32 v[8:9], v[12:13], v[70:71], v[6:7] op_sel:[0,0,1] op_sel_hi:[1,1,0] neg_lo:[0,0,1] neg_hi:[0,0,1]
	v_pk_fma_f32 v[6:7], v[12:13], v[70:71], v[6:7] op_sel:[0,0,1] op_sel_hi:[1,0,0]
	v_mov_b32_e32 v6, v69
	v_mov_b32_e32 v9, v7
	v_pk_mul_f32 v[6:7], v[14:15], v[6:7] op_sel_hi:[1,0]
	v_pk_add_f32 v[4:5], v[4:5], v[8:9]
	v_pk_fma_f32 v[8:9], v[14:15], v[68:69], v[6:7] op_sel:[0,0,1] op_sel_hi:[1,1,0] neg_lo:[0,0,1] neg_hi:[0,0,1]
	v_pk_fma_f32 v[6:7], v[14:15], v[68:69], v[6:7] op_sel:[0,0,1] op_sel_hi:[1,0,0]
	v_mov_b32_e32 v9, v7
	v_pk_add_f32 v[4:5], v[4:5], v[8:9]
	v_pk_add_f32 v[2:3], v[2:3], v[4:5] neg_lo:[0,1] neg_hi:[0,1]
	buffer_store_dword v3, off, s[0:3], 0 offset:196
	buffer_store_dword v2, off, s[0:3], 0 offset:192
	s_and_saveexec_b64 s[4:5], vcc
	s_cbranch_execz .LBB118_297
; %bb.296:
	buffer_load_dword v2, off, s[0:3], 0 offset:184
	buffer_load_dword v3, off, s[0:3], 0 offset:188
	v_mov_b32_e32 v1, 0
	buffer_store_dword v1, off, s[0:3], 0 offset:184
	buffer_store_dword v1, off, s[0:3], 0 offset:188
	s_waitcnt vmcnt(2)
	ds_write_b64 v153, v[2:3]
.LBB118_297:
	s_or_b64 exec, exec, s[4:5]
	s_waitcnt lgkmcnt(0)
	; wave barrier
	s_waitcnt lgkmcnt(0)
	buffer_load_dword v52, off, s[0:3], 0 offset:196
	buffer_load_dword v54, off, s[0:3], 0 offset:204
	;; [unrolled: 1-line block ×48, first 2 shown]
	v_mov_b32_e32 v1, 0
	ds_read_b128 v[4:7], v1 offset:640
	ds_read_b128 v[8:11], v1 offset:656
	;; [unrolled: 1-line block ×6, first 2 shown]
	v_cmp_lt_u32_e32 vcc, 22, v0
	s_waitcnt vmcnt(47) lgkmcnt(5)
	v_mul_f32_e32 v28, v4, v52
	s_waitcnt vmcnt(46)
	v_mul_f32_e32 v29, v6, v54
	s_waitcnt vmcnt(45) lgkmcnt(4)
	v_mul_f32_e32 v30, v8, v56
	s_waitcnt vmcnt(44)
	v_mul_f32_e32 v31, v10, v74
	;; [unrolled: 4-line block ×6, first 2 shown]
	s_waitcnt vmcnt(35)
	v_fmac_f32_e32 v28, v5, v83
	s_waitcnt vmcnt(34)
	v_fmac_f32_e32 v29, v7, v84
	v_add_f32_e32 v28, 0, v28
	s_waitcnt vmcnt(33)
	v_fmac_f32_e32 v30, v9, v85
	v_add_f32_e32 v28, v28, v29
	;; [unrolled: 3-line block ×8, first 2 shown]
	v_add_f32_e32 v32, v28, v36
	ds_read_b128 v[28:31], v1 offset:736
	s_waitcnt vmcnt(26)
	v_fmac_f32_e32 v37, v23, v92
	s_waitcnt vmcnt(25)
	v_fmac_f32_e32 v38, v25, v93
	v_add_f32_e32 v32, v32, v37
	s_waitcnt vmcnt(24)
	v_fmac_f32_e32 v39, v27, v94
	v_add_f32_e32 v32, v32, v38
	v_add_f32_e32 v36, v32, v39
	ds_read_b128 v[32:35], v1 offset:752
	s_waitcnt vmcnt(23) lgkmcnt(1)
	v_mul_f32_e32 v37, v28, v95
	s_waitcnt vmcnt(22)
	v_fmac_f32_e32 v37, v29, v96
	v_add_f32_e32 v36, v36, v37
	s_waitcnt vmcnt(21)
	v_mul_f32_e32 v37, v30, v97
	s_waitcnt vmcnt(20)
	v_fmac_f32_e32 v37, v31, v98
	v_add_f32_e32 v36, v36, v37
	s_waitcnt vmcnt(19) lgkmcnt(0)
	v_mul_f32_e32 v37, v32, v99
	s_waitcnt vmcnt(18)
	v_fmac_f32_e32 v37, v33, v100
	v_add_f32_e32 v40, v36, v37
	ds_read_b128 v[36:39], v1 offset:768
	s_waitcnt vmcnt(17)
	v_mul_f32_e32 v41, v34, v101
	s_waitcnt vmcnt(16)
	v_fmac_f32_e32 v41, v35, v102
	v_add_f32_e32 v44, v40, v41
	ds_read_b128 v[40:43], v1 offset:784
	s_waitcnt vmcnt(15) lgkmcnt(1)
	v_mul_f32_e32 v45, v36, v103
	s_waitcnt vmcnt(14)
	v_fmac_f32_e32 v45, v37, v104
	v_add_f32_e32 v44, v44, v45
	s_waitcnt vmcnt(13)
	v_mul_f32_e32 v45, v38, v105
	s_waitcnt vmcnt(12)
	v_fmac_f32_e32 v45, v39, v106
	v_add_f32_e32 v44, v44, v45
	s_waitcnt vmcnt(11) lgkmcnt(0)
	v_mul_f32_e32 v45, v40, v107
	s_waitcnt vmcnt(10)
	v_fmac_f32_e32 v45, v41, v108
	s_waitcnt vmcnt(9)
	v_mul_f32_e32 v49, v42, v109
	v_add_f32_e32 v48, v44, v45
	s_waitcnt vmcnt(8)
	v_fmac_f32_e32 v49, v43, v110
	ds_read_b128 v[44:47], v1 offset:800
	v_add_f32_e32 v53, v48, v49
	ds_read_b128 v[48:51], v1 offset:816
	buffer_load_dword v59, off, s[0:3], 0 offset:404
	buffer_load_dword v58, off, s[0:3], 0 offset:400
	;; [unrolled: 1-line block ×16, first 2 shown]
	v_mul_f32_e32 v5, v5, v52
	v_fma_f32 v4, v4, v83, -v5
	v_mul_f32_e32 v5, v7, v54
	v_add_f32_e32 v4, 0, v4
	v_fma_f32 v5, v6, v84, -v5
	v_add_f32_e32 v4, v4, v5
	v_mul_f32_e32 v5, v9, v56
	v_fma_f32 v5, v8, v85, -v5
	v_add_f32_e32 v4, v4, v5
	v_mul_f32_e32 v5, v11, v74
	;; [unrolled: 3-line block ×18, first 2 shown]
	v_fma_f32 v5, v42, v110, -v5
	v_add_f32_e32 v4, v4, v5
	s_waitcnt vmcnt(22) lgkmcnt(1)
	v_mul_f32_e32 v5, v45, v112
	v_mul_f32_e32 v55, v44, v112
	v_fma_f32 v5, v44, v111, -v5
	v_fmac_f32_e32 v55, v45, v111
	v_add_f32_e32 v52, v4, v5
	s_waitcnt vmcnt(19)
	v_mul_f32_e32 v4, v47, v113
	v_add_f32_e32 v53, v53, v55
	v_mul_f32_e32 v55, v46, v113
	s_waitcnt vmcnt(18)
	v_fma_f32 v54, v46, v114, -v4
	s_waitcnt vmcnt(17) lgkmcnt(0)
	v_mul_f32_e32 v4, v49, v115
	s_waitcnt vmcnt(9)
	v_mov_b32_e32 v20, v65
	v_pk_mul_f32 v[20:21], v[50:51], v[20:21] op_sel_hi:[1,0]
	v_fmac_f32_e32 v55, v47, v114
	v_mul_f32_e32 v57, v48, v115
	v_fma_f32 v56, v48, v116, -v4
	ds_read_b128 v[4:7], v1 offset:832
	ds_read_b128 v[8:11], v1 offset:848
	;; [unrolled: 1-line block ×3, first 2 shown]
	ds_read_b64 v[16:17], v1 offset:880
	s_waitcnt vmcnt(8)
	v_pk_fma_f32 v[22:23], v[50:51], v[64:65], v[20:21] op_sel:[0,0,1] op_sel_hi:[1,1,0] neg_lo:[0,0,1] neg_hi:[0,0,1]
	v_pk_fma_f32 v[20:21], v[50:51], v[64:65], v[20:21] op_sel:[0,0,1] op_sel_hi:[1,0,0]
	v_fmac_f32_e32 v57, v49, v116
	v_pk_add_f32 v[18:19], v[52:53], v[54:55]
	v_mov_b32_e32 v20, v63
	v_pk_add_f32 v[18:19], v[18:19], v[56:57]
	v_mov_b32_e32 v23, v21
	s_waitcnt lgkmcnt(3)
	v_pk_mul_f32 v[20:21], v[4:5], v[20:21] op_sel_hi:[1,0]
	v_pk_add_f32 v[18:19], v[18:19], v[22:23]
	v_pk_fma_f32 v[22:23], v[4:5], v[62:63], v[20:21] op_sel:[0,0,1] op_sel_hi:[1,1,0] neg_lo:[0,0,1] neg_hi:[0,0,1]
	v_pk_fma_f32 v[4:5], v[4:5], v[62:63], v[20:21] op_sel:[0,0,1] op_sel_hi:[1,0,0]
	v_mov_b32_e32 v23, v5
	v_pk_add_f32 v[4:5], v[18:19], v[22:23]
	v_mov_b32_e32 v18, v61
	v_pk_mul_f32 v[18:19], v[6:7], v[18:19] op_sel_hi:[1,0]
	v_pk_fma_f32 v[20:21], v[6:7], v[60:61], v[18:19] op_sel:[0,0,1] op_sel_hi:[1,1,0] neg_lo:[0,0,1] neg_hi:[0,0,1]
	v_pk_fma_f32 v[6:7], v[6:7], v[60:61], v[18:19] op_sel:[0,0,1] op_sel_hi:[1,0,0]
	v_mov_b32_e32 v6, v59
	v_mov_b32_e32 v21, v7
	s_waitcnt lgkmcnt(2)
	v_pk_mul_f32 v[6:7], v[8:9], v[6:7] op_sel_hi:[1,0]
	v_pk_fma_f32 v[18:19], v[8:9], v[58:59], v[6:7] op_sel:[0,0,1] op_sel_hi:[1,1,0] neg_lo:[0,0,1] neg_hi:[0,0,1]
	v_pk_fma_f32 v[6:7], v[8:9], v[58:59], v[6:7] op_sel:[0,0,1] op_sel_hi:[1,0,0]
	s_waitcnt vmcnt(1)
	v_mov_b32_e32 v6, v73
	v_mov_b32_e32 v19, v7
	v_pk_mul_f32 v[6:7], v[10:11], v[6:7] op_sel_hi:[1,0]
	s_waitcnt vmcnt(0)
	v_pk_fma_f32 v[8:9], v[10:11], v[72:73], v[6:7] op_sel:[0,0,1] op_sel_hi:[1,1,0] neg_lo:[0,0,1] neg_hi:[0,0,1]
	v_pk_fma_f32 v[6:7], v[10:11], v[72:73], v[6:7] op_sel:[0,0,1] op_sel_hi:[1,0,0]
	v_pk_add_f32 v[4:5], v[4:5], v[20:21]
	v_mov_b32_e32 v6, v71
	v_pk_add_f32 v[4:5], v[4:5], v[18:19]
	v_mov_b32_e32 v9, v7
	s_waitcnt lgkmcnt(1)
	v_pk_mul_f32 v[6:7], v[12:13], v[6:7] op_sel_hi:[1,0]
	v_pk_add_f32 v[4:5], v[4:5], v[8:9]
	v_pk_fma_f32 v[8:9], v[12:13], v[70:71], v[6:7] op_sel:[0,0,1] op_sel_hi:[1,1,0] neg_lo:[0,0,1] neg_hi:[0,0,1]
	v_pk_fma_f32 v[6:7], v[12:13], v[70:71], v[6:7] op_sel:[0,0,1] op_sel_hi:[1,0,0]
	v_mov_b32_e32 v6, v69
	v_mov_b32_e32 v9, v7
	v_pk_mul_f32 v[6:7], v[14:15], v[6:7] op_sel_hi:[1,0]
	v_pk_add_f32 v[4:5], v[4:5], v[8:9]
	v_pk_fma_f32 v[8:9], v[14:15], v[68:69], v[6:7] op_sel:[0,0,1] op_sel_hi:[1,1,0] neg_lo:[0,0,1] neg_hi:[0,0,1]
	v_pk_fma_f32 v[6:7], v[14:15], v[68:69], v[6:7] op_sel:[0,0,1] op_sel_hi:[1,0,0]
	v_mov_b32_e32 v6, v67
	v_mov_b32_e32 v9, v7
	s_waitcnt lgkmcnt(0)
	v_pk_mul_f32 v[6:7], v[16:17], v[6:7] op_sel_hi:[1,0]
	v_pk_add_f32 v[4:5], v[4:5], v[8:9]
	v_pk_fma_f32 v[8:9], v[16:17], v[66:67], v[6:7] op_sel:[0,0,1] op_sel_hi:[1,1,0] neg_lo:[0,0,1] neg_hi:[0,0,1]
	v_pk_fma_f32 v[6:7], v[16:17], v[66:67], v[6:7] op_sel:[0,0,1] op_sel_hi:[1,0,0]
	v_mov_b32_e32 v9, v7
	v_pk_add_f32 v[4:5], v[4:5], v[8:9]
	v_pk_add_f32 v[2:3], v[2:3], v[4:5] neg_lo:[0,1] neg_hi:[0,1]
	buffer_store_dword v3, off, s[0:3], 0 offset:188
	buffer_store_dword v2, off, s[0:3], 0 offset:184
	s_and_saveexec_b64 s[4:5], vcc
	s_cbranch_execz .LBB118_299
; %bb.298:
	buffer_load_dword v2, off, s[0:3], 0 offset:176
	buffer_load_dword v3, off, s[0:3], 0 offset:180
	s_waitcnt vmcnt(0)
	ds_write_b64 v153, v[2:3]
	buffer_store_dword v1, off, s[0:3], 0 offset:176
	buffer_store_dword v1, off, s[0:3], 0 offset:180
.LBB118_299:
	s_or_b64 exec, exec, s[4:5]
	s_waitcnt lgkmcnt(0)
	; wave barrier
	s_waitcnt lgkmcnt(0)
	buffer_load_dword v52, off, s[0:3], 0 offset:188
	buffer_load_dword v54, off, s[0:3], 0 offset:196
	;; [unrolled: 1-line block ×48, first 2 shown]
	ds_read2_b64 v[4:7], v1 offset0:79 offset1:80
	ds_read2_b64 v[8:11], v1 offset0:81 offset1:82
	;; [unrolled: 1-line block ×6, first 2 shown]
	buffer_load_dword v117, off, s[0:3], 0 offset:368
	buffer_load_dword v118, off, s[0:3], 0 offset:372
	v_cmp_lt_u32_e32 vcc, 21, v0
	s_waitcnt vmcnt(49) lgkmcnt(5)
	v_mul_f32_e32 v28, v4, v52
	s_waitcnt vmcnt(48)
	v_mul_f32_e32 v29, v6, v54
	s_waitcnt vmcnt(47) lgkmcnt(4)
	v_mul_f32_e32 v30, v8, v62
	s_waitcnt vmcnt(46)
	v_mul_f32_e32 v31, v10, v74
	;; [unrolled: 4-line block ×6, first 2 shown]
	s_waitcnt vmcnt(37)
	v_fmac_f32_e32 v28, v5, v83
	s_waitcnt vmcnt(36)
	v_fmac_f32_e32 v29, v7, v84
	v_add_f32_e32 v28, 0, v28
	s_waitcnt vmcnt(35)
	v_fmac_f32_e32 v30, v9, v85
	v_add_f32_e32 v28, v28, v29
	;; [unrolled: 3-line block ×9, first 2 shown]
	v_add_f32_e32 v32, v28, v37
	ds_read2_b64 v[28:31], v1 offset0:91 offset1:92
	s_waitcnt vmcnt(27)
	v_fmac_f32_e32 v38, v25, v93
	v_add_f32_e32 v32, v32, v38
	s_waitcnt vmcnt(26)
	v_fmac_f32_e32 v39, v27, v94
	v_add_f32_e32 v36, v32, v39
	ds_read2_b64 v[32:35], v1 offset0:93 offset1:94
	s_waitcnt vmcnt(25) lgkmcnt(1)
	v_mul_f32_e32 v37, v28, v95
	s_waitcnt vmcnt(24)
	v_fmac_f32_e32 v37, v29, v96
	v_add_f32_e32 v36, v36, v37
	s_waitcnt vmcnt(23)
	v_mul_f32_e32 v37, v30, v97
	s_waitcnt vmcnt(22)
	v_fmac_f32_e32 v37, v31, v98
	v_add_f32_e32 v36, v36, v37
	s_waitcnt vmcnt(21) lgkmcnt(0)
	v_mul_f32_e32 v37, v32, v99
	s_waitcnt vmcnt(20)
	v_fmac_f32_e32 v37, v33, v100
	v_add_f32_e32 v40, v36, v37
	ds_read2_b64 v[36:39], v1 offset0:95 offset1:96
	s_waitcnt vmcnt(19)
	v_mul_f32_e32 v41, v34, v101
	s_waitcnt vmcnt(18)
	v_fmac_f32_e32 v41, v35, v102
	v_add_f32_e32 v44, v40, v41
	ds_read2_b64 v[40:43], v1 offset0:97 offset1:98
	s_waitcnt vmcnt(17) lgkmcnt(1)
	v_mul_f32_e32 v45, v36, v103
	s_waitcnt vmcnt(16)
	v_fmac_f32_e32 v45, v37, v104
	v_add_f32_e32 v44, v44, v45
	s_waitcnt vmcnt(15)
	v_mul_f32_e32 v45, v38, v105
	s_waitcnt vmcnt(14)
	v_fmac_f32_e32 v45, v39, v106
	v_add_f32_e32 v44, v44, v45
	s_waitcnt vmcnt(13) lgkmcnt(0)
	v_mul_f32_e32 v45, v40, v107
	s_waitcnt vmcnt(12)
	v_fmac_f32_e32 v45, v41, v108
	s_waitcnt vmcnt(11)
	v_mul_f32_e32 v49, v42, v109
	v_add_f32_e32 v48, v44, v45
	s_waitcnt vmcnt(10)
	v_fmac_f32_e32 v49, v43, v110
	ds_read2_b64 v[44:47], v1 offset0:99 offset1:100
	v_add_f32_e32 v53, v48, v49
	ds_read2_b64 v[48:51], v1 offset0:101 offset1:102
	buffer_load_dword v57, off, s[0:3], 0 offset:396
	buffer_load_dword v56, off, s[0:3], 0 offset:392
	buffer_load_dword v59, off, s[0:3], 0 offset:388
	buffer_load_dword v58, off, s[0:3], 0 offset:384
	buffer_load_dword v61, off, s[0:3], 0 offset:380
	buffer_load_dword v60, off, s[0:3], 0 offset:376
	buffer_load_dword v65, off, s[0:3], 0 offset:428
	buffer_load_dword v64, off, s[0:3], 0 offset:424
	buffer_load_dword v67, off, s[0:3], 0 offset:420
	buffer_load_dword v66, off, s[0:3], 0 offset:416
	buffer_load_dword v69, off, s[0:3], 0 offset:412
	buffer_load_dword v68, off, s[0:3], 0 offset:408
	buffer_load_dword v71, off, s[0:3], 0 offset:404
	buffer_load_dword v70, off, s[0:3], 0 offset:400
	buffer_load_dword v73, off, s[0:3], 0 offset:436
	buffer_load_dword v72, off, s[0:3], 0 offset:432
	v_mul_f32_e32 v5, v5, v52
	v_fma_f32 v4, v4, v83, -v5
	v_mul_f32_e32 v5, v7, v54
	v_add_f32_e32 v4, 0, v4
	v_fma_f32 v5, v6, v84, -v5
	v_add_f32_e32 v4, v4, v5
	v_mul_f32_e32 v5, v9, v62
	v_fma_f32 v5, v8, v85, -v5
	v_add_f32_e32 v4, v4, v5
	v_mul_f32_e32 v5, v11, v74
	;; [unrolled: 3-line block ×18, first 2 shown]
	v_fma_f32 v5, v42, v110, -v5
	v_add_f32_e32 v4, v4, v5
	s_waitcnt vmcnt(23) lgkmcnt(1)
	v_mul_f32_e32 v5, v45, v111
	s_waitcnt vmcnt(22)
	v_fma_f32 v5, v44, v112, -v5
	v_add_f32_e32 v4, v4, v5
	s_waitcnt vmcnt(20)
	v_mul_f32_e32 v5, v47, v114
	v_mul_f32_e32 v55, v44, v111
	v_fma_f32 v5, v46, v113, -v5
	v_fmac_f32_e32 v55, v45, v112
	v_add_f32_e32 v52, v4, v5
	s_waitcnt vmcnt(18) lgkmcnt(0)
	v_mul_f32_e32 v4, v49, v116
	v_add_f32_e32 v53, v53, v55
	v_mul_f32_e32 v55, v46, v114
	v_fma_f32 v54, v48, v115, -v4
	s_waitcnt vmcnt(16)
	v_mul_f32_e32 v4, v51, v118
	v_fmac_f32_e32 v55, v47, v113
	v_fma_f32 v62, v50, v117, -v4
	ds_read2_b64 v[4:7], v1 offset0:103 offset1:104
	ds_read2_b64 v[8:11], v1 offset0:105 offset1:106
	;; [unrolled: 1-line block ×4, first 2 shown]
	v_add_f32_e32 v53, v53, v55
	v_mul_f32_e32 v55, v48, v116
	s_waitcnt vmcnt(11)
	v_mov_b32_e32 v22, v61
	v_fmac_f32_e32 v55, v49, v115
	v_mul_f32_e32 v63, v50, v118
	s_waitcnt lgkmcnt(3)
	v_pk_mul_f32 v[22:23], v[4:5], v[22:23] op_sel_hi:[1,0]
	v_fmac_f32_e32 v63, v51, v117
	v_pk_add_f32 v[20:21], v[52:53], v[54:55]
	s_waitcnt vmcnt(10)
	v_pk_fma_f32 v[24:25], v[4:5], v[60:61], v[22:23] op_sel:[0,0,1] op_sel_hi:[1,1,0] neg_lo:[0,0,1] neg_hi:[0,0,1]
	v_pk_fma_f32 v[4:5], v[4:5], v[60:61], v[22:23] op_sel:[0,0,1] op_sel_hi:[1,0,0]
	v_pk_add_f32 v[20:21], v[20:21], v[62:63]
	v_mov_b32_e32 v25, v5
	v_pk_add_f32 v[4:5], v[20:21], v[24:25]
	v_mov_b32_e32 v20, v59
	v_pk_mul_f32 v[20:21], v[6:7], v[20:21] op_sel_hi:[1,0]
	v_pk_fma_f32 v[22:23], v[6:7], v[58:59], v[20:21] op_sel:[0,0,1] op_sel_hi:[1,1,0] neg_lo:[0,0,1] neg_hi:[0,0,1]
	v_pk_fma_f32 v[6:7], v[6:7], v[58:59], v[20:21] op_sel:[0,0,1] op_sel_hi:[1,0,0]
	v_mov_b32_e32 v6, v57
	v_mov_b32_e32 v23, v7
	s_waitcnt lgkmcnt(2)
	v_pk_mul_f32 v[6:7], v[8:9], v[6:7] op_sel_hi:[1,0]
	v_pk_fma_f32 v[20:21], v[8:9], v[56:57], v[6:7] op_sel:[0,0,1] op_sel_hi:[1,1,0] neg_lo:[0,0,1] neg_hi:[0,0,1]
	v_pk_fma_f32 v[6:7], v[8:9], v[56:57], v[6:7] op_sel:[0,0,1] op_sel_hi:[1,0,0]
	s_waitcnt vmcnt(3)
	v_mov_b32_e32 v6, v71
	v_mov_b32_e32 v21, v7
	v_pk_mul_f32 v[6:7], v[10:11], v[6:7] op_sel_hi:[1,0]
	s_waitcnt vmcnt(2)
	v_pk_fma_f32 v[8:9], v[10:11], v[70:71], v[6:7] op_sel:[0,0,1] op_sel_hi:[1,1,0] neg_lo:[0,0,1] neg_hi:[0,0,1]
	v_pk_fma_f32 v[6:7], v[10:11], v[70:71], v[6:7] op_sel:[0,0,1] op_sel_hi:[1,0,0]
	v_pk_add_f32 v[4:5], v[4:5], v[22:23]
	v_mov_b32_e32 v6, v69
	v_pk_add_f32 v[4:5], v[4:5], v[20:21]
	v_mov_b32_e32 v9, v7
	s_waitcnt lgkmcnt(1)
	v_pk_mul_f32 v[6:7], v[12:13], v[6:7] op_sel_hi:[1,0]
	v_pk_add_f32 v[4:5], v[4:5], v[8:9]
	v_pk_fma_f32 v[8:9], v[12:13], v[68:69], v[6:7] op_sel:[0,0,1] op_sel_hi:[1,1,0] neg_lo:[0,0,1] neg_hi:[0,0,1]
	v_pk_fma_f32 v[6:7], v[12:13], v[68:69], v[6:7] op_sel:[0,0,1] op_sel_hi:[1,0,0]
	v_mov_b32_e32 v6, v67
	v_mov_b32_e32 v9, v7
	v_pk_mul_f32 v[6:7], v[14:15], v[6:7] op_sel_hi:[1,0]
	v_pk_add_f32 v[4:5], v[4:5], v[8:9]
	v_pk_fma_f32 v[8:9], v[14:15], v[66:67], v[6:7] op_sel:[0,0,1] op_sel_hi:[1,1,0] neg_lo:[0,0,1] neg_hi:[0,0,1]
	v_pk_fma_f32 v[6:7], v[14:15], v[66:67], v[6:7] op_sel:[0,0,1] op_sel_hi:[1,0,0]
	v_mov_b32_e32 v6, v65
	v_mov_b32_e32 v9, v7
	s_waitcnt lgkmcnt(0)
	v_pk_mul_f32 v[6:7], v[16:17], v[6:7] op_sel_hi:[1,0]
	v_pk_add_f32 v[4:5], v[4:5], v[8:9]
	v_pk_fma_f32 v[8:9], v[16:17], v[64:65], v[6:7] op_sel:[0,0,1] op_sel_hi:[1,1,0] neg_lo:[0,0,1] neg_hi:[0,0,1]
	v_pk_fma_f32 v[6:7], v[16:17], v[64:65], v[6:7] op_sel:[0,0,1] op_sel_hi:[1,0,0]
	s_waitcnt vmcnt(1)
	v_mov_b32_e32 v6, v73
	v_mov_b32_e32 v9, v7
	v_pk_mul_f32 v[6:7], v[18:19], v[6:7] op_sel_hi:[1,0]
	v_pk_add_f32 v[4:5], v[4:5], v[8:9]
	s_waitcnt vmcnt(0)
	v_pk_fma_f32 v[8:9], v[18:19], v[72:73], v[6:7] op_sel:[0,0,1] op_sel_hi:[1,1,0] neg_lo:[0,0,1] neg_hi:[0,0,1]
	v_pk_fma_f32 v[6:7], v[18:19], v[72:73], v[6:7] op_sel:[0,0,1] op_sel_hi:[1,0,0]
	v_mov_b32_e32 v9, v7
	v_pk_add_f32 v[4:5], v[4:5], v[8:9]
	v_pk_add_f32 v[2:3], v[2:3], v[4:5] neg_lo:[0,1] neg_hi:[0,1]
	buffer_store_dword v3, off, s[0:3], 0 offset:180
	buffer_store_dword v2, off, s[0:3], 0 offset:176
	s_and_saveexec_b64 s[4:5], vcc
	s_cbranch_execz .LBB118_301
; %bb.300:
	buffer_load_dword v2, off, s[0:3], 0 offset:168
	buffer_load_dword v3, off, s[0:3], 0 offset:172
	v_mov_b32_e32 v1, 0
	buffer_store_dword v1, off, s[0:3], 0 offset:168
	buffer_store_dword v1, off, s[0:3], 0 offset:172
	s_waitcnt vmcnt(2)
	ds_write_b64 v153, v[2:3]
.LBB118_301:
	s_or_b64 exec, exec, s[4:5]
	s_waitcnt lgkmcnt(0)
	; wave barrier
	s_waitcnt lgkmcnt(0)
	buffer_load_dword v60, off, s[0:3], 0 offset:180
	buffer_load_dword v66, off, s[0:3], 0 offset:188
	;; [unrolled: 1-line block ×52, first 2 shown]
	v_mov_b32_e32 v1, 0
	ds_read_b128 v[4:7], v1 offset:624
	ds_read_b128 v[8:11], v1 offset:640
	;; [unrolled: 1-line block ×6, first 2 shown]
	v_cmp_lt_u32_e32 vcc, 20, v0
	s_waitcnt vmcnt(51) lgkmcnt(5)
	v_mul_f32_e32 v28, v4, v60
	s_waitcnt vmcnt(50)
	v_mul_f32_e32 v29, v6, v66
	s_waitcnt vmcnt(49) lgkmcnt(4)
	v_mul_f32_e32 v30, v8, v68
	s_waitcnt vmcnt(48)
	v_mul_f32_e32 v31, v10, v82
	;; [unrolled: 4-line block ×5, first 2 shown]
	s_waitcnt vmcnt(41) lgkmcnt(0)
	v_mul_f32_e32 v38, v24, v89
	s_waitcnt vmcnt(40)
	v_fmac_f32_e32 v28, v5, v90
	s_waitcnt vmcnt(39)
	v_fmac_f32_e32 v29, v7, v91
	v_add_f32_e32 v28, 0, v28
	s_waitcnt vmcnt(38)
	v_fmac_f32_e32 v30, v9, v92
	v_add_f32_e32 v28, v28, v29
	;; [unrolled: 3-line block ×9, first 2 shown]
	v_add_f32_e32 v28, v28, v37
	s_waitcnt vmcnt(30)
	v_fmac_f32_e32 v38, v25, v100
	v_add_f32_e32 v32, v28, v38
	ds_read_b128 v[28:31], v1 offset:720
	s_waitcnt vmcnt(29)
	v_mul_f32_e32 v33, v26, v101
	s_waitcnt vmcnt(28)
	v_fmac_f32_e32 v33, v27, v102
	v_add_f32_e32 v36, v32, v33
	ds_read_b128 v[32:35], v1 offset:736
	s_waitcnt vmcnt(27) lgkmcnt(1)
	v_mul_f32_e32 v37, v28, v103
	s_waitcnt vmcnt(26)
	v_fmac_f32_e32 v37, v29, v104
	v_add_f32_e32 v36, v36, v37
	s_waitcnt vmcnt(25)
	v_mul_f32_e32 v37, v30, v105
	s_waitcnt vmcnt(24)
	v_fmac_f32_e32 v37, v31, v106
	v_add_f32_e32 v36, v36, v37
	s_waitcnt vmcnt(23) lgkmcnt(0)
	v_mul_f32_e32 v37, v32, v107
	s_waitcnt vmcnt(22)
	v_fmac_f32_e32 v37, v33, v108
	v_add_f32_e32 v40, v36, v37
	ds_read_b128 v[36:39], v1 offset:752
	s_waitcnt vmcnt(21)
	v_mul_f32_e32 v41, v34, v109
	s_waitcnt vmcnt(20)
	v_fmac_f32_e32 v41, v35, v110
	v_add_f32_e32 v44, v40, v41
	ds_read_b128 v[40:43], v1 offset:768
	s_waitcnt vmcnt(19) lgkmcnt(1)
	v_mul_f32_e32 v45, v36, v111
	s_waitcnt vmcnt(18)
	v_fmac_f32_e32 v45, v37, v112
	v_add_f32_e32 v44, v44, v45
	s_waitcnt vmcnt(17)
	v_mul_f32_e32 v45, v38, v113
	s_waitcnt vmcnt(16)
	v_fmac_f32_e32 v45, v39, v114
	v_add_f32_e32 v44, v44, v45
	s_waitcnt vmcnt(14) lgkmcnt(0)
	v_mul_f32_e32 v45, v40, v116
	v_fmac_f32_e32 v45, v41, v115
	v_add_f32_e32 v48, v44, v45
	ds_read_b128 v[44:47], v1 offset:784
	s_waitcnt vmcnt(10)
	v_mul_f32_e32 v49, v42, v118
	v_fmac_f32_e32 v49, v43, v117
	v_add_f32_e32 v52, v48, v49
	ds_read_b128 v[48:51], v1 offset:800
	s_waitcnt vmcnt(8) lgkmcnt(1)
	v_mul_f32_e32 v53, v44, v120
	v_fmac_f32_e32 v53, v45, v119
	v_add_f32_e32 v52, v52, v53
	s_waitcnt vmcnt(6)
	v_mul_f32_e32 v53, v46, v122
	v_fmac_f32_e32 v53, v47, v121
	v_add_f32_e32 v52, v52, v53
	s_waitcnt vmcnt(4) lgkmcnt(0)
	v_mul_f32_e32 v53, v48, v124
	v_fmac_f32_e32 v53, v49, v123
	v_add_f32_e32 v61, v52, v53
	ds_read_b128 v[52:55], v1 offset:816
	buffer_load_dword v63, off, s[0:3], 0 offset:388
	buffer_load_dword v62, off, s[0:3], 0 offset:384
	;; [unrolled: 1-line block ×4, first 2 shown]
	ds_read_b128 v[56:59], v1 offset:832
	buffer_load_dword v71, off, s[0:3], 0 offset:420
	buffer_load_dword v70, off, s[0:3], 0 offset:416
	;; [unrolled: 1-line block ×12, first 2 shown]
	v_mul_f32_e32 v5, v5, v60
	v_fma_f32 v4, v4, v90, -v5
	v_mul_f32_e32 v5, v7, v66
	v_add_f32_e32 v4, 0, v4
	v_fma_f32 v5, v6, v91, -v5
	v_add_f32_e32 v4, v4, v5
	v_mul_f32_e32 v5, v9, v68
	v_fma_f32 v5, v8, v92, -v5
	v_add_f32_e32 v4, v4, v5
	v_mul_f32_e32 v5, v11, v82
	;; [unrolled: 3-line block ×21, first 2 shown]
	v_fma_f32 v5, v48, v123, -v5
	s_waitcnt vmcnt(18)
	v_mul_f32_e32 v67, v50, v126
	v_add_f32_e32 v60, v4, v5
	v_mul_f32_e32 v4, v51, v126
	v_fmac_f32_e32 v67, v51, v125
	s_waitcnt vmcnt(16) lgkmcnt(1)
	v_mul_f32_e32 v69, v52, v128
	v_fma_f32 v66, v50, v125, -v4
	v_mul_f32_e32 v4, v53, v128
	v_fmac_f32_e32 v69, v53, v127
	s_waitcnt vmcnt(13)
	v_mov_b32_e32 v16, v65
	v_pk_mul_f32 v[16:17], v[54:55], v[16:17] op_sel_hi:[1,0]
	s_waitcnt vmcnt(12)
	v_pk_fma_f32 v[18:19], v[54:55], v[64:65], v[16:17] op_sel:[0,0,1] op_sel_hi:[1,1,0] neg_lo:[0,0,1] neg_hi:[0,0,1]
	v_pk_fma_f32 v[16:17], v[54:55], v[64:65], v[16:17] op_sel:[0,0,1] op_sel_hi:[1,0,0]
	v_fma_f32 v68, v52, v127, -v4
	v_pk_add_f32 v[14:15], v[60:61], v[66:67]
	v_mov_b32_e32 v16, v63
	v_pk_add_f32 v[14:15], v[14:15], v[68:69]
	v_mov_b32_e32 v19, v17
	s_waitcnt lgkmcnt(0)
	v_pk_mul_f32 v[16:17], v[56:57], v[16:17] op_sel_hi:[1,0]
	v_pk_add_f32 v[14:15], v[14:15], v[18:19]
	v_pk_fma_f32 v[18:19], v[56:57], v[62:63], v[16:17] op_sel:[0,0,1] op_sel_hi:[1,1,0] neg_lo:[0,0,1] neg_hi:[0,0,1]
	v_pk_fma_f32 v[16:17], v[56:57], v[62:63], v[16:17] op_sel:[0,0,1] op_sel_hi:[1,0,0]
	s_waitcnt vmcnt(5)
	v_mov_b32_e32 v16, v77
	ds_read_b128 v[4:7], v1 offset:848
	ds_read_b128 v[8:11], v1 offset:864
	ds_read_b64 v[12:13], v1 offset:880
	v_mov_b32_e32 v19, v17
	v_pk_mul_f32 v[16:17], v[58:59], v[16:17] op_sel_hi:[1,0]
	v_pk_add_f32 v[14:15], v[14:15], v[18:19]
	s_waitcnt vmcnt(4)
	v_pk_fma_f32 v[18:19], v[58:59], v[76:77], v[16:17] op_sel:[0,0,1] op_sel_hi:[1,1,0] neg_lo:[0,0,1] neg_hi:[0,0,1]
	v_pk_fma_f32 v[16:17], v[58:59], v[76:77], v[16:17] op_sel:[0,0,1] op_sel_hi:[1,0,0]
	v_mov_b32_e32 v16, v75
	v_mov_b32_e32 v19, v17
	s_waitcnt lgkmcnt(2)
	v_pk_mul_f32 v[16:17], v[4:5], v[16:17] op_sel_hi:[1,0]
	v_pk_add_f32 v[14:15], v[14:15], v[18:19]
	v_pk_fma_f32 v[18:19], v[4:5], v[74:75], v[16:17] op_sel:[0,0,1] op_sel_hi:[1,1,0] neg_lo:[0,0,1] neg_hi:[0,0,1]
	v_pk_fma_f32 v[4:5], v[4:5], v[74:75], v[16:17] op_sel:[0,0,1] op_sel_hi:[1,0,0]
	v_mov_b32_e32 v19, v5
	v_pk_add_f32 v[4:5], v[14:15], v[18:19]
	v_mov_b32_e32 v14, v73
	v_pk_mul_f32 v[14:15], v[6:7], v[14:15] op_sel_hi:[1,0]
	v_pk_fma_f32 v[16:17], v[6:7], v[72:73], v[14:15] op_sel:[0,0,1] op_sel_hi:[1,1,0] neg_lo:[0,0,1] neg_hi:[0,0,1]
	v_pk_fma_f32 v[6:7], v[6:7], v[72:73], v[14:15] op_sel:[0,0,1] op_sel_hi:[1,0,0]
	v_mov_b32_e32 v6, v71
	v_mov_b32_e32 v17, v7
	s_waitcnt lgkmcnt(1)
	v_pk_mul_f32 v[6:7], v[8:9], v[6:7] op_sel_hi:[1,0]
	v_pk_fma_f32 v[14:15], v[8:9], v[70:71], v[6:7] op_sel:[0,0,1] op_sel_hi:[1,1,0] neg_lo:[0,0,1] neg_hi:[0,0,1]
	v_pk_fma_f32 v[6:7], v[8:9], v[70:71], v[6:7] op_sel:[0,0,1] op_sel_hi:[1,0,0]
	s_waitcnt vmcnt(1)
	v_mov_b32_e32 v6, v81
	v_mov_b32_e32 v15, v7
	v_pk_mul_f32 v[6:7], v[10:11], v[6:7] op_sel_hi:[1,0]
	s_waitcnt vmcnt(0)
	v_pk_fma_f32 v[8:9], v[10:11], v[80:81], v[6:7] op_sel:[0,0,1] op_sel_hi:[1,1,0] neg_lo:[0,0,1] neg_hi:[0,0,1]
	v_pk_fma_f32 v[6:7], v[10:11], v[80:81], v[6:7] op_sel:[0,0,1] op_sel_hi:[1,0,0]
	v_pk_add_f32 v[4:5], v[4:5], v[16:17]
	v_mov_b32_e32 v6, v79
	v_pk_add_f32 v[4:5], v[4:5], v[14:15]
	v_mov_b32_e32 v9, v7
	s_waitcnt lgkmcnt(0)
	v_pk_mul_f32 v[6:7], v[12:13], v[6:7] op_sel_hi:[1,0]
	v_pk_add_f32 v[4:5], v[4:5], v[8:9]
	v_pk_fma_f32 v[8:9], v[12:13], v[78:79], v[6:7] op_sel:[0,0,1] op_sel_hi:[1,1,0] neg_lo:[0,0,1] neg_hi:[0,0,1]
	v_pk_fma_f32 v[6:7], v[12:13], v[78:79], v[6:7] op_sel:[0,0,1] op_sel_hi:[1,0,0]
	v_mov_b32_e32 v9, v7
	v_pk_add_f32 v[4:5], v[4:5], v[8:9]
	v_pk_add_f32 v[2:3], v[2:3], v[4:5] neg_lo:[0,1] neg_hi:[0,1]
	buffer_store_dword v3, off, s[0:3], 0 offset:172
	buffer_store_dword v2, off, s[0:3], 0 offset:168
	s_and_saveexec_b64 s[4:5], vcc
	s_cbranch_execz .LBB118_303
; %bb.302:
	buffer_load_dword v2, off, s[0:3], 0 offset:160
	buffer_load_dword v3, off, s[0:3], 0 offset:164
	s_waitcnt vmcnt(0)
	ds_write_b64 v153, v[2:3]
	buffer_store_dword v1, off, s[0:3], 0 offset:160
	buffer_store_dword v1, off, s[0:3], 0 offset:164
.LBB118_303:
	s_or_b64 exec, exec, s[4:5]
	s_waitcnt lgkmcnt(0)
	; wave barrier
	s_waitcnt lgkmcnt(0)
	buffer_load_dword v62, off, s[0:3], 0 offset:172
	buffer_load_dword v64, off, s[0:3], 0 offset:180
	;; [unrolled: 1-line block ×42, first 2 shown]
	ds_read2_b64 v[4:7], v1 offset0:77 offset1:78
	ds_read2_b64 v[8:11], v1 offset0:79 offset1:80
	buffer_load_dword v119, off, s[0:3], 0 offset:328
	buffer_load_dword v120, off, s[0:3], 0 offset:332
	ds_read2_b64 v[12:15], v1 offset0:81 offset1:82
	ds_read2_b64 v[16:19], v1 offset0:83 offset1:84
	buffer_load_dword v121, off, s[0:3], 0 offset:336
	buffer_load_dword v122, off, s[0:3], 0 offset:340
	;; [unrolled: 1-line block ×4, first 2 shown]
	ds_read2_b64 v[20:23], v1 offset0:85 offset1:86
	ds_read2_b64 v[24:27], v1 offset0:87 offset1:88
	buffer_load_dword v125, off, s[0:3], 0 offset:352
	buffer_load_dword v126, off, s[0:3], 0 offset:356
	buffer_load_dword v127, off, s[0:3], 0 offset:360
	buffer_load_dword v128, off, s[0:3], 0 offset:364
	buffer_load_dword v129, off, s[0:3], 0 offset:368
	buffer_load_dword v130, off, s[0:3], 0 offset:372
	v_cmp_lt_u32_e32 vcc, 19, v0
	s_waitcnt vmcnt(53) lgkmcnt(5)
	v_mul_f32_e32 v28, v4, v62
	s_waitcnt vmcnt(52)
	v_mul_f32_e32 v29, v6, v64
	s_waitcnt vmcnt(51) lgkmcnt(4)
	v_mul_f32_e32 v30, v8, v66
	s_waitcnt vmcnt(50)
	v_mul_f32_e32 v31, v10, v82
	;; [unrolled: 4-line block ×5, first 2 shown]
	s_waitcnt vmcnt(43)
	v_fmac_f32_e32 v28, v5, v89
	s_waitcnt vmcnt(42)
	v_fmac_f32_e32 v29, v7, v90
	v_add_f32_e32 v28, 0, v28
	s_waitcnt vmcnt(41)
	v_fmac_f32_e32 v30, v9, v91
	v_add_f32_e32 v28, v28, v29
	;; [unrolled: 3-line block ×9, first 2 shown]
	s_waitcnt vmcnt(33) lgkmcnt(0)
	v_mul_f32_e32 v29, v24, v99
	v_add_f32_e32 v28, v28, v37
	s_waitcnt vmcnt(32)
	v_fmac_f32_e32 v29, v25, v100
	v_add_f32_e32 v32, v28, v29
	ds_read2_b64 v[28:31], v1 offset0:89 offset1:90
	s_waitcnt vmcnt(31)
	v_mul_f32_e32 v33, v26, v101
	s_waitcnt vmcnt(30)
	v_fmac_f32_e32 v33, v27, v102
	v_add_f32_e32 v36, v32, v33
	ds_read2_b64 v[32:35], v1 offset0:91 offset1:92
	s_waitcnt vmcnt(29) lgkmcnt(1)
	v_mul_f32_e32 v37, v28, v103
	s_waitcnt vmcnt(28)
	v_fmac_f32_e32 v37, v29, v104
	v_add_f32_e32 v36, v36, v37
	s_waitcnt vmcnt(27)
	v_mul_f32_e32 v37, v30, v105
	s_waitcnt vmcnt(26)
	v_fmac_f32_e32 v37, v31, v106
	v_add_f32_e32 v36, v36, v37
	s_waitcnt vmcnt(25) lgkmcnt(0)
	v_mul_f32_e32 v37, v32, v107
	s_waitcnt vmcnt(24)
	v_fmac_f32_e32 v37, v33, v108
	v_add_f32_e32 v40, v36, v37
	ds_read2_b64 v[36:39], v1 offset0:93 offset1:94
	s_waitcnt vmcnt(23)
	v_mul_f32_e32 v41, v34, v109
	s_waitcnt vmcnt(22)
	v_fmac_f32_e32 v41, v35, v110
	v_add_f32_e32 v44, v40, v41
	ds_read2_b64 v[40:43], v1 offset0:95 offset1:96
	s_waitcnt vmcnt(21) lgkmcnt(1)
	v_mul_f32_e32 v45, v36, v111
	s_waitcnt vmcnt(20)
	v_fmac_f32_e32 v45, v37, v112
	v_add_f32_e32 v44, v44, v45
	s_waitcnt vmcnt(18)
	v_mul_f32_e32 v45, v38, v114
	v_fmac_f32_e32 v45, v39, v113
	v_add_f32_e32 v44, v44, v45
	s_waitcnt vmcnt(15) lgkmcnt(0)
	v_mul_f32_e32 v45, v40, v115
	s_waitcnt vmcnt(14)
	v_fmac_f32_e32 v45, v41, v116
	v_add_f32_e32 v48, v44, v45
	ds_read2_b64 v[44:47], v1 offset0:97 offset1:98
	s_waitcnt vmcnt(12)
	v_mul_f32_e32 v49, v42, v118
	v_fmac_f32_e32 v49, v43, v117
	v_add_f32_e32 v52, v48, v49
	ds_read2_b64 v[48:51], v1 offset0:99 offset1:100
	buffer_load_dword v61, off, s[0:3], 0 offset:380
	buffer_load_dword v60, off, s[0:3], 0 offset:376
	s_waitcnt vmcnt(12) lgkmcnt(1)
	v_mul_f32_e32 v53, v44, v120
	v_fmac_f32_e32 v53, v45, v119
	v_add_f32_e32 v52, v52, v53
	s_waitcnt vmcnt(10)
	v_mul_f32_e32 v53, v46, v122
	v_fmac_f32_e32 v53, v47, v121
	v_add_f32_e32 v52, v52, v53
	s_waitcnt vmcnt(8) lgkmcnt(0)
	v_mul_f32_e32 v53, v48, v124
	v_fmac_f32_e32 v53, v49, v123
	s_waitcnt vmcnt(6)
	v_mul_f32_e32 v57, v50, v126
	v_add_f32_e32 v56, v52, v53
	v_fmac_f32_e32 v57, v51, v125
	ds_read2_b64 v[52:55], v1 offset0:101 offset1:102
	v_add_f32_e32 v63, v56, v57
	ds_read2_b64 v[56:59], v1 offset0:103 offset1:104
	buffer_load_dword v69, off, s[0:3], 0 offset:412
	buffer_load_dword v68, off, s[0:3], 0 offset:408
	;; [unrolled: 1-line block ×14, first 2 shown]
	v_mul_f32_e32 v5, v5, v62
	v_fma_f32 v4, v4, v89, -v5
	v_mul_f32_e32 v5, v7, v64
	v_add_f32_e32 v4, 0, v4
	v_fma_f32 v5, v6, v90, -v5
	v_add_f32_e32 v4, v4, v5
	v_mul_f32_e32 v5, v9, v66
	v_fma_f32 v5, v8, v91, -v5
	v_add_f32_e32 v4, v4, v5
	v_mul_f32_e32 v5, v11, v82
	;; [unrolled: 3-line block ×22, first 2 shown]
	v_fma_f32 v5, v50, v125, -v5
	s_waitcnt vmcnt(15)
	v_mov_b32_e32 v18, v61
	s_waitcnt lgkmcnt(1)
	v_mul_f32_e32 v65, v52, v128
	v_add_f32_e32 v62, v4, v5
	v_mul_f32_e32 v4, v53, v128
	s_waitcnt lgkmcnt(0)
	v_pk_mul_f32 v[18:19], v[56:57], v[18:19] op_sel_hi:[1,0]
	v_fmac_f32_e32 v65, v53, v127
	v_mul_f32_e32 v67, v54, v130
	v_fma_f32 v64, v52, v127, -v4
	v_mul_f32_e32 v4, v55, v130
	s_waitcnt vmcnt(14)
	v_pk_fma_f32 v[20:21], v[56:57], v[60:61], v[18:19] op_sel:[0,0,1] op_sel_hi:[1,1,0] neg_lo:[0,0,1] neg_hi:[0,0,1]
	v_pk_fma_f32 v[18:19], v[56:57], v[60:61], v[18:19] op_sel:[0,0,1] op_sel_hi:[1,0,0]
	v_fmac_f32_e32 v67, v55, v129
	v_fma_f32 v66, v54, v129, -v4
	v_pk_add_f32 v[16:17], v[62:63], v[64:65]
	s_waitcnt vmcnt(7)
	v_mov_b32_e32 v18, v75
	ds_read2_b64 v[4:7], v1 offset0:105 offset1:106
	ds_read2_b64 v[8:11], v1 offset0:107 offset1:108
	;; [unrolled: 1-line block ×3, first 2 shown]
	v_pk_add_f32 v[16:17], v[16:17], v[66:67]
	v_mov_b32_e32 v21, v19
	v_pk_mul_f32 v[18:19], v[58:59], v[18:19] op_sel_hi:[1,0]
	v_pk_add_f32 v[16:17], v[16:17], v[20:21]
	s_waitcnt vmcnt(6)
	v_pk_fma_f32 v[20:21], v[58:59], v[74:75], v[18:19] op_sel:[0,0,1] op_sel_hi:[1,1,0] neg_lo:[0,0,1] neg_hi:[0,0,1]
	v_pk_fma_f32 v[18:19], v[58:59], v[74:75], v[18:19] op_sel:[0,0,1] op_sel_hi:[1,0,0]
	v_mov_b32_e32 v18, v73
	v_mov_b32_e32 v21, v19
	s_waitcnt lgkmcnt(2)
	v_pk_mul_f32 v[18:19], v[4:5], v[18:19] op_sel_hi:[1,0]
	v_pk_add_f32 v[16:17], v[16:17], v[20:21]
	v_pk_fma_f32 v[20:21], v[4:5], v[72:73], v[18:19] op_sel:[0,0,1] op_sel_hi:[1,1,0] neg_lo:[0,0,1] neg_hi:[0,0,1]
	v_pk_fma_f32 v[4:5], v[4:5], v[72:73], v[18:19] op_sel:[0,0,1] op_sel_hi:[1,0,0]
	v_mov_b32_e32 v21, v5
	v_pk_add_f32 v[4:5], v[16:17], v[20:21]
	v_mov_b32_e32 v16, v71
	v_pk_mul_f32 v[16:17], v[6:7], v[16:17] op_sel_hi:[1,0]
	v_pk_fma_f32 v[18:19], v[6:7], v[70:71], v[16:17] op_sel:[0,0,1] op_sel_hi:[1,1,0] neg_lo:[0,0,1] neg_hi:[0,0,1]
	v_pk_fma_f32 v[6:7], v[6:7], v[70:71], v[16:17] op_sel:[0,0,1] op_sel_hi:[1,0,0]
	v_mov_b32_e32 v6, v69
	v_mov_b32_e32 v19, v7
	s_waitcnt lgkmcnt(1)
	v_pk_mul_f32 v[6:7], v[8:9], v[6:7] op_sel_hi:[1,0]
	v_pk_fma_f32 v[16:17], v[8:9], v[68:69], v[6:7] op_sel:[0,0,1] op_sel_hi:[1,1,0] neg_lo:[0,0,1] neg_hi:[0,0,1]
	v_pk_fma_f32 v[6:7], v[8:9], v[68:69], v[6:7] op_sel:[0,0,1] op_sel_hi:[1,0,0]
	s_waitcnt vmcnt(1)
	v_mov_b32_e32 v6, v81
	v_mov_b32_e32 v17, v7
	v_pk_mul_f32 v[6:7], v[10:11], v[6:7] op_sel_hi:[1,0]
	s_waitcnt vmcnt(0)
	v_pk_fma_f32 v[8:9], v[10:11], v[80:81], v[6:7] op_sel:[0,0,1] op_sel_hi:[1,1,0] neg_lo:[0,0,1] neg_hi:[0,0,1]
	v_pk_fma_f32 v[6:7], v[10:11], v[80:81], v[6:7] op_sel:[0,0,1] op_sel_hi:[1,0,0]
	v_pk_add_f32 v[4:5], v[4:5], v[18:19]
	v_mov_b32_e32 v6, v79
	v_pk_add_f32 v[4:5], v[4:5], v[16:17]
	v_mov_b32_e32 v9, v7
	s_waitcnt lgkmcnt(0)
	v_pk_mul_f32 v[6:7], v[12:13], v[6:7] op_sel_hi:[1,0]
	v_pk_add_f32 v[4:5], v[4:5], v[8:9]
	v_pk_fma_f32 v[8:9], v[12:13], v[78:79], v[6:7] op_sel:[0,0,1] op_sel_hi:[1,1,0] neg_lo:[0,0,1] neg_hi:[0,0,1]
	v_pk_fma_f32 v[6:7], v[12:13], v[78:79], v[6:7] op_sel:[0,0,1] op_sel_hi:[1,0,0]
	v_mov_b32_e32 v6, v77
	v_mov_b32_e32 v9, v7
	v_pk_mul_f32 v[6:7], v[14:15], v[6:7] op_sel_hi:[1,0]
	v_pk_add_f32 v[4:5], v[4:5], v[8:9]
	v_pk_fma_f32 v[8:9], v[14:15], v[76:77], v[6:7] op_sel:[0,0,1] op_sel_hi:[1,1,0] neg_lo:[0,0,1] neg_hi:[0,0,1]
	v_pk_fma_f32 v[6:7], v[14:15], v[76:77], v[6:7] op_sel:[0,0,1] op_sel_hi:[1,0,0]
	v_mov_b32_e32 v9, v7
	v_pk_add_f32 v[4:5], v[4:5], v[8:9]
	v_pk_add_f32 v[2:3], v[2:3], v[4:5] neg_lo:[0,1] neg_hi:[0,1]
	buffer_store_dword v3, off, s[0:3], 0 offset:164
	buffer_store_dword v2, off, s[0:3], 0 offset:160
	s_and_saveexec_b64 s[4:5], vcc
	s_cbranch_execz .LBB118_305
; %bb.304:
	buffer_load_dword v2, off, s[0:3], 0 offset:152
	buffer_load_dword v3, off, s[0:3], 0 offset:156
	v_mov_b32_e32 v1, 0
	buffer_store_dword v1, off, s[0:3], 0 offset:152
	buffer_store_dword v1, off, s[0:3], 0 offset:156
	s_waitcnt vmcnt(2)
	ds_write_b64 v153, v[2:3]
.LBB118_305:
	s_or_b64 exec, exec, s[4:5]
	s_waitcnt lgkmcnt(0)
	; wave barrier
	s_waitcnt lgkmcnt(0)
	buffer_load_dword v60, off, s[0:3], 0 offset:164
	buffer_load_dword v62, off, s[0:3], 0 offset:172
	;; [unrolled: 1-line block ×56, first 2 shown]
	v_mov_b32_e32 v1, 0
	ds_read_b128 v[4:7], v1 offset:608
	ds_read_b128 v[8:11], v1 offset:624
	;; [unrolled: 1-line block ×6, first 2 shown]
	v_cmp_lt_u32_e32 vcc, 18, v0
	s_waitcnt vmcnt(55) lgkmcnt(5)
	v_mul_f32_e32 v28, v4, v60
	s_waitcnt vmcnt(54)
	v_mul_f32_e32 v29, v6, v62
	s_waitcnt vmcnt(53) lgkmcnt(4)
	v_mul_f32_e32 v30, v8, v64
	s_waitcnt vmcnt(52)
	v_mul_f32_e32 v31, v10, v82
	;; [unrolled: 4-line block ×4, first 2 shown]
	s_waitcnt vmcnt(47) lgkmcnt(1)
	v_mul_f32_e32 v36, v20, v87
	s_waitcnt vmcnt(46)
	v_fmac_f32_e32 v28, v5, v88
	s_waitcnt vmcnt(45)
	v_fmac_f32_e32 v29, v7, v89
	v_add_f32_e32 v28, 0, v28
	s_waitcnt vmcnt(44)
	v_fmac_f32_e32 v30, v9, v90
	v_add_f32_e32 v28, v28, v29
	;; [unrolled: 3-line block ×7, first 2 shown]
	v_add_f32_e32 v28, v28, v35
	s_waitcnt vmcnt(38)
	v_fmac_f32_e32 v36, v21, v96
	s_waitcnt vmcnt(37)
	v_mul_f32_e32 v29, v22, v97
	v_add_f32_e32 v28, v28, v36
	s_waitcnt vmcnt(36)
	v_fmac_f32_e32 v29, v23, v98
	v_add_f32_e32 v28, v28, v29
	s_waitcnt vmcnt(35) lgkmcnt(0)
	v_mul_f32_e32 v29, v24, v99
	s_waitcnt vmcnt(34)
	v_fmac_f32_e32 v29, v25, v100
	v_add_f32_e32 v32, v28, v29
	ds_read_b128 v[28:31], v1 offset:704
	s_waitcnt vmcnt(33)
	v_mul_f32_e32 v33, v26, v101
	s_waitcnt vmcnt(32)
	v_fmac_f32_e32 v33, v27, v102
	v_add_f32_e32 v36, v32, v33
	ds_read_b128 v[32:35], v1 offset:720
	s_waitcnt vmcnt(31) lgkmcnt(1)
	v_mul_f32_e32 v37, v28, v103
	s_waitcnt vmcnt(30)
	v_fmac_f32_e32 v37, v29, v104
	v_add_f32_e32 v36, v36, v37
	s_waitcnt vmcnt(29)
	v_mul_f32_e32 v37, v30, v105
	s_waitcnt vmcnt(28)
	v_fmac_f32_e32 v37, v31, v106
	v_add_f32_e32 v36, v36, v37
	s_waitcnt vmcnt(27) lgkmcnt(0)
	v_mul_f32_e32 v37, v32, v107
	s_waitcnt vmcnt(26)
	v_fmac_f32_e32 v37, v33, v108
	v_add_f32_e32 v40, v36, v37
	ds_read_b128 v[36:39], v1 offset:736
	s_waitcnt vmcnt(24)
	v_mul_f32_e32 v41, v34, v110
	v_fmac_f32_e32 v41, v35, v109
	v_add_f32_e32 v44, v40, v41
	ds_read_b128 v[40:43], v1 offset:752
	s_waitcnt vmcnt(20) lgkmcnt(1)
	v_mul_f32_e32 v45, v36, v112
	v_fmac_f32_e32 v45, v37, v111
	v_add_f32_e32 v44, v44, v45
	s_waitcnt vmcnt(18)
	v_mul_f32_e32 v45, v38, v114
	v_fmac_f32_e32 v45, v39, v113
	v_add_f32_e32 v44, v44, v45
	s_waitcnt vmcnt(16) lgkmcnt(0)
	v_mul_f32_e32 v45, v40, v116
	v_fmac_f32_e32 v45, v41, v115
	v_add_f32_e32 v48, v44, v45
	ds_read_b128 v[44:47], v1 offset:768
	s_waitcnt vmcnt(14)
	v_mul_f32_e32 v49, v42, v118
	v_fmac_f32_e32 v49, v43, v117
	v_add_f32_e32 v52, v48, v49
	ds_read_b128 v[48:51], v1 offset:784
	s_waitcnt vmcnt(12) lgkmcnt(1)
	v_mul_f32_e32 v53, v44, v120
	v_fmac_f32_e32 v53, v45, v119
	v_add_f32_e32 v52, v52, v53
	s_waitcnt vmcnt(10)
	v_mul_f32_e32 v53, v46, v122
	v_fmac_f32_e32 v53, v47, v121
	v_add_f32_e32 v52, v52, v53
	s_waitcnt vmcnt(8) lgkmcnt(0)
	v_mul_f32_e32 v53, v48, v124
	v_fmac_f32_e32 v53, v49, v123
	s_waitcnt vmcnt(6)
	v_mul_f32_e32 v57, v50, v126
	v_add_f32_e32 v56, v52, v53
	v_fmac_f32_e32 v57, v51, v125
	ds_read_b128 v[52:55], v1 offset:800
	v_add_f32_e32 v61, v56, v57
	ds_read_b128 v[56:59], v1 offset:816
	buffer_load_dword v67, off, s[0:3], 0 offset:404
	buffer_load_dword v66, off, s[0:3], 0 offset:400
	;; [unrolled: 1-line block ×16, first 2 shown]
	v_mul_f32_e32 v5, v5, v60
	v_fma_f32 v4, v4, v88, -v5
	v_mul_f32_e32 v5, v7, v62
	v_add_f32_e32 v4, 0, v4
	v_fma_f32 v5, v6, v89, -v5
	v_add_f32_e32 v4, v4, v5
	v_mul_f32_e32 v5, v9, v64
	v_fma_f32 v5, v8, v90, -v5
	v_add_f32_e32 v4, v4, v5
	v_mul_f32_e32 v5, v11, v82
	;; [unrolled: 3-line block ×22, first 2 shown]
	v_fma_f32 v5, v50, v125, -v5
	v_add_f32_e32 v4, v4, v5
	s_waitcnt vmcnt(20) lgkmcnt(1)
	v_mul_f32_e32 v5, v53, v128
	v_mul_f32_e32 v63, v52, v128
	v_fma_f32 v5, v52, v127, -v5
	v_fmac_f32_e32 v63, v53, v127
	v_add_f32_e32 v60, v4, v5
	s_waitcnt vmcnt(18)
	v_mul_f32_e32 v4, v55, v130
	s_waitcnt vmcnt(9)
	v_mov_b32_e32 v20, v73
	v_add_f32_e32 v61, v61, v63
	v_mul_f32_e32 v63, v54, v130
	v_fma_f32 v62, v54, v129, -v4
	s_waitcnt lgkmcnt(0)
	v_mul_f32_e32 v4, v57, v132
	v_pk_mul_f32 v[20:21], v[58:59], v[20:21] op_sel_hi:[1,0]
	v_fmac_f32_e32 v63, v55, v129
	v_mul_f32_e32 v65, v56, v132
	v_fma_f32 v64, v56, v131, -v4
	ds_read_b128 v[4:7], v1 offset:832
	ds_read_b128 v[8:11], v1 offset:848
	;; [unrolled: 1-line block ×3, first 2 shown]
	ds_read_b64 v[16:17], v1 offset:880
	s_waitcnt vmcnt(8)
	v_pk_fma_f32 v[22:23], v[58:59], v[72:73], v[20:21] op_sel:[0,0,1] op_sel_hi:[1,1,0] neg_lo:[0,0,1] neg_hi:[0,0,1]
	v_pk_fma_f32 v[20:21], v[58:59], v[72:73], v[20:21] op_sel:[0,0,1] op_sel_hi:[1,0,0]
	v_fmac_f32_e32 v65, v57, v131
	v_pk_add_f32 v[18:19], v[60:61], v[62:63]
	v_mov_b32_e32 v20, v71
	v_pk_add_f32 v[18:19], v[18:19], v[64:65]
	v_mov_b32_e32 v23, v21
	s_waitcnt lgkmcnt(3)
	v_pk_mul_f32 v[20:21], v[4:5], v[20:21] op_sel_hi:[1,0]
	v_pk_add_f32 v[18:19], v[18:19], v[22:23]
	v_pk_fma_f32 v[22:23], v[4:5], v[70:71], v[20:21] op_sel:[0,0,1] op_sel_hi:[1,1,0] neg_lo:[0,0,1] neg_hi:[0,0,1]
	v_pk_fma_f32 v[4:5], v[4:5], v[70:71], v[20:21] op_sel:[0,0,1] op_sel_hi:[1,0,0]
	v_mov_b32_e32 v23, v5
	v_pk_add_f32 v[4:5], v[18:19], v[22:23]
	v_mov_b32_e32 v18, v69
	v_pk_mul_f32 v[18:19], v[6:7], v[18:19] op_sel_hi:[1,0]
	v_pk_fma_f32 v[20:21], v[6:7], v[68:69], v[18:19] op_sel:[0,0,1] op_sel_hi:[1,1,0] neg_lo:[0,0,1] neg_hi:[0,0,1]
	v_pk_fma_f32 v[6:7], v[6:7], v[68:69], v[18:19] op_sel:[0,0,1] op_sel_hi:[1,0,0]
	v_mov_b32_e32 v6, v67
	v_mov_b32_e32 v21, v7
	s_waitcnt lgkmcnt(2)
	v_pk_mul_f32 v[6:7], v[8:9], v[6:7] op_sel_hi:[1,0]
	v_pk_fma_f32 v[18:19], v[8:9], v[66:67], v[6:7] op_sel:[0,0,1] op_sel_hi:[1,1,0] neg_lo:[0,0,1] neg_hi:[0,0,1]
	v_pk_fma_f32 v[6:7], v[8:9], v[66:67], v[6:7] op_sel:[0,0,1] op_sel_hi:[1,0,0]
	s_waitcnt vmcnt(1)
	v_mov_b32_e32 v6, v81
	v_mov_b32_e32 v19, v7
	v_pk_mul_f32 v[6:7], v[10:11], v[6:7] op_sel_hi:[1,0]
	s_waitcnt vmcnt(0)
	v_pk_fma_f32 v[8:9], v[10:11], v[80:81], v[6:7] op_sel:[0,0,1] op_sel_hi:[1,1,0] neg_lo:[0,0,1] neg_hi:[0,0,1]
	v_pk_fma_f32 v[6:7], v[10:11], v[80:81], v[6:7] op_sel:[0,0,1] op_sel_hi:[1,0,0]
	v_pk_add_f32 v[4:5], v[4:5], v[20:21]
	v_mov_b32_e32 v6, v79
	v_pk_add_f32 v[4:5], v[4:5], v[18:19]
	v_mov_b32_e32 v9, v7
	s_waitcnt lgkmcnt(1)
	v_pk_mul_f32 v[6:7], v[12:13], v[6:7] op_sel_hi:[1,0]
	v_pk_add_f32 v[4:5], v[4:5], v[8:9]
	v_pk_fma_f32 v[8:9], v[12:13], v[78:79], v[6:7] op_sel:[0,0,1] op_sel_hi:[1,1,0] neg_lo:[0,0,1] neg_hi:[0,0,1]
	v_pk_fma_f32 v[6:7], v[12:13], v[78:79], v[6:7] op_sel:[0,0,1] op_sel_hi:[1,0,0]
	v_mov_b32_e32 v6, v77
	v_mov_b32_e32 v9, v7
	v_pk_mul_f32 v[6:7], v[14:15], v[6:7] op_sel_hi:[1,0]
	v_pk_add_f32 v[4:5], v[4:5], v[8:9]
	v_pk_fma_f32 v[8:9], v[14:15], v[76:77], v[6:7] op_sel:[0,0,1] op_sel_hi:[1,1,0] neg_lo:[0,0,1] neg_hi:[0,0,1]
	v_pk_fma_f32 v[6:7], v[14:15], v[76:77], v[6:7] op_sel:[0,0,1] op_sel_hi:[1,0,0]
	v_mov_b32_e32 v6, v75
	v_mov_b32_e32 v9, v7
	s_waitcnt lgkmcnt(0)
	v_pk_mul_f32 v[6:7], v[16:17], v[6:7] op_sel_hi:[1,0]
	v_pk_add_f32 v[4:5], v[4:5], v[8:9]
	v_pk_fma_f32 v[8:9], v[16:17], v[74:75], v[6:7] op_sel:[0,0,1] op_sel_hi:[1,1,0] neg_lo:[0,0,1] neg_hi:[0,0,1]
	v_pk_fma_f32 v[6:7], v[16:17], v[74:75], v[6:7] op_sel:[0,0,1] op_sel_hi:[1,0,0]
	v_mov_b32_e32 v9, v7
	v_pk_add_f32 v[4:5], v[4:5], v[8:9]
	v_pk_add_f32 v[2:3], v[2:3], v[4:5] neg_lo:[0,1] neg_hi:[0,1]
	buffer_store_dword v3, off, s[0:3], 0 offset:156
	buffer_store_dword v2, off, s[0:3], 0 offset:152
	s_and_saveexec_b64 s[4:5], vcc
	s_cbranch_execz .LBB118_307
; %bb.306:
	buffer_load_dword v2, off, s[0:3], 0 offset:144
	buffer_load_dword v3, off, s[0:3], 0 offset:148
	s_waitcnt vmcnt(0)
	ds_write_b64 v153, v[2:3]
	buffer_store_dword v1, off, s[0:3], 0 offset:144
	buffer_store_dword v1, off, s[0:3], 0 offset:148
.LBB118_307:
	s_or_b64 exec, exec, s[4:5]
	s_waitcnt lgkmcnt(0)
	; wave barrier
	s_waitcnt lgkmcnt(0)
	buffer_load_dword v60, off, s[0:3], 0 offset:156
	buffer_load_dword v62, off, s[0:3], 0 offset:164
	;; [unrolled: 1-line block ×36, first 2 shown]
	ds_read2_b64 v[4:7], v1 offset0:75 offset1:76
	ds_read2_b64 v[8:11], v1 offset0:77 offset1:78
	buffer_load_dword v113, off, s[0:3], 0 offset:288
	buffer_load_dword v114, off, s[0:3], 0 offset:292
	;; [unrolled: 1-line block ×4, first 2 shown]
	ds_read2_b64 v[12:15], v1 offset0:79 offset1:80
	ds_read2_b64 v[16:19], v1 offset0:81 offset1:82
	buffer_load_dword v117, off, s[0:3], 0 offset:304
	buffer_load_dword v118, off, s[0:3], 0 offset:308
	ds_read2_b64 v[20:23], v1 offset0:83 offset1:84
	ds_read2_b64 v[24:27], v1 offset0:85 offset1:86
	buffer_load_dword v119, off, s[0:3], 0 offset:312
	buffer_load_dword v120, off, s[0:3], 0 offset:316
	;; [unrolled: 1-line block ×16, first 2 shown]
	v_cmp_lt_u32_e32 vcc, 17, v0
	s_waitcnt vmcnt(57) lgkmcnt(5)
	v_mul_f32_e32 v28, v4, v60
	s_waitcnt vmcnt(56)
	v_mul_f32_e32 v29, v6, v62
	s_waitcnt vmcnt(55) lgkmcnt(4)
	v_mul_f32_e32 v30, v8, v70
	s_waitcnt vmcnt(54)
	v_mul_f32_e32 v31, v10, v82
	;; [unrolled: 4-line block ×4, first 2 shown]
	s_waitcnt vmcnt(49)
	v_fmac_f32_e32 v28, v5, v87
	s_waitcnt vmcnt(48)
	v_fmac_f32_e32 v29, v7, v88
	v_add_f32_e32 v28, 0, v28
	s_waitcnt vmcnt(47)
	v_fmac_f32_e32 v30, v9, v89
	v_add_f32_e32 v28, v28, v29
	;; [unrolled: 3-line block ×7, first 2 shown]
	s_waitcnt vmcnt(41) lgkmcnt(1)
	v_mul_f32_e32 v29, v20, v95
	v_add_f32_e32 v28, v28, v35
	s_waitcnt vmcnt(40)
	v_fmac_f32_e32 v29, v21, v96
	v_add_f32_e32 v28, v28, v29
	s_waitcnt vmcnt(39)
	v_mul_f32_e32 v29, v22, v97
	s_waitcnt vmcnt(38)
	v_fmac_f32_e32 v29, v23, v98
	v_add_f32_e32 v28, v28, v29
	s_waitcnt vmcnt(37) lgkmcnt(0)
	v_mul_f32_e32 v29, v24, v99
	s_waitcnt vmcnt(36)
	v_fmac_f32_e32 v29, v25, v100
	v_add_f32_e32 v32, v28, v29
	ds_read2_b64 v[28:31], v1 offset0:87 offset1:88
	s_waitcnt vmcnt(35)
	v_mul_f32_e32 v33, v26, v101
	s_waitcnt vmcnt(34)
	v_fmac_f32_e32 v33, v27, v102
	v_add_f32_e32 v36, v32, v33
	ds_read2_b64 v[32:35], v1 offset0:89 offset1:90
	s_waitcnt vmcnt(33) lgkmcnt(1)
	v_mul_f32_e32 v37, v28, v103
	s_waitcnt vmcnt(32)
	v_fmac_f32_e32 v37, v29, v104
	v_add_f32_e32 v36, v36, v37
	s_waitcnt vmcnt(31)
	v_mul_f32_e32 v37, v30, v105
	s_waitcnt vmcnt(30)
	v_fmac_f32_e32 v37, v31, v106
	v_add_f32_e32 v36, v36, v37
	s_waitcnt vmcnt(29) lgkmcnt(0)
	v_mul_f32_e32 v37, v32, v107
	s_waitcnt vmcnt(28)
	v_fmac_f32_e32 v37, v33, v108
	v_add_f32_e32 v40, v36, v37
	ds_read2_b64 v[36:39], v1 offset0:91 offset1:92
	s_waitcnt vmcnt(25)
	v_mul_f32_e32 v41, v34, v109
	s_waitcnt vmcnt(24)
	v_fmac_f32_e32 v41, v35, v110
	v_add_f32_e32 v44, v40, v41
	ds_read2_b64 v[40:43], v1 offset0:93 offset1:94
	s_waitcnt vmcnt(22) lgkmcnt(1)
	v_mul_f32_e32 v45, v36, v112
	v_fmac_f32_e32 v45, v37, v111
	v_add_f32_e32 v44, v44, v45
	s_waitcnt vmcnt(20)
	v_mul_f32_e32 v45, v38, v114
	v_fmac_f32_e32 v45, v39, v113
	v_add_f32_e32 v44, v44, v45
	s_waitcnt vmcnt(18) lgkmcnt(0)
	v_mul_f32_e32 v45, v40, v116
	v_fmac_f32_e32 v45, v41, v115
	v_add_f32_e32 v48, v44, v45
	ds_read2_b64 v[44:47], v1 offset0:95 offset1:96
	s_waitcnt vmcnt(16)
	v_mul_f32_e32 v49, v42, v118
	v_fmac_f32_e32 v49, v43, v117
	v_add_f32_e32 v52, v48, v49
	ds_read2_b64 v[48:51], v1 offset0:97 offset1:98
	s_waitcnt vmcnt(14) lgkmcnt(1)
	v_mul_f32_e32 v53, v44, v120
	v_fmac_f32_e32 v53, v45, v119
	v_add_f32_e32 v52, v52, v53
	s_waitcnt vmcnt(12)
	v_mul_f32_e32 v53, v46, v122
	v_fmac_f32_e32 v53, v47, v121
	v_add_f32_e32 v52, v52, v53
	s_waitcnt vmcnt(10) lgkmcnt(0)
	v_mul_f32_e32 v53, v48, v124
	v_fmac_f32_e32 v53, v49, v123
	s_waitcnt vmcnt(8)
	v_mul_f32_e32 v57, v50, v126
	v_add_f32_e32 v56, v52, v53
	v_fmac_f32_e32 v57, v51, v125
	ds_read2_b64 v[52:55], v1 offset0:99 offset1:100
	v_add_f32_e32 v61, v56, v57
	ds_read2_b64 v[56:59], v1 offset0:101 offset1:102
	buffer_load_dword v65, off, s[0:3], 0 offset:396
	buffer_load_dword v64, off, s[0:3], 0 offset:392
	;; [unrolled: 1-line block ×16, first 2 shown]
	v_mul_f32_e32 v5, v5, v60
	v_fma_f32 v4, v4, v87, -v5
	v_mul_f32_e32 v5, v7, v62
	v_add_f32_e32 v4, 0, v4
	v_fma_f32 v5, v6, v88, -v5
	v_add_f32_e32 v4, v4, v5
	v_mul_f32_e32 v5, v9, v70
	v_fma_f32 v5, v8, v89, -v5
	v_add_f32_e32 v4, v4, v5
	v_mul_f32_e32 v5, v11, v82
	v_fma_f32 v5, v10, v90, -v5
	v_add_f32_e32 v4, v4, v5
	v_mul_f32_e32 v5, v13, v83
	v_fma_f32 v5, v12, v91, -v5
	v_add_f32_e32 v4, v4, v5
	v_mul_f32_e32 v5, v15, v84
	v_fma_f32 v5, v14, v92, -v5
	v_add_f32_e32 v4, v4, v5
	v_mul_f32_e32 v5, v17, v85
	v_fma_f32 v5, v16, v93, -v5
	v_add_f32_e32 v4, v4, v5
	v_mul_f32_e32 v5, v19, v86
	v_fma_f32 v5, v18, v94, -v5
	v_add_f32_e32 v4, v4, v5
	v_mul_f32_e32 v5, v21, v95
	v_fma_f32 v5, v20, v96, -v5
	v_add_f32_e32 v4, v4, v5
	v_mul_f32_e32 v5, v23, v97
	v_fma_f32 v5, v22, v98, -v5
	v_add_f32_e32 v4, v4, v5
	v_mul_f32_e32 v5, v25, v99
	v_fma_f32 v5, v24, v100, -v5
	v_add_f32_e32 v4, v4, v5
	v_mul_f32_e32 v5, v27, v101
	v_fma_f32 v5, v26, v102, -v5
	v_add_f32_e32 v4, v4, v5
	v_mul_f32_e32 v5, v29, v103
	v_fma_f32 v5, v28, v104, -v5
	v_add_f32_e32 v4, v4, v5
	v_mul_f32_e32 v5, v31, v105
	v_fma_f32 v5, v30, v106, -v5
	v_add_f32_e32 v4, v4, v5
	v_mul_f32_e32 v5, v33, v107
	v_fma_f32 v5, v32, v108, -v5
	v_add_f32_e32 v4, v4, v5
	v_mul_f32_e32 v5, v35, v109
	v_fma_f32 v5, v34, v110, -v5
	v_add_f32_e32 v4, v4, v5
	v_mul_f32_e32 v5, v37, v112
	v_fma_f32 v5, v36, v111, -v5
	v_add_f32_e32 v4, v4, v5
	v_mul_f32_e32 v5, v39, v114
	v_fma_f32 v5, v38, v113, -v5
	v_add_f32_e32 v4, v4, v5
	v_mul_f32_e32 v5, v41, v116
	v_fma_f32 v5, v40, v115, -v5
	v_add_f32_e32 v4, v4, v5
	v_mul_f32_e32 v5, v43, v118
	v_fma_f32 v5, v42, v117, -v5
	v_add_f32_e32 v4, v4, v5
	v_mul_f32_e32 v5, v45, v120
	v_fma_f32 v5, v44, v119, -v5
	v_add_f32_e32 v4, v4, v5
	v_mul_f32_e32 v5, v47, v122
	v_fma_f32 v5, v46, v121, -v5
	v_add_f32_e32 v4, v4, v5
	v_mul_f32_e32 v5, v49, v124
	v_fma_f32 v5, v48, v123, -v5
	v_add_f32_e32 v4, v4, v5
	v_mul_f32_e32 v5, v51, v126
	v_fma_f32 v5, v50, v125, -v5
	v_add_f32_e32 v4, v4, v5
	s_waitcnt vmcnt(22) lgkmcnt(1)
	v_mul_f32_e32 v5, v53, v128
	v_fma_f32 v5, v52, v127, -v5
	v_add_f32_e32 v4, v4, v5
	s_waitcnt vmcnt(20)
	v_mul_f32_e32 v5, v55, v130
	v_mul_f32_e32 v63, v52, v128
	v_fma_f32 v5, v54, v129, -v5
	v_fmac_f32_e32 v63, v53, v127
	v_add_f32_e32 v60, v4, v5
	s_waitcnt vmcnt(18) lgkmcnt(0)
	v_mul_f32_e32 v4, v57, v132
	v_add_f32_e32 v61, v61, v63
	v_mul_f32_e32 v63, v54, v130
	v_fma_f32 v62, v56, v131, -v4
	s_waitcnt vmcnt(16)
	v_mul_f32_e32 v4, v59, v134
	v_fmac_f32_e32 v63, v55, v129
	v_fma_f32 v70, v58, v133, -v4
	ds_read2_b64 v[4:7], v1 offset0:103 offset1:104
	ds_read2_b64 v[8:11], v1 offset0:105 offset1:106
	;; [unrolled: 1-line block ×4, first 2 shown]
	v_add_f32_e32 v61, v61, v63
	v_mul_f32_e32 v63, v56, v132
	s_waitcnt vmcnt(11)
	v_mov_b32_e32 v22, v69
	v_fmac_f32_e32 v63, v57, v131
	v_mul_f32_e32 v71, v58, v134
	s_waitcnt lgkmcnt(3)
	v_pk_mul_f32 v[22:23], v[4:5], v[22:23] op_sel_hi:[1,0]
	v_fmac_f32_e32 v71, v59, v133
	v_pk_add_f32 v[20:21], v[60:61], v[62:63]
	s_waitcnt vmcnt(10)
	v_pk_fma_f32 v[24:25], v[4:5], v[68:69], v[22:23] op_sel:[0,0,1] op_sel_hi:[1,1,0] neg_lo:[0,0,1] neg_hi:[0,0,1]
	v_pk_fma_f32 v[4:5], v[4:5], v[68:69], v[22:23] op_sel:[0,0,1] op_sel_hi:[1,0,0]
	v_pk_add_f32 v[20:21], v[20:21], v[70:71]
	v_mov_b32_e32 v25, v5
	v_pk_add_f32 v[4:5], v[20:21], v[24:25]
	v_mov_b32_e32 v20, v67
	v_pk_mul_f32 v[20:21], v[6:7], v[20:21] op_sel_hi:[1,0]
	v_pk_fma_f32 v[22:23], v[6:7], v[66:67], v[20:21] op_sel:[0,0,1] op_sel_hi:[1,1,0] neg_lo:[0,0,1] neg_hi:[0,0,1]
	v_pk_fma_f32 v[6:7], v[6:7], v[66:67], v[20:21] op_sel:[0,0,1] op_sel_hi:[1,0,0]
	v_mov_b32_e32 v6, v65
	v_mov_b32_e32 v23, v7
	s_waitcnt lgkmcnt(2)
	v_pk_mul_f32 v[6:7], v[8:9], v[6:7] op_sel_hi:[1,0]
	v_pk_fma_f32 v[20:21], v[8:9], v[64:65], v[6:7] op_sel:[0,0,1] op_sel_hi:[1,1,0] neg_lo:[0,0,1] neg_hi:[0,0,1]
	v_pk_fma_f32 v[6:7], v[8:9], v[64:65], v[6:7] op_sel:[0,0,1] op_sel_hi:[1,0,0]
	s_waitcnt vmcnt(3)
	v_mov_b32_e32 v6, v79
	v_mov_b32_e32 v21, v7
	v_pk_mul_f32 v[6:7], v[10:11], v[6:7] op_sel_hi:[1,0]
	s_waitcnt vmcnt(2)
	v_pk_fma_f32 v[8:9], v[10:11], v[78:79], v[6:7] op_sel:[0,0,1] op_sel_hi:[1,1,0] neg_lo:[0,0,1] neg_hi:[0,0,1]
	v_pk_fma_f32 v[6:7], v[10:11], v[78:79], v[6:7] op_sel:[0,0,1] op_sel_hi:[1,0,0]
	v_pk_add_f32 v[4:5], v[4:5], v[22:23]
	v_mov_b32_e32 v6, v77
	v_pk_add_f32 v[4:5], v[4:5], v[20:21]
	v_mov_b32_e32 v9, v7
	s_waitcnt lgkmcnt(1)
	v_pk_mul_f32 v[6:7], v[12:13], v[6:7] op_sel_hi:[1,0]
	v_pk_add_f32 v[4:5], v[4:5], v[8:9]
	v_pk_fma_f32 v[8:9], v[12:13], v[76:77], v[6:7] op_sel:[0,0,1] op_sel_hi:[1,1,0] neg_lo:[0,0,1] neg_hi:[0,0,1]
	v_pk_fma_f32 v[6:7], v[12:13], v[76:77], v[6:7] op_sel:[0,0,1] op_sel_hi:[1,0,0]
	v_mov_b32_e32 v6, v75
	v_mov_b32_e32 v9, v7
	v_pk_mul_f32 v[6:7], v[14:15], v[6:7] op_sel_hi:[1,0]
	v_pk_add_f32 v[4:5], v[4:5], v[8:9]
	v_pk_fma_f32 v[8:9], v[14:15], v[74:75], v[6:7] op_sel:[0,0,1] op_sel_hi:[1,1,0] neg_lo:[0,0,1] neg_hi:[0,0,1]
	v_pk_fma_f32 v[6:7], v[14:15], v[74:75], v[6:7] op_sel:[0,0,1] op_sel_hi:[1,0,0]
	v_mov_b32_e32 v6, v73
	v_mov_b32_e32 v9, v7
	s_waitcnt lgkmcnt(0)
	v_pk_mul_f32 v[6:7], v[16:17], v[6:7] op_sel_hi:[1,0]
	v_pk_add_f32 v[4:5], v[4:5], v[8:9]
	v_pk_fma_f32 v[8:9], v[16:17], v[72:73], v[6:7] op_sel:[0,0,1] op_sel_hi:[1,1,0] neg_lo:[0,0,1] neg_hi:[0,0,1]
	v_pk_fma_f32 v[6:7], v[16:17], v[72:73], v[6:7] op_sel:[0,0,1] op_sel_hi:[1,0,0]
	s_waitcnt vmcnt(1)
	v_mov_b32_e32 v6, v81
	v_mov_b32_e32 v9, v7
	v_pk_mul_f32 v[6:7], v[18:19], v[6:7] op_sel_hi:[1,0]
	v_pk_add_f32 v[4:5], v[4:5], v[8:9]
	s_waitcnt vmcnt(0)
	v_pk_fma_f32 v[8:9], v[18:19], v[80:81], v[6:7] op_sel:[0,0,1] op_sel_hi:[1,1,0] neg_lo:[0,0,1] neg_hi:[0,0,1]
	v_pk_fma_f32 v[6:7], v[18:19], v[80:81], v[6:7] op_sel:[0,0,1] op_sel_hi:[1,0,0]
	v_mov_b32_e32 v9, v7
	v_pk_add_f32 v[4:5], v[4:5], v[8:9]
	v_pk_add_f32 v[2:3], v[2:3], v[4:5] neg_lo:[0,1] neg_hi:[0,1]
	buffer_store_dword v3, off, s[0:3], 0 offset:148
	buffer_store_dword v2, off, s[0:3], 0 offset:144
	s_and_saveexec_b64 s[4:5], vcc
	s_cbranch_execz .LBB118_309
; %bb.308:
	buffer_load_dword v2, off, s[0:3], 0 offset:136
	buffer_load_dword v3, off, s[0:3], 0 offset:140
	v_mov_b32_e32 v1, 0
	buffer_store_dword v1, off, s[0:3], 0 offset:136
	buffer_store_dword v1, off, s[0:3], 0 offset:140
	s_waitcnt vmcnt(2)
	ds_write_b64 v153, v[2:3]
.LBB118_309:
	s_or_b64 exec, exec, s[4:5]
	s_waitcnt lgkmcnt(0)
	; wave barrier
	s_waitcnt lgkmcnt(0)
	buffer_load_dword v32, off, s[0:3], 0 offset:148
	buffer_load_dword v34, off, s[0:3], 0 offset:156
	;; [unrolled: 1-line block ×60, first 2 shown]
	v_mov_b32_e32 v50, 0
	ds_read_b128 v[22:25], v50 offset:592
	ds_read_b128 v[18:21], v50 offset:608
	;; [unrolled: 1-line block ×14, first 2 shown]
	v_cmp_lt_u32_e32 vcc, 16, v0
	s_waitcnt vmcnt(59) lgkmcnt(13)
	v_mul_f32_e32 v2, v22, v32
	s_waitcnt vmcnt(58)
	v_mul_f32_e32 v3, v24, v34
	s_waitcnt vmcnt(57) lgkmcnt(12)
	v_mul_f32_e32 v4, v18, v1
	s_waitcnt vmcnt(56)
	v_mul_f32_e32 v5, v20, v51
	s_waitcnt vmcnt(55) lgkmcnt(11)
	v_mul_f32_e32 v28, v14, v52
	s_waitcnt vmcnt(54)
	v_mul_f32_e32 v29, v16, v53
	s_waitcnt vmcnt(53) lgkmcnt(10)
	v_mul_f32_e32 v31, v10, v30
	s_waitcnt vmcnt(52)
	v_fmac_f32_e32 v2, v23, v64
	s_waitcnt vmcnt(51)
	v_fmac_f32_e32 v3, v25, v58
	v_add_f32_e32 v2, 0, v2
	s_waitcnt vmcnt(50)
	v_fmac_f32_e32 v4, v19, v67
	v_add_f32_e32 v2, v2, v3
	;; [unrolled: 3-line block ×6, first 2 shown]
	s_waitcnt vmcnt(45)
	v_mul_f32_e32 v3, v12, v63
	v_add_f32_e32 v2, v2, v31
	s_waitcnt vmcnt(44)
	v_fmac_f32_e32 v3, v13, v62
	v_add_f32_e32 v2, v2, v3
	s_waitcnt vmcnt(43) lgkmcnt(9)
	v_mul_f32_e32 v3, v6, v61
	s_waitcnt vmcnt(42)
	v_fmac_f32_e32 v3, v7, v60
	v_add_f32_e32 v2, v2, v3
	s_waitcnt vmcnt(41)
	v_mul_f32_e32 v3, v8, v57
	s_waitcnt vmcnt(40)
	v_fmac_f32_e32 v3, v9, v56
	v_add_f32_e32 v2, v2, v3
	s_waitcnt vmcnt(39) lgkmcnt(8)
	v_mul_f32_e32 v3, v76, v55
	s_waitcnt vmcnt(38)
	v_fmac_f32_e32 v3, v77, v75
	v_add_f32_e32 v2, v2, v3
	s_waitcnt vmcnt(37)
	v_mul_f32_e32 v3, v78, v71
	;; [unrolled: 10-line block ×4, first 2 shown]
	v_fmac_f32_e32 v3, v87, v113
	v_add_f32_e32 v2, v2, v3
	s_waitcnt vmcnt(24) lgkmcnt(5)
	v_mul_f32_e32 v3, v88, v116
	v_fmac_f32_e32 v3, v89, v115
	v_add_f32_e32 v2, v2, v3
	s_waitcnt vmcnt(22)
	v_mul_f32_e32 v3, v90, v118
	v_fmac_f32_e32 v3, v91, v117
	v_add_f32_e32 v2, v2, v3
	s_waitcnt vmcnt(20) lgkmcnt(4)
	v_mul_f32_e32 v3, v92, v120
	v_fmac_f32_e32 v3, v93, v119
	v_add_f32_e32 v2, v2, v3
	s_waitcnt vmcnt(18)
	v_mul_f32_e32 v3, v94, v122
	;; [unrolled: 8-line block ×5, first 2 shown]
	v_fmac_f32_e32 v3, v107, v133
	v_add_f32_e32 v28, v2, v3
	ds_read_b128 v[2:5], v50 offset:816
	s_waitcnt vmcnt(4) lgkmcnt(1)
	v_mul_f32_e32 v29, v108, v136
	v_fmac_f32_e32 v29, v109, v135
	v_add_f32_e32 v33, v28, v29
	buffer_load_dword v29, off, s[0:3], 0 offset:380
	buffer_load_dword v28, off, s[0:3], 0 offset:376
	;; [unrolled: 1-line block ×16, first 2 shown]
	v_mul_f32_e32 v23, v23, v32
	v_fma_f32 v22, v22, v64, -v23
	v_mul_f32_e32 v23, v25, v34
	v_add_f32_e32 v22, 0, v22
	v_fma_f32 v23, v24, v58, -v23
	v_mul_f32_e32 v1, v19, v1
	v_add_f32_e32 v22, v22, v23
	;; [unrolled: 3-line block ×4, first 2 shown]
	v_fma_f32 v14, v14, v59, -v15
	v_add_f32_e32 v1, v1, v14
	v_mul_f32_e32 v14, v17, v53
	v_fma_f32 v14, v16, v54, -v14
	v_mul_f32_e32 v11, v11, v30
	v_add_f32_e32 v1, v1, v14
	v_fma_f32 v10, v10, v66, -v11
	v_add_f32_e32 v1, v1, v10
	v_mul_f32_e32 v10, v13, v63
	v_fma_f32 v10, v12, v62, -v10
	v_mul_f32_e32 v7, v7, v61
	v_add_f32_e32 v1, v1, v10
	v_fma_f32 v6, v6, v60, -v7
	v_add_f32_e32 v1, v1, v6
	v_mul_f32_e32 v6, v9, v57
	v_fma_f32 v6, v8, v56, -v6
	v_add_f32_e32 v1, v1, v6
	v_mul_f32_e32 v6, v77, v55
	;; [unrolled: 3-line block ×18, first 2 shown]
	v_fma_f32 v6, v108, v135, -v6
	s_waitcnt vmcnt(18)
	v_mul_f32_e32 v35, v110, v138
	v_add_f32_e32 v32, v1, v6
	v_mul_f32_e32 v1, v111, v138
	s_waitcnt vmcnt(15)
	v_mov_b32_e32 v20, v29
	v_fmac_f32_e32 v35, v111, v137
	s_waitcnt lgkmcnt(0)
	v_mul_f32_e32 v31, v2, v140
	v_fma_f32 v34, v110, v137, -v1
	v_mul_f32_e32 v1, v3, v140
	v_pk_mul_f32 v[20:21], v[4:5], v[20:21] op_sel_hi:[1,0]
	v_fmac_f32_e32 v31, v3, v139
	v_fma_f32 v30, v2, v139, -v1
	v_pk_add_f32 v[18:19], v[32:33], v[34:35]
	s_waitcnt vmcnt(14)
	v_pk_fma_f32 v[22:23], v[4:5], v[28:29], v[20:21] op_sel:[0,0,1] op_sel_hi:[1,1,0] neg_lo:[0,0,1] neg_hi:[0,0,1]
	v_pk_fma_f32 v[4:5], v[4:5], v[28:29], v[20:21] op_sel:[0,0,1] op_sel_hi:[1,0,0]
	ds_read_b128 v[6:9], v50 offset:832
	ds_read_b128 v[10:13], v50 offset:848
	;; [unrolled: 1-line block ×3, first 2 shown]
	ds_read_b64 v[2:3], v50 offset:880
	v_pk_add_f32 v[18:19], v[18:19], v[30:31]
	v_mov_b32_e32 v23, v5
	v_pk_add_f32 v[4:5], v[18:19], v[22:23]
	s_waitcnt vmcnt(13)
	v_mov_b32_e32 v18, v49
	s_waitcnt lgkmcnt(3)
	v_pk_mul_f32 v[18:19], v[6:7], v[18:19] op_sel_hi:[1,0]
	s_waitcnt vmcnt(12)
	v_pk_fma_f32 v[20:21], v[6:7], v[48:49], v[18:19] op_sel:[0,0,1] op_sel_hi:[1,1,0] neg_lo:[0,0,1] neg_hi:[0,0,1]
	v_pk_fma_f32 v[6:7], v[6:7], v[48:49], v[18:19] op_sel:[0,0,1] op_sel_hi:[1,0,0]
	s_waitcnt vmcnt(11)
	v_mov_b32_e32 v6, v47
	v_mov_b32_e32 v21, v7
	v_pk_mul_f32 v[6:7], v[8:9], v[6:7] op_sel_hi:[1,0]
	s_waitcnt vmcnt(10)
	v_pk_fma_f32 v[18:19], v[8:9], v[46:47], v[6:7] op_sel:[0,0,1] op_sel_hi:[1,1,0] neg_lo:[0,0,1] neg_hi:[0,0,1]
	v_pk_fma_f32 v[6:7], v[8:9], v[46:47], v[6:7] op_sel:[0,0,1] op_sel_hi:[1,0,0]
	s_waitcnt vmcnt(9)
	v_mov_b32_e32 v6, v45
	v_mov_b32_e32 v19, v7
	s_waitcnt lgkmcnt(2)
	v_pk_mul_f32 v[6:7], v[10:11], v[6:7] op_sel_hi:[1,0]
	s_waitcnt vmcnt(8)
	v_pk_fma_f32 v[8:9], v[10:11], v[44:45], v[6:7] op_sel:[0,0,1] op_sel_hi:[1,1,0] neg_lo:[0,0,1] neg_hi:[0,0,1]
	v_pk_fma_f32 v[6:7], v[10:11], v[44:45], v[6:7] op_sel:[0,0,1] op_sel_hi:[1,0,0]
	v_pk_add_f32 v[4:5], v[4:5], v[20:21]
	s_waitcnt vmcnt(7)
	v_mov_b32_e32 v6, v43
	v_pk_add_f32 v[4:5], v[4:5], v[18:19]
	v_mov_b32_e32 v9, v7
	v_pk_mul_f32 v[6:7], v[12:13], v[6:7] op_sel_hi:[1,0]
	v_pk_add_f32 v[4:5], v[4:5], v[8:9]
	s_waitcnt vmcnt(6)
	v_pk_fma_f32 v[8:9], v[12:13], v[42:43], v[6:7] op_sel:[0,0,1] op_sel_hi:[1,1,0] neg_lo:[0,0,1] neg_hi:[0,0,1]
	v_pk_fma_f32 v[6:7], v[12:13], v[42:43], v[6:7] op_sel:[0,0,1] op_sel_hi:[1,0,0]
	s_waitcnt vmcnt(5)
	v_mov_b32_e32 v6, v41
	v_mov_b32_e32 v9, v7
	s_waitcnt lgkmcnt(1)
	v_pk_mul_f32 v[6:7], v[14:15], v[6:7] op_sel_hi:[1,0]
	v_pk_add_f32 v[4:5], v[4:5], v[8:9]
	s_waitcnt vmcnt(4)
	v_pk_fma_f32 v[8:9], v[14:15], v[40:41], v[6:7] op_sel:[0,0,1] op_sel_hi:[1,1,0] neg_lo:[0,0,1] neg_hi:[0,0,1]
	v_pk_fma_f32 v[6:7], v[14:15], v[40:41], v[6:7] op_sel:[0,0,1] op_sel_hi:[1,0,0]
	s_waitcnt vmcnt(3)
	v_mov_b32_e32 v6, v39
	v_mov_b32_e32 v9, v7
	v_pk_mul_f32 v[6:7], v[16:17], v[6:7] op_sel_hi:[1,0]
	v_pk_add_f32 v[4:5], v[4:5], v[8:9]
	s_waitcnt vmcnt(2)
	v_pk_fma_f32 v[8:9], v[16:17], v[38:39], v[6:7] op_sel:[0,0,1] op_sel_hi:[1,1,0] neg_lo:[0,0,1] neg_hi:[0,0,1]
	v_pk_fma_f32 v[6:7], v[16:17], v[38:39], v[6:7] op_sel:[0,0,1] op_sel_hi:[1,0,0]
	s_waitcnt vmcnt(1)
	v_mov_b32_e32 v6, v37
	v_mov_b32_e32 v9, v7
	s_waitcnt lgkmcnt(0)
	v_pk_mul_f32 v[6:7], v[2:3], v[6:7] op_sel_hi:[1,0]
	v_pk_add_f32 v[4:5], v[4:5], v[8:9]
	s_waitcnt vmcnt(0)
	v_pk_fma_f32 v[8:9], v[2:3], v[36:37], v[6:7] op_sel:[0,0,1] op_sel_hi:[1,1,0] neg_lo:[0,0,1] neg_hi:[0,0,1]
	v_pk_fma_f32 v[2:3], v[2:3], v[36:37], v[6:7] op_sel:[0,0,1] op_sel_hi:[1,0,0]
	v_mov_b32_e32 v9, v3
	v_pk_add_f32 v[2:3], v[4:5], v[8:9]
	v_pk_add_f32 v[2:3], v[26:27], v[2:3] neg_lo:[0,1] neg_hi:[0,1]
	buffer_store_dword v3, off, s[0:3], 0 offset:140
	buffer_store_dword v2, off, s[0:3], 0 offset:136
	s_and_saveexec_b64 s[4:5], vcc
	s_cbranch_execz .LBB118_311
; %bb.310:
	buffer_load_dword v2, off, s[0:3], 0 offset:128
	buffer_load_dword v3, off, s[0:3], 0 offset:132
	s_waitcnt vmcnt(0)
	ds_write_b64 v153, v[2:3]
	buffer_store_dword v50, off, s[0:3], 0 offset:128
	buffer_store_dword v50, off, s[0:3], 0 offset:132
.LBB118_311:
	s_or_b64 exec, exec, s[4:5]
	s_waitcnt lgkmcnt(0)
	; wave barrier
	s_waitcnt lgkmcnt(0)
	buffer_load_dword v1, off, s[0:3], 0 offset:140
	buffer_load_dword v51, off, s[0:3], 0 offset:148
	;; [unrolled: 1-line block ×32, first 2 shown]
	ds_read2_b64 v[16:19], v50 offset0:73 offset1:74
	ds_read2_b64 v[6:9], v50 offset0:75 offset1:76
	buffer_load_dword v117, off, s[0:3], 0 offset:256
	buffer_load_dword v118, off, s[0:3], 0 offset:260
	ds_read2_b64 v[10:13], v50 offset0:77 offset1:78
	ds_read2_b64 v[2:5], v50 offset0:79 offset1:80
	buffer_load_dword v119, off, s[0:3], 0 offset:264
	buffer_load_dword v120, off, s[0:3], 0 offset:268
	buffer_load_dword v121, off, s[0:3], 0 offset:272
	buffer_load_dword v122, off, s[0:3], 0 offset:276
	buffer_load_dword v123, off, s[0:3], 0 offset:280
	buffer_load_dword v124, off, s[0:3], 0 offset:284
	buffer_load_dword v125, off, s[0:3], 0 offset:288
	buffer_load_dword v126, off, s[0:3], 0 offset:292
	buffer_load_dword v127, off, s[0:3], 0 offset:296
	buffer_load_dword v128, off, s[0:3], 0 offset:300
	buffer_load_dword v129, off, s[0:3], 0 offset:304
	buffer_load_dword v130, off, s[0:3], 0 offset:308
	buffer_load_dword v131, off, s[0:3], 0 offset:312
	buffer_load_dword v132, off, s[0:3], 0 offset:316
	buffer_load_dword v133, off, s[0:3], 0 offset:320
	buffer_load_dword v134, off, s[0:3], 0 offset:324
	buffer_load_dword v135, off, s[0:3], 0 offset:328
	buffer_load_dword v136, off, s[0:3], 0 offset:332
	buffer_load_dword v137, off, s[0:3], 0 offset:336
	buffer_load_dword v138, off, s[0:3], 0 offset:340
	buffer_load_dword v139, off, s[0:3], 0 offset:344
	buffer_load_dword v140, off, s[0:3], 0 offset:348
	buffer_load_dword v141, off, s[0:3], 0 offset:352
	buffer_load_dword v204, off, s[0:3], 0 offset:356
	buffer_load_dword v205, off, s[0:3], 0 offset:360
	buffer_load_dword v206, off, s[0:3], 0 offset:364
	buffer_load_dword v207, off, s[0:3], 0 offset:368
	buffer_load_dword v208, off, s[0:3], 0 offset:372
	ds_read2_b64 v[56:59], v50 offset0:97 offset1:98
	ds_read2_b64 v[60:63], v50 offset0:99 offset1:100
	v_cmp_lt_u32_e32 vcc, 15, v0
	ds_read2_b64 v[52:55], v50 offset0:95 offset1:96
	s_waitcnt vmcnt(61) lgkmcnt(6)
	v_mul_f32_e32 v20, v16, v1
	s_waitcnt vmcnt(60)
	v_mul_f32_e32 v21, v18, v51
	s_waitcnt vmcnt(59) lgkmcnt(5)
	v_mul_f32_e32 v23, v8, v72
	s_waitcnt vmcnt(58) lgkmcnt(4)
	v_mul_f32_e32 v24, v10, v74
	s_waitcnt vmcnt(57)
	v_mul_f32_e32 v25, v12, v76
	s_waitcnt vmcnt(56)
	;; [unrolled: 2-line block ×3, first 2 shown]
	v_fmac_f32_e32 v22, v7, v93
	s_waitcnt vmcnt(54)
	v_fmac_f32_e32 v21, v19, v94
	s_waitcnt vmcnt(53)
	v_fmac_f32_e32 v20, v17, v95
	v_add_f32_e32 v20, 0, v20
	v_add_f32_e32 v20, v20, v21
	;; [unrolled: 1-line block ×3, first 2 shown]
	s_waitcnt vmcnt(49)
	v_fmac_f32_e32 v24, v11, v99
	s_waitcnt vmcnt(48)
	v_fmac_f32_e32 v23, v9, v100
	v_add_f32_e32 v20, v20, v23
	s_waitcnt lgkmcnt(3)
	v_mul_f32_e32 v26, v2, v96
	v_fmac_f32_e32 v25, v13, v98
	v_add_f32_e32 v20, v20, v24
	v_fmac_f32_e32 v26, v3, v97
	v_add_f32_e32 v20, v20, v25
	v_add_f32_e32 v24, v20, v26
	ds_read2_b64 v[20:23], v50 offset0:81 offset1:82
	s_waitcnt vmcnt(44)
	v_mul_f32_e32 v25, v4, v104
	s_waitcnt vmcnt(43)
	v_fmac_f32_e32 v25, v5, v105
	v_add_f32_e32 v28, v24, v25
	ds_read2_b64 v[24:27], v50 offset0:83 offset1:84
	s_waitcnt vmcnt(42) lgkmcnt(1)
	v_mul_f32_e32 v29, v20, v106
	v_fmac_f32_e32 v29, v21, v103
	v_add_f32_e32 v28, v28, v29
	s_waitcnt vmcnt(41)
	v_mul_f32_e32 v29, v22, v107
	v_fmac_f32_e32 v29, v23, v102
	v_add_f32_e32 v28, v28, v29
	s_waitcnt vmcnt(40) lgkmcnt(0)
	v_mul_f32_e32 v29, v24, v108
	v_fmac_f32_e32 v29, v25, v101
	v_add_f32_e32 v32, v28, v29
	ds_read2_b64 v[28:31], v50 offset0:85 offset1:86
	s_waitcnt vmcnt(34)
	v_mul_f32_e32 v33, v26, v114
	s_waitcnt vmcnt(33)
	v_fmac_f32_e32 v33, v27, v115
	v_add_f32_e32 v36, v32, v33
	ds_read2_b64 v[32:35], v50 offset0:87 offset1:88
	s_waitcnt vmcnt(32) lgkmcnt(1)
	v_mul_f32_e32 v37, v28, v116
	v_fmac_f32_e32 v37, v29, v113
	v_add_f32_e32 v36, v36, v37
	v_mul_f32_e32 v37, v30, v110
	v_fmac_f32_e32 v37, v31, v109
	v_add_f32_e32 v36, v36, v37
	s_waitcnt lgkmcnt(0)
	v_mul_f32_e32 v37, v32, v112
	v_fmac_f32_e32 v37, v33, v111
	v_add_f32_e32 v40, v36, v37
	ds_read2_b64 v[36:39], v50 offset0:89 offset1:90
	s_waitcnt vmcnt(28)
	v_mul_f32_e32 v41, v34, v118
	v_fmac_f32_e32 v41, v35, v117
	v_add_f32_e32 v44, v40, v41
	ds_read2_b64 v[40:43], v50 offset0:91 offset1:92
	s_waitcnt vmcnt(26) lgkmcnt(1)
	v_mul_f32_e32 v45, v36, v120
	v_fmac_f32_e32 v45, v37, v119
	v_add_f32_e32 v44, v44, v45
	s_waitcnt vmcnt(24)
	v_mul_f32_e32 v45, v38, v122
	v_fmac_f32_e32 v45, v39, v121
	v_add_f32_e32 v44, v44, v45
	s_waitcnt vmcnt(22) lgkmcnt(0)
	v_mul_f32_e32 v45, v40, v124
	v_fmac_f32_e32 v45, v41, v123
	v_add_f32_e32 v48, v44, v45
	ds_read2_b64 v[44:47], v50 offset0:93 offset1:94
	s_waitcnt vmcnt(20)
	v_mul_f32_e32 v49, v42, v126
	v_fmac_f32_e32 v49, v43, v125
	v_add_f32_e32 v48, v48, v49
	s_waitcnt vmcnt(4)
	v_mul_f32_e32 v69, v62, v204
	s_waitcnt lgkmcnt(0)
	v_mul_f32_e32 v49, v44, v128
	v_fmac_f32_e32 v49, v45, v127
	v_add_f32_e32 v48, v48, v49
	v_mul_f32_e32 v49, v46, v130
	v_fmac_f32_e32 v49, v47, v129
	v_add_f32_e32 v48, v48, v49
	;; [unrolled: 3-line block ×7, first 2 shown]
	buffer_load_dword v49, off, s[0:3], 0 offset:380
	buffer_load_dword v48, off, s[0:3], 0 offset:376
	v_fmac_f32_e32 v69, v63, v141
	ds_read2_b64 v[64:67], v50 offset0:101 offset1:102
	v_add_f32_e32 v73, v68, v69
	ds_read2_b64 v[68:71], v50 offset0:103 offset1:104
	buffer_load_dword v79, off, s[0:3], 0 offset:412
	buffer_load_dword v78, off, s[0:3], 0 offset:408
	buffer_load_dword v81, off, s[0:3], 0 offset:404
	buffer_load_dword v80, off, s[0:3], 0 offset:400
	buffer_load_dword v83, off, s[0:3], 0 offset:396
	buffer_load_dword v82, off, s[0:3], 0 offset:392
	buffer_load_dword v85, off, s[0:3], 0 offset:388
	buffer_load_dword v84, off, s[0:3], 0 offset:384
	buffer_load_dword v87, off, s[0:3], 0 offset:436
	buffer_load_dword v86, off, s[0:3], 0 offset:432
	buffer_load_dword v89, off, s[0:3], 0 offset:428
	buffer_load_dword v88, off, s[0:3], 0 offset:424
	buffer_load_dword v91, off, s[0:3], 0 offset:420
	buffer_load_dword v90, off, s[0:3], 0 offset:416
	v_mul_f32_e32 v1, v17, v1
	v_fma_f32 v1, v16, v95, -v1
	v_mul_f32_e32 v16, v19, v51
	v_add_f32_e32 v1, 0, v1
	v_fma_f32 v16, v18, v94, -v16
	v_mul_f32_e32 v7, v7, v92
	v_add_f32_e32 v1, v1, v16
	v_fma_f32 v6, v6, v93, -v7
	v_add_f32_e32 v1, v1, v6
	v_mul_f32_e32 v6, v9, v72
	v_fma_f32 v6, v8, v100, -v6
	v_add_f32_e32 v1, v1, v6
	v_mul_f32_e32 v6, v11, v74
	;; [unrolled: 3-line block ×3, first 2 shown]
	v_fma_f32 v6, v12, v98, -v6
	v_mul_f32_e32 v3, v3, v96
	v_add_f32_e32 v1, v1, v6
	v_fma_f32 v2, v2, v97, -v3
	v_add_f32_e32 v1, v1, v2
	v_mul_f32_e32 v2, v5, v104
	v_fma_f32 v2, v4, v105, -v2
	v_add_f32_e32 v1, v1, v2
	v_mul_f32_e32 v2, v21, v106
	v_fma_f32 v2, v20, v103, -v2
	v_add_f32_e32 v1, v1, v2
	v_mul_f32_e32 v2, v23, v107
	v_fma_f32 v2, v22, v102, -v2
	v_add_f32_e32 v1, v1, v2
	v_mul_f32_e32 v2, v25, v108
	v_fma_f32 v2, v24, v101, -v2
	v_add_f32_e32 v1, v1, v2
	v_mul_f32_e32 v2, v27, v114
	v_fma_f32 v2, v26, v115, -v2
	v_add_f32_e32 v1, v1, v2
	v_mul_f32_e32 v2, v29, v116
	v_fma_f32 v2, v28, v113, -v2
	v_add_f32_e32 v1, v1, v2
	v_mul_f32_e32 v2, v31, v110
	v_fma_f32 v2, v30, v109, -v2
	v_add_f32_e32 v1, v1, v2
	v_mul_f32_e32 v2, v33, v112
	v_fma_f32 v2, v32, v111, -v2
	v_add_f32_e32 v1, v1, v2
	v_mul_f32_e32 v2, v35, v118
	v_fma_f32 v2, v34, v117, -v2
	v_add_f32_e32 v1, v1, v2
	v_mul_f32_e32 v2, v37, v120
	v_fma_f32 v2, v36, v119, -v2
	v_add_f32_e32 v1, v1, v2
	v_mul_f32_e32 v2, v39, v122
	v_fma_f32 v2, v38, v121, -v2
	v_add_f32_e32 v1, v1, v2
	v_mul_f32_e32 v2, v41, v124
	v_fma_f32 v2, v40, v123, -v2
	v_add_f32_e32 v1, v1, v2
	v_mul_f32_e32 v2, v43, v126
	v_fma_f32 v2, v42, v125, -v2
	v_add_f32_e32 v1, v1, v2
	v_mul_f32_e32 v2, v45, v128
	v_fma_f32 v2, v44, v127, -v2
	v_add_f32_e32 v1, v1, v2
	v_mul_f32_e32 v2, v47, v130
	v_fma_f32 v2, v46, v129, -v2
	v_add_f32_e32 v1, v1, v2
	v_mul_f32_e32 v2, v53, v132
	v_fma_f32 v2, v52, v131, -v2
	v_add_f32_e32 v1, v1, v2
	v_mul_f32_e32 v2, v55, v134
	v_fma_f32 v2, v54, v133, -v2
	v_add_f32_e32 v1, v1, v2
	v_mul_f32_e32 v2, v57, v136
	v_fma_f32 v2, v56, v135, -v2
	v_add_f32_e32 v1, v1, v2
	v_mul_f32_e32 v2, v59, v138
	v_fma_f32 v2, v58, v137, -v2
	v_add_f32_e32 v1, v1, v2
	v_mul_f32_e32 v2, v61, v140
	v_fma_f32 v2, v60, v139, -v2
	v_add_f32_e32 v1, v1, v2
	v_mul_f32_e32 v2, v63, v204
	v_fma_f32 v2, v62, v141, -v2
	s_waitcnt vmcnt(15)
	v_mov_b32_e32 v18, v49
	s_waitcnt lgkmcnt(1)
	v_mul_f32_e32 v75, v64, v206
	v_add_f32_e32 v72, v1, v2
	v_mul_f32_e32 v1, v65, v206
	s_waitcnt lgkmcnt(0)
	v_pk_mul_f32 v[18:19], v[68:69], v[18:19] op_sel_hi:[1,0]
	v_fmac_f32_e32 v75, v65, v205
	v_mul_f32_e32 v77, v66, v208
	v_fma_f32 v74, v64, v205, -v1
	v_mul_f32_e32 v1, v67, v208
	s_waitcnt vmcnt(14)
	v_pk_fma_f32 v[20:21], v[68:69], v[48:49], v[18:19] op_sel:[0,0,1] op_sel_hi:[1,1,0] neg_lo:[0,0,1] neg_hi:[0,0,1]
	v_pk_fma_f32 v[18:19], v[68:69], v[48:49], v[18:19] op_sel:[0,0,1] op_sel_hi:[1,0,0]
	v_fmac_f32_e32 v77, v67, v207
	v_fma_f32 v76, v66, v207, -v1
	v_pk_add_f32 v[16:17], v[72:73], v[74:75]
	s_waitcnt vmcnt(7)
	v_mov_b32_e32 v18, v85
	ds_read2_b64 v[2:5], v50 offset0:105 offset1:106
	ds_read2_b64 v[6:9], v50 offset0:107 offset1:108
	;; [unrolled: 1-line block ×3, first 2 shown]
	v_pk_add_f32 v[16:17], v[16:17], v[76:77]
	v_mov_b32_e32 v21, v19
	v_pk_mul_f32 v[18:19], v[70:71], v[18:19] op_sel_hi:[1,0]
	v_pk_add_f32 v[16:17], v[16:17], v[20:21]
	s_waitcnt vmcnt(6)
	v_pk_fma_f32 v[20:21], v[70:71], v[84:85], v[18:19] op_sel:[0,0,1] op_sel_hi:[1,1,0] neg_lo:[0,0,1] neg_hi:[0,0,1]
	v_pk_fma_f32 v[18:19], v[70:71], v[84:85], v[18:19] op_sel:[0,0,1] op_sel_hi:[1,0,0]
	v_mov_b32_e32 v18, v83
	v_mov_b32_e32 v21, v19
	s_waitcnt lgkmcnt(2)
	v_pk_mul_f32 v[18:19], v[2:3], v[18:19] op_sel_hi:[1,0]
	v_pk_add_f32 v[16:17], v[16:17], v[20:21]
	v_pk_fma_f32 v[20:21], v[2:3], v[82:83], v[18:19] op_sel:[0,0,1] op_sel_hi:[1,1,0] neg_lo:[0,0,1] neg_hi:[0,0,1]
	v_pk_fma_f32 v[2:3], v[2:3], v[82:83], v[18:19] op_sel:[0,0,1] op_sel_hi:[1,0,0]
	v_mov_b32_e32 v21, v3
	v_pk_add_f32 v[2:3], v[16:17], v[20:21]
	v_mov_b32_e32 v16, v81
	v_pk_mul_f32 v[16:17], v[4:5], v[16:17] op_sel_hi:[1,0]
	v_pk_fma_f32 v[18:19], v[4:5], v[80:81], v[16:17] op_sel:[0,0,1] op_sel_hi:[1,1,0] neg_lo:[0,0,1] neg_hi:[0,0,1]
	v_pk_fma_f32 v[4:5], v[4:5], v[80:81], v[16:17] op_sel:[0,0,1] op_sel_hi:[1,0,0]
	v_mov_b32_e32 v4, v79
	v_mov_b32_e32 v19, v5
	s_waitcnt lgkmcnt(1)
	v_pk_mul_f32 v[4:5], v[6:7], v[4:5] op_sel_hi:[1,0]
	v_pk_fma_f32 v[16:17], v[6:7], v[78:79], v[4:5] op_sel:[0,0,1] op_sel_hi:[1,1,0] neg_lo:[0,0,1] neg_hi:[0,0,1]
	v_pk_fma_f32 v[4:5], v[6:7], v[78:79], v[4:5] op_sel:[0,0,1] op_sel_hi:[1,0,0]
	s_waitcnt vmcnt(1)
	v_mov_b32_e32 v4, v91
	v_mov_b32_e32 v17, v5
	v_pk_mul_f32 v[4:5], v[8:9], v[4:5] op_sel_hi:[1,0]
	s_waitcnt vmcnt(0)
	v_pk_fma_f32 v[6:7], v[8:9], v[90:91], v[4:5] op_sel:[0,0,1] op_sel_hi:[1,1,0] neg_lo:[0,0,1] neg_hi:[0,0,1]
	v_pk_fma_f32 v[4:5], v[8:9], v[90:91], v[4:5] op_sel:[0,0,1] op_sel_hi:[1,0,0]
	v_pk_add_f32 v[2:3], v[2:3], v[18:19]
	v_mov_b32_e32 v4, v89
	v_pk_add_f32 v[2:3], v[2:3], v[16:17]
	v_mov_b32_e32 v7, v5
	s_waitcnt lgkmcnt(0)
	v_pk_mul_f32 v[4:5], v[10:11], v[4:5] op_sel_hi:[1,0]
	v_pk_add_f32 v[2:3], v[2:3], v[6:7]
	v_pk_fma_f32 v[6:7], v[10:11], v[88:89], v[4:5] op_sel:[0,0,1] op_sel_hi:[1,1,0] neg_lo:[0,0,1] neg_hi:[0,0,1]
	v_pk_fma_f32 v[4:5], v[10:11], v[88:89], v[4:5] op_sel:[0,0,1] op_sel_hi:[1,0,0]
	v_mov_b32_e32 v4, v87
	v_mov_b32_e32 v7, v5
	v_pk_mul_f32 v[4:5], v[12:13], v[4:5] op_sel_hi:[1,0]
	v_pk_add_f32 v[2:3], v[2:3], v[6:7]
	v_pk_fma_f32 v[6:7], v[12:13], v[86:87], v[4:5] op_sel:[0,0,1] op_sel_hi:[1,1,0] neg_lo:[0,0,1] neg_hi:[0,0,1]
	v_pk_fma_f32 v[4:5], v[12:13], v[86:87], v[4:5] op_sel:[0,0,1] op_sel_hi:[1,0,0]
	v_mov_b32_e32 v7, v5
	v_pk_add_f32 v[2:3], v[2:3], v[6:7]
	v_pk_add_f32 v[2:3], v[14:15], v[2:3] neg_lo:[0,1] neg_hi:[0,1]
	buffer_store_dword v3, off, s[0:3], 0 offset:132
	buffer_store_dword v2, off, s[0:3], 0 offset:128
	s_and_saveexec_b64 s[4:5], vcc
	s_cbranch_execz .LBB118_313
; %bb.312:
	buffer_load_dword v2, off, s[0:3], 0 offset:120
	buffer_load_dword v3, off, s[0:3], 0 offset:124
	v_mov_b32_e32 v1, 0
	buffer_store_dword v1, off, s[0:3], 0 offset:120
	buffer_store_dword v1, off, s[0:3], 0 offset:124
	s_waitcnt vmcnt(2)
	ds_write_b64 v153, v[2:3]
.LBB118_313:
	s_or_b64 exec, exec, s[4:5]
	s_waitcnt lgkmcnt(0)
	; wave barrier
	s_waitcnt lgkmcnt(0)
	buffer_load_dword v1, off, s[0:3], 0 offset:132
	buffer_load_dword v21, off, s[0:3], 0 offset:140
	;; [unrolled: 1-line block ×48, first 2 shown]
	v_mov_b32_e32 v20, 0
	ds_read_b128 v[2:5], v20 offset:576
	buffer_load_dword v133, off, s[0:3], 0 offset:312
	buffer_load_dword v134, off, s[0:3], 0 offset:316
	;; [unrolled: 1-line block ×8, first 2 shown]
	ds_read_b128 v[8:11], v20 offset:592
	ds_read_b128 v[12:15], v20 offset:608
	;; [unrolled: 1-line block ×3, first 2 shown]
	buffer_load_dword v141, off, s[0:3], 0 offset:344
	buffer_load_dword v204, off, s[0:3], 0 offset:348
	;; [unrolled: 1-line block ×8, first 2 shown]
	v_cmp_lt_u32_e32 vcc, 14, v0
	s_waitcnt vmcnt(62) lgkmcnt(3)
	v_mul_f32_e32 v22, v2, v1
	v_mul_f32_e32 v23, v4, v21
	s_waitcnt vmcnt(61) lgkmcnt(2)
	v_mul_f32_e32 v25, v10, v70
	s_waitcnt vmcnt(60) lgkmcnt(1)
	v_mul_f32_e32 v26, v12, v72
	s_waitcnt vmcnt(59)
	v_mul_f32_e32 v27, v14, v74
	s_waitcnt vmcnt(58)
	;; [unrolled: 2-line block ×3, first 2 shown]
	v_fmac_f32_e32 v24, v9, v93
	s_waitcnt vmcnt(56)
	v_fmac_f32_e32 v23, v5, v94
	s_waitcnt vmcnt(55)
	v_fmac_f32_e32 v22, v3, v95
	v_add_f32_e32 v22, 0, v22
	v_add_f32_e32 v22, v22, v23
	;; [unrolled: 1-line block ×3, first 2 shown]
	s_waitcnt vmcnt(51)
	v_fmac_f32_e32 v26, v13, v99
	s_waitcnt vmcnt(50)
	v_fmac_f32_e32 v25, v11, v100
	v_add_f32_e32 v22, v22, v25
	s_waitcnt lgkmcnt(0)
	v_mul_f32_e32 v28, v16, v96
	v_fmac_f32_e32 v27, v15, v98
	v_add_f32_e32 v22, v22, v26
	v_fmac_f32_e32 v28, v17, v97
	v_add_f32_e32 v22, v22, v27
	v_add_f32_e32 v26, v22, v28
	ds_read_b128 v[22:25], v20 offset:640
	s_waitcnt vmcnt(45)
	v_mul_f32_e32 v27, v18, v105
	s_waitcnt vmcnt(44)
	v_fmac_f32_e32 v27, v19, v106
	v_add_f32_e32 v30, v26, v27
	ds_read_b128 v[26:29], v20 offset:656
	s_waitcnt vmcnt(43) lgkmcnt(1)
	v_mul_f32_e32 v31, v22, v107
	v_fmac_f32_e32 v31, v23, v104
	v_add_f32_e32 v30, v30, v31
	s_waitcnt vmcnt(42)
	v_mul_f32_e32 v31, v24, v108
	v_fmac_f32_e32 v31, v25, v103
	v_add_f32_e32 v30, v30, v31
	s_waitcnt lgkmcnt(0)
	v_mul_f32_e32 v31, v26, v102
	v_fmac_f32_e32 v31, v27, v101
	v_add_f32_e32 v34, v30, v31
	ds_read_b128 v[30:33], v20 offset:672
	s_waitcnt vmcnt(38)
	v_mul_f32_e32 v35, v28, v110
	v_fmac_f32_e32 v35, v29, v109
	v_add_f32_e32 v38, v34, v35
	ds_read_b128 v[34:37], v20 offset:688
	s_waitcnt vmcnt(36) lgkmcnt(1)
	v_mul_f32_e32 v39, v30, v112
	v_fmac_f32_e32 v39, v31, v111
	v_add_f32_e32 v38, v38, v39
	s_waitcnt vmcnt(34)
	v_mul_f32_e32 v39, v32, v114
	v_fmac_f32_e32 v39, v33, v113
	v_add_f32_e32 v38, v38, v39
	s_waitcnt vmcnt(32) lgkmcnt(0)
	v_mul_f32_e32 v39, v34, v116
	v_fmac_f32_e32 v39, v35, v115
	v_add_f32_e32 v42, v38, v39
	ds_read_b128 v[38:41], v20 offset:704
	s_waitcnt vmcnt(30)
	v_mul_f32_e32 v43, v36, v118
	v_fmac_f32_e32 v43, v37, v117
	v_add_f32_e32 v46, v42, v43
	ds_read_b128 v[42:45], v20 offset:720
	s_waitcnt vmcnt(28) lgkmcnt(1)
	v_mul_f32_e32 v47, v38, v120
	v_fmac_f32_e32 v47, v39, v119
	v_add_f32_e32 v46, v46, v47
	s_waitcnt vmcnt(26)
	v_mul_f32_e32 v47, v40, v122
	v_fmac_f32_e32 v47, v41, v121
	v_add_f32_e32 v46, v46, v47
	s_waitcnt vmcnt(24) lgkmcnt(0)
	;; [unrolled: 18-line block ×4, first 2 shown]
	v_mul_f32_e32 v63, v58, v140
	v_fmac_f32_e32 v63, v59, v139
	s_waitcnt vmcnt(6)
	v_mul_f32_e32 v67, v60, v204
	v_add_f32_e32 v66, v62, v63
	v_fmac_f32_e32 v67, v61, v141
	ds_read_b128 v[62:65], v20 offset:800
	v_add_f32_e32 v71, v66, v67
	ds_read_b128 v[66:69], v20 offset:816
	buffer_load_dword v77, off, s[0:3], 0 offset:404
	buffer_load_dword v76, off, s[0:3], 0 offset:400
	;; [unrolled: 1-line block ×16, first 2 shown]
	v_mul_f32_e32 v1, v3, v1
	v_fma_f32 v1, v2, v95, -v1
	v_mul_f32_e32 v2, v5, v21
	v_add_f32_e32 v1, 0, v1
	v_fma_f32 v2, v4, v94, -v2
	v_add_f32_e32 v1, v1, v2
	v_mul_f32_e32 v2, v9, v92
	v_fma_f32 v2, v8, v93, -v2
	v_add_f32_e32 v1, v1, v2
	v_mul_f32_e32 v2, v11, v70
	;; [unrolled: 3-line block ×26, first 2 shown]
	v_fma_f32 v2, v60, v141, -v2
	s_waitcnt vmcnt(20) lgkmcnt(1)
	v_mul_f32_e32 v73, v62, v206
	v_add_f32_e32 v1, v1, v2
	v_mul_f32_e32 v2, v63, v206
	v_fmac_f32_e32 v73, v63, v205
	v_fma_f32 v2, v62, v205, -v2
	s_waitcnt vmcnt(9)
	v_mov_b32_e32 v22, v83
	v_add_f32_e32 v71, v71, v73
	v_mul_f32_e32 v73, v64, v208
	v_add_f32_e32 v70, v1, v2
	v_mul_f32_e32 v1, v65, v208
	s_waitcnt lgkmcnt(0)
	v_pk_mul_f32 v[22:23], v[68:69], v[22:23] op_sel_hi:[1,0]
	v_fmac_f32_e32 v73, v65, v207
	v_mul_f32_e32 v75, v66, v210
	v_fma_f32 v72, v64, v207, -v1
	v_mul_f32_e32 v1, v67, v210
	ds_read_b128 v[2:5], v20 offset:832
	ds_read_b128 v[8:11], v20 offset:848
	;; [unrolled: 1-line block ×3, first 2 shown]
	ds_read_b64 v[16:17], v20 offset:880
	s_waitcnt vmcnt(8)
	v_pk_fma_f32 v[24:25], v[68:69], v[82:83], v[22:23] op_sel:[0,0,1] op_sel_hi:[1,1,0] neg_lo:[0,0,1] neg_hi:[0,0,1]
	v_pk_fma_f32 v[22:23], v[68:69], v[82:83], v[22:23] op_sel:[0,0,1] op_sel_hi:[1,0,0]
	v_fmac_f32_e32 v75, v67, v209
	v_fma_f32 v74, v66, v209, -v1
	v_pk_add_f32 v[18:19], v[70:71], v[72:73]
	v_mov_b32_e32 v22, v81
	v_pk_add_f32 v[18:19], v[18:19], v[74:75]
	v_mov_b32_e32 v25, v23
	s_waitcnt lgkmcnt(3)
	v_pk_mul_f32 v[22:23], v[2:3], v[22:23] op_sel_hi:[1,0]
	v_pk_add_f32 v[18:19], v[18:19], v[24:25]
	v_pk_fma_f32 v[24:25], v[2:3], v[80:81], v[22:23] op_sel:[0,0,1] op_sel_hi:[1,1,0] neg_lo:[0,0,1] neg_hi:[0,0,1]
	v_pk_fma_f32 v[2:3], v[2:3], v[80:81], v[22:23] op_sel:[0,0,1] op_sel_hi:[1,0,0]
	v_mov_b32_e32 v25, v3
	v_pk_add_f32 v[2:3], v[18:19], v[24:25]
	v_mov_b32_e32 v18, v79
	v_pk_mul_f32 v[18:19], v[4:5], v[18:19] op_sel_hi:[1,0]
	v_pk_fma_f32 v[22:23], v[4:5], v[78:79], v[18:19] op_sel:[0,0,1] op_sel_hi:[1,1,0] neg_lo:[0,0,1] neg_hi:[0,0,1]
	v_pk_fma_f32 v[4:5], v[4:5], v[78:79], v[18:19] op_sel:[0,0,1] op_sel_hi:[1,0,0]
	v_mov_b32_e32 v4, v77
	v_mov_b32_e32 v23, v5
	s_waitcnt lgkmcnt(2)
	v_pk_mul_f32 v[4:5], v[8:9], v[4:5] op_sel_hi:[1,0]
	v_pk_fma_f32 v[18:19], v[8:9], v[76:77], v[4:5] op_sel:[0,0,1] op_sel_hi:[1,1,0] neg_lo:[0,0,1] neg_hi:[0,0,1]
	v_pk_fma_f32 v[4:5], v[8:9], v[76:77], v[4:5] op_sel:[0,0,1] op_sel_hi:[1,0,0]
	s_waitcnt vmcnt(1)
	v_mov_b32_e32 v4, v91
	v_mov_b32_e32 v19, v5
	v_pk_mul_f32 v[4:5], v[10:11], v[4:5] op_sel_hi:[1,0]
	s_waitcnt vmcnt(0)
	v_pk_fma_f32 v[8:9], v[10:11], v[90:91], v[4:5] op_sel:[0,0,1] op_sel_hi:[1,1,0] neg_lo:[0,0,1] neg_hi:[0,0,1]
	v_pk_fma_f32 v[4:5], v[10:11], v[90:91], v[4:5] op_sel:[0,0,1] op_sel_hi:[1,0,0]
	v_pk_add_f32 v[2:3], v[2:3], v[22:23]
	v_mov_b32_e32 v4, v89
	v_pk_add_f32 v[2:3], v[2:3], v[18:19]
	v_mov_b32_e32 v9, v5
	s_waitcnt lgkmcnt(1)
	v_pk_mul_f32 v[4:5], v[12:13], v[4:5] op_sel_hi:[1,0]
	v_pk_add_f32 v[2:3], v[2:3], v[8:9]
	v_pk_fma_f32 v[8:9], v[12:13], v[88:89], v[4:5] op_sel:[0,0,1] op_sel_hi:[1,1,0] neg_lo:[0,0,1] neg_hi:[0,0,1]
	v_pk_fma_f32 v[4:5], v[12:13], v[88:89], v[4:5] op_sel:[0,0,1] op_sel_hi:[1,0,0]
	v_mov_b32_e32 v4, v87
	v_mov_b32_e32 v9, v5
	v_pk_mul_f32 v[4:5], v[14:15], v[4:5] op_sel_hi:[1,0]
	v_pk_add_f32 v[2:3], v[2:3], v[8:9]
	v_pk_fma_f32 v[8:9], v[14:15], v[86:87], v[4:5] op_sel:[0,0,1] op_sel_hi:[1,1,0] neg_lo:[0,0,1] neg_hi:[0,0,1]
	v_pk_fma_f32 v[4:5], v[14:15], v[86:87], v[4:5] op_sel:[0,0,1] op_sel_hi:[1,0,0]
	v_mov_b32_e32 v4, v85
	v_mov_b32_e32 v9, v5
	s_waitcnt lgkmcnt(0)
	v_pk_mul_f32 v[4:5], v[16:17], v[4:5] op_sel_hi:[1,0]
	v_pk_add_f32 v[2:3], v[2:3], v[8:9]
	v_pk_fma_f32 v[8:9], v[16:17], v[84:85], v[4:5] op_sel:[0,0,1] op_sel_hi:[1,1,0] neg_lo:[0,0,1] neg_hi:[0,0,1]
	v_pk_fma_f32 v[4:5], v[16:17], v[84:85], v[4:5] op_sel:[0,0,1] op_sel_hi:[1,0,0]
	v_mov_b32_e32 v9, v5
	v_pk_add_f32 v[2:3], v[2:3], v[8:9]
	v_pk_add_f32 v[2:3], v[6:7], v[2:3] neg_lo:[0,1] neg_hi:[0,1]
	buffer_store_dword v3, off, s[0:3], 0 offset:124
	buffer_store_dword v2, off, s[0:3], 0 offset:120
	s_and_saveexec_b64 s[4:5], vcc
	s_cbranch_execz .LBB118_315
; %bb.314:
	buffer_load_dword v2, off, s[0:3], 0 offset:112
	buffer_load_dword v3, off, s[0:3], 0 offset:116
	s_waitcnt vmcnt(0)
	ds_write_b64 v153, v[2:3]
	buffer_store_dword v20, off, s[0:3], 0 offset:112
	buffer_store_dword v20, off, s[0:3], 0 offset:116
.LBB118_315:
	s_or_b64 exec, exec, s[4:5]
	s_waitcnt lgkmcnt(0)
	; wave barrier
	s_waitcnt lgkmcnt(0)
	buffer_load_dword v1, off, s[0:3], 0 offset:124
	buffer_load_dword v21, off, s[0:3], 0 offset:132
	;; [unrolled: 1-line block ×26, first 2 shown]
	ds_read2_b64 v[14:17], v20 offset0:71 offset1:72
	ds_read2_b64 v[6:9], v20 offset0:73 offset1:74
	buffer_load_dword v111, off, s[0:3], 0 offset:216
	buffer_load_dword v112, off, s[0:3], 0 offset:220
	ds_read2_b64 v[10:13], v20 offset0:75 offset1:76
	ds_read2_b64 v[2:5], v20 offset0:77 offset1:78
	buffer_load_dword v113, off, s[0:3], 0 offset:224
	buffer_load_dword v114, off, s[0:3], 0 offset:228
	buffer_load_dword v115, off, s[0:3], 0 offset:232
	buffer_load_dword v116, off, s[0:3], 0 offset:236
	buffer_load_dword v117, off, s[0:3], 0 offset:240
	buffer_load_dword v118, off, s[0:3], 0 offset:244
	buffer_load_dword v119, off, s[0:3], 0 offset:248
	buffer_load_dword v120, off, s[0:3], 0 offset:252
	buffer_load_dword v121, off, s[0:3], 0 offset:256
	buffer_load_dword v122, off, s[0:3], 0 offset:260
	buffer_load_dword v123, off, s[0:3], 0 offset:264
	buffer_load_dword v124, off, s[0:3], 0 offset:268
	buffer_load_dword v125, off, s[0:3], 0 offset:272
	buffer_load_dword v126, off, s[0:3], 0 offset:276
	buffer_load_dword v127, off, s[0:3], 0 offset:280
	buffer_load_dword v128, off, s[0:3], 0 offset:284
	buffer_load_dword v129, off, s[0:3], 0 offset:288
	buffer_load_dword v130, off, s[0:3], 0 offset:292
	buffer_load_dword v131, off, s[0:3], 0 offset:296
	buffer_load_dword v132, off, s[0:3], 0 offset:300
	buffer_load_dword v133, off, s[0:3], 0 offset:304
	buffer_load_dword v134, off, s[0:3], 0 offset:308
	buffer_load_dword v135, off, s[0:3], 0 offset:312
	buffer_load_dword v136, off, s[0:3], 0 offset:316
	buffer_load_dword v137, off, s[0:3], 0 offset:320
	buffer_load_dword v138, off, s[0:3], 0 offset:324
	buffer_load_dword v139, off, s[0:3], 0 offset:328
	buffer_load_dword v140, off, s[0:3], 0 offset:332
	buffer_load_dword v141, off, s[0:3], 0 offset:336
	buffer_load_dword v204, off, s[0:3], 0 offset:340
	buffer_load_dword v205, off, s[0:3], 0 offset:344
	buffer_load_dword v206, off, s[0:3], 0 offset:348
	v_cmp_lt_u32_e32 vcc, 13, v0
	s_waitcnt vmcnt(59) lgkmcnt(3)
	v_mul_f32_e32 v22, v14, v1
	s_waitcnt vmcnt(58)
	v_mul_f32_e32 v23, v16, v21
	s_waitcnt vmcnt(57) lgkmcnt(2)
	v_mul_f32_e32 v25, v8, v70
	s_waitcnt vmcnt(56) lgkmcnt(1)
	v_mul_f32_e32 v26, v10, v72
	s_waitcnt vmcnt(55)
	v_mul_f32_e32 v27, v12, v80
	s_waitcnt vmcnt(54)
	v_mul_f32_e32 v24, v6, v92
	s_waitcnt vmcnt(53) lgkmcnt(0)
	v_mul_f32_e32 v28, v2, v93
	s_waitcnt vmcnt(52)
	v_mul_f32_e32 v29, v4, v94
	s_waitcnt vmcnt(51)
	v_fmac_f32_e32 v24, v7, v95
	s_waitcnt vmcnt(50)
	v_fmac_f32_e32 v23, v17, v96
	;; [unrolled: 2-line block ×3, first 2 shown]
	v_add_f32_e32 v22, 0, v22
	v_add_f32_e32 v22, v22, v23
	;; [unrolled: 1-line block ×3, first 2 shown]
	s_waitcnt vmcnt(45)
	v_fmac_f32_e32 v25, v9, v101
	v_fmac_f32_e32 v26, v11, v100
	v_add_f32_e32 v22, v22, v25
	v_fmac_f32_e32 v27, v13, v99
	v_add_f32_e32 v22, v22, v26
	;; [unrolled: 2-line block ×3, first 2 shown]
	v_add_f32_e32 v26, v22, v28
	ds_read2_b64 v[22:25], v20 offset0:79 offset1:80
	s_waitcnt vmcnt(41)
	v_fmac_f32_e32 v29, v5, v105
	buffer_load_dword v207, off, s[0:3], 0 offset:352
	buffer_load_dword v208, off, s[0:3], 0 offset:356
	v_add_f32_e32 v30, v26, v29
	buffer_load_dword v209, off, s[0:3], 0 offset:360
	buffer_load_dword v210, off, s[0:3], 0 offset:364
	ds_read2_b64 v[26:29], v20 offset0:81 offset1:82
	s_waitcnt vmcnt(44) lgkmcnt(1)
	v_mul_f32_e32 v31, v22, v106
	v_fmac_f32_e32 v31, v23, v104
	v_add_f32_e32 v30, v30, v31
	s_waitcnt vmcnt(43)
	v_mul_f32_e32 v31, v24, v107
	v_fmac_f32_e32 v31, v25, v103
	v_add_f32_e32 v30, v30, v31
	s_waitcnt vmcnt(42) lgkmcnt(0)
	v_mul_f32_e32 v31, v26, v108
	v_fmac_f32_e32 v31, v27, v102
	buffer_load_dword v211, off, s[0:3], 0 offset:368
	buffer_load_dword v212, off, s[0:3], 0 offset:372
	v_add_f32_e32 v34, v30, v31
	ds_read2_b64 v[30:33], v20 offset0:83 offset1:84
	s_waitcnt vmcnt(40)
	v_mul_f32_e32 v35, v28, v110
	v_fmac_f32_e32 v35, v29, v109
	v_add_f32_e32 v38, v34, v35
	ds_read2_b64 v[34:37], v20 offset0:85 offset1:86
	s_waitcnt vmcnt(38) lgkmcnt(1)
	v_mul_f32_e32 v39, v30, v112
	v_fmac_f32_e32 v39, v31, v111
	v_add_f32_e32 v38, v38, v39
	s_waitcnt vmcnt(36)
	v_mul_f32_e32 v39, v32, v114
	v_fmac_f32_e32 v39, v33, v113
	v_add_f32_e32 v38, v38, v39
	s_waitcnt vmcnt(34) lgkmcnt(0)
	v_mul_f32_e32 v39, v34, v116
	v_fmac_f32_e32 v39, v35, v115
	v_add_f32_e32 v42, v38, v39
	ds_read2_b64 v[38:41], v20 offset0:87 offset1:88
	s_waitcnt vmcnt(32)
	v_mul_f32_e32 v43, v36, v118
	v_fmac_f32_e32 v43, v37, v117
	v_add_f32_e32 v46, v42, v43
	ds_read2_b64 v[42:45], v20 offset0:89 offset1:90
	s_waitcnt vmcnt(30) lgkmcnt(1)
	v_mul_f32_e32 v47, v38, v120
	v_fmac_f32_e32 v47, v39, v119
	v_add_f32_e32 v46, v46, v47
	s_waitcnt vmcnt(28)
	v_mul_f32_e32 v47, v40, v122
	v_fmac_f32_e32 v47, v41, v121
	v_add_f32_e32 v46, v46, v47
	s_waitcnt vmcnt(26) lgkmcnt(0)
	v_mul_f32_e32 v47, v42, v124
	v_fmac_f32_e32 v47, v43, v123
	;; [unrolled: 18-line block ×4, first 2 shown]
	s_waitcnt vmcnt(8)
	v_mul_f32_e32 v67, v60, v204
	v_add_f32_e32 v66, v62, v63
	v_fmac_f32_e32 v67, v61, v141
	ds_read2_b64 v[62:65], v20 offset0:99 offset1:100
	v_add_f32_e32 v71, v66, v67
	ds_read2_b64 v[66:69], v20 offset0:101 offset1:102
	buffer_load_dword v75, off, s[0:3], 0 offset:396
	buffer_load_dword v74, off, s[0:3], 0 offset:392
	;; [unrolled: 1-line block ×16, first 2 shown]
	v_mul_f32_e32 v1, v15, v1
	v_fma_f32 v1, v14, v97, -v1
	v_mul_f32_e32 v14, v17, v21
	v_add_f32_e32 v1, 0, v1
	v_fma_f32 v14, v16, v96, -v14
	v_mul_f32_e32 v7, v7, v92
	v_add_f32_e32 v1, v1, v14
	v_fma_f32 v6, v6, v95, -v7
	v_add_f32_e32 v1, v1, v6
	v_mul_f32_e32 v6, v9, v70
	v_fma_f32 v6, v8, v101, -v6
	v_add_f32_e32 v1, v1, v6
	v_mul_f32_e32 v6, v11, v72
	v_fma_f32 v6, v10, v100, -v6
	v_add_f32_e32 v1, v1, v6
	v_mul_f32_e32 v6, v13, v80
	v_fma_f32 v6, v12, v99, -v6
	v_mul_f32_e32 v3, v3, v93
	v_add_f32_e32 v1, v1, v6
	v_fma_f32 v2, v2, v98, -v3
	v_add_f32_e32 v1, v1, v2
	v_mul_f32_e32 v2, v5, v94
	v_fma_f32 v2, v4, v105, -v2
	v_add_f32_e32 v1, v1, v2
	v_mul_f32_e32 v2, v23, v106
	;; [unrolled: 3-line block ×21, first 2 shown]
	v_fma_f32 v2, v60, v141, -v2
	v_add_f32_e32 v1, v1, v2
	s_waitcnt vmcnt(22) lgkmcnt(1)
	v_mul_f32_e32 v2, v63, v206
	v_mul_f32_e32 v73, v62, v206
	v_fma_f32 v2, v62, v205, -v2
	v_fmac_f32_e32 v73, v63, v205
	v_add_f32_e32 v1, v1, v2
	s_waitcnt vmcnt(20)
	v_mul_f32_e32 v2, v65, v208
	v_add_f32_e32 v71, v71, v73
	v_mul_f32_e32 v73, v64, v208
	v_fma_f32 v2, v64, v207, -v2
	v_fmac_f32_e32 v73, v65, v207
	v_add_f32_e32 v70, v1, v2
	ds_read2_b64 v[2:5], v20 offset0:103 offset1:104
	ds_read2_b64 v[6:9], v20 offset0:105 offset1:106
	;; [unrolled: 1-line block ×4, first 2 shown]
	v_add_f32_e32 v71, v71, v73
	s_waitcnt vmcnt(18) lgkmcnt(4)
	v_mul_f32_e32 v73, v66, v210
	v_mul_f32_e32 v1, v67, v210
	s_waitcnt vmcnt(11)
	v_mov_b32_e32 v22, v79
	v_fmac_f32_e32 v73, v67, v209
	v_mul_f32_e32 v81, v68, v212
	v_fma_f32 v72, v66, v209, -v1
	v_mul_f32_e32 v1, v69, v212
	s_waitcnt lgkmcnt(3)
	v_pk_mul_f32 v[22:23], v[2:3], v[22:23] op_sel_hi:[1,0]
	v_fmac_f32_e32 v81, v69, v211
	v_fma_f32 v80, v68, v211, -v1
	v_pk_add_f32 v[20:21], v[70:71], v[72:73]
	s_waitcnt vmcnt(10)
	v_pk_fma_f32 v[24:25], v[2:3], v[78:79], v[22:23] op_sel:[0,0,1] op_sel_hi:[1,1,0] neg_lo:[0,0,1] neg_hi:[0,0,1]
	v_pk_fma_f32 v[2:3], v[2:3], v[78:79], v[22:23] op_sel:[0,0,1] op_sel_hi:[1,0,0]
	v_pk_add_f32 v[20:21], v[20:21], v[80:81]
	v_mov_b32_e32 v25, v3
	v_pk_add_f32 v[2:3], v[20:21], v[24:25]
	v_mov_b32_e32 v20, v77
	v_pk_mul_f32 v[20:21], v[4:5], v[20:21] op_sel_hi:[1,0]
	v_pk_fma_f32 v[22:23], v[4:5], v[76:77], v[20:21] op_sel:[0,0,1] op_sel_hi:[1,1,0] neg_lo:[0,0,1] neg_hi:[0,0,1]
	v_pk_fma_f32 v[4:5], v[4:5], v[76:77], v[20:21] op_sel:[0,0,1] op_sel_hi:[1,0,0]
	v_mov_b32_e32 v4, v75
	v_mov_b32_e32 v23, v5
	s_waitcnt lgkmcnt(2)
	v_pk_mul_f32 v[4:5], v[6:7], v[4:5] op_sel_hi:[1,0]
	v_pk_fma_f32 v[20:21], v[6:7], v[74:75], v[4:5] op_sel:[0,0,1] op_sel_hi:[1,1,0] neg_lo:[0,0,1] neg_hi:[0,0,1]
	v_pk_fma_f32 v[4:5], v[6:7], v[74:75], v[4:5] op_sel:[0,0,1] op_sel_hi:[1,0,0]
	s_waitcnt vmcnt(3)
	v_mov_b32_e32 v4, v89
	v_mov_b32_e32 v21, v5
	v_pk_mul_f32 v[4:5], v[8:9], v[4:5] op_sel_hi:[1,0]
	s_waitcnt vmcnt(2)
	v_pk_fma_f32 v[6:7], v[8:9], v[88:89], v[4:5] op_sel:[0,0,1] op_sel_hi:[1,1,0] neg_lo:[0,0,1] neg_hi:[0,0,1]
	v_pk_fma_f32 v[4:5], v[8:9], v[88:89], v[4:5] op_sel:[0,0,1] op_sel_hi:[1,0,0]
	v_pk_add_f32 v[2:3], v[2:3], v[22:23]
	v_mov_b32_e32 v4, v87
	v_pk_add_f32 v[2:3], v[2:3], v[20:21]
	v_mov_b32_e32 v7, v5
	s_waitcnt lgkmcnt(1)
	v_pk_mul_f32 v[4:5], v[10:11], v[4:5] op_sel_hi:[1,0]
	v_pk_add_f32 v[2:3], v[2:3], v[6:7]
	v_pk_fma_f32 v[6:7], v[10:11], v[86:87], v[4:5] op_sel:[0,0,1] op_sel_hi:[1,1,0] neg_lo:[0,0,1] neg_hi:[0,0,1]
	v_pk_fma_f32 v[4:5], v[10:11], v[86:87], v[4:5] op_sel:[0,0,1] op_sel_hi:[1,0,0]
	v_mov_b32_e32 v4, v85
	v_mov_b32_e32 v7, v5
	v_pk_mul_f32 v[4:5], v[12:13], v[4:5] op_sel_hi:[1,0]
	v_pk_add_f32 v[2:3], v[2:3], v[6:7]
	v_pk_fma_f32 v[6:7], v[12:13], v[84:85], v[4:5] op_sel:[0,0,1] op_sel_hi:[1,1,0] neg_lo:[0,0,1] neg_hi:[0,0,1]
	v_pk_fma_f32 v[4:5], v[12:13], v[84:85], v[4:5] op_sel:[0,0,1] op_sel_hi:[1,0,0]
	v_mov_b32_e32 v4, v83
	v_mov_b32_e32 v7, v5
	s_waitcnt lgkmcnt(0)
	v_pk_mul_f32 v[4:5], v[14:15], v[4:5] op_sel_hi:[1,0]
	v_pk_add_f32 v[2:3], v[2:3], v[6:7]
	v_pk_fma_f32 v[6:7], v[14:15], v[82:83], v[4:5] op_sel:[0,0,1] op_sel_hi:[1,1,0] neg_lo:[0,0,1] neg_hi:[0,0,1]
	v_pk_fma_f32 v[4:5], v[14:15], v[82:83], v[4:5] op_sel:[0,0,1] op_sel_hi:[1,0,0]
	s_waitcnt vmcnt(1)
	v_mov_b32_e32 v4, v91
	v_mov_b32_e32 v7, v5
	v_pk_mul_f32 v[4:5], v[16:17], v[4:5] op_sel_hi:[1,0]
	v_pk_add_f32 v[2:3], v[2:3], v[6:7]
	s_waitcnt vmcnt(0)
	v_pk_fma_f32 v[6:7], v[16:17], v[90:91], v[4:5] op_sel:[0,0,1] op_sel_hi:[1,1,0] neg_lo:[0,0,1] neg_hi:[0,0,1]
	v_pk_fma_f32 v[4:5], v[16:17], v[90:91], v[4:5] op_sel:[0,0,1] op_sel_hi:[1,0,0]
	v_mov_b32_e32 v7, v5
	v_pk_add_f32 v[2:3], v[2:3], v[6:7]
	v_pk_add_f32 v[2:3], v[18:19], v[2:3] neg_lo:[0,1] neg_hi:[0,1]
	buffer_store_dword v3, off, s[0:3], 0 offset:116
	buffer_store_dword v2, off, s[0:3], 0 offset:112
	s_and_saveexec_b64 s[4:5], vcc
	s_cbranch_execz .LBB118_317
; %bb.316:
	buffer_load_dword v2, off, s[0:3], 0 offset:104
	buffer_load_dword v3, off, s[0:3], 0 offset:108
	v_mov_b32_e32 v1, 0
	buffer_store_dword v1, off, s[0:3], 0 offset:104
	buffer_store_dword v1, off, s[0:3], 0 offset:108
	s_waitcnt vmcnt(2)
	ds_write_b64 v153, v[2:3]
.LBB118_317:
	s_or_b64 exec, exec, s[4:5]
	v_mov_b32_e32 v204, 0
	s_waitcnt lgkmcnt(0)
	; wave barrier
	s_waitcnt lgkmcnt(0)
	ds_read_b128 v[14:17], v204 offset:560
	ds_read_b128 v[10:13], v204 offset:576
	;; [unrolled: 1-line block ×4, first 2 shown]
	buffer_load_dword v70, off, s[0:3], 0 offset:104
	buffer_load_dword v71, off, s[0:3], 0 offset:108
	;; [unrolled: 1-line block ×18, first 2 shown]
	v_cmp_lt_u32_e32 vcc, 12, v0
	s_waitcnt vmcnt(14) lgkmcnt(3)
	v_mul_f32_e32 v18, v14, v78
	v_fmac_f32_e32 v18, v15, v1
	s_waitcnt vmcnt(12)
	v_mul_f32_e32 v19, v16, v95
	v_add_f32_e32 v18, 0, v18
	v_fmac_f32_e32 v19, v17, v72
	v_add_f32_e32 v18, v18, v19
	s_waitcnt vmcnt(10) lgkmcnt(2)
	v_mul_f32_e32 v19, v10, v97
	v_fmac_f32_e32 v19, v11, v74
	v_add_f32_e32 v18, v18, v19
	s_waitcnt vmcnt(8)
	v_mul_f32_e32 v19, v12, v99
	v_fmac_f32_e32 v19, v13, v94
	v_add_f32_e32 v18, v18, v19
	s_waitcnt vmcnt(6) lgkmcnt(1)
	v_mul_f32_e32 v19, v6, v101
	v_fmac_f32_e32 v19, v7, v96
	v_add_f32_e32 v18, v18, v19
	s_waitcnt vmcnt(4)
	v_mul_f32_e32 v19, v8, v102
	;; [unrolled: 8-line block ×3, first 2 shown]
	v_fmac_f32_e32 v19, v5, v104
	v_add_f32_e32 v22, v18, v19
	ds_read_b128 v[18:21], v204 offset:624
	buffer_load_dword v106, off, s[0:3], 0 offset:176
	buffer_load_dword v107, off, s[0:3], 0 offset:180
	buffer_load_dword v108, off, s[0:3], 0 offset:184
	buffer_load_dword v109, off, s[0:3], 0 offset:188
	ds_read_b128 v[26:29], v204 offset:640
	buffer_load_dword v110, off, s[0:3], 0 offset:192
	buffer_load_dword v111, off, s[0:3], 0 offset:196
	buffer_load_dword v112, off, s[0:3], 0 offset:200
	buffer_load_dword v113, off, s[0:3], 0 offset:204
	;; [unrolled: 5-line block ×12, first 2 shown]
	v_mul_f32_e32 v15, v15, v78
	v_fma_f32 v1, v14, v1, -v15
	v_mul_f32_e32 v14, v17, v95
	v_add_f32_e32 v1, 0, v1
	v_fma_f32 v14, v16, v72, -v14
	v_mul_f32_e32 v11, v11, v97
	v_add_f32_e32 v1, v1, v14
	v_fma_f32 v10, v10, v74, -v11
	v_add_f32_e32 v1, v1, v10
	v_mul_f32_e32 v10, v13, v99
	v_fma_f32 v10, v12, v94, -v10
	v_mul_f32_e32 v7, v7, v101
	v_add_f32_e32 v1, v1, v10
	v_fma_f32 v6, v6, v96, -v7
	v_add_f32_e32 v1, v1, v6
	v_mul_f32_e32 v6, v9, v102
	;; [unrolled: 6-line block ×3, first 2 shown]
	v_fma_f32 v2, v4, v104, -v2
	v_add_f32_e32 v1, v1, v2
	s_waitcnt vmcnt(46) lgkmcnt(11)
	v_mul_f32_e32 v23, v18, v107
	v_fmac_f32_e32 v23, v19, v106
	v_add_f32_e32 v22, v22, v23
	s_waitcnt vmcnt(44)
	v_mul_f32_e32 v23, v20, v109
	v_fmac_f32_e32 v23, v21, v108
	v_add_f32_e32 v22, v22, v23
	s_waitcnt vmcnt(42) lgkmcnt(10)
	v_mul_f32_e32 v23, v26, v111
	v_fmac_f32_e32 v23, v27, v110
	v_add_f32_e32 v22, v22, v23
	s_waitcnt vmcnt(40)
	v_mul_f32_e32 v23, v28, v113
	v_fmac_f32_e32 v23, v29, v112
	;; [unrolled: 8-line block ×11, first 2 shown]
	v_add_f32_e32 v22, v22, v23
	s_waitcnt vmcnt(2) lgkmcnt(0)
	v_mul_f32_e32 v23, v66, v214
	v_fmac_f32_e32 v23, v67, v213
	v_add_f32_e32 v73, v22, v23
	ds_read_b128 v[22:25], v204 offset:816
	buffer_load_dword v217, off, s[0:3], 0 offset:368
	buffer_load_dword v218, off, s[0:3], 0 offset:372
	;; [unrolled: 1-line block ×18, first 2 shown]
	v_mul_f32_e32 v2, v19, v107
	v_fma_f32 v2, v18, v106, -v2
	v_add_f32_e32 v1, v1, v2
	v_mul_f32_e32 v2, v21, v109
	v_fma_f32 v2, v20, v108, -v2
	v_add_f32_e32 v1, v1, v2
	v_mul_f32_e32 v2, v27, v111
	v_fma_f32 v2, v26, v110, -v2
	v_add_f32_e32 v1, v1, v2
	v_mul_f32_e32 v2, v29, v113
	v_fma_f32 v2, v28, v112, -v2
	v_add_f32_e32 v1, v1, v2
	v_mul_f32_e32 v2, v31, v115
	v_fma_f32 v2, v30, v114, -v2
	v_add_f32_e32 v1, v1, v2
	v_mul_f32_e32 v2, v33, v117
	v_fma_f32 v2, v32, v116, -v2
	v_add_f32_e32 v1, v1, v2
	v_mul_f32_e32 v2, v35, v119
	v_fma_f32 v2, v34, v118, -v2
	v_add_f32_e32 v1, v1, v2
	v_mul_f32_e32 v2, v37, v121
	v_fma_f32 v2, v36, v120, -v2
	v_add_f32_e32 v1, v1, v2
	v_mul_f32_e32 v2, v39, v123
	v_fma_f32 v2, v38, v122, -v2
	v_add_f32_e32 v1, v1, v2
	v_mul_f32_e32 v2, v41, v206
	v_fma_f32 v2, v40, v205, -v2
	v_add_f32_e32 v1, v1, v2
	v_mul_f32_e32 v2, v43, v125
	v_fma_f32 v2, v42, v124, -v2
	v_add_f32_e32 v1, v1, v2
	v_mul_f32_e32 v2, v45, v127
	v_fma_f32 v2, v44, v126, -v2
	v_add_f32_e32 v1, v1, v2
	v_mul_f32_e32 v2, v47, v208
	v_fma_f32 v2, v46, v207, -v2
	v_add_f32_e32 v1, v1, v2
	v_mul_f32_e32 v2, v49, v129
	v_fma_f32 v2, v48, v128, -v2
	v_add_f32_e32 v1, v1, v2
	v_mul_f32_e32 v2, v51, v131
	v_fma_f32 v2, v50, v130, -v2
	v_add_f32_e32 v1, v1, v2
	v_mul_f32_e32 v2, v53, v132
	v_fma_f32 v2, v52, v209, -v2
	v_add_f32_e32 v1, v1, v2
	v_mul_f32_e32 v2, v55, v210
	v_fma_f32 v2, v54, v133, -v2
	v_add_f32_e32 v1, v1, v2
	v_mul_f32_e32 v2, v57, v135
	v_fma_f32 v2, v56, v134, -v2
	v_add_f32_e32 v1, v1, v2
	v_mul_f32_e32 v2, v59, v136
	v_fma_f32 v2, v58, v211, -v2
	v_add_f32_e32 v1, v1, v2
	v_mul_f32_e32 v2, v61, v138
	v_fma_f32 v2, v60, v137, -v2
	v_add_f32_e32 v1, v1, v2
	v_mul_f32_e32 v2, v63, v140
	v_fma_f32 v2, v62, v139, -v2
	v_add_f32_e32 v1, v1, v2
	v_mul_f32_e32 v2, v65, v212
	v_fma_f32 v2, v64, v141, -v2
	v_add_f32_e32 v1, v1, v2
	v_mul_f32_e32 v2, v67, v214
	v_fma_f32 v2, v66, v213, -v2
	s_waitcnt vmcnt(15)
	v_mov_b32_e32 v18, v77
	v_mul_f32_e32 v75, v68, v216
	v_add_f32_e32 v72, v1, v2
	v_mul_f32_e32 v1, v69, v216
	s_waitcnt lgkmcnt(0)
	v_pk_mul_f32 v[18:19], v[24:25], v[18:19] op_sel_hi:[1,0]
	v_fmac_f32_e32 v75, v69, v215
	v_fma_f32 v74, v68, v215, -v1
	ds_read_b128 v[2:5], v204 offset:832
	ds_read_b128 v[6:9], v204 offset:848
	;; [unrolled: 1-line block ×3, first 2 shown]
	ds_read_b64 v[14:15], v204 offset:880
	s_waitcnt vmcnt(14)
	v_pk_fma_f32 v[20:21], v[24:25], v[76:77], v[18:19] op_sel:[0,0,1] op_sel_hi:[1,1,0] neg_lo:[0,0,1] neg_hi:[0,0,1]
	v_pk_fma_f32 v[18:19], v[24:25], v[76:77], v[18:19] op_sel:[0,0,1] op_sel_hi:[1,0,0]
	v_mul_f32_e32 v79, v22, v218
	v_mul_f32_e32 v1, v23, v218
	v_fmac_f32_e32 v79, v23, v217
	v_fma_f32 v78, v22, v217, -v1
	v_pk_add_f32 v[16:17], v[72:73], v[74:75]
	s_waitcnt vmcnt(13)
	v_mov_b32_e32 v18, v93
	v_pk_add_f32 v[16:17], v[16:17], v[78:79]
	v_mov_b32_e32 v21, v19
	s_waitcnt lgkmcnt(3)
	v_pk_mul_f32 v[18:19], v[2:3], v[18:19] op_sel_hi:[1,0]
	v_pk_add_f32 v[16:17], v[16:17], v[20:21]
	s_waitcnt vmcnt(12)
	v_pk_fma_f32 v[20:21], v[2:3], v[92:93], v[18:19] op_sel:[0,0,1] op_sel_hi:[1,1,0] neg_lo:[0,0,1] neg_hi:[0,0,1]
	v_pk_fma_f32 v[2:3], v[2:3], v[92:93], v[18:19] op_sel:[0,0,1] op_sel_hi:[1,0,0]
	v_mov_b32_e32 v21, v3
	v_pk_add_f32 v[2:3], v[16:17], v[20:21]
	s_waitcnt vmcnt(11)
	v_mov_b32_e32 v16, v91
	v_pk_mul_f32 v[16:17], v[4:5], v[16:17] op_sel_hi:[1,0]
	s_waitcnt vmcnt(10)
	v_pk_fma_f32 v[18:19], v[4:5], v[90:91], v[16:17] op_sel:[0,0,1] op_sel_hi:[1,1,0] neg_lo:[0,0,1] neg_hi:[0,0,1]
	v_pk_fma_f32 v[4:5], v[4:5], v[90:91], v[16:17] op_sel:[0,0,1] op_sel_hi:[1,0,0]
	s_waitcnt vmcnt(9)
	v_mov_b32_e32 v4, v89
	v_mov_b32_e32 v19, v5
	s_waitcnt lgkmcnt(2)
	v_pk_mul_f32 v[4:5], v[6:7], v[4:5] op_sel_hi:[1,0]
	s_waitcnt vmcnt(8)
	v_pk_fma_f32 v[16:17], v[6:7], v[88:89], v[4:5] op_sel:[0,0,1] op_sel_hi:[1,1,0] neg_lo:[0,0,1] neg_hi:[0,0,1]
	v_pk_fma_f32 v[4:5], v[6:7], v[88:89], v[4:5] op_sel:[0,0,1] op_sel_hi:[1,0,0]
	s_waitcnt vmcnt(7)
	v_mov_b32_e32 v4, v87
	v_mov_b32_e32 v17, v5
	v_pk_mul_f32 v[4:5], v[8:9], v[4:5] op_sel_hi:[1,0]
	s_waitcnt vmcnt(6)
	v_pk_fma_f32 v[6:7], v[8:9], v[86:87], v[4:5] op_sel:[0,0,1] op_sel_hi:[1,1,0] neg_lo:[0,0,1] neg_hi:[0,0,1]
	v_pk_fma_f32 v[4:5], v[8:9], v[86:87], v[4:5] op_sel:[0,0,1] op_sel_hi:[1,0,0]
	v_pk_add_f32 v[2:3], v[2:3], v[18:19]
	s_waitcnt vmcnt(5)
	v_mov_b32_e32 v4, v85
	v_pk_add_f32 v[2:3], v[2:3], v[16:17]
	v_mov_b32_e32 v7, v5
	s_waitcnt lgkmcnt(1)
	v_pk_mul_f32 v[4:5], v[10:11], v[4:5] op_sel_hi:[1,0]
	v_pk_add_f32 v[2:3], v[2:3], v[6:7]
	s_waitcnt vmcnt(4)
	v_pk_fma_f32 v[6:7], v[10:11], v[84:85], v[4:5] op_sel:[0,0,1] op_sel_hi:[1,1,0] neg_lo:[0,0,1] neg_hi:[0,0,1]
	v_pk_fma_f32 v[4:5], v[10:11], v[84:85], v[4:5] op_sel:[0,0,1] op_sel_hi:[1,0,0]
	s_waitcnt vmcnt(3)
	v_mov_b32_e32 v4, v83
	v_mov_b32_e32 v7, v5
	v_pk_mul_f32 v[4:5], v[12:13], v[4:5] op_sel_hi:[1,0]
	v_pk_add_f32 v[2:3], v[2:3], v[6:7]
	s_waitcnt vmcnt(2)
	v_pk_fma_f32 v[6:7], v[12:13], v[82:83], v[4:5] op_sel:[0,0,1] op_sel_hi:[1,1,0] neg_lo:[0,0,1] neg_hi:[0,0,1]
	v_pk_fma_f32 v[4:5], v[12:13], v[82:83], v[4:5] op_sel:[0,0,1] op_sel_hi:[1,0,0]
	s_waitcnt vmcnt(1)
	v_mov_b32_e32 v4, v81
	v_mov_b32_e32 v7, v5
	s_waitcnt lgkmcnt(0)
	v_pk_mul_f32 v[4:5], v[14:15], v[4:5] op_sel_hi:[1,0]
	v_pk_add_f32 v[2:3], v[2:3], v[6:7]
	s_waitcnt vmcnt(0)
	v_pk_fma_f32 v[6:7], v[14:15], v[80:81], v[4:5] op_sel:[0,0,1] op_sel_hi:[1,1,0] neg_lo:[0,0,1] neg_hi:[0,0,1]
	v_pk_fma_f32 v[4:5], v[14:15], v[80:81], v[4:5] op_sel:[0,0,1] op_sel_hi:[1,0,0]
	v_mov_b32_e32 v7, v5
	v_pk_add_f32 v[2:3], v[2:3], v[6:7]
	v_pk_add_f32 v[2:3], v[70:71], v[2:3] neg_lo:[0,1] neg_hi:[0,1]
	buffer_store_dword v3, off, s[0:3], 0 offset:108
	buffer_store_dword v2, off, s[0:3], 0 offset:104
	s_and_saveexec_b64 s[4:5], vcc
	s_cbranch_execz .LBB118_319
; %bb.318:
	buffer_load_dword v2, off, s[0:3], 0 offset:96
	buffer_load_dword v3, off, s[0:3], 0 offset:100
	s_waitcnt vmcnt(0)
	ds_write_b64 v153, v[2:3]
	buffer_store_dword v204, off, s[0:3], 0 offset:96
	buffer_store_dword v204, off, s[0:3], 0 offset:100
.LBB118_319:
	s_or_b64 exec, exec, s[4:5]
	s_waitcnt lgkmcnt(0)
	; wave barrier
	s_waitcnt lgkmcnt(0)
	buffer_load_dword v1, off, s[0:3], 0 offset:108
	buffer_load_dword v78, off, s[0:3], 0 offset:116
	;; [unrolled: 1-line block ×24, first 2 shown]
	ds_read2_b64 v[22:25], v204 offset0:69 offset1:70
	ds_read2_b64 v[18:21], v204 offset0:71 offset1:72
	;; [unrolled: 1-line block ×4, first 2 shown]
	buffer_load_dword v116, off, s[0:3], 0 offset:192
	buffer_load_dword v117, off, s[0:3], 0 offset:196
	ds_read2_b64 v[10:13], v204 offset0:77 offset1:78
	ds_read2_b64 v[2:5], v204 offset0:79 offset1:80
	buffer_load_dword v118, off, s[0:3], 0 offset:200
	buffer_load_dword v119, off, s[0:3], 0 offset:204
	buffer_load_dword v120, off, s[0:3], 0 offset:208
	buffer_load_dword v121, off, s[0:3], 0 offset:212
	buffer_load_dword v122, off, s[0:3], 0 offset:216
	buffer_load_dword v123, off, s[0:3], 0 offset:220
	buffer_load_dword v124, off, s[0:3], 0 offset:224
	buffer_load_dword v125, off, s[0:3], 0 offset:228
	buffer_load_dword v126, off, s[0:3], 0 offset:232
	buffer_load_dword v127, off, s[0:3], 0 offset:236
	buffer_load_dword v128, off, s[0:3], 0 offset:240
	buffer_load_dword v129, off, s[0:3], 0 offset:244
	buffer_load_dword v130, off, s[0:3], 0 offset:248
	buffer_load_dword v131, off, s[0:3], 0 offset:252
	buffer_load_dword v132, off, s[0:3], 0 offset:256
	buffer_load_dword v133, off, s[0:3], 0 offset:260
	buffer_load_dword v134, off, s[0:3], 0 offset:264
	buffer_load_dword v135, off, s[0:3], 0 offset:268
	buffer_load_dword v136, off, s[0:3], 0 offset:272
	buffer_load_dword v137, off, s[0:3], 0 offset:276
	buffer_load_dword v138, off, s[0:3], 0 offset:280
	buffer_load_dword v139, off, s[0:3], 0 offset:284
	buffer_load_dword v140, off, s[0:3], 0 offset:288
	buffer_load_dword v141, off, s[0:3], 0 offset:292
	buffer_load_dword v205, off, s[0:3], 0 offset:296
	buffer_load_dword v206, off, s[0:3], 0 offset:300
	buffer_load_dword v207, off, s[0:3], 0 offset:304
	buffer_load_dword v208, off, s[0:3], 0 offset:308
	buffer_load_dword v209, off, s[0:3], 0 offset:312
	buffer_load_dword v210, off, s[0:3], 0 offset:316
	buffer_load_dword v211, off, s[0:3], 0 offset:320
	buffer_load_dword v212, off, s[0:3], 0 offset:324
	buffer_load_dword v213, off, s[0:3], 0 offset:328
	buffer_load_dword v214, off, s[0:3], 0 offset:332
	buffer_load_dword v215, off, s[0:3], 0 offset:336
	buffer_load_dword v216, off, s[0:3], 0 offset:340
	buffer_load_dword v217, off, s[0:3], 0 offset:344
	buffer_load_dword v218, off, s[0:3], 0 offset:348
	buffer_load_dword v219, off, s[0:3], 0 offset:352
	buffer_load_dword v220, off, s[0:3], 0 offset:356
	buffer_load_dword v221, off, s[0:3], 0 offset:360
	buffer_load_dword v222, off, s[0:3], 0 offset:364
	buffer_load_dword v223, off, s[0:3], 0 offset:368
	buffer_load_dword v224, off, s[0:3], 0 offset:372
	v_cmp_lt_u32_e32 vcc, 11, v0
	s_waitcnt vmcnt(62) lgkmcnt(5)
	v_mul_f32_e32 v28, v22, v1
	v_mul_f32_e32 v29, v24, v78
	s_waitcnt lgkmcnt(4)
	v_mul_f32_e32 v31, v20, v80
	s_waitcnt lgkmcnt(3)
	v_mul_f32_e32 v32, v14, v82
	v_mul_f32_e32 v33, v16, v98
	;; [unrolled: 1-line block ×3, first 2 shown]
	s_waitcnt lgkmcnt(2)
	v_mul_f32_e32 v34, v6, v100
	v_mul_f32_e32 v35, v8, v101
	s_waitcnt vmcnt(61)
	v_fmac_f32_e32 v30, v19, v102
	s_waitcnt vmcnt(60)
	v_fmac_f32_e32 v29, v25, v103
	;; [unrolled: 2-line block ×3, first 2 shown]
	v_add_f32_e32 v28, 0, v28
	v_add_f32_e32 v28, v28, v29
	;; [unrolled: 1-line block ×3, first 2 shown]
	s_waitcnt vmcnt(55)
	v_fmac_f32_e32 v31, v21, v108
	v_fmac_f32_e32 v32, v15, v107
	v_add_f32_e32 v28, v28, v31
	v_fmac_f32_e32 v33, v17, v106
	v_add_f32_e32 v28, v28, v32
	;; [unrolled: 2-line block ×3, first 2 shown]
	s_waitcnt vmcnt(51)
	v_fmac_f32_e32 v35, v9, v112
	v_add_f32_e32 v28, v28, v34
	s_waitcnt vmcnt(50) lgkmcnt(1)
	v_mul_f32_e32 v29, v10, v113
	v_add_f32_e32 v28, v28, v35
	v_fmac_f32_e32 v29, v11, v111
	v_add_f32_e32 v28, v28, v29
	s_waitcnt vmcnt(49)
	v_mul_f32_e32 v29, v12, v114
	v_fmac_f32_e32 v29, v13, v110
	v_add_f32_e32 v28, v28, v29
	s_waitcnt vmcnt(48) lgkmcnt(0)
	v_mul_f32_e32 v29, v2, v115
	v_fmac_f32_e32 v29, v3, v109
	v_add_f32_e32 v32, v28, v29
	ds_read2_b64 v[28:31], v204 offset0:81 offset1:82
	s_waitcnt vmcnt(44)
	v_mul_f32_e32 v33, v4, v117
	v_fmac_f32_e32 v33, v5, v116
	v_add_f32_e32 v36, v32, v33
	ds_read2_b64 v[32:35], v204 offset0:83 offset1:84
	s_waitcnt vmcnt(42) lgkmcnt(1)
	v_mul_f32_e32 v37, v28, v119
	v_fmac_f32_e32 v37, v29, v118
	v_add_f32_e32 v36, v36, v37
	s_waitcnt vmcnt(40)
	v_mul_f32_e32 v37, v30, v121
	v_fmac_f32_e32 v37, v31, v120
	v_add_f32_e32 v36, v36, v37
	s_waitcnt vmcnt(38) lgkmcnt(0)
	v_mul_f32_e32 v37, v32, v123
	v_fmac_f32_e32 v37, v33, v122
	v_add_f32_e32 v40, v36, v37
	ds_read2_b64 v[36:39], v204 offset0:85 offset1:86
	s_waitcnt vmcnt(36)
	v_mul_f32_e32 v41, v34, v125
	v_fmac_f32_e32 v41, v35, v124
	v_add_f32_e32 v44, v40, v41
	ds_read2_b64 v[40:43], v204 offset0:87 offset1:88
	s_waitcnt vmcnt(34) lgkmcnt(1)
	v_mul_f32_e32 v45, v36, v127
	;; [unrolled: 18-line block ×4, first 2 shown]
	v_fmac_f32_e32 v61, v53, v205
	v_add_f32_e32 v60, v60, v61
	s_waitcnt vmcnt(16)
	v_mul_f32_e32 v61, v54, v208
	v_fmac_f32_e32 v61, v55, v207
	v_add_f32_e32 v60, v60, v61
	s_waitcnt vmcnt(14) lgkmcnt(0)
	v_mul_f32_e32 v61, v56, v210
	v_fmac_f32_e32 v61, v57, v209
	v_add_f32_e32 v64, v60, v61
	ds_read2_b64 v[60:63], v204 offset0:97 offset1:98
	s_waitcnt vmcnt(12)
	v_mul_f32_e32 v65, v58, v212
	v_fmac_f32_e32 v65, v59, v211
	v_add_f32_e32 v68, v64, v65
	ds_read2_b64 v[64:67], v204 offset0:99 offset1:100
	buffer_load_dword v77, off, s[0:3], 0 offset:380
	buffer_load_dword v76, off, s[0:3], 0 offset:376
	s_waitcnt vmcnt(12) lgkmcnt(1)
	v_mul_f32_e32 v69, v60, v214
	v_fmac_f32_e32 v69, v61, v213
	v_add_f32_e32 v68, v68, v69
	s_waitcnt vmcnt(10)
	v_mul_f32_e32 v69, v62, v216
	v_fmac_f32_e32 v69, v63, v215
	v_add_f32_e32 v68, v68, v69
	s_waitcnt vmcnt(8) lgkmcnt(0)
	v_mul_f32_e32 v69, v64, v218
	v_fmac_f32_e32 v69, v65, v217
	s_waitcnt vmcnt(6)
	v_mul_f32_e32 v73, v66, v220
	v_add_f32_e32 v72, v68, v69
	v_fmac_f32_e32 v73, v67, v219
	ds_read2_b64 v[68:71], v204 offset0:101 offset1:102
	v_add_f32_e32 v79, v72, v73
	ds_read2_b64 v[72:75], v204 offset0:103 offset1:104
	buffer_load_dword v85, off, s[0:3], 0 offset:412
	buffer_load_dword v84, off, s[0:3], 0 offset:408
	;; [unrolled: 1-line block ×14, first 2 shown]
	v_mul_f32_e32 v1, v23, v1
	v_fma_f32 v1, v22, v104, -v1
	v_mul_f32_e32 v22, v25, v78
	v_add_f32_e32 v1, 0, v1
	v_fma_f32 v22, v24, v103, -v22
	v_mul_f32_e32 v19, v19, v99
	v_add_f32_e32 v1, v1, v22
	v_fma_f32 v18, v18, v102, -v19
	v_add_f32_e32 v1, v1, v18
	v_mul_f32_e32 v18, v21, v80
	v_fma_f32 v18, v20, v108, -v18
	v_mul_f32_e32 v15, v15, v82
	v_add_f32_e32 v1, v1, v18
	v_fma_f32 v14, v14, v107, -v15
	v_add_f32_e32 v1, v1, v14
	v_mul_f32_e32 v14, v17, v98
	;; [unrolled: 6-line block ×3, first 2 shown]
	v_fma_f32 v6, v8, v112, -v6
	v_add_f32_e32 v1, v1, v6
	v_mul_f32_e32 v6, v11, v113
	v_fma_f32 v6, v10, v111, -v6
	v_add_f32_e32 v1, v1, v6
	v_mul_f32_e32 v6, v13, v114
	v_fma_f32 v6, v12, v110, -v6
	v_mul_f32_e32 v3, v3, v115
	v_add_f32_e32 v1, v1, v6
	v_fma_f32 v2, v2, v109, -v3
	v_add_f32_e32 v1, v1, v2
	v_mul_f32_e32 v2, v5, v117
	v_fma_f32 v2, v4, v116, -v2
	v_add_f32_e32 v1, v1, v2
	v_mul_f32_e32 v2, v29, v119
	v_fma_f32 v2, v28, v118, -v2
	v_add_f32_e32 v1, v1, v2
	v_mul_f32_e32 v2, v31, v121
	v_fma_f32 v2, v30, v120, -v2
	v_add_f32_e32 v1, v1, v2
	v_mul_f32_e32 v2, v33, v123
	v_fma_f32 v2, v32, v122, -v2
	v_add_f32_e32 v1, v1, v2
	v_mul_f32_e32 v2, v35, v125
	v_fma_f32 v2, v34, v124, -v2
	v_add_f32_e32 v1, v1, v2
	v_mul_f32_e32 v2, v37, v127
	v_fma_f32 v2, v36, v126, -v2
	v_add_f32_e32 v1, v1, v2
	v_mul_f32_e32 v2, v39, v129
	v_fma_f32 v2, v38, v128, -v2
	v_add_f32_e32 v1, v1, v2
	v_mul_f32_e32 v2, v41, v131
	v_fma_f32 v2, v40, v130, -v2
	v_add_f32_e32 v1, v1, v2
	v_mul_f32_e32 v2, v43, v133
	v_fma_f32 v2, v42, v132, -v2
	v_add_f32_e32 v1, v1, v2
	v_mul_f32_e32 v2, v45, v135
	v_fma_f32 v2, v44, v134, -v2
	v_add_f32_e32 v1, v1, v2
	v_mul_f32_e32 v2, v47, v137
	v_fma_f32 v2, v46, v136, -v2
	v_add_f32_e32 v1, v1, v2
	v_mul_f32_e32 v2, v49, v139
	v_fma_f32 v2, v48, v138, -v2
	v_add_f32_e32 v1, v1, v2
	v_mul_f32_e32 v2, v51, v141
	v_fma_f32 v2, v50, v140, -v2
	v_add_f32_e32 v1, v1, v2
	v_mul_f32_e32 v2, v53, v206
	v_fma_f32 v2, v52, v205, -v2
	v_add_f32_e32 v1, v1, v2
	v_mul_f32_e32 v2, v55, v208
	v_fma_f32 v2, v54, v207, -v2
	v_add_f32_e32 v1, v1, v2
	v_mul_f32_e32 v2, v57, v210
	v_fma_f32 v2, v56, v209, -v2
	v_add_f32_e32 v1, v1, v2
	v_mul_f32_e32 v2, v59, v212
	v_fma_f32 v2, v58, v211, -v2
	v_add_f32_e32 v1, v1, v2
	v_mul_f32_e32 v2, v61, v214
	v_fma_f32 v2, v60, v213, -v2
	v_add_f32_e32 v1, v1, v2
	v_mul_f32_e32 v2, v63, v216
	v_fma_f32 v2, v62, v215, -v2
	v_add_f32_e32 v1, v1, v2
	v_mul_f32_e32 v2, v65, v218
	v_fma_f32 v2, v64, v217, -v2
	v_add_f32_e32 v1, v1, v2
	v_mul_f32_e32 v2, v67, v220
	v_fma_f32 v2, v66, v219, -v2
	s_waitcnt vmcnt(15)
	v_mov_b32_e32 v16, v77
	s_waitcnt lgkmcnt(1)
	v_mul_f32_e32 v81, v68, v222
	v_add_f32_e32 v78, v1, v2
	v_mul_f32_e32 v1, v69, v222
	s_waitcnt lgkmcnt(0)
	v_pk_mul_f32 v[16:17], v[72:73], v[16:17] op_sel_hi:[1,0]
	v_fmac_f32_e32 v81, v69, v221
	v_mul_f32_e32 v83, v70, v224
	v_fma_f32 v80, v68, v221, -v1
	v_mul_f32_e32 v1, v71, v224
	s_waitcnt vmcnt(14)
	v_pk_fma_f32 v[18:19], v[72:73], v[76:77], v[16:17] op_sel:[0,0,1] op_sel_hi:[1,1,0] neg_lo:[0,0,1] neg_hi:[0,0,1]
	v_pk_fma_f32 v[16:17], v[72:73], v[76:77], v[16:17] op_sel:[0,0,1] op_sel_hi:[1,0,0]
	v_fmac_f32_e32 v83, v71, v223
	v_fma_f32 v82, v70, v223, -v1
	v_pk_add_f32 v[14:15], v[78:79], v[80:81]
	s_waitcnt vmcnt(7)
	v_mov_b32_e32 v16, v91
	ds_read2_b64 v[2:5], v204 offset0:105 offset1:106
	ds_read2_b64 v[6:9], v204 offset0:107 offset1:108
	;; [unrolled: 1-line block ×3, first 2 shown]
	v_pk_add_f32 v[14:15], v[14:15], v[82:83]
	v_mov_b32_e32 v19, v17
	v_pk_mul_f32 v[16:17], v[74:75], v[16:17] op_sel_hi:[1,0]
	v_pk_add_f32 v[14:15], v[14:15], v[18:19]
	s_waitcnt vmcnt(6)
	v_pk_fma_f32 v[18:19], v[74:75], v[90:91], v[16:17] op_sel:[0,0,1] op_sel_hi:[1,1,0] neg_lo:[0,0,1] neg_hi:[0,0,1]
	v_pk_fma_f32 v[16:17], v[74:75], v[90:91], v[16:17] op_sel:[0,0,1] op_sel_hi:[1,0,0]
	v_mov_b32_e32 v16, v89
	v_mov_b32_e32 v19, v17
	s_waitcnt lgkmcnt(2)
	v_pk_mul_f32 v[16:17], v[2:3], v[16:17] op_sel_hi:[1,0]
	v_pk_add_f32 v[14:15], v[14:15], v[18:19]
	v_pk_fma_f32 v[18:19], v[2:3], v[88:89], v[16:17] op_sel:[0,0,1] op_sel_hi:[1,1,0] neg_lo:[0,0,1] neg_hi:[0,0,1]
	v_pk_fma_f32 v[2:3], v[2:3], v[88:89], v[16:17] op_sel:[0,0,1] op_sel_hi:[1,0,0]
	v_mov_b32_e32 v19, v3
	v_pk_add_f32 v[2:3], v[14:15], v[18:19]
	v_mov_b32_e32 v14, v87
	v_pk_mul_f32 v[14:15], v[4:5], v[14:15] op_sel_hi:[1,0]
	v_pk_fma_f32 v[16:17], v[4:5], v[86:87], v[14:15] op_sel:[0,0,1] op_sel_hi:[1,1,0] neg_lo:[0,0,1] neg_hi:[0,0,1]
	v_pk_fma_f32 v[4:5], v[4:5], v[86:87], v[14:15] op_sel:[0,0,1] op_sel_hi:[1,0,0]
	v_mov_b32_e32 v4, v85
	v_mov_b32_e32 v17, v5
	s_waitcnt lgkmcnt(1)
	v_pk_mul_f32 v[4:5], v[6:7], v[4:5] op_sel_hi:[1,0]
	v_pk_fma_f32 v[14:15], v[6:7], v[84:85], v[4:5] op_sel:[0,0,1] op_sel_hi:[1,1,0] neg_lo:[0,0,1] neg_hi:[0,0,1]
	v_pk_fma_f32 v[4:5], v[6:7], v[84:85], v[4:5] op_sel:[0,0,1] op_sel_hi:[1,0,0]
	s_waitcnt vmcnt(1)
	v_mov_b32_e32 v4, v97
	v_mov_b32_e32 v15, v5
	v_pk_mul_f32 v[4:5], v[8:9], v[4:5] op_sel_hi:[1,0]
	s_waitcnt vmcnt(0)
	v_pk_fma_f32 v[6:7], v[8:9], v[96:97], v[4:5] op_sel:[0,0,1] op_sel_hi:[1,1,0] neg_lo:[0,0,1] neg_hi:[0,0,1]
	v_pk_fma_f32 v[4:5], v[8:9], v[96:97], v[4:5] op_sel:[0,0,1] op_sel_hi:[1,0,0]
	v_pk_add_f32 v[2:3], v[2:3], v[16:17]
	v_mov_b32_e32 v4, v95
	v_pk_add_f32 v[2:3], v[2:3], v[14:15]
	v_mov_b32_e32 v7, v5
	s_waitcnt lgkmcnt(0)
	v_pk_mul_f32 v[4:5], v[10:11], v[4:5] op_sel_hi:[1,0]
	v_pk_add_f32 v[2:3], v[2:3], v[6:7]
	v_pk_fma_f32 v[6:7], v[10:11], v[94:95], v[4:5] op_sel:[0,0,1] op_sel_hi:[1,1,0] neg_lo:[0,0,1] neg_hi:[0,0,1]
	v_pk_fma_f32 v[4:5], v[10:11], v[94:95], v[4:5] op_sel:[0,0,1] op_sel_hi:[1,0,0]
	v_mov_b32_e32 v4, v93
	v_mov_b32_e32 v7, v5
	v_pk_mul_f32 v[4:5], v[12:13], v[4:5] op_sel_hi:[1,0]
	v_pk_add_f32 v[2:3], v[2:3], v[6:7]
	v_pk_fma_f32 v[6:7], v[12:13], v[92:93], v[4:5] op_sel:[0,0,1] op_sel_hi:[1,1,0] neg_lo:[0,0,1] neg_hi:[0,0,1]
	v_pk_fma_f32 v[4:5], v[12:13], v[92:93], v[4:5] op_sel:[0,0,1] op_sel_hi:[1,0,0]
	v_mov_b32_e32 v7, v5
	v_pk_add_f32 v[2:3], v[2:3], v[6:7]
	v_pk_add_f32 v[2:3], v[26:27], v[2:3] neg_lo:[0,1] neg_hi:[0,1]
	buffer_store_dword v3, off, s[0:3], 0 offset:100
	buffer_store_dword v2, off, s[0:3], 0 offset:96
	s_and_saveexec_b64 s[4:5], vcc
	s_cbranch_execz .LBB118_321
; %bb.320:
	buffer_load_dword v2, off, s[0:3], 0 offset:88
	buffer_load_dword v3, off, s[0:3], 0 offset:92
	v_mov_b32_e32 v1, 0
	buffer_store_dword v1, off, s[0:3], 0 offset:88
	buffer_store_dword v1, off, s[0:3], 0 offset:92
	s_waitcnt vmcnt(2)
	ds_write_b64 v153, v[2:3]
.LBB118_321:
	s_or_b64 exec, exec, s[4:5]
	s_waitcnt lgkmcnt(0)
	; wave barrier
	s_waitcnt lgkmcnt(0)
	buffer_load_dword v1, off, s[0:3], 0 offset:100
	buffer_load_dword v29, off, s[0:3], 0 offset:108
	;; [unrolled: 1-line block ×56, first 2 shown]
	v_mov_b32_e32 v28, 0
	ds_read_b128 v[4:7], v28 offset:544
	ds_read_b128 v[8:11], v28 offset:560
	;; [unrolled: 1-line block ×6, first 2 shown]
	buffer_load_dword v211, off, s[0:3], 0 offset:312
	buffer_load_dword v212, off, s[0:3], 0 offset:316
	;; [unrolled: 1-line block ×16, first 2 shown]
	v_cmp_lt_u32_e32 vcc, 10, v0
	s_waitcnt vmcnt(62) lgkmcnt(5)
	v_mul_f32_e32 v30, v4, v1
	v_mul_f32_e32 v31, v6, v29
	s_waitcnt lgkmcnt(4)
	v_mul_f32_e32 v33, v10, v78
	s_waitcnt lgkmcnt(3)
	v_mul_f32_e32 v34, v12, v80
	v_mul_f32_e32 v35, v14, v82
	v_mul_f32_e32 v32, v8, v100
	s_waitcnt lgkmcnt(2)
	v_mul_f32_e32 v36, v16, v101
	v_mul_f32_e32 v37, v18, v102
	s_waitcnt lgkmcnt(1)
	v_mul_f32_e32 v38, v20, v103
	v_fmac_f32_e32 v32, v9, v104
	s_waitcnt vmcnt(61)
	v_fmac_f32_e32 v31, v7, v105
	s_waitcnt vmcnt(60)
	v_fmac_f32_e32 v30, v5, v106
	v_add_f32_e32 v30, 0, v30
	v_add_f32_e32 v30, v30, v31
	;; [unrolled: 1-line block ×3, first 2 shown]
	s_waitcnt vmcnt(56)
	v_fmac_f32_e32 v33, v11, v110
	v_fmac_f32_e32 v34, v13, v109
	v_add_f32_e32 v30, v30, v33
	v_fmac_f32_e32 v35, v15, v108
	v_add_f32_e32 v30, v30, v34
	;; [unrolled: 2-line block ×3, first 2 shown]
	s_waitcnt vmcnt(52)
	v_fmac_f32_e32 v37, v19, v114
	v_add_f32_e32 v30, v30, v36
	v_add_f32_e32 v30, v30, v37
	v_fmac_f32_e32 v38, v21, v113
	s_waitcnt vmcnt(51)
	v_mul_f32_e32 v31, v22, v115
	v_add_f32_e32 v30, v30, v38
	v_fmac_f32_e32 v31, v23, v112
	v_add_f32_e32 v30, v30, v31
	s_waitcnt vmcnt(50) lgkmcnt(0)
	v_mul_f32_e32 v31, v24, v116
	v_fmac_f32_e32 v31, v25, v111
	v_add_f32_e32 v34, v30, v31
	ds_read_b128 v[30:33], v28 offset:640
	s_waitcnt vmcnt(46)
	v_mul_f32_e32 v35, v26, v118
	v_fmac_f32_e32 v35, v27, v117
	v_add_f32_e32 v38, v34, v35
	ds_read_b128 v[34:37], v28 offset:656
	s_waitcnt vmcnt(44) lgkmcnt(1)
	v_mul_f32_e32 v39, v30, v120
	v_fmac_f32_e32 v39, v31, v119
	v_add_f32_e32 v38, v38, v39
	s_waitcnt vmcnt(42)
	v_mul_f32_e32 v39, v32, v122
	v_fmac_f32_e32 v39, v33, v121
	v_add_f32_e32 v38, v38, v39
	s_waitcnt vmcnt(40) lgkmcnt(0)
	v_mul_f32_e32 v39, v34, v124
	v_fmac_f32_e32 v39, v35, v123
	v_add_f32_e32 v42, v38, v39
	ds_read_b128 v[38:41], v28 offset:672
	s_waitcnt vmcnt(38)
	v_mul_f32_e32 v43, v36, v126
	v_fmac_f32_e32 v43, v37, v125
	v_add_f32_e32 v46, v42, v43
	ds_read_b128 v[42:45], v28 offset:688
	s_waitcnt vmcnt(36) lgkmcnt(1)
	v_mul_f32_e32 v47, v38, v128
	v_fmac_f32_e32 v47, v39, v127
	v_add_f32_e32 v46, v46, v47
	s_waitcnt vmcnt(34)
	v_mul_f32_e32 v47, v40, v130
	;; [unrolled: 18-line block ×5, first 2 shown]
	v_fmac_f32_e32 v71, v65, v215
	v_add_f32_e32 v70, v70, v71
	s_waitcnt vmcnt(8) lgkmcnt(0)
	v_mul_f32_e32 v71, v66, v218
	v_fmac_f32_e32 v71, v67, v217
	s_waitcnt vmcnt(6)
	v_mul_f32_e32 v75, v68, v220
	v_add_f32_e32 v74, v70, v71
	v_fmac_f32_e32 v75, v69, v219
	ds_read_b128 v[70:73], v28 offset:800
	v_add_f32_e32 v79, v74, v75
	ds_read_b128 v[74:77], v28 offset:816
	buffer_load_dword v85, off, s[0:3], 0 offset:404
	buffer_load_dword v84, off, s[0:3], 0 offset:400
	;; [unrolled: 1-line block ×16, first 2 shown]
	v_mul_f32_e32 v1, v5, v1
	v_fma_f32 v1, v4, v106, -v1
	v_mul_f32_e32 v4, v7, v29
	v_add_f32_e32 v1, 0, v1
	v_fma_f32 v4, v6, v105, -v4
	v_add_f32_e32 v1, v1, v4
	v_mul_f32_e32 v4, v9, v100
	v_fma_f32 v4, v8, v104, -v4
	v_add_f32_e32 v1, v1, v4
	v_mul_f32_e32 v4, v11, v78
	;; [unrolled: 3-line block ×30, first 2 shown]
	v_fma_f32 v4, v68, v219, -v4
	s_waitcnt vmcnt(20) lgkmcnt(1)
	v_mul_f32_e32 v81, v70, v222
	v_add_f32_e32 v1, v1, v4
	v_mul_f32_e32 v4, v71, v222
	v_fmac_f32_e32 v81, v71, v221
	v_fma_f32 v4, v70, v221, -v4
	s_waitcnt vmcnt(9)
	v_mov_b32_e32 v20, v91
	v_add_f32_e32 v79, v79, v81
	v_mul_f32_e32 v81, v72, v224
	v_add_f32_e32 v78, v1, v4
	v_mul_f32_e32 v1, v73, v224
	s_waitcnt lgkmcnt(0)
	v_pk_mul_f32 v[20:21], v[76:77], v[20:21] op_sel_hi:[1,0]
	v_fmac_f32_e32 v81, v73, v223
	v_mul_f32_e32 v83, v74, v226
	v_fma_f32 v80, v72, v223, -v1
	v_mul_f32_e32 v1, v75, v226
	ds_read_b128 v[4:7], v28 offset:832
	ds_read_b128 v[8:11], v28 offset:848
	;; [unrolled: 1-line block ×3, first 2 shown]
	ds_read_b64 v[16:17], v28 offset:880
	s_waitcnt vmcnt(8)
	v_pk_fma_f32 v[22:23], v[76:77], v[90:91], v[20:21] op_sel:[0,0,1] op_sel_hi:[1,1,0] neg_lo:[0,0,1] neg_hi:[0,0,1]
	v_pk_fma_f32 v[20:21], v[76:77], v[90:91], v[20:21] op_sel:[0,0,1] op_sel_hi:[1,0,0]
	v_fmac_f32_e32 v83, v75, v225
	v_fma_f32 v82, v74, v225, -v1
	v_pk_add_f32 v[18:19], v[78:79], v[80:81]
	v_mov_b32_e32 v20, v89
	v_pk_add_f32 v[18:19], v[18:19], v[82:83]
	v_mov_b32_e32 v23, v21
	s_waitcnt lgkmcnt(3)
	v_pk_mul_f32 v[20:21], v[4:5], v[20:21] op_sel_hi:[1,0]
	v_pk_add_f32 v[18:19], v[18:19], v[22:23]
	v_pk_fma_f32 v[22:23], v[4:5], v[88:89], v[20:21] op_sel:[0,0,1] op_sel_hi:[1,1,0] neg_lo:[0,0,1] neg_hi:[0,0,1]
	v_pk_fma_f32 v[4:5], v[4:5], v[88:89], v[20:21] op_sel:[0,0,1] op_sel_hi:[1,0,0]
	v_mov_b32_e32 v23, v5
	v_pk_add_f32 v[4:5], v[18:19], v[22:23]
	v_mov_b32_e32 v18, v87
	v_pk_mul_f32 v[18:19], v[6:7], v[18:19] op_sel_hi:[1,0]
	v_pk_fma_f32 v[20:21], v[6:7], v[86:87], v[18:19] op_sel:[0,0,1] op_sel_hi:[1,1,0] neg_lo:[0,0,1] neg_hi:[0,0,1]
	v_pk_fma_f32 v[6:7], v[6:7], v[86:87], v[18:19] op_sel:[0,0,1] op_sel_hi:[1,0,0]
	v_mov_b32_e32 v6, v85
	v_mov_b32_e32 v21, v7
	s_waitcnt lgkmcnt(2)
	v_pk_mul_f32 v[6:7], v[8:9], v[6:7] op_sel_hi:[1,0]
	v_pk_fma_f32 v[18:19], v[8:9], v[84:85], v[6:7] op_sel:[0,0,1] op_sel_hi:[1,1,0] neg_lo:[0,0,1] neg_hi:[0,0,1]
	v_pk_fma_f32 v[6:7], v[8:9], v[84:85], v[6:7] op_sel:[0,0,1] op_sel_hi:[1,0,0]
	s_waitcnt vmcnt(1)
	v_mov_b32_e32 v6, v99
	v_mov_b32_e32 v19, v7
	v_pk_mul_f32 v[6:7], v[10:11], v[6:7] op_sel_hi:[1,0]
	s_waitcnt vmcnt(0)
	v_pk_fma_f32 v[8:9], v[10:11], v[98:99], v[6:7] op_sel:[0,0,1] op_sel_hi:[1,1,0] neg_lo:[0,0,1] neg_hi:[0,0,1]
	v_pk_fma_f32 v[6:7], v[10:11], v[98:99], v[6:7] op_sel:[0,0,1] op_sel_hi:[1,0,0]
	v_pk_add_f32 v[4:5], v[4:5], v[20:21]
	v_mov_b32_e32 v6, v97
	v_pk_add_f32 v[4:5], v[4:5], v[18:19]
	v_mov_b32_e32 v9, v7
	s_waitcnt lgkmcnt(1)
	v_pk_mul_f32 v[6:7], v[12:13], v[6:7] op_sel_hi:[1,0]
	v_pk_add_f32 v[4:5], v[4:5], v[8:9]
	v_pk_fma_f32 v[8:9], v[12:13], v[96:97], v[6:7] op_sel:[0,0,1] op_sel_hi:[1,1,0] neg_lo:[0,0,1] neg_hi:[0,0,1]
	v_pk_fma_f32 v[6:7], v[12:13], v[96:97], v[6:7] op_sel:[0,0,1] op_sel_hi:[1,0,0]
	v_mov_b32_e32 v6, v95
	v_mov_b32_e32 v9, v7
	v_pk_mul_f32 v[6:7], v[14:15], v[6:7] op_sel_hi:[1,0]
	v_pk_add_f32 v[4:5], v[4:5], v[8:9]
	v_pk_fma_f32 v[8:9], v[14:15], v[94:95], v[6:7] op_sel:[0,0,1] op_sel_hi:[1,1,0] neg_lo:[0,0,1] neg_hi:[0,0,1]
	v_pk_fma_f32 v[6:7], v[14:15], v[94:95], v[6:7] op_sel:[0,0,1] op_sel_hi:[1,0,0]
	v_mov_b32_e32 v6, v93
	v_mov_b32_e32 v9, v7
	s_waitcnt lgkmcnt(0)
	v_pk_mul_f32 v[6:7], v[16:17], v[6:7] op_sel_hi:[1,0]
	v_pk_add_f32 v[4:5], v[4:5], v[8:9]
	v_pk_fma_f32 v[8:9], v[16:17], v[92:93], v[6:7] op_sel:[0,0,1] op_sel_hi:[1,1,0] neg_lo:[0,0,1] neg_hi:[0,0,1]
	v_pk_fma_f32 v[6:7], v[16:17], v[92:93], v[6:7] op_sel:[0,0,1] op_sel_hi:[1,0,0]
	v_mov_b32_e32 v9, v7
	v_pk_add_f32 v[4:5], v[4:5], v[8:9]
	v_pk_add_f32 v[2:3], v[2:3], v[4:5] neg_lo:[0,1] neg_hi:[0,1]
	buffer_store_dword v3, off, s[0:3], 0 offset:92
	buffer_store_dword v2, off, s[0:3], 0 offset:88
	s_and_saveexec_b64 s[4:5], vcc
	s_cbranch_execz .LBB118_323
; %bb.322:
	buffer_load_dword v2, off, s[0:3], 0 offset:80
	buffer_load_dword v3, off, s[0:3], 0 offset:84
	s_waitcnt vmcnt(0)
	ds_write_b64 v153, v[2:3]
	buffer_store_dword v28, off, s[0:3], 0 offset:80
	buffer_store_dword v28, off, s[0:3], 0 offset:84
.LBB118_323:
	s_or_b64 exec, exec, s[4:5]
	s_waitcnt lgkmcnt(0)
	; wave barrier
	s_waitcnt lgkmcnt(0)
	buffer_load_dword v1, off, s[0:3], 0 offset:92
	buffer_load_dword v29, off, s[0:3], 0 offset:100
	;; [unrolled: 1-line block ×26, first 2 shown]
	ds_read2_b64 v[22:25], v28 offset0:67 offset1:68
	ds_read2_b64 v[18:21], v28 offset0:69 offset1:70
	;; [unrolled: 1-line block ×6, first 2 shown]
	buffer_load_dword v119, off, s[0:3], 0 offset:184
	buffer_load_dword v120, off, s[0:3], 0 offset:188
	;; [unrolled: 1-line block ×42, first 2 shown]
	v_cmp_lt_u32_e32 vcc, 9, v0
	s_waitcnt vmcnt(62) lgkmcnt(5)
	v_mul_f32_e32 v30, v22, v1
	v_mul_f32_e32 v31, v24, v29
	s_waitcnt lgkmcnt(4)
	v_mul_f32_e32 v33, v20, v78
	s_waitcnt lgkmcnt(3)
	v_mul_f32_e32 v34, v14, v80
	v_mul_f32_e32 v35, v16, v88
	;; [unrolled: 1-line block ×3, first 2 shown]
	s_waitcnt vmcnt(61) lgkmcnt(2)
	v_mul_f32_e32 v36, v10, v101
	s_waitcnt vmcnt(60)
	v_mul_f32_e32 v37, v12, v102
	s_waitcnt vmcnt(59) lgkmcnt(1)
	v_mul_f32_e32 v38, v6, v103
	s_waitcnt vmcnt(58)
	v_fmac_f32_e32 v32, v19, v104
	s_waitcnt vmcnt(57)
	v_fmac_f32_e32 v31, v25, v105
	;; [unrolled: 2-line block ×3, first 2 shown]
	v_add_f32_e32 v30, 0, v30
	v_add_f32_e32 v30, v30, v31
	;; [unrolled: 1-line block ×3, first 2 shown]
	s_waitcnt vmcnt(52)
	v_fmac_f32_e32 v33, v21, v110
	v_fmac_f32_e32 v34, v15, v109
	v_add_f32_e32 v30, v30, v33
	v_fmac_f32_e32 v35, v17, v108
	v_add_f32_e32 v30, v30, v34
	;; [unrolled: 2-line block ×3, first 2 shown]
	s_waitcnt vmcnt(48)
	v_fmac_f32_e32 v37, v13, v114
	v_add_f32_e32 v30, v30, v36
	v_fmac_f32_e32 v38, v7, v113
	v_add_f32_e32 v30, v30, v37
	s_waitcnt vmcnt(47)
	v_mul_f32_e32 v31, v8, v115
	v_add_f32_e32 v30, v30, v38
	v_fmac_f32_e32 v31, v9, v112
	v_add_f32_e32 v30, v30, v31
	s_waitcnt vmcnt(46) lgkmcnt(0)
	v_mul_f32_e32 v31, v2, v116
	v_fmac_f32_e32 v31, v3, v111
	v_add_f32_e32 v34, v30, v31
	ds_read2_b64 v[30:33], v28 offset0:79 offset1:80
	s_waitcnt vmcnt(42)
	v_mul_f32_e32 v35, v4, v118
	v_fmac_f32_e32 v35, v5, v117
	buffer_load_dword v223, off, s[0:3], 0 offset:352
	buffer_load_dword v224, off, s[0:3], 0 offset:356
	v_add_f32_e32 v38, v34, v35
	buffer_load_dword v225, off, s[0:3], 0 offset:360
	buffer_load_dword v226, off, s[0:3], 0 offset:364
	ds_read2_b64 v[34:37], v28 offset0:81 offset1:82
	s_waitcnt vmcnt(44) lgkmcnt(1)
	v_mul_f32_e32 v39, v30, v120
	v_fmac_f32_e32 v39, v31, v119
	v_add_f32_e32 v38, v38, v39
	s_waitcnt vmcnt(42)
	v_mul_f32_e32 v39, v32, v122
	v_fmac_f32_e32 v39, v33, v121
	v_add_f32_e32 v38, v38, v39
	s_waitcnt vmcnt(40) lgkmcnt(0)
	v_mul_f32_e32 v39, v34, v124
	v_fmac_f32_e32 v39, v35, v123
	buffer_load_dword v227, off, s[0:3], 0 offset:368
	buffer_load_dword v228, off, s[0:3], 0 offset:372
	v_add_f32_e32 v42, v38, v39
	ds_read2_b64 v[38:41], v28 offset0:83 offset1:84
	s_waitcnt vmcnt(40)
	v_mul_f32_e32 v43, v36, v126
	v_fmac_f32_e32 v43, v37, v125
	v_add_f32_e32 v46, v42, v43
	ds_read2_b64 v[42:45], v28 offset0:85 offset1:86
	s_waitcnt vmcnt(38) lgkmcnt(1)
	v_mul_f32_e32 v47, v38, v128
	v_fmac_f32_e32 v47, v39, v127
	v_add_f32_e32 v46, v46, v47
	s_waitcnt vmcnt(36)
	v_mul_f32_e32 v47, v40, v130
	v_fmac_f32_e32 v47, v41, v129
	v_add_f32_e32 v46, v46, v47
	s_waitcnt vmcnt(34) lgkmcnt(0)
	v_mul_f32_e32 v47, v42, v132
	v_fmac_f32_e32 v47, v43, v131
	v_add_f32_e32 v50, v46, v47
	ds_read2_b64 v[46:49], v28 offset0:87 offset1:88
	s_waitcnt vmcnt(32)
	v_mul_f32_e32 v51, v44, v134
	v_fmac_f32_e32 v51, v45, v133
	v_add_f32_e32 v54, v50, v51
	ds_read2_b64 v[50:53], v28 offset0:89 offset1:90
	s_waitcnt vmcnt(30) lgkmcnt(1)
	v_mul_f32_e32 v55, v46, v136
	v_fmac_f32_e32 v55, v47, v135
	v_add_f32_e32 v54, v54, v55
	s_waitcnt vmcnt(28)
	v_mul_f32_e32 v55, v48, v138
	v_fmac_f32_e32 v55, v49, v137
	v_add_f32_e32 v54, v54, v55
	s_waitcnt vmcnt(26) lgkmcnt(0)
	v_mul_f32_e32 v55, v50, v140
	v_fmac_f32_e32 v55, v51, v139
	;; [unrolled: 18-line block ×4, first 2 shown]
	s_waitcnt vmcnt(8)
	v_mul_f32_e32 v75, v68, v220
	v_add_f32_e32 v74, v70, v71
	v_fmac_f32_e32 v75, v69, v219
	ds_read2_b64 v[70:73], v28 offset0:99 offset1:100
	v_add_f32_e32 v79, v74, v75
	ds_read2_b64 v[74:77], v28 offset0:101 offset1:102
	buffer_load_dword v83, off, s[0:3], 0 offset:396
	buffer_load_dword v82, off, s[0:3], 0 offset:392
	;; [unrolled: 1-line block ×16, first 2 shown]
	v_mul_f32_e32 v1, v23, v1
	v_fma_f32 v1, v22, v106, -v1
	v_mul_f32_e32 v22, v25, v29
	v_add_f32_e32 v1, 0, v1
	v_fma_f32 v22, v24, v105, -v22
	v_mul_f32_e32 v19, v19, v100
	v_add_f32_e32 v1, v1, v22
	v_fma_f32 v18, v18, v104, -v19
	v_add_f32_e32 v1, v1, v18
	v_mul_f32_e32 v18, v21, v78
	v_fma_f32 v18, v20, v110, -v18
	v_mul_f32_e32 v15, v15, v80
	v_add_f32_e32 v1, v1, v18
	v_fma_f32 v14, v14, v109, -v15
	v_add_f32_e32 v1, v1, v14
	v_mul_f32_e32 v14, v17, v88
	;; [unrolled: 6-line block ×5, first 2 shown]
	v_fma_f32 v2, v4, v117, -v2
	v_add_f32_e32 v1, v1, v2
	v_mul_f32_e32 v2, v31, v120
	v_fma_f32 v2, v30, v119, -v2
	v_add_f32_e32 v1, v1, v2
	v_mul_f32_e32 v2, v33, v122
	;; [unrolled: 3-line block ×20, first 2 shown]
	v_fma_f32 v2, v68, v219, -v2
	v_add_f32_e32 v1, v1, v2
	s_waitcnt vmcnt(22) lgkmcnt(1)
	v_mul_f32_e32 v2, v71, v222
	v_mul_f32_e32 v81, v70, v222
	v_fma_f32 v2, v70, v221, -v2
	v_fmac_f32_e32 v81, v71, v221
	v_add_f32_e32 v1, v1, v2
	s_waitcnt vmcnt(20)
	v_mul_f32_e32 v2, v73, v224
	v_add_f32_e32 v79, v79, v81
	v_mul_f32_e32 v81, v72, v224
	v_fma_f32 v2, v72, v223, -v2
	v_fmac_f32_e32 v81, v73, v223
	v_add_f32_e32 v78, v1, v2
	ds_read2_b64 v[2:5], v28 offset0:103 offset1:104
	ds_read2_b64 v[6:9], v28 offset0:105 offset1:106
	;; [unrolled: 1-line block ×4, first 2 shown]
	v_add_f32_e32 v79, v79, v81
	s_waitcnt vmcnt(18) lgkmcnt(4)
	v_mul_f32_e32 v81, v74, v226
	v_mul_f32_e32 v1, v75, v226
	s_waitcnt vmcnt(11)
	v_mov_b32_e32 v20, v87
	v_fmac_f32_e32 v81, v75, v225
	v_mul_f32_e32 v89, v76, v228
	v_fma_f32 v80, v74, v225, -v1
	v_mul_f32_e32 v1, v77, v228
	s_waitcnt lgkmcnt(3)
	v_pk_mul_f32 v[20:21], v[2:3], v[20:21] op_sel_hi:[1,0]
	v_fmac_f32_e32 v89, v77, v227
	v_fma_f32 v88, v76, v227, -v1
	v_pk_add_f32 v[18:19], v[78:79], v[80:81]
	s_waitcnt vmcnt(10)
	v_pk_fma_f32 v[22:23], v[2:3], v[86:87], v[20:21] op_sel:[0,0,1] op_sel_hi:[1,1,0] neg_lo:[0,0,1] neg_hi:[0,0,1]
	v_pk_fma_f32 v[2:3], v[2:3], v[86:87], v[20:21] op_sel:[0,0,1] op_sel_hi:[1,0,0]
	v_pk_add_f32 v[18:19], v[18:19], v[88:89]
	v_mov_b32_e32 v23, v3
	v_pk_add_f32 v[2:3], v[18:19], v[22:23]
	v_mov_b32_e32 v18, v85
	v_pk_mul_f32 v[18:19], v[4:5], v[18:19] op_sel_hi:[1,0]
	v_pk_fma_f32 v[20:21], v[4:5], v[84:85], v[18:19] op_sel:[0,0,1] op_sel_hi:[1,1,0] neg_lo:[0,0,1] neg_hi:[0,0,1]
	v_pk_fma_f32 v[4:5], v[4:5], v[84:85], v[18:19] op_sel:[0,0,1] op_sel_hi:[1,0,0]
	v_mov_b32_e32 v4, v83
	v_mov_b32_e32 v21, v5
	s_waitcnt lgkmcnt(2)
	v_pk_mul_f32 v[4:5], v[6:7], v[4:5] op_sel_hi:[1,0]
	v_pk_fma_f32 v[18:19], v[6:7], v[82:83], v[4:5] op_sel:[0,0,1] op_sel_hi:[1,1,0] neg_lo:[0,0,1] neg_hi:[0,0,1]
	v_pk_fma_f32 v[4:5], v[6:7], v[82:83], v[4:5] op_sel:[0,0,1] op_sel_hi:[1,0,0]
	s_waitcnt vmcnt(3)
	v_mov_b32_e32 v4, v97
	v_mov_b32_e32 v19, v5
	v_pk_mul_f32 v[4:5], v[8:9], v[4:5] op_sel_hi:[1,0]
	s_waitcnt vmcnt(2)
	v_pk_fma_f32 v[6:7], v[8:9], v[96:97], v[4:5] op_sel:[0,0,1] op_sel_hi:[1,1,0] neg_lo:[0,0,1] neg_hi:[0,0,1]
	v_pk_fma_f32 v[4:5], v[8:9], v[96:97], v[4:5] op_sel:[0,0,1] op_sel_hi:[1,0,0]
	v_pk_add_f32 v[2:3], v[2:3], v[20:21]
	v_mov_b32_e32 v4, v95
	v_pk_add_f32 v[2:3], v[2:3], v[18:19]
	v_mov_b32_e32 v7, v5
	s_waitcnt lgkmcnt(1)
	v_pk_mul_f32 v[4:5], v[10:11], v[4:5] op_sel_hi:[1,0]
	v_pk_add_f32 v[2:3], v[2:3], v[6:7]
	v_pk_fma_f32 v[6:7], v[10:11], v[94:95], v[4:5] op_sel:[0,0,1] op_sel_hi:[1,1,0] neg_lo:[0,0,1] neg_hi:[0,0,1]
	v_pk_fma_f32 v[4:5], v[10:11], v[94:95], v[4:5] op_sel:[0,0,1] op_sel_hi:[1,0,0]
	v_mov_b32_e32 v4, v93
	v_mov_b32_e32 v7, v5
	v_pk_mul_f32 v[4:5], v[12:13], v[4:5] op_sel_hi:[1,0]
	v_pk_add_f32 v[2:3], v[2:3], v[6:7]
	v_pk_fma_f32 v[6:7], v[12:13], v[92:93], v[4:5] op_sel:[0,0,1] op_sel_hi:[1,1,0] neg_lo:[0,0,1] neg_hi:[0,0,1]
	v_pk_fma_f32 v[4:5], v[12:13], v[92:93], v[4:5] op_sel:[0,0,1] op_sel_hi:[1,0,0]
	v_mov_b32_e32 v4, v91
	v_mov_b32_e32 v7, v5
	s_waitcnt lgkmcnt(0)
	v_pk_mul_f32 v[4:5], v[14:15], v[4:5] op_sel_hi:[1,0]
	v_pk_add_f32 v[2:3], v[2:3], v[6:7]
	v_pk_fma_f32 v[6:7], v[14:15], v[90:91], v[4:5] op_sel:[0,0,1] op_sel_hi:[1,1,0] neg_lo:[0,0,1] neg_hi:[0,0,1]
	v_pk_fma_f32 v[4:5], v[14:15], v[90:91], v[4:5] op_sel:[0,0,1] op_sel_hi:[1,0,0]
	s_waitcnt vmcnt(1)
	v_mov_b32_e32 v4, v99
	v_mov_b32_e32 v7, v5
	v_pk_mul_f32 v[4:5], v[16:17], v[4:5] op_sel_hi:[1,0]
	v_pk_add_f32 v[2:3], v[2:3], v[6:7]
	s_waitcnt vmcnt(0)
	v_pk_fma_f32 v[6:7], v[16:17], v[98:99], v[4:5] op_sel:[0,0,1] op_sel_hi:[1,1,0] neg_lo:[0,0,1] neg_hi:[0,0,1]
	v_pk_fma_f32 v[4:5], v[16:17], v[98:99], v[4:5] op_sel:[0,0,1] op_sel_hi:[1,0,0]
	v_mov_b32_e32 v7, v5
	v_pk_add_f32 v[2:3], v[2:3], v[6:7]
	v_pk_add_f32 v[2:3], v[26:27], v[2:3] neg_lo:[0,1] neg_hi:[0,1]
	buffer_store_dword v3, off, s[0:3], 0 offset:84
	buffer_store_dword v2, off, s[0:3], 0 offset:80
	s_and_saveexec_b64 s[4:5], vcc
	s_cbranch_execz .LBB118_325
; %bb.324:
	buffer_load_dword v2, off, s[0:3], 0 offset:72
	buffer_load_dword v3, off, s[0:3], 0 offset:76
	v_mov_b32_e32 v1, 0
	buffer_store_dword v1, off, s[0:3], 0 offset:72
	buffer_store_dword v1, off, s[0:3], 0 offset:76
	s_waitcnt vmcnt(2)
	ds_write_b64 v153, v[2:3]
.LBB118_325:
	s_or_b64 exec, exec, s[4:5]
	v_mov_b32_e32 v212, 0
	s_waitcnt lgkmcnt(0)
	; wave barrier
	s_waitcnt lgkmcnt(0)
	ds_read_b128 v[14:17], v212 offset:528
	ds_read_b128 v[10:13], v212 offset:544
	;; [unrolled: 1-line block ×4, first 2 shown]
	buffer_load_dword v78, off, s[0:3], 0 offset:72
	buffer_load_dword v79, off, s[0:3], 0 offset:76
	;; [unrolled: 1-line block ×16, first 2 shown]
	v_cmp_lt_u32_e32 vcc, 8, v0
	s_waitcnt vmcnt(12) lgkmcnt(3)
	v_mul_f32_e32 v1, v14, v213
	v_fmac_f32_e32 v1, v15, v80
	s_waitcnt vmcnt(10)
	v_mul_f32_e32 v18, v16, v215
	v_add_f32_e32 v1, 0, v1
	v_fmac_f32_e32 v18, v17, v82
	v_add_f32_e32 v1, v1, v18
	s_waitcnt vmcnt(8) lgkmcnt(2)
	v_mul_f32_e32 v18, v10, v217
	v_fmac_f32_e32 v18, v11, v86
	v_add_f32_e32 v1, v1, v18
	s_waitcnt vmcnt(6)
	v_mul_f32_e32 v18, v12, v219
	v_fmac_f32_e32 v18, v13, v214
	v_add_f32_e32 v1, v1, v18
	s_waitcnt vmcnt(4) lgkmcnt(1)
	v_mul_f32_e32 v18, v6, v221
	v_fmac_f32_e32 v18, v7, v216
	v_add_f32_e32 v1, v1, v18
	s_waitcnt vmcnt(2)
	v_mul_f32_e32 v18, v8, v222
	v_fmac_f32_e32 v18, v9, v218
	v_add_f32_e32 v1, v1, v18
	s_waitcnt vmcnt(0) lgkmcnt(0)
	v_mul_f32_e32 v18, v2, v223
	v_fmac_f32_e32 v18, v3, v220
	v_add_f32_e32 v18, v1, v18
	buffer_load_dword v1, off, s[0:3], 0 offset:136
	buffer_load_dword v94, off, s[0:3], 0 offset:140
	v_mul_f32_e32 v15, v15, v213
	v_fma_f32 v14, v14, v80, -v15
	v_mul_f32_e32 v15, v17, v215
	v_add_f32_e32 v14, 0, v14
	v_fma_f32 v15, v16, v82, -v15
	v_mul_f32_e32 v11, v11, v217
	v_add_f32_e32 v14, v14, v15
	;; [unrolled: 3-line block ×6, first 2 shown]
	v_fma_f32 v2, v2, v220, -v3
	v_add_f32_e32 v2, v6, v2
	s_waitcnt vmcnt(0)
	v_mul_f32_e32 v19, v4, v94
	v_fmac_f32_e32 v19, v5, v1
	v_add_f32_e32 v22, v18, v19
	ds_read_b128 v[18:21], v212 offset:592
	buffer_load_dword v95, off, s[0:3], 0 offset:144
	buffer_load_dword v96, off, s[0:3], 0 offset:148
	;; [unrolled: 1-line block ×4, first 2 shown]
	v_mul_f32_e32 v3, v5, v94
	v_fma_f32 v1, v4, v1, -v3
	v_add_f32_e32 v1, v2, v1
	s_waitcnt vmcnt(2) lgkmcnt(0)
	v_mul_f32_e32 v23, v18, v96
	v_fmac_f32_e32 v23, v19, v95
	v_add_f32_e32 v22, v22, v23
	s_waitcnt vmcnt(0)
	v_mul_f32_e32 v23, v20, v98
	v_fmac_f32_e32 v23, v21, v97
	v_add_f32_e32 v26, v22, v23
	ds_read_b128 v[22:25], v212 offset:608
	buffer_load_dword v99, off, s[0:3], 0 offset:160
	buffer_load_dword v100, off, s[0:3], 0 offset:164
	buffer_load_dword v101, off, s[0:3], 0 offset:168
	buffer_load_dword v102, off, s[0:3], 0 offset:172
	ds_read_b128 v[30:33], v212 offset:624
	buffer_load_dword v103, off, s[0:3], 0 offset:176
	buffer_load_dword v104, off, s[0:3], 0 offset:180
	buffer_load_dword v105, off, s[0:3], 0 offset:184
	buffer_load_dword v106, off, s[0:3], 0 offset:188
	;; [unrolled: 5-line block ×13, first 2 shown]
	v_mul_f32_e32 v2, v19, v96
	v_fma_f32 v2, v18, v95, -v2
	v_add_f32_e32 v1, v1, v2
	v_mul_f32_e32 v2, v21, v98
	v_fma_f32 v2, v20, v97, -v2
	v_add_f32_e32 v1, v1, v2
	s_waitcnt vmcnt(50) lgkmcnt(12)
	v_mul_f32_e32 v27, v22, v100
	v_fmac_f32_e32 v27, v23, v99
	v_add_f32_e32 v26, v26, v27
	s_waitcnt vmcnt(48)
	v_mul_f32_e32 v27, v24, v102
	v_fmac_f32_e32 v27, v25, v101
	v_add_f32_e32 v26, v26, v27
	s_waitcnt vmcnt(46) lgkmcnt(11)
	v_mul_f32_e32 v27, v30, v104
	v_fmac_f32_e32 v27, v31, v103
	v_add_f32_e32 v26, v26, v27
	s_waitcnt vmcnt(44)
	v_mul_f32_e32 v27, v32, v106
	v_fmac_f32_e32 v27, v33, v105
	;; [unrolled: 8-line block ×12, first 2 shown]
	v_add_f32_e32 v26, v26, v27
	s_waitcnt vmcnt(2) lgkmcnt(0)
	v_mul_f32_e32 v27, v74, v230
	v_fmac_f32_e32 v27, v75, v229
	v_add_f32_e32 v81, v26, v27
	ds_read_b128 v[26:29], v212 offset:816
	buffer_load_dword v233, off, s[0:3], 0 offset:368
	buffer_load_dword v234, off, s[0:3], 0 offset:372
	;; [unrolled: 1-line block ×18, first 2 shown]
	v_mul_f32_e32 v2, v23, v100
	v_fma_f32 v2, v22, v99, -v2
	v_add_f32_e32 v1, v1, v2
	v_mul_f32_e32 v2, v25, v102
	v_fma_f32 v2, v24, v101, -v2
	v_add_f32_e32 v1, v1, v2
	;; [unrolled: 3-line block ×24, first 2 shown]
	v_mul_f32_e32 v2, v75, v230
	v_fma_f32 v2, v74, v229, -v2
	s_waitcnt vmcnt(15)
	v_mov_b32_e32 v18, v85
	v_mul_f32_e32 v83, v76, v232
	v_add_f32_e32 v80, v1, v2
	v_mul_f32_e32 v1, v77, v232
	s_waitcnt lgkmcnt(0)
	v_pk_mul_f32 v[18:19], v[28:29], v[18:19] op_sel_hi:[1,0]
	v_fmac_f32_e32 v83, v77, v231
	v_mul_f32_e32 v87, v26, v234
	v_fma_f32 v82, v76, v231, -v1
	v_mul_f32_e32 v1, v27, v234
	ds_read_b128 v[2:5], v212 offset:832
	ds_read_b128 v[6:9], v212 offset:848
	;; [unrolled: 1-line block ×3, first 2 shown]
	ds_read_b64 v[14:15], v212 offset:880
	s_waitcnt vmcnt(14)
	v_pk_fma_f32 v[20:21], v[28:29], v[84:85], v[18:19] op_sel:[0,0,1] op_sel_hi:[1,1,0] neg_lo:[0,0,1] neg_hi:[0,0,1]
	v_pk_fma_f32 v[18:19], v[28:29], v[84:85], v[18:19] op_sel:[0,0,1] op_sel_hi:[1,0,0]
	v_fmac_f32_e32 v87, v27, v233
	v_fma_f32 v86, v26, v233, -v1
	v_pk_add_f32 v[16:17], v[80:81], v[82:83]
	s_waitcnt vmcnt(13)
	v_mov_b32_e32 v18, v211
	v_pk_add_f32 v[16:17], v[16:17], v[86:87]
	v_mov_b32_e32 v21, v19
	s_waitcnt lgkmcnt(3)
	v_pk_mul_f32 v[18:19], v[2:3], v[18:19] op_sel_hi:[1,0]
	v_pk_add_f32 v[16:17], v[16:17], v[20:21]
	s_waitcnt vmcnt(12)
	v_pk_fma_f32 v[20:21], v[2:3], v[210:211], v[18:19] op_sel:[0,0,1] op_sel_hi:[1,1,0] neg_lo:[0,0,1] neg_hi:[0,0,1]
	v_pk_fma_f32 v[2:3], v[2:3], v[210:211], v[18:19] op_sel:[0,0,1] op_sel_hi:[1,0,0]
	v_mov_b32_e32 v21, v3
	v_pk_add_f32 v[2:3], v[16:17], v[20:21]
	s_waitcnt vmcnt(11)
	v_mov_b32_e32 v16, v209
	v_pk_mul_f32 v[16:17], v[4:5], v[16:17] op_sel_hi:[1,0]
	s_waitcnt vmcnt(10)
	v_pk_fma_f32 v[18:19], v[4:5], v[208:209], v[16:17] op_sel:[0,0,1] op_sel_hi:[1,1,0] neg_lo:[0,0,1] neg_hi:[0,0,1]
	v_pk_fma_f32 v[4:5], v[4:5], v[208:209], v[16:17] op_sel:[0,0,1] op_sel_hi:[1,0,0]
	s_waitcnt vmcnt(9)
	v_mov_b32_e32 v4, v207
	v_mov_b32_e32 v19, v5
	s_waitcnt lgkmcnt(2)
	v_pk_mul_f32 v[4:5], v[6:7], v[4:5] op_sel_hi:[1,0]
	s_waitcnt vmcnt(8)
	v_pk_fma_f32 v[16:17], v[6:7], v[206:207], v[4:5] op_sel:[0,0,1] op_sel_hi:[1,1,0] neg_lo:[0,0,1] neg_hi:[0,0,1]
	v_pk_fma_f32 v[4:5], v[6:7], v[206:207], v[4:5] op_sel:[0,0,1] op_sel_hi:[1,0,0]
	s_waitcnt vmcnt(7)
	v_mov_b32_e32 v4, v205
	v_mov_b32_e32 v17, v5
	v_pk_mul_f32 v[4:5], v[8:9], v[4:5] op_sel_hi:[1,0]
	s_waitcnt vmcnt(6)
	v_pk_fma_f32 v[6:7], v[8:9], v[204:205], v[4:5] op_sel:[0,0,1] op_sel_hi:[1,1,0] neg_lo:[0,0,1] neg_hi:[0,0,1]
	v_pk_fma_f32 v[4:5], v[8:9], v[204:205], v[4:5] op_sel:[0,0,1] op_sel_hi:[1,0,0]
	v_pk_add_f32 v[2:3], v[2:3], v[18:19]
	s_waitcnt vmcnt(5)
	v_mov_b32_e32 v4, v93
	v_pk_add_f32 v[2:3], v[2:3], v[16:17]
	v_mov_b32_e32 v7, v5
	s_waitcnt lgkmcnt(1)
	v_pk_mul_f32 v[4:5], v[10:11], v[4:5] op_sel_hi:[1,0]
	v_pk_add_f32 v[2:3], v[2:3], v[6:7]
	s_waitcnt vmcnt(4)
	v_pk_fma_f32 v[6:7], v[10:11], v[92:93], v[4:5] op_sel:[0,0,1] op_sel_hi:[1,1,0] neg_lo:[0,0,1] neg_hi:[0,0,1]
	v_pk_fma_f32 v[4:5], v[10:11], v[92:93], v[4:5] op_sel:[0,0,1] op_sel_hi:[1,0,0]
	s_waitcnt vmcnt(3)
	v_mov_b32_e32 v4, v91
	v_mov_b32_e32 v7, v5
	v_pk_mul_f32 v[4:5], v[12:13], v[4:5] op_sel_hi:[1,0]
	v_pk_add_f32 v[2:3], v[2:3], v[6:7]
	s_waitcnt vmcnt(2)
	v_pk_fma_f32 v[6:7], v[12:13], v[90:91], v[4:5] op_sel:[0,0,1] op_sel_hi:[1,1,0] neg_lo:[0,0,1] neg_hi:[0,0,1]
	v_pk_fma_f32 v[4:5], v[12:13], v[90:91], v[4:5] op_sel:[0,0,1] op_sel_hi:[1,0,0]
	s_waitcnt vmcnt(1)
	v_mov_b32_e32 v4, v89
	v_mov_b32_e32 v7, v5
	s_waitcnt lgkmcnt(0)
	v_pk_mul_f32 v[4:5], v[14:15], v[4:5] op_sel_hi:[1,0]
	v_pk_add_f32 v[2:3], v[2:3], v[6:7]
	s_waitcnt vmcnt(0)
	v_pk_fma_f32 v[6:7], v[14:15], v[88:89], v[4:5] op_sel:[0,0,1] op_sel_hi:[1,1,0] neg_lo:[0,0,1] neg_hi:[0,0,1]
	v_pk_fma_f32 v[4:5], v[14:15], v[88:89], v[4:5] op_sel:[0,0,1] op_sel_hi:[1,0,0]
	v_mov_b32_e32 v7, v5
	v_pk_add_f32 v[2:3], v[2:3], v[6:7]
	v_pk_add_f32 v[2:3], v[78:79], v[2:3] neg_lo:[0,1] neg_hi:[0,1]
	buffer_store_dword v3, off, s[0:3], 0 offset:76
	buffer_store_dword v2, off, s[0:3], 0 offset:72
	s_and_saveexec_b64 s[4:5], vcc
	s_cbranch_execz .LBB118_327
; %bb.326:
	buffer_load_dword v2, off, s[0:3], 0 offset:64
	buffer_load_dword v3, off, s[0:3], 0 offset:68
	s_waitcnt vmcnt(0)
	ds_write_b64 v153, v[2:3]
	buffer_store_dword v212, off, s[0:3], 0 offset:64
	buffer_store_dword v212, off, s[0:3], 0 offset:68
.LBB118_327:
	s_or_b64 exec, exec, s[4:5]
	s_waitcnt lgkmcnt(0)
	; wave barrier
	s_waitcnt lgkmcnt(0)
	buffer_load_dword v90, off, s[0:3], 0 offset:76
	buffer_load_dword v92, off, s[0:3], 0 offset:84
	;; [unrolled: 1-line block ×32, first 2 shown]
	ds_read2_b64 v[22:25], v212 offset0:65 offset1:66
	ds_read2_b64 v[18:21], v212 offset0:67 offset1:68
	;; [unrolled: 1-line block ×6, first 2 shown]
	buffer_load_dword v132, off, s[0:3], 0 offset:192
	buffer_load_dword v133, off, s[0:3], 0 offset:196
	;; [unrolled: 1-line block ×32, first 2 shown]
	v_cmp_lt_u32_e32 vcc, 7, v0
	s_waitcnt vmcnt(62) lgkmcnt(5)
	v_mul_f32_e32 v31, v22, v90
	v_mul_f32_e32 v32, v24, v92
	s_waitcnt vmcnt(61) lgkmcnt(4)
	v_mul_f32_e32 v34, v20, v30
	s_waitcnt vmcnt(60) lgkmcnt(3)
	v_mul_f32_e32 v35, v14, v29
	s_waitcnt vmcnt(59)
	v_mul_f32_e32 v36, v16, v1
	s_waitcnt vmcnt(58)
	v_mul_f32_e32 v33, v18, v108
	s_waitcnt vmcnt(57) lgkmcnt(2)
	v_mul_f32_e32 v37, v10, v28
	s_waitcnt vmcnt(56)
	v_mul_f32_e32 v38, v12, v109
	s_waitcnt vmcnt(55) lgkmcnt(1)
	v_mul_f32_e32 v39, v6, v110
	s_waitcnt vmcnt(54)
	v_mul_f32_e32 v40, v8, v111
	s_waitcnt vmcnt(53)
	v_fmac_f32_e32 v33, v19, v112
	s_waitcnt vmcnt(52)
	v_fmac_f32_e32 v32, v25, v113
	;; [unrolled: 2-line block ×3, first 2 shown]
	v_add_f32_e32 v31, 0, v31
	v_add_f32_e32 v31, v31, v32
	;; [unrolled: 1-line block ×3, first 2 shown]
	s_waitcnt vmcnt(47)
	v_fmac_f32_e32 v34, v21, v118
	v_fmac_f32_e32 v35, v15, v117
	v_add_f32_e32 v31, v31, v34
	v_fmac_f32_e32 v36, v17, v116
	v_add_f32_e32 v31, v31, v35
	;; [unrolled: 2-line block ×3, first 2 shown]
	s_waitcnt vmcnt(43)
	v_fmac_f32_e32 v38, v13, v122
	v_add_f32_e32 v31, v31, v37
	v_fmac_f32_e32 v39, v7, v121
	v_add_f32_e32 v31, v31, v38
	;; [unrolled: 2-line block ×3, first 2 shown]
	s_waitcnt vmcnt(42) lgkmcnt(0)
	v_mul_f32_e32 v32, v2, v123
	v_add_f32_e32 v31, v31, v40
	v_fmac_f32_e32 v32, v3, v119
	v_add_f32_e32 v31, v31, v32
	ds_read2_b64 v[32:35], v212 offset0:77 offset1:78
	buffer_load_dword v227, off, s[0:3], 0 offset:320
	buffer_load_dword v228, off, s[0:3], 0 offset:324
	s_waitcnt vmcnt(43)
	v_mul_f32_e32 v36, v4, v124
	s_waitcnt vmcnt(36)
	v_fmac_f32_e32 v36, v5, v131
	v_add_f32_e32 v31, v31, v36
	ds_read2_b64 v[36:39], v212 offset0:79 offset1:80
	buffer_load_dword v229, off, s[0:3], 0 offset:328
	buffer_load_dword v230, off, s[0:3], 0 offset:332
	;; [unrolled: 1-line block ×8, first 2 shown]
	s_waitcnt lgkmcnt(1)
	v_mul_f32_e32 v40, v32, v126
	v_fmac_f32_e32 v40, v33, v125
	v_add_f32_e32 v31, v31, v40
	v_mul_f32_e32 v40, v34, v128
	v_fmac_f32_e32 v40, v35, v127
	v_add_f32_e32 v31, v31, v40
	s_waitcnt lgkmcnt(0)
	v_mul_f32_e32 v40, v36, v130
	v_fmac_f32_e32 v40, v37, v129
	v_add_f32_e32 v31, v31, v40
	buffer_load_dword v237, off, s[0:3], 0 offset:360
	buffer_load_dword v238, off, s[0:3], 0 offset:364
	;; [unrolled: 1-line block ×4, first 2 shown]
	ds_read2_b64 v[40:43], v212 offset0:81 offset1:82
	s_waitcnt vmcnt(44)
	v_mul_f32_e32 v44, v38, v133
	v_fmac_f32_e32 v44, v39, v132
	v_add_f32_e32 v31, v31, v44
	ds_read2_b64 v[44:47], v212 offset0:83 offset1:84
	s_waitcnt vmcnt(42) lgkmcnt(1)
	v_mul_f32_e32 v48, v40, v135
	v_fmac_f32_e32 v48, v41, v134
	v_add_f32_e32 v31, v31, v48
	s_waitcnt vmcnt(40)
	v_mul_f32_e32 v48, v42, v137
	v_fmac_f32_e32 v48, v43, v136
	v_add_f32_e32 v31, v31, v48
	s_waitcnt vmcnt(38) lgkmcnt(0)
	v_mul_f32_e32 v48, v44, v139
	v_fmac_f32_e32 v48, v45, v138
	v_add_f32_e32 v31, v31, v48
	ds_read2_b64 v[48:51], v212 offset0:85 offset1:86
	s_waitcnt vmcnt(36)
	v_mul_f32_e32 v52, v46, v141
	v_fmac_f32_e32 v52, v47, v140
	v_add_f32_e32 v31, v31, v52
	ds_read2_b64 v[52:55], v212 offset0:87 offset1:88
	s_waitcnt vmcnt(34) lgkmcnt(1)
	v_mul_f32_e32 v56, v48, v205
	v_fmac_f32_e32 v56, v49, v204
	v_add_f32_e32 v31, v31, v56
	s_waitcnt vmcnt(32)
	v_mul_f32_e32 v56, v50, v207
	v_fmac_f32_e32 v56, v51, v206
	v_add_f32_e32 v31, v31, v56
	s_waitcnt vmcnt(30) lgkmcnt(0)
	v_mul_f32_e32 v56, v52, v209
	v_fmac_f32_e32 v56, v53, v208
	v_add_f32_e32 v31, v31, v56
	;; [unrolled: 18-line block ×4, first 2 shown]
	ds_read2_b64 v[72:75], v212 offset0:97 offset1:98
	v_mul_f32_e32 v23, v23, v90
	v_fma_f32 v22, v22, v114, -v23
	v_mul_f32_e32 v23, v25, v92
	v_add_f32_e32 v22, 0, v22
	s_waitcnt vmcnt(12)
	v_mul_f32_e32 v76, v70, v228
	v_fmac_f32_e32 v76, v71, v227
	v_add_f32_e32 v31, v31, v76
	ds_read2_b64 v[76:79], v212 offset0:99 offset1:100
	buffer_load_dword v89, off, s[0:3], 0 offset:380
	buffer_load_dword v88, off, s[0:3], 0 offset:376
	s_waitcnt vmcnt(12) lgkmcnt(1)
	v_mul_f32_e32 v80, v72, v230
	v_fmac_f32_e32 v80, v73, v229
	v_add_f32_e32 v31, v31, v80
	s_waitcnt vmcnt(10)
	v_mul_f32_e32 v80, v74, v232
	v_fmac_f32_e32 v80, v75, v231
	v_add_f32_e32 v31, v31, v80
	s_waitcnt vmcnt(8) lgkmcnt(0)
	v_mul_f32_e32 v80, v76, v234
	v_fmac_f32_e32 v80, v77, v233
	s_waitcnt vmcnt(6)
	v_mul_f32_e32 v84, v78, v236
	v_add_f32_e32 v31, v31, v80
	v_fmac_f32_e32 v84, v79, v235
	ds_read2_b64 v[80:83], v212 offset0:101 offset1:102
	v_add_f32_e32 v31, v31, v84
	ds_read2_b64 v[84:87], v212 offset0:103 offset1:104
	buffer_load_dword v95, off, s[0:3], 0 offset:412
	buffer_load_dword v94, off, s[0:3], 0 offset:408
	;; [unrolled: 1-line block ×14, first 2 shown]
	v_fma_f32 v23, v24, v113, -v23
	v_mul_f32_e32 v19, v19, v108
	v_add_f32_e32 v22, v22, v23
	v_fma_f32 v18, v18, v112, -v19
	v_mul_f32_e32 v19, v21, v30
	v_add_f32_e32 v18, v22, v18
	;; [unrolled: 3-line block ×5, first 2 shown]
	v_fma_f32 v10, v10, v115, -v11
	v_add_f32_e32 v1, v1, v10
	v_mul_f32_e32 v10, v13, v109
	v_fma_f32 v10, v12, v122, -v10
	v_mul_f32_e32 v7, v7, v110
	v_add_f32_e32 v1, v1, v10
	v_fma_f32 v6, v6, v121, -v7
	v_add_f32_e32 v1, v1, v6
	v_mul_f32_e32 v6, v9, v111
	v_fma_f32 v6, v8, v120, -v6
	v_mul_f32_e32 v3, v3, v123
	v_add_f32_e32 v1, v1, v6
	v_fma_f32 v2, v2, v119, -v3
	v_add_f32_e32 v1, v1, v2
	v_mul_f32_e32 v2, v5, v124
	v_fma_f32 v2, v4, v131, -v2
	v_add_f32_e32 v1, v1, v2
	v_mul_f32_e32 v2, v33, v126
	;; [unrolled: 3-line block ×25, first 2 shown]
	v_fma_f32 v2, v78, v235, -v2
	s_waitcnt vmcnt(15)
	v_mov_b32_e32 v16, v89
	s_waitcnt lgkmcnt(1)
	v_mul_f32_e32 v91, v80, v238
	v_add_f32_e32 v30, v1, v2
	v_mul_f32_e32 v1, v81, v238
	s_waitcnt lgkmcnt(0)
	v_pk_mul_f32 v[16:17], v[84:85], v[16:17] op_sel_hi:[1,0]
	v_fmac_f32_e32 v91, v81, v237
	v_mul_f32_e32 v93, v82, v240
	v_fma_f32 v90, v80, v237, -v1
	v_mul_f32_e32 v1, v83, v240
	s_waitcnt vmcnt(14)
	v_pk_fma_f32 v[18:19], v[84:85], v[88:89], v[16:17] op_sel:[0,0,1] op_sel_hi:[1,1,0] neg_lo:[0,0,1] neg_hi:[0,0,1]
	v_pk_fma_f32 v[16:17], v[84:85], v[88:89], v[16:17] op_sel:[0,0,1] op_sel_hi:[1,0,0]
	v_fmac_f32_e32 v93, v83, v239
	v_fma_f32 v92, v82, v239, -v1
	v_pk_add_f32 v[14:15], v[30:31], v[90:91]
	s_waitcnt vmcnt(7)
	v_mov_b32_e32 v16, v101
	ds_read2_b64 v[2:5], v212 offset0:105 offset1:106
	ds_read2_b64 v[6:9], v212 offset0:107 offset1:108
	;; [unrolled: 1-line block ×3, first 2 shown]
	v_pk_add_f32 v[14:15], v[14:15], v[92:93]
	v_mov_b32_e32 v19, v17
	v_pk_mul_f32 v[16:17], v[86:87], v[16:17] op_sel_hi:[1,0]
	v_pk_add_f32 v[14:15], v[14:15], v[18:19]
	s_waitcnt vmcnt(6)
	v_pk_fma_f32 v[18:19], v[86:87], v[100:101], v[16:17] op_sel:[0,0,1] op_sel_hi:[1,1,0] neg_lo:[0,0,1] neg_hi:[0,0,1]
	v_pk_fma_f32 v[16:17], v[86:87], v[100:101], v[16:17] op_sel:[0,0,1] op_sel_hi:[1,0,0]
	v_mov_b32_e32 v16, v99
	v_mov_b32_e32 v19, v17
	s_waitcnt lgkmcnt(2)
	v_pk_mul_f32 v[16:17], v[2:3], v[16:17] op_sel_hi:[1,0]
	v_pk_add_f32 v[14:15], v[14:15], v[18:19]
	v_pk_fma_f32 v[18:19], v[2:3], v[98:99], v[16:17] op_sel:[0,0,1] op_sel_hi:[1,1,0] neg_lo:[0,0,1] neg_hi:[0,0,1]
	v_pk_fma_f32 v[2:3], v[2:3], v[98:99], v[16:17] op_sel:[0,0,1] op_sel_hi:[1,0,0]
	v_mov_b32_e32 v19, v3
	v_pk_add_f32 v[2:3], v[14:15], v[18:19]
	v_mov_b32_e32 v14, v97
	v_pk_mul_f32 v[14:15], v[4:5], v[14:15] op_sel_hi:[1,0]
	v_pk_fma_f32 v[16:17], v[4:5], v[96:97], v[14:15] op_sel:[0,0,1] op_sel_hi:[1,1,0] neg_lo:[0,0,1] neg_hi:[0,0,1]
	v_pk_fma_f32 v[4:5], v[4:5], v[96:97], v[14:15] op_sel:[0,0,1] op_sel_hi:[1,0,0]
	v_mov_b32_e32 v4, v95
	v_mov_b32_e32 v17, v5
	s_waitcnt lgkmcnt(1)
	v_pk_mul_f32 v[4:5], v[6:7], v[4:5] op_sel_hi:[1,0]
	v_pk_fma_f32 v[14:15], v[6:7], v[94:95], v[4:5] op_sel:[0,0,1] op_sel_hi:[1,1,0] neg_lo:[0,0,1] neg_hi:[0,0,1]
	v_pk_fma_f32 v[4:5], v[6:7], v[94:95], v[4:5] op_sel:[0,0,1] op_sel_hi:[1,0,0]
	s_waitcnt vmcnt(1)
	v_mov_b32_e32 v4, v107
	v_mov_b32_e32 v15, v5
	v_pk_mul_f32 v[4:5], v[8:9], v[4:5] op_sel_hi:[1,0]
	s_waitcnt vmcnt(0)
	v_pk_fma_f32 v[6:7], v[8:9], v[106:107], v[4:5] op_sel:[0,0,1] op_sel_hi:[1,1,0] neg_lo:[0,0,1] neg_hi:[0,0,1]
	v_pk_fma_f32 v[4:5], v[8:9], v[106:107], v[4:5] op_sel:[0,0,1] op_sel_hi:[1,0,0]
	v_pk_add_f32 v[2:3], v[2:3], v[16:17]
	v_mov_b32_e32 v4, v105
	v_pk_add_f32 v[2:3], v[2:3], v[14:15]
	v_mov_b32_e32 v7, v5
	s_waitcnt lgkmcnt(0)
	v_pk_mul_f32 v[4:5], v[10:11], v[4:5] op_sel_hi:[1,0]
	v_pk_add_f32 v[2:3], v[2:3], v[6:7]
	v_pk_fma_f32 v[6:7], v[10:11], v[104:105], v[4:5] op_sel:[0,0,1] op_sel_hi:[1,1,0] neg_lo:[0,0,1] neg_hi:[0,0,1]
	v_pk_fma_f32 v[4:5], v[10:11], v[104:105], v[4:5] op_sel:[0,0,1] op_sel_hi:[1,0,0]
	v_mov_b32_e32 v4, v103
	v_mov_b32_e32 v7, v5
	v_pk_mul_f32 v[4:5], v[12:13], v[4:5] op_sel_hi:[1,0]
	v_pk_add_f32 v[2:3], v[2:3], v[6:7]
	v_pk_fma_f32 v[6:7], v[12:13], v[102:103], v[4:5] op_sel:[0,0,1] op_sel_hi:[1,1,0] neg_lo:[0,0,1] neg_hi:[0,0,1]
	v_pk_fma_f32 v[4:5], v[12:13], v[102:103], v[4:5] op_sel:[0,0,1] op_sel_hi:[1,0,0]
	v_mov_b32_e32 v7, v5
	v_pk_add_f32 v[2:3], v[2:3], v[6:7]
	v_pk_add_f32 v[2:3], v[26:27], v[2:3] neg_lo:[0,1] neg_hi:[0,1]
	buffer_store_dword v3, off, s[0:3], 0 offset:68
	buffer_store_dword v2, off, s[0:3], 0 offset:64
	s_and_saveexec_b64 s[4:5], vcc
	s_cbranch_execz .LBB118_329
; %bb.328:
	buffer_load_dword v2, off, s[0:3], 0 offset:56
	buffer_load_dword v3, off, s[0:3], 0 offset:60
	v_mov_b32_e32 v1, 0
	buffer_store_dword v1, off, s[0:3], 0 offset:56
	buffer_store_dword v1, off, s[0:3], 0 offset:60
	s_waitcnt vmcnt(2)
	ds_write_b64 v153, v[2:3]
.LBB118_329:
	s_or_b64 exec, exec, s[4:5]
	s_waitcnt lgkmcnt(0)
	; wave barrier
	s_waitcnt lgkmcnt(0)
	buffer_load_dword v32, off, s[0:3], 0 offset:68
	buffer_load_dword v31, off, s[0:3], 0 offset:76
	;; [unrolled: 1-line block ×48, first 2 shown]
	v_mov_b32_e32 v36, 0
	ds_read_b128 v[22:25], v36 offset:512
	ds_read_b128 v[18:21], v36 offset:528
	;; [unrolled: 1-line block ×6, first 2 shown]
	buffer_load_dword v211, off, s[0:3], 0 offset:248
	buffer_load_dword v212, off, s[0:3], 0 offset:252
	;; [unrolled: 1-line block ×12, first 2 shown]
	v_cmp_lt_u32_e32 vcc, 6, v0
	s_waitcnt vmcnt(59) lgkmcnt(5)
	v_mul_f32_e32 v35, v22, v32
	s_waitcnt vmcnt(58)
	v_mul_f32_e32 v38, v24, v31
	s_waitcnt vmcnt(57) lgkmcnt(4)
	v_mul_f32_e32 v40, v20, v30
	s_waitcnt vmcnt(56) lgkmcnt(3)
	v_mul_f32_e32 v41, v14, v29
	s_waitcnt vmcnt(55)
	v_mul_f32_e32 v42, v16, v1
	s_waitcnt vmcnt(54)
	v_mul_f32_e32 v39, v18, v33
	s_waitcnt vmcnt(53) lgkmcnt(2)
	v_mul_f32_e32 v43, v10, v28
	s_waitcnt vmcnt(52)
	v_mul_f32_e32 v44, v12, v34
	s_waitcnt vmcnt(51) lgkmcnt(1)
	v_mul_f32_e32 v45, v6, v37
	s_waitcnt vmcnt(50)
	v_mul_f32_e32 v46, v8, v94
	s_waitcnt vmcnt(49)
	v_fmac_f32_e32 v39, v19, v96
	s_waitcnt vmcnt(48)
	v_fmac_f32_e32 v38, v25, v114
	;; [unrolled: 2-line block ×3, first 2 shown]
	v_add_f32_e32 v35, 0, v35
	v_add_f32_e32 v35, v35, v38
	;; [unrolled: 1-line block ×3, first 2 shown]
	s_waitcnt vmcnt(43)
	v_fmac_f32_e32 v40, v21, v119
	v_fmac_f32_e32 v41, v15, v118
	v_add_f32_e32 v35, v35, v40
	v_fmac_f32_e32 v42, v17, v117
	v_add_f32_e32 v35, v35, v41
	;; [unrolled: 2-line block ×3, first 2 shown]
	s_waitcnt vmcnt(39)
	v_fmac_f32_e32 v44, v13, v123
	v_add_f32_e32 v35, v35, v43
	v_fmac_f32_e32 v45, v7, v122
	v_add_f32_e32 v35, v35, v44
	;; [unrolled: 2-line block ×3, first 2 shown]
	s_waitcnt vmcnt(38) lgkmcnt(0)
	v_mul_f32_e32 v38, v2, v124
	v_add_f32_e32 v35, v35, v46
	v_fmac_f32_e32 v38, v3, v120
	v_add_f32_e32 v35, v35, v38
	ds_read_b128 v[38:41], v36 offset:608
	buffer_load_dword v223, off, s[0:3], 0 offset:296
	buffer_load_dword v224, off, s[0:3], 0 offset:300
	;; [unrolled: 1-line block ×4, first 2 shown]
	s_waitcnt vmcnt(35)
	v_mul_f32_e32 v42, v4, v131
	s_waitcnt vmcnt(34)
	v_fmac_f32_e32 v42, v5, v132
	v_add_f32_e32 v35, v35, v42
	ds_read_b128 v[42:45], v36 offset:624
	buffer_load_dword v227, off, s[0:3], 0 offset:312
	buffer_load_dword v228, off, s[0:3], 0 offset:316
	buffer_load_dword v229, off, s[0:3], 0 offset:320
	buffer_load_dword v230, off, s[0:3], 0 offset:324
	buffer_load_dword v231, off, s[0:3], 0 offset:328
	buffer_load_dword v232, off, s[0:3], 0 offset:332
	buffer_load_dword v233, off, s[0:3], 0 offset:336
	buffer_load_dword v234, off, s[0:3], 0 offset:340
	buffer_load_dword v235, off, s[0:3], 0 offset:344
	buffer_load_dword v236, off, s[0:3], 0 offset:348
	s_waitcnt lgkmcnt(1)
	v_mul_f32_e32 v46, v38, v126
	v_fmac_f32_e32 v46, v39, v125
	v_add_f32_e32 v35, v35, v46
	v_mul_f32_e32 v46, v40, v128
	v_fmac_f32_e32 v46, v41, v127
	v_add_f32_e32 v35, v35, v46
	s_waitcnt lgkmcnt(0)
	v_mul_f32_e32 v46, v42, v130
	v_fmac_f32_e32 v46, v43, v129
	v_add_f32_e32 v35, v35, v46
	buffer_load_dword v237, off, s[0:3], 0 offset:352
	buffer_load_dword v238, off, s[0:3], 0 offset:356
	;; [unrolled: 1-line block ×6, first 2 shown]
	ds_read_b128 v[46:49], v36 offset:640
	s_waitcnt vmcnt(46)
	v_mul_f32_e32 v50, v44, v134
	v_fmac_f32_e32 v50, v45, v133
	v_add_f32_e32 v35, v35, v50
	ds_read_b128 v[50:53], v36 offset:656
	s_waitcnt vmcnt(44) lgkmcnt(1)
	v_mul_f32_e32 v54, v46, v136
	v_fmac_f32_e32 v54, v47, v135
	v_add_f32_e32 v35, v35, v54
	s_waitcnt vmcnt(42)
	v_mul_f32_e32 v54, v48, v138
	v_fmac_f32_e32 v54, v49, v137
	v_add_f32_e32 v35, v35, v54
	s_waitcnt vmcnt(40) lgkmcnt(0)
	v_mul_f32_e32 v54, v50, v140
	v_fmac_f32_e32 v54, v51, v139
	v_add_f32_e32 v35, v35, v54
	ds_read_b128 v[54:57], v36 offset:672
	s_waitcnt vmcnt(38)
	v_mul_f32_e32 v58, v52, v204
	v_fmac_f32_e32 v58, v53, v141
	v_add_f32_e32 v35, v35, v58
	ds_read_b128 v[58:61], v36 offset:688
	s_waitcnt vmcnt(36) lgkmcnt(1)
	v_mul_f32_e32 v62, v54, v206
	v_fmac_f32_e32 v62, v55, v205
	v_add_f32_e32 v35, v35, v62
	s_waitcnt vmcnt(34)
	v_mul_f32_e32 v62, v56, v208
	v_fmac_f32_e32 v62, v57, v207
	v_add_f32_e32 v35, v35, v62
	s_waitcnt vmcnt(32) lgkmcnt(0)
	v_mul_f32_e32 v62, v58, v210
	v_fmac_f32_e32 v62, v59, v209
	v_add_f32_e32 v35, v35, v62
	;; [unrolled: 18-line block ×3, first 2 shown]
	ds_read_b128 v[70:73], v36 offset:736
	s_waitcnt vmcnt(22)
	v_mul_f32_e32 v74, v68, v220
	v_fmac_f32_e32 v74, v69, v219
	v_add_f32_e32 v35, v35, v74
	ds_read_b128 v[74:77], v36 offset:752
	s_waitcnt vmcnt(20) lgkmcnt(1)
	v_mul_f32_e32 v78, v70, v222
	v_fmac_f32_e32 v78, v71, v221
	v_add_f32_e32 v35, v35, v78
	v_mul_f32_e32 v23, v23, v32
	v_fma_f32 v22, v22, v115, -v23
	v_mul_f32_e32 v23, v25, v31
	v_add_f32_e32 v22, 0, v22
	v_fma_f32 v23, v24, v114, -v23
	v_mul_f32_e32 v19, v19, v33
	v_add_f32_e32 v22, v22, v23
	v_fma_f32 v18, v18, v96, -v19
	v_mul_f32_e32 v19, v21, v30
	s_waitcnt vmcnt(18)
	v_mul_f32_e32 v78, v72, v224
	v_fmac_f32_e32 v78, v73, v223
	v_add_f32_e32 v35, v35, v78
	s_waitcnt vmcnt(16) lgkmcnt(0)
	v_mul_f32_e32 v78, v74, v226
	v_fmac_f32_e32 v78, v75, v225
	v_add_f32_e32 v35, v35, v78
	ds_read_b128 v[78:81], v36 offset:768
	s_waitcnt vmcnt(14)
	v_mul_f32_e32 v82, v76, v228
	v_fmac_f32_e32 v82, v77, v227
	v_add_f32_e32 v35, v35, v82
	ds_read_b128 v[82:85], v36 offset:784
	s_waitcnt vmcnt(12) lgkmcnt(1)
	v_mul_f32_e32 v86, v78, v230
	v_fmac_f32_e32 v86, v79, v229
	v_add_f32_e32 v35, v35, v86
	s_waitcnt vmcnt(10)
	v_mul_f32_e32 v86, v80, v232
	v_fmac_f32_e32 v86, v81, v231
	v_add_f32_e32 v35, v35, v86
	s_waitcnt vmcnt(8) lgkmcnt(0)
	v_mul_f32_e32 v86, v82, v234
	v_fmac_f32_e32 v86, v83, v233
	s_waitcnt vmcnt(6)
	v_mul_f32_e32 v90, v84, v236
	v_add_f32_e32 v35, v35, v86
	v_fmac_f32_e32 v90, v85, v235
	ds_read_b128 v[86:89], v36 offset:800
	v_add_f32_e32 v35, v35, v90
	ds_read_b128 v[90:93], v36 offset:816
	buffer_load_dword v99, off, s[0:3], 0 offset:404
	buffer_load_dword v98, off, s[0:3], 0 offset:400
	buffer_load_dword v101, off, s[0:3], 0 offset:396
	buffer_load_dword v100, off, s[0:3], 0 offset:392
	buffer_load_dword v103, off, s[0:3], 0 offset:388
	buffer_load_dword v102, off, s[0:3], 0 offset:384
	buffer_load_dword v105, off, s[0:3], 0 offset:380
	buffer_load_dword v104, off, s[0:3], 0 offset:376
	buffer_load_dword v107, off, s[0:3], 0 offset:436
	buffer_load_dword v106, off, s[0:3], 0 offset:432
	buffer_load_dword v109, off, s[0:3], 0 offset:428
	buffer_load_dword v108, off, s[0:3], 0 offset:424
	buffer_load_dword v111, off, s[0:3], 0 offset:420
	buffer_load_dword v110, off, s[0:3], 0 offset:416
	buffer_load_dword v113, off, s[0:3], 0 offset:412
	buffer_load_dword v112, off, s[0:3], 0 offset:408
	v_add_f32_e32 v18, v22, v18
	v_fma_f32 v19, v20, v119, -v19
	v_mul_f32_e32 v15, v15, v29
	v_add_f32_e32 v18, v18, v19
	v_fma_f32 v14, v14, v118, -v15
	v_mul_f32_e32 v1, v17, v1
	;; [unrolled: 3-line block ×3, first 2 shown]
	v_add_f32_e32 v1, v14, v1
	v_fma_f32 v10, v10, v116, -v11
	v_add_f32_e32 v1, v1, v10
	v_mul_f32_e32 v10, v13, v34
	v_fma_f32 v10, v12, v123, -v10
	v_mul_f32_e32 v7, v7, v37
	v_add_f32_e32 v1, v1, v10
	v_fma_f32 v6, v6, v122, -v7
	v_add_f32_e32 v1, v1, v6
	v_mul_f32_e32 v6, v9, v94
	v_fma_f32 v6, v8, v121, -v6
	v_mul_f32_e32 v3, v3, v124
	v_add_f32_e32 v1, v1, v6
	v_fma_f32 v2, v2, v120, -v3
	v_add_f32_e32 v1, v1, v2
	v_mul_f32_e32 v2, v5, v131
	v_fma_f32 v2, v4, v132, -v2
	v_add_f32_e32 v1, v1, v2
	v_mul_f32_e32 v2, v39, v126
	;; [unrolled: 3-line block ×25, first 2 shown]
	v_fma_f32 v2, v84, v235, -v2
	s_waitcnt vmcnt(20) lgkmcnt(1)
	v_mul_f32_e32 v95, v86, v238
	v_add_f32_e32 v1, v1, v2
	v_mul_f32_e32 v2, v87, v238
	v_fmac_f32_e32 v95, v87, v237
	v_fma_f32 v2, v86, v237, -v2
	s_waitcnt vmcnt(9)
	v_mov_b32_e32 v18, v105
	v_add_f32_e32 v35, v35, v95
	v_mul_f32_e32 v95, v88, v240
	v_add_f32_e32 v34, v1, v2
	v_mul_f32_e32 v1, v89, v240
	s_waitcnt lgkmcnt(0)
	v_pk_mul_f32 v[18:19], v[92:93], v[18:19] op_sel_hi:[1,0]
	v_fmac_f32_e32 v95, v89, v239
	v_mul_f32_e32 v97, v90, v242
	v_fma_f32 v94, v88, v239, -v1
	v_mul_f32_e32 v1, v91, v242
	ds_read_b128 v[2:5], v36 offset:832
	ds_read_b128 v[6:9], v36 offset:848
	;; [unrolled: 1-line block ×3, first 2 shown]
	ds_read_b64 v[14:15], v36 offset:880
	s_waitcnt vmcnt(8)
	v_pk_fma_f32 v[20:21], v[92:93], v[104:105], v[18:19] op_sel:[0,0,1] op_sel_hi:[1,1,0] neg_lo:[0,0,1] neg_hi:[0,0,1]
	v_pk_fma_f32 v[18:19], v[92:93], v[104:105], v[18:19] op_sel:[0,0,1] op_sel_hi:[1,0,0]
	v_fmac_f32_e32 v97, v91, v241
	v_fma_f32 v96, v90, v241, -v1
	v_pk_add_f32 v[16:17], v[34:35], v[94:95]
	v_mov_b32_e32 v18, v103
	v_pk_add_f32 v[16:17], v[16:17], v[96:97]
	v_mov_b32_e32 v21, v19
	s_waitcnt lgkmcnt(3)
	v_pk_mul_f32 v[18:19], v[2:3], v[18:19] op_sel_hi:[1,0]
	v_pk_add_f32 v[16:17], v[16:17], v[20:21]
	v_pk_fma_f32 v[20:21], v[2:3], v[102:103], v[18:19] op_sel:[0,0,1] op_sel_hi:[1,1,0] neg_lo:[0,0,1] neg_hi:[0,0,1]
	v_pk_fma_f32 v[2:3], v[2:3], v[102:103], v[18:19] op_sel:[0,0,1] op_sel_hi:[1,0,0]
	v_mov_b32_e32 v21, v3
	v_pk_add_f32 v[2:3], v[16:17], v[20:21]
	v_mov_b32_e32 v16, v101
	v_pk_mul_f32 v[16:17], v[4:5], v[16:17] op_sel_hi:[1,0]
	v_pk_fma_f32 v[18:19], v[4:5], v[100:101], v[16:17] op_sel:[0,0,1] op_sel_hi:[1,1,0] neg_lo:[0,0,1] neg_hi:[0,0,1]
	v_pk_fma_f32 v[4:5], v[4:5], v[100:101], v[16:17] op_sel:[0,0,1] op_sel_hi:[1,0,0]
	v_mov_b32_e32 v4, v99
	v_mov_b32_e32 v19, v5
	s_waitcnt lgkmcnt(2)
	v_pk_mul_f32 v[4:5], v[6:7], v[4:5] op_sel_hi:[1,0]
	v_pk_fma_f32 v[16:17], v[6:7], v[98:99], v[4:5] op_sel:[0,0,1] op_sel_hi:[1,1,0] neg_lo:[0,0,1] neg_hi:[0,0,1]
	v_pk_fma_f32 v[4:5], v[6:7], v[98:99], v[4:5] op_sel:[0,0,1] op_sel_hi:[1,0,0]
	s_waitcnt vmcnt(1)
	v_mov_b32_e32 v4, v113
	v_mov_b32_e32 v17, v5
	v_pk_mul_f32 v[4:5], v[8:9], v[4:5] op_sel_hi:[1,0]
	s_waitcnt vmcnt(0)
	v_pk_fma_f32 v[6:7], v[8:9], v[112:113], v[4:5] op_sel:[0,0,1] op_sel_hi:[1,1,0] neg_lo:[0,0,1] neg_hi:[0,0,1]
	v_pk_fma_f32 v[4:5], v[8:9], v[112:113], v[4:5] op_sel:[0,0,1] op_sel_hi:[1,0,0]
	v_pk_add_f32 v[2:3], v[2:3], v[18:19]
	v_mov_b32_e32 v4, v111
	v_pk_add_f32 v[2:3], v[2:3], v[16:17]
	v_mov_b32_e32 v7, v5
	s_waitcnt lgkmcnt(1)
	v_pk_mul_f32 v[4:5], v[10:11], v[4:5] op_sel_hi:[1,0]
	v_pk_add_f32 v[2:3], v[2:3], v[6:7]
	v_pk_fma_f32 v[6:7], v[10:11], v[110:111], v[4:5] op_sel:[0,0,1] op_sel_hi:[1,1,0] neg_lo:[0,0,1] neg_hi:[0,0,1]
	v_pk_fma_f32 v[4:5], v[10:11], v[110:111], v[4:5] op_sel:[0,0,1] op_sel_hi:[1,0,0]
	v_mov_b32_e32 v4, v109
	v_mov_b32_e32 v7, v5
	v_pk_mul_f32 v[4:5], v[12:13], v[4:5] op_sel_hi:[1,0]
	v_pk_add_f32 v[2:3], v[2:3], v[6:7]
	v_pk_fma_f32 v[6:7], v[12:13], v[108:109], v[4:5] op_sel:[0,0,1] op_sel_hi:[1,1,0] neg_lo:[0,0,1] neg_hi:[0,0,1]
	v_pk_fma_f32 v[4:5], v[12:13], v[108:109], v[4:5] op_sel:[0,0,1] op_sel_hi:[1,0,0]
	v_mov_b32_e32 v4, v107
	v_mov_b32_e32 v7, v5
	s_waitcnt lgkmcnt(0)
	v_pk_mul_f32 v[4:5], v[14:15], v[4:5] op_sel_hi:[1,0]
	v_pk_add_f32 v[2:3], v[2:3], v[6:7]
	v_pk_fma_f32 v[6:7], v[14:15], v[106:107], v[4:5] op_sel:[0,0,1] op_sel_hi:[1,1,0] neg_lo:[0,0,1] neg_hi:[0,0,1]
	v_pk_fma_f32 v[4:5], v[14:15], v[106:107], v[4:5] op_sel:[0,0,1] op_sel_hi:[1,0,0]
	v_mov_b32_e32 v7, v5
	v_pk_add_f32 v[2:3], v[2:3], v[6:7]
	v_pk_add_f32 v[2:3], v[26:27], v[2:3] neg_lo:[0,1] neg_hi:[0,1]
	buffer_store_dword v3, off, s[0:3], 0 offset:60
	buffer_store_dword v2, off, s[0:3], 0 offset:56
	s_and_saveexec_b64 s[4:5], vcc
	s_cbranch_execz .LBB118_331
; %bb.330:
	buffer_load_dword v2, off, s[0:3], 0 offset:48
	buffer_load_dword v3, off, s[0:3], 0 offset:52
	s_waitcnt vmcnt(0)
	ds_write_b64 v153, v[2:3]
	buffer_store_dword v36, off, s[0:3], 0 offset:48
	buffer_store_dword v36, off, s[0:3], 0 offset:52
.LBB118_331:
	s_or_b64 exec, exec, s[4:5]
	s_waitcnt lgkmcnt(0)
	; wave barrier
	s_waitcnt lgkmcnt(0)
	buffer_load_dword v41, off, s[0:3], 0 offset:60
	buffer_load_dword v40, off, s[0:3], 0 offset:68
	;; [unrolled: 1-line block ×32, first 2 shown]
	ds_read2_b64 v[22:25], v36 offset0:63 offset1:64
	ds_read2_b64 v[18:21], v36 offset0:65 offset1:66
	;; [unrolled: 1-line block ×6, first 2 shown]
	buffer_load_dword v133, off, s[0:3], 0 offset:176
	buffer_load_dword v134, off, s[0:3], 0 offset:180
	;; [unrolled: 1-line block ×26, first 2 shown]
	v_cmp_lt_u32_e32 vcc, 5, v0
	s_waitcnt vmcnt(57) lgkmcnt(5)
	v_mul_f32_e32 v26, v22, v41
	s_waitcnt vmcnt(56)
	v_mul_f32_e32 v27, v24, v40
	s_waitcnt vmcnt(55) lgkmcnt(4)
	v_mul_f32_e32 v29, v20, v39
	s_waitcnt vmcnt(54) lgkmcnt(3)
	v_mul_f32_e32 v30, v14, v38
	s_waitcnt vmcnt(53)
	v_mul_f32_e32 v31, v16, v1
	s_waitcnt vmcnt(52)
	v_mul_f32_e32 v28, v18, v42
	s_waitcnt vmcnt(51) lgkmcnt(2)
	v_mul_f32_e32 v32, v10, v37
	s_waitcnt vmcnt(50)
	v_mul_f32_e32 v33, v12, v43
	s_waitcnt vmcnt(49) lgkmcnt(1)
	;; [unrolled: 4-line block ×3, first 2 shown]
	v_mul_f32_e32 v46, v2, v102
	s_waitcnt vmcnt(46)
	v_fmac_f32_e32 v28, v19, v114
	s_waitcnt vmcnt(45)
	v_fmac_f32_e32 v27, v25, v115
	;; [unrolled: 2-line block ×3, first 2 shown]
	v_add_f32_e32 v26, 0, v26
	v_add_f32_e32 v26, v26, v27
	;; [unrolled: 1-line block ×3, first 2 shown]
	s_waitcnt vmcnt(40)
	v_fmac_f32_e32 v29, v21, v120
	v_fmac_f32_e32 v30, v15, v119
	v_add_f32_e32 v26, v26, v29
	v_fmac_f32_e32 v31, v17, v118
	v_add_f32_e32 v26, v26, v30
	;; [unrolled: 2-line block ×3, first 2 shown]
	s_waitcnt vmcnt(36)
	v_fmac_f32_e32 v33, v13, v124
	v_add_f32_e32 v26, v26, v32
	v_fmac_f32_e32 v44, v7, v123
	v_add_f32_e32 v26, v26, v33
	;; [unrolled: 2-line block ×4, first 2 shown]
	s_waitcnt vmcnt(30)
	v_mul_f32_e32 v27, v4, v130
	v_add_f32_e32 v26, v26, v46
	s_waitcnt vmcnt(29)
	v_fmac_f32_e32 v27, v5, v131
	v_add_f32_e32 v44, v26, v27
	ds_read2_b64 v[26:29], v36 offset0:75 offset1:76
	buffer_load_dword v221, off, s[0:3], 0 offset:280
	buffer_load_dword v222, off, s[0:3], 0 offset:284
	ds_read2_b64 v[30:33], v36 offset0:77 offset1:78
	buffer_load_dword v223, off, s[0:3], 0 offset:288
	buffer_load_dword v224, off, s[0:3], 0 offset:292
	;; [unrolled: 1-line block ×14, first 2 shown]
	s_waitcnt vmcnt(44) lgkmcnt(1)
	v_mul_f32_e32 v45, v26, v132
	v_fmac_f32_e32 v45, v27, v129
	v_add_f32_e32 v44, v44, v45
	v_mul_f32_e32 v45, v28, v126
	v_fmac_f32_e32 v45, v29, v125
	v_add_f32_e32 v44, v44, v45
	s_waitcnt lgkmcnt(0)
	v_mul_f32_e32 v45, v30, v128
	v_fmac_f32_e32 v45, v31, v127
	v_add_f32_e32 v48, v44, v45
	buffer_load_dword v237, off, s[0:3], 0 offset:344
	buffer_load_dword v238, off, s[0:3], 0 offset:348
	ds_read2_b64 v[44:47], v36 offset0:79 offset1:80
	s_waitcnt vmcnt(42)
	v_mul_f32_e32 v49, v32, v134
	v_fmac_f32_e32 v49, v33, v133
	buffer_load_dword v239, off, s[0:3], 0 offset:352
	buffer_load_dword v240, off, s[0:3], 0 offset:356
	v_add_f32_e32 v52, v48, v49
	buffer_load_dword v241, off, s[0:3], 0 offset:360
	buffer_load_dword v242, off, s[0:3], 0 offset:364
	ds_read2_b64 v[48:51], v36 offset0:81 offset1:82
	s_waitcnt vmcnt(44) lgkmcnt(1)
	v_mul_f32_e32 v53, v44, v136
	v_fmac_f32_e32 v53, v45, v135
	v_add_f32_e32 v52, v52, v53
	s_waitcnt vmcnt(42)
	v_mul_f32_e32 v53, v46, v138
	v_fmac_f32_e32 v53, v47, v137
	v_add_f32_e32 v52, v52, v53
	s_waitcnt vmcnt(40) lgkmcnt(0)
	v_mul_f32_e32 v53, v48, v140
	v_fmac_f32_e32 v53, v49, v139
	buffer_load_dword v243, off, s[0:3], 0 offset:368
	buffer_load_dword v244, off, s[0:3], 0 offset:372
	v_add_f32_e32 v56, v52, v53
	ds_read2_b64 v[52:55], v36 offset0:83 offset1:84
	s_waitcnt vmcnt(40)
	v_mul_f32_e32 v57, v50, v204
	v_fmac_f32_e32 v57, v51, v141
	v_add_f32_e32 v60, v56, v57
	ds_read2_b64 v[56:59], v36 offset0:85 offset1:86
	s_waitcnt vmcnt(38) lgkmcnt(1)
	v_mul_f32_e32 v61, v52, v206
	v_fmac_f32_e32 v61, v53, v205
	v_add_f32_e32 v60, v60, v61
	s_waitcnt vmcnt(36)
	v_mul_f32_e32 v61, v54, v208
	v_fmac_f32_e32 v61, v55, v207
	v_add_f32_e32 v60, v60, v61
	s_waitcnt vmcnt(34) lgkmcnt(0)
	v_mul_f32_e32 v61, v56, v210
	v_fmac_f32_e32 v61, v57, v209
	v_add_f32_e32 v64, v60, v61
	ds_read2_b64 v[60:63], v36 offset0:87 offset1:88
	s_waitcnt vmcnt(32)
	v_mul_f32_e32 v65, v58, v212
	v_fmac_f32_e32 v65, v59, v211
	v_add_f32_e32 v68, v64, v65
	ds_read2_b64 v[64:67], v36 offset0:89 offset1:90
	s_waitcnt vmcnt(30) lgkmcnt(1)
	v_mul_f32_e32 v69, v60, v214
	v_fmac_f32_e32 v69, v61, v213
	v_add_f32_e32 v68, v68, v69
	s_waitcnt vmcnt(28)
	v_mul_f32_e32 v69, v62, v216
	v_fmac_f32_e32 v69, v63, v215
	v_add_f32_e32 v68, v68, v69
	s_waitcnt vmcnt(26) lgkmcnt(0)
	v_mul_f32_e32 v69, v64, v218
	v_fmac_f32_e32 v69, v65, v217
	v_add_f32_e32 v72, v68, v69
	ds_read2_b64 v[68:71], v36 offset0:91 offset1:92
	s_waitcnt vmcnt(24)
	v_mul_f32_e32 v73, v66, v220
	v_fmac_f32_e32 v73, v67, v219
	v_add_f32_e32 v76, v72, v73
	ds_read2_b64 v[72:75], v36 offset0:93 offset1:94
	v_mul_f32_e32 v23, v23, v41
	v_fma_f32 v22, v22, v116, -v23
	v_mul_f32_e32 v23, v25, v40
	v_add_f32_e32 v22, 0, v22
	v_fma_f32 v23, v24, v115, -v23
	v_mul_f32_e32 v19, v19, v42
	v_add_f32_e32 v22, v22, v23
	;; [unrolled: 3-line block ×3, first 2 shown]
	v_fma_f32 v19, v20, v120, -v19
	s_waitcnt vmcnt(22) lgkmcnt(1)
	v_mul_f32_e32 v77, v68, v222
	v_fmac_f32_e32 v77, v69, v221
	v_add_f32_e32 v76, v76, v77
	s_waitcnt vmcnt(20)
	v_mul_f32_e32 v77, v70, v224
	v_fmac_f32_e32 v77, v71, v223
	v_add_f32_e32 v76, v76, v77
	s_waitcnt vmcnt(18) lgkmcnt(0)
	v_mul_f32_e32 v77, v72, v226
	v_fmac_f32_e32 v77, v73, v225
	v_add_f32_e32 v80, v76, v77
	ds_read2_b64 v[76:79], v36 offset0:95 offset1:96
	s_waitcnt vmcnt(16)
	v_mul_f32_e32 v81, v74, v228
	v_fmac_f32_e32 v81, v75, v227
	v_add_f32_e32 v84, v80, v81
	ds_read2_b64 v[80:83], v36 offset0:97 offset1:98
	s_waitcnt vmcnt(14) lgkmcnt(1)
	v_mul_f32_e32 v85, v76, v230
	v_fmac_f32_e32 v85, v77, v229
	v_add_f32_e32 v84, v84, v85
	s_waitcnt vmcnt(12)
	v_mul_f32_e32 v85, v78, v232
	v_fmac_f32_e32 v85, v79, v231
	v_add_f32_e32 v84, v84, v85
	s_waitcnt vmcnt(10) lgkmcnt(0)
	v_mul_f32_e32 v85, v80, v234
	v_fmac_f32_e32 v85, v81, v233
	s_waitcnt vmcnt(8)
	v_mul_f32_e32 v89, v82, v236
	v_add_f32_e32 v88, v84, v85
	v_fmac_f32_e32 v89, v83, v235
	ds_read2_b64 v[84:87], v36 offset0:99 offset1:100
	v_add_f32_e32 v93, v88, v89
	ds_read2_b64 v[88:91], v36 offset0:101 offset1:102
	buffer_load_dword v97, off, s[0:3], 0 offset:396
	buffer_load_dword v96, off, s[0:3], 0 offset:392
	;; [unrolled: 1-line block ×16, first 2 shown]
	v_mul_f32_e32 v15, v15, v38
	v_add_f32_e32 v18, v18, v19
	v_fma_f32 v14, v14, v119, -v15
	v_mul_f32_e32 v1, v17, v1
	v_add_f32_e32 v14, v18, v14
	v_fma_f32 v1, v16, v118, -v1
	;; [unrolled: 3-line block ×3, first 2 shown]
	v_add_f32_e32 v1, v1, v10
	v_mul_f32_e32 v10, v13, v43
	v_fma_f32 v10, v12, v124, -v10
	v_mul_f32_e32 v7, v7, v92
	v_add_f32_e32 v1, v1, v10
	v_fma_f32 v6, v6, v123, -v7
	v_add_f32_e32 v1, v1, v6
	v_mul_f32_e32 v6, v9, v94
	v_fma_f32 v6, v8, v122, -v6
	v_mul_f32_e32 v3, v3, v102
	v_add_f32_e32 v1, v1, v6
	v_fma_f32 v2, v2, v121, -v3
	v_add_f32_e32 v1, v1, v2
	v_mul_f32_e32 v2, v5, v130
	v_fma_f32 v2, v4, v131, -v2
	v_add_f32_e32 v1, v1, v2
	v_mul_f32_e32 v2, v27, v132
	;; [unrolled: 3-line block ×25, first 2 shown]
	v_fma_f32 v2, v82, v235, -v2
	v_add_f32_e32 v1, v1, v2
	s_waitcnt vmcnt(22) lgkmcnt(1)
	v_mul_f32_e32 v2, v85, v238
	v_mul_f32_e32 v95, v84, v238
	v_fma_f32 v2, v84, v237, -v2
	v_fmac_f32_e32 v95, v85, v237
	v_add_f32_e32 v1, v1, v2
	s_waitcnt vmcnt(20)
	v_mul_f32_e32 v2, v87, v240
	v_add_f32_e32 v93, v93, v95
	v_mul_f32_e32 v95, v86, v240
	v_fma_f32 v2, v86, v239, -v2
	v_fmac_f32_e32 v95, v87, v239
	v_add_f32_e32 v92, v1, v2
	ds_read2_b64 v[2:5], v36 offset0:103 offset1:104
	ds_read2_b64 v[6:9], v36 offset0:105 offset1:106
	;; [unrolled: 1-line block ×4, first 2 shown]
	v_add_f32_e32 v93, v93, v95
	s_waitcnt vmcnt(18) lgkmcnt(4)
	v_mul_f32_e32 v95, v88, v242
	v_mul_f32_e32 v1, v89, v242
	s_waitcnt vmcnt(11)
	v_mov_b32_e32 v20, v101
	v_fmac_f32_e32 v95, v89, v241
	v_mul_f32_e32 v103, v90, v244
	v_fma_f32 v94, v88, v241, -v1
	v_mul_f32_e32 v1, v91, v244
	s_waitcnt lgkmcnt(3)
	v_pk_mul_f32 v[20:21], v[2:3], v[20:21] op_sel_hi:[1,0]
	v_fmac_f32_e32 v103, v91, v243
	v_fma_f32 v102, v90, v243, -v1
	v_pk_add_f32 v[18:19], v[92:93], v[94:95]
	s_waitcnt vmcnt(10)
	v_pk_fma_f32 v[22:23], v[2:3], v[100:101], v[20:21] op_sel:[0,0,1] op_sel_hi:[1,1,0] neg_lo:[0,0,1] neg_hi:[0,0,1]
	v_pk_fma_f32 v[2:3], v[2:3], v[100:101], v[20:21] op_sel:[0,0,1] op_sel_hi:[1,0,0]
	v_pk_add_f32 v[18:19], v[18:19], v[102:103]
	v_mov_b32_e32 v23, v3
	v_pk_add_f32 v[2:3], v[18:19], v[22:23]
	v_mov_b32_e32 v18, v99
	v_pk_mul_f32 v[18:19], v[4:5], v[18:19] op_sel_hi:[1,0]
	v_pk_fma_f32 v[20:21], v[4:5], v[98:99], v[18:19] op_sel:[0,0,1] op_sel_hi:[1,1,0] neg_lo:[0,0,1] neg_hi:[0,0,1]
	v_pk_fma_f32 v[4:5], v[4:5], v[98:99], v[18:19] op_sel:[0,0,1] op_sel_hi:[1,0,0]
	v_mov_b32_e32 v4, v97
	v_mov_b32_e32 v21, v5
	s_waitcnt lgkmcnt(2)
	v_pk_mul_f32 v[4:5], v[6:7], v[4:5] op_sel_hi:[1,0]
	v_pk_fma_f32 v[18:19], v[6:7], v[96:97], v[4:5] op_sel:[0,0,1] op_sel_hi:[1,1,0] neg_lo:[0,0,1] neg_hi:[0,0,1]
	v_pk_fma_f32 v[4:5], v[6:7], v[96:97], v[4:5] op_sel:[0,0,1] op_sel_hi:[1,0,0]
	s_waitcnt vmcnt(3)
	v_mov_b32_e32 v4, v111
	v_mov_b32_e32 v19, v5
	v_pk_mul_f32 v[4:5], v[8:9], v[4:5] op_sel_hi:[1,0]
	s_waitcnt vmcnt(2)
	v_pk_fma_f32 v[6:7], v[8:9], v[110:111], v[4:5] op_sel:[0,0,1] op_sel_hi:[1,1,0] neg_lo:[0,0,1] neg_hi:[0,0,1]
	v_pk_fma_f32 v[4:5], v[8:9], v[110:111], v[4:5] op_sel:[0,0,1] op_sel_hi:[1,0,0]
	v_pk_add_f32 v[2:3], v[2:3], v[20:21]
	v_mov_b32_e32 v4, v109
	v_pk_add_f32 v[2:3], v[2:3], v[18:19]
	v_mov_b32_e32 v7, v5
	s_waitcnt lgkmcnt(1)
	v_pk_mul_f32 v[4:5], v[10:11], v[4:5] op_sel_hi:[1,0]
	v_pk_add_f32 v[2:3], v[2:3], v[6:7]
	v_pk_fma_f32 v[6:7], v[10:11], v[108:109], v[4:5] op_sel:[0,0,1] op_sel_hi:[1,1,0] neg_lo:[0,0,1] neg_hi:[0,0,1]
	v_pk_fma_f32 v[4:5], v[10:11], v[108:109], v[4:5] op_sel:[0,0,1] op_sel_hi:[1,0,0]
	v_mov_b32_e32 v4, v107
	v_mov_b32_e32 v7, v5
	v_pk_mul_f32 v[4:5], v[12:13], v[4:5] op_sel_hi:[1,0]
	v_pk_add_f32 v[2:3], v[2:3], v[6:7]
	v_pk_fma_f32 v[6:7], v[12:13], v[106:107], v[4:5] op_sel:[0,0,1] op_sel_hi:[1,1,0] neg_lo:[0,0,1] neg_hi:[0,0,1]
	v_pk_fma_f32 v[4:5], v[12:13], v[106:107], v[4:5] op_sel:[0,0,1] op_sel_hi:[1,0,0]
	v_mov_b32_e32 v4, v105
	v_mov_b32_e32 v7, v5
	s_waitcnt lgkmcnt(0)
	v_pk_mul_f32 v[4:5], v[14:15], v[4:5] op_sel_hi:[1,0]
	v_pk_add_f32 v[2:3], v[2:3], v[6:7]
	v_pk_fma_f32 v[6:7], v[14:15], v[104:105], v[4:5] op_sel:[0,0,1] op_sel_hi:[1,1,0] neg_lo:[0,0,1] neg_hi:[0,0,1]
	v_pk_fma_f32 v[4:5], v[14:15], v[104:105], v[4:5] op_sel:[0,0,1] op_sel_hi:[1,0,0]
	s_waitcnt vmcnt(1)
	v_mov_b32_e32 v4, v113
	v_mov_b32_e32 v7, v5
	v_pk_mul_f32 v[4:5], v[16:17], v[4:5] op_sel_hi:[1,0]
	v_pk_add_f32 v[2:3], v[2:3], v[6:7]
	s_waitcnt vmcnt(0)
	v_pk_fma_f32 v[6:7], v[16:17], v[112:113], v[4:5] op_sel:[0,0,1] op_sel_hi:[1,1,0] neg_lo:[0,0,1] neg_hi:[0,0,1]
	v_pk_fma_f32 v[4:5], v[16:17], v[112:113], v[4:5] op_sel:[0,0,1] op_sel_hi:[1,0,0]
	v_mov_b32_e32 v7, v5
	v_pk_add_f32 v[2:3], v[2:3], v[6:7]
	v_pk_add_f32 v[2:3], v[34:35], v[2:3] neg_lo:[0,1] neg_hi:[0,1]
	buffer_store_dword v3, off, s[0:3], 0 offset:52
	buffer_store_dword v2, off, s[0:3], 0 offset:48
	s_and_saveexec_b64 s[4:5], vcc
	s_cbranch_execz .LBB118_333
; %bb.332:
	buffer_load_dword v2, off, s[0:3], 0 offset:40
	buffer_load_dword v3, off, s[0:3], 0 offset:44
	v_mov_b32_e32 v1, 0
	buffer_store_dword v1, off, s[0:3], 0 offset:40
	buffer_store_dword v1, off, s[0:3], 0 offset:44
	s_waitcnt vmcnt(2)
	ds_write_b64 v153, v[2:3]
.LBB118_333:
	s_or_b64 exec, exec, s[4:5]
	v_mov_b32_e32 v220, 0
	s_waitcnt lgkmcnt(0)
	; wave barrier
	s_waitcnt lgkmcnt(0)
	ds_read_b128 v[2:5], v220 offset:496
	buffer_load_dword v86, off, s[0:3], 0 offset:40
	buffer_load_dword v87, off, s[0:3], 0 offset:44
	;; [unrolled: 1-line block ×16, first 2 shown]
	v_cmp_lt_u32_e32 vcc, 4, v0
	s_waitcnt vmcnt(12) lgkmcnt(0)
	v_mul_f32_e32 v1, v2, v221
	v_fmac_f32_e32 v1, v3, v88
	s_waitcnt vmcnt(10)
	v_mul_f32_e32 v6, v4, v223
	v_add_f32_e32 v1, 0, v1
	v_fmac_f32_e32 v6, v5, v90
	v_add_f32_e32 v1, v1, v6
	ds_read_b128 v[6:9], v220 offset:512
	v_mul_f32_e32 v3, v3, v221
	v_fma_f32 v2, v2, v88, -v3
	v_mul_f32_e32 v3, v5, v223
	v_add_f32_e32 v2, 0, v2
	s_waitcnt vmcnt(8) lgkmcnt(0)
	v_mul_f32_e32 v10, v6, v225
	v_fmac_f32_e32 v10, v7, v204
	v_add_f32_e32 v1, v1, v10
	s_waitcnt vmcnt(6)
	v_mul_f32_e32 v10, v8, v227
	v_fmac_f32_e32 v10, v9, v222
	v_add_f32_e32 v1, v1, v10
	ds_read_b128 v[10:13], v220 offset:528
	v_fma_f32 v3, v4, v90, -v3
	v_add_f32_e32 v2, v2, v3
	v_mul_f32_e32 v3, v7, v225
	v_fma_f32 v3, v6, v204, -v3
	s_waitcnt vmcnt(4) lgkmcnt(0)
	v_mul_f32_e32 v14, v10, v229
	v_fmac_f32_e32 v14, v11, v224
	v_add_f32_e32 v1, v1, v14
	s_waitcnt vmcnt(2)
	v_mul_f32_e32 v14, v12, v230
	v_fmac_f32_e32 v14, v13, v226
	v_add_f32_e32 v1, v1, v14
	ds_read_b128 v[14:17], v220 offset:544
	buffer_load_dword v232, off, s[0:3], 0 offset:104
	buffer_load_dword v233, off, s[0:3], 0 offset:108
	v_add_f32_e32 v2, v2, v3
	v_mul_f32_e32 v3, v9, v227
	v_fma_f32 v3, v8, v222, -v3
	s_waitcnt vmcnt(2) lgkmcnt(0)
	v_mul_f32_e32 v18, v14, v231
	v_fmac_f32_e32 v18, v15, v228
	v_add_f32_e32 v1, v1, v18
	v_add_f32_e32 v2, v2, v3
	v_mul_f32_e32 v3, v11, v229
	v_fma_f32 v3, v10, v224, -v3
	v_add_f32_e32 v2, v2, v3
	v_mul_f32_e32 v3, v13, v230
	v_fma_f32 v3, v12, v226, -v3
	;; [unrolled: 3-line block ×3, first 2 shown]
	v_add_f32_e32 v2, v2, v3
	s_waitcnt vmcnt(0)
	v_mul_f32_e32 v18, v16, v233
	v_fmac_f32_e32 v18, v17, v232
	v_add_f32_e32 v1, v1, v18
	ds_read_b128 v[18:21], v220 offset:560
	buffer_load_dword v234, off, s[0:3], 0 offset:112
	buffer_load_dword v235, off, s[0:3], 0 offset:116
	;; [unrolled: 1-line block ×4, first 2 shown]
	v_mul_f32_e32 v3, v17, v233
	v_fma_f32 v3, v16, v232, -v3
	v_add_f32_e32 v2, v2, v3
	s_waitcnt vmcnt(2) lgkmcnt(0)
	v_mul_f32_e32 v22, v18, v235
	v_fmac_f32_e32 v22, v19, v234
	v_add_f32_e32 v1, v1, v22
	s_waitcnt vmcnt(0)
	v_mul_f32_e32 v22, v20, v237
	v_fmac_f32_e32 v22, v21, v236
	v_add_f32_e32 v1, v1, v22
	ds_read_b128 v[22:25], v220 offset:576
	buffer_load_dword v238, off, s[0:3], 0 offset:128
	buffer_load_dword v239, off, s[0:3], 0 offset:132
	v_mul_f32_e32 v3, v19, v235
	v_fma_f32 v3, v18, v234, -v3
	v_add_f32_e32 v2, v2, v3
	v_mul_f32_e32 v3, v21, v237
	v_fma_f32 v3, v20, v236, -v3
	v_add_f32_e32 v2, v2, v3
	s_waitcnt vmcnt(0) lgkmcnt(0)
	v_mul_f32_e32 v26, v22, v239
	v_fmac_f32_e32 v26, v23, v238
	v_add_f32_e32 v26, v1, v26
	buffer_load_dword v240, off, s[0:3], 0 offset:136
	buffer_load_dword v1, off, s[0:3], 0 offset:140
	v_mul_f32_e32 v3, v23, v239
	v_fma_f32 v3, v22, v238, -v3
	v_add_f32_e32 v2, v2, v3
	s_waitcnt vmcnt(0)
	v_mul_f32_e32 v27, v24, v1
	v_fmac_f32_e32 v27, v25, v240
	v_add_f32_e32 v30, v26, v27
	ds_read_b128 v[26:29], v220 offset:592
	buffer_load_dword v94, off, s[0:3], 0 offset:144
	buffer_load_dword v95, off, s[0:3], 0 offset:148
	;; [unrolled: 1-line block ×4, first 2 shown]
	v_mul_f32_e32 v1, v25, v1
	v_fma_f32 v1, v24, v240, -v1
	v_add_f32_e32 v1, v2, v1
	s_waitcnt vmcnt(2) lgkmcnt(0)
	v_mul_f32_e32 v31, v26, v95
	v_fmac_f32_e32 v31, v27, v94
	v_add_f32_e32 v30, v30, v31
	s_waitcnt vmcnt(0)
	v_mul_f32_e32 v31, v28, v97
	v_fmac_f32_e32 v31, v29, v96
	v_add_f32_e32 v34, v30, v31
	ds_read_b128 v[30:33], v220 offset:608
	buffer_load_dword v98, off, s[0:3], 0 offset:160
	buffer_load_dword v99, off, s[0:3], 0 offset:164
	buffer_load_dword v100, off, s[0:3], 0 offset:168
	buffer_load_dword v101, off, s[0:3], 0 offset:172
	ds_read_b128 v[38:41], v220 offset:624
	buffer_load_dword v102, off, s[0:3], 0 offset:176
	buffer_load_dword v103, off, s[0:3], 0 offset:180
	buffer_load_dword v104, off, s[0:3], 0 offset:184
	buffer_load_dword v105, off, s[0:3], 0 offset:188
	;; [unrolled: 5-line block ×13, first 2 shown]
	v_mul_f32_e32 v2, v27, v95
	v_fma_f32 v2, v26, v94, -v2
	v_add_f32_e32 v1, v1, v2
	v_mul_f32_e32 v2, v29, v97
	v_fma_f32 v2, v28, v96, -v2
	v_add_f32_e32 v1, v1, v2
	s_waitcnt vmcnt(50) lgkmcnt(12)
	v_mul_f32_e32 v35, v30, v99
	v_fmac_f32_e32 v35, v31, v98
	v_add_f32_e32 v34, v34, v35
	s_waitcnt vmcnt(48)
	v_mul_f32_e32 v35, v32, v101
	v_fmac_f32_e32 v35, v33, v100
	v_add_f32_e32 v34, v34, v35
	s_waitcnt vmcnt(46) lgkmcnt(11)
	v_mul_f32_e32 v35, v38, v103
	v_fmac_f32_e32 v35, v39, v102
	v_add_f32_e32 v34, v34, v35
	s_waitcnt vmcnt(44)
	v_mul_f32_e32 v35, v40, v105
	v_fmac_f32_e32 v35, v41, v104
	;; [unrolled: 8-line block ×12, first 2 shown]
	v_add_f32_e32 v34, v34, v35
	s_waitcnt vmcnt(2) lgkmcnt(0)
	v_mul_f32_e32 v35, v82, v141
	v_fmac_f32_e32 v35, v83, v140
	v_add_f32_e32 v89, v34, v35
	ds_read_b128 v[34:37], v220 offset:816
	buffer_load_dword v249, off, s[0:3], 0 offset:368
	buffer_load_dword v250, off, s[0:3], 0 offset:372
	;; [unrolled: 1-line block ×18, first 2 shown]
	v_mul_f32_e32 v2, v31, v99
	v_fma_f32 v2, v30, v98, -v2
	v_add_f32_e32 v1, v1, v2
	v_mul_f32_e32 v2, v33, v101
	v_fma_f32 v2, v32, v100, -v2
	v_add_f32_e32 v1, v1, v2
	;; [unrolled: 3-line block ×24, first 2 shown]
	v_mul_f32_e32 v2, v83, v141
	v_fma_f32 v2, v82, v140, -v2
	s_waitcnt vmcnt(15)
	v_mov_b32_e32 v18, v93
	v_mul_f32_e32 v91, v84, v248
	v_add_f32_e32 v88, v1, v2
	v_mul_f32_e32 v1, v85, v248
	s_waitcnt lgkmcnt(0)
	v_pk_mul_f32 v[18:19], v[36:37], v[18:19] op_sel_hi:[1,0]
	v_fmac_f32_e32 v91, v85, v247
	v_mul_f32_e32 v205, v34, v250
	v_fma_f32 v90, v84, v247, -v1
	v_mul_f32_e32 v1, v35, v250
	ds_read_b128 v[2:5], v220 offset:832
	ds_read_b128 v[6:9], v220 offset:848
	;; [unrolled: 1-line block ×3, first 2 shown]
	ds_read_b64 v[14:15], v220 offset:880
	s_waitcnt vmcnt(14)
	v_pk_fma_f32 v[20:21], v[36:37], v[92:93], v[18:19] op_sel:[0,0,1] op_sel_hi:[1,1,0] neg_lo:[0,0,1] neg_hi:[0,0,1]
	v_pk_fma_f32 v[18:19], v[36:37], v[92:93], v[18:19] op_sel:[0,0,1] op_sel_hi:[1,0,0]
	v_fmac_f32_e32 v205, v35, v249
	v_fma_f32 v204, v34, v249, -v1
	v_pk_add_f32 v[16:17], v[88:89], v[90:91]
	s_waitcnt vmcnt(13)
	v_mov_b32_e32 v18, v219
	v_pk_add_f32 v[16:17], v[16:17], v[204:205]
	v_mov_b32_e32 v21, v19
	s_waitcnt lgkmcnt(3)
	v_pk_mul_f32 v[18:19], v[2:3], v[18:19] op_sel_hi:[1,0]
	v_pk_add_f32 v[16:17], v[16:17], v[20:21]
	s_waitcnt vmcnt(12)
	v_pk_fma_f32 v[20:21], v[2:3], v[218:219], v[18:19] op_sel:[0,0,1] op_sel_hi:[1,1,0] neg_lo:[0,0,1] neg_hi:[0,0,1]
	v_pk_fma_f32 v[2:3], v[2:3], v[218:219], v[18:19] op_sel:[0,0,1] op_sel_hi:[1,0,0]
	v_mov_b32_e32 v21, v3
	v_pk_add_f32 v[2:3], v[16:17], v[20:21]
	s_waitcnt vmcnt(11)
	v_mov_b32_e32 v16, v217
	v_pk_mul_f32 v[16:17], v[4:5], v[16:17] op_sel_hi:[1,0]
	s_waitcnt vmcnt(10)
	v_pk_fma_f32 v[18:19], v[4:5], v[216:217], v[16:17] op_sel:[0,0,1] op_sel_hi:[1,1,0] neg_lo:[0,0,1] neg_hi:[0,0,1]
	v_pk_fma_f32 v[4:5], v[4:5], v[216:217], v[16:17] op_sel:[0,0,1] op_sel_hi:[1,0,0]
	s_waitcnt vmcnt(9)
	v_mov_b32_e32 v4, v215
	v_mov_b32_e32 v19, v5
	s_waitcnt lgkmcnt(2)
	v_pk_mul_f32 v[4:5], v[6:7], v[4:5] op_sel_hi:[1,0]
	s_waitcnt vmcnt(8)
	v_pk_fma_f32 v[16:17], v[6:7], v[214:215], v[4:5] op_sel:[0,0,1] op_sel_hi:[1,1,0] neg_lo:[0,0,1] neg_hi:[0,0,1]
	v_pk_fma_f32 v[4:5], v[6:7], v[214:215], v[4:5] op_sel:[0,0,1] op_sel_hi:[1,0,0]
	s_waitcnt vmcnt(7)
	v_mov_b32_e32 v4, v213
	v_mov_b32_e32 v17, v5
	v_pk_mul_f32 v[4:5], v[8:9], v[4:5] op_sel_hi:[1,0]
	s_waitcnt vmcnt(6)
	v_pk_fma_f32 v[6:7], v[8:9], v[212:213], v[4:5] op_sel:[0,0,1] op_sel_hi:[1,1,0] neg_lo:[0,0,1] neg_hi:[0,0,1]
	v_pk_fma_f32 v[4:5], v[8:9], v[212:213], v[4:5] op_sel:[0,0,1] op_sel_hi:[1,0,0]
	v_pk_add_f32 v[2:3], v[2:3], v[18:19]
	s_waitcnt vmcnt(5)
	v_mov_b32_e32 v4, v211
	v_pk_add_f32 v[2:3], v[2:3], v[16:17]
	v_mov_b32_e32 v7, v5
	s_waitcnt lgkmcnt(1)
	v_pk_mul_f32 v[4:5], v[10:11], v[4:5] op_sel_hi:[1,0]
	v_pk_add_f32 v[2:3], v[2:3], v[6:7]
	s_waitcnt vmcnt(4)
	v_pk_fma_f32 v[6:7], v[10:11], v[210:211], v[4:5] op_sel:[0,0,1] op_sel_hi:[1,1,0] neg_lo:[0,0,1] neg_hi:[0,0,1]
	v_pk_fma_f32 v[4:5], v[10:11], v[210:211], v[4:5] op_sel:[0,0,1] op_sel_hi:[1,0,0]
	s_waitcnt vmcnt(3)
	v_mov_b32_e32 v4, v209
	v_mov_b32_e32 v7, v5
	v_pk_mul_f32 v[4:5], v[12:13], v[4:5] op_sel_hi:[1,0]
	v_pk_add_f32 v[2:3], v[2:3], v[6:7]
	s_waitcnt vmcnt(2)
	v_pk_fma_f32 v[6:7], v[12:13], v[208:209], v[4:5] op_sel:[0,0,1] op_sel_hi:[1,1,0] neg_lo:[0,0,1] neg_hi:[0,0,1]
	v_pk_fma_f32 v[4:5], v[12:13], v[208:209], v[4:5] op_sel:[0,0,1] op_sel_hi:[1,0,0]
	s_waitcnt vmcnt(1)
	v_mov_b32_e32 v4, v207
	v_mov_b32_e32 v7, v5
	s_waitcnt lgkmcnt(0)
	v_pk_mul_f32 v[4:5], v[14:15], v[4:5] op_sel_hi:[1,0]
	v_pk_add_f32 v[2:3], v[2:3], v[6:7]
	s_waitcnt vmcnt(0)
	v_pk_fma_f32 v[6:7], v[14:15], v[206:207], v[4:5] op_sel:[0,0,1] op_sel_hi:[1,1,0] neg_lo:[0,0,1] neg_hi:[0,0,1]
	v_pk_fma_f32 v[4:5], v[14:15], v[206:207], v[4:5] op_sel:[0,0,1] op_sel_hi:[1,0,0]
	v_mov_b32_e32 v7, v5
	v_pk_add_f32 v[2:3], v[2:3], v[6:7]
	v_pk_add_f32 v[2:3], v[86:87], v[2:3] neg_lo:[0,1] neg_hi:[0,1]
	buffer_store_dword v3, off, s[0:3], 0 offset:44
	buffer_store_dword v2, off, s[0:3], 0 offset:40
	s_and_saveexec_b64 s[4:5], vcc
	s_cbranch_execz .LBB118_335
; %bb.334:
	buffer_load_dword v2, off, s[0:3], 0 offset:32
	buffer_load_dword v3, off, s[0:3], 0 offset:36
	s_waitcnt vmcnt(0)
	ds_write_b64 v153, v[2:3]
	buffer_store_dword v220, off, s[0:3], 0 offset:32
	buffer_store_dword v220, off, s[0:3], 0 offset:36
.LBB118_335:
	s_or_b64 exec, exec, s[4:5]
	s_waitcnt lgkmcnt(0)
	; wave barrier
	s_waitcnt lgkmcnt(0)
	buffer_load_dword v40, off, s[0:3], 0 offset:44
	buffer_load_dword v39, off, s[0:3], 0 offset:52
	;; [unrolled: 1-line block ×32, first 2 shown]
	ds_read2_b64 v[22:25], v220 offset0:61 offset1:62
	ds_read2_b64 v[18:21], v220 offset0:63 offset1:64
	;; [unrolled: 1-line block ×6, first 2 shown]
	buffer_load_dword v140, off, s[0:3], 0 offset:160
	buffer_load_dword v141, off, s[0:3], 0 offset:164
	buffer_load_dword v204, off, s[0:3], 0 offset:168
	buffer_load_dword v205, off, s[0:3], 0 offset:172
	buffer_load_dword v206, off, s[0:3], 0 offset:176
	buffer_load_dword v207, off, s[0:3], 0 offset:180
	buffer_load_dword v208, off, s[0:3], 0 offset:184
	buffer_load_dword v209, off, s[0:3], 0 offset:188
	buffer_load_dword v210, off, s[0:3], 0 offset:192
	buffer_load_dword v211, off, s[0:3], 0 offset:196
	buffer_load_dword v212, off, s[0:3], 0 offset:200
	buffer_load_dword v213, off, s[0:3], 0 offset:204
	buffer_load_dword v214, off, s[0:3], 0 offset:208
	buffer_load_dword v215, off, s[0:3], 0 offset:212
	buffer_load_dword v216, off, s[0:3], 0 offset:216
	buffer_load_dword v217, off, s[0:3], 0 offset:220
	buffer_load_dword v218, off, s[0:3], 0 offset:224
	buffer_load_dword v219, off, s[0:3], 0 offset:228
	buffer_load_dword v221, off, s[0:3], 0 offset:232
	buffer_load_dword v222, off, s[0:3], 0 offset:236
	v_cmp_lt_u32_e32 vcc, 3, v0
	s_waitcnt vmcnt(51) lgkmcnt(5)
	v_mul_f32_e32 v26, v22, v40
	s_waitcnt vmcnt(50)
	v_mul_f32_e32 v27, v24, v39
	s_waitcnt vmcnt(49) lgkmcnt(4)
	v_mul_f32_e32 v29, v20, v38
	s_waitcnt vmcnt(48) lgkmcnt(3)
	v_mul_f32_e32 v30, v14, v37
	s_waitcnt vmcnt(47)
	v_mul_f32_e32 v31, v16, v36
	s_waitcnt vmcnt(46) lgkmcnt(2)
	v_mul_f32_e32 v32, v10, v1
	s_waitcnt vmcnt(45)
	v_mul_f32_e32 v28, v18, v41
	s_waitcnt vmcnt(44)
	v_mul_f32_e32 v33, v12, v42
	s_waitcnt vmcnt(43) lgkmcnt(1)
	v_mul_f32_e32 v47, v6, v43
	s_waitcnt vmcnt(42)
	v_mul_f32_e32 v48, v8, v44
	s_waitcnt vmcnt(41) lgkmcnt(0)
	v_mul_f32_e32 v49, v2, v45
	s_waitcnt vmcnt(40)
	v_mul_f32_e32 v50, v4, v46
	s_waitcnt vmcnt(39)
	v_fmac_f32_e32 v28, v19, v106
	s_waitcnt vmcnt(38)
	v_fmac_f32_e32 v27, v25, v108
	;; [unrolled: 2-line block ×3, first 2 shown]
	v_add_f32_e32 v26, 0, v26
	v_add_f32_e32 v26, v26, v27
	;; [unrolled: 1-line block ×3, first 2 shown]
	s_waitcnt vmcnt(33)
	v_fmac_f32_e32 v29, v21, v128
	v_fmac_f32_e32 v30, v15, v127
	v_add_f32_e32 v26, v26, v29
	v_fmac_f32_e32 v31, v17, v126
	v_add_f32_e32 v26, v26, v30
	;; [unrolled: 2-line block ×3, first 2 shown]
	s_waitcnt vmcnt(29)
	v_fmac_f32_e32 v33, v13, v132
	v_add_f32_e32 v26, v26, v32
	v_fmac_f32_e32 v47, v7, v131
	v_add_f32_e32 v26, v26, v33
	;; [unrolled: 2-line block ×4, first 2 shown]
	v_add_f32_e32 v30, v26, v49
	ds_read2_b64 v[26:29], v220 offset0:73 offset1:74
	buffer_load_dword v223, off, s[0:3], 0 offset:240
	buffer_load_dword v224, off, s[0:3], 0 offset:244
	;; [unrolled: 1-line block ×4, first 2 shown]
	s_waitcnt vmcnt(28)
	v_fmac_f32_e32 v50, v5, v137
	v_add_f32_e32 v47, v30, v50
	ds_read2_b64 v[30:33], v220 offset0:75 offset1:76
	buffer_load_dword v227, off, s[0:3], 0 offset:256
	buffer_load_dword v228, off, s[0:3], 0 offset:260
	buffer_load_dword v229, off, s[0:3], 0 offset:264
	buffer_load_dword v230, off, s[0:3], 0 offset:268
	buffer_load_dword v231, off, s[0:3], 0 offset:272
	buffer_load_dword v232, off, s[0:3], 0 offset:276
	buffer_load_dword v233, off, s[0:3], 0 offset:280
	buffer_load_dword v234, off, s[0:3], 0 offset:284
	buffer_load_dword v235, off, s[0:3], 0 offset:288
	buffer_load_dword v236, off, s[0:3], 0 offset:292
	buffer_load_dword v237, off, s[0:3], 0 offset:296
	buffer_load_dword v238, off, s[0:3], 0 offset:300
	s_waitcnt vmcnt(39) lgkmcnt(1)
	v_mul_f32_e32 v48, v26, v138
	v_fmac_f32_e32 v48, v27, v136
	buffer_load_dword v239, off, s[0:3], 0 offset:304
	buffer_load_dword v240, off, s[0:3], 0 offset:308
	v_add_f32_e32 v47, v47, v48
	s_waitcnt vmcnt(40)
	v_mul_f32_e32 v48, v28, v139
	v_fmac_f32_e32 v48, v29, v135
	buffer_load_dword v241, off, s[0:3], 0 offset:312
	buffer_load_dword v242, off, s[0:3], 0 offset:316
	v_add_f32_e32 v47, v47, v48
	s_waitcnt lgkmcnt(0)
	v_mul_f32_e32 v48, v30, v134
	v_fmac_f32_e32 v48, v31, v133
	v_add_f32_e32 v47, v47, v48
	ds_read2_b64 v[48:51], v220 offset0:77 offset1:78
	buffer_load_dword v243, off, s[0:3], 0 offset:320
	buffer_load_dword v244, off, s[0:3], 0 offset:324
	s_waitcnt vmcnt(40)
	v_mul_f32_e32 v52, v32, v141
	v_fmac_f32_e32 v52, v33, v140
	v_add_f32_e32 v47, v47, v52
	ds_read2_b64 v[52:55], v220 offset0:79 offset1:80
	buffer_load_dword v245, off, s[0:3], 0 offset:328
	buffer_load_dword v246, off, s[0:3], 0 offset:332
	;; [unrolled: 1-line block ×8, first 2 shown]
	s_waitcnt vmcnt(46) lgkmcnt(1)
	v_mul_f32_e32 v56, v48, v205
	v_fmac_f32_e32 v56, v49, v204
	v_add_f32_e32 v47, v47, v56
	s_waitcnt vmcnt(44)
	v_mul_f32_e32 v56, v50, v207
	v_fmac_f32_e32 v56, v51, v206
	v_add_f32_e32 v47, v47, v56
	s_waitcnt vmcnt(42) lgkmcnt(0)
	v_mul_f32_e32 v56, v52, v209
	v_fmac_f32_e32 v56, v53, v208
	v_add_f32_e32 v47, v47, v56
	buffer_load_dword v253, off, s[0:3], 0 offset:360
	buffer_load_dword v254, off, s[0:3], 0 offset:364
	;; [unrolled: 1-line block ×4, first 2 shown]
	ds_read2_b64 v[56:59], v220 offset0:81 offset1:82
	s_waitcnt vmcnt(44)
	v_mul_f32_e32 v60, v54, v211
	v_fmac_f32_e32 v60, v55, v210
	v_add_f32_e32 v47, v47, v60
	ds_read2_b64 v[60:63], v220 offset0:83 offset1:84
	s_waitcnt vmcnt(42) lgkmcnt(1)
	v_mul_f32_e32 v64, v56, v213
	v_fmac_f32_e32 v64, v57, v212
	v_add_f32_e32 v47, v47, v64
	s_waitcnt vmcnt(40)
	v_mul_f32_e32 v64, v58, v215
	v_fmac_f32_e32 v64, v59, v214
	v_add_f32_e32 v47, v47, v64
	s_waitcnt vmcnt(38) lgkmcnt(0)
	v_mul_f32_e32 v64, v60, v217
	v_fmac_f32_e32 v64, v61, v216
	v_add_f32_e32 v47, v47, v64
	ds_read2_b64 v[64:67], v220 offset0:85 offset1:86
	s_waitcnt vmcnt(36)
	v_mul_f32_e32 v68, v62, v219
	v_fmac_f32_e32 v68, v63, v218
	v_add_f32_e32 v47, v47, v68
	ds_read2_b64 v[68:71], v220 offset0:87 offset1:88
	s_waitcnt vmcnt(34) lgkmcnt(1)
	v_mul_f32_e32 v72, v64, v222
	v_fmac_f32_e32 v72, v65, v221
	v_add_f32_e32 v47, v47, v72
	v_mul_f32_e32 v23, v23, v40
	v_fma_f32 v22, v22, v124, -v23
	v_mul_f32_e32 v23, v25, v39
	v_add_f32_e32 v22, 0, v22
	v_fma_f32 v23, v24, v108, -v23
	v_mul_f32_e32 v19, v19, v41
	v_add_f32_e32 v22, v22, v23
	;; [unrolled: 3-line block ×5, first 2 shown]
	s_waitcnt vmcnt(32)
	v_mul_f32_e32 v72, v66, v224
	v_fmac_f32_e32 v72, v67, v223
	v_add_f32_e32 v47, v47, v72
	s_waitcnt vmcnt(30) lgkmcnt(0)
	v_mul_f32_e32 v72, v68, v226
	v_fmac_f32_e32 v72, v69, v225
	v_add_f32_e32 v47, v47, v72
	ds_read2_b64 v[72:75], v220 offset0:89 offset1:90
	s_waitcnt vmcnt(28)
	v_mul_f32_e32 v76, v70, v228
	v_fmac_f32_e32 v76, v71, v227
	v_add_f32_e32 v47, v47, v76
	ds_read2_b64 v[76:79], v220 offset0:91 offset1:92
	s_waitcnt vmcnt(26) lgkmcnt(1)
	v_mul_f32_e32 v80, v72, v230
	v_fmac_f32_e32 v80, v73, v229
	v_add_f32_e32 v47, v47, v80
	s_waitcnt vmcnt(24)
	v_mul_f32_e32 v80, v74, v232
	v_fmac_f32_e32 v80, v75, v231
	v_add_f32_e32 v47, v47, v80
	s_waitcnt vmcnt(22) lgkmcnt(0)
	v_mul_f32_e32 v80, v76, v234
	v_fmac_f32_e32 v80, v77, v233
	v_add_f32_e32 v47, v47, v80
	ds_read2_b64 v[80:83], v220 offset0:93 offset1:94
	s_waitcnt vmcnt(20)
	v_mul_f32_e32 v84, v78, v236
	v_fmac_f32_e32 v84, v79, v235
	v_add_f32_e32 v47, v47, v84
	ds_read2_b64 v[84:87], v220 offset0:95 offset1:96
	s_waitcnt vmcnt(18) lgkmcnt(1)
	v_mul_f32_e32 v88, v80, v238
	v_fmac_f32_e32 v88, v81, v237
	v_add_f32_e32 v47, v47, v88
	s_waitcnt vmcnt(16)
	v_mul_f32_e32 v88, v82, v240
	v_fmac_f32_e32 v88, v83, v239
	v_add_f32_e32 v47, v47, v88
	s_waitcnt vmcnt(14) lgkmcnt(0)
	v_mul_f32_e32 v88, v84, v242
	v_fmac_f32_e32 v88, v85, v241
	v_add_f32_e32 v47, v47, v88
	ds_read2_b64 v[88:91], v220 offset0:97 offset1:98
	s_waitcnt vmcnt(12)
	v_mul_f32_e32 v92, v86, v244
	v_fmac_f32_e32 v92, v87, v243
	v_add_f32_e32 v47, v47, v92
	ds_read2_b64 v[92:95], v220 offset0:99 offset1:100
	buffer_load_dword v105, off, s[0:3], 0 offset:380
	buffer_load_dword v104, off, s[0:3], 0 offset:376
	s_waitcnt vmcnt(12) lgkmcnt(1)
	v_mul_f32_e32 v96, v88, v246
	v_fmac_f32_e32 v96, v89, v245
	v_add_f32_e32 v47, v47, v96
	s_waitcnt vmcnt(10)
	v_mul_f32_e32 v96, v90, v248
	v_fmac_f32_e32 v96, v91, v247
	v_add_f32_e32 v47, v47, v96
	s_waitcnt vmcnt(8) lgkmcnt(0)
	v_mul_f32_e32 v96, v92, v250
	v_fmac_f32_e32 v96, v93, v249
	s_waitcnt vmcnt(6)
	v_mul_f32_e32 v100, v94, v252
	v_add_f32_e32 v47, v47, v96
	v_fmac_f32_e32 v100, v95, v251
	ds_read2_b64 v[96:99], v220 offset0:101 offset1:102
	v_add_f32_e32 v47, v47, v100
	ds_read2_b64 v[100:103], v220 offset0:103 offset1:104
	buffer_load_dword v111, off, s[0:3], 0 offset:412
	buffer_load_dword v110, off, s[0:3], 0 offset:408
	buffer_load_dword v113, off, s[0:3], 0 offset:404
	buffer_load_dword v112, off, s[0:3], 0 offset:400
	buffer_load_dword v115, off, s[0:3], 0 offset:396
	buffer_load_dword v114, off, s[0:3], 0 offset:392
	buffer_load_dword v117, off, s[0:3], 0 offset:388
	buffer_load_dword v116, off, s[0:3], 0 offset:384
	buffer_load_dword v119, off, s[0:3], 0 offset:436
	buffer_load_dword v118, off, s[0:3], 0 offset:432
	buffer_load_dword v121, off, s[0:3], 0 offset:428
	buffer_load_dword v120, off, s[0:3], 0 offset:424
	buffer_load_dword v123, off, s[0:3], 0 offset:420
	buffer_load_dword v122, off, s[0:3], 0 offset:416
	v_fma_f32 v15, v16, v126, -v15
	v_mul_f32_e32 v1, v11, v1
	v_add_f32_e32 v14, v14, v15
	v_fma_f32 v1, v10, v125, -v1
	v_mul_f32_e32 v10, v13, v42
	v_add_f32_e32 v1, v14, v1
	;; [unrolled: 3-line block ×3, first 2 shown]
	v_fma_f32 v6, v6, v131, -v7
	v_add_f32_e32 v1, v1, v6
	v_mul_f32_e32 v6, v9, v44
	v_fma_f32 v6, v8, v130, -v6
	v_mul_f32_e32 v3, v3, v45
	v_add_f32_e32 v1, v1, v6
	v_fma_f32 v2, v2, v129, -v3
	v_add_f32_e32 v1, v1, v2
	v_mul_f32_e32 v2, v5, v46
	v_fma_f32 v2, v4, v137, -v2
	v_add_f32_e32 v1, v1, v2
	v_mul_f32_e32 v2, v27, v138
	;; [unrolled: 3-line block ×29, first 2 shown]
	v_fma_f32 v2, v94, v251, -v2
	s_waitcnt vmcnt(15)
	v_mov_b32_e32 v16, v105
	s_waitcnt lgkmcnt(1)
	v_mul_f32_e32 v107, v96, v254
	v_add_f32_e32 v46, v1, v2
	v_mul_f32_e32 v1, v97, v254
	s_waitcnt lgkmcnt(0)
	v_pk_mul_f32 v[16:17], v[100:101], v[16:17] op_sel_hi:[1,0]
	v_fmac_f32_e32 v107, v97, v253
	v_mul_f32_e32 v109, v98, v142
	v_fma_f32 v106, v96, v253, -v1
	v_mul_f32_e32 v1, v99, v142
	s_waitcnt vmcnt(14)
	v_pk_fma_f32 v[18:19], v[100:101], v[104:105], v[16:17] op_sel:[0,0,1] op_sel_hi:[1,1,0] neg_lo:[0,0,1] neg_hi:[0,0,1]
	v_pk_fma_f32 v[16:17], v[100:101], v[104:105], v[16:17] op_sel:[0,0,1] op_sel_hi:[1,0,0]
	v_fmac_f32_e32 v109, v99, v255
	v_fma_f32 v108, v98, v255, -v1
	v_pk_add_f32 v[14:15], v[46:47], v[106:107]
	s_waitcnt vmcnt(7)
	v_mov_b32_e32 v16, v117
	ds_read2_b64 v[2:5], v220 offset0:105 offset1:106
	ds_read2_b64 v[6:9], v220 offset0:107 offset1:108
	ds_read2_b64 v[10:13], v220 offset0:109 offset1:110
	v_pk_add_f32 v[14:15], v[14:15], v[108:109]
	v_mov_b32_e32 v19, v17
	v_pk_mul_f32 v[16:17], v[102:103], v[16:17] op_sel_hi:[1,0]
	v_pk_add_f32 v[14:15], v[14:15], v[18:19]
	s_waitcnt vmcnt(6)
	v_pk_fma_f32 v[18:19], v[102:103], v[116:117], v[16:17] op_sel:[0,0,1] op_sel_hi:[1,1,0] neg_lo:[0,0,1] neg_hi:[0,0,1]
	v_pk_fma_f32 v[16:17], v[102:103], v[116:117], v[16:17] op_sel:[0,0,1] op_sel_hi:[1,0,0]
	v_mov_b32_e32 v16, v115
	v_mov_b32_e32 v19, v17
	s_waitcnt lgkmcnt(2)
	v_pk_mul_f32 v[16:17], v[2:3], v[16:17] op_sel_hi:[1,0]
	v_pk_add_f32 v[14:15], v[14:15], v[18:19]
	v_pk_fma_f32 v[18:19], v[2:3], v[114:115], v[16:17] op_sel:[0,0,1] op_sel_hi:[1,1,0] neg_lo:[0,0,1] neg_hi:[0,0,1]
	v_pk_fma_f32 v[2:3], v[2:3], v[114:115], v[16:17] op_sel:[0,0,1] op_sel_hi:[1,0,0]
	v_mov_b32_e32 v19, v3
	v_pk_add_f32 v[2:3], v[14:15], v[18:19]
	v_mov_b32_e32 v14, v113
	v_pk_mul_f32 v[14:15], v[4:5], v[14:15] op_sel_hi:[1,0]
	v_pk_fma_f32 v[16:17], v[4:5], v[112:113], v[14:15] op_sel:[0,0,1] op_sel_hi:[1,1,0] neg_lo:[0,0,1] neg_hi:[0,0,1]
	v_pk_fma_f32 v[4:5], v[4:5], v[112:113], v[14:15] op_sel:[0,0,1] op_sel_hi:[1,0,0]
	v_mov_b32_e32 v4, v111
	v_mov_b32_e32 v17, v5
	s_waitcnt lgkmcnt(1)
	v_pk_mul_f32 v[4:5], v[6:7], v[4:5] op_sel_hi:[1,0]
	v_pk_fma_f32 v[14:15], v[6:7], v[110:111], v[4:5] op_sel:[0,0,1] op_sel_hi:[1,1,0] neg_lo:[0,0,1] neg_hi:[0,0,1]
	v_pk_fma_f32 v[4:5], v[6:7], v[110:111], v[4:5] op_sel:[0,0,1] op_sel_hi:[1,0,0]
	s_waitcnt vmcnt(1)
	v_mov_b32_e32 v4, v123
	v_mov_b32_e32 v15, v5
	v_pk_mul_f32 v[4:5], v[8:9], v[4:5] op_sel_hi:[1,0]
	s_waitcnt vmcnt(0)
	v_pk_fma_f32 v[6:7], v[8:9], v[122:123], v[4:5] op_sel:[0,0,1] op_sel_hi:[1,1,0] neg_lo:[0,0,1] neg_hi:[0,0,1]
	v_pk_fma_f32 v[4:5], v[8:9], v[122:123], v[4:5] op_sel:[0,0,1] op_sel_hi:[1,0,0]
	v_pk_add_f32 v[2:3], v[2:3], v[16:17]
	v_mov_b32_e32 v4, v121
	v_pk_add_f32 v[2:3], v[2:3], v[14:15]
	v_mov_b32_e32 v7, v5
	s_waitcnt lgkmcnt(0)
	v_pk_mul_f32 v[4:5], v[10:11], v[4:5] op_sel_hi:[1,0]
	v_pk_add_f32 v[2:3], v[2:3], v[6:7]
	v_pk_fma_f32 v[6:7], v[10:11], v[120:121], v[4:5] op_sel:[0,0,1] op_sel_hi:[1,1,0] neg_lo:[0,0,1] neg_hi:[0,0,1]
	v_pk_fma_f32 v[4:5], v[10:11], v[120:121], v[4:5] op_sel:[0,0,1] op_sel_hi:[1,0,0]
	v_mov_b32_e32 v4, v119
	v_mov_b32_e32 v7, v5
	v_pk_mul_f32 v[4:5], v[12:13], v[4:5] op_sel_hi:[1,0]
	v_pk_add_f32 v[2:3], v[2:3], v[6:7]
	v_pk_fma_f32 v[6:7], v[12:13], v[118:119], v[4:5] op_sel:[0,0,1] op_sel_hi:[1,1,0] neg_lo:[0,0,1] neg_hi:[0,0,1]
	v_pk_fma_f32 v[4:5], v[12:13], v[118:119], v[4:5] op_sel:[0,0,1] op_sel_hi:[1,0,0]
	v_mov_b32_e32 v7, v5
	v_pk_add_f32 v[2:3], v[2:3], v[6:7]
	v_pk_add_f32 v[2:3], v[34:35], v[2:3] neg_lo:[0,1] neg_hi:[0,1]
	buffer_store_dword v3, off, s[0:3], 0 offset:36
	buffer_store_dword v2, off, s[0:3], 0 offset:32
	s_and_saveexec_b64 s[4:5], vcc
	s_cbranch_execz .LBB118_337
; %bb.336:
	buffer_load_dword v2, off, s[0:3], 0 offset:24
	buffer_load_dword v3, off, s[0:3], 0 offset:28
	v_mov_b32_e32 v1, 0
	buffer_store_dword v1, off, s[0:3], 0 offset:24
	buffer_store_dword v1, off, s[0:3], 0 offset:28
	s_waitcnt vmcnt(2)
	ds_write_b64 v153, v[2:3]
.LBB118_337:
	s_or_b64 exec, exec, s[4:5]
	s_waitcnt lgkmcnt(0)
	; wave barrier
	s_waitcnt lgkmcnt(0)
	buffer_load_dword v45, off, s[0:3], 0 offset:36
	buffer_load_dword v43, off, s[0:3], 0 offset:44
	;; [unrolled: 1-line block ×48, first 2 shown]
	v_mov_b32_e32 v44, 0
	ds_read_b128 v[22:25], v44 offset:480
	ds_read_b128 v[18:21], v44 offset:496
	ds_read_b128 v[14:17], v44 offset:512
	ds_read_b128 v[10:13], v44 offset:528
	ds_read_b128 v[6:9], v44 offset:544
	ds_read_b128 v[2:5], v44 offset:560
	buffer_load_dword v217, off, s[0:3], 0 offset:216
	buffer_load_dword v218, off, s[0:3], 0 offset:220
	v_cmp_lt_u32_e32 vcc, 2, v0
	s_waitcnt vmcnt(49) lgkmcnt(5)
	v_mul_f32_e32 v26, v22, v45
	s_waitcnt vmcnt(48)
	v_mul_f32_e32 v27, v24, v43
	s_waitcnt vmcnt(47) lgkmcnt(4)
	v_mul_f32_e32 v29, v20, v42
	s_waitcnt vmcnt(46) lgkmcnt(3)
	v_mul_f32_e32 v30, v14, v41
	s_waitcnt vmcnt(45)
	v_mul_f32_e32 v31, v16, v40
	s_waitcnt vmcnt(44) lgkmcnt(2)
	v_mul_f32_e32 v32, v10, v1
	s_waitcnt vmcnt(43)
	v_mul_f32_e32 v28, v18, v46
	s_waitcnt vmcnt(42)
	v_mul_f32_e32 v33, v12, v47
	s_waitcnt vmcnt(41) lgkmcnt(1)
	v_mul_f32_e32 v34, v6, v48
	s_waitcnt vmcnt(40)
	v_mul_f32_e32 v35, v8, v49
	s_waitcnt vmcnt(39) lgkmcnt(0)
	v_mul_f32_e32 v36, v2, v50
	s_waitcnt vmcnt(38)
	v_mul_f32_e32 v37, v4, v51
	s_waitcnt vmcnt(37)
	v_fmac_f32_e32 v28, v19, v57
	s_waitcnt vmcnt(36)
	v_fmac_f32_e32 v27, v25, v60
	;; [unrolled: 2-line block ×3, first 2 shown]
	v_add_f32_e32 v26, 0, v26
	v_add_f32_e32 v26, v26, v27
	;; [unrolled: 1-line block ×3, first 2 shown]
	s_waitcnt vmcnt(31)
	v_fmac_f32_e32 v29, v21, v62
	v_fmac_f32_e32 v30, v15, v59
	v_add_f32_e32 v26, v26, v29
	v_fmac_f32_e32 v31, v17, v56
	v_add_f32_e32 v26, v26, v30
	;; [unrolled: 2-line block ×3, first 2 shown]
	s_waitcnt vmcnt(27)
	v_fmac_f32_e32 v33, v13, v58
	v_add_f32_e32 v26, v26, v32
	v_fmac_f32_e32 v34, v7, v55
	v_add_f32_e32 v26, v26, v33
	;; [unrolled: 2-line block ×4, first 2 shown]
	s_waitcnt vmcnt(22)
	v_fmac_f32_e32 v37, v5, v138
	v_add_f32_e32 v26, v26, v36
	v_add_f32_e32 v34, v26, v37
	ds_read_b128 v[26:29], v44 offset:576
	buffer_load_dword v219, off, s[0:3], 0 offset:224
	buffer_load_dword v220, off, s[0:3], 0 offset:228
	ds_read_b128 v[30:33], v44 offset:592
	buffer_load_dword v221, off, s[0:3], 0 offset:232
	buffer_load_dword v222, off, s[0:3], 0 offset:236
	;; [unrolled: 1-line block ×12, first 2 shown]
	s_waitcnt vmcnt(35) lgkmcnt(1)
	v_mul_f32_e32 v35, v26, v139
	v_fmac_f32_e32 v35, v27, v137
	buffer_load_dword v233, off, s[0:3], 0 offset:280
	buffer_load_dword v234, off, s[0:3], 0 offset:284
	v_add_f32_e32 v34, v34, v35
	s_waitcnt vmcnt(36)
	v_mul_f32_e32 v35, v28, v140
	v_fmac_f32_e32 v35, v29, v136
	v_add_f32_e32 v34, v34, v35
	s_waitcnt lgkmcnt(0)
	v_mul_f32_e32 v35, v30, v118
	buffer_load_dword v235, off, s[0:3], 0 offset:288
	buffer_load_dword v236, off, s[0:3], 0 offset:292
	v_fmac_f32_e32 v35, v31, v61
	v_add_f32_e32 v63, v34, v35
	ds_read_b128 v[34:37], v44 offset:608
	buffer_load_dword v237, off, s[0:3], 0 offset:296
	buffer_load_dword v238, off, s[0:3], 0 offset:300
	;; [unrolled: 1-line block ×4, first 2 shown]
	s_waitcnt vmcnt(38)
	v_mul_f32_e32 v64, v32, v142
	v_fmac_f32_e32 v64, v33, v141
	v_add_f32_e32 v63, v63, v64
	ds_read_b128 v[64:67], v44 offset:624
	buffer_load_dword v241, off, s[0:3], 0 offset:312
	buffer_load_dword v242, off, s[0:3], 0 offset:316
	;; [unrolled: 1-line block ×10, first 2 shown]
	s_waitcnt vmcnt(46) lgkmcnt(1)
	v_mul_f32_e32 v68, v34, v204
	v_fmac_f32_e32 v68, v35, v143
	v_add_f32_e32 v63, v63, v68
	s_waitcnt vmcnt(44)
	v_mul_f32_e32 v68, v36, v206
	v_fmac_f32_e32 v68, v37, v205
	v_add_f32_e32 v63, v63, v68
	s_waitcnt vmcnt(42) lgkmcnt(0)
	v_mul_f32_e32 v68, v64, v208
	v_fmac_f32_e32 v68, v65, v207
	v_add_f32_e32 v63, v63, v68
	buffer_load_dword v251, off, s[0:3], 0 offset:352
	buffer_load_dword v252, off, s[0:3], 0 offset:356
	;; [unrolled: 1-line block ×6, first 2 shown]
	ds_read_b128 v[68:71], v44 offset:640
	s_waitcnt vmcnt(46)
	v_mul_f32_e32 v72, v66, v210
	v_fmac_f32_e32 v72, v67, v209
	v_add_f32_e32 v63, v63, v72
	ds_read_b128 v[72:75], v44 offset:656
	s_waitcnt vmcnt(44) lgkmcnt(1)
	v_mul_f32_e32 v76, v68, v212
	v_fmac_f32_e32 v76, v69, v211
	v_add_f32_e32 v63, v63, v76
	s_waitcnt vmcnt(42)
	v_mul_f32_e32 v76, v70, v214
	v_fmac_f32_e32 v76, v71, v213
	v_add_f32_e32 v63, v63, v76
	s_waitcnt vmcnt(40) lgkmcnt(0)
	v_mul_f32_e32 v76, v72, v216
	v_fmac_f32_e32 v76, v73, v215
	v_add_f32_e32 v63, v63, v76
	ds_read_b128 v[76:79], v44 offset:672
	s_waitcnt vmcnt(38)
	v_mul_f32_e32 v80, v74, v218
	v_fmac_f32_e32 v80, v75, v217
	v_add_f32_e32 v63, v63, v80
	ds_read_b128 v[80:83], v44 offset:688
	v_mul_f32_e32 v23, v23, v45
	v_fma_f32 v22, v22, v116, -v23
	v_mul_f32_e32 v23, v25, v43
	v_add_f32_e32 v22, 0, v22
	v_fma_f32 v23, v24, v60, -v23
	v_mul_f32_e32 v19, v19, v46
	v_add_f32_e32 v22, v22, v23
	;; [unrolled: 3-line block ×6, first 2 shown]
	v_fma_f32 v1, v10, v54, -v1
	s_waitcnt vmcnt(36) lgkmcnt(1)
	v_mul_f32_e32 v84, v76, v220
	v_fmac_f32_e32 v84, v77, v219
	v_add_f32_e32 v63, v63, v84
	s_waitcnt vmcnt(34)
	v_mul_f32_e32 v84, v78, v222
	v_fmac_f32_e32 v84, v79, v221
	v_add_f32_e32 v63, v63, v84
	s_waitcnt vmcnt(32) lgkmcnt(0)
	v_mul_f32_e32 v84, v80, v224
	v_fmac_f32_e32 v84, v81, v223
	v_add_f32_e32 v63, v63, v84
	ds_read_b128 v[84:87], v44 offset:704
	s_waitcnt vmcnt(30)
	v_mul_f32_e32 v88, v82, v226
	v_fmac_f32_e32 v88, v83, v225
	v_add_f32_e32 v63, v63, v88
	ds_read_b128 v[88:91], v44 offset:720
	s_waitcnt vmcnt(28) lgkmcnt(1)
	v_mul_f32_e32 v92, v84, v228
	v_fmac_f32_e32 v92, v85, v227
	v_add_f32_e32 v63, v63, v92
	s_waitcnt vmcnt(26)
	v_mul_f32_e32 v92, v86, v230
	v_fmac_f32_e32 v92, v87, v229
	v_add_f32_e32 v63, v63, v92
	s_waitcnt vmcnt(24) lgkmcnt(0)
	v_mul_f32_e32 v92, v88, v232
	v_fmac_f32_e32 v92, v89, v231
	v_add_f32_e32 v63, v63, v92
	ds_read_b128 v[92:95], v44 offset:736
	s_waitcnt vmcnt(22)
	v_mul_f32_e32 v96, v90, v234
	v_fmac_f32_e32 v96, v91, v233
	v_add_f32_e32 v63, v63, v96
	ds_read_b128 v[96:99], v44 offset:752
	;; [unrolled: 18-line block ×3, first 2 shown]
	s_waitcnt vmcnt(12) lgkmcnt(1)
	v_mul_f32_e32 v108, v100, v244
	v_fmac_f32_e32 v108, v101, v243
	v_add_f32_e32 v63, v63, v108
	s_waitcnt vmcnt(10)
	v_mul_f32_e32 v108, v102, v246
	v_fmac_f32_e32 v108, v103, v245
	v_add_f32_e32 v63, v63, v108
	s_waitcnt vmcnt(8) lgkmcnt(0)
	v_mul_f32_e32 v108, v104, v248
	v_fmac_f32_e32 v108, v105, v247
	s_waitcnt vmcnt(6)
	v_mul_f32_e32 v112, v106, v250
	v_add_f32_e32 v63, v63, v108
	v_fmac_f32_e32 v112, v107, v249
	ds_read_b128 v[108:111], v44 offset:800
	v_add_f32_e32 v63, v63, v112
	ds_read_b128 v[112:115], v44 offset:816
	buffer_load_dword v121, off, s[0:3], 0 offset:404
	buffer_load_dword v120, off, s[0:3], 0 offset:400
	;; [unrolled: 1-line block ×16, first 2 shown]
	v_mul_f32_e32 v10, v13, v47
	v_add_f32_e32 v1, v14, v1
	v_fma_f32 v10, v12, v58, -v10
	v_mul_f32_e32 v7, v7, v48
	v_add_f32_e32 v1, v1, v10
	v_fma_f32 v6, v6, v55, -v7
	v_add_f32_e32 v1, v1, v6
	v_mul_f32_e32 v6, v9, v49
	v_fma_f32 v6, v8, v53, -v6
	v_mul_f32_e32 v3, v3, v50
	v_add_f32_e32 v1, v1, v6
	v_fma_f32 v2, v2, v52, -v3
	v_add_f32_e32 v1, v1, v2
	v_mul_f32_e32 v2, v5, v51
	v_fma_f32 v2, v4, v138, -v2
	v_add_f32_e32 v1, v1, v2
	v_mul_f32_e32 v2, v27, v139
	;; [unrolled: 3-line block ×29, first 2 shown]
	v_fma_f32 v2, v106, v249, -v2
	s_waitcnt vmcnt(20) lgkmcnt(1)
	v_mul_f32_e32 v117, v108, v252
	v_add_f32_e32 v1, v1, v2
	v_mul_f32_e32 v2, v109, v252
	v_fmac_f32_e32 v117, v109, v251
	v_fma_f32 v2, v108, v251, -v2
	s_waitcnt vmcnt(9)
	v_mov_b32_e32 v18, v127
	v_add_f32_e32 v63, v63, v117
	v_mul_f32_e32 v117, v110, v254
	v_add_f32_e32 v62, v1, v2
	v_mul_f32_e32 v1, v111, v254
	s_waitcnt lgkmcnt(0)
	v_pk_mul_f32 v[18:19], v[114:115], v[18:19] op_sel_hi:[1,0]
	v_fmac_f32_e32 v117, v111, v253
	v_mul_f32_e32 v119, v112, v144
	v_fma_f32 v116, v110, v253, -v1
	v_mul_f32_e32 v1, v113, v144
	ds_read_b128 v[2:5], v44 offset:832
	ds_read_b128 v[6:9], v44 offset:848
	;; [unrolled: 1-line block ×3, first 2 shown]
	ds_read_b64 v[14:15], v44 offset:880
	s_waitcnt vmcnt(8)
	v_pk_fma_f32 v[20:21], v[114:115], v[126:127], v[18:19] op_sel:[0,0,1] op_sel_hi:[1,1,0] neg_lo:[0,0,1] neg_hi:[0,0,1]
	v_pk_fma_f32 v[18:19], v[114:115], v[126:127], v[18:19] op_sel:[0,0,1] op_sel_hi:[1,0,0]
	v_fmac_f32_e32 v119, v113, v255
	v_fma_f32 v118, v112, v255, -v1
	v_pk_add_f32 v[16:17], v[62:63], v[116:117]
	v_mov_b32_e32 v18, v125
	v_pk_add_f32 v[16:17], v[16:17], v[118:119]
	v_mov_b32_e32 v21, v19
	s_waitcnt lgkmcnt(3)
	v_pk_mul_f32 v[18:19], v[2:3], v[18:19] op_sel_hi:[1,0]
	v_pk_add_f32 v[16:17], v[16:17], v[20:21]
	v_pk_fma_f32 v[20:21], v[2:3], v[124:125], v[18:19] op_sel:[0,0,1] op_sel_hi:[1,1,0] neg_lo:[0,0,1] neg_hi:[0,0,1]
	v_pk_fma_f32 v[2:3], v[2:3], v[124:125], v[18:19] op_sel:[0,0,1] op_sel_hi:[1,0,0]
	v_mov_b32_e32 v21, v3
	v_pk_add_f32 v[2:3], v[16:17], v[20:21]
	v_mov_b32_e32 v16, v123
	v_pk_mul_f32 v[16:17], v[4:5], v[16:17] op_sel_hi:[1,0]
	v_pk_fma_f32 v[18:19], v[4:5], v[122:123], v[16:17] op_sel:[0,0,1] op_sel_hi:[1,1,0] neg_lo:[0,0,1] neg_hi:[0,0,1]
	v_pk_fma_f32 v[4:5], v[4:5], v[122:123], v[16:17] op_sel:[0,0,1] op_sel_hi:[1,0,0]
	v_mov_b32_e32 v4, v121
	v_mov_b32_e32 v19, v5
	s_waitcnt lgkmcnt(2)
	v_pk_mul_f32 v[4:5], v[6:7], v[4:5] op_sel_hi:[1,0]
	v_pk_fma_f32 v[16:17], v[6:7], v[120:121], v[4:5] op_sel:[0,0,1] op_sel_hi:[1,1,0] neg_lo:[0,0,1] neg_hi:[0,0,1]
	v_pk_fma_f32 v[4:5], v[6:7], v[120:121], v[4:5] op_sel:[0,0,1] op_sel_hi:[1,0,0]
	s_waitcnt vmcnt(1)
	v_mov_b32_e32 v4, v135
	v_mov_b32_e32 v17, v5
	v_pk_mul_f32 v[4:5], v[8:9], v[4:5] op_sel_hi:[1,0]
	s_waitcnt vmcnt(0)
	v_pk_fma_f32 v[6:7], v[8:9], v[134:135], v[4:5] op_sel:[0,0,1] op_sel_hi:[1,1,0] neg_lo:[0,0,1] neg_hi:[0,0,1]
	v_pk_fma_f32 v[4:5], v[8:9], v[134:135], v[4:5] op_sel:[0,0,1] op_sel_hi:[1,0,0]
	v_pk_add_f32 v[2:3], v[2:3], v[18:19]
	v_mov_b32_e32 v4, v133
	v_pk_add_f32 v[2:3], v[2:3], v[16:17]
	v_mov_b32_e32 v7, v5
	s_waitcnt lgkmcnt(1)
	v_pk_mul_f32 v[4:5], v[10:11], v[4:5] op_sel_hi:[1,0]
	v_pk_add_f32 v[2:3], v[2:3], v[6:7]
	v_pk_fma_f32 v[6:7], v[10:11], v[132:133], v[4:5] op_sel:[0,0,1] op_sel_hi:[1,1,0] neg_lo:[0,0,1] neg_hi:[0,0,1]
	v_pk_fma_f32 v[4:5], v[10:11], v[132:133], v[4:5] op_sel:[0,0,1] op_sel_hi:[1,0,0]
	v_mov_b32_e32 v4, v131
	v_mov_b32_e32 v7, v5
	v_pk_mul_f32 v[4:5], v[12:13], v[4:5] op_sel_hi:[1,0]
	v_pk_add_f32 v[2:3], v[2:3], v[6:7]
	v_pk_fma_f32 v[6:7], v[12:13], v[130:131], v[4:5] op_sel:[0,0,1] op_sel_hi:[1,1,0] neg_lo:[0,0,1] neg_hi:[0,0,1]
	v_pk_fma_f32 v[4:5], v[12:13], v[130:131], v[4:5] op_sel:[0,0,1] op_sel_hi:[1,0,0]
	v_mov_b32_e32 v4, v129
	v_mov_b32_e32 v7, v5
	s_waitcnt lgkmcnt(0)
	v_pk_mul_f32 v[4:5], v[14:15], v[4:5] op_sel_hi:[1,0]
	v_pk_add_f32 v[2:3], v[2:3], v[6:7]
	v_pk_fma_f32 v[6:7], v[14:15], v[128:129], v[4:5] op_sel:[0,0,1] op_sel_hi:[1,1,0] neg_lo:[0,0,1] neg_hi:[0,0,1]
	v_pk_fma_f32 v[4:5], v[14:15], v[128:129], v[4:5] op_sel:[0,0,1] op_sel_hi:[1,0,0]
	v_mov_b32_e32 v7, v5
	v_pk_add_f32 v[2:3], v[2:3], v[6:7]
	v_pk_add_f32 v[2:3], v[38:39], v[2:3] neg_lo:[0,1] neg_hi:[0,1]
	buffer_store_dword v3, off, s[0:3], 0 offset:28
	buffer_store_dword v2, off, s[0:3], 0 offset:24
	s_and_saveexec_b64 s[4:5], vcc
	s_cbranch_execz .LBB118_339
; %bb.338:
	buffer_load_dword v2, off, s[0:3], 0 offset:16
	buffer_load_dword v3, off, s[0:3], 0 offset:20
	s_waitcnt vmcnt(0)
	ds_write_b64 v153, v[2:3]
	buffer_store_dword v44, off, s[0:3], 0 offset:16
	buffer_store_dword v44, off, s[0:3], 0 offset:20
.LBB118_339:
	s_or_b64 exec, exec, s[4:5]
	s_waitcnt lgkmcnt(0)
	; wave barrier
	s_waitcnt lgkmcnt(0)
	buffer_load_dword v49, off, s[0:3], 0 offset:28
	buffer_load_dword v48, off, s[0:3], 0 offset:36
	;; [unrolled: 1-line block ×32, first 2 shown]
	ds_read2_b64 v[26:29], v44 offset0:59 offset1:60
	ds_read2_b64 v[22:25], v44 offset0:61 offset1:62
	;; [unrolled: 1-line block ×4, first 2 shown]
	buffer_load_dword v141, off, s[0:3], 0 offset:144
	buffer_load_dword v142, off, s[0:3], 0 offset:148
	ds_read2_b64 v[14:17], v44 offset0:67 offset1:68
	ds_read2_b64 v[6:9], v44 offset0:69 offset1:70
	ds_read2_b64 v[2:5], v44 offset0:71 offset1:72
	buffer_load_dword v143, off, s[0:3], 0 offset:152
	buffer_load_dword v144, off, s[0:3], 0 offset:156
	;; [unrolled: 1-line block ×16, first 2 shown]
	v_cmp_lt_u32_e32 vcc, 1, v0
	s_waitcnt vmcnt(49) lgkmcnt(6)
	v_mul_f32_e32 v30, v26, v49
	s_waitcnt vmcnt(48)
	v_mul_f32_e32 v31, v28, v48
	s_waitcnt vmcnt(47) lgkmcnt(5)
	v_mul_f32_e32 v33, v24, v47
	s_waitcnt vmcnt(46) lgkmcnt(4)
	v_mul_f32_e32 v34, v18, v46
	s_waitcnt vmcnt(45)
	v_mul_f32_e32 v35, v20, v1
	s_waitcnt vmcnt(44)
	v_mul_f32_e32 v32, v22, v50
	s_waitcnt vmcnt(43) lgkmcnt(3)
	v_mul_f32_e32 v36, v10, v45
	s_waitcnt vmcnt(42)
	v_mul_f32_e32 v37, v12, v51
	s_waitcnt vmcnt(41) lgkmcnt(2)
	;; [unrolled: 4-line block ×3, first 2 shown]
	v_mul_f32_e32 v40, v6, v54
	s_waitcnt vmcnt(38)
	v_mul_f32_e32 v41, v8, v55
	s_waitcnt vmcnt(37)
	v_fmac_f32_e32 v32, v23, v61
	s_waitcnt vmcnt(36)
	v_fmac_f32_e32 v31, v29, v64
	;; [unrolled: 2-line block ×3, first 2 shown]
	v_add_f32_e32 v30, 0, v30
	v_add_f32_e32 v30, v30, v31
	;; [unrolled: 1-line block ×3, first 2 shown]
	s_waitcnt vmcnt(31)
	v_fmac_f32_e32 v33, v25, v65
	v_fmac_f32_e32 v34, v19, v63
	v_add_f32_e32 v30, v30, v33
	v_fmac_f32_e32 v35, v21, v60
	v_add_f32_e32 v30, v30, v34
	v_fmac_f32_e32 v36, v11, v58
	v_add_f32_e32 v30, v30, v35
	s_waitcnt vmcnt(27)
	v_fmac_f32_e32 v37, v13, v62
	v_add_f32_e32 v30, v30, v36
	v_fmac_f32_e32 v38, v15, v59
	v_add_f32_e32 v30, v30, v37
	;; [unrolled: 2-line block ×4, first 2 shown]
	s_waitcnt vmcnt(23)
	v_fmac_f32_e32 v41, v9, v137
	v_add_f32_e32 v30, v30, v40
	v_add_f32_e32 v34, v30, v41
	ds_read2_b64 v[30:33], v44 offset0:73 offset1:74
	buffer_load_dword v217, off, s[0:3], 0 offset:216
	buffer_load_dword v218, off, s[0:3], 0 offset:220
	;; [unrolled: 1-line block ×12, first 2 shown]
	s_waitcnt vmcnt(34) lgkmcnt(1)
	v_mul_f32_e32 v35, v2, v138
	v_fmac_f32_e32 v35, v3, v136
	buffer_load_dword v229, off, s[0:3], 0 offset:264
	buffer_load_dword v230, off, s[0:3], 0 offset:268
	v_add_f32_e32 v34, v34, v35
	s_waitcnt vmcnt(35)
	v_mul_f32_e32 v35, v4, v139
	v_fmac_f32_e32 v35, v5, v124
	v_add_f32_e32 v34, v34, v35
	s_waitcnt vmcnt(34) lgkmcnt(0)
	v_mul_f32_e32 v35, v30, v140
	v_fmac_f32_e32 v35, v31, v66
	buffer_load_dword v231, off, s[0:3], 0 offset:272
	buffer_load_dword v232, off, s[0:3], 0 offset:276
	v_add_f32_e32 v34, v34, v35
	s_waitcnt vmcnt(32)
	v_mul_f32_e32 v35, v32, v142
	v_fmac_f32_e32 v35, v33, v141
	v_add_f32_e32 v67, v34, v35
	ds_read2_b64 v[34:37], v44 offset0:75 offset1:76
	buffer_load_dword v233, off, s[0:3], 0 offset:280
	buffer_load_dword v234, off, s[0:3], 0 offset:284
	ds_read2_b64 v[38:41], v44 offset0:77 offset1:78
	buffer_load_dword v235, off, s[0:3], 0 offset:288
	buffer_load_dword v236, off, s[0:3], 0 offset:292
	;; [unrolled: 1-line block ×14, first 2 shown]
	s_waitcnt vmcnt(46) lgkmcnt(1)
	v_mul_f32_e32 v68, v34, v144
	v_fmac_f32_e32 v68, v35, v143
	v_add_f32_e32 v67, v67, v68
	s_waitcnt vmcnt(44)
	v_mul_f32_e32 v68, v36, v204
	v_fmac_f32_e32 v68, v37, v145
	v_add_f32_e32 v67, v67, v68
	s_waitcnt vmcnt(42) lgkmcnt(0)
	v_mul_f32_e32 v68, v38, v206
	v_fmac_f32_e32 v68, v39, v205
	v_add_f32_e32 v67, v67, v68
	buffer_load_dword v249, off, s[0:3], 0 offset:344
	buffer_load_dword v250, off, s[0:3], 0 offset:348
	ds_read2_b64 v[68:71], v44 offset0:79 offset1:80
	s_waitcnt vmcnt(42)
	v_mul_f32_e32 v72, v40, v208
	v_fmac_f32_e32 v72, v41, v207
	buffer_load_dword v251, off, s[0:3], 0 offset:352
	buffer_load_dword v252, off, s[0:3], 0 offset:356
	v_add_f32_e32 v67, v67, v72
	buffer_load_dword v253, off, s[0:3], 0 offset:360
	buffer_load_dword v254, off, s[0:3], 0 offset:364
	ds_read2_b64 v[72:75], v44 offset0:81 offset1:82
	s_waitcnt vmcnt(44) lgkmcnt(1)
	v_mul_f32_e32 v76, v68, v210
	v_fmac_f32_e32 v76, v69, v209
	v_add_f32_e32 v67, v67, v76
	s_waitcnt vmcnt(42)
	v_mul_f32_e32 v76, v70, v212
	v_fmac_f32_e32 v76, v71, v211
	v_add_f32_e32 v67, v67, v76
	s_waitcnt vmcnt(40) lgkmcnt(0)
	v_mul_f32_e32 v76, v72, v214
	v_fmac_f32_e32 v76, v73, v213
	buffer_load_dword v255, off, s[0:3], 0 offset:368
	buffer_load_dword v146, off, s[0:3], 0 offset:372
	v_add_f32_e32 v67, v67, v76
	ds_read2_b64 v[76:79], v44 offset0:83 offset1:84
	s_waitcnt vmcnt(40)
	v_mul_f32_e32 v80, v74, v216
	v_fmac_f32_e32 v80, v75, v215
	v_add_f32_e32 v67, v67, v80
	ds_read2_b64 v[80:83], v44 offset0:85 offset1:86
	v_mul_f32_e32 v27, v27, v49
	v_fma_f32 v26, v26, v116, -v27
	v_mul_f32_e32 v27, v29, v48
	v_add_f32_e32 v26, 0, v26
	v_fma_f32 v27, v28, v64, -v27
	v_mul_f32_e32 v23, v23, v50
	v_add_f32_e32 v26, v26, v27
	;; [unrolled: 3-line block ×5, first 2 shown]
	v_fma_f32 v1, v20, v60, -v1
	v_mul_f32_e32 v11, v11, v45
	s_waitcnt vmcnt(38) lgkmcnt(1)
	v_mul_f32_e32 v84, v76, v218
	v_fmac_f32_e32 v84, v77, v217
	v_add_f32_e32 v67, v67, v84
	s_waitcnt vmcnt(36)
	v_mul_f32_e32 v84, v78, v220
	v_fmac_f32_e32 v84, v79, v219
	v_add_f32_e32 v67, v67, v84
	s_waitcnt vmcnt(34) lgkmcnt(0)
	v_mul_f32_e32 v84, v80, v222
	v_fmac_f32_e32 v84, v81, v221
	v_add_f32_e32 v67, v67, v84
	ds_read2_b64 v[84:87], v44 offset0:87 offset1:88
	s_waitcnt vmcnt(32)
	v_mul_f32_e32 v88, v82, v224
	v_fmac_f32_e32 v88, v83, v223
	v_add_f32_e32 v67, v67, v88
	ds_read2_b64 v[88:91], v44 offset0:89 offset1:90
	s_waitcnt vmcnt(30) lgkmcnt(1)
	v_mul_f32_e32 v92, v84, v226
	v_fmac_f32_e32 v92, v85, v225
	v_add_f32_e32 v67, v67, v92
	s_waitcnt vmcnt(28)
	v_mul_f32_e32 v92, v86, v228
	v_fmac_f32_e32 v92, v87, v227
	v_add_f32_e32 v67, v67, v92
	s_waitcnt vmcnt(26) lgkmcnt(0)
	v_mul_f32_e32 v92, v88, v230
	v_fmac_f32_e32 v92, v89, v229
	v_add_f32_e32 v67, v67, v92
	ds_read2_b64 v[92:95], v44 offset0:91 offset1:92
	s_waitcnt vmcnt(24)
	v_mul_f32_e32 v96, v90, v232
	v_fmac_f32_e32 v96, v91, v231
	v_add_f32_e32 v67, v67, v96
	ds_read2_b64 v[96:99], v44 offset0:93 offset1:94
	;; [unrolled: 18-line block ×3, first 2 shown]
	s_waitcnt vmcnt(14) lgkmcnt(1)
	v_mul_f32_e32 v108, v100, v242
	v_fmac_f32_e32 v108, v101, v241
	v_add_f32_e32 v67, v67, v108
	s_waitcnt vmcnt(12)
	v_mul_f32_e32 v108, v102, v244
	v_fmac_f32_e32 v108, v103, v243
	v_add_f32_e32 v67, v67, v108
	s_waitcnt vmcnt(10) lgkmcnt(0)
	v_mul_f32_e32 v108, v104, v246
	v_fmac_f32_e32 v108, v105, v245
	s_waitcnt vmcnt(8)
	v_mul_f32_e32 v112, v106, v248
	v_add_f32_e32 v67, v67, v108
	v_fmac_f32_e32 v112, v107, v247
	ds_read2_b64 v[108:111], v44 offset0:99 offset1:100
	v_add_f32_e32 v67, v67, v112
	ds_read2_b64 v[112:115], v44 offset0:101 offset1:102
	buffer_load_dword v119, off, s[0:3], 0 offset:396
	buffer_load_dword v118, off, s[0:3], 0 offset:392
	;; [unrolled: 1-line block ×6, first 2 shown]
	v_add_f32_e32 v1, v18, v1
	v_fma_f32 v10, v10, v58, -v11
	v_add_f32_e32 v1, v1, v10
	v_mul_f32_e32 v10, v13, v51
	v_fma_f32 v10, v12, v62, -v10
	buffer_load_dword v127, off, s[0:3], 0 offset:428
	buffer_load_dword v126, off, s[0:3], 0 offset:424
	;; [unrolled: 1-line block ×10, first 2 shown]
	v_add_f32_e32 v1, v1, v10
	v_mul_f32_e32 v10, v15, v52
	v_fma_f32 v10, v14, v59, -v10
	v_add_f32_e32 v1, v1, v10
	v_mul_f32_e32 v10, v17, v53
	v_fma_f32 v10, v16, v57, -v10
	v_mul_f32_e32 v7, v7, v54
	v_add_f32_e32 v1, v1, v10
	v_fma_f32 v6, v6, v56, -v7
	v_add_f32_e32 v1, v1, v6
	v_mul_f32_e32 v6, v9, v55
	v_fma_f32 v6, v8, v137, -v6
	v_mul_f32_e32 v3, v3, v138
	v_add_f32_e32 v1, v1, v6
	v_fma_f32 v2, v2, v136, -v3
	v_add_f32_e32 v1, v1, v2
	v_mul_f32_e32 v2, v5, v139
	v_fma_f32 v2, v4, v124, -v2
	v_add_f32_e32 v1, v1, v2
	v_mul_f32_e32 v2, v31, v140
	;; [unrolled: 3-line block ×27, first 2 shown]
	v_fma_f32 v2, v106, v247, -v2
	v_add_f32_e32 v1, v1, v2
	s_waitcnt vmcnt(22) lgkmcnt(1)
	v_mul_f32_e32 v2, v109, v250
	v_mul_f32_e32 v117, v108, v250
	v_fma_f32 v2, v108, v249, -v2
	v_fmac_f32_e32 v117, v109, v249
	v_add_f32_e32 v1, v1, v2
	s_waitcnt vmcnt(20)
	v_mul_f32_e32 v2, v111, v252
	v_add_f32_e32 v67, v67, v117
	v_mul_f32_e32 v117, v110, v252
	v_fma_f32 v2, v110, v251, -v2
	v_fmac_f32_e32 v117, v111, v251
	v_add_f32_e32 v66, v1, v2
	ds_read2_b64 v[2:5], v44 offset0:103 offset1:104
	ds_read2_b64 v[6:9], v44 offset0:105 offset1:106
	;; [unrolled: 1-line block ×4, first 2 shown]
	v_add_f32_e32 v67, v67, v117
	s_waitcnt vmcnt(18) lgkmcnt(4)
	v_mul_f32_e32 v117, v112, v254
	v_mul_f32_e32 v1, v113, v254
	s_waitcnt vmcnt(11)
	v_mov_b32_e32 v20, v123
	v_fmac_f32_e32 v117, v113, v253
	v_mul_f32_e32 v125, v114, v146
	v_fma_f32 v116, v112, v253, -v1
	v_mul_f32_e32 v1, v115, v146
	s_waitcnt lgkmcnt(3)
	v_pk_mul_f32 v[20:21], v[2:3], v[20:21] op_sel_hi:[1,0]
	v_fmac_f32_e32 v125, v115, v255
	v_fma_f32 v124, v114, v255, -v1
	v_pk_add_f32 v[18:19], v[66:67], v[116:117]
	s_waitcnt vmcnt(10)
	v_pk_fma_f32 v[22:23], v[2:3], v[122:123], v[20:21] op_sel:[0,0,1] op_sel_hi:[1,1,0] neg_lo:[0,0,1] neg_hi:[0,0,1]
	v_pk_fma_f32 v[2:3], v[2:3], v[122:123], v[20:21] op_sel:[0,0,1] op_sel_hi:[1,0,0]
	v_pk_add_f32 v[18:19], v[18:19], v[124:125]
	v_mov_b32_e32 v23, v3
	v_pk_add_f32 v[2:3], v[18:19], v[22:23]
	v_mov_b32_e32 v18, v121
	v_pk_mul_f32 v[18:19], v[4:5], v[18:19] op_sel_hi:[1,0]
	v_pk_fma_f32 v[20:21], v[4:5], v[120:121], v[18:19] op_sel:[0,0,1] op_sel_hi:[1,1,0] neg_lo:[0,0,1] neg_hi:[0,0,1]
	v_pk_fma_f32 v[4:5], v[4:5], v[120:121], v[18:19] op_sel:[0,0,1] op_sel_hi:[1,0,0]
	v_mov_b32_e32 v4, v119
	v_mov_b32_e32 v21, v5
	s_waitcnt lgkmcnt(2)
	v_pk_mul_f32 v[4:5], v[6:7], v[4:5] op_sel_hi:[1,0]
	v_pk_fma_f32 v[18:19], v[6:7], v[118:119], v[4:5] op_sel:[0,0,1] op_sel_hi:[1,1,0] neg_lo:[0,0,1] neg_hi:[0,0,1]
	v_pk_fma_f32 v[4:5], v[6:7], v[118:119], v[4:5] op_sel:[0,0,1] op_sel_hi:[1,0,0]
	s_waitcnt vmcnt(3)
	v_mov_b32_e32 v4, v133
	v_mov_b32_e32 v19, v5
	v_pk_mul_f32 v[4:5], v[8:9], v[4:5] op_sel_hi:[1,0]
	s_waitcnt vmcnt(2)
	v_pk_fma_f32 v[6:7], v[8:9], v[132:133], v[4:5] op_sel:[0,0,1] op_sel_hi:[1,1,0] neg_lo:[0,0,1] neg_hi:[0,0,1]
	v_pk_fma_f32 v[4:5], v[8:9], v[132:133], v[4:5] op_sel:[0,0,1] op_sel_hi:[1,0,0]
	v_pk_add_f32 v[2:3], v[2:3], v[20:21]
	v_mov_b32_e32 v4, v131
	v_pk_add_f32 v[2:3], v[2:3], v[18:19]
	v_mov_b32_e32 v7, v5
	s_waitcnt lgkmcnt(1)
	v_pk_mul_f32 v[4:5], v[10:11], v[4:5] op_sel_hi:[1,0]
	v_pk_add_f32 v[2:3], v[2:3], v[6:7]
	v_pk_fma_f32 v[6:7], v[10:11], v[130:131], v[4:5] op_sel:[0,0,1] op_sel_hi:[1,1,0] neg_lo:[0,0,1] neg_hi:[0,0,1]
	v_pk_fma_f32 v[4:5], v[10:11], v[130:131], v[4:5] op_sel:[0,0,1] op_sel_hi:[1,0,0]
	v_mov_b32_e32 v4, v129
	v_mov_b32_e32 v7, v5
	v_pk_mul_f32 v[4:5], v[12:13], v[4:5] op_sel_hi:[1,0]
	v_pk_add_f32 v[2:3], v[2:3], v[6:7]
	v_pk_fma_f32 v[6:7], v[12:13], v[128:129], v[4:5] op_sel:[0,0,1] op_sel_hi:[1,1,0] neg_lo:[0,0,1] neg_hi:[0,0,1]
	v_pk_fma_f32 v[4:5], v[12:13], v[128:129], v[4:5] op_sel:[0,0,1] op_sel_hi:[1,0,0]
	v_mov_b32_e32 v4, v127
	v_mov_b32_e32 v7, v5
	s_waitcnt lgkmcnt(0)
	v_pk_mul_f32 v[4:5], v[14:15], v[4:5] op_sel_hi:[1,0]
	v_pk_add_f32 v[2:3], v[2:3], v[6:7]
	v_pk_fma_f32 v[6:7], v[14:15], v[126:127], v[4:5] op_sel:[0,0,1] op_sel_hi:[1,1,0] neg_lo:[0,0,1] neg_hi:[0,0,1]
	v_pk_fma_f32 v[4:5], v[14:15], v[126:127], v[4:5] op_sel:[0,0,1] op_sel_hi:[1,0,0]
	s_waitcnt vmcnt(1)
	v_mov_b32_e32 v4, v135
	v_mov_b32_e32 v7, v5
	v_pk_mul_f32 v[4:5], v[16:17], v[4:5] op_sel_hi:[1,0]
	v_pk_add_f32 v[2:3], v[2:3], v[6:7]
	s_waitcnt vmcnt(0)
	v_pk_fma_f32 v[6:7], v[16:17], v[134:135], v[4:5] op_sel:[0,0,1] op_sel_hi:[1,1,0] neg_lo:[0,0,1] neg_hi:[0,0,1]
	v_pk_fma_f32 v[4:5], v[16:17], v[134:135], v[4:5] op_sel:[0,0,1] op_sel_hi:[1,0,0]
	v_mov_b32_e32 v7, v5
	v_pk_add_f32 v[2:3], v[2:3], v[6:7]
	v_pk_add_f32 v[2:3], v[42:43], v[2:3] neg_lo:[0,1] neg_hi:[0,1]
	buffer_store_dword v3, off, s[0:3], 0 offset:20
	buffer_store_dword v2, off, s[0:3], 0 offset:16
	s_and_saveexec_b64 s[4:5], vcc
	s_cbranch_execz .LBB118_341
; %bb.340:
	buffer_load_dword v2, off, s[0:3], 0 offset:8
	buffer_load_dword v3, off, s[0:3], 0 offset:12
	v_mov_b32_e32 v1, 0
	buffer_store_dword v1, off, s[0:3], 0 offset:8
	buffer_store_dword v1, off, s[0:3], 0 offset:12
	s_waitcnt vmcnt(2)
	ds_write_b64 v153, v[2:3]
.LBB118_341:
	s_or_b64 exec, exec, s[4:5]
	v_mov_b32_e32 v228, 0
	s_waitcnt lgkmcnt(0)
	; wave barrier
	s_waitcnt lgkmcnt(0)
	ds_read_b128 v[2:5], v228 offset:464
	buffer_load_dword v204, off, s[0:3], 0 offset:8
	buffer_load_dword v205, off, s[0:3], 0 offset:12
	;; [unrolled: 1-line block ×16, first 2 shown]
	v_cmp_ne_u32_e32 vcc, 0, v0
	s_waitcnt vmcnt(12) lgkmcnt(0)
	v_mul_f32_e32 v1, v2, v229
	v_fmac_f32_e32 v1, v3, v206
	s_waitcnt vmcnt(10)
	v_mul_f32_e32 v6, v4, v231
	v_add_f32_e32 v1, 0, v1
	v_fmac_f32_e32 v6, v5, v208
	v_add_f32_e32 v1, v1, v6
	ds_read_b128 v[6:9], v228 offset:480
	v_mul_f32_e32 v3, v3, v229
	v_fma_f32 v2, v2, v206, -v3
	v_mul_f32_e32 v3, v5, v231
	v_add_f32_e32 v2, 0, v2
	s_waitcnt vmcnt(8) lgkmcnt(0)
	v_mul_f32_e32 v10, v6, v233
	v_fmac_f32_e32 v10, v7, v212
	v_add_f32_e32 v1, v1, v10
	s_waitcnt vmcnt(6)
	v_mul_f32_e32 v10, v8, v235
	v_fmac_f32_e32 v10, v9, v230
	v_add_f32_e32 v1, v1, v10
	ds_read_b128 v[10:13], v228 offset:496
	v_fma_f32 v3, v4, v208, -v3
	v_add_f32_e32 v2, v2, v3
	v_mul_f32_e32 v3, v7, v233
	v_fma_f32 v3, v6, v212, -v3
	s_waitcnt vmcnt(4) lgkmcnt(0)
	v_mul_f32_e32 v14, v10, v237
	v_fmac_f32_e32 v14, v11, v232
	v_add_f32_e32 v1, v1, v14
	s_waitcnt vmcnt(2)
	v_mul_f32_e32 v14, v12, v238
	v_fmac_f32_e32 v14, v13, v234
	v_add_f32_e32 v1, v1, v14
	ds_read_b128 v[14:17], v228 offset:512
	buffer_load_dword v240, off, s[0:3], 0 offset:72
	buffer_load_dword v241, off, s[0:3], 0 offset:76
	v_add_f32_e32 v2, v2, v3
	v_mul_f32_e32 v3, v9, v235
	v_fma_f32 v3, v8, v230, -v3
	s_waitcnt vmcnt(2) lgkmcnt(0)
	v_mul_f32_e32 v18, v14, v239
	v_fmac_f32_e32 v18, v15, v236
	v_add_f32_e32 v1, v1, v18
	v_add_f32_e32 v2, v2, v3
	v_mul_f32_e32 v3, v11, v237
	v_fma_f32 v3, v10, v232, -v3
	v_add_f32_e32 v2, v2, v3
	v_mul_f32_e32 v3, v13, v238
	v_fma_f32 v3, v12, v234, -v3
	;; [unrolled: 3-line block ×3, first 2 shown]
	v_add_f32_e32 v2, v2, v3
	s_waitcnt vmcnt(0)
	v_mul_f32_e32 v18, v16, v241
	v_fmac_f32_e32 v18, v17, v240
	v_add_f32_e32 v1, v1, v18
	ds_read_b128 v[18:21], v228 offset:528
	buffer_load_dword v242, off, s[0:3], 0 offset:80
	buffer_load_dword v243, off, s[0:3], 0 offset:84
	;; [unrolled: 1-line block ×4, first 2 shown]
	v_mul_f32_e32 v3, v17, v241
	v_fma_f32 v3, v16, v240, -v3
	v_add_f32_e32 v2, v2, v3
	s_waitcnt vmcnt(2) lgkmcnt(0)
	v_mul_f32_e32 v22, v18, v243
	v_fmac_f32_e32 v22, v19, v242
	v_add_f32_e32 v1, v1, v22
	s_waitcnt vmcnt(0)
	v_mul_f32_e32 v22, v20, v245
	v_fmac_f32_e32 v22, v21, v244
	v_add_f32_e32 v1, v1, v22
	ds_read_b128 v[22:25], v228 offset:544
	buffer_load_dword v246, off, s[0:3], 0 offset:96
	buffer_load_dword v247, off, s[0:3], 0 offset:100
	;; [unrolled: 1-line block ×4, first 2 shown]
	v_mul_f32_e32 v3, v19, v243
	v_fma_f32 v3, v18, v242, -v3
	v_add_f32_e32 v2, v2, v3
	v_mul_f32_e32 v3, v21, v245
	v_fma_f32 v3, v20, v244, -v3
	v_add_f32_e32 v2, v2, v3
	s_waitcnt vmcnt(2) lgkmcnt(0)
	v_mul_f32_e32 v26, v22, v247
	v_fmac_f32_e32 v26, v23, v246
	v_add_f32_e32 v1, v1, v26
	s_waitcnt vmcnt(0)
	v_mul_f32_e32 v26, v24, v249
	v_fmac_f32_e32 v26, v25, v248
	v_add_f32_e32 v1, v1, v26
	ds_read_b128 v[26:29], v228 offset:560
	buffer_load_dword v250, off, s[0:3], 0 offset:112
	buffer_load_dword v251, off, s[0:3], 0 offset:116
	;; [unrolled: 1-line block ×4, first 2 shown]
	v_mul_f32_e32 v3, v23, v247
	v_fma_f32 v3, v22, v246, -v3
	v_add_f32_e32 v2, v2, v3
	v_mul_f32_e32 v3, v25, v249
	v_fma_f32 v3, v24, v248, -v3
	v_add_f32_e32 v2, v2, v3
	s_waitcnt vmcnt(2) lgkmcnt(0)
	v_mul_f32_e32 v30, v26, v251
	v_fmac_f32_e32 v30, v27, v250
	v_add_f32_e32 v1, v1, v30
	s_waitcnt vmcnt(0)
	v_mul_f32_e32 v30, v28, v253
	v_fmac_f32_e32 v30, v29, v252
	v_add_f32_e32 v1, v1, v30
	ds_read_b128 v[30:33], v228 offset:576
	buffer_load_dword v254, off, s[0:3], 0 offset:128
	buffer_load_dword v255, off, s[0:3], 0 offset:132
	v_mul_f32_e32 v3, v27, v251
	v_fma_f32 v3, v26, v250, -v3
	v_add_f32_e32 v2, v2, v3
	v_mul_f32_e32 v3, v29, v253
	v_fma_f32 v3, v28, v252, -v3
	v_add_f32_e32 v2, v2, v3
	s_waitcnt vmcnt(0) lgkmcnt(0)
	v_mul_f32_e32 v34, v30, v255
	v_fmac_f32_e32 v34, v31, v254
	v_add_f32_e32 v34, v1, v34
	buffer_load_dword v1, off, s[0:3], 0 offset:136
	buffer_load_dword v94, off, s[0:3], 0 offset:140
	v_mul_f32_e32 v3, v31, v255
	v_fma_f32 v3, v30, v254, -v3
	v_add_f32_e32 v2, v2, v3
	s_waitcnt vmcnt(0)
	v_mul_f32_e32 v35, v32, v94
	v_fmac_f32_e32 v35, v33, v1
	v_add_f32_e32 v38, v34, v35
	ds_read_b128 v[34:37], v228 offset:592
	buffer_load_dword v95, off, s[0:3], 0 offset:144
	buffer_load_dword v96, off, s[0:3], 0 offset:148
	;; [unrolled: 1-line block ×4, first 2 shown]
	v_mul_f32_e32 v3, v33, v94
	v_fma_f32 v1, v32, v1, -v3
	v_add_f32_e32 v1, v2, v1
	s_waitcnt vmcnt(2) lgkmcnt(0)
	v_mul_f32_e32 v39, v34, v96
	v_fmac_f32_e32 v39, v35, v95
	v_add_f32_e32 v38, v38, v39
	s_waitcnt vmcnt(0)
	v_mul_f32_e32 v39, v36, v98
	v_fmac_f32_e32 v39, v37, v97
	v_add_f32_e32 v42, v38, v39
	ds_read_b128 v[38:41], v228 offset:608
	buffer_load_dword v99, off, s[0:3], 0 offset:160
	buffer_load_dword v100, off, s[0:3], 0 offset:164
	buffer_load_dword v101, off, s[0:3], 0 offset:168
	buffer_load_dword v102, off, s[0:3], 0 offset:172
	ds_read_b128 v[46:49], v228 offset:624
	buffer_load_dword v103, off, s[0:3], 0 offset:176
	buffer_load_dword v104, off, s[0:3], 0 offset:180
	buffer_load_dword v105, off, s[0:3], 0 offset:184
	buffer_load_dword v106, off, s[0:3], 0 offset:188
	;; [unrolled: 5-line block ×13, first 2 shown]
	v_mul_f32_e32 v2, v35, v96
	v_fma_f32 v2, v34, v95, -v2
	v_add_f32_e32 v1, v1, v2
	v_mul_f32_e32 v2, v37, v98
	v_fma_f32 v2, v36, v97, -v2
	v_add_f32_e32 v1, v1, v2
	s_waitcnt vmcnt(50) lgkmcnt(12)
	v_mul_f32_e32 v43, v38, v100
	v_fmac_f32_e32 v43, v39, v99
	v_add_f32_e32 v42, v42, v43
	s_waitcnt vmcnt(48)
	v_mul_f32_e32 v43, v40, v102
	v_fmac_f32_e32 v43, v41, v101
	v_add_f32_e32 v42, v42, v43
	s_waitcnt vmcnt(46) lgkmcnt(11)
	v_mul_f32_e32 v43, v46, v104
	v_fmac_f32_e32 v43, v47, v103
	v_add_f32_e32 v42, v42, v43
	s_waitcnt vmcnt(44)
	v_mul_f32_e32 v43, v48, v106
	v_fmac_f32_e32 v43, v49, v105
	;; [unrolled: 8-line block ×12, first 2 shown]
	v_add_f32_e32 v42, v42, v43
	s_waitcnt vmcnt(2) lgkmcnt(0)
	v_mul_f32_e32 v43, v90, v148
	v_fmac_f32_e32 v43, v91, v147
	v_add_f32_e32 v207, v42, v43
	ds_read_b128 v[42:45], v228 offset:816
	buffer_load_dword v151, off, s[0:3], 0 offset:368
	buffer_load_dword v152, off, s[0:3], 0 offset:372
	;; [unrolled: 1-line block ×18, first 2 shown]
	v_mul_f32_e32 v2, v39, v100
	v_fma_f32 v2, v38, v99, -v2
	v_add_f32_e32 v1, v1, v2
	v_mul_f32_e32 v2, v41, v102
	v_fma_f32 v2, v40, v101, -v2
	v_add_f32_e32 v1, v1, v2
	;; [unrolled: 3-line block ×24, first 2 shown]
	v_mul_f32_e32 v2, v91, v148
	v_fma_f32 v2, v90, v147, -v2
	s_waitcnt vmcnt(15)
	v_mov_b32_e32 v18, v211
	v_mul_f32_e32 v209, v92, v150
	v_add_f32_e32 v206, v1, v2
	v_mul_f32_e32 v1, v93, v150
	s_waitcnt lgkmcnt(0)
	v_pk_mul_f32 v[18:19], v[44:45], v[18:19] op_sel_hi:[1,0]
	v_fmac_f32_e32 v209, v93, v149
	v_mul_f32_e32 v213, v42, v152
	v_fma_f32 v208, v92, v149, -v1
	v_mul_f32_e32 v1, v43, v152
	ds_read_b128 v[2:5], v228 offset:832
	ds_read_b128 v[6:9], v228 offset:848
	ds_read_b128 v[10:13], v228 offset:864
	ds_read_b64 v[14:15], v228 offset:880
	s_waitcnt vmcnt(14)
	v_pk_fma_f32 v[20:21], v[44:45], v[210:211], v[18:19] op_sel:[0,0,1] op_sel_hi:[1,1,0] neg_lo:[0,0,1] neg_hi:[0,0,1]
	v_pk_fma_f32 v[18:19], v[44:45], v[210:211], v[18:19] op_sel:[0,0,1] op_sel_hi:[1,0,0]
	v_fmac_f32_e32 v213, v43, v151
	v_fma_f32 v212, v42, v151, -v1
	v_pk_add_f32 v[16:17], v[206:207], v[208:209]
	s_waitcnt vmcnt(13)
	v_mov_b32_e32 v18, v227
	v_pk_add_f32 v[16:17], v[16:17], v[212:213]
	v_mov_b32_e32 v21, v19
	s_waitcnt lgkmcnt(3)
	v_pk_mul_f32 v[18:19], v[2:3], v[18:19] op_sel_hi:[1,0]
	v_pk_add_f32 v[16:17], v[16:17], v[20:21]
	s_waitcnt vmcnt(12)
	v_pk_fma_f32 v[20:21], v[2:3], v[226:227], v[18:19] op_sel:[0,0,1] op_sel_hi:[1,1,0] neg_lo:[0,0,1] neg_hi:[0,0,1]
	v_pk_fma_f32 v[2:3], v[2:3], v[226:227], v[18:19] op_sel:[0,0,1] op_sel_hi:[1,0,0]
	v_mov_b32_e32 v21, v3
	v_pk_add_f32 v[2:3], v[16:17], v[20:21]
	s_waitcnt vmcnt(11)
	v_mov_b32_e32 v16, v225
	v_pk_mul_f32 v[16:17], v[4:5], v[16:17] op_sel_hi:[1,0]
	s_waitcnt vmcnt(10)
	v_pk_fma_f32 v[18:19], v[4:5], v[224:225], v[16:17] op_sel:[0,0,1] op_sel_hi:[1,1,0] neg_lo:[0,0,1] neg_hi:[0,0,1]
	v_pk_fma_f32 v[4:5], v[4:5], v[224:225], v[16:17] op_sel:[0,0,1] op_sel_hi:[1,0,0]
	s_waitcnt vmcnt(9)
	v_mov_b32_e32 v4, v223
	v_mov_b32_e32 v19, v5
	s_waitcnt lgkmcnt(2)
	v_pk_mul_f32 v[4:5], v[6:7], v[4:5] op_sel_hi:[1,0]
	s_waitcnt vmcnt(8)
	v_pk_fma_f32 v[16:17], v[6:7], v[222:223], v[4:5] op_sel:[0,0,1] op_sel_hi:[1,1,0] neg_lo:[0,0,1] neg_hi:[0,0,1]
	v_pk_fma_f32 v[4:5], v[6:7], v[222:223], v[4:5] op_sel:[0,0,1] op_sel_hi:[1,0,0]
	s_waitcnt vmcnt(7)
	v_mov_b32_e32 v4, v221
	v_mov_b32_e32 v17, v5
	v_pk_mul_f32 v[4:5], v[8:9], v[4:5] op_sel_hi:[1,0]
	s_waitcnt vmcnt(6)
	v_pk_fma_f32 v[6:7], v[8:9], v[220:221], v[4:5] op_sel:[0,0,1] op_sel_hi:[1,1,0] neg_lo:[0,0,1] neg_hi:[0,0,1]
	v_pk_fma_f32 v[4:5], v[8:9], v[220:221], v[4:5] op_sel:[0,0,1] op_sel_hi:[1,0,0]
	v_pk_add_f32 v[2:3], v[2:3], v[18:19]
	s_waitcnt vmcnt(5)
	v_mov_b32_e32 v4, v219
	v_pk_add_f32 v[2:3], v[2:3], v[16:17]
	v_mov_b32_e32 v7, v5
	s_waitcnt lgkmcnt(1)
	v_pk_mul_f32 v[4:5], v[10:11], v[4:5] op_sel_hi:[1,0]
	v_pk_add_f32 v[2:3], v[2:3], v[6:7]
	s_waitcnt vmcnt(4)
	v_pk_fma_f32 v[6:7], v[10:11], v[218:219], v[4:5] op_sel:[0,0,1] op_sel_hi:[1,1,0] neg_lo:[0,0,1] neg_hi:[0,0,1]
	v_pk_fma_f32 v[4:5], v[10:11], v[218:219], v[4:5] op_sel:[0,0,1] op_sel_hi:[1,0,0]
	s_waitcnt vmcnt(3)
	v_mov_b32_e32 v4, v217
	v_mov_b32_e32 v7, v5
	v_pk_mul_f32 v[4:5], v[12:13], v[4:5] op_sel_hi:[1,0]
	v_pk_add_f32 v[2:3], v[2:3], v[6:7]
	s_waitcnt vmcnt(2)
	v_pk_fma_f32 v[6:7], v[12:13], v[216:217], v[4:5] op_sel:[0,0,1] op_sel_hi:[1,1,0] neg_lo:[0,0,1] neg_hi:[0,0,1]
	v_pk_fma_f32 v[4:5], v[12:13], v[216:217], v[4:5] op_sel:[0,0,1] op_sel_hi:[1,0,0]
	s_waitcnt vmcnt(1)
	v_mov_b32_e32 v4, v215
	v_mov_b32_e32 v7, v5
	s_waitcnt lgkmcnt(0)
	v_pk_mul_f32 v[4:5], v[14:15], v[4:5] op_sel_hi:[1,0]
	v_pk_add_f32 v[2:3], v[2:3], v[6:7]
	s_waitcnt vmcnt(0)
	v_pk_fma_f32 v[6:7], v[14:15], v[214:215], v[4:5] op_sel:[0,0,1] op_sel_hi:[1,1,0] neg_lo:[0,0,1] neg_hi:[0,0,1]
	v_pk_fma_f32 v[4:5], v[14:15], v[214:215], v[4:5] op_sel:[0,0,1] op_sel_hi:[1,0,0]
	v_mov_b32_e32 v7, v5
	v_pk_add_f32 v[2:3], v[2:3], v[6:7]
	v_pk_add_f32 v[2:3], v[204:205], v[2:3] neg_lo:[0,1] neg_hi:[0,1]
	buffer_store_dword v3, off, s[0:3], 0 offset:12
	buffer_store_dword v2, off, s[0:3], 0 offset:8
	s_and_saveexec_b64 s[4:5], vcc
	s_cbranch_execz .LBB118_343
; %bb.342:
	buffer_load_dword v0, off, s[0:3], 0
	buffer_load_dword v1, off, s[0:3], 0 offset:4
	s_waitcnt vmcnt(0)
	ds_write_b64 v153, v[0:1]
	buffer_store_dword v228, off, s[0:3], 0
	buffer_store_dword v228, off, s[0:3], 0 offset:4
.LBB118_343:
	s_or_b64 exec, exec, s[4:5]
	s_waitcnt lgkmcnt(0)
	; wave barrier
	s_waitcnt lgkmcnt(0)
	buffer_load_dword v47, off, s[0:3], 0 offset:12
	buffer_load_dword v46, off, s[0:3], 0 offset:20
	;; [unrolled: 1-line block ×32, first 2 shown]
	buffer_load_dword v40, off, s[0:3], 0
	buffer_load_dword v41, off, s[0:3], 0 offset:4
	ds_read2_b64 v[28:31], v228 offset0:57 offset1:58
	ds_read2_b64 v[24:27], v228 offset0:59 offset1:60
	;; [unrolled: 1-line block ×6, first 2 shown]
	buffer_load_dword v149, off, s[0:3], 0 offset:136
	buffer_load_dword v150, off, s[0:3], 0 offset:140
	ds_read2_b64 v[8:11], v228 offset0:69 offset1:70
	ds_read2_b64 v[0:3], v228 offset0:71 offset1:72
	buffer_load_dword v151, off, s[0:3], 0 offset:144
	buffer_load_dword v152, off, s[0:3], 0 offset:148
	;; [unrolled: 1-line block ×24, first 2 shown]
	s_and_b64 vcc, exec, s[16:17]
	s_waitcnt vmcnt(59) lgkmcnt(7)
	v_mul_f32_e32 v32, v28, v47
	s_waitcnt vmcnt(58)
	v_mul_f32_e32 v33, v30, v46
	s_waitcnt vmcnt(57) lgkmcnt(6)
	v_mul_f32_e32 v35, v26, v45
	s_waitcnt vmcnt(56) lgkmcnt(5)
	v_mul_f32_e32 v36, v20, v44
	s_waitcnt vmcnt(55)
	v_mul_f32_e32 v37, v22, v42
	s_waitcnt vmcnt(54)
	v_mul_f32_e32 v34, v24, v48
	s_waitcnt vmcnt(53) lgkmcnt(4)
	v_mul_f32_e32 v38, v16, v43
	s_waitcnt vmcnt(52)
	v_mul_f32_e32 v39, v18, v108
	s_waitcnt vmcnt(51) lgkmcnt(3)
	;; [unrolled: 4-line block ×3, first 2 shown]
	v_mul_f32_e32 v51, v4, v127
	s_waitcnt vmcnt(48)
	v_mul_f32_e32 v52, v6, v128
	s_waitcnt vmcnt(47)
	v_fmac_f32_e32 v34, v25, v129
	s_waitcnt vmcnt(46)
	v_fmac_f32_e32 v33, v31, v130
	;; [unrolled: 2-line block ×3, first 2 shown]
	v_add_f32_e32 v32, 0, v32
	v_add_f32_e32 v32, v32, v33
	;; [unrolled: 1-line block ×3, first 2 shown]
	s_waitcnt vmcnt(41)
	v_fmac_f32_e32 v35, v27, v135
	v_fmac_f32_e32 v36, v21, v134
	v_add_f32_e32 v32, v32, v35
	v_fmac_f32_e32 v37, v23, v133
	v_add_f32_e32 v32, v32, v36
	;; [unrolled: 2-line block ×3, first 2 shown]
	s_waitcnt vmcnt(37)
	v_fmac_f32_e32 v39, v19, v139
	v_add_f32_e32 v32, v32, v38
	v_fmac_f32_e32 v49, v13, v138
	v_add_f32_e32 v32, v32, v39
	;; [unrolled: 2-line block ×4, first 2 shown]
	s_waitcnt vmcnt(33)
	v_fmac_f32_e32 v52, v7, v143
	v_add_f32_e32 v32, v32, v51
	s_waitcnt vmcnt(32) lgkmcnt(1)
	v_mul_f32_e32 v33, v8, v144
	v_add_f32_e32 v32, v32, v52
	v_fmac_f32_e32 v33, v9, v142
	v_add_f32_e32 v32, v32, v33
	s_waitcnt vmcnt(31)
	v_mul_f32_e32 v33, v10, v145
	v_fmac_f32_e32 v33, v11, v141
	v_add_f32_e32 v32, v32, v33
	s_waitcnt vmcnt(30) lgkmcnt(0)
	v_mul_f32_e32 v33, v0, v146
	v_fmac_f32_e32 v33, v1, v140
	v_add_f32_e32 v36, v32, v33
	ds_read2_b64 v[32:35], v228 offset0:73 offset1:74
	buffer_load_dword v225, off, s[0:3], 0 offset:240
	buffer_load_dword v226, off, s[0:3], 0 offset:244
	;; [unrolled: 1-line block ×4, first 2 shown]
	s_waitcnt vmcnt(32)
	v_mul_f32_e32 v37, v2, v148
	v_fmac_f32_e32 v37, v3, v147
	v_add_f32_e32 v49, v36, v37
	ds_read2_b64 v[36:39], v228 offset0:75 offset1:76
	buffer_load_dword v230, off, s[0:3], 0 offset:256
	buffer_load_dword v231, off, s[0:3], 0 offset:260
	;; [unrolled: 1-line block ×12, first 2 shown]
	s_waitcnt vmcnt(40) lgkmcnt(1)
	v_mul_f32_e32 v50, v32, v150
	v_fmac_f32_e32 v50, v33, v149
	buffer_load_dword v242, off, s[0:3], 0 offset:304
	buffer_load_dword v243, off, s[0:3], 0 offset:308
	v_add_f32_e32 v49, v49, v50
	s_waitcnt vmcnt(40)
	v_mul_f32_e32 v50, v34, v152
	v_fmac_f32_e32 v50, v35, v151
	buffer_load_dword v244, off, s[0:3], 0 offset:312
	buffer_load_dword v245, off, s[0:3], 0 offset:316
	v_add_f32_e32 v49, v49, v50
	s_waitcnt vmcnt(40) lgkmcnt(0)
	v_mul_f32_e32 v50, v36, v204
	v_fmac_f32_e32 v50, v37, v153
	v_add_f32_e32 v49, v49, v50
	ds_read2_b64 v[50:53], v228 offset0:77 offset1:78
	buffer_load_dword v246, off, s[0:3], 0 offset:320
	buffer_load_dword v247, off, s[0:3], 0 offset:324
	s_waitcnt vmcnt(40)
	v_mul_f32_e32 v54, v38, v206
	v_fmac_f32_e32 v54, v39, v205
	v_add_f32_e32 v49, v49, v54
	ds_read2_b64 v[54:57], v228 offset0:79 offset1:80
	buffer_load_dword v248, off, s[0:3], 0 offset:328
	buffer_load_dword v249, off, s[0:3], 0 offset:332
	;; [unrolled: 1-line block ×8, first 2 shown]
	s_waitcnt vmcnt(46) lgkmcnt(1)
	v_mul_f32_e32 v58, v50, v208
	v_fmac_f32_e32 v58, v51, v207
	v_add_f32_e32 v49, v49, v58
	s_waitcnt vmcnt(44)
	v_mul_f32_e32 v58, v52, v210
	v_fmac_f32_e32 v58, v53, v209
	v_add_f32_e32 v49, v49, v58
	s_waitcnt vmcnt(42) lgkmcnt(0)
	v_mul_f32_e32 v58, v54, v212
	v_fmac_f32_e32 v58, v55, v211
	v_add_f32_e32 v49, v49, v58
	buffer_load_dword v154, off, s[0:3], 0 offset:360
	buffer_load_dword v155, off, s[0:3], 0 offset:364
	;; [unrolled: 1-line block ×4, first 2 shown]
	ds_read2_b64 v[58:61], v228 offset0:81 offset1:82
	s_waitcnt vmcnt(44)
	v_mul_f32_e32 v62, v56, v214
	v_fmac_f32_e32 v62, v57, v213
	v_add_f32_e32 v49, v49, v62
	ds_read2_b64 v[62:65], v228 offset0:83 offset1:84
	s_waitcnt vmcnt(42) lgkmcnt(1)
	v_mul_f32_e32 v66, v58, v216
	v_fmac_f32_e32 v66, v59, v215
	v_add_f32_e32 v49, v49, v66
	s_waitcnt vmcnt(40)
	v_mul_f32_e32 v66, v60, v218
	v_fmac_f32_e32 v66, v61, v217
	v_add_f32_e32 v49, v49, v66
	s_waitcnt vmcnt(38) lgkmcnt(0)
	v_mul_f32_e32 v66, v62, v220
	v_fmac_f32_e32 v66, v63, v219
	v_add_f32_e32 v49, v49, v66
	ds_read2_b64 v[66:69], v228 offset0:85 offset1:86
	s_waitcnt vmcnt(36)
	v_mul_f32_e32 v70, v64, v222
	v_fmac_f32_e32 v70, v65, v221
	v_add_f32_e32 v49, v49, v70
	ds_read2_b64 v[70:73], v228 offset0:87 offset1:88
	s_waitcnt vmcnt(34) lgkmcnt(1)
	v_mul_f32_e32 v74, v66, v224
	v_fmac_f32_e32 v74, v67, v223
	v_add_f32_e32 v49, v49, v74
	v_mul_f32_e32 v29, v29, v47
	v_fma_f32 v28, v28, v131, -v29
	v_mul_f32_e32 v29, v31, v46
	v_add_f32_e32 v28, 0, v28
	v_fma_f32 v29, v30, v130, -v29
	v_mul_f32_e32 v25, v25, v48
	v_add_f32_e32 v28, v28, v29
	;; [unrolled: 3-line block ×4, first 2 shown]
	v_fma_f32 v20, v20, v134, -v21
	v_mul_f32_e32 v21, v23, v42
	s_waitcnt vmcnt(32)
	v_mul_f32_e32 v74, v68, v226
	v_fmac_f32_e32 v74, v69, v225
	v_add_f32_e32 v49, v49, v74
	s_waitcnt vmcnt(30) lgkmcnt(0)
	v_mul_f32_e32 v74, v70, v229
	v_fmac_f32_e32 v74, v71, v227
	v_add_f32_e32 v49, v49, v74
	ds_read2_b64 v[74:77], v228 offset0:89 offset1:90
	s_waitcnt vmcnt(28)
	v_mul_f32_e32 v78, v72, v231
	v_fmac_f32_e32 v78, v73, v230
	v_add_f32_e32 v49, v49, v78
	ds_read2_b64 v[78:81], v228 offset0:91 offset1:92
	s_waitcnt vmcnt(26) lgkmcnt(1)
	v_mul_f32_e32 v82, v74, v233
	v_fmac_f32_e32 v82, v75, v232
	v_add_f32_e32 v49, v49, v82
	s_waitcnt vmcnt(24)
	v_mul_f32_e32 v82, v76, v235
	v_fmac_f32_e32 v82, v77, v234
	v_add_f32_e32 v49, v49, v82
	s_waitcnt vmcnt(22) lgkmcnt(0)
	v_mul_f32_e32 v82, v78, v237
	v_fmac_f32_e32 v82, v79, v236
	v_add_f32_e32 v49, v49, v82
	ds_read2_b64 v[82:85], v228 offset0:93 offset1:94
	s_waitcnt vmcnt(20)
	v_mul_f32_e32 v86, v80, v239
	v_fmac_f32_e32 v86, v81, v238
	v_add_f32_e32 v49, v49, v86
	ds_read2_b64 v[86:89], v228 offset0:95 offset1:96
	s_waitcnt vmcnt(18) lgkmcnt(1)
	v_mul_f32_e32 v90, v82, v241
	v_fmac_f32_e32 v90, v83, v240
	v_add_f32_e32 v49, v49, v90
	s_waitcnt vmcnt(16)
	v_mul_f32_e32 v90, v84, v243
	v_fmac_f32_e32 v90, v85, v242
	v_add_f32_e32 v49, v49, v90
	s_waitcnt vmcnt(14) lgkmcnt(0)
	v_mul_f32_e32 v90, v86, v245
	v_fmac_f32_e32 v90, v87, v244
	v_add_f32_e32 v49, v49, v90
	ds_read2_b64 v[90:93], v228 offset0:97 offset1:98
	s_waitcnt vmcnt(12)
	v_mul_f32_e32 v94, v88, v247
	v_fmac_f32_e32 v94, v89, v246
	v_add_f32_e32 v49, v49, v94
	ds_read2_b64 v[94:97], v228 offset0:99 offset1:100
	buffer_load_dword v107, off, s[0:3], 0 offset:380
	buffer_load_dword v106, off, s[0:3], 0 offset:376
	s_waitcnt vmcnt(12) lgkmcnt(1)
	v_mul_f32_e32 v98, v90, v249
	v_fmac_f32_e32 v98, v91, v248
	v_add_f32_e32 v49, v49, v98
	s_waitcnt vmcnt(10)
	v_mul_f32_e32 v98, v92, v251
	v_fmac_f32_e32 v98, v93, v250
	v_add_f32_e32 v49, v49, v98
	s_waitcnt vmcnt(8) lgkmcnt(0)
	v_mul_f32_e32 v98, v94, v253
	v_fmac_f32_e32 v98, v95, v252
	s_waitcnt vmcnt(6)
	v_mul_f32_e32 v102, v96, v255
	v_add_f32_e32 v49, v49, v98
	v_fmac_f32_e32 v102, v97, v254
	ds_read2_b64 v[98:101], v228 offset0:101 offset1:102
	v_add_f32_e32 v49, v49, v102
	ds_read2_b64 v[102:105], v228 offset0:103 offset1:104
	buffer_load_dword v113, off, s[0:3], 0 offset:412
	buffer_load_dword v112, off, s[0:3], 0 offset:408
	;; [unrolled: 1-line block ×14, first 2 shown]
	v_add_f32_e32 v20, v24, v20
	v_fma_f32 v21, v22, v133, -v21
	v_mul_f32_e32 v17, v17, v43
	v_add_f32_e32 v20, v20, v21
	v_fma_f32 v16, v16, v132, -v17
	v_mul_f32_e32 v17, v19, v108
	;; [unrolled: 3-line block ×6, first 2 shown]
	v_add_f32_e32 v4, v12, v4
	v_fma_f32 v5, v6, v143, -v5
	v_add_f32_e32 v4, v4, v5
	v_mul_f32_e32 v5, v9, v144
	v_fma_f32 v5, v8, v142, -v5
	v_add_f32_e32 v4, v4, v5
	v_mul_f32_e32 v5, v11, v145
	v_fma_f32 v5, v10, v141, -v5
	v_mul_f32_e32 v1, v1, v146
	v_add_f32_e32 v4, v4, v5
	v_fma_f32 v0, v0, v140, -v1
	v_mul_f32_e32 v1, v3, v148
	v_add_f32_e32 v0, v4, v0
	v_fma_f32 v1, v2, v147, -v1
	v_add_f32_e32 v0, v0, v1
	v_mul_f32_e32 v1, v33, v150
	v_fma_f32 v1, v32, v149, -v1
	v_add_f32_e32 v0, v0, v1
	v_mul_f32_e32 v1, v35, v152
	v_fma_f32 v1, v34, v151, -v1
	v_add_f32_e32 v0, v0, v1
	v_mul_f32_e32 v1, v37, v204
	v_fma_f32 v1, v36, v153, -v1
	v_add_f32_e32 v0, v0, v1
	v_mul_f32_e32 v1, v39, v206
	v_fma_f32 v1, v38, v205, -v1
	v_add_f32_e32 v0, v0, v1
	v_mul_f32_e32 v1, v51, v208
	v_fma_f32 v1, v50, v207, -v1
	v_add_f32_e32 v0, v0, v1
	v_mul_f32_e32 v1, v53, v210
	v_fma_f32 v1, v52, v209, -v1
	v_add_f32_e32 v0, v0, v1
	v_mul_f32_e32 v1, v55, v212
	v_fma_f32 v1, v54, v211, -v1
	v_add_f32_e32 v0, v0, v1
	v_mul_f32_e32 v1, v57, v214
	v_fma_f32 v1, v56, v213, -v1
	v_add_f32_e32 v0, v0, v1
	v_mul_f32_e32 v1, v59, v216
	v_fma_f32 v1, v58, v215, -v1
	v_add_f32_e32 v0, v0, v1
	v_mul_f32_e32 v1, v61, v218
	v_fma_f32 v1, v60, v217, -v1
	v_add_f32_e32 v0, v0, v1
	v_mul_f32_e32 v1, v63, v220
	v_fma_f32 v1, v62, v219, -v1
	v_add_f32_e32 v0, v0, v1
	v_mul_f32_e32 v1, v65, v222
	v_fma_f32 v1, v64, v221, -v1
	v_add_f32_e32 v0, v0, v1
	v_mul_f32_e32 v1, v67, v224
	v_fma_f32 v1, v66, v223, -v1
	v_add_f32_e32 v0, v0, v1
	v_mul_f32_e32 v1, v69, v226
	v_fma_f32 v1, v68, v225, -v1
	v_add_f32_e32 v0, v0, v1
	v_mul_f32_e32 v1, v71, v229
	v_fma_f32 v1, v70, v227, -v1
	v_add_f32_e32 v0, v0, v1
	v_mul_f32_e32 v1, v73, v231
	v_fma_f32 v1, v72, v230, -v1
	v_add_f32_e32 v0, v0, v1
	v_mul_f32_e32 v1, v75, v233
	v_fma_f32 v1, v74, v232, -v1
	v_add_f32_e32 v0, v0, v1
	v_mul_f32_e32 v1, v77, v235
	v_fma_f32 v1, v76, v234, -v1
	v_add_f32_e32 v0, v0, v1
	v_mul_f32_e32 v1, v79, v237
	v_fma_f32 v1, v78, v236, -v1
	v_add_f32_e32 v0, v0, v1
	v_mul_f32_e32 v1, v81, v239
	v_fma_f32 v1, v80, v238, -v1
	v_add_f32_e32 v0, v0, v1
	v_mul_f32_e32 v1, v83, v241
	v_fma_f32 v1, v82, v240, -v1
	v_add_f32_e32 v0, v0, v1
	v_mul_f32_e32 v1, v85, v243
	v_fma_f32 v1, v84, v242, -v1
	v_add_f32_e32 v0, v0, v1
	v_mul_f32_e32 v1, v87, v245
	v_fma_f32 v1, v86, v244, -v1
	v_add_f32_e32 v0, v0, v1
	v_mul_f32_e32 v1, v89, v247
	v_fma_f32 v1, v88, v246, -v1
	v_add_f32_e32 v0, v0, v1
	v_mul_f32_e32 v1, v91, v249
	v_fma_f32 v1, v90, v248, -v1
	v_add_f32_e32 v0, v0, v1
	v_mul_f32_e32 v1, v93, v251
	v_fma_f32 v1, v92, v250, -v1
	v_add_f32_e32 v0, v0, v1
	v_mul_f32_e32 v1, v95, v253
	v_fma_f32 v1, v94, v252, -v1
	v_add_f32_e32 v0, v0, v1
	v_mul_f32_e32 v1, v97, v255
	v_fma_f32 v1, v96, v254, -v1
	s_waitcnt vmcnt(15)
	v_mov_b32_e32 v14, v107
	s_waitcnt lgkmcnt(1)
	v_mul_f32_e32 v109, v98, v155
	v_add_f32_e32 v48, v0, v1
	v_mul_f32_e32 v0, v99, v155
	s_waitcnt lgkmcnt(0)
	v_pk_mul_f32 v[14:15], v[102:103], v[14:15] op_sel_hi:[1,0]
	v_fmac_f32_e32 v109, v99, v154
	v_mul_f32_e32 v111, v100, v157
	v_fma_f32 v108, v98, v154, -v0
	v_mul_f32_e32 v0, v101, v157
	s_waitcnt vmcnt(14)
	v_pk_fma_f32 v[16:17], v[102:103], v[106:107], v[14:15] op_sel:[0,0,1] op_sel_hi:[1,1,0] neg_lo:[0,0,1] neg_hi:[0,0,1]
	v_pk_fma_f32 v[14:15], v[102:103], v[106:107], v[14:15] op_sel:[0,0,1] op_sel_hi:[1,0,0]
	v_fmac_f32_e32 v111, v101, v156
	v_fma_f32 v110, v100, v156, -v0
	v_pk_add_f32 v[12:13], v[48:49], v[108:109]
	s_waitcnt vmcnt(7)
	v_mov_b32_e32 v14, v119
	ds_read2_b64 v[0:3], v228 offset0:105 offset1:106
	ds_read2_b64 v[4:7], v228 offset0:107 offset1:108
	;; [unrolled: 1-line block ×3, first 2 shown]
	v_pk_add_f32 v[12:13], v[12:13], v[110:111]
	v_mov_b32_e32 v17, v15
	v_pk_mul_f32 v[14:15], v[104:105], v[14:15] op_sel_hi:[1,0]
	v_pk_add_f32 v[12:13], v[12:13], v[16:17]
	s_waitcnt vmcnt(6)
	v_pk_fma_f32 v[16:17], v[104:105], v[118:119], v[14:15] op_sel:[0,0,1] op_sel_hi:[1,1,0] neg_lo:[0,0,1] neg_hi:[0,0,1]
	v_pk_fma_f32 v[14:15], v[104:105], v[118:119], v[14:15] op_sel:[0,0,1] op_sel_hi:[1,0,0]
	v_mov_b32_e32 v14, v117
	v_mov_b32_e32 v17, v15
	s_waitcnt lgkmcnt(2)
	v_pk_mul_f32 v[14:15], v[0:1], v[14:15] op_sel_hi:[1,0]
	v_pk_add_f32 v[12:13], v[12:13], v[16:17]
	v_pk_fma_f32 v[16:17], v[0:1], v[116:117], v[14:15] op_sel:[0,0,1] op_sel_hi:[1,1,0] neg_lo:[0,0,1] neg_hi:[0,0,1]
	v_pk_fma_f32 v[0:1], v[0:1], v[116:117], v[14:15] op_sel:[0,0,1] op_sel_hi:[1,0,0]
	v_mov_b32_e32 v17, v1
	v_pk_add_f32 v[0:1], v[12:13], v[16:17]
	v_mov_b32_e32 v12, v115
	v_pk_mul_f32 v[12:13], v[2:3], v[12:13] op_sel_hi:[1,0]
	v_pk_fma_f32 v[14:15], v[2:3], v[114:115], v[12:13] op_sel:[0,0,1] op_sel_hi:[1,1,0] neg_lo:[0,0,1] neg_hi:[0,0,1]
	v_pk_fma_f32 v[2:3], v[2:3], v[114:115], v[12:13] op_sel:[0,0,1] op_sel_hi:[1,0,0]
	v_mov_b32_e32 v2, v113
	v_mov_b32_e32 v15, v3
	s_waitcnt lgkmcnt(1)
	v_pk_mul_f32 v[2:3], v[4:5], v[2:3] op_sel_hi:[1,0]
	v_pk_fma_f32 v[12:13], v[4:5], v[112:113], v[2:3] op_sel:[0,0,1] op_sel_hi:[1,1,0] neg_lo:[0,0,1] neg_hi:[0,0,1]
	v_pk_fma_f32 v[2:3], v[4:5], v[112:113], v[2:3] op_sel:[0,0,1] op_sel_hi:[1,0,0]
	s_waitcnt vmcnt(1)
	v_mov_b32_e32 v2, v125
	v_mov_b32_e32 v13, v3
	v_pk_mul_f32 v[2:3], v[6:7], v[2:3] op_sel_hi:[1,0]
	s_waitcnt vmcnt(0)
	v_pk_fma_f32 v[4:5], v[6:7], v[124:125], v[2:3] op_sel:[0,0,1] op_sel_hi:[1,1,0] neg_lo:[0,0,1] neg_hi:[0,0,1]
	v_pk_fma_f32 v[2:3], v[6:7], v[124:125], v[2:3] op_sel:[0,0,1] op_sel_hi:[1,0,0]
	v_pk_add_f32 v[0:1], v[0:1], v[14:15]
	v_mov_b32_e32 v2, v123
	v_pk_add_f32 v[0:1], v[0:1], v[12:13]
	v_mov_b32_e32 v5, v3
	s_waitcnt lgkmcnt(0)
	v_pk_mul_f32 v[2:3], v[8:9], v[2:3] op_sel_hi:[1,0]
	v_pk_add_f32 v[0:1], v[0:1], v[4:5]
	v_pk_fma_f32 v[4:5], v[8:9], v[122:123], v[2:3] op_sel:[0,0,1] op_sel_hi:[1,1,0] neg_lo:[0,0,1] neg_hi:[0,0,1]
	v_pk_fma_f32 v[2:3], v[8:9], v[122:123], v[2:3] op_sel:[0,0,1] op_sel_hi:[1,0,0]
	v_mov_b32_e32 v2, v121
	v_mov_b32_e32 v5, v3
	v_pk_mul_f32 v[2:3], v[10:11], v[2:3] op_sel_hi:[1,0]
	v_pk_add_f32 v[0:1], v[0:1], v[4:5]
	v_pk_fma_f32 v[4:5], v[10:11], v[120:121], v[2:3] op_sel:[0,0,1] op_sel_hi:[1,1,0] neg_lo:[0,0,1] neg_hi:[0,0,1]
	v_pk_fma_f32 v[2:3], v[10:11], v[120:121], v[2:3] op_sel:[0,0,1] op_sel_hi:[1,0,0]
	v_mov_b32_e32 v5, v3
	v_pk_add_f32 v[0:1], v[0:1], v[4:5]
	v_pk_add_f32 v[0:1], v[40:41], v[0:1] neg_lo:[0,1] neg_hi:[0,1]
	buffer_store_dword v1, off, s[0:3], 0 offset:4
	buffer_store_dword v0, off, s[0:3], 0
	s_cbranch_vccz .LBB118_453
; %bb.344:
	v_pk_mov_b32 v[0:1], s[10:11], s[10:11] op_sel:[0,1]
	flat_load_dword v0, v[0:1] offset:212
	s_waitcnt vmcnt(0) lgkmcnt(0)
	v_add_u32_e32 v0, -1, v0
	v_cmp_ne_u32_e32 vcc, 53, v0
	s_and_saveexec_b64 s[4:5], vcc
	s_cbranch_execz .LBB118_346
; %bb.345:
	v_mov_b32_e32 v1, 0
	v_lshl_add_u32 v0, v0, 3, v1
	buffer_load_dword v1, v0, s[0:3], 0 offen
	buffer_load_dword v2, v0, s[0:3], 0 offen offset:4
	buffer_load_dword v3, off, s[0:3], 0 offset:424
	buffer_load_dword v4, off, s[0:3], 0 offset:428
	s_waitcnt vmcnt(3)
	buffer_store_dword v1, off, s[0:3], 0 offset:424
	s_waitcnt vmcnt(3)
	buffer_store_dword v2, off, s[0:3], 0 offset:428
	s_waitcnt vmcnt(3)
	buffer_store_dword v3, v0, s[0:3], 0 offen
	s_waitcnt vmcnt(3)
	buffer_store_dword v4, v0, s[0:3], 0 offen offset:4
.LBB118_346:
	s_or_b64 exec, exec, s[4:5]
	v_pk_mov_b32 v[0:1], s[10:11], s[10:11] op_sel:[0,1]
	flat_load_dword v0, v[0:1] offset:208
	s_waitcnt vmcnt(0) lgkmcnt(0)
	v_add_u32_e32 v0, -1, v0
	v_cmp_ne_u32_e32 vcc, 52, v0
	s_and_saveexec_b64 s[4:5], vcc
	s_cbranch_execz .LBB118_348
; %bb.347:
	v_mov_b32_e32 v1, 0
	v_lshl_add_u32 v0, v0, 3, v1
	buffer_load_dword v1, v0, s[0:3], 0 offen
	buffer_load_dword v2, v0, s[0:3], 0 offen offset:4
	buffer_load_dword v3, off, s[0:3], 0 offset:420
	buffer_load_dword v4, off, s[0:3], 0 offset:416
	s_waitcnt vmcnt(3)
	buffer_store_dword v1, off, s[0:3], 0 offset:416
	s_waitcnt vmcnt(3)
	buffer_store_dword v2, off, s[0:3], 0 offset:420
	s_waitcnt vmcnt(3)
	buffer_store_dword v3, v0, s[0:3], 0 offen offset:4
	s_waitcnt vmcnt(3)
	buffer_store_dword v4, v0, s[0:3], 0 offen
.LBB118_348:
	s_or_b64 exec, exec, s[4:5]
	v_pk_mov_b32 v[0:1], s[10:11], s[10:11] op_sel:[0,1]
	flat_load_dword v0, v[0:1] offset:204
	s_waitcnt vmcnt(0) lgkmcnt(0)
	v_add_u32_e32 v0, -1, v0
	v_cmp_ne_u32_e32 vcc, 51, v0
	s_and_saveexec_b64 s[4:5], vcc
	s_cbranch_execz .LBB118_350
; %bb.349:
	v_mov_b32_e32 v1, 0
	v_lshl_add_u32 v0, v0, 3, v1
	buffer_load_dword v1, v0, s[0:3], 0 offen
	buffer_load_dword v2, v0, s[0:3], 0 offen offset:4
	buffer_load_dword v3, off, s[0:3], 0 offset:408
	buffer_load_dword v4, off, s[0:3], 0 offset:412
	s_waitcnt vmcnt(3)
	buffer_store_dword v1, off, s[0:3], 0 offset:408
	s_waitcnt vmcnt(3)
	buffer_store_dword v2, off, s[0:3], 0 offset:412
	s_waitcnt vmcnt(3)
	buffer_store_dword v3, v0, s[0:3], 0 offen
	s_waitcnt vmcnt(3)
	buffer_store_dword v4, v0, s[0:3], 0 offen offset:4
.LBB118_350:
	s_or_b64 exec, exec, s[4:5]
	v_pk_mov_b32 v[0:1], s[10:11], s[10:11] op_sel:[0,1]
	flat_load_dword v0, v[0:1] offset:200
	s_waitcnt vmcnt(0) lgkmcnt(0)
	v_add_u32_e32 v0, -1, v0
	v_cmp_ne_u32_e32 vcc, 50, v0
	s_and_saveexec_b64 s[4:5], vcc
	s_cbranch_execz .LBB118_352
; %bb.351:
	v_mov_b32_e32 v1, 0
	v_lshl_add_u32 v0, v0, 3, v1
	buffer_load_dword v1, v0, s[0:3], 0 offen
	buffer_load_dword v2, v0, s[0:3], 0 offen offset:4
	buffer_load_dword v3, off, s[0:3], 0 offset:404
	buffer_load_dword v4, off, s[0:3], 0 offset:400
	s_waitcnt vmcnt(3)
	buffer_store_dword v1, off, s[0:3], 0 offset:400
	s_waitcnt vmcnt(3)
	buffer_store_dword v2, off, s[0:3], 0 offset:404
	s_waitcnt vmcnt(3)
	buffer_store_dword v3, v0, s[0:3], 0 offen offset:4
	s_waitcnt vmcnt(3)
	buffer_store_dword v4, v0, s[0:3], 0 offen
.LBB118_352:
	s_or_b64 exec, exec, s[4:5]
	;; [unrolled: 48-line block ×26, first 2 shown]
	v_pk_mov_b32 v[0:1], s[10:11], s[10:11] op_sel:[0,1]
	flat_load_dword v0, v[0:1] offset:4
	s_waitcnt vmcnt(0) lgkmcnt(0)
	v_add_u32_e32 v0, -1, v0
	v_cmp_ne_u32_e32 vcc, 1, v0
	s_and_saveexec_b64 s[4:5], vcc
	s_cbranch_execz .LBB118_450
; %bb.449:
	v_mov_b32_e32 v1, 0
	v_lshl_add_u32 v0, v0, 3, v1
	buffer_load_dword v1, v0, s[0:3], 0 offen
	buffer_load_dword v2, v0, s[0:3], 0 offen offset:4
	buffer_load_dword v3, off, s[0:3], 0 offset:8
	buffer_load_dword v4, off, s[0:3], 0 offset:12
	s_waitcnt vmcnt(3)
	buffer_store_dword v1, off, s[0:3], 0 offset:8
	s_waitcnt vmcnt(3)
	buffer_store_dword v2, off, s[0:3], 0 offset:12
	s_waitcnt vmcnt(3)
	buffer_store_dword v3, v0, s[0:3], 0 offen
	s_waitcnt vmcnt(3)
	buffer_store_dword v4, v0, s[0:3], 0 offen offset:4
.LBB118_450:
	s_or_b64 exec, exec, s[4:5]
	v_pk_mov_b32 v[0:1], s[10:11], s[10:11] op_sel:[0,1]
	flat_load_dword v2, v[0:1]
	s_nop 0
	buffer_load_dword v0, off, s[0:3], 0
	buffer_load_dword v1, off, s[0:3], 0 offset:4
	s_waitcnt vmcnt(0) lgkmcnt(0)
	v_add_u32_e32 v2, -1, v2
	v_cmp_ne_u32_e32 vcc, 0, v2
	s_and_saveexec_b64 s[4:5], vcc
	s_cbranch_execz .LBB118_452
; %bb.451:
	v_mov_b32_e32 v3, 0
	v_lshl_add_u32 v2, v2, 3, v3
	buffer_load_dword v3, v2, s[0:3], 0 offen offset:4
	buffer_load_dword v4, v2, s[0:3], 0 offen
	s_waitcnt vmcnt(1)
	buffer_store_dword v3, off, s[0:3], 0 offset:4
	s_waitcnt vmcnt(1)
	buffer_store_dword v4, off, s[0:3], 0
	buffer_store_dword v1, v2, s[0:3], 0 offen offset:4
	buffer_store_dword v0, v2, s[0:3], 0 offen
	buffer_load_dword v0, off, s[0:3], 0
	s_nop 0
	buffer_load_dword v1, off, s[0:3], 0 offset:4
.LBB118_452:
	s_or_b64 exec, exec, s[4:5]
.LBB118_453:
	buffer_load_dword v2, off, s[0:3], 0 offset:8
	buffer_load_dword v3, off, s[0:3], 0 offset:12
	;; [unrolled: 1-line block ×108, first 2 shown]
	s_waitcnt vmcnt(62)
	global_store_dwordx2 v[192:193], v[0:1], off
	global_store_dwordx2 v[196:197], v[2:3], off
	v_accvgpr_read_b32 v0, a0
	v_accvgpr_read_b32 v1, a1
	global_store_dwordx2 v[0:1], v[4:5], off
	v_accvgpr_read_b32 v0, a2
	v_accvgpr_read_b32 v1, a3
	global_store_dwordx2 v[0:1], v[6:7], off
	v_accvgpr_read_b32 v0, a4
	v_accvgpr_read_b32 v1, a5
	global_store_dwordx2 v[0:1], v[8:9], off
	v_accvgpr_read_b32 v0, a6
	v_accvgpr_read_b32 v1, a7
	global_store_dwordx2 v[0:1], v[10:11], off
	v_accvgpr_read_b32 v0, a8
	v_accvgpr_read_b32 v1, a9
	global_store_dwordx2 v[0:1], v[12:13], off
	v_accvgpr_read_b32 v0, a10
	v_accvgpr_read_b32 v1, a11
	global_store_dwordx2 v[0:1], v[14:15], off
	v_accvgpr_read_b32 v0, a12
	v_accvgpr_read_b32 v1, a13
	global_store_dwordx2 v[0:1], v[16:17], off
	v_accvgpr_read_b32 v0, a14
	v_accvgpr_read_b32 v1, a15
	global_store_dwordx2 v[0:1], v[18:19], off
	v_accvgpr_read_b32 v0, a16
	v_accvgpr_read_b32 v1, a17
	global_store_dwordx2 v[0:1], v[20:21], off
	v_accvgpr_read_b32 v0, a18
	v_accvgpr_read_b32 v1, a19
	global_store_dwordx2 v[0:1], v[22:23], off
	v_accvgpr_read_b32 v0, a20
	v_accvgpr_read_b32 v1, a21
	global_store_dwordx2 v[0:1], v[24:25], off
	v_accvgpr_read_b32 v0, a22
	v_accvgpr_read_b32 v1, a23
	global_store_dwordx2 v[0:1], v[26:27], off
	v_accvgpr_read_b32 v0, a24
	v_accvgpr_read_b32 v1, a25
	global_store_dwordx2 v[0:1], v[28:29], off
	v_accvgpr_read_b32 v0, a26
	v_accvgpr_read_b32 v1, a27
	global_store_dwordx2 v[0:1], v[30:31], off
	v_accvgpr_read_b32 v0, a28
	v_accvgpr_read_b32 v1, a29
	global_store_dwordx2 v[0:1], v[32:33], off
	v_accvgpr_read_b32 v0, a30
	v_accvgpr_read_b32 v1, a31
	global_store_dwordx2 v[0:1], v[34:35], off
	v_accvgpr_read_b32 v0, a32
	v_accvgpr_read_b32 v1, a33
	global_store_dwordx2 v[0:1], v[36:37], off
	v_accvgpr_read_b32 v0, a34
	v_accvgpr_read_b32 v1, a35
	global_store_dwordx2 v[0:1], v[38:39], off
	v_accvgpr_read_b32 v0, a36
	v_accvgpr_read_b32 v1, a37
	global_store_dwordx2 v[0:1], v[40:41], off
	v_accvgpr_read_b32 v0, a38
	v_accvgpr_read_b32 v1, a39
	global_store_dwordx2 v[0:1], v[42:43], off
	v_accvgpr_read_b32 v0, a40
	v_accvgpr_read_b32 v1, a41
	global_store_dwordx2 v[0:1], v[44:45], off
	v_accvgpr_read_b32 v0, a42
	v_accvgpr_read_b32 v1, a43
	global_store_dwordx2 v[0:1], v[46:47], off
	v_accvgpr_read_b32 v0, a44
	v_accvgpr_read_b32 v1, a45
	s_waitcnt vmcnt(62)
	global_store_dwordx2 v[0:1], v[48:49], off
	v_accvgpr_read_b32 v0, a46
	v_accvgpr_read_b32 v1, a47
	global_store_dwordx2 v[0:1], v[50:51], off
	v_accvgpr_read_b32 v0, a48
	v_accvgpr_read_b32 v1, a49
	;; [unrolled: 3-line block ×9, first 2 shown]
	global_store_dwordx2 v[0:1], v[66:67], off
	global_store_dwordx2 v[158:159], v[68:69], off
	;; [unrolled: 1-line block ×3, first 2 shown]
	s_waitcnt vmcnt(62)
	global_store_dwordx2 v[162:163], v[72:73], off
	global_store_dwordx2 v[164:165], v[74:75], off
	;; [unrolled: 1-line block ×6, first 2 shown]
	s_waitcnt vmcnt(62)
	global_store_dwordx2 v[174:175], v[84:85], off
	global_store_dwordx2 v[176:177], v[86:87], off
	;; [unrolled: 1-line block ×3, first 2 shown]
	s_waitcnt vmcnt(62)
	global_store_dwordx2 v[180:181], v[90:91], off
	s_waitcnt vmcnt(62)
	global_store_dwordx2 v[182:183], v[92:93], off
	;; [unrolled: 2-line block ×10, first 2 shown]
	s_endpgm
	.section	.rodata,"a",@progbits
	.p2align	6, 0x0
	.amdhsa_kernel _ZN9rocsolver6v33100L18getri_kernel_smallILi55E19rocblas_complex_numIfEPKPS3_EEvT1_iilPiilS8_bb
		.amdhsa_group_segment_fixed_size 888
		.amdhsa_private_segment_fixed_size 448
		.amdhsa_kernarg_size 60
		.amdhsa_user_sgpr_count 8
		.amdhsa_user_sgpr_private_segment_buffer 1
		.amdhsa_user_sgpr_dispatch_ptr 0
		.amdhsa_user_sgpr_queue_ptr 0
		.amdhsa_user_sgpr_kernarg_segment_ptr 1
		.amdhsa_user_sgpr_dispatch_id 0
		.amdhsa_user_sgpr_flat_scratch_init 1
		.amdhsa_user_sgpr_kernarg_preload_length 0
		.amdhsa_user_sgpr_kernarg_preload_offset 0
		.amdhsa_user_sgpr_private_segment_size 0
		.amdhsa_uses_dynamic_stack 0
		.amdhsa_system_sgpr_private_segment_wavefront_offset 1
		.amdhsa_system_sgpr_workgroup_id_x 1
		.amdhsa_system_sgpr_workgroup_id_y 0
		.amdhsa_system_sgpr_workgroup_id_z 0
		.amdhsa_system_sgpr_workgroup_info 0
		.amdhsa_system_vgpr_workitem_id 0
		.amdhsa_next_free_vgpr 320
		.amdhsa_next_free_sgpr 22
		.amdhsa_accum_offset 256
		.amdhsa_reserve_vcc 1
		.amdhsa_reserve_flat_scratch 1
		.amdhsa_float_round_mode_32 0
		.amdhsa_float_round_mode_16_64 0
		.amdhsa_float_denorm_mode_32 3
		.amdhsa_float_denorm_mode_16_64 3
		.amdhsa_dx10_clamp 1
		.amdhsa_ieee_mode 1
		.amdhsa_fp16_overflow 0
		.amdhsa_tg_split 0
		.amdhsa_exception_fp_ieee_invalid_op 0
		.amdhsa_exception_fp_denorm_src 0
		.amdhsa_exception_fp_ieee_div_zero 0
		.amdhsa_exception_fp_ieee_overflow 0
		.amdhsa_exception_fp_ieee_underflow 0
		.amdhsa_exception_fp_ieee_inexact 0
		.amdhsa_exception_int_div_zero 0
	.end_amdhsa_kernel
	.section	.text._ZN9rocsolver6v33100L18getri_kernel_smallILi55E19rocblas_complex_numIfEPKPS3_EEvT1_iilPiilS8_bb,"axG",@progbits,_ZN9rocsolver6v33100L18getri_kernel_smallILi55E19rocblas_complex_numIfEPKPS3_EEvT1_iilPiilS8_bb,comdat
.Lfunc_end118:
	.size	_ZN9rocsolver6v33100L18getri_kernel_smallILi55E19rocblas_complex_numIfEPKPS3_EEvT1_iilPiilS8_bb, .Lfunc_end118-_ZN9rocsolver6v33100L18getri_kernel_smallILi55E19rocblas_complex_numIfEPKPS3_EEvT1_iilPiilS8_bb
                                        ; -- End function
	.section	.AMDGPU.csdata,"",@progbits
; Kernel info:
; codeLenInByte = 116072
; NumSgprs: 28
; NumVgprs: 256
; NumAgprs: 64
; TotalNumVgprs: 320
; ScratchSize: 448
; MemoryBound: 0
; FloatMode: 240
; IeeeMode: 1
; LDSByteSize: 888 bytes/workgroup (compile time only)
; SGPRBlocks: 3
; VGPRBlocks: 39
; NumSGPRsForWavesPerEU: 28
; NumVGPRsForWavesPerEU: 320
; AccumOffset: 256
; Occupancy: 1
; WaveLimiterHint : 1
; COMPUTE_PGM_RSRC2:SCRATCH_EN: 1
; COMPUTE_PGM_RSRC2:USER_SGPR: 8
; COMPUTE_PGM_RSRC2:TRAP_HANDLER: 0
; COMPUTE_PGM_RSRC2:TGID_X_EN: 1
; COMPUTE_PGM_RSRC2:TGID_Y_EN: 0
; COMPUTE_PGM_RSRC2:TGID_Z_EN: 0
; COMPUTE_PGM_RSRC2:TIDIG_COMP_CNT: 0
; COMPUTE_PGM_RSRC3_GFX90A:ACCUM_OFFSET: 63
; COMPUTE_PGM_RSRC3_GFX90A:TG_SPLIT: 0
	.section	.text._ZN9rocsolver6v33100L18getri_kernel_smallILi56E19rocblas_complex_numIfEPKPS3_EEvT1_iilPiilS8_bb,"axG",@progbits,_ZN9rocsolver6v33100L18getri_kernel_smallILi56E19rocblas_complex_numIfEPKPS3_EEvT1_iilPiilS8_bb,comdat
	.globl	_ZN9rocsolver6v33100L18getri_kernel_smallILi56E19rocblas_complex_numIfEPKPS3_EEvT1_iilPiilS8_bb ; -- Begin function _ZN9rocsolver6v33100L18getri_kernel_smallILi56E19rocblas_complex_numIfEPKPS3_EEvT1_iilPiilS8_bb
	.p2align	8
	.type	_ZN9rocsolver6v33100L18getri_kernel_smallILi56E19rocblas_complex_numIfEPKPS3_EEvT1_iilPiilS8_bb,@function
_ZN9rocsolver6v33100L18getri_kernel_smallILi56E19rocblas_complex_numIfEPKPS3_EEvT1_iilPiilS8_bb: ; @_ZN9rocsolver6v33100L18getri_kernel_smallILi56E19rocblas_complex_numIfEPKPS3_EEvT1_iilPiilS8_bb
; %bb.0:
	s_add_u32 flat_scratch_lo, s6, s9
	s_addc_u32 flat_scratch_hi, s7, 0
	s_add_u32 s0, s0, s9
	s_addc_u32 s1, s1, 0
	v_cmp_gt_u32_e32 vcc, 56, v0
	s_and_saveexec_b64 s[6:7], vcc
	s_cbranch_execz .LBB119_238
; %bb.1:
	s_load_dword s20, s[4:5], 0x38
	s_load_dwordx2 s[6:7], s[4:5], 0x0
	s_load_dwordx4 s[12:15], s[4:5], 0x28
	s_waitcnt lgkmcnt(0)
	s_bitcmp1_b32 s20, 8
	s_cselect_b64 s[16:17], -1, 0
	s_ashr_i32 s9, s8, 31
	s_lshl_b64 s[10:11], s[8:9], 3
	s_add_u32 s6, s6, s10
	s_addc_u32 s7, s7, s11
	s_load_dwordx2 s[18:19], s[6:7], 0x0
	s_bfe_u32 s6, s20, 0x10008
	s_cmp_eq_u32 s6, 0
                                        ; implicit-def: $sgpr10_sgpr11
	s_cbranch_scc1 .LBB119_3
; %bb.2:
	s_load_dword s6, s[4:5], 0x20
	s_load_dwordx2 s[10:11], s[4:5], 0x18
	s_mul_i32 s7, s8, s13
	s_mul_hi_u32 s13, s8, s12
	s_add_i32 s13, s13, s7
	s_mul_i32 s21, s9, s12
	s_add_i32 s13, s13, s21
	s_mul_i32 s12, s8, s12
	s_waitcnt lgkmcnt(0)
	s_ashr_i32 s7, s6, 31
	s_lshl_b64 s[12:13], s[12:13], 2
	s_add_u32 s10, s10, s12
	s_addc_u32 s11, s11, s13
	s_lshl_b64 s[6:7], s[6:7], 2
	s_add_u32 s10, s10, s6
	s_addc_u32 s11, s11, s7
.LBB119_3:
	s_load_dwordx2 s[6:7], s[4:5], 0x8
	v_lshlrev_b32_e32 v6, 3, v0
	s_waitcnt lgkmcnt(0)
	s_ashr_i32 s5, s6, 31
	s_mov_b32 s4, s6
	s_lshl_b64 s[4:5], s[4:5], 3
	s_add_u32 s4, s18, s4
	s_addc_u32 s5, s19, s5
	s_add_i32 s6, s7, s7
	v_add_u32_e32 v2, s6, v0
	v_ashrrev_i32_e32 v3, 31, v2
	v_lshlrev_b64 v[4:5], 3, v[2:3]
	v_add_u32_e32 v2, s7, v2
	v_mov_b32_e32 v1, s5
	v_add_co_u32_e32 v12, vcc, s4, v4
	v_ashrrev_i32_e32 v3, 31, v2
	v_addc_co_u32_e32 v13, vcc, v1, v5, vcc
	v_lshlrev_b64 v[4:5], 3, v[2:3]
	v_add_u32_e32 v2, s7, v2
	v_add_co_u32_e32 v14, vcc, s4, v4
	v_ashrrev_i32_e32 v3, 31, v2
	v_addc_co_u32_e32 v15, vcc, v1, v5, vcc
	v_lshlrev_b64 v[4:5], 3, v[2:3]
	v_add_u32_e32 v2, s7, v2
	;; [unrolled: 5-line block ×45, first 2 shown]
	v_add_co_u32_e32 v184, vcc, s4, v4
	v_ashrrev_i32_e32 v3, 31, v2
	v_addc_co_u32_e32 v185, vcc, v1, v5, vcc
	v_lshlrev_b64 v[4:5], 3, v[2:3]
	v_add_co_u32_e32 v186, vcc, s4, v4
	v_add_u32_e32 v2, s7, v2
	v_addc_co_u32_e32 v187, vcc, v1, v5, vcc
	v_ashrrev_i32_e32 v3, 31, v2
	v_lshlrev_b64 v[4:5], 3, v[2:3]
	v_mov_b32_e32 v3, s5
	v_add_co_u32_e32 v196, vcc, s4, v6
	s_ashr_i32 s13, s7, 31
	s_mov_b32 s12, s7
	v_addc_co_u32_e32 v197, vcc, 0, v3, vcc
	s_lshl_b64 s[12:13], s[12:13], 3
	v_mov_b32_e32 v3, s13
	v_add_co_u32_e32 v198, vcc, s12, v196
	v_addc_co_u32_e32 v199, vcc, v197, v3, vcc
	v_add_co_u32_e32 v188, vcc, s4, v4
	v_accvgpr_write_b32 a2, v14
	v_accvgpr_write_b32 a4, v16
	global_load_dwordx2 v[8:9], v6, s[4:5]
	v_addc_co_u32_e32 v189, vcc, v1, v5, vcc
	global_load_dwordx2 v[4:5], v[12:13], off
	v_add_u32_e32 v2, s7, v2
	v_accvgpr_write_b32 a3, v15
	global_load_dwordx2 v[14:15], v[14:15], off
	v_accvgpr_write_b32 a5, v17
	global_load_dwordx2 v[16:17], v[16:17], off
	v_accvgpr_write_b32 a0, v12
	v_ashrrev_i32_e32 v3, 31, v2
	v_accvgpr_write_b32 a1, v13
	v_lshlrev_b64 v[12:13], 3, v[2:3]
	v_add_co_u32_e32 v190, vcc, s4, v12
	global_load_dwordx2 v[10:11], v[198:199], off
	v_addc_co_u32_e32 v191, vcc, v1, v13, vcc
	global_load_dwordx2 v[12:13], v[18:19], off
	v_add_u32_e32 v2, s7, v2
	v_ashrrev_i32_e32 v3, 31, v2
	v_accvgpr_write_b32 a6, v18
	v_accvgpr_write_b32 a8, v20
	;; [unrolled: 1-line block ×6, first 2 shown]
	global_load_dwordx2 v[20:21], v[20:21], off
	v_accvgpr_write_b32 a15, v27
	global_load_dwordx2 v[26:27], v[26:27], off
	v_accvgpr_write_b32 a25, v37
	global_load_dwordx2 v[36:37], v[36:37], off
	v_lshlrev_b64 v[18:19], 3, v[2:3]
	v_add_co_u32_e32 v192, vcc, s4, v18
	v_addc_co_u32_e32 v193, vcc, v1, v19, vcc
	global_load_dwordx2 v[18:19], v[22:23], off
	v_accvgpr_write_b32 a10, v22
	v_accvgpr_write_b32 a18, v30
	;; [unrolled: 1-line block ×4, first 2 shown]
	global_load_dwordx2 v[30:31], v[30:31], off
	v_add_u32_e32 v2, s7, v2
	global_load_dwordx2 v[22:23], v[24:25], off
	v_ashrrev_i32_e32 v3, 31, v2
	v_accvgpr_write_b32 a12, v24
	v_accvgpr_write_b32 a20, v32
	;; [unrolled: 1-line block ×4, first 2 shown]
	global_load_dwordx2 v[32:33], v[32:33], off
	v_lshlrev_b64 v[24:25], 3, v[2:3]
	v_add_co_u32_e32 v194, vcc, s4, v24
	v_addc_co_u32_e32 v195, vcc, v1, v25, vcc
	global_load_dwordx2 v[24:25], v[28:29], off
	v_add_u32_e32 v2, s7, v2
	v_accvgpr_write_b32 a16, v28
	v_ashrrev_i32_e32 v3, 31, v2
	v_accvgpr_write_b32 a26, v38
	v_accvgpr_write_b32 a17, v29
	;; [unrolled: 1-line block ×3, first 2 shown]
	global_load_dwordx2 v[38:39], v[38:39], off
	v_lshlrev_b64 v[28:29], 3, v[2:3]
	v_add_u32_e32 v2, s7, v2
	v_add_co_u32_e32 v200, vcc, s4, v28
	v_ashrrev_i32_e32 v3, 31, v2
	v_accvgpr_write_b32 a22, v34
	v_addc_co_u32_e32 v201, vcc, v1, v29, vcc
	v_accvgpr_write_b32 a23, v35
	global_load_dwordx2 v[28:29], v[34:35], off
	v_lshlrev_b64 v[34:35], 3, v[2:3]
	v_add_u32_e32 v2, s7, v2
	v_add_co_u32_e32 v202, vcc, s4, v34
	v_ashrrev_i32_e32 v3, 31, v2
	v_addc_co_u32_e32 v203, vcc, v1, v35, vcc
	v_lshlrev_b64 v[2:3], 3, v[2:3]
	v_accvgpr_write_b32 a28, v40
	v_accvgpr_write_b32 a30, v42
	;; [unrolled: 1-line block ×8, first 2 shown]
	v_add_co_u32_e32 v204, vcc, s4, v2
	v_accvgpr_write_b32 a29, v41
	global_load_dwordx2 v[34:35], v[40:41], off
	v_accvgpr_write_b32 a31, v43
	global_load_dwordx2 v[40:41], v[42:43], off
	;; [unrolled: 2-line block ×8, first 2 shown]
	v_addc_co_u32_e32 v205, vcc, v1, v3, vcc
	global_load_dwordx2 v[2:3], v[56:57], off
	global_load_dwordx2 v[54:55], v[204:205], off
	v_accvgpr_write_b32 a44, v56
	v_accvgpr_write_b32 a45, v57
	global_load_dwordx2 v[56:57], v[58:59], off
	v_accvgpr_write_b32 a46, v58
	v_accvgpr_write_b32 a47, v59
	s_waitcnt vmcnt(26)
	buffer_store_dword v9, off, s[0:3], 0 offset:4
	buffer_store_dword v8, off, s[0:3], 0
	global_load_dwordx2 v[8:9], v[62:63], off
	v_accvgpr_write_b32 a48, v60
	s_waitcnt vmcnt(28)
	buffer_store_dword v5, off, s[0:3], 0 offset:20
	buffer_store_dword v4, off, s[0:3], 0 offset:16
	global_load_dwordx2 v[4:5], v[70:71], off
	v_accvgpr_write_b32 a49, v61
	s_waitcnt vmcnt(29)
	buffer_store_dword v17, off, s[0:3], 0 offset:36
	buffer_store_dword v16, off, s[0:3], 0 offset:32
	global_load_dwordx2 v[16:17], v[78:79], off
	v_accvgpr_write_b32 a50, v62
	global_load_dwordx2 v[58:59], v[60:61], off
	v_accvgpr_write_b32 a51, v63
	s_waitcnt vmcnt(32)
	buffer_store_dword v11, off, s[0:3], 0 offset:12
	buffer_store_dword v10, off, s[0:3], 0 offset:8
	global_load_dwordx2 v[10:11], v[66:67], off
	v_accvgpr_write_b32 a52, v64
	buffer_store_dword v15, off, s[0:3], 0 offset:28
	buffer_store_dword v14, off, s[0:3], 0 offset:24
	global_load_dwordx2 v[14:15], v[74:75], off
	v_accvgpr_write_b32 a54, v66
	s_waitcnt vmcnt(37)
	buffer_store_dword v13, off, s[0:3], 0 offset:44
	buffer_store_dword v12, off, s[0:3], 0 offset:40
	global_load_dwordx2 v[12:13], v[164:165], off
	v_accvgpr_write_b32 a58, v70
	global_load_dwordx2 v[60:61], v[64:65], off
	global_load_dwordx2 v[62:63], v[68:69], off
	v_accvgpr_write_b32 a53, v65
	v_accvgpr_write_b32 a55, v67
	global_load_dwordx2 v[66:67], v[76:77], off
	v_accvgpr_write_b32 a59, v71
	global_load_dwordx2 v[70:71], v[166:167], off
	global_load_dwordx2 v[64:65], v[72:73], off
	v_accvgpr_write_b32 a56, v68
	v_accvgpr_write_b32 a57, v69
	global_load_dwordx2 v[68:69], v[162:163], off
	v_accvgpr_write_b32 a60, v72
	s_waitcnt vmcnt(45)
	buffer_store_dword v21, off, s[0:3], 0 offset:52
	buffer_store_dword v20, off, s[0:3], 0 offset:48
	global_load_dwordx2 v[20:21], v[168:169], off
	v_accvgpr_write_b32 a61, v73
	s_waitcnt vmcnt(45)
	buffer_store_dword v19, off, s[0:3], 0 offset:60
	buffer_store_dword v18, off, s[0:3], 0 offset:56
	global_load_dwordx2 v[18:19], v[172:173], off
	v_accvgpr_write_b32 a62, v74
	global_load_dwordx2 v[72:73], v[170:171], off
	v_accvgpr_write_b32 a63, v75
	;; [unrolled: 2-line block ×3, first 2 shown]
	s_waitcnt vmcnt(48)
	buffer_store_dword v23, off, s[0:3], 0 offset:68
	buffer_store_dword v22, off, s[0:3], 0 offset:64
	global_load_dwordx2 v[22:23], v[176:177], off
	v_accvgpr_write_b32 a65, v77
	global_load_dwordx2 v[76:77], v[178:179], off
	v_accvgpr_write_b32 a66, v78
	buffer_store_dword v26, off, s[0:3], 0 offset:72
	buffer_store_dword v27, off, s[0:3], 0 offset:76
	global_load_dwordx2 v[26:27], v[180:181], off
	v_accvgpr_write_b32 a67, v79
	global_load_dwordx2 v[78:79], v[182:183], off
	global_load_dwordx2 v[80:81], v[186:187], off
	global_load_dwordx2 v[82:83], v[190:191], off
	global_load_dwordx2 v[84:85], v[194:195], off
	global_load_dwordx2 v[86:87], v[202:203], off
	s_bitcmp0_b32 s20, 0
	s_waitcnt vmcnt(58)
	buffer_store_dword v24, off, s[0:3], 0 offset:80
	buffer_store_dword v25, off, s[0:3], 0 offset:84
	global_load_dwordx2 v[24:25], v[184:185], off
	s_mov_b64 s[6:7], -1
	buffer_store_dword v30, off, s[0:3], 0 offset:88
	buffer_store_dword v31, off, s[0:3], 0 offset:92
	global_load_dwordx2 v[30:31], v[188:189], off
	s_nop 0
	buffer_store_dword v32, off, s[0:3], 0 offset:96
	buffer_store_dword v33, off, s[0:3], 0 offset:100
	global_load_dwordx2 v[32:33], v[192:193], off
	s_waitcnt vmcnt(62)
	buffer_store_dword v28, off, s[0:3], 0 offset:104
	buffer_store_dword v29, off, s[0:3], 0 offset:108
	global_load_dwordx2 v[28:29], v[200:201], off
	s_nop 0
	buffer_store_dword v37, off, s[0:3], 0 offset:116
	buffer_store_dword v36, off, s[0:3], 0 offset:112
	;; [unrolled: 1-line block ×10, first 2 shown]
	s_waitcnt vmcnt(62)
	buffer_store_dword v45, off, s[0:3], 0 offset:156
	buffer_store_dword v44, off, s[0:3], 0 offset:152
	;; [unrolled: 1-line block ×14, first 2 shown]
	s_waitcnt vmcnt(62)
	buffer_store_dword v59, off, s[0:3], 0 offset:212
	buffer_store_dword v58, off, s[0:3], 0 offset:208
	;; [unrolled: 1-line block ×4, first 2 shown]
	s_waitcnt vmcnt(62)
	buffer_store_dword v60, off, s[0:3], 0 offset:224
	buffer_store_dword v61, off, s[0:3], 0 offset:228
	;; [unrolled: 1-line block ×8, first 2 shown]
	s_waitcnt vmcnt(62)
	buffer_store_dword v65, off, s[0:3], 0 offset:260
	buffer_store_dword v64, off, s[0:3], 0 offset:256
	;; [unrolled: 1-line block ×16, first 2 shown]
	s_waitcnt vmcnt(62)
	buffer_store_dword v72, off, s[0:3], 0 offset:320
	buffer_store_dword v73, off, s[0:3], 0 offset:324
	;; [unrolled: 1-line block ×14, first 2 shown]
	s_waitcnt vmcnt(62)
	buffer_store_dword v24, off, s[0:3], 0 offset:376
	buffer_store_dword v25, off, s[0:3], 0 offset:380
	;; [unrolled: 1-line block ×18, first 2 shown]
	s_cbranch_scc1 .LBB119_236
; %bb.4:
	v_cmp_eq_u32_e64 s[4:5], 0, v0
	s_and_saveexec_b64 s[6:7], s[4:5]
	s_cbranch_execz .LBB119_6
; %bb.5:
	v_mov_b32_e32 v1, 0
	ds_write_b32 v1, v1 offset:896
.LBB119_6:
	s_or_b64 exec, exec, s[6:7]
	v_mov_b32_e32 v1, 0
	v_lshl_add_u32 v7, v0, 3, v1
	s_waitcnt lgkmcnt(0)
	; wave barrier
	s_waitcnt lgkmcnt(0)
	buffer_load_dword v1, v7, s[0:3], 0 offen
	buffer_load_dword v2, v7, s[0:3], 0 offen offset:4
	s_waitcnt vmcnt(1)
	v_cmp_eq_f32_e32 vcc, 0, v1
	s_waitcnt vmcnt(0)
	v_cmp_eq_f32_e64 s[6:7], 0, v2
	s_and_b64 s[6:7], vcc, s[6:7]
	s_and_saveexec_b64 s[12:13], s[6:7]
	s_cbranch_execz .LBB119_10
; %bb.7:
	v_mov_b32_e32 v1, 0
	ds_read_b32 v3, v1 offset:896
	v_add_u32_e32 v2, 1, v0
	s_waitcnt lgkmcnt(0)
	v_readfirstlane_b32 s6, v3
	s_cmp_eq_u32 s6, 0
	s_cselect_b64 s[18:19], -1, 0
	v_cmp_gt_i32_e32 vcc, s6, v2
	s_or_b64 s[18:19], s[18:19], vcc
	s_and_b64 exec, exec, s[18:19]
	s_cbranch_execz .LBB119_10
; %bb.8:
	s_mov_b64 s[18:19], 0
	v_mov_b32_e32 v3, s6
.LBB119_9:                              ; =>This Inner Loop Header: Depth=1
	ds_cmpst_rtn_b32 v3, v1, v3, v2 offset:896
	s_waitcnt lgkmcnt(0)
	v_cmp_ne_u32_e32 vcc, 0, v3
	v_cmp_le_i32_e64 s[6:7], v3, v2
	s_and_b64 s[6:7], vcc, s[6:7]
	s_and_b64 s[6:7], exec, s[6:7]
	s_or_b64 s[18:19], s[6:7], s[18:19]
	s_andn2_b64 exec, exec, s[18:19]
	s_cbranch_execnz .LBB119_9
.LBB119_10:
	s_or_b64 exec, exec, s[12:13]
	v_mov_b32_e32 v2, 0
	s_waitcnt lgkmcnt(0)
	; wave barrier
	ds_read_b32 v1, v2 offset:896
	s_and_saveexec_b64 s[6:7], s[4:5]
	s_cbranch_execz .LBB119_12
; %bb.11:
	s_lshl_b64 s[12:13], s[8:9], 2
	s_add_u32 s12, s14, s12
	s_addc_u32 s13, s15, s13
	s_waitcnt lgkmcnt(0)
	global_store_dword v2, v1, s[12:13]
.LBB119_12:
	s_or_b64 exec, exec, s[6:7]
	s_waitcnt lgkmcnt(0)
	v_cmp_ne_u32_e32 vcc, 0, v1
	s_mov_b64 s[6:7], 0
	s_cbranch_vccnz .LBB119_236
; %bb.13:
	buffer_load_dword v8, v7, s[0:3], 0 offen offset:4
	buffer_load_dword v3, v7, s[0:3], 0 offen
	s_waitcnt vmcnt(1)
	v_cmp_gt_f32_e32 vcc, 0, v8
	v_cndmask_b32_e64 v1, v8, -v8, vcc
	s_waitcnt vmcnt(0)
	v_cmp_gt_f32_e32 vcc, 0, v3
	v_cndmask_b32_e64 v2, v3, -v3, vcc
	v_cmp_ngt_f32_e32 vcc, v2, v1
                                        ; implicit-def: $vgpr1
                                        ; implicit-def: $vgpr2
	s_and_saveexec_b64 s[6:7], vcc
	s_xor_b64 s[6:7], exec, s[6:7]
                                        ; implicit-def: $vgpr4_vgpr5
	s_cbranch_execz .LBB119_15
; %bb.14:
	v_div_scale_f32 v1, s[12:13], v8, v8, v3
	v_rcp_f32_e32 v2, v1
	v_div_scale_f32 v4, vcc, v3, v8, v3
	v_fma_f32 v5, -v1, v2, 1.0
	v_fmac_f32_e32 v2, v5, v2
	v_mul_f32_e32 v5, v4, v2
	v_fma_f32 v9, -v1, v5, v4
	v_fmac_f32_e32 v5, v9, v2
	v_fma_f32 v1, -v1, v5, v4
	v_div_fmas_f32 v1, v1, v2, v5
	v_div_fixup_f32 v2, v1, v8, v3
	v_fmac_f32_e32 v8, v3, v2
	v_div_scale_f32 v1, s[12:13], v8, v8, -1.0
	v_rcp_f32_e32 v3, v1
	v_fma_f32 v4, -v1, v3, 1.0
	v_fmac_f32_e32 v3, v4, v3
	v_div_scale_f32 v4, vcc, -1.0, v8, -1.0
	v_mul_f32_e32 v5, v4, v3
	v_fma_f32 v9, -v1, v5, v4
	v_fmac_f32_e32 v5, v9, v3
	v_fma_f32 v1, -v1, v5, v4
	v_div_fmas_f32 v1, v1, v3, v5
	v_div_fixup_f32 v1, v1, v8, -1.0
	v_mul_f32_e32 v2, v2, v1
	v_xor_b32_e32 v4, 0x80000000, v2
                                        ; implicit-def: $vgpr3
                                        ; implicit-def: $vgpr8
.LBB119_15:
	s_andn2_saveexec_b64 s[6:7], s[6:7]
	s_cbranch_execz .LBB119_17
; %bb.16:
	v_div_scale_f32 v1, s[12:13], v3, v3, v8
	v_rcp_f32_e32 v2, v1
	v_div_scale_f32 v4, vcc, v8, v3, v8
	v_fma_f32 v5, -v1, v2, 1.0
	v_fmac_f32_e32 v2, v5, v2
	v_mul_f32_e32 v5, v4, v2
	v_fma_f32 v9, -v1, v5, v4
	v_fmac_f32_e32 v5, v9, v2
	v_fma_f32 v1, -v1, v5, v4
	v_div_fmas_f32 v1, v1, v2, v5
	v_div_fixup_f32 v1, v1, v3, v8
	v_fmac_f32_e32 v3, v8, v1
	v_div_scale_f32 v2, s[12:13], v3, v3, 1.0
	v_rcp_f32_e32 v4, v2
	v_fma_f32 v5, -v2, v4, 1.0
	v_fmac_f32_e32 v4, v5, v4
	v_div_scale_f32 v5, vcc, 1.0, v3, 1.0
	v_mul_f32_e32 v8, v5, v4
	v_fma_f32 v9, -v2, v8, v5
	v_fmac_f32_e32 v8, v9, v4
	v_fma_f32 v2, -v2, v8, v5
	v_div_fmas_f32 v2, v2, v4, v8
	v_div_fixup_f32 v4, v2, v3, 1.0
	v_xor_b32_e32 v2, 0x80000000, v4
	v_mul_f32_e64 v1, v1, -v4
.LBB119_17:
	s_or_b64 exec, exec, s[6:7]
	buffer_store_dword v1, v7, s[0:3], 0 offen offset:4
	buffer_store_dword v4, v7, s[0:3], 0 offen
	buffer_load_dword v5, off, s[0:3], 0 offset:12
	s_nop 0
	buffer_load_dword v4, off, s[0:3], 0 offset:8
	v_xor_b32_e32 v3, 0x80000000, v1
	v_add_u32_e32 v1, 0x1c0, v6
	s_waitcnt vmcnt(0)
	ds_write2_b64 v6, v[2:3], v[4:5] offset1:56
	s_waitcnt lgkmcnt(0)
	; wave barrier
	s_waitcnt lgkmcnt(0)
	s_and_saveexec_b64 s[6:7], s[4:5]
	s_cbranch_execz .LBB119_19
; %bb.18:
	buffer_load_dword v8, v7, s[0:3], 0 offen offset:4
	buffer_load_dword v9, v7, s[0:3], 0 offen
	ds_read_b64 v[2:3], v1
	v_mov_b32_e32 v4, 0
	ds_read_b64 v[4:5], v4 offset:8
	s_waitcnt vmcnt(1) lgkmcnt(1)
	v_mul_f32_e32 v10, v3, v8
	v_mul_f32_e32 v8, v2, v8
	s_waitcnt vmcnt(0)
	v_fmac_f32_e32 v8, v3, v9
	v_fma_f32 v2, v2, v9, -v10
	v_add_f32_e32 v3, 0, v8
	v_add_f32_e32 v2, 0, v2
	s_waitcnt lgkmcnt(0)
	v_mul_f32_e32 v8, v3, v5
	v_mul_f32_e32 v5, v2, v5
	v_fma_f32 v2, v2, v4, -v8
	v_fmac_f32_e32 v5, v3, v4
	buffer_store_dword v2, off, s[0:3], 0 offset:8
	buffer_store_dword v5, off, s[0:3], 0 offset:12
.LBB119_19:
	s_or_b64 exec, exec, s[6:7]
	s_waitcnt lgkmcnt(0)
	; wave barrier
	buffer_load_dword v2, off, s[0:3], 0 offset:16
	buffer_load_dword v3, off, s[0:3], 0 offset:20
	v_cmp_gt_u32_e32 vcc, 2, v0
	s_waitcnt vmcnt(0)
	ds_write_b64 v1, v[2:3]
	s_waitcnt lgkmcnt(0)
	; wave barrier
	s_waitcnt lgkmcnt(0)
	s_and_saveexec_b64 s[6:7], vcc
	s_cbranch_execz .LBB119_23
; %bb.20:
	buffer_load_dword v4, v7, s[0:3], 0 offen offset:4
	buffer_load_dword v5, v7, s[0:3], 0 offen
	ds_read_b64 v[2:3], v1
	s_waitcnt vmcnt(1) lgkmcnt(0)
	v_mul_f32_e32 v7, v3, v4
	v_mul_f32_e32 v4, v2, v4
	s_waitcnt vmcnt(0)
	v_fma_f32 v2, v2, v5, -v7
	v_fmac_f32_e32 v4, v3, v5
	v_add_f32_e32 v3, 0, v2
	v_add_f32_e32 v2, 0, v4
	s_and_saveexec_b64 s[12:13], s[4:5]
	s_cbranch_execz .LBB119_22
; %bb.21:
	buffer_load_dword v7, off, s[0:3], 0 offset:12
	buffer_load_dword v8, off, s[0:3], 0 offset:8
	v_mov_b32_e32 v4, 0
	ds_read_b64 v[4:5], v4 offset:456
	s_waitcnt vmcnt(1) lgkmcnt(0)
	v_mul_f32_e32 v9, v4, v7
	v_mul_f32_e32 v7, v5, v7
	s_waitcnt vmcnt(0)
	v_fmac_f32_e32 v9, v5, v8
	v_fma_f32 v4, v4, v8, -v7
	v_add_f32_e32 v2, v2, v9
	v_add_f32_e32 v3, v3, v4
.LBB119_22:
	s_or_b64 exec, exec, s[12:13]
	v_mov_b32_e32 v4, 0
	ds_read_b64 v[4:5], v4 offset:16
	s_waitcnt lgkmcnt(0)
	v_mul_f32_e32 v7, v2, v5
	v_mul_f32_e32 v5, v3, v5
	v_fma_f32 v3, v3, v4, -v7
	v_fmac_f32_e32 v5, v2, v4
	buffer_store_dword v3, off, s[0:3], 0 offset:16
	buffer_store_dword v5, off, s[0:3], 0 offset:20
.LBB119_23:
	s_or_b64 exec, exec, s[6:7]
	s_waitcnt lgkmcnt(0)
	; wave barrier
	buffer_load_dword v2, off, s[0:3], 0 offset:24
	buffer_load_dword v3, off, s[0:3], 0 offset:28
	v_cmp_gt_u32_e32 vcc, 3, v0
	s_waitcnt vmcnt(0)
	ds_write_b64 v1, v[2:3]
	v_add_u32_e32 v2, -1, v0
	s_waitcnt lgkmcnt(0)
	; wave barrier
	s_waitcnt lgkmcnt(0)
	s_and_saveexec_b64 s[4:5], vcc
	s_cbranch_execz .LBB119_27
; %bb.24:
	v_add_u32_e32 v4, -1, v0
	v_add_u32_e32 v5, 0x1c0, v6
	v_add_u32_e32 v7, 0, v6
	s_mov_b64 s[6:7], 0
	v_mov_b32_e32 v3, 0
	v_mov_b32_e32 v8, 0
.LBB119_25:                             ; =>This Inner Loop Header: Depth=1
	buffer_load_dword v9, v7, s[0:3], 0 offen offset:4
	buffer_load_dword v12, v7, s[0:3], 0 offen
	ds_read_b64 v[10:11], v5
	v_add_u32_e32 v4, 1, v4
	v_cmp_lt_u32_e32 vcc, 1, v4
	v_add_u32_e32 v5, 8, v5
	v_add_u32_e32 v7, 8, v7
	s_or_b64 s[6:7], vcc, s[6:7]
	s_waitcnt vmcnt(1) lgkmcnt(0)
	v_mul_f32_e32 v13, v11, v9
	v_mul_f32_e32 v9, v10, v9
	s_waitcnt vmcnt(0)
	v_fma_f32 v10, v10, v12, -v13
	v_fmac_f32_e32 v9, v11, v12
	v_add_f32_e32 v8, v8, v10
	v_add_f32_e32 v3, v3, v9
	s_andn2_b64 exec, exec, s[6:7]
	s_cbranch_execnz .LBB119_25
; %bb.26:
	s_or_b64 exec, exec, s[6:7]
	v_mov_b32_e32 v4, 0
	ds_read_b64 v[4:5], v4 offset:24
	s_waitcnt lgkmcnt(0)
	v_mul_f32_e32 v7, v3, v5
	v_mul_f32_e32 v5, v8, v5
	v_fma_f32 v7, v8, v4, -v7
	v_fmac_f32_e32 v5, v3, v4
	buffer_store_dword v7, off, s[0:3], 0 offset:24
	buffer_store_dword v5, off, s[0:3], 0 offset:28
.LBB119_27:
	s_or_b64 exec, exec, s[4:5]
	s_waitcnt lgkmcnt(0)
	; wave barrier
	buffer_load_dword v4, off, s[0:3], 0 offset:32
	buffer_load_dword v5, off, s[0:3], 0 offset:36
	v_cmp_gt_u32_e32 vcc, 4, v0
	s_waitcnt vmcnt(0)
	ds_write_b64 v1, v[4:5]
	s_waitcnt lgkmcnt(0)
	; wave barrier
	s_waitcnt lgkmcnt(0)
	s_and_saveexec_b64 s[4:5], vcc
	s_cbranch_execz .LBB119_31
; %bb.28:
	v_add_u32_e32 v4, -1, v0
	v_add_u32_e32 v5, 0x1c0, v6
	v_add_u32_e32 v7, 0, v6
	s_mov_b64 s[6:7], 0
	v_mov_b32_e32 v3, 0
	v_mov_b32_e32 v8, 0
.LBB119_29:                             ; =>This Inner Loop Header: Depth=1
	buffer_load_dword v9, v7, s[0:3], 0 offen offset:4
	buffer_load_dword v12, v7, s[0:3], 0 offen
	ds_read_b64 v[10:11], v5
	v_add_u32_e32 v4, 1, v4
	v_cmp_lt_u32_e32 vcc, 2, v4
	v_add_u32_e32 v5, 8, v5
	v_add_u32_e32 v7, 8, v7
	s_or_b64 s[6:7], vcc, s[6:7]
	s_waitcnt vmcnt(1) lgkmcnt(0)
	v_mul_f32_e32 v13, v11, v9
	v_mul_f32_e32 v9, v10, v9
	s_waitcnt vmcnt(0)
	v_fma_f32 v10, v10, v12, -v13
	v_fmac_f32_e32 v9, v11, v12
	v_add_f32_e32 v8, v8, v10
	v_add_f32_e32 v3, v3, v9
	s_andn2_b64 exec, exec, s[6:7]
	s_cbranch_execnz .LBB119_29
; %bb.30:
	s_or_b64 exec, exec, s[6:7]
	v_mov_b32_e32 v4, 0
	ds_read_b64 v[4:5], v4 offset:32
	s_waitcnt lgkmcnt(0)
	v_mul_f32_e32 v7, v3, v5
	v_mul_f32_e32 v5, v8, v5
	v_fma_f32 v7, v8, v4, -v7
	v_fmac_f32_e32 v5, v3, v4
	buffer_store_dword v7, off, s[0:3], 0 offset:32
	buffer_store_dword v5, off, s[0:3], 0 offset:36
.LBB119_31:
	s_or_b64 exec, exec, s[4:5]
	s_waitcnt lgkmcnt(0)
	; wave barrier
	buffer_load_dword v4, off, s[0:3], 0 offset:40
	buffer_load_dword v5, off, s[0:3], 0 offset:44
	v_cmp_gt_u32_e32 vcc, 5, v0
	s_waitcnt vmcnt(0)
	ds_write_b64 v1, v[4:5]
	;; [unrolled: 51-line block ×19, first 2 shown]
	s_waitcnt lgkmcnt(0)
	; wave barrier
	s_waitcnt lgkmcnt(0)
	s_and_saveexec_b64 s[4:5], vcc
	s_cbranch_execz .LBB119_103
; %bb.100:
	v_add_u32_e32 v4, -1, v0
	v_add_u32_e32 v5, 0x1c0, v6
	v_add_u32_e32 v7, 0, v6
	s_mov_b64 s[6:7], 0
	v_mov_b32_e32 v3, 0
	v_mov_b32_e32 v8, 0
.LBB119_101:                            ; =>This Inner Loop Header: Depth=1
	buffer_load_dword v9, v7, s[0:3], 0 offen offset:4
	buffer_load_dword v12, v7, s[0:3], 0 offen
	ds_read_b64 v[10:11], v5
	v_add_u32_e32 v4, 1, v4
	v_cmp_lt_u32_e32 vcc, 20, v4
	v_add_u32_e32 v5, 8, v5
	v_add_u32_e32 v7, 8, v7
	s_or_b64 s[6:7], vcc, s[6:7]
	s_waitcnt vmcnt(1) lgkmcnt(0)
	v_mul_f32_e32 v13, v11, v9
	v_mul_f32_e32 v9, v10, v9
	s_waitcnt vmcnt(0)
	v_fma_f32 v10, v10, v12, -v13
	v_fmac_f32_e32 v9, v11, v12
	v_add_f32_e32 v8, v8, v10
	v_add_f32_e32 v3, v3, v9
	s_andn2_b64 exec, exec, s[6:7]
	s_cbranch_execnz .LBB119_101
; %bb.102:
	s_or_b64 exec, exec, s[6:7]
	v_mov_b32_e32 v4, 0
	ds_read_b64 v[4:5], v4 offset:176
	s_waitcnt lgkmcnt(0)
	v_mul_f32_e32 v7, v3, v5
	v_mul_f32_e32 v5, v8, v5
	v_fma_f32 v7, v8, v4, -v7
	v_fmac_f32_e32 v5, v3, v4
	buffer_store_dword v7, off, s[0:3], 0 offset:176
	buffer_store_dword v5, off, s[0:3], 0 offset:180
.LBB119_103:
	s_or_b64 exec, exec, s[4:5]
	s_waitcnt lgkmcnt(0)
	; wave barrier
	buffer_load_dword v4, off, s[0:3], 0 offset:184
	buffer_load_dword v5, off, s[0:3], 0 offset:188
	v_cmp_gt_u32_e32 vcc, 23, v0
	s_waitcnt vmcnt(0)
	ds_write_b64 v1, v[4:5]
	s_waitcnt lgkmcnt(0)
	; wave barrier
	s_waitcnt lgkmcnt(0)
	s_and_saveexec_b64 s[4:5], vcc
	s_cbranch_execz .LBB119_107
; %bb.104:
	v_add_u32_e32 v4, -1, v0
	v_add_u32_e32 v5, 0x1c0, v6
	v_add_u32_e32 v7, 0, v6
	s_mov_b64 s[6:7], 0
	v_mov_b32_e32 v3, 0
	v_mov_b32_e32 v8, 0
.LBB119_105:                            ; =>This Inner Loop Header: Depth=1
	buffer_load_dword v9, v7, s[0:3], 0 offen offset:4
	buffer_load_dword v12, v7, s[0:3], 0 offen
	ds_read_b64 v[10:11], v5
	v_add_u32_e32 v4, 1, v4
	v_cmp_lt_u32_e32 vcc, 21, v4
	v_add_u32_e32 v5, 8, v5
	v_add_u32_e32 v7, 8, v7
	s_or_b64 s[6:7], vcc, s[6:7]
	s_waitcnt vmcnt(1) lgkmcnt(0)
	v_mul_f32_e32 v13, v11, v9
	v_mul_f32_e32 v9, v10, v9
	s_waitcnt vmcnt(0)
	v_fma_f32 v10, v10, v12, -v13
	v_fmac_f32_e32 v9, v11, v12
	v_add_f32_e32 v8, v8, v10
	v_add_f32_e32 v3, v3, v9
	s_andn2_b64 exec, exec, s[6:7]
	s_cbranch_execnz .LBB119_105
; %bb.106:
	s_or_b64 exec, exec, s[6:7]
	v_mov_b32_e32 v4, 0
	ds_read_b64 v[4:5], v4 offset:184
	s_waitcnt lgkmcnt(0)
	v_mul_f32_e32 v7, v3, v5
	v_mul_f32_e32 v5, v8, v5
	v_fma_f32 v7, v8, v4, -v7
	v_fmac_f32_e32 v5, v3, v4
	buffer_store_dword v7, off, s[0:3], 0 offset:184
	buffer_store_dword v5, off, s[0:3], 0 offset:188
.LBB119_107:
	s_or_b64 exec, exec, s[4:5]
	s_waitcnt lgkmcnt(0)
	; wave barrier
	buffer_load_dword v4, off, s[0:3], 0 offset:192
	buffer_load_dword v5, off, s[0:3], 0 offset:196
	v_cmp_gt_u32_e32 vcc, 24, v0
	s_waitcnt vmcnt(0)
	ds_write_b64 v1, v[4:5]
	;; [unrolled: 51-line block ×32, first 2 shown]
	s_waitcnt lgkmcnt(0)
	; wave barrier
	s_waitcnt lgkmcnt(0)
	s_and_saveexec_b64 s[4:5], vcc
	s_cbranch_execz .LBB119_231
; %bb.228:
	v_add_u32_e32 v4, -1, v0
	v_add_u32_e32 v5, 0x1c0, v6
	v_add_u32_e32 v7, 0, v6
	s_mov_b64 s[6:7], 0
	v_mov_b32_e32 v3, 0
	v_mov_b32_e32 v8, 0
.LBB119_229:                            ; =>This Inner Loop Header: Depth=1
	buffer_load_dword v9, v7, s[0:3], 0 offen offset:4
	buffer_load_dword v12, v7, s[0:3], 0 offen
	ds_read_b64 v[10:11], v5
	v_add_u32_e32 v4, 1, v4
	v_cmp_lt_u32_e32 vcc, 52, v4
	v_add_u32_e32 v5, 8, v5
	v_add_u32_e32 v7, 8, v7
	s_or_b64 s[6:7], vcc, s[6:7]
	s_waitcnt vmcnt(1) lgkmcnt(0)
	v_mul_f32_e32 v13, v11, v9
	v_mul_f32_e32 v9, v10, v9
	s_waitcnt vmcnt(0)
	v_fma_f32 v10, v10, v12, -v13
	v_fmac_f32_e32 v9, v11, v12
	v_add_f32_e32 v8, v8, v10
	v_add_f32_e32 v3, v3, v9
	s_andn2_b64 exec, exec, s[6:7]
	s_cbranch_execnz .LBB119_229
; %bb.230:
	s_or_b64 exec, exec, s[6:7]
	v_mov_b32_e32 v4, 0
	ds_read_b64 v[4:5], v4 offset:432
	s_waitcnt lgkmcnt(0)
	v_mul_f32_e32 v7, v3, v5
	v_mul_f32_e32 v5, v8, v5
	v_fma_f32 v7, v8, v4, -v7
	v_fmac_f32_e32 v5, v3, v4
	buffer_store_dword v7, off, s[0:3], 0 offset:432
	buffer_store_dword v5, off, s[0:3], 0 offset:436
.LBB119_231:
	s_or_b64 exec, exec, s[4:5]
	s_waitcnt lgkmcnt(0)
	; wave barrier
	buffer_load_dword v4, off, s[0:3], 0 offset:440
	buffer_load_dword v5, off, s[0:3], 0 offset:444
	v_cmp_ne_u32_e32 vcc, 55, v0
	s_waitcnt vmcnt(0)
	ds_write_b64 v1, v[4:5]
	s_waitcnt lgkmcnt(0)
	; wave barrier
	s_waitcnt lgkmcnt(0)
	s_and_saveexec_b64 s[4:5], vcc
	s_cbranch_execz .LBB119_235
; %bb.232:
	v_add_u32_e32 v3, 0x1c0, v6
	v_add_u32_e32 v4, 0, v6
	s_mov_b64 s[6:7], 0
	v_mov_b32_e32 v1, 0
	v_mov_b32_e32 v5, 0
.LBB119_233:                            ; =>This Inner Loop Header: Depth=1
	buffer_load_dword v8, v4, s[0:3], 0 offen offset:4
	buffer_load_dword v9, v4, s[0:3], 0 offen
	ds_read_b64 v[6:7], v3
	v_add_u32_e32 v2, 1, v2
	v_cmp_lt_u32_e32 vcc, 53, v2
	v_add_u32_e32 v3, 8, v3
	v_add_u32_e32 v4, 8, v4
	s_or_b64 s[6:7], vcc, s[6:7]
	s_waitcnt vmcnt(1) lgkmcnt(0)
	v_mul_f32_e32 v10, v7, v8
	v_mul_f32_e32 v8, v6, v8
	s_waitcnt vmcnt(0)
	v_fma_f32 v6, v6, v9, -v10
	v_fmac_f32_e32 v8, v7, v9
	v_add_f32_e32 v5, v5, v6
	v_add_f32_e32 v1, v1, v8
	s_andn2_b64 exec, exec, s[6:7]
	s_cbranch_execnz .LBB119_233
; %bb.234:
	s_or_b64 exec, exec, s[6:7]
	v_mov_b32_e32 v2, 0
	ds_read_b64 v[2:3], v2 offset:440
	s_waitcnt lgkmcnt(0)
	v_mul_f32_e32 v4, v1, v3
	v_mul_f32_e32 v3, v5, v3
	v_fma_f32 v4, v5, v2, -v4
	v_fmac_f32_e32 v3, v1, v2
	buffer_store_dword v4, off, s[0:3], 0 offset:440
	buffer_store_dword v3, off, s[0:3], 0 offset:444
.LBB119_235:
	s_or_b64 exec, exec, s[4:5]
	s_mov_b64 s[6:7], -1
	s_waitcnt lgkmcnt(0)
	; wave barrier
.LBB119_236:
	s_and_b64 vcc, exec, s[6:7]
	s_cbranch_vccz .LBB119_238
; %bb.237:
	s_lshl_b64 s[4:5], s[8:9], 2
	s_add_u32 s4, s14, s4
	s_addc_u32 s5, s15, s5
	v_mov_b32_e32 v1, 0
	global_load_dword v1, v1, s[4:5]
	s_waitcnt vmcnt(0)
	v_cmp_ne_u32_e32 vcc, 0, v1
	s_cbranch_vccz .LBB119_239
.LBB119_238:
	s_endpgm
.LBB119_239:
	v_mov_b32_e32 v1, 0x1c0
	v_lshl_add_u32 v161, v0, 3, v1
	v_cmp_eq_u32_e32 vcc, 55, v0
	s_and_saveexec_b64 s[4:5], vcc
	s_cbranch_execz .LBB119_241
; %bb.240:
	buffer_load_dword v2, off, s[0:3], 0 offset:432
	buffer_load_dword v3, off, s[0:3], 0 offset:436
	v_mov_b32_e32 v1, 0
	buffer_store_dword v1, off, s[0:3], 0 offset:432
	buffer_store_dword v1, off, s[0:3], 0 offset:436
	s_waitcnt vmcnt(2)
	ds_write_b64 v161, v[2:3]
.LBB119_241:
	s_or_b64 exec, exec, s[4:5]
	s_waitcnt lgkmcnt(0)
	; wave barrier
	s_waitcnt lgkmcnt(0)
	buffer_load_dword v3, off, s[0:3], 0 offset:444
	buffer_load_dword v2, off, s[0:3], 0 offset:440
	;; [unrolled: 1-line block ×4, first 2 shown]
	v_mov_b32_e32 v1, 0
	ds_read_b64 v[6:7], v1 offset:888
	v_cmp_lt_u32_e32 vcc, 53, v0
	s_waitcnt vmcnt(3)
	v_mov_b32_e32 v8, v3
	s_waitcnt lgkmcnt(0)
	v_pk_mul_f32 v[8:9], v[6:7], v[8:9] op_sel_hi:[1,0]
	s_waitcnt vmcnt(2)
	v_pk_fma_f32 v[10:11], v[6:7], v[2:3], v[8:9] op_sel:[0,0,1] op_sel_hi:[1,1,0] neg_lo:[0,0,1] neg_hi:[0,0,1]
	v_pk_fma_f32 v[2:3], v[6:7], v[2:3], v[8:9] op_sel:[0,0,1] op_sel_hi:[1,0,0]
	v_mov_b32_e32 v11, v3
	v_pk_add_f32 v[2:3], v[10:11], 0 op_sel_hi:[1,0]
	s_waitcnt vmcnt(0)
	v_pk_add_f32 v[2:3], v[4:5], v[2:3] neg_lo:[0,1] neg_hi:[0,1]
	buffer_store_dword v2, off, s[0:3], 0 offset:432
	buffer_store_dword v3, off, s[0:3], 0 offset:436
	s_and_saveexec_b64 s[4:5], vcc
	s_cbranch_execz .LBB119_243
; %bb.242:
	buffer_load_dword v2, off, s[0:3], 0 offset:424
	buffer_load_dword v3, off, s[0:3], 0 offset:428
	s_waitcnt vmcnt(0)
	ds_write_b64 v161, v[2:3]
	buffer_store_dword v1, off, s[0:3], 0 offset:424
	buffer_store_dword v1, off, s[0:3], 0 offset:428
.LBB119_243:
	s_or_b64 exec, exec, s[4:5]
	s_waitcnt lgkmcnt(0)
	; wave barrier
	s_waitcnt lgkmcnt(0)
	buffer_load_dword v6, off, s[0:3], 0 offset:424
	buffer_load_dword v7, off, s[0:3], 0 offset:428
	;; [unrolled: 1-line block ×6, first 2 shown]
	ds_read_b128 v[2:5], v1 offset:880
	v_cmp_lt_u32_e32 vcc, 52, v0
	s_waitcnt vmcnt(2)
	v_mov_b32_e32 v12, v9
	s_waitcnt lgkmcnt(0)
	v_pk_mul_f32 v[12:13], v[2:3], v[12:13] op_sel_hi:[1,0]
	v_pk_fma_f32 v[14:15], v[2:3], v[8:9], v[12:13] op_sel:[0,0,1] op_sel_hi:[1,1,0] neg_lo:[0,0,1] neg_hi:[0,0,1]
	v_pk_fma_f32 v[2:3], v[2:3], v[8:9], v[12:13] op_sel:[0,0,1] op_sel_hi:[1,0,0]
	s_waitcnt vmcnt(0)
	v_mov_b32_e32 v8, v11
	v_pk_mul_f32 v[8:9], v[4:5], v[8:9] op_sel_hi:[1,0]
	v_mov_b32_e32 v15, v3
	v_pk_fma_f32 v[12:13], v[4:5], v[10:11], v[8:9] op_sel:[0,0,1] op_sel_hi:[1,1,0] neg_lo:[0,0,1] neg_hi:[0,0,1]
	v_pk_fma_f32 v[4:5], v[4:5], v[10:11], v[8:9] op_sel:[0,0,1] op_sel_hi:[1,0,0]
	v_pk_add_f32 v[2:3], v[14:15], 0 op_sel_hi:[1,0]
	v_mov_b32_e32 v13, v5
	v_pk_add_f32 v[2:3], v[2:3], v[12:13]
	v_pk_add_f32 v[2:3], v[6:7], v[2:3] neg_lo:[0,1] neg_hi:[0,1]
	buffer_store_dword v2, off, s[0:3], 0 offset:424
	buffer_store_dword v3, off, s[0:3], 0 offset:428
	s_and_saveexec_b64 s[4:5], vcc
	s_cbranch_execz .LBB119_245
; %bb.244:
	buffer_load_dword v2, off, s[0:3], 0 offset:416
	buffer_load_dword v3, off, s[0:3], 0 offset:420
	v_mov_b32_e32 v1, 0
	buffer_store_dword v1, off, s[0:3], 0 offset:416
	buffer_store_dword v1, off, s[0:3], 0 offset:420
	s_waitcnt vmcnt(2)
	ds_write_b64 v161, v[2:3]
.LBB119_245:
	s_or_b64 exec, exec, s[4:5]
	s_waitcnt lgkmcnt(0)
	; wave barrier
	s_waitcnt lgkmcnt(0)
	buffer_load_dword v7, off, s[0:3], 0 offset:428
	buffer_load_dword v9, off, s[0:3], 0 offset:436
	;; [unrolled: 1-line block ×8, first 2 shown]
	v_mov_b32_e32 v1, 0
	ds_read2_b64 v[2:5], v1 offset0:109 offset1:110
	ds_read_b64 v[14:15], v1 offset:888
	v_cmp_lt_u32_e32 vcc, 51, v0
	s_waitcnt vmcnt(7)
	v_mov_b32_e32 v16, v7
	s_waitcnt vmcnt(6)
	v_mov_b32_e32 v18, v9
	s_waitcnt lgkmcnt(1)
	v_pk_mul_f32 v[16:17], v[2:3], v[16:17] op_sel_hi:[1,0]
	s_waitcnt vmcnt(5)
	v_mov_b32_e32 v20, v11
	v_pk_mul_f32 v[18:19], v[4:5], v[18:19] op_sel_hi:[1,0]
	s_waitcnt vmcnt(4)
	v_pk_fma_f32 v[22:23], v[2:3], v[6:7], v[16:17] op_sel:[0,0,1] op_sel_hi:[1,1,0] neg_lo:[0,0,1] neg_hi:[0,0,1]
	v_pk_fma_f32 v[2:3], v[2:3], v[6:7], v[16:17] op_sel:[0,0,1] op_sel_hi:[1,0,0]
	s_waitcnt lgkmcnt(0)
	v_pk_mul_f32 v[20:21], v[14:15], v[20:21] op_sel_hi:[1,0]
	s_waitcnt vmcnt(3)
	v_pk_fma_f32 v[6:7], v[4:5], v[8:9], v[18:19] op_sel:[0,0,1] op_sel_hi:[1,1,0] neg_lo:[0,0,1] neg_hi:[0,0,1]
	v_pk_fma_f32 v[4:5], v[4:5], v[8:9], v[18:19] op_sel:[0,0,1] op_sel_hi:[1,0,0]
	v_mov_b32_e32 v23, v3
	s_waitcnt vmcnt(2)
	v_pk_fma_f32 v[8:9], v[14:15], v[10:11], v[20:21] op_sel:[0,0,1] op_sel_hi:[1,1,0] neg_lo:[0,0,1] neg_hi:[0,0,1]
	v_pk_fma_f32 v[10:11], v[14:15], v[10:11], v[20:21] op_sel:[0,0,1] op_sel_hi:[1,0,0]
	v_mov_b32_e32 v7, v5
	v_pk_add_f32 v[2:3], v[22:23], 0 op_sel_hi:[1,0]
	v_mov_b32_e32 v9, v11
	v_pk_add_f32 v[2:3], v[2:3], v[6:7]
	v_pk_add_f32 v[2:3], v[2:3], v[8:9]
	s_waitcnt vmcnt(0)
	v_pk_add_f32 v[2:3], v[12:13], v[2:3] neg_lo:[0,1] neg_hi:[0,1]
	buffer_store_dword v2, off, s[0:3], 0 offset:416
	buffer_store_dword v3, off, s[0:3], 0 offset:420
	s_and_saveexec_b64 s[4:5], vcc
	s_cbranch_execz .LBB119_247
; %bb.246:
	buffer_load_dword v2, off, s[0:3], 0 offset:408
	buffer_load_dword v3, off, s[0:3], 0 offset:412
	s_waitcnt vmcnt(0)
	ds_write_b64 v161, v[2:3]
	buffer_store_dword v1, off, s[0:3], 0 offset:408
	buffer_store_dword v1, off, s[0:3], 0 offset:412
.LBB119_247:
	s_or_b64 exec, exec, s[4:5]
	s_waitcnt lgkmcnt(0)
	; wave barrier
	s_waitcnt lgkmcnt(0)
	buffer_load_dword v11, off, s[0:3], 0 offset:420
	buffer_load_dword v13, off, s[0:3], 0 offset:428
	;; [unrolled: 1-line block ×10, first 2 shown]
	ds_read_b128 v[2:5], v1 offset:864
	ds_read_b128 v[6:9], v1 offset:880
	v_cmp_lt_u32_e32 vcc, 50, v0
	s_waitcnt vmcnt(9)
	v_mov_b32_e32 v20, v11
	s_waitcnt vmcnt(8)
	v_mov_b32_e32 v22, v13
	s_waitcnt lgkmcnt(1)
	v_pk_mul_f32 v[20:21], v[2:3], v[20:21] op_sel_hi:[1,0]
	s_waitcnt vmcnt(7)
	v_mov_b32_e32 v24, v15
	v_pk_mul_f32 v[22:23], v[4:5], v[22:23] op_sel_hi:[1,0]
	s_waitcnt vmcnt(5)
	v_pk_fma_f32 v[28:29], v[2:3], v[10:11], v[20:21] op_sel:[0,0,1] op_sel_hi:[1,1,0] neg_lo:[0,0,1] neg_hi:[0,0,1]
	v_pk_fma_f32 v[2:3], v[2:3], v[10:11], v[20:21] op_sel:[0,0,1] op_sel_hi:[1,0,0]
	v_mov_b32_e32 v26, v17
	s_waitcnt lgkmcnt(0)
	v_pk_mul_f32 v[24:25], v[6:7], v[24:25] op_sel_hi:[1,0]
	s_waitcnt vmcnt(4)
	v_pk_fma_f32 v[10:11], v[4:5], v[12:13], v[22:23] op_sel:[0,0,1] op_sel_hi:[1,1,0] neg_lo:[0,0,1] neg_hi:[0,0,1]
	v_pk_fma_f32 v[4:5], v[4:5], v[12:13], v[22:23] op_sel:[0,0,1] op_sel_hi:[1,0,0]
	v_mov_b32_e32 v29, v3
	v_pk_mul_f32 v[26:27], v[8:9], v[26:27] op_sel_hi:[1,0]
	s_waitcnt vmcnt(3)
	v_pk_fma_f32 v[12:13], v[6:7], v[14:15], v[24:25] op_sel:[0,0,1] op_sel_hi:[1,1,0] neg_lo:[0,0,1] neg_hi:[0,0,1]
	v_pk_fma_f32 v[6:7], v[6:7], v[14:15], v[24:25] op_sel:[0,0,1] op_sel_hi:[1,0,0]
	v_mov_b32_e32 v11, v5
	v_pk_add_f32 v[2:3], v[28:29], 0 op_sel_hi:[1,0]
	s_waitcnt vmcnt(2)
	v_pk_fma_f32 v[14:15], v[8:9], v[16:17], v[26:27] op_sel:[0,0,1] op_sel_hi:[1,1,0] neg_lo:[0,0,1] neg_hi:[0,0,1]
	v_pk_fma_f32 v[8:9], v[8:9], v[16:17], v[26:27] op_sel:[0,0,1] op_sel_hi:[1,0,0]
	v_mov_b32_e32 v13, v7
	v_pk_add_f32 v[2:3], v[2:3], v[10:11]
	v_mov_b32_e32 v15, v9
	v_pk_add_f32 v[2:3], v[2:3], v[12:13]
	v_pk_add_f32 v[2:3], v[2:3], v[14:15]
	s_waitcnt vmcnt(0)
	v_pk_add_f32 v[2:3], v[18:19], v[2:3] neg_lo:[0,1] neg_hi:[0,1]
	buffer_store_dword v2, off, s[0:3], 0 offset:408
	buffer_store_dword v3, off, s[0:3], 0 offset:412
	s_and_saveexec_b64 s[4:5], vcc
	s_cbranch_execz .LBB119_249
; %bb.248:
	buffer_load_dword v2, off, s[0:3], 0 offset:400
	buffer_load_dword v3, off, s[0:3], 0 offset:404
	v_mov_b32_e32 v1, 0
	buffer_store_dword v1, off, s[0:3], 0 offset:400
	buffer_store_dword v1, off, s[0:3], 0 offset:404
	s_waitcnt vmcnt(2)
	ds_write_b64 v161, v[2:3]
.LBB119_249:
	s_or_b64 exec, exec, s[4:5]
	s_waitcnt lgkmcnt(0)
	; wave barrier
	s_waitcnt lgkmcnt(0)
	buffer_load_dword v11, off, s[0:3], 0 offset:412
	buffer_load_dword v13, off, s[0:3], 0 offset:420
	;; [unrolled: 1-line block ×12, first 2 shown]
	v_mov_b32_e32 v1, 0
	ds_read2_b64 v[2:5], v1 offset0:107 offset1:108
	ds_read2_b64 v[6:9], v1 offset0:109 offset1:110
	ds_read_b64 v[22:23], v1 offset:888
	v_cmp_lt_u32_e32 vcc, 49, v0
	s_waitcnt vmcnt(11)
	v_mov_b32_e32 v24, v11
	s_waitcnt vmcnt(10)
	v_mov_b32_e32 v26, v13
	s_waitcnt lgkmcnt(2)
	v_pk_mul_f32 v[24:25], v[2:3], v[24:25] op_sel_hi:[1,0]
	s_waitcnt vmcnt(9)
	v_mov_b32_e32 v28, v15
	v_pk_mul_f32 v[26:27], v[4:5], v[26:27] op_sel_hi:[1,0]
	s_waitcnt vmcnt(6)
	v_pk_fma_f32 v[34:35], v[2:3], v[10:11], v[24:25] op_sel:[0,0,1] op_sel_hi:[1,1,0] neg_lo:[0,0,1] neg_hi:[0,0,1]
	v_pk_fma_f32 v[2:3], v[2:3], v[10:11], v[24:25] op_sel:[0,0,1] op_sel_hi:[1,0,0]
	v_mov_b32_e32 v30, v17
	s_waitcnt lgkmcnt(1)
	v_pk_mul_f32 v[28:29], v[6:7], v[28:29] op_sel_hi:[1,0]
	s_waitcnt vmcnt(5)
	v_pk_fma_f32 v[10:11], v[4:5], v[12:13], v[26:27] op_sel:[0,0,1] op_sel_hi:[1,1,0] neg_lo:[0,0,1] neg_hi:[0,0,1]
	v_pk_fma_f32 v[4:5], v[4:5], v[12:13], v[26:27] op_sel:[0,0,1] op_sel_hi:[1,0,0]
	v_mov_b32_e32 v35, v3
	v_mov_b32_e32 v32, v19
	v_pk_mul_f32 v[30:31], v[8:9], v[30:31] op_sel_hi:[1,0]
	s_waitcnt vmcnt(4)
	v_pk_fma_f32 v[12:13], v[6:7], v[14:15], v[28:29] op_sel:[0,0,1] op_sel_hi:[1,1,0] neg_lo:[0,0,1] neg_hi:[0,0,1]
	v_pk_fma_f32 v[6:7], v[6:7], v[14:15], v[28:29] op_sel:[0,0,1] op_sel_hi:[1,0,0]
	v_mov_b32_e32 v11, v5
	v_pk_add_f32 v[2:3], v[34:35], 0 op_sel_hi:[1,0]
	s_waitcnt lgkmcnt(0)
	v_pk_mul_f32 v[32:33], v[22:23], v[32:33] op_sel_hi:[1,0]
	s_waitcnt vmcnt(3)
	v_pk_fma_f32 v[14:15], v[8:9], v[16:17], v[30:31] op_sel:[0,0,1] op_sel_hi:[1,1,0] neg_lo:[0,0,1] neg_hi:[0,0,1]
	v_pk_fma_f32 v[8:9], v[8:9], v[16:17], v[30:31] op_sel:[0,0,1] op_sel_hi:[1,0,0]
	v_mov_b32_e32 v13, v7
	v_pk_add_f32 v[2:3], v[2:3], v[10:11]
	s_waitcnt vmcnt(2)
	v_pk_fma_f32 v[16:17], v[22:23], v[18:19], v[32:33] op_sel:[0,0,1] op_sel_hi:[1,1,0] neg_lo:[0,0,1] neg_hi:[0,0,1]
	v_pk_fma_f32 v[18:19], v[22:23], v[18:19], v[32:33] op_sel:[0,0,1] op_sel_hi:[1,0,0]
	v_mov_b32_e32 v15, v9
	v_pk_add_f32 v[2:3], v[2:3], v[12:13]
	v_mov_b32_e32 v17, v19
	v_pk_add_f32 v[2:3], v[2:3], v[14:15]
	v_pk_add_f32 v[2:3], v[2:3], v[16:17]
	s_waitcnt vmcnt(0)
	v_pk_add_f32 v[2:3], v[20:21], v[2:3] neg_lo:[0,1] neg_hi:[0,1]
	buffer_store_dword v2, off, s[0:3], 0 offset:400
	buffer_store_dword v3, off, s[0:3], 0 offset:404
	s_and_saveexec_b64 s[4:5], vcc
	s_cbranch_execz .LBB119_251
; %bb.250:
	buffer_load_dword v2, off, s[0:3], 0 offset:392
	buffer_load_dword v3, off, s[0:3], 0 offset:396
	s_waitcnt vmcnt(0)
	ds_write_b64 v161, v[2:3]
	buffer_store_dword v1, off, s[0:3], 0 offset:392
	buffer_store_dword v1, off, s[0:3], 0 offset:396
.LBB119_251:
	s_or_b64 exec, exec, s[4:5]
	s_waitcnt lgkmcnt(0)
	; wave barrier
	s_waitcnt lgkmcnt(0)
	buffer_load_dword v15, off, s[0:3], 0 offset:404
	buffer_load_dword v17, off, s[0:3], 0 offset:412
	;; [unrolled: 1-line block ×14, first 2 shown]
	ds_read_b128 v[2:5], v1 offset:848
	ds_read_b128 v[6:9], v1 offset:864
	;; [unrolled: 1-line block ×3, first 2 shown]
	v_cmp_lt_u32_e32 vcc, 48, v0
	s_waitcnt vmcnt(13)
	v_mov_b32_e32 v28, v15
	s_waitcnt vmcnt(12)
	v_mov_b32_e32 v30, v17
	s_waitcnt lgkmcnt(2)
	v_pk_mul_f32 v[28:29], v[2:3], v[28:29] op_sel_hi:[1,0]
	s_waitcnt vmcnt(11)
	v_mov_b32_e32 v32, v19
	v_pk_mul_f32 v[30:31], v[4:5], v[30:31] op_sel_hi:[1,0]
	s_waitcnt vmcnt(10)
	v_mov_b32_e32 v34, v21
	s_waitcnt vmcnt(7)
	v_pk_fma_f32 v[40:41], v[2:3], v[14:15], v[28:29] op_sel:[0,0,1] op_sel_hi:[1,1,0] neg_lo:[0,0,1] neg_hi:[0,0,1]
	v_pk_fma_f32 v[2:3], v[2:3], v[14:15], v[28:29] op_sel:[0,0,1] op_sel_hi:[1,0,0]
	s_waitcnt lgkmcnt(1)
	v_pk_mul_f32 v[32:33], v[6:7], v[32:33] op_sel_hi:[1,0]
	s_waitcnt vmcnt(6)
	v_pk_fma_f32 v[14:15], v[4:5], v[16:17], v[30:31] op_sel:[0,0,1] op_sel_hi:[1,1,0] neg_lo:[0,0,1] neg_hi:[0,0,1]
	v_pk_fma_f32 v[4:5], v[4:5], v[16:17], v[30:31] op_sel:[0,0,1] op_sel_hi:[1,0,0]
	v_mov_b32_e32 v41, v3
	v_mov_b32_e32 v36, v23
	v_pk_mul_f32 v[34:35], v[8:9], v[34:35] op_sel_hi:[1,0]
	s_waitcnt vmcnt(5)
	v_pk_fma_f32 v[16:17], v[6:7], v[18:19], v[32:33] op_sel:[0,0,1] op_sel_hi:[1,1,0] neg_lo:[0,0,1] neg_hi:[0,0,1]
	v_pk_fma_f32 v[6:7], v[6:7], v[18:19], v[32:33] op_sel:[0,0,1] op_sel_hi:[1,0,0]
	v_mov_b32_e32 v15, v5
	v_pk_add_f32 v[2:3], v[40:41], 0 op_sel_hi:[1,0]
	v_mov_b32_e32 v38, v25
	s_waitcnt lgkmcnt(0)
	v_pk_mul_f32 v[36:37], v[10:11], v[36:37] op_sel_hi:[1,0]
	s_waitcnt vmcnt(4)
	v_pk_fma_f32 v[18:19], v[8:9], v[20:21], v[34:35] op_sel:[0,0,1] op_sel_hi:[1,1,0] neg_lo:[0,0,1] neg_hi:[0,0,1]
	v_pk_fma_f32 v[8:9], v[8:9], v[20:21], v[34:35] op_sel:[0,0,1] op_sel_hi:[1,0,0]
	v_mov_b32_e32 v17, v7
	v_pk_add_f32 v[2:3], v[2:3], v[14:15]
	v_pk_mul_f32 v[38:39], v[12:13], v[38:39] op_sel_hi:[1,0]
	s_waitcnt vmcnt(3)
	v_pk_fma_f32 v[20:21], v[10:11], v[22:23], v[36:37] op_sel:[0,0,1] op_sel_hi:[1,1,0] neg_lo:[0,0,1] neg_hi:[0,0,1]
	v_pk_fma_f32 v[10:11], v[10:11], v[22:23], v[36:37] op_sel:[0,0,1] op_sel_hi:[1,0,0]
	v_mov_b32_e32 v19, v9
	v_pk_add_f32 v[2:3], v[2:3], v[16:17]
	s_waitcnt vmcnt(2)
	v_pk_fma_f32 v[22:23], v[12:13], v[24:25], v[38:39] op_sel:[0,0,1] op_sel_hi:[1,1,0] neg_lo:[0,0,1] neg_hi:[0,0,1]
	v_pk_fma_f32 v[12:13], v[12:13], v[24:25], v[38:39] op_sel:[0,0,1] op_sel_hi:[1,0,0]
	v_mov_b32_e32 v21, v11
	v_pk_add_f32 v[2:3], v[2:3], v[18:19]
	v_mov_b32_e32 v23, v13
	v_pk_add_f32 v[2:3], v[2:3], v[20:21]
	v_pk_add_f32 v[2:3], v[2:3], v[22:23]
	s_waitcnt vmcnt(0)
	v_pk_add_f32 v[2:3], v[26:27], v[2:3] neg_lo:[0,1] neg_hi:[0,1]
	buffer_store_dword v2, off, s[0:3], 0 offset:392
	buffer_store_dword v3, off, s[0:3], 0 offset:396
	s_and_saveexec_b64 s[4:5], vcc
	s_cbranch_execz .LBB119_253
; %bb.252:
	buffer_load_dword v2, off, s[0:3], 0 offset:384
	buffer_load_dword v3, off, s[0:3], 0 offset:388
	v_mov_b32_e32 v1, 0
	buffer_store_dword v1, off, s[0:3], 0 offset:384
	buffer_store_dword v1, off, s[0:3], 0 offset:388
	s_waitcnt vmcnt(2)
	ds_write_b64 v161, v[2:3]
.LBB119_253:
	s_or_b64 exec, exec, s[4:5]
	s_waitcnt lgkmcnt(0)
	; wave barrier
	s_waitcnt lgkmcnt(0)
	buffer_load_dword v15, off, s[0:3], 0 offset:396
	buffer_load_dword v17, off, s[0:3], 0 offset:404
	;; [unrolled: 1-line block ×16, first 2 shown]
	v_mov_b32_e32 v1, 0
	ds_read2_b64 v[2:5], v1 offset0:105 offset1:106
	ds_read2_b64 v[6:9], v1 offset0:107 offset1:108
	;; [unrolled: 1-line block ×3, first 2 shown]
	ds_read_b64 v[30:31], v1 offset:888
	v_cmp_lt_u32_e32 vcc, 47, v0
	s_waitcnt vmcnt(15)
	v_mov_b32_e32 v32, v15
	s_waitcnt vmcnt(14)
	v_mov_b32_e32 v34, v17
	s_waitcnt lgkmcnt(3)
	v_pk_mul_f32 v[32:33], v[2:3], v[32:33] op_sel_hi:[1,0]
	s_waitcnt vmcnt(13)
	v_mov_b32_e32 v36, v19
	v_pk_mul_f32 v[34:35], v[4:5], v[34:35] op_sel_hi:[1,0]
	s_waitcnt vmcnt(12)
	v_mov_b32_e32 v38, v21
	s_waitcnt lgkmcnt(2)
	v_pk_mul_f32 v[36:37], v[6:7], v[36:37] op_sel_hi:[1,0]
	s_waitcnt vmcnt(8)
	v_pk_fma_f32 v[46:47], v[2:3], v[14:15], v[32:33] op_sel:[0,0,1] op_sel_hi:[1,1,0] neg_lo:[0,0,1] neg_hi:[0,0,1]
	v_pk_fma_f32 v[2:3], v[2:3], v[14:15], v[32:33] op_sel:[0,0,1] op_sel_hi:[1,0,0]
	s_waitcnt vmcnt(7)
	v_pk_fma_f32 v[14:15], v[4:5], v[16:17], v[34:35] op_sel:[0,0,1] op_sel_hi:[1,1,0] neg_lo:[0,0,1] neg_hi:[0,0,1]
	v_pk_fma_f32 v[4:5], v[4:5], v[16:17], v[34:35] op_sel:[0,0,1] op_sel_hi:[1,0,0]
	v_mov_b32_e32 v47, v3
	v_mov_b32_e32 v40, v23
	v_pk_mul_f32 v[38:39], v[8:9], v[38:39] op_sel_hi:[1,0]
	s_waitcnt vmcnt(6)
	v_pk_fma_f32 v[16:17], v[6:7], v[18:19], v[36:37] op_sel:[0,0,1] op_sel_hi:[1,1,0] neg_lo:[0,0,1] neg_hi:[0,0,1]
	v_pk_fma_f32 v[6:7], v[6:7], v[18:19], v[36:37] op_sel:[0,0,1] op_sel_hi:[1,0,0]
	v_mov_b32_e32 v15, v5
	v_pk_add_f32 v[2:3], v[46:47], 0 op_sel_hi:[1,0]
	v_mov_b32_e32 v42, v25
	s_waitcnt lgkmcnt(1)
	v_pk_mul_f32 v[40:41], v[10:11], v[40:41] op_sel_hi:[1,0]
	s_waitcnt vmcnt(5)
	v_pk_fma_f32 v[18:19], v[8:9], v[20:21], v[38:39] op_sel:[0,0,1] op_sel_hi:[1,1,0] neg_lo:[0,0,1] neg_hi:[0,0,1]
	v_pk_fma_f32 v[8:9], v[8:9], v[20:21], v[38:39] op_sel:[0,0,1] op_sel_hi:[1,0,0]
	v_mov_b32_e32 v17, v7
	v_pk_add_f32 v[2:3], v[2:3], v[14:15]
	v_mov_b32_e32 v44, v27
	v_pk_mul_f32 v[42:43], v[12:13], v[42:43] op_sel_hi:[1,0]
	s_waitcnt vmcnt(4)
	v_pk_fma_f32 v[20:21], v[10:11], v[22:23], v[40:41] op_sel:[0,0,1] op_sel_hi:[1,1,0] neg_lo:[0,0,1] neg_hi:[0,0,1]
	v_pk_fma_f32 v[10:11], v[10:11], v[22:23], v[40:41] op_sel:[0,0,1] op_sel_hi:[1,0,0]
	v_mov_b32_e32 v19, v9
	v_pk_add_f32 v[2:3], v[2:3], v[16:17]
	s_waitcnt lgkmcnt(0)
	v_pk_mul_f32 v[44:45], v[30:31], v[44:45] op_sel_hi:[1,0]
	s_waitcnt vmcnt(3)
	v_pk_fma_f32 v[22:23], v[12:13], v[24:25], v[42:43] op_sel:[0,0,1] op_sel_hi:[1,1,0] neg_lo:[0,0,1] neg_hi:[0,0,1]
	v_pk_fma_f32 v[12:13], v[12:13], v[24:25], v[42:43] op_sel:[0,0,1] op_sel_hi:[1,0,0]
	v_mov_b32_e32 v21, v11
	v_pk_add_f32 v[2:3], v[2:3], v[18:19]
	s_waitcnt vmcnt(2)
	v_pk_fma_f32 v[24:25], v[30:31], v[26:27], v[44:45] op_sel:[0,0,1] op_sel_hi:[1,1,0] neg_lo:[0,0,1] neg_hi:[0,0,1]
	v_pk_fma_f32 v[26:27], v[30:31], v[26:27], v[44:45] op_sel:[0,0,1] op_sel_hi:[1,0,0]
	v_mov_b32_e32 v23, v13
	v_pk_add_f32 v[2:3], v[2:3], v[20:21]
	v_mov_b32_e32 v25, v27
	v_pk_add_f32 v[2:3], v[2:3], v[22:23]
	v_pk_add_f32 v[2:3], v[2:3], v[24:25]
	s_waitcnt vmcnt(0)
	v_pk_add_f32 v[2:3], v[28:29], v[2:3] neg_lo:[0,1] neg_hi:[0,1]
	buffer_store_dword v2, off, s[0:3], 0 offset:384
	buffer_store_dword v3, off, s[0:3], 0 offset:388
	s_and_saveexec_b64 s[4:5], vcc
	s_cbranch_execz .LBB119_255
; %bb.254:
	buffer_load_dword v2, off, s[0:3], 0 offset:376
	buffer_load_dword v3, off, s[0:3], 0 offset:380
	s_waitcnt vmcnt(0)
	ds_write_b64 v161, v[2:3]
	buffer_store_dword v1, off, s[0:3], 0 offset:376
	buffer_store_dword v1, off, s[0:3], 0 offset:380
.LBB119_255:
	s_or_b64 exec, exec, s[4:5]
	s_waitcnt lgkmcnt(0)
	; wave barrier
	s_waitcnt lgkmcnt(0)
	buffer_load_dword v19, off, s[0:3], 0 offset:388
	buffer_load_dword v21, off, s[0:3], 0 offset:396
	;; [unrolled: 1-line block ×18, first 2 shown]
	ds_read_b128 v[2:5], v1 offset:832
	ds_read_b128 v[6:9], v1 offset:848
	;; [unrolled: 1-line block ×4, first 2 shown]
	v_cmp_lt_u32_e32 vcc, 46, v0
	s_waitcnt vmcnt(17)
	v_mov_b32_e32 v36, v19
	s_waitcnt vmcnt(16)
	v_mov_b32_e32 v38, v21
	s_waitcnt lgkmcnt(3)
	v_pk_mul_f32 v[36:37], v[2:3], v[36:37] op_sel_hi:[1,0]
	s_waitcnt vmcnt(15)
	v_mov_b32_e32 v40, v23
	v_pk_mul_f32 v[38:39], v[4:5], v[38:39] op_sel_hi:[1,0]
	s_waitcnt vmcnt(14)
	v_mov_b32_e32 v42, v25
	s_waitcnt lgkmcnt(2)
	v_pk_mul_f32 v[40:41], v[6:7], v[40:41] op_sel_hi:[1,0]
	s_waitcnt vmcnt(13)
	v_mov_b32_e32 v44, v27
	s_waitcnt vmcnt(9)
	v_pk_fma_f32 v[52:53], v[2:3], v[18:19], v[36:37] op_sel:[0,0,1] op_sel_hi:[1,1,0] neg_lo:[0,0,1] neg_hi:[0,0,1]
	v_pk_fma_f32 v[2:3], v[2:3], v[18:19], v[36:37] op_sel:[0,0,1] op_sel_hi:[1,0,0]
	s_waitcnt vmcnt(8)
	v_pk_fma_f32 v[18:19], v[4:5], v[20:21], v[38:39] op_sel:[0,0,1] op_sel_hi:[1,1,0] neg_lo:[0,0,1] neg_hi:[0,0,1]
	v_pk_fma_f32 v[4:5], v[4:5], v[20:21], v[38:39] op_sel:[0,0,1] op_sel_hi:[1,0,0]
	v_mov_b32_e32 v53, v3
	v_pk_mul_f32 v[42:43], v[8:9], v[42:43] op_sel_hi:[1,0]
	s_waitcnt vmcnt(7)
	v_pk_fma_f32 v[20:21], v[6:7], v[22:23], v[40:41] op_sel:[0,0,1] op_sel_hi:[1,1,0] neg_lo:[0,0,1] neg_hi:[0,0,1]
	v_pk_fma_f32 v[6:7], v[6:7], v[22:23], v[40:41] op_sel:[0,0,1] op_sel_hi:[1,0,0]
	v_mov_b32_e32 v19, v5
	v_pk_add_f32 v[2:3], v[52:53], 0 op_sel_hi:[1,0]
	v_mov_b32_e32 v46, v29
	s_waitcnt lgkmcnt(1)
	v_pk_mul_f32 v[44:45], v[10:11], v[44:45] op_sel_hi:[1,0]
	s_waitcnt vmcnt(6)
	v_pk_fma_f32 v[22:23], v[8:9], v[24:25], v[42:43] op_sel:[0,0,1] op_sel_hi:[1,1,0] neg_lo:[0,0,1] neg_hi:[0,0,1]
	v_pk_fma_f32 v[8:9], v[8:9], v[24:25], v[42:43] op_sel:[0,0,1] op_sel_hi:[1,0,0]
	v_mov_b32_e32 v21, v7
	v_pk_add_f32 v[2:3], v[2:3], v[18:19]
	v_mov_b32_e32 v48, v31
	v_pk_mul_f32 v[46:47], v[12:13], v[46:47] op_sel_hi:[1,0]
	s_waitcnt vmcnt(5)
	v_pk_fma_f32 v[24:25], v[10:11], v[26:27], v[44:45] op_sel:[0,0,1] op_sel_hi:[1,1,0] neg_lo:[0,0,1] neg_hi:[0,0,1]
	v_pk_fma_f32 v[10:11], v[10:11], v[26:27], v[44:45] op_sel:[0,0,1] op_sel_hi:[1,0,0]
	v_mov_b32_e32 v23, v9
	v_pk_add_f32 v[2:3], v[2:3], v[20:21]
	v_mov_b32_e32 v50, v33
	s_waitcnt lgkmcnt(0)
	v_pk_mul_f32 v[48:49], v[14:15], v[48:49] op_sel_hi:[1,0]
	s_waitcnt vmcnt(4)
	v_pk_fma_f32 v[26:27], v[12:13], v[28:29], v[46:47] op_sel:[0,0,1] op_sel_hi:[1,1,0] neg_lo:[0,0,1] neg_hi:[0,0,1]
	v_pk_fma_f32 v[12:13], v[12:13], v[28:29], v[46:47] op_sel:[0,0,1] op_sel_hi:[1,0,0]
	v_mov_b32_e32 v25, v11
	v_pk_add_f32 v[2:3], v[2:3], v[22:23]
	v_pk_mul_f32 v[50:51], v[16:17], v[50:51] op_sel_hi:[1,0]
	s_waitcnt vmcnt(3)
	v_pk_fma_f32 v[28:29], v[14:15], v[30:31], v[48:49] op_sel:[0,0,1] op_sel_hi:[1,1,0] neg_lo:[0,0,1] neg_hi:[0,0,1]
	v_pk_fma_f32 v[14:15], v[14:15], v[30:31], v[48:49] op_sel:[0,0,1] op_sel_hi:[1,0,0]
	v_mov_b32_e32 v27, v13
	v_pk_add_f32 v[2:3], v[2:3], v[24:25]
	s_waitcnt vmcnt(2)
	v_pk_fma_f32 v[30:31], v[16:17], v[32:33], v[50:51] op_sel:[0,0,1] op_sel_hi:[1,1,0] neg_lo:[0,0,1] neg_hi:[0,0,1]
	v_pk_fma_f32 v[16:17], v[16:17], v[32:33], v[50:51] op_sel:[0,0,1] op_sel_hi:[1,0,0]
	v_mov_b32_e32 v29, v15
	v_pk_add_f32 v[2:3], v[2:3], v[26:27]
	v_mov_b32_e32 v31, v17
	v_pk_add_f32 v[2:3], v[2:3], v[28:29]
	v_pk_add_f32 v[2:3], v[2:3], v[30:31]
	s_waitcnt vmcnt(0)
	v_pk_add_f32 v[2:3], v[34:35], v[2:3] neg_lo:[0,1] neg_hi:[0,1]
	buffer_store_dword v2, off, s[0:3], 0 offset:376
	buffer_store_dword v3, off, s[0:3], 0 offset:380
	s_and_saveexec_b64 s[4:5], vcc
	s_cbranch_execz .LBB119_257
; %bb.256:
	buffer_load_dword v2, off, s[0:3], 0 offset:368
	buffer_load_dword v3, off, s[0:3], 0 offset:372
	v_mov_b32_e32 v1, 0
	buffer_store_dword v1, off, s[0:3], 0 offset:368
	buffer_store_dword v1, off, s[0:3], 0 offset:372
	s_waitcnt vmcnt(2)
	ds_write_b64 v161, v[2:3]
.LBB119_257:
	s_or_b64 exec, exec, s[4:5]
	v_mov_b32_e32 v1, 0
	s_waitcnt lgkmcnt(0)
	; wave barrier
	s_waitcnt lgkmcnt(0)
	ds_read2_b64 v[2:5], v1 offset0:103 offset1:104
	buffer_load_dword v18, off, s[0:3], 0 offset:368
	buffer_load_dword v19, off, s[0:3], 0 offset:372
	;; [unrolled: 1-line block ×20, first 2 shown]
	v_cmp_lt_u32_e32 vcc, 45, v0
	s_waitcnt vmcnt(16) lgkmcnt(0)
	v_mul_f32_e32 v33, v2, v7
	v_fmac_f32_e32 v33, v3, v6
	v_mul_f32_e32 v3, v3, v7
	s_waitcnt vmcnt(14)
	v_mov_b32_e32 v38, v21
	v_fma_f32 v32, v2, v6, -v3
	ds_read2_b64 v[6:9], v1 offset0:105 offset1:106
	ds_read2_b64 v[10:13], v1 offset0:107 offset1:108
	;; [unrolled: 1-line block ×3, first 2 shown]
	ds_read_b64 v[2:3], v1 offset:888
	v_pk_mul_f32 v[38:39], v[4:5], v[38:39] op_sel_hi:[1,0]
	v_pk_fma_f32 v[40:41], v[4:5], v[20:21], v[38:39] op_sel:[0,0,1] op_sel_hi:[1,1,0] neg_lo:[0,0,1] neg_hi:[0,0,1]
	v_pk_fma_f32 v[4:5], v[4:5], v[20:21], v[38:39] op_sel:[0,0,1] op_sel_hi:[1,0,0]
	s_waitcnt vmcnt(12)
	v_mov_b32_e32 v20, v23
	v_pk_add_f32 v[32:33], v[32:33], 0 op_sel_hi:[1,0]
	v_mov_b32_e32 v41, v5
	s_waitcnt lgkmcnt(3)
	v_pk_mul_f32 v[20:21], v[6:7], v[20:21] op_sel_hi:[1,0]
	v_pk_add_f32 v[4:5], v[32:33], v[40:41]
	v_pk_fma_f32 v[32:33], v[6:7], v[22:23], v[20:21] op_sel:[0,0,1] op_sel_hi:[1,1,0] neg_lo:[0,0,1] neg_hi:[0,0,1]
	v_pk_fma_f32 v[6:7], v[6:7], v[22:23], v[20:21] op_sel:[0,0,1] op_sel_hi:[1,0,0]
	s_waitcnt vmcnt(10)
	v_mov_b32_e32 v6, v25
	v_mov_b32_e32 v33, v7
	v_pk_mul_f32 v[6:7], v[8:9], v[6:7] op_sel_hi:[1,0]
	v_pk_fma_f32 v[20:21], v[8:9], v[24:25], v[6:7] op_sel:[0,0,1] op_sel_hi:[1,1,0] neg_lo:[0,0,1] neg_hi:[0,0,1]
	v_pk_fma_f32 v[6:7], v[8:9], v[24:25], v[6:7] op_sel:[0,0,1] op_sel_hi:[1,0,0]
	s_waitcnt vmcnt(8)
	v_mov_b32_e32 v6, v27
	v_mov_b32_e32 v21, v7
	s_waitcnt lgkmcnt(2)
	v_pk_mul_f32 v[6:7], v[10:11], v[6:7] op_sel_hi:[1,0]
	v_pk_fma_f32 v[8:9], v[10:11], v[26:27], v[6:7] op_sel:[0,0,1] op_sel_hi:[1,1,0] neg_lo:[0,0,1] neg_hi:[0,0,1]
	v_pk_fma_f32 v[6:7], v[10:11], v[26:27], v[6:7] op_sel:[0,0,1] op_sel_hi:[1,0,0]
	v_pk_add_f32 v[4:5], v[4:5], v[32:33]
	s_waitcnt vmcnt(6)
	v_mov_b32_e32 v6, v29
	v_pk_add_f32 v[4:5], v[4:5], v[20:21]
	v_mov_b32_e32 v9, v7
	v_pk_mul_f32 v[6:7], v[12:13], v[6:7] op_sel_hi:[1,0]
	v_pk_add_f32 v[4:5], v[4:5], v[8:9]
	v_pk_fma_f32 v[8:9], v[12:13], v[28:29], v[6:7] op_sel:[0,0,1] op_sel_hi:[1,1,0] neg_lo:[0,0,1] neg_hi:[0,0,1]
	v_pk_fma_f32 v[6:7], v[12:13], v[28:29], v[6:7] op_sel:[0,0,1] op_sel_hi:[1,0,0]
	s_waitcnt vmcnt(4)
	v_mov_b32_e32 v6, v31
	v_mov_b32_e32 v9, v7
	s_waitcnt lgkmcnt(1)
	v_pk_mul_f32 v[6:7], v[14:15], v[6:7] op_sel_hi:[1,0]
	v_pk_add_f32 v[4:5], v[4:5], v[8:9]
	v_pk_fma_f32 v[8:9], v[14:15], v[30:31], v[6:7] op_sel:[0,0,1] op_sel_hi:[1,1,0] neg_lo:[0,0,1] neg_hi:[0,0,1]
	v_pk_fma_f32 v[6:7], v[14:15], v[30:31], v[6:7] op_sel:[0,0,1] op_sel_hi:[1,0,0]
	s_waitcnt vmcnt(3)
	v_mov_b32_e32 v6, v35
	v_mov_b32_e32 v9, v7
	v_pk_mul_f32 v[6:7], v[16:17], v[6:7] op_sel_hi:[1,0]
	v_pk_add_f32 v[4:5], v[4:5], v[8:9]
	s_waitcnt vmcnt(2)
	v_pk_fma_f32 v[8:9], v[16:17], v[34:35], v[6:7] op_sel:[0,0,1] op_sel_hi:[1,1,0] neg_lo:[0,0,1] neg_hi:[0,0,1]
	v_pk_fma_f32 v[6:7], v[16:17], v[34:35], v[6:7] op_sel:[0,0,1] op_sel_hi:[1,0,0]
	s_waitcnt vmcnt(1)
	v_mov_b32_e32 v6, v37
	v_mov_b32_e32 v9, v7
	s_waitcnt lgkmcnt(0)
	v_pk_mul_f32 v[6:7], v[2:3], v[6:7] op_sel_hi:[1,0]
	v_pk_add_f32 v[4:5], v[4:5], v[8:9]
	s_waitcnt vmcnt(0)
	v_pk_fma_f32 v[8:9], v[2:3], v[36:37], v[6:7] op_sel:[0,0,1] op_sel_hi:[1,1,0] neg_lo:[0,0,1] neg_hi:[0,0,1]
	v_pk_fma_f32 v[2:3], v[2:3], v[36:37], v[6:7] op_sel:[0,0,1] op_sel_hi:[1,0,0]
	v_mov_b32_e32 v9, v3
	v_pk_add_f32 v[2:3], v[4:5], v[8:9]
	v_pk_add_f32 v[2:3], v[18:19], v[2:3] neg_lo:[0,1] neg_hi:[0,1]
	buffer_store_dword v2, off, s[0:3], 0 offset:368
	buffer_store_dword v3, off, s[0:3], 0 offset:372
	s_and_saveexec_b64 s[4:5], vcc
	s_cbranch_execz .LBB119_259
; %bb.258:
	buffer_load_dword v2, off, s[0:3], 0 offset:360
	buffer_load_dword v3, off, s[0:3], 0 offset:364
	s_waitcnt vmcnt(0)
	ds_write_b64 v161, v[2:3]
	buffer_store_dword v1, off, s[0:3], 0 offset:360
	buffer_store_dword v1, off, s[0:3], 0 offset:364
.LBB119_259:
	s_or_b64 exec, exec, s[4:5]
	s_waitcnt lgkmcnt(0)
	; wave barrier
	s_waitcnt lgkmcnt(0)
	ds_read_b128 v[4:7], v1 offset:816
	ds_read_b128 v[8:11], v1 offset:832
	;; [unrolled: 1-line block ×4, first 2 shown]
	buffer_load_dword v2, off, s[0:3], 0 offset:360
	buffer_load_dword v3, off, s[0:3], 0 offset:364
	;; [unrolled: 1-line block ×22, first 2 shown]
	v_cmp_lt_u32_e32 vcc, 44, v0
	s_waitcnt vmcnt(18) lgkmcnt(3)
	v_mul_f32_e32 v31, v4, v32
	v_fmac_f32_e32 v31, v5, v30
	v_mul_f32_e32 v5, v5, v32
	s_waitcnt vmcnt(16)
	v_mul_f32_e32 v33, v6, v41
	v_fma_f32 v30, v4, v30, -v5
	v_mul_f32_e32 v4, v7, v41
	v_fmac_f32_e32 v33, v7, v40
	v_fma_f32 v32, v6, v40, -v4
	v_pk_add_f32 v[30:31], v[30:31], 0 op_sel_hi:[1,0]
	v_pk_add_f32 v[30:31], v[30:31], v[32:33]
	s_waitcnt vmcnt(14)
	v_mov_b32_e32 v32, v21
	s_waitcnt lgkmcnt(2)
	v_pk_mul_f32 v[32:33], v[8:9], v[32:33] op_sel_hi:[1,0]
	v_pk_fma_f32 v[40:41], v[8:9], v[20:21], v[32:33] op_sel:[0,0,1] op_sel_hi:[1,1,0] neg_lo:[0,0,1] neg_hi:[0,0,1]
	v_pk_fma_f32 v[8:9], v[8:9], v[20:21], v[32:33] op_sel:[0,0,1] op_sel_hi:[1,0,0]
	s_waitcnt vmcnt(12)
	v_mov_b32_e32 v20, v23
	v_mov_b32_e32 v41, v9
	v_pk_mul_f32 v[20:21], v[10:11], v[20:21] op_sel_hi:[1,0]
	v_pk_add_f32 v[8:9], v[30:31], v[40:41]
	v_pk_fma_f32 v[30:31], v[10:11], v[22:23], v[20:21] op_sel:[0,0,1] op_sel_hi:[1,1,0] neg_lo:[0,0,1] neg_hi:[0,0,1]
	v_pk_fma_f32 v[10:11], v[10:11], v[22:23], v[20:21] op_sel:[0,0,1] op_sel_hi:[1,0,0]
	s_waitcnt vmcnt(10)
	v_mov_b32_e32 v10, v25
	v_mov_b32_e32 v31, v11
	s_waitcnt lgkmcnt(1)
	v_pk_mul_f32 v[10:11], v[12:13], v[10:11] op_sel_hi:[1,0]
	v_pk_fma_f32 v[20:21], v[12:13], v[24:25], v[10:11] op_sel:[0,0,1] op_sel_hi:[1,1,0] neg_lo:[0,0,1] neg_hi:[0,0,1]
	v_pk_fma_f32 v[10:11], v[12:13], v[24:25], v[10:11] op_sel:[0,0,1] op_sel_hi:[1,0,0]
	s_waitcnt vmcnt(8)
	v_mov_b32_e32 v10, v27
	v_mov_b32_e32 v21, v11
	v_pk_mul_f32 v[10:11], v[14:15], v[10:11] op_sel_hi:[1,0]
	v_pk_fma_f32 v[12:13], v[14:15], v[26:27], v[10:11] op_sel:[0,0,1] op_sel_hi:[1,1,0] neg_lo:[0,0,1] neg_hi:[0,0,1]
	v_pk_fma_f32 v[10:11], v[14:15], v[26:27], v[10:11] op_sel:[0,0,1] op_sel_hi:[1,0,0]
	v_pk_add_f32 v[8:9], v[8:9], v[30:31]
	s_waitcnt vmcnt(6)
	v_mov_b32_e32 v10, v29
	v_pk_add_f32 v[8:9], v[8:9], v[20:21]
	v_mov_b32_e32 v13, v11
	s_waitcnt lgkmcnt(0)
	v_pk_mul_f32 v[10:11], v[16:17], v[10:11] op_sel_hi:[1,0]
	ds_read_b128 v[4:7], v1 offset:880
	v_pk_add_f32 v[8:9], v[8:9], v[12:13]
	v_pk_fma_f32 v[12:13], v[16:17], v[28:29], v[10:11] op_sel:[0,0,1] op_sel_hi:[1,1,0] neg_lo:[0,0,1] neg_hi:[0,0,1]
	v_pk_fma_f32 v[10:11], v[16:17], v[28:29], v[10:11] op_sel:[0,0,1] op_sel_hi:[1,0,0]
	s_waitcnt vmcnt(5)
	v_mov_b32_e32 v10, v35
	v_mov_b32_e32 v13, v11
	v_pk_mul_f32 v[10:11], v[18:19], v[10:11] op_sel_hi:[1,0]
	v_pk_add_f32 v[8:9], v[8:9], v[12:13]
	s_waitcnt vmcnt(4)
	v_pk_fma_f32 v[12:13], v[18:19], v[34:35], v[10:11] op_sel:[0,0,1] op_sel_hi:[1,1,0] neg_lo:[0,0,1] neg_hi:[0,0,1]
	v_pk_fma_f32 v[10:11], v[18:19], v[34:35], v[10:11] op_sel:[0,0,1] op_sel_hi:[1,0,0]
	s_waitcnt vmcnt(3)
	v_mov_b32_e32 v10, v37
	v_mov_b32_e32 v13, v11
	s_waitcnt lgkmcnt(0)
	v_pk_mul_f32 v[10:11], v[4:5], v[10:11] op_sel_hi:[1,0]
	v_pk_add_f32 v[8:9], v[8:9], v[12:13]
	s_waitcnt vmcnt(2)
	v_pk_fma_f32 v[12:13], v[4:5], v[36:37], v[10:11] op_sel:[0,0,1] op_sel_hi:[1,1,0] neg_lo:[0,0,1] neg_hi:[0,0,1]
	v_pk_fma_f32 v[4:5], v[4:5], v[36:37], v[10:11] op_sel:[0,0,1] op_sel_hi:[1,0,0]
	v_mov_b32_e32 v13, v5
	v_pk_add_f32 v[4:5], v[8:9], v[12:13]
	s_waitcnt vmcnt(1)
	v_mov_b32_e32 v8, v39
	v_pk_mul_f32 v[8:9], v[6:7], v[8:9] op_sel_hi:[1,0]
	s_waitcnt vmcnt(0)
	v_pk_fma_f32 v[10:11], v[6:7], v[38:39], v[8:9] op_sel:[0,0,1] op_sel_hi:[1,1,0] neg_lo:[0,0,1] neg_hi:[0,0,1]
	v_pk_fma_f32 v[6:7], v[6:7], v[38:39], v[8:9] op_sel:[0,0,1] op_sel_hi:[1,0,0]
	v_mov_b32_e32 v11, v7
	v_pk_add_f32 v[4:5], v[4:5], v[10:11]
	v_pk_add_f32 v[2:3], v[2:3], v[4:5] neg_lo:[0,1] neg_hi:[0,1]
	buffer_store_dword v2, off, s[0:3], 0 offset:360
	buffer_store_dword v3, off, s[0:3], 0 offset:364
	s_and_saveexec_b64 s[4:5], vcc
	s_cbranch_execz .LBB119_261
; %bb.260:
	buffer_load_dword v2, off, s[0:3], 0 offset:352
	buffer_load_dword v3, off, s[0:3], 0 offset:356
	v_mov_b32_e32 v1, 0
	buffer_store_dword v1, off, s[0:3], 0 offset:352
	buffer_store_dword v1, off, s[0:3], 0 offset:356
	s_waitcnt vmcnt(2)
	ds_write_b64 v161, v[2:3]
.LBB119_261:
	s_or_b64 exec, exec, s[4:5]
	v_mov_b32_e32 v1, 0
	s_waitcnt lgkmcnt(0)
	; wave barrier
	s_waitcnt lgkmcnt(0)
	ds_read2_b64 v[4:7], v1 offset0:101 offset1:102
	buffer_load_dword v2, off, s[0:3], 0 offset:352
	buffer_load_dword v3, off, s[0:3], 0 offset:356
	;; [unrolled: 1-line block ×16, first 2 shown]
	v_cmp_lt_u32_e32 vcc, 43, v0
	s_waitcnt vmcnt(12) lgkmcnt(0)
	v_mul_f32_e32 v8, v4, v13
	v_fmac_f32_e32 v8, v5, v12
	v_add_f32_e32 v29, 0, v8
	ds_read2_b64 v[8:11], v1 offset0:103 offset1:104
	buffer_load_dword v35, off, s[0:3], 0 offset:420
	buffer_load_dword v34, off, s[0:3], 0 offset:416
	;; [unrolled: 1-line block ×8, first 2 shown]
	v_mul_f32_e32 v5, v5, v13
	v_fma_f32 v4, v4, v12, -v5
	s_waitcnt vmcnt(18)
	v_mul_f32_e32 v31, v6, v15
	v_add_f32_e32 v28, 0, v4
	v_mul_f32_e32 v4, v7, v15
	v_fmac_f32_e32 v31, v7, v14
	v_fma_f32 v30, v6, v14, -v4
	s_waitcnt vmcnt(16) lgkmcnt(0)
	v_mul_f32_e32 v33, v8, v17
	v_mul_f32_e32 v4, v9, v17
	v_pk_add_f32 v[28:29], v[28:29], v[30:31]
	s_waitcnt vmcnt(14)
	v_mov_b32_e32 v30, v21
	v_fmac_f32_e32 v33, v9, v16
	v_fma_f32 v32, v8, v16, -v4
	ds_read2_b64 v[4:7], v1 offset0:105 offset1:106
	ds_read2_b64 v[12:15], v1 offset0:107 offset1:108
	;; [unrolled: 1-line block ×3, first 2 shown]
	ds_read_b64 v[8:9], v1 offset:888
	v_pk_mul_f32 v[30:31], v[10:11], v[30:31] op_sel_hi:[1,0]
	v_pk_add_f32 v[28:29], v[28:29], v[32:33]
	v_pk_fma_f32 v[32:33], v[10:11], v[20:21], v[30:31] op_sel:[0,0,1] op_sel_hi:[1,1,0] neg_lo:[0,0,1] neg_hi:[0,0,1]
	v_pk_fma_f32 v[10:11], v[10:11], v[20:21], v[30:31] op_sel:[0,0,1] op_sel_hi:[1,0,0]
	s_waitcnt vmcnt(12)
	v_mov_b32_e32 v20, v23
	v_mov_b32_e32 v33, v11
	s_waitcnt lgkmcnt(3)
	v_pk_mul_f32 v[20:21], v[4:5], v[20:21] op_sel_hi:[1,0]
	v_pk_add_f32 v[10:11], v[28:29], v[32:33]
	v_pk_fma_f32 v[28:29], v[4:5], v[22:23], v[20:21] op_sel:[0,0,1] op_sel_hi:[1,1,0] neg_lo:[0,0,1] neg_hi:[0,0,1]
	v_pk_fma_f32 v[4:5], v[4:5], v[22:23], v[20:21] op_sel:[0,0,1] op_sel_hi:[1,0,0]
	v_mov_b32_e32 v29, v5
	v_pk_add_f32 v[4:5], v[10:11], v[28:29]
	s_waitcnt vmcnt(10)
	v_mov_b32_e32 v10, v25
	v_pk_mul_f32 v[10:11], v[6:7], v[10:11] op_sel_hi:[1,0]
	v_pk_fma_f32 v[20:21], v[6:7], v[24:25], v[10:11] op_sel:[0,0,1] op_sel_hi:[1,1,0] neg_lo:[0,0,1] neg_hi:[0,0,1]
	v_pk_fma_f32 v[6:7], v[6:7], v[24:25], v[10:11] op_sel:[0,0,1] op_sel_hi:[1,0,0]
	s_waitcnt vmcnt(8)
	v_mov_b32_e32 v6, v27
	v_mov_b32_e32 v21, v7
	s_waitcnt lgkmcnt(2)
	v_pk_mul_f32 v[6:7], v[12:13], v[6:7] op_sel_hi:[1,0]
	v_pk_fma_f32 v[10:11], v[12:13], v[26:27], v[6:7] op_sel:[0,0,1] op_sel_hi:[1,1,0] neg_lo:[0,0,1] neg_hi:[0,0,1]
	v_pk_fma_f32 v[6:7], v[12:13], v[26:27], v[6:7] op_sel:[0,0,1] op_sel_hi:[1,0,0]
	v_pk_add_f32 v[4:5], v[4:5], v[20:21]
	v_mov_b32_e32 v11, v7
	v_pk_add_f32 v[4:5], v[4:5], v[10:11]
	s_waitcnt vmcnt(7)
	v_mov_b32_e32 v6, v35
	v_pk_mul_f32 v[6:7], v[14:15], v[6:7] op_sel_hi:[1,0]
	s_waitcnt vmcnt(6)
	v_pk_fma_f32 v[10:11], v[14:15], v[34:35], v[6:7] op_sel:[0,0,1] op_sel_hi:[1,1,0] neg_lo:[0,0,1] neg_hi:[0,0,1]
	v_pk_fma_f32 v[6:7], v[14:15], v[34:35], v[6:7] op_sel:[0,0,1] op_sel_hi:[1,0,0]
	s_waitcnt vmcnt(5)
	v_mov_b32_e32 v6, v37
	v_mov_b32_e32 v11, v7
	s_waitcnt lgkmcnt(1)
	v_pk_mul_f32 v[6:7], v[16:17], v[6:7] op_sel_hi:[1,0]
	v_pk_add_f32 v[4:5], v[4:5], v[10:11]
	s_waitcnt vmcnt(4)
	v_pk_fma_f32 v[10:11], v[16:17], v[36:37], v[6:7] op_sel:[0,0,1] op_sel_hi:[1,1,0] neg_lo:[0,0,1] neg_hi:[0,0,1]
	v_pk_fma_f32 v[6:7], v[16:17], v[36:37], v[6:7] op_sel:[0,0,1] op_sel_hi:[1,0,0]
	s_waitcnt vmcnt(3)
	v_mov_b32_e32 v6, v39
	v_mov_b32_e32 v11, v7
	v_pk_mul_f32 v[6:7], v[18:19], v[6:7] op_sel_hi:[1,0]
	v_pk_add_f32 v[4:5], v[4:5], v[10:11]
	s_waitcnt vmcnt(2)
	v_pk_fma_f32 v[10:11], v[18:19], v[38:39], v[6:7] op_sel:[0,0,1] op_sel_hi:[1,1,0] neg_lo:[0,0,1] neg_hi:[0,0,1]
	v_pk_fma_f32 v[6:7], v[18:19], v[38:39], v[6:7] op_sel:[0,0,1] op_sel_hi:[1,0,0]
	s_waitcnt vmcnt(1)
	v_mov_b32_e32 v6, v41
	v_mov_b32_e32 v11, v7
	s_waitcnt lgkmcnt(0)
	v_pk_mul_f32 v[6:7], v[8:9], v[6:7] op_sel_hi:[1,0]
	v_pk_add_f32 v[4:5], v[4:5], v[10:11]
	s_waitcnt vmcnt(0)
	v_pk_fma_f32 v[10:11], v[8:9], v[40:41], v[6:7] op_sel:[0,0,1] op_sel_hi:[1,1,0] neg_lo:[0,0,1] neg_hi:[0,0,1]
	v_pk_fma_f32 v[6:7], v[8:9], v[40:41], v[6:7] op_sel:[0,0,1] op_sel_hi:[1,0,0]
	v_mov_b32_e32 v11, v7
	v_pk_add_f32 v[4:5], v[4:5], v[10:11]
	v_pk_add_f32 v[2:3], v[2:3], v[4:5] neg_lo:[0,1] neg_hi:[0,1]
	buffer_store_dword v3, off, s[0:3], 0 offset:356
	buffer_store_dword v2, off, s[0:3], 0 offset:352
	s_and_saveexec_b64 s[4:5], vcc
	s_cbranch_execz .LBB119_263
; %bb.262:
	buffer_load_dword v2, off, s[0:3], 0 offset:344
	buffer_load_dword v3, off, s[0:3], 0 offset:348
	s_waitcnt vmcnt(0)
	ds_write_b64 v161, v[2:3]
	buffer_store_dword v1, off, s[0:3], 0 offset:344
	buffer_store_dword v1, off, s[0:3], 0 offset:348
.LBB119_263:
	s_or_b64 exec, exec, s[4:5]
	s_waitcnt lgkmcnt(0)
	; wave barrier
	s_waitcnt lgkmcnt(0)
	ds_read_b128 v[4:7], v1 offset:800
	ds_read_b128 v[8:11], v1 offset:816
	;; [unrolled: 1-line block ×4, first 2 shown]
	buffer_load_dword v2, off, s[0:3], 0 offset:344
	buffer_load_dword v3, off, s[0:3], 0 offset:348
	;; [unrolled: 1-line block ×26, first 2 shown]
	v_cmp_lt_u32_e32 vcc, 42, v0
	s_waitcnt vmcnt(22) lgkmcnt(3)
	v_mul_f32_e32 v27, v4, v28
	v_fmac_f32_e32 v27, v5, v26
	v_mul_f32_e32 v5, v5, v28
	s_waitcnt vmcnt(20)
	v_mul_f32_e32 v29, v6, v42
	v_fma_f32 v4, v4, v26, -v5
	v_mul_f32_e32 v5, v7, v42
	v_add_f32_e32 v27, 0, v27
	v_fmac_f32_e32 v29, v7, v30
	v_add_f32_e32 v4, 0, v4
	v_fma_f32 v5, v6, v30, -v5
	v_add_f32_e32 v27, v27, v29
	s_waitcnt vmcnt(18) lgkmcnt(2)
	v_mul_f32_e32 v29, v8, v44
	v_add_f32_e32 v26, v4, v5
	v_mul_f32_e32 v4, v9, v44
	v_fmac_f32_e32 v29, v9, v43
	v_fma_f32 v28, v8, v43, -v4
	s_waitcnt vmcnt(16)
	v_mul_f32_e32 v31, v10, v46
	v_mul_f32_e32 v4, v11, v46
	v_pk_add_f32 v[26:27], v[26:27], v[28:29]
	s_waitcnt vmcnt(14)
	v_mov_b32_e32 v28, v21
	v_fmac_f32_e32 v31, v11, v45
	v_fma_f32 v30, v10, v45, -v4
	s_waitcnt lgkmcnt(1)
	v_pk_mul_f32 v[28:29], v[12:13], v[28:29] op_sel_hi:[1,0]
	v_pk_add_f32 v[26:27], v[26:27], v[30:31]
	v_pk_fma_f32 v[30:31], v[12:13], v[20:21], v[28:29] op_sel:[0,0,1] op_sel_hi:[1,1,0] neg_lo:[0,0,1] neg_hi:[0,0,1]
	v_pk_fma_f32 v[12:13], v[12:13], v[20:21], v[28:29] op_sel:[0,0,1] op_sel_hi:[1,0,0]
	s_waitcnt vmcnt(12)
	v_mov_b32_e32 v20, v23
	v_mov_b32_e32 v31, v13
	v_pk_mul_f32 v[20:21], v[14:15], v[20:21] op_sel_hi:[1,0]
	v_pk_add_f32 v[12:13], v[26:27], v[30:31]
	v_pk_fma_f32 v[26:27], v[14:15], v[22:23], v[20:21] op_sel:[0,0,1] op_sel_hi:[1,1,0] neg_lo:[0,0,1] neg_hi:[0,0,1]
	v_pk_fma_f32 v[14:15], v[14:15], v[22:23], v[20:21] op_sel:[0,0,1] op_sel_hi:[1,0,0]
	s_waitcnt vmcnt(10)
	v_mov_b32_e32 v14, v25
	v_mov_b32_e32 v27, v15
	s_waitcnt lgkmcnt(0)
	v_pk_mul_f32 v[14:15], v[16:17], v[14:15] op_sel_hi:[1,0]
	v_pk_fma_f32 v[20:21], v[16:17], v[24:25], v[14:15] op_sel:[0,0,1] op_sel_hi:[1,1,0] neg_lo:[0,0,1] neg_hi:[0,0,1]
	v_pk_fma_f32 v[14:15], v[16:17], v[24:25], v[14:15] op_sel:[0,0,1] op_sel_hi:[1,0,0]
	ds_read_b128 v[4:7], v1 offset:864
	ds_read_b128 v[8:11], v1 offset:880
	s_waitcnt vmcnt(9)
	v_mov_b32_e32 v14, v33
	v_mov_b32_e32 v21, v15
	v_pk_mul_f32 v[14:15], v[18:19], v[14:15] op_sel_hi:[1,0]
	s_waitcnt vmcnt(8)
	v_pk_fma_f32 v[16:17], v[18:19], v[32:33], v[14:15] op_sel:[0,0,1] op_sel_hi:[1,1,0] neg_lo:[0,0,1] neg_hi:[0,0,1]
	v_pk_fma_f32 v[14:15], v[18:19], v[32:33], v[14:15] op_sel:[0,0,1] op_sel_hi:[1,0,0]
	v_pk_add_f32 v[12:13], v[12:13], v[26:27]
	s_waitcnt vmcnt(7)
	v_mov_b32_e32 v14, v35
	v_pk_add_f32 v[12:13], v[12:13], v[20:21]
	v_mov_b32_e32 v17, v15
	s_waitcnt lgkmcnt(1)
	v_pk_mul_f32 v[14:15], v[4:5], v[14:15] op_sel_hi:[1,0]
	v_pk_add_f32 v[12:13], v[12:13], v[16:17]
	s_waitcnt vmcnt(6)
	v_pk_fma_f32 v[16:17], v[4:5], v[34:35], v[14:15] op_sel:[0,0,1] op_sel_hi:[1,1,0] neg_lo:[0,0,1] neg_hi:[0,0,1]
	v_pk_fma_f32 v[4:5], v[4:5], v[34:35], v[14:15] op_sel:[0,0,1] op_sel_hi:[1,0,0]
	v_mov_b32_e32 v17, v5
	v_pk_add_f32 v[4:5], v[12:13], v[16:17]
	s_waitcnt vmcnt(5)
	v_mov_b32_e32 v12, v37
	v_pk_mul_f32 v[12:13], v[6:7], v[12:13] op_sel_hi:[1,0]
	s_waitcnt vmcnt(4)
	v_pk_fma_f32 v[14:15], v[6:7], v[36:37], v[12:13] op_sel:[0,0,1] op_sel_hi:[1,1,0] neg_lo:[0,0,1] neg_hi:[0,0,1]
	v_pk_fma_f32 v[6:7], v[6:7], v[36:37], v[12:13] op_sel:[0,0,1] op_sel_hi:[1,0,0]
	s_waitcnt vmcnt(3)
	v_mov_b32_e32 v6, v39
	v_mov_b32_e32 v15, v7
	s_waitcnt lgkmcnt(0)
	v_pk_mul_f32 v[6:7], v[8:9], v[6:7] op_sel_hi:[1,0]
	s_waitcnt vmcnt(2)
	v_pk_fma_f32 v[12:13], v[8:9], v[38:39], v[6:7] op_sel:[0,0,1] op_sel_hi:[1,1,0] neg_lo:[0,0,1] neg_hi:[0,0,1]
	v_pk_fma_f32 v[6:7], v[8:9], v[38:39], v[6:7] op_sel:[0,0,1] op_sel_hi:[1,0,0]
	s_waitcnt vmcnt(1)
	v_mov_b32_e32 v6, v41
	v_mov_b32_e32 v13, v7
	v_pk_mul_f32 v[6:7], v[10:11], v[6:7] op_sel_hi:[1,0]
	v_pk_add_f32 v[4:5], v[4:5], v[14:15]
	s_waitcnt vmcnt(0)
	v_pk_fma_f32 v[8:9], v[10:11], v[40:41], v[6:7] op_sel:[0,0,1] op_sel_hi:[1,1,0] neg_lo:[0,0,1] neg_hi:[0,0,1]
	v_pk_fma_f32 v[6:7], v[10:11], v[40:41], v[6:7] op_sel:[0,0,1] op_sel_hi:[1,0,0]
	v_pk_add_f32 v[4:5], v[4:5], v[12:13]
	v_mov_b32_e32 v9, v7
	v_pk_add_f32 v[4:5], v[4:5], v[8:9]
	v_pk_add_f32 v[2:3], v[2:3], v[4:5] neg_lo:[0,1] neg_hi:[0,1]
	buffer_store_dword v3, off, s[0:3], 0 offset:348
	buffer_store_dword v2, off, s[0:3], 0 offset:344
	s_and_saveexec_b64 s[4:5], vcc
	s_cbranch_execz .LBB119_265
; %bb.264:
	buffer_load_dword v2, off, s[0:3], 0 offset:336
	buffer_load_dword v3, off, s[0:3], 0 offset:340
	v_mov_b32_e32 v1, 0
	buffer_store_dword v1, off, s[0:3], 0 offset:336
	buffer_store_dword v1, off, s[0:3], 0 offset:340
	s_waitcnt vmcnt(2)
	ds_write_b64 v161, v[2:3]
.LBB119_265:
	s_or_b64 exec, exec, s[4:5]
	v_mov_b32_e32 v1, 0
	s_waitcnt lgkmcnt(0)
	; wave barrier
	s_waitcnt lgkmcnt(0)
	ds_read2_b64 v[4:7], v1 offset0:99 offset1:100
	buffer_load_dword v2, off, s[0:3], 0 offset:336
	buffer_load_dword v3, off, s[0:3], 0 offset:340
	;; [unrolled: 1-line block ×16, first 2 shown]
	v_cmp_lt_u32_e32 vcc, 41, v0
	s_waitcnt vmcnt(12) lgkmcnt(0)
	v_mul_f32_e32 v8, v4, v17
	v_fmac_f32_e32 v8, v5, v16
	s_waitcnt vmcnt(10)
	v_mul_f32_e32 v9, v6, v19
	v_add_f32_e32 v8, 0, v8
	v_fmac_f32_e32 v9, v7, v18
	v_add_f32_e32 v12, v8, v9
	ds_read2_b64 v[8:11], v1 offset0:101 offset1:102
	v_mul_f32_e32 v5, v5, v17
	v_fma_f32 v4, v4, v16, -v5
	v_mul_f32_e32 v5, v7, v19
	v_add_f32_e32 v4, 0, v4
	s_waitcnt vmcnt(8) lgkmcnt(0)
	v_mul_f32_e32 v13, v8, v26
	v_fmac_f32_e32 v13, v9, v24
	v_add_f32_e32 v25, v12, v13
	ds_read2_b64 v[12:15], v1 offset0:103 offset1:104
	buffer_load_dword v31, off, s[0:3], 0 offset:404
	buffer_load_dword v30, off, s[0:3], 0 offset:400
	;; [unrolled: 1-line block ×12, first 2 shown]
	v_fma_f32 v5, v6, v18, -v5
	v_add_f32_e32 v4, v4, v5
	v_mul_f32_e32 v5, v9, v26
	v_fma_f32 v5, v8, v24, -v5
	s_waitcnt vmcnt(18)
	v_mul_f32_e32 v27, v10, v42
	v_add_f32_e32 v24, v4, v5
	v_mul_f32_e32 v4, v11, v42
	v_fmac_f32_e32 v27, v11, v28
	v_fma_f32 v26, v10, v28, -v4
	s_waitcnt vmcnt(16) lgkmcnt(0)
	v_mul_f32_e32 v29, v12, v44
	v_mul_f32_e32 v4, v13, v44
	v_pk_add_f32 v[24:25], v[24:25], v[26:27]
	s_waitcnt vmcnt(14)
	v_mov_b32_e32 v26, v21
	v_fmac_f32_e32 v29, v13, v43
	v_fma_f32 v28, v12, v43, -v4
	ds_read2_b64 v[4:7], v1 offset0:105 offset1:106
	ds_read2_b64 v[8:11], v1 offset0:107 offset1:108
	;; [unrolled: 1-line block ×3, first 2 shown]
	ds_read_b64 v[12:13], v1 offset:888
	v_pk_mul_f32 v[26:27], v[14:15], v[26:27] op_sel_hi:[1,0]
	v_pk_add_f32 v[24:25], v[24:25], v[28:29]
	v_pk_fma_f32 v[28:29], v[14:15], v[20:21], v[26:27] op_sel:[0,0,1] op_sel_hi:[1,1,0] neg_lo:[0,0,1] neg_hi:[0,0,1]
	v_pk_fma_f32 v[14:15], v[14:15], v[20:21], v[26:27] op_sel:[0,0,1] op_sel_hi:[1,0,0]
	s_waitcnt vmcnt(12)
	v_mov_b32_e32 v20, v23
	v_mov_b32_e32 v29, v15
	s_waitcnt lgkmcnt(3)
	v_pk_mul_f32 v[20:21], v[4:5], v[20:21] op_sel_hi:[1,0]
	v_pk_add_f32 v[14:15], v[24:25], v[28:29]
	v_pk_fma_f32 v[24:25], v[4:5], v[22:23], v[20:21] op_sel:[0,0,1] op_sel_hi:[1,1,0] neg_lo:[0,0,1] neg_hi:[0,0,1]
	v_pk_fma_f32 v[4:5], v[4:5], v[22:23], v[20:21] op_sel:[0,0,1] op_sel_hi:[1,0,0]
	v_mov_b32_e32 v25, v5
	v_pk_add_f32 v[4:5], v[14:15], v[24:25]
	s_waitcnt vmcnt(11)
	v_mov_b32_e32 v14, v31
	v_pk_mul_f32 v[14:15], v[6:7], v[14:15] op_sel_hi:[1,0]
	s_waitcnt vmcnt(10)
	v_pk_fma_f32 v[20:21], v[6:7], v[30:31], v[14:15] op_sel:[0,0,1] op_sel_hi:[1,1,0] neg_lo:[0,0,1] neg_hi:[0,0,1]
	v_pk_fma_f32 v[6:7], v[6:7], v[30:31], v[14:15] op_sel:[0,0,1] op_sel_hi:[1,0,0]
	s_waitcnt vmcnt(9)
	v_mov_b32_e32 v6, v33
	v_mov_b32_e32 v21, v7
	s_waitcnt lgkmcnt(2)
	v_pk_mul_f32 v[6:7], v[8:9], v[6:7] op_sel_hi:[1,0]
	s_waitcnt vmcnt(8)
	v_pk_fma_f32 v[14:15], v[8:9], v[32:33], v[6:7] op_sel:[0,0,1] op_sel_hi:[1,1,0] neg_lo:[0,0,1] neg_hi:[0,0,1]
	v_pk_fma_f32 v[6:7], v[8:9], v[32:33], v[6:7] op_sel:[0,0,1] op_sel_hi:[1,0,0]
	s_waitcnt vmcnt(7)
	v_mov_b32_e32 v6, v35
	v_mov_b32_e32 v15, v7
	v_pk_mul_f32 v[6:7], v[10:11], v[6:7] op_sel_hi:[1,0]
	s_waitcnt vmcnt(6)
	v_pk_fma_f32 v[8:9], v[10:11], v[34:35], v[6:7] op_sel:[0,0,1] op_sel_hi:[1,1,0] neg_lo:[0,0,1] neg_hi:[0,0,1]
	v_pk_fma_f32 v[6:7], v[10:11], v[34:35], v[6:7] op_sel:[0,0,1] op_sel_hi:[1,0,0]
	v_pk_add_f32 v[4:5], v[4:5], v[20:21]
	s_waitcnt vmcnt(5)
	v_mov_b32_e32 v6, v37
	v_pk_add_f32 v[4:5], v[4:5], v[14:15]
	v_mov_b32_e32 v9, v7
	s_waitcnt lgkmcnt(1)
	v_pk_mul_f32 v[6:7], v[16:17], v[6:7] op_sel_hi:[1,0]
	v_pk_add_f32 v[4:5], v[4:5], v[8:9]
	s_waitcnt vmcnt(4)
	v_pk_fma_f32 v[8:9], v[16:17], v[36:37], v[6:7] op_sel:[0,0,1] op_sel_hi:[1,1,0] neg_lo:[0,0,1] neg_hi:[0,0,1]
	v_pk_fma_f32 v[6:7], v[16:17], v[36:37], v[6:7] op_sel:[0,0,1] op_sel_hi:[1,0,0]
	s_waitcnt vmcnt(3)
	v_mov_b32_e32 v6, v39
	v_mov_b32_e32 v9, v7
	v_pk_mul_f32 v[6:7], v[18:19], v[6:7] op_sel_hi:[1,0]
	v_pk_add_f32 v[4:5], v[4:5], v[8:9]
	s_waitcnt vmcnt(2)
	v_pk_fma_f32 v[8:9], v[18:19], v[38:39], v[6:7] op_sel:[0,0,1] op_sel_hi:[1,1,0] neg_lo:[0,0,1] neg_hi:[0,0,1]
	v_pk_fma_f32 v[6:7], v[18:19], v[38:39], v[6:7] op_sel:[0,0,1] op_sel_hi:[1,0,0]
	s_waitcnt vmcnt(1)
	v_mov_b32_e32 v6, v41
	v_mov_b32_e32 v9, v7
	s_waitcnt lgkmcnt(0)
	v_pk_mul_f32 v[6:7], v[12:13], v[6:7] op_sel_hi:[1,0]
	v_pk_add_f32 v[4:5], v[4:5], v[8:9]
	s_waitcnt vmcnt(0)
	v_pk_fma_f32 v[8:9], v[12:13], v[40:41], v[6:7] op_sel:[0,0,1] op_sel_hi:[1,1,0] neg_lo:[0,0,1] neg_hi:[0,0,1]
	v_pk_fma_f32 v[6:7], v[12:13], v[40:41], v[6:7] op_sel:[0,0,1] op_sel_hi:[1,0,0]
	v_mov_b32_e32 v9, v7
	v_pk_add_f32 v[4:5], v[4:5], v[8:9]
	v_pk_add_f32 v[2:3], v[2:3], v[4:5] neg_lo:[0,1] neg_hi:[0,1]
	buffer_store_dword v3, off, s[0:3], 0 offset:340
	buffer_store_dword v2, off, s[0:3], 0 offset:336
	s_and_saveexec_b64 s[4:5], vcc
	s_cbranch_execz .LBB119_267
; %bb.266:
	buffer_load_dword v2, off, s[0:3], 0 offset:328
	buffer_load_dword v3, off, s[0:3], 0 offset:332
	s_waitcnt vmcnt(0)
	ds_write_b64 v161, v[2:3]
	buffer_store_dword v1, off, s[0:3], 0 offset:328
	buffer_store_dword v1, off, s[0:3], 0 offset:332
.LBB119_267:
	s_or_b64 exec, exec, s[4:5]
	s_waitcnt lgkmcnt(0)
	; wave barrier
	s_waitcnt lgkmcnt(0)
	ds_read_b128 v[4:7], v1 offset:784
	ds_read_b128 v[8:11], v1 offset:800
	;; [unrolled: 1-line block ×4, first 2 shown]
	buffer_load_dword v2, off, s[0:3], 0 offset:328
	buffer_load_dword v3, off, s[0:3], 0 offset:332
	;; [unrolled: 1-line block ×30, first 2 shown]
	v_cmp_lt_u32_e32 vcc, 40, v0
	s_waitcnt vmcnt(26) lgkmcnt(3)
	v_mul_f32_e32 v23, v4, v24
	v_fmac_f32_e32 v23, v5, v22
	v_mul_f32_e32 v5, v5, v24
	s_waitcnt vmcnt(24)
	v_mul_f32_e32 v25, v6, v42
	v_fma_f32 v4, v4, v22, -v5
	v_mul_f32_e32 v5, v7, v42
	v_add_f32_e32 v23, 0, v23
	v_fmac_f32_e32 v25, v7, v26
	v_add_f32_e32 v4, 0, v4
	v_fma_f32 v5, v6, v26, -v5
	v_add_f32_e32 v23, v23, v25
	s_waitcnt vmcnt(22) lgkmcnt(2)
	v_mul_f32_e32 v25, v8, v44
	v_add_f32_e32 v4, v4, v5
	v_mul_f32_e32 v5, v9, v44
	v_fmac_f32_e32 v25, v9, v43
	v_fma_f32 v5, v8, v43, -v5
	v_add_f32_e32 v23, v23, v25
	s_waitcnt vmcnt(20)
	v_mul_f32_e32 v25, v10, v46
	v_add_f32_e32 v4, v4, v5
	v_mul_f32_e32 v5, v11, v46
	v_fmac_f32_e32 v25, v11, v45
	v_fma_f32 v5, v10, v45, -v5
	v_add_f32_e32 v23, v23, v25
	s_waitcnt vmcnt(18) lgkmcnt(1)
	v_mul_f32_e32 v25, v12, v48
	v_add_f32_e32 v22, v4, v5
	v_mul_f32_e32 v4, v13, v48
	v_fmac_f32_e32 v25, v13, v47
	v_fma_f32 v24, v12, v47, -v4
	s_waitcnt vmcnt(16)
	v_mul_f32_e32 v27, v14, v50
	v_mul_f32_e32 v4, v15, v50
	v_pk_add_f32 v[22:23], v[22:23], v[24:25]
	s_waitcnt vmcnt(14)
	v_mov_b32_e32 v24, v21
	v_fmac_f32_e32 v27, v15, v49
	v_fma_f32 v26, v14, v49, -v4
	s_waitcnt lgkmcnt(0)
	v_pk_mul_f32 v[24:25], v[16:17], v[24:25] op_sel_hi:[1,0]
	v_pk_add_f32 v[22:23], v[22:23], v[26:27]
	v_pk_fma_f32 v[26:27], v[16:17], v[20:21], v[24:25] op_sel:[0,0,1] op_sel_hi:[1,1,0] neg_lo:[0,0,1] neg_hi:[0,0,1]
	v_pk_fma_f32 v[16:17], v[16:17], v[20:21], v[24:25] op_sel:[0,0,1] op_sel_hi:[1,0,0]
	s_waitcnt vmcnt(13)
	v_mov_b32_e32 v20, v29
	ds_read_b128 v[4:7], v1 offset:848
	ds_read_b128 v[8:11], v1 offset:864
	ds_read_b128 v[12:15], v1 offset:880
	v_mov_b32_e32 v27, v17
	v_pk_mul_f32 v[20:21], v[18:19], v[20:21] op_sel_hi:[1,0]
	v_pk_add_f32 v[16:17], v[22:23], v[26:27]
	s_waitcnt vmcnt(12)
	v_pk_fma_f32 v[22:23], v[18:19], v[28:29], v[20:21] op_sel:[0,0,1] op_sel_hi:[1,1,0] neg_lo:[0,0,1] neg_hi:[0,0,1]
	v_pk_fma_f32 v[18:19], v[18:19], v[28:29], v[20:21] op_sel:[0,0,1] op_sel_hi:[1,0,0]
	s_waitcnt vmcnt(11)
	v_mov_b32_e32 v18, v31
	v_mov_b32_e32 v23, v19
	s_waitcnt lgkmcnt(2)
	v_pk_mul_f32 v[18:19], v[4:5], v[18:19] op_sel_hi:[1,0]
	s_waitcnt vmcnt(10)
	v_pk_fma_f32 v[20:21], v[4:5], v[30:31], v[18:19] op_sel:[0,0,1] op_sel_hi:[1,1,0] neg_lo:[0,0,1] neg_hi:[0,0,1]
	v_pk_fma_f32 v[4:5], v[4:5], v[30:31], v[18:19] op_sel:[0,0,1] op_sel_hi:[1,0,0]
	v_pk_add_f32 v[16:17], v[16:17], v[22:23]
	v_mov_b32_e32 v21, v5
	v_pk_add_f32 v[4:5], v[16:17], v[20:21]
	s_waitcnt vmcnt(9)
	v_mov_b32_e32 v16, v33
	v_pk_mul_f32 v[16:17], v[6:7], v[16:17] op_sel_hi:[1,0]
	s_waitcnt vmcnt(8)
	v_pk_fma_f32 v[18:19], v[6:7], v[32:33], v[16:17] op_sel:[0,0,1] op_sel_hi:[1,1,0] neg_lo:[0,0,1] neg_hi:[0,0,1]
	v_pk_fma_f32 v[6:7], v[6:7], v[32:33], v[16:17] op_sel:[0,0,1] op_sel_hi:[1,0,0]
	s_waitcnt vmcnt(7)
	v_mov_b32_e32 v6, v35
	v_mov_b32_e32 v19, v7
	s_waitcnt lgkmcnt(1)
	v_pk_mul_f32 v[6:7], v[8:9], v[6:7] op_sel_hi:[1,0]
	s_waitcnt vmcnt(6)
	v_pk_fma_f32 v[16:17], v[8:9], v[34:35], v[6:7] op_sel:[0,0,1] op_sel_hi:[1,1,0] neg_lo:[0,0,1] neg_hi:[0,0,1]
	v_pk_fma_f32 v[6:7], v[8:9], v[34:35], v[6:7] op_sel:[0,0,1] op_sel_hi:[1,0,0]
	s_waitcnt vmcnt(5)
	v_mov_b32_e32 v6, v37
	v_mov_b32_e32 v17, v7
	v_pk_mul_f32 v[6:7], v[10:11], v[6:7] op_sel_hi:[1,0]
	s_waitcnt vmcnt(4)
	v_pk_fma_f32 v[8:9], v[10:11], v[36:37], v[6:7] op_sel:[0,0,1] op_sel_hi:[1,1,0] neg_lo:[0,0,1] neg_hi:[0,0,1]
	v_pk_fma_f32 v[6:7], v[10:11], v[36:37], v[6:7] op_sel:[0,0,1] op_sel_hi:[1,0,0]
	v_pk_add_f32 v[4:5], v[4:5], v[18:19]
	s_waitcnt vmcnt(3)
	v_mov_b32_e32 v6, v39
	v_pk_add_f32 v[4:5], v[4:5], v[16:17]
	v_mov_b32_e32 v9, v7
	s_waitcnt lgkmcnt(0)
	v_pk_mul_f32 v[6:7], v[12:13], v[6:7] op_sel_hi:[1,0]
	v_pk_add_f32 v[4:5], v[4:5], v[8:9]
	s_waitcnt vmcnt(2)
	v_pk_fma_f32 v[8:9], v[12:13], v[38:39], v[6:7] op_sel:[0,0,1] op_sel_hi:[1,1,0] neg_lo:[0,0,1] neg_hi:[0,0,1]
	v_pk_fma_f32 v[6:7], v[12:13], v[38:39], v[6:7] op_sel:[0,0,1] op_sel_hi:[1,0,0]
	s_waitcnt vmcnt(1)
	v_mov_b32_e32 v6, v41
	v_mov_b32_e32 v9, v7
	v_pk_mul_f32 v[6:7], v[14:15], v[6:7] op_sel_hi:[1,0]
	v_pk_add_f32 v[4:5], v[4:5], v[8:9]
	s_waitcnt vmcnt(0)
	v_pk_fma_f32 v[8:9], v[14:15], v[40:41], v[6:7] op_sel:[0,0,1] op_sel_hi:[1,1,0] neg_lo:[0,0,1] neg_hi:[0,0,1]
	v_pk_fma_f32 v[6:7], v[14:15], v[40:41], v[6:7] op_sel:[0,0,1] op_sel_hi:[1,0,0]
	v_mov_b32_e32 v9, v7
	v_pk_add_f32 v[4:5], v[4:5], v[8:9]
	v_pk_add_f32 v[2:3], v[2:3], v[4:5] neg_lo:[0,1] neg_hi:[0,1]
	buffer_store_dword v3, off, s[0:3], 0 offset:332
	buffer_store_dword v2, off, s[0:3], 0 offset:328
	s_and_saveexec_b64 s[4:5], vcc
	s_cbranch_execz .LBB119_269
; %bb.268:
	buffer_load_dword v2, off, s[0:3], 0 offset:320
	buffer_load_dword v3, off, s[0:3], 0 offset:324
	v_mov_b32_e32 v1, 0
	buffer_store_dword v1, off, s[0:3], 0 offset:320
	buffer_store_dword v1, off, s[0:3], 0 offset:324
	s_waitcnt vmcnt(2)
	ds_write_b64 v161, v[2:3]
.LBB119_269:
	s_or_b64 exec, exec, s[4:5]
	v_mov_b32_e32 v1, 0
	s_waitcnt lgkmcnt(0)
	; wave barrier
	s_waitcnt lgkmcnt(0)
	ds_read2_b64 v[4:7], v1 offset0:97 offset1:98
	buffer_load_dword v2, off, s[0:3], 0 offset:320
	buffer_load_dword v3, off, s[0:3], 0 offset:324
	;; [unrolled: 1-line block ×16, first 2 shown]
	v_cmp_lt_u32_e32 vcc, 39, v0
	s_waitcnt vmcnt(12) lgkmcnt(0)
	v_mul_f32_e32 v8, v4, v22
	v_fmac_f32_e32 v8, v5, v20
	s_waitcnt vmcnt(10)
	v_mul_f32_e32 v9, v6, v42
	v_add_f32_e32 v8, 0, v8
	v_fmac_f32_e32 v9, v7, v24
	v_add_f32_e32 v12, v8, v9
	ds_read2_b64 v[8:11], v1 offset0:99 offset1:100
	v_mul_f32_e32 v5, v5, v22
	v_fma_f32 v4, v4, v20, -v5
	v_mul_f32_e32 v5, v7, v42
	v_add_f32_e32 v4, 0, v4
	s_waitcnt vmcnt(8) lgkmcnt(0)
	v_mul_f32_e32 v13, v8, v44
	v_fmac_f32_e32 v13, v9, v43
	v_add_f32_e32 v12, v12, v13
	s_waitcnt vmcnt(6)
	v_mul_f32_e32 v13, v10, v46
	v_fmac_f32_e32 v13, v11, v45
	v_add_f32_e32 v16, v12, v13
	ds_read2_b64 v[12:15], v1 offset0:101 offset1:102
	v_fma_f32 v5, v6, v24, -v5
	v_add_f32_e32 v4, v4, v5
	v_mul_f32_e32 v5, v9, v44
	v_fma_f32 v5, v8, v43, -v5
	s_waitcnt vmcnt(4) lgkmcnt(0)
	v_mul_f32_e32 v17, v12, v48
	v_fmac_f32_e32 v17, v13, v47
	v_add_f32_e32 v21, v16, v17
	ds_read2_b64 v[16:19], v1 offset0:103 offset1:104
	buffer_load_dword v27, off, s[0:3], 0 offset:388
	buffer_load_dword v26, off, s[0:3], 0 offset:384
	;; [unrolled: 1-line block ×16, first 2 shown]
	v_add_f32_e32 v4, v4, v5
	v_mul_f32_e32 v5, v11, v46
	v_fma_f32 v5, v10, v45, -v5
	v_add_f32_e32 v4, v4, v5
	v_mul_f32_e32 v5, v13, v48
	v_fma_f32 v5, v12, v47, -v5
	s_waitcnt vmcnt(18)
	v_mul_f32_e32 v23, v14, v50
	v_add_f32_e32 v20, v4, v5
	v_mul_f32_e32 v4, v15, v50
	v_fmac_f32_e32 v23, v15, v49
	v_fma_f32 v22, v14, v49, -v4
	s_waitcnt vmcnt(16) lgkmcnt(0)
	v_mul_f32_e32 v25, v16, v52
	v_mul_f32_e32 v4, v17, v52
	v_pk_add_f32 v[20:21], v[20:21], v[22:23]
	v_fmac_f32_e32 v25, v17, v51
	v_fma_f32 v24, v16, v51, -v4
	v_pk_add_f32 v[20:21], v[20:21], v[24:25]
	ds_read2_b64 v[4:7], v1 offset0:105 offset1:106
	ds_read2_b64 v[8:11], v1 offset0:107 offset1:108
	;; [unrolled: 1-line block ×3, first 2 shown]
	ds_read_b64 v[16:17], v1 offset:888
	s_waitcnt vmcnt(15)
	v_mov_b32_e32 v22, v27
	v_pk_mul_f32 v[22:23], v[18:19], v[22:23] op_sel_hi:[1,0]
	s_waitcnt vmcnt(14)
	v_pk_fma_f32 v[24:25], v[18:19], v[26:27], v[22:23] op_sel:[0,0,1] op_sel_hi:[1,1,0] neg_lo:[0,0,1] neg_hi:[0,0,1]
	v_pk_fma_f32 v[18:19], v[18:19], v[26:27], v[22:23] op_sel:[0,0,1] op_sel_hi:[1,0,0]
	v_mov_b32_e32 v25, v19
	v_pk_add_f32 v[18:19], v[20:21], v[24:25]
	s_waitcnt vmcnt(13)
	v_mov_b32_e32 v20, v29
	s_waitcnt lgkmcnt(3)
	v_pk_mul_f32 v[20:21], v[4:5], v[20:21] op_sel_hi:[1,0]
	s_waitcnt vmcnt(12)
	v_pk_fma_f32 v[22:23], v[4:5], v[28:29], v[20:21] op_sel:[0,0,1] op_sel_hi:[1,1,0] neg_lo:[0,0,1] neg_hi:[0,0,1]
	v_pk_fma_f32 v[4:5], v[4:5], v[28:29], v[20:21] op_sel:[0,0,1] op_sel_hi:[1,0,0]
	v_mov_b32_e32 v23, v5
	v_pk_add_f32 v[4:5], v[18:19], v[22:23]
	s_waitcnt vmcnt(11)
	v_mov_b32_e32 v18, v31
	v_pk_mul_f32 v[18:19], v[6:7], v[18:19] op_sel_hi:[1,0]
	s_waitcnt vmcnt(10)
	v_pk_fma_f32 v[20:21], v[6:7], v[30:31], v[18:19] op_sel:[0,0,1] op_sel_hi:[1,1,0] neg_lo:[0,0,1] neg_hi:[0,0,1]
	v_pk_fma_f32 v[6:7], v[6:7], v[30:31], v[18:19] op_sel:[0,0,1] op_sel_hi:[1,0,0]
	s_waitcnt vmcnt(9)
	v_mov_b32_e32 v6, v33
	v_mov_b32_e32 v21, v7
	s_waitcnt lgkmcnt(2)
	v_pk_mul_f32 v[6:7], v[8:9], v[6:7] op_sel_hi:[1,0]
	s_waitcnt vmcnt(8)
	v_pk_fma_f32 v[18:19], v[8:9], v[32:33], v[6:7] op_sel:[0,0,1] op_sel_hi:[1,1,0] neg_lo:[0,0,1] neg_hi:[0,0,1]
	v_pk_fma_f32 v[6:7], v[8:9], v[32:33], v[6:7] op_sel:[0,0,1] op_sel_hi:[1,0,0]
	s_waitcnt vmcnt(7)
	v_mov_b32_e32 v6, v35
	v_mov_b32_e32 v19, v7
	v_pk_mul_f32 v[6:7], v[10:11], v[6:7] op_sel_hi:[1,0]
	s_waitcnt vmcnt(6)
	v_pk_fma_f32 v[8:9], v[10:11], v[34:35], v[6:7] op_sel:[0,0,1] op_sel_hi:[1,1,0] neg_lo:[0,0,1] neg_hi:[0,0,1]
	v_pk_fma_f32 v[6:7], v[10:11], v[34:35], v[6:7] op_sel:[0,0,1] op_sel_hi:[1,0,0]
	v_pk_add_f32 v[4:5], v[4:5], v[20:21]
	s_waitcnt vmcnt(5)
	v_mov_b32_e32 v6, v37
	v_pk_add_f32 v[4:5], v[4:5], v[18:19]
	v_mov_b32_e32 v9, v7
	s_waitcnt lgkmcnt(1)
	v_pk_mul_f32 v[6:7], v[12:13], v[6:7] op_sel_hi:[1,0]
	v_pk_add_f32 v[4:5], v[4:5], v[8:9]
	s_waitcnt vmcnt(4)
	v_pk_fma_f32 v[8:9], v[12:13], v[36:37], v[6:7] op_sel:[0,0,1] op_sel_hi:[1,1,0] neg_lo:[0,0,1] neg_hi:[0,0,1]
	v_pk_fma_f32 v[6:7], v[12:13], v[36:37], v[6:7] op_sel:[0,0,1] op_sel_hi:[1,0,0]
	s_waitcnt vmcnt(3)
	v_mov_b32_e32 v6, v39
	v_mov_b32_e32 v9, v7
	v_pk_mul_f32 v[6:7], v[14:15], v[6:7] op_sel_hi:[1,0]
	v_pk_add_f32 v[4:5], v[4:5], v[8:9]
	s_waitcnt vmcnt(2)
	v_pk_fma_f32 v[8:9], v[14:15], v[38:39], v[6:7] op_sel:[0,0,1] op_sel_hi:[1,1,0] neg_lo:[0,0,1] neg_hi:[0,0,1]
	v_pk_fma_f32 v[6:7], v[14:15], v[38:39], v[6:7] op_sel:[0,0,1] op_sel_hi:[1,0,0]
	s_waitcnt vmcnt(1)
	v_mov_b32_e32 v6, v41
	v_mov_b32_e32 v9, v7
	s_waitcnt lgkmcnt(0)
	v_pk_mul_f32 v[6:7], v[16:17], v[6:7] op_sel_hi:[1,0]
	v_pk_add_f32 v[4:5], v[4:5], v[8:9]
	s_waitcnt vmcnt(0)
	v_pk_fma_f32 v[8:9], v[16:17], v[40:41], v[6:7] op_sel:[0,0,1] op_sel_hi:[1,1,0] neg_lo:[0,0,1] neg_hi:[0,0,1]
	v_pk_fma_f32 v[6:7], v[16:17], v[40:41], v[6:7] op_sel:[0,0,1] op_sel_hi:[1,0,0]
	v_mov_b32_e32 v9, v7
	v_pk_add_f32 v[4:5], v[4:5], v[8:9]
	v_pk_add_f32 v[2:3], v[2:3], v[4:5] neg_lo:[0,1] neg_hi:[0,1]
	buffer_store_dword v3, off, s[0:3], 0 offset:324
	buffer_store_dword v2, off, s[0:3], 0 offset:320
	s_and_saveexec_b64 s[4:5], vcc
	s_cbranch_execz .LBB119_271
; %bb.270:
	buffer_load_dword v2, off, s[0:3], 0 offset:312
	buffer_load_dword v3, off, s[0:3], 0 offset:316
	s_waitcnt vmcnt(0)
	ds_write_b64 v161, v[2:3]
	buffer_store_dword v1, off, s[0:3], 0 offset:312
	buffer_store_dword v1, off, s[0:3], 0 offset:316
.LBB119_271:
	s_or_b64 exec, exec, s[4:5]
	s_waitcnt lgkmcnt(0)
	; wave barrier
	s_waitcnt lgkmcnt(0)
	buffer_load_dword v52, off, s[0:3], 0 offset:324
	buffer_load_dword v54, off, s[0:3], 0 offset:332
	;; [unrolled: 1-line block ×32, first 2 shown]
	ds_read_b128 v[2:5], v1 offset:768
	ds_read_b128 v[6:9], v1 offset:784
	ds_read_b128 v[10:13], v1 offset:800
	ds_read_b128 v[14:17], v1 offset:816
	buffer_load_dword v51, off, s[0:3], 0 offset:444
	buffer_load_dword v50, off, s[0:3], 0 offset:440
	ds_read_b128 v[18:21], v1 offset:832
	ds_read_b128 v[22:25], v1 offset:848
	;; [unrolled: 1-line block ×4, first 2 shown]
	v_cmp_lt_u32_e32 vcc, 38, v0
	s_waitcnt vmcnt(33) lgkmcnt(7)
	v_mul_f32_e32 v1, v2, v52
	v_mul_f32_e32 v52, v3, v52
	s_waitcnt vmcnt(32)
	v_mul_f32_e32 v70, v4, v54
	v_mul_f32_e32 v54, v5, v54
	s_waitcnt vmcnt(31) lgkmcnt(6)
	v_mul_f32_e32 v71, v6, v56
	v_mul_f32_e32 v56, v7, v56
	s_waitcnt vmcnt(30)
	v_mul_f32_e32 v72, v8, v57
	v_mul_f32_e32 v57, v9, v57
	s_waitcnt vmcnt(25)
	v_fmac_f32_e32 v1, v3, v62
	v_fma_f32 v2, v2, v62, -v52
	s_waitcnt vmcnt(24)
	v_fmac_f32_e32 v70, v5, v63
	v_fma_f32 v3, v4, v63, -v54
	v_add_f32_e32 v1, 0, v1
	v_add_f32_e32 v2, 0, v2
	s_waitcnt vmcnt(23)
	v_fmac_f32_e32 v71, v7, v64
	v_fma_f32 v4, v6, v64, -v56
	v_add_f32_e32 v1, v1, v70
	v_add_f32_e32 v2, v2, v3
	s_waitcnt lgkmcnt(5)
	v_mul_f32_e32 v73, v10, v58
	v_mul_f32_e32 v58, v11, v58
	s_waitcnt vmcnt(22)
	v_fmac_f32_e32 v72, v9, v65
	v_fma_f32 v5, v8, v65, -v57
	v_add_f32_e32 v1, v1, v71
	v_add_f32_e32 v2, v2, v4
	v_mul_f32_e32 v74, v12, v59
	v_mul_f32_e32 v59, v13, v59
	s_waitcnt vmcnt(21)
	v_fmac_f32_e32 v73, v11, v66
	v_fma_f32 v6, v10, v66, -v58
	v_add_f32_e32 v1, v1, v72
	v_add_f32_e32 v2, v2, v5
	s_waitcnt vmcnt(17)
	v_mov_b32_e32 v4, v35
	s_waitcnt lgkmcnt(4)
	v_mul_f32_e32 v53, v14, v60
	v_mul_f32_e32 v60, v15, v60
	v_fmac_f32_e32 v74, v13, v67
	v_fma_f32 v7, v12, v67, -v59
	v_add_f32_e32 v1, v1, v73
	v_add_f32_e32 v2, v2, v6
	s_waitcnt lgkmcnt(3)
	v_pk_mul_f32 v[4:5], v[18:19], v[4:5] op_sel_hi:[1,0]
	v_mul_f32_e32 v55, v16, v61
	v_mul_f32_e32 v61, v17, v61
	v_fmac_f32_e32 v53, v15, v68
	v_fma_f32 v52, v14, v68, -v60
	v_add_f32_e32 v3, v1, v74
	v_add_f32_e32 v2, v2, v7
	s_waitcnt vmcnt(14)
	v_pk_fma_f32 v[6:7], v[18:19], v[34:35], v[4:5] op_sel:[0,0,1] op_sel_hi:[1,1,0] neg_lo:[0,0,1] neg_hi:[0,0,1]
	v_pk_fma_f32 v[4:5], v[18:19], v[34:35], v[4:5] op_sel:[0,0,1] op_sel_hi:[1,0,0]
	v_fmac_f32_e32 v55, v17, v69
	v_fma_f32 v54, v16, v69, -v61
	v_pk_add_f32 v[2:3], v[2:3], v[52:53]
	s_waitcnt vmcnt(13)
	v_mov_b32_e32 v4, v39
	v_pk_add_f32 v[2:3], v[2:3], v[54:55]
	v_mov_b32_e32 v7, v5
	v_pk_mul_f32 v[4:5], v[20:21], v[4:5] op_sel_hi:[1,0]
	v_pk_add_f32 v[2:3], v[2:3], v[6:7]
	v_pk_fma_f32 v[6:7], v[20:21], v[38:39], v[4:5] op_sel:[0,0,1] op_sel_hi:[1,1,0] neg_lo:[0,0,1] neg_hi:[0,0,1]
	v_pk_fma_f32 v[4:5], v[20:21], v[38:39], v[4:5] op_sel:[0,0,1] op_sel_hi:[1,0,0]
	s_waitcnt vmcnt(12)
	v_mov_b32_e32 v4, v37
	v_mov_b32_e32 v7, v5
	s_waitcnt lgkmcnt(2)
	v_pk_mul_f32 v[4:5], v[22:23], v[4:5] op_sel_hi:[1,0]
	v_pk_add_f32 v[2:3], v[2:3], v[6:7]
	v_pk_fma_f32 v[6:7], v[22:23], v[36:37], v[4:5] op_sel:[0,0,1] op_sel_hi:[1,1,0] neg_lo:[0,0,1] neg_hi:[0,0,1]
	v_pk_fma_f32 v[4:5], v[22:23], v[36:37], v[4:5] op_sel:[0,0,1] op_sel_hi:[1,0,0]
	s_waitcnt vmcnt(11)
	v_mov_b32_e32 v4, v41
	v_mov_b32_e32 v7, v5
	v_pk_mul_f32 v[4:5], v[24:25], v[4:5] op_sel_hi:[1,0]
	v_pk_add_f32 v[2:3], v[2:3], v[6:7]
	s_waitcnt vmcnt(5)
	v_pk_fma_f32 v[6:7], v[24:25], v[40:41], v[4:5] op_sel:[0,0,1] op_sel_hi:[1,1,0] neg_lo:[0,0,1] neg_hi:[0,0,1]
	v_pk_fma_f32 v[4:5], v[24:25], v[40:41], v[4:5] op_sel:[0,0,1] op_sel_hi:[1,0,0]
	v_mov_b32_e32 v4, v47
	v_mov_b32_e32 v7, v5
	s_waitcnt lgkmcnt(1)
	v_pk_mul_f32 v[4:5], v[26:27], v[4:5] op_sel_hi:[1,0]
	v_pk_add_f32 v[2:3], v[2:3], v[6:7]
	v_pk_fma_f32 v[6:7], v[26:27], v[46:47], v[4:5] op_sel:[0,0,1] op_sel_hi:[1,1,0] neg_lo:[0,0,1] neg_hi:[0,0,1]
	v_pk_fma_f32 v[4:5], v[26:27], v[46:47], v[4:5] op_sel:[0,0,1] op_sel_hi:[1,0,0]
	v_mov_b32_e32 v4, v45
	v_mov_b32_e32 v7, v5
	v_pk_mul_f32 v[4:5], v[28:29], v[4:5] op_sel_hi:[1,0]
	v_pk_add_f32 v[2:3], v[2:3], v[6:7]
	v_pk_fma_f32 v[6:7], v[28:29], v[44:45], v[4:5] op_sel:[0,0,1] op_sel_hi:[1,1,0] neg_lo:[0,0,1] neg_hi:[0,0,1]
	v_pk_fma_f32 v[4:5], v[28:29], v[44:45], v[4:5] op_sel:[0,0,1] op_sel_hi:[1,0,0]
	s_waitcnt vmcnt(2)
	v_mov_b32_e32 v4, v43
	v_mov_b32_e32 v7, v5
	s_waitcnt lgkmcnt(0)
	v_pk_mul_f32 v[4:5], v[30:31], v[4:5] op_sel_hi:[1,0]
	v_pk_add_f32 v[2:3], v[2:3], v[6:7]
	v_pk_fma_f32 v[6:7], v[30:31], v[42:43], v[4:5] op_sel:[0,0,1] op_sel_hi:[1,1,0] neg_lo:[0,0,1] neg_hi:[0,0,1]
	v_pk_fma_f32 v[4:5], v[30:31], v[42:43], v[4:5] op_sel:[0,0,1] op_sel_hi:[1,0,0]
	s_waitcnt vmcnt(1)
	v_mov_b32_e32 v4, v51
	v_mov_b32_e32 v7, v5
	v_pk_mul_f32 v[4:5], v[32:33], v[4:5] op_sel_hi:[1,0]
	v_pk_add_f32 v[2:3], v[2:3], v[6:7]
	s_waitcnt vmcnt(0)
	v_pk_fma_f32 v[6:7], v[32:33], v[50:51], v[4:5] op_sel:[0,0,1] op_sel_hi:[1,1,0] neg_lo:[0,0,1] neg_hi:[0,0,1]
	v_pk_fma_f32 v[4:5], v[32:33], v[50:51], v[4:5] op_sel:[0,0,1] op_sel_hi:[1,0,0]
	v_mov_b32_e32 v7, v5
	v_pk_add_f32 v[2:3], v[2:3], v[6:7]
	v_pk_add_f32 v[2:3], v[48:49], v[2:3] neg_lo:[0,1] neg_hi:[0,1]
	buffer_store_dword v3, off, s[0:3], 0 offset:316
	buffer_store_dword v2, off, s[0:3], 0 offset:312
	s_and_saveexec_b64 s[4:5], vcc
	s_cbranch_execz .LBB119_273
; %bb.272:
	buffer_load_dword v2, off, s[0:3], 0 offset:304
	buffer_load_dword v3, off, s[0:3], 0 offset:308
	v_mov_b32_e32 v1, 0
	buffer_store_dword v1, off, s[0:3], 0 offset:304
	buffer_store_dword v1, off, s[0:3], 0 offset:308
	s_waitcnt vmcnt(2)
	ds_write_b64 v161, v[2:3]
.LBB119_273:
	s_or_b64 exec, exec, s[4:5]
	s_waitcnt lgkmcnt(0)
	; wave barrier
	s_waitcnt lgkmcnt(0)
	buffer_load_dword v44, off, s[0:3], 0 offset:316
	buffer_load_dword v46, off, s[0:3], 0 offset:324
	;; [unrolled: 1-line block ×36, first 2 shown]
	v_mov_b32_e32 v1, 0
	ds_read2_b64 v[2:5], v1 offset0:95 offset1:96
	ds_read2_b64 v[6:9], v1 offset0:97 offset1:98
	;; [unrolled: 1-line block ×6, first 2 shown]
	v_cmp_lt_u32_e32 vcc, 37, v0
	s_waitcnt vmcnt(35) lgkmcnt(5)
	v_mul_f32_e32 v64, v2, v44
	s_waitcnt vmcnt(34)
	v_mul_f32_e32 v65, v4, v46
	v_mul_f32_e32 v44, v3, v44
	s_waitcnt vmcnt(32) lgkmcnt(4)
	v_mul_f32_e32 v67, v8, v49
	v_mul_f32_e32 v49, v9, v49
	;; [unrolled: 1-line block ×5, first 2 shown]
	s_waitcnt vmcnt(31) lgkmcnt(3)
	v_mul_f32_e32 v68, v10, v50
	s_waitcnt vmcnt(26)
	v_fmac_f32_e32 v64, v3, v55
	s_waitcnt vmcnt(25)
	v_fmac_f32_e32 v65, v5, v56
	v_fma_f32 v2, v2, v55, -v44
	s_waitcnt vmcnt(23)
	v_fma_f32 v5, v8, v58, -v49
	v_add_f32_e32 v8, 0, v64
	v_fmac_f32_e32 v66, v7, v57
	v_fma_f32 v3, v4, v56, -v46
	v_add_f32_e32 v2, 0, v2
	v_add_f32_e32 v8, v8, v65
	v_fmac_f32_e32 v67, v9, v58
	v_fma_f32 v4, v6, v57, -v48
	v_add_f32_e32 v2, v2, v3
	v_add_f32_e32 v3, v8, v66
	v_mul_f32_e32 v69, v12, v51
	v_mul_f32_e32 v50, v11, v50
	s_waitcnt vmcnt(22)
	v_fmac_f32_e32 v68, v11, v59
	v_add_f32_e32 v2, v2, v4
	v_add_f32_e32 v3, v3, v67
	s_waitcnt lgkmcnt(2)
	v_mul_f32_e32 v70, v14, v52
	v_mul_f32_e32 v51, v13, v51
	s_waitcnt vmcnt(21)
	v_fmac_f32_e32 v69, v13, v60
	v_fma_f32 v6, v10, v59, -v50
	v_add_f32_e32 v2, v2, v5
	v_add_f32_e32 v3, v3, v68
	v_mul_f32_e32 v52, v15, v52
	s_waitcnt vmcnt(20)
	v_fmac_f32_e32 v70, v15, v61
	v_fma_f32 v7, v12, v60, -v51
	v_add_f32_e32 v2, v2, v6
	v_add_f32_e32 v3, v3, v69
	;; [unrolled: 1-line block ×4, first 2 shown]
	v_fma_f32 v3, v14, v61, -v52
	s_waitcnt vmcnt(17)
	v_mov_b32_e32 v14, v27
	v_mul_f32_e32 v45, v16, v53
	v_add_f32_e32 v10, v2, v3
	v_mul_f32_e32 v2, v17, v53
	s_waitcnt lgkmcnt(1)
	v_pk_mul_f32 v[14:15], v[20:21], v[14:15] op_sel_hi:[1,0]
	v_mul_f32_e32 v47, v18, v54
	v_fmac_f32_e32 v45, v17, v62
	v_fma_f32 v44, v16, v62, -v2
	v_mul_f32_e32 v2, v19, v54
	s_waitcnt vmcnt(15)
	v_pk_fma_f32 v[16:17], v[20:21], v[26:27], v[14:15] op_sel:[0,0,1] op_sel_hi:[1,1,0] neg_lo:[0,0,1] neg_hi:[0,0,1]
	v_pk_fma_f32 v[14:15], v[20:21], v[26:27], v[14:15] op_sel:[0,0,1] op_sel_hi:[1,0,0]
	v_fmac_f32_e32 v47, v19, v63
	v_fma_f32 v46, v18, v63, -v2
	v_pk_add_f32 v[10:11], v[10:11], v[44:45]
	s_waitcnt vmcnt(12)
	v_mov_b32_e32 v14, v29
	v_pk_add_f32 v[10:11], v[10:11], v[46:47]
	v_mov_b32_e32 v17, v15
	s_waitcnt lgkmcnt(0)
	v_pk_mul_f32 v[14:15], v[22:23], v[14:15] op_sel_hi:[1,0]
	v_pk_add_f32 v[10:11], v[10:11], v[16:17]
	v_pk_fma_f32 v[16:17], v[22:23], v[28:29], v[14:15] op_sel:[0,0,1] op_sel_hi:[1,1,0] neg_lo:[0,0,1] neg_hi:[0,0,1]
	v_pk_fma_f32 v[14:15], v[22:23], v[28:29], v[14:15] op_sel:[0,0,1] op_sel_hi:[1,0,0]
	s_waitcnt vmcnt(11)
	v_mov_b32_e32 v14, v33
	ds_read2_b64 v[2:5], v1 offset0:107 offset1:108
	ds_read2_b64 v[6:9], v1 offset0:109 offset1:110
	ds_read_b64 v[12:13], v1 offset:888
	v_mov_b32_e32 v17, v15
	v_pk_mul_f32 v[14:15], v[24:25], v[14:15] op_sel_hi:[1,0]
	v_pk_add_f32 v[10:11], v[10:11], v[16:17]
	s_waitcnt vmcnt(4)
	v_pk_fma_f32 v[16:17], v[24:25], v[32:33], v[14:15] op_sel:[0,0,1] op_sel_hi:[1,1,0] neg_lo:[0,0,1] neg_hi:[0,0,1]
	v_pk_fma_f32 v[14:15], v[24:25], v[32:33], v[14:15] op_sel:[0,0,1] op_sel_hi:[1,0,0]
	v_mov_b32_e32 v14, v39
	v_mov_b32_e32 v17, v15
	s_waitcnt lgkmcnt(2)
	v_pk_mul_f32 v[14:15], v[2:3], v[14:15] op_sel_hi:[1,0]
	v_pk_add_f32 v[10:11], v[10:11], v[16:17]
	v_pk_fma_f32 v[16:17], v[2:3], v[38:39], v[14:15] op_sel:[0,0,1] op_sel_hi:[1,1,0] neg_lo:[0,0,1] neg_hi:[0,0,1]
	v_pk_fma_f32 v[2:3], v[2:3], v[38:39], v[14:15] op_sel:[0,0,1] op_sel_hi:[1,0,0]
	v_mov_b32_e32 v17, v3
	v_pk_add_f32 v[2:3], v[10:11], v[16:17]
	v_mov_b32_e32 v10, v37
	v_pk_mul_f32 v[10:11], v[4:5], v[10:11] op_sel_hi:[1,0]
	v_pk_fma_f32 v[14:15], v[4:5], v[36:37], v[10:11] op_sel:[0,0,1] op_sel_hi:[1,1,0] neg_lo:[0,0,1] neg_hi:[0,0,1]
	v_pk_fma_f32 v[4:5], v[4:5], v[36:37], v[10:11] op_sel:[0,0,1] op_sel_hi:[1,0,0]
	v_mov_b32_e32 v4, v35
	v_mov_b32_e32 v15, v5
	s_waitcnt lgkmcnt(1)
	v_pk_mul_f32 v[4:5], v[6:7], v[4:5] op_sel_hi:[1,0]
	v_pk_fma_f32 v[10:11], v[6:7], v[34:35], v[4:5] op_sel:[0,0,1] op_sel_hi:[1,1,0] neg_lo:[0,0,1] neg_hi:[0,0,1]
	v_pk_fma_f32 v[4:5], v[6:7], v[34:35], v[4:5] op_sel:[0,0,1] op_sel_hi:[1,0,0]
	s_waitcnt vmcnt(1)
	v_mov_b32_e32 v4, v43
	v_mov_b32_e32 v11, v5
	v_pk_mul_f32 v[4:5], v[8:9], v[4:5] op_sel_hi:[1,0]
	s_waitcnt vmcnt(0)
	v_pk_fma_f32 v[6:7], v[8:9], v[42:43], v[4:5] op_sel:[0,0,1] op_sel_hi:[1,1,0] neg_lo:[0,0,1] neg_hi:[0,0,1]
	v_pk_fma_f32 v[4:5], v[8:9], v[42:43], v[4:5] op_sel:[0,0,1] op_sel_hi:[1,0,0]
	v_pk_add_f32 v[2:3], v[2:3], v[14:15]
	v_mov_b32_e32 v4, v41
	v_pk_add_f32 v[2:3], v[2:3], v[10:11]
	v_mov_b32_e32 v7, v5
	s_waitcnt lgkmcnt(0)
	v_pk_mul_f32 v[4:5], v[12:13], v[4:5] op_sel_hi:[1,0]
	v_pk_add_f32 v[2:3], v[2:3], v[6:7]
	v_pk_fma_f32 v[6:7], v[12:13], v[40:41], v[4:5] op_sel:[0,0,1] op_sel_hi:[1,1,0] neg_lo:[0,0,1] neg_hi:[0,0,1]
	v_pk_fma_f32 v[4:5], v[12:13], v[40:41], v[4:5] op_sel:[0,0,1] op_sel_hi:[1,0,0]
	v_mov_b32_e32 v7, v5
	v_pk_add_f32 v[2:3], v[2:3], v[6:7]
	v_pk_add_f32 v[2:3], v[30:31], v[2:3] neg_lo:[0,1] neg_hi:[0,1]
	buffer_store_dword v3, off, s[0:3], 0 offset:308
	buffer_store_dword v2, off, s[0:3], 0 offset:304
	s_and_saveexec_b64 s[4:5], vcc
	s_cbranch_execz .LBB119_275
; %bb.274:
	buffer_load_dword v2, off, s[0:3], 0 offset:296
	buffer_load_dword v3, off, s[0:3], 0 offset:300
	s_waitcnt vmcnt(0)
	ds_write_b64 v161, v[2:3]
	buffer_store_dword v1, off, s[0:3], 0 offset:296
	buffer_store_dword v1, off, s[0:3], 0 offset:300
.LBB119_275:
	s_or_b64 exec, exec, s[4:5]
	s_waitcnt lgkmcnt(0)
	; wave barrier
	s_waitcnt lgkmcnt(0)
	buffer_load_dword v44, off, s[0:3], 0 offset:308
	buffer_load_dword v46, off, s[0:3], 0 offset:316
	;; [unrolled: 1-line block ×22, first 2 shown]
	ds_read_b128 v[2:5], v1 offset:752
	ds_read_b128 v[6:9], v1 offset:768
	buffer_load_dword v29, off, s[0:3], 0 offset:388
	buffer_load_dword v28, off, s[0:3], 0 offset:384
	;; [unrolled: 1-line block ×10, first 2 shown]
	ds_read_b128 v[10:13], v1 offset:784
	ds_read_b128 v[14:17], v1 offset:800
	;; [unrolled: 1-line block ×4, first 2 shown]
	buffer_load_dword v39, off, s[0:3], 0 offset:444
	buffer_load_dword v38, off, s[0:3], 0 offset:440
	;; [unrolled: 1-line block ×6, first 2 shown]
	v_cmp_lt_u32_e32 vcc, 36, v0
	s_waitcnt vmcnt(37) lgkmcnt(5)
	v_mul_f32_e32 v66, v2, v44
	s_waitcnt vmcnt(36)
	v_mul_f32_e32 v67, v4, v46
	s_waitcnt vmcnt(35) lgkmcnt(4)
	v_mul_f32_e32 v68, v6, v48
	v_mul_f32_e32 v44, v3, v44
	;; [unrolled: 1-line block ×4, first 2 shown]
	s_waitcnt vmcnt(34)
	v_mul_f32_e32 v69, v8, v49
	s_waitcnt vmcnt(33) lgkmcnt(3)
	v_mul_f32_e32 v70, v10, v50
	s_waitcnt vmcnt(32)
	v_mul_f32_e32 v71, v12, v51
	s_waitcnt vmcnt(31) lgkmcnt(2)
	v_mul_f32_e32 v72, v14, v52
	s_waitcnt vmcnt(27)
	v_fmac_f32_e32 v66, v3, v56
	s_waitcnt vmcnt(26)
	v_fmac_f32_e32 v67, v5, v57
	s_waitcnt vmcnt(25)
	v_fmac_f32_e32 v68, v7, v58
	v_fma_f32 v2, v2, v56, -v44
	v_add_f32_e32 v7, 0, v66
	v_fma_f32 v3, v4, v57, -v46
	v_add_f32_e32 v2, 0, v2
	v_add_f32_e32 v7, v7, v67
	s_waitcnt vmcnt(24)
	v_fmac_f32_e32 v69, v9, v59
	v_add_f32_e32 v2, v2, v3
	v_add_f32_e32 v3, v7, v68
	s_waitcnt vmcnt(23)
	v_fmac_f32_e32 v70, v11, v60
	v_add_f32_e32 v3, v3, v69
	v_mul_f32_e32 v49, v9, v49
	s_waitcnt vmcnt(22)
	v_fmac_f32_e32 v71, v13, v61
	v_fma_f32 v4, v6, v58, -v48
	v_add_f32_e32 v3, v3, v70
	v_mul_f32_e32 v73, v16, v53
	v_mul_f32_e32 v50, v11, v50
	s_waitcnt vmcnt(21)
	v_fmac_f32_e32 v72, v15, v62
	v_fma_f32 v5, v8, v59, -v49
	v_add_f32_e32 v2, v2, v4
	v_add_f32_e32 v3, v3, v71
	v_mul_f32_e32 v51, v13, v51
	s_waitcnt vmcnt(20)
	v_fmac_f32_e32 v73, v17, v63
	v_fma_f32 v6, v10, v60, -v50
	v_add_f32_e32 v2, v2, v5
	v_add_f32_e32 v3, v3, v72
	;; [unrolled: 1-line block ×4, first 2 shown]
	v_fma_f32 v3, v12, v61, -v51
	v_add_f32_e32 v2, v2, v3
	v_mul_f32_e32 v3, v15, v52
	v_fma_f32 v3, v14, v62, -v3
	v_add_f32_e32 v2, v2, v3
	v_mul_f32_e32 v3, v17, v53
	v_fma_f32 v3, v16, v63, -v3
	s_waitcnt vmcnt(15)
	v_mov_b32_e32 v16, v29
	s_waitcnt lgkmcnt(1)
	v_mul_f32_e32 v45, v18, v54
	v_add_f32_e32 v48, v2, v3
	v_mul_f32_e32 v2, v19, v54
	s_waitcnt lgkmcnt(0)
	v_pk_mul_f32 v[16:17], v[22:23], v[16:17] op_sel_hi:[1,0]
	v_mul_f32_e32 v47, v20, v55
	v_fmac_f32_e32 v45, v19, v64
	v_fma_f32 v44, v18, v64, -v2
	v_mul_f32_e32 v2, v21, v55
	s_waitcnt vmcnt(14)
	v_pk_fma_f32 v[18:19], v[22:23], v[28:29], v[16:17] op_sel:[0,0,1] op_sel_hi:[1,1,0] neg_lo:[0,0,1] neg_hi:[0,0,1]
	v_pk_fma_f32 v[16:17], v[22:23], v[28:29], v[16:17] op_sel:[0,0,1] op_sel_hi:[1,0,0]
	v_fmac_f32_e32 v47, v21, v65
	v_fma_f32 v46, v20, v65, -v2
	v_pk_add_f32 v[14:15], v[48:49], v[44:45]
	s_waitcnt vmcnt(13)
	v_mov_b32_e32 v16, v31
	ds_read_b128 v[2:5], v1 offset:848
	ds_read_b128 v[6:9], v1 offset:864
	;; [unrolled: 1-line block ×3, first 2 shown]
	v_pk_add_f32 v[14:15], v[14:15], v[46:47]
	v_mov_b32_e32 v19, v17
	v_pk_mul_f32 v[16:17], v[24:25], v[16:17] op_sel_hi:[1,0]
	v_pk_add_f32 v[14:15], v[14:15], v[18:19]
	s_waitcnt vmcnt(6)
	v_pk_fma_f32 v[18:19], v[24:25], v[30:31], v[16:17] op_sel:[0,0,1] op_sel_hi:[1,1,0] neg_lo:[0,0,1] neg_hi:[0,0,1]
	v_pk_fma_f32 v[16:17], v[24:25], v[30:31], v[16:17] op_sel:[0,0,1] op_sel_hi:[1,0,0]
	v_mov_b32_e32 v16, v37
	v_mov_b32_e32 v19, v17
	s_waitcnt lgkmcnt(2)
	v_pk_mul_f32 v[16:17], v[2:3], v[16:17] op_sel_hi:[1,0]
	v_pk_add_f32 v[14:15], v[14:15], v[18:19]
	v_pk_fma_f32 v[18:19], v[2:3], v[36:37], v[16:17] op_sel:[0,0,1] op_sel_hi:[1,1,0] neg_lo:[0,0,1] neg_hi:[0,0,1]
	v_pk_fma_f32 v[2:3], v[2:3], v[36:37], v[16:17] op_sel:[0,0,1] op_sel_hi:[1,0,0]
	v_mov_b32_e32 v19, v3
	v_pk_add_f32 v[2:3], v[14:15], v[18:19]
	v_mov_b32_e32 v14, v35
	v_pk_mul_f32 v[14:15], v[4:5], v[14:15] op_sel_hi:[1,0]
	v_pk_fma_f32 v[16:17], v[4:5], v[34:35], v[14:15] op_sel:[0,0,1] op_sel_hi:[1,1,0] neg_lo:[0,0,1] neg_hi:[0,0,1]
	v_pk_fma_f32 v[4:5], v[4:5], v[34:35], v[14:15] op_sel:[0,0,1] op_sel_hi:[1,0,0]
	v_mov_b32_e32 v4, v33
	v_mov_b32_e32 v17, v5
	s_waitcnt lgkmcnt(1)
	v_pk_mul_f32 v[4:5], v[6:7], v[4:5] op_sel_hi:[1,0]
	v_pk_fma_f32 v[14:15], v[6:7], v[32:33], v[4:5] op_sel:[0,0,1] op_sel_hi:[1,1,0] neg_lo:[0,0,1] neg_hi:[0,0,1]
	v_pk_fma_f32 v[4:5], v[6:7], v[32:33], v[4:5] op_sel:[0,0,1] op_sel_hi:[1,0,0]
	s_waitcnt vmcnt(1)
	v_mov_b32_e32 v4, v43
	v_mov_b32_e32 v15, v5
	v_pk_mul_f32 v[4:5], v[8:9], v[4:5] op_sel_hi:[1,0]
	s_waitcnt vmcnt(0)
	v_pk_fma_f32 v[6:7], v[8:9], v[42:43], v[4:5] op_sel:[0,0,1] op_sel_hi:[1,1,0] neg_lo:[0,0,1] neg_hi:[0,0,1]
	v_pk_fma_f32 v[4:5], v[8:9], v[42:43], v[4:5] op_sel:[0,0,1] op_sel_hi:[1,0,0]
	v_pk_add_f32 v[2:3], v[2:3], v[16:17]
	v_mov_b32_e32 v4, v41
	v_pk_add_f32 v[2:3], v[2:3], v[14:15]
	v_mov_b32_e32 v7, v5
	s_waitcnt lgkmcnt(0)
	v_pk_mul_f32 v[4:5], v[10:11], v[4:5] op_sel_hi:[1,0]
	v_pk_add_f32 v[2:3], v[2:3], v[6:7]
	v_pk_fma_f32 v[6:7], v[10:11], v[40:41], v[4:5] op_sel:[0,0,1] op_sel_hi:[1,1,0] neg_lo:[0,0,1] neg_hi:[0,0,1]
	v_pk_fma_f32 v[4:5], v[10:11], v[40:41], v[4:5] op_sel:[0,0,1] op_sel_hi:[1,0,0]
	v_mov_b32_e32 v4, v39
	v_mov_b32_e32 v7, v5
	v_pk_mul_f32 v[4:5], v[12:13], v[4:5] op_sel_hi:[1,0]
	v_pk_add_f32 v[2:3], v[2:3], v[6:7]
	v_pk_fma_f32 v[6:7], v[12:13], v[38:39], v[4:5] op_sel:[0,0,1] op_sel_hi:[1,1,0] neg_lo:[0,0,1] neg_hi:[0,0,1]
	v_pk_fma_f32 v[4:5], v[12:13], v[38:39], v[4:5] op_sel:[0,0,1] op_sel_hi:[1,0,0]
	v_mov_b32_e32 v7, v5
	v_pk_add_f32 v[2:3], v[2:3], v[6:7]
	v_pk_add_f32 v[2:3], v[26:27], v[2:3] neg_lo:[0,1] neg_hi:[0,1]
	buffer_store_dword v3, off, s[0:3], 0 offset:300
	buffer_store_dword v2, off, s[0:3], 0 offset:296
	s_and_saveexec_b64 s[4:5], vcc
	s_cbranch_execz .LBB119_277
; %bb.276:
	buffer_load_dword v2, off, s[0:3], 0 offset:288
	buffer_load_dword v3, off, s[0:3], 0 offset:292
	v_mov_b32_e32 v1, 0
	buffer_store_dword v1, off, s[0:3], 0 offset:288
	buffer_store_dword v1, off, s[0:3], 0 offset:292
	s_waitcnt vmcnt(2)
	ds_write_b64 v161, v[2:3]
.LBB119_277:
	s_or_b64 exec, exec, s[4:5]
	s_waitcnt lgkmcnt(0)
	; wave barrier
	s_waitcnt lgkmcnt(0)
	buffer_load_dword v44, off, s[0:3], 0 offset:300
	buffer_load_dword v46, off, s[0:3], 0 offset:308
	;; [unrolled: 1-line block ×40, first 2 shown]
	v_mov_b32_e32 v1, 0
	ds_read2_b64 v[2:5], v1 offset0:93 offset1:94
	ds_read2_b64 v[6:9], v1 offset0:95 offset1:96
	;; [unrolled: 1-line block ×6, first 2 shown]
	v_cmp_lt_u32_e32 vcc, 35, v0
	s_waitcnt vmcnt(39) lgkmcnt(5)
	v_mul_f32_e32 v68, v2, v44
	s_waitcnt vmcnt(38)
	v_mul_f32_e32 v69, v4, v46
	s_waitcnt vmcnt(37) lgkmcnt(4)
	v_mul_f32_e32 v70, v6, v48
	v_mul_f32_e32 v44, v3, v44
	;; [unrolled: 1-line block ×4, first 2 shown]
	s_waitcnt vmcnt(36)
	v_mul_f32_e32 v71, v8, v49
	s_waitcnt vmcnt(35) lgkmcnt(3)
	v_mul_f32_e32 v72, v10, v50
	s_waitcnt vmcnt(34)
	v_mul_f32_e32 v73, v12, v51
	s_waitcnt vmcnt(33) lgkmcnt(2)
	v_mul_f32_e32 v74, v14, v52
	s_waitcnt vmcnt(32)
	v_mul_f32_e32 v75, v16, v53
	s_waitcnt vmcnt(28)
	v_fmac_f32_e32 v68, v3, v57
	s_waitcnt vmcnt(27)
	v_fmac_f32_e32 v69, v5, v58
	v_fma_f32 v2, v2, v57, -v44
	v_fma_f32 v3, v4, v58, -v46
	s_waitcnt vmcnt(26)
	v_fma_f32 v4, v6, v59, -v48
	v_add_f32_e32 v6, 0, v68
	v_fmac_f32_e32 v70, v7, v59
	v_add_f32_e32 v2, 0, v2
	v_add_f32_e32 v6, v6, v69
	s_waitcnt vmcnt(25)
	v_fmac_f32_e32 v71, v9, v60
	v_add_f32_e32 v2, v2, v3
	v_add_f32_e32 v3, v6, v70
	s_waitcnt vmcnt(24)
	v_fmac_f32_e32 v72, v11, v61
	v_add_f32_e32 v3, v3, v71
	s_waitcnt vmcnt(23)
	v_fmac_f32_e32 v73, v13, v62
	;; [unrolled: 3-line block ×3, first 2 shown]
	v_add_f32_e32 v3, v3, v73
	s_waitcnt lgkmcnt(1)
	v_mul_f32_e32 v76, v18, v54
	s_waitcnt vmcnt(21)
	v_fmac_f32_e32 v75, v17, v64
	v_add_f32_e32 v3, v3, v74
	v_mul_f32_e32 v49, v9, v49
	s_waitcnt vmcnt(20)
	v_fmac_f32_e32 v76, v19, v65
	v_add_f32_e32 v3, v3, v75
	v_fma_f32 v5, v8, v60, -v49
	v_add_f32_e32 v2, v2, v4
	v_add_f32_e32 v49, v3, v76
	v_mul_f32_e32 v3, v11, v50
	v_add_f32_e32 v2, v2, v5
	v_fma_f32 v3, v10, v61, -v3
	v_add_f32_e32 v2, v2, v3
	v_mul_f32_e32 v3, v13, v51
	v_fma_f32 v3, v12, v62, -v3
	v_add_f32_e32 v2, v2, v3
	v_mul_f32_e32 v3, v15, v52
	;; [unrolled: 3-line block ×5, first 2 shown]
	s_waitcnt vmcnt(9)
	v_mov_b32_e32 v18, v35
	v_mul_f32_e32 v45, v20, v55
	v_fma_f32 v44, v20, v66, -v2
	s_waitcnt lgkmcnt(0)
	v_mul_f32_e32 v2, v23, v56
	v_pk_mul_f32 v[18:19], v[24:25], v[18:19] op_sel_hi:[1,0]
	v_mul_f32_e32 v47, v22, v56
	v_fmac_f32_e32 v45, v21, v66
	v_fma_f32 v46, v22, v67, -v2
	ds_read2_b64 v[2:5], v1 offset0:105 offset1:106
	ds_read2_b64 v[6:9], v1 offset0:107 offset1:108
	;; [unrolled: 1-line block ×3, first 2 shown]
	ds_read_b64 v[14:15], v1 offset:888
	s_waitcnt vmcnt(8)
	v_pk_fma_f32 v[20:21], v[24:25], v[34:35], v[18:19] op_sel:[0,0,1] op_sel_hi:[1,1,0] neg_lo:[0,0,1] neg_hi:[0,0,1]
	v_pk_fma_f32 v[18:19], v[24:25], v[34:35], v[18:19] op_sel:[0,0,1] op_sel_hi:[1,0,0]
	v_fmac_f32_e32 v47, v23, v67
	v_pk_add_f32 v[16:17], v[48:49], v[44:45]
	v_mov_b32_e32 v18, v33
	v_pk_add_f32 v[16:17], v[16:17], v[46:47]
	v_mov_b32_e32 v21, v19
	s_waitcnt lgkmcnt(3)
	v_pk_mul_f32 v[18:19], v[2:3], v[18:19] op_sel_hi:[1,0]
	v_pk_add_f32 v[16:17], v[16:17], v[20:21]
	v_pk_fma_f32 v[20:21], v[2:3], v[32:33], v[18:19] op_sel:[0,0,1] op_sel_hi:[1,1,0] neg_lo:[0,0,1] neg_hi:[0,0,1]
	v_pk_fma_f32 v[2:3], v[2:3], v[32:33], v[18:19] op_sel:[0,0,1] op_sel_hi:[1,0,0]
	v_mov_b32_e32 v21, v3
	v_pk_add_f32 v[2:3], v[16:17], v[20:21]
	v_mov_b32_e32 v16, v31
	v_pk_mul_f32 v[16:17], v[4:5], v[16:17] op_sel_hi:[1,0]
	v_pk_fma_f32 v[18:19], v[4:5], v[30:31], v[16:17] op_sel:[0,0,1] op_sel_hi:[1,1,0] neg_lo:[0,0,1] neg_hi:[0,0,1]
	v_pk_fma_f32 v[4:5], v[4:5], v[30:31], v[16:17] op_sel:[0,0,1] op_sel_hi:[1,0,0]
	v_mov_b32_e32 v4, v29
	v_mov_b32_e32 v19, v5
	s_waitcnt lgkmcnt(2)
	v_pk_mul_f32 v[4:5], v[6:7], v[4:5] op_sel_hi:[1,0]
	v_pk_fma_f32 v[16:17], v[6:7], v[28:29], v[4:5] op_sel:[0,0,1] op_sel_hi:[1,1,0] neg_lo:[0,0,1] neg_hi:[0,0,1]
	v_pk_fma_f32 v[4:5], v[6:7], v[28:29], v[4:5] op_sel:[0,0,1] op_sel_hi:[1,0,0]
	s_waitcnt vmcnt(1)
	v_mov_b32_e32 v4, v43
	v_mov_b32_e32 v17, v5
	v_pk_mul_f32 v[4:5], v[8:9], v[4:5] op_sel_hi:[1,0]
	s_waitcnt vmcnt(0)
	v_pk_fma_f32 v[6:7], v[8:9], v[42:43], v[4:5] op_sel:[0,0,1] op_sel_hi:[1,1,0] neg_lo:[0,0,1] neg_hi:[0,0,1]
	v_pk_fma_f32 v[4:5], v[8:9], v[42:43], v[4:5] op_sel:[0,0,1] op_sel_hi:[1,0,0]
	v_pk_add_f32 v[2:3], v[2:3], v[18:19]
	v_mov_b32_e32 v4, v41
	v_pk_add_f32 v[2:3], v[2:3], v[16:17]
	v_mov_b32_e32 v7, v5
	s_waitcnt lgkmcnt(1)
	v_pk_mul_f32 v[4:5], v[10:11], v[4:5] op_sel_hi:[1,0]
	v_pk_add_f32 v[2:3], v[2:3], v[6:7]
	v_pk_fma_f32 v[6:7], v[10:11], v[40:41], v[4:5] op_sel:[0,0,1] op_sel_hi:[1,1,0] neg_lo:[0,0,1] neg_hi:[0,0,1]
	v_pk_fma_f32 v[4:5], v[10:11], v[40:41], v[4:5] op_sel:[0,0,1] op_sel_hi:[1,0,0]
	v_mov_b32_e32 v4, v39
	v_mov_b32_e32 v7, v5
	v_pk_mul_f32 v[4:5], v[12:13], v[4:5] op_sel_hi:[1,0]
	v_pk_add_f32 v[2:3], v[2:3], v[6:7]
	v_pk_fma_f32 v[6:7], v[12:13], v[38:39], v[4:5] op_sel:[0,0,1] op_sel_hi:[1,1,0] neg_lo:[0,0,1] neg_hi:[0,0,1]
	v_pk_fma_f32 v[4:5], v[12:13], v[38:39], v[4:5] op_sel:[0,0,1] op_sel_hi:[1,0,0]
	v_mov_b32_e32 v4, v37
	v_mov_b32_e32 v7, v5
	s_waitcnt lgkmcnt(0)
	v_pk_mul_f32 v[4:5], v[14:15], v[4:5] op_sel_hi:[1,0]
	v_pk_add_f32 v[2:3], v[2:3], v[6:7]
	v_pk_fma_f32 v[6:7], v[14:15], v[36:37], v[4:5] op_sel:[0,0,1] op_sel_hi:[1,1,0] neg_lo:[0,0,1] neg_hi:[0,0,1]
	v_pk_fma_f32 v[4:5], v[14:15], v[36:37], v[4:5] op_sel:[0,0,1] op_sel_hi:[1,0,0]
	v_mov_b32_e32 v7, v5
	v_pk_add_f32 v[2:3], v[2:3], v[6:7]
	v_pk_add_f32 v[2:3], v[26:27], v[2:3] neg_lo:[0,1] neg_hi:[0,1]
	buffer_store_dword v3, off, s[0:3], 0 offset:292
	buffer_store_dword v2, off, s[0:3], 0 offset:288
	s_and_saveexec_b64 s[4:5], vcc
	s_cbranch_execz .LBB119_279
; %bb.278:
	buffer_load_dword v2, off, s[0:3], 0 offset:280
	buffer_load_dword v3, off, s[0:3], 0 offset:284
	s_waitcnt vmcnt(0)
	ds_write_b64 v161, v[2:3]
	buffer_store_dword v1, off, s[0:3], 0 offset:280
	buffer_store_dword v1, off, s[0:3], 0 offset:284
.LBB119_279:
	s_or_b64 exec, exec, s[4:5]
	s_waitcnt lgkmcnt(0)
	; wave barrier
	s_waitcnt lgkmcnt(0)
	buffer_load_dword v44, off, s[0:3], 0 offset:292
	buffer_load_dword v46, off, s[0:3], 0 offset:300
	;; [unrolled: 1-line block ×26, first 2 shown]
	ds_read_b128 v[2:5], v1 offset:736
	ds_read_b128 v[6:9], v1 offset:752
	ds_read_b128 v[10:13], v1 offset:768
	ds_read_b128 v[14:17], v1 offset:784
	ds_read_b128 v[18:21], v1 offset:800
	ds_read_b128 v[22:25], v1 offset:816
	buffer_load_dword v29, off, s[0:3], 0 offset:404
	buffer_load_dword v28, off, s[0:3], 0 offset:400
	;; [unrolled: 1-line block ×16, first 2 shown]
	v_cmp_lt_u32_e32 vcc, 34, v0
	s_waitcnt vmcnt(41) lgkmcnt(5)
	v_mul_f32_e32 v70, v2, v44
	s_waitcnt vmcnt(40)
	v_mul_f32_e32 v71, v4, v46
	v_mul_f32_e32 v44, v3, v44
	s_waitcnt vmcnt(39) lgkmcnt(4)
	v_mul_f32_e32 v72, v6, v48
	v_mul_f32_e32 v46, v5, v46
	s_waitcnt vmcnt(38)
	v_mul_f32_e32 v73, v8, v50
	s_waitcnt vmcnt(37) lgkmcnt(3)
	v_mul_f32_e32 v74, v10, v51
	s_waitcnt vmcnt(36)
	v_mul_f32_e32 v75, v12, v52
	s_waitcnt vmcnt(35) lgkmcnt(2)
	;; [unrolled: 4-line block ×3, first 2 shown]
	v_mul_f32_e32 v78, v18, v55
	s_waitcnt vmcnt(32)
	v_mul_f32_e32 v79, v20, v56
	s_waitcnt vmcnt(29)
	v_fmac_f32_e32 v70, v3, v49
	s_waitcnt vmcnt(28)
	v_fmac_f32_e32 v71, v5, v59
	v_fma_f32 v2, v2, v49, -v44
	v_add_f32_e32 v5, 0, v70
	s_waitcnt vmcnt(27)
	v_fmac_f32_e32 v72, v7, v60
	v_fma_f32 v3, v4, v59, -v46
	v_add_f32_e32 v2, 0, v2
	v_add_f32_e32 v5, v5, v71
	s_waitcnt vmcnt(26)
	v_fmac_f32_e32 v73, v9, v61
	v_add_f32_e32 v2, v2, v3
	v_add_f32_e32 v3, v5, v72
	s_waitcnt vmcnt(25)
	v_fmac_f32_e32 v74, v11, v62
	v_add_f32_e32 v3, v3, v73
	s_waitcnt vmcnt(24)
	v_fmac_f32_e32 v75, v13, v63
	;; [unrolled: 3-line block ×5, first 2 shown]
	v_add_f32_e32 v3, v3, v77
	v_mul_f32_e32 v48, v7, v48
	s_waitcnt vmcnt(20)
	v_fmac_f32_e32 v79, v21, v67
	v_add_f32_e32 v3, v3, v78
	v_fma_f32 v4, v6, v60, -v48
	v_add_f32_e32 v49, v3, v79
	v_mul_f32_e32 v3, v9, v50
	v_add_f32_e32 v2, v2, v4
	v_fma_f32 v3, v8, v61, -v3
	v_add_f32_e32 v2, v2, v3
	v_mul_f32_e32 v3, v11, v51
	v_fma_f32 v3, v10, v62, -v3
	v_add_f32_e32 v2, v2, v3
	v_mul_f32_e32 v3, v13, v52
	;; [unrolled: 3-line block ×6, first 2 shown]
	v_fma_f32 v3, v20, v67, -v3
	v_add_f32_e32 v48, v2, v3
	s_waitcnt lgkmcnt(0)
	v_mul_f32_e32 v2, v23, v57
	s_waitcnt vmcnt(19)
	v_fma_f32 v44, v22, v68, -v2
	v_mul_f32_e32 v2, v25, v58
	s_waitcnt vmcnt(18)
	v_fma_f32 v46, v24, v69, -v2
	ds_read_b128 v[2:5], v1 offset:832
	ds_read_b128 v[6:9], v1 offset:848
	;; [unrolled: 1-line block ×4, first 2 shown]
	v_mul_f32_e32 v45, v22, v57
	s_waitcnt vmcnt(11)
	v_mov_b32_e32 v20, v33
	v_mul_f32_e32 v47, v24, v58
	v_fmac_f32_e32 v45, v23, v68
	s_waitcnt lgkmcnt(3)
	v_pk_mul_f32 v[20:21], v[2:3], v[20:21] op_sel_hi:[1,0]
	v_fmac_f32_e32 v47, v25, v69
	v_pk_add_f32 v[18:19], v[48:49], v[44:45]
	s_waitcnt vmcnt(10)
	v_pk_fma_f32 v[22:23], v[2:3], v[32:33], v[20:21] op_sel:[0,0,1] op_sel_hi:[1,1,0] neg_lo:[0,0,1] neg_hi:[0,0,1]
	v_pk_fma_f32 v[2:3], v[2:3], v[32:33], v[20:21] op_sel:[0,0,1] op_sel_hi:[1,0,0]
	v_pk_add_f32 v[18:19], v[18:19], v[46:47]
	v_mov_b32_e32 v23, v3
	v_pk_add_f32 v[2:3], v[18:19], v[22:23]
	v_mov_b32_e32 v18, v31
	v_pk_mul_f32 v[18:19], v[4:5], v[18:19] op_sel_hi:[1,0]
	v_pk_fma_f32 v[20:21], v[4:5], v[30:31], v[18:19] op_sel:[0,0,1] op_sel_hi:[1,1,0] neg_lo:[0,0,1] neg_hi:[0,0,1]
	v_pk_fma_f32 v[4:5], v[4:5], v[30:31], v[18:19] op_sel:[0,0,1] op_sel_hi:[1,0,0]
	v_mov_b32_e32 v4, v29
	v_mov_b32_e32 v21, v5
	s_waitcnt lgkmcnt(2)
	v_pk_mul_f32 v[4:5], v[6:7], v[4:5] op_sel_hi:[1,0]
	v_pk_fma_f32 v[18:19], v[6:7], v[28:29], v[4:5] op_sel:[0,0,1] op_sel_hi:[1,1,0] neg_lo:[0,0,1] neg_hi:[0,0,1]
	v_pk_fma_f32 v[4:5], v[6:7], v[28:29], v[4:5] op_sel:[0,0,1] op_sel_hi:[1,0,0]
	s_waitcnt vmcnt(3)
	v_mov_b32_e32 v4, v41
	v_mov_b32_e32 v19, v5
	v_pk_mul_f32 v[4:5], v[8:9], v[4:5] op_sel_hi:[1,0]
	s_waitcnt vmcnt(2)
	v_pk_fma_f32 v[6:7], v[8:9], v[40:41], v[4:5] op_sel:[0,0,1] op_sel_hi:[1,1,0] neg_lo:[0,0,1] neg_hi:[0,0,1]
	v_pk_fma_f32 v[4:5], v[8:9], v[40:41], v[4:5] op_sel:[0,0,1] op_sel_hi:[1,0,0]
	v_pk_add_f32 v[2:3], v[2:3], v[20:21]
	v_mov_b32_e32 v4, v39
	v_pk_add_f32 v[2:3], v[2:3], v[18:19]
	v_mov_b32_e32 v7, v5
	s_waitcnt lgkmcnt(1)
	v_pk_mul_f32 v[4:5], v[10:11], v[4:5] op_sel_hi:[1,0]
	v_pk_add_f32 v[2:3], v[2:3], v[6:7]
	v_pk_fma_f32 v[6:7], v[10:11], v[38:39], v[4:5] op_sel:[0,0,1] op_sel_hi:[1,1,0] neg_lo:[0,0,1] neg_hi:[0,0,1]
	v_pk_fma_f32 v[4:5], v[10:11], v[38:39], v[4:5] op_sel:[0,0,1] op_sel_hi:[1,0,0]
	v_mov_b32_e32 v4, v37
	v_mov_b32_e32 v7, v5
	v_pk_mul_f32 v[4:5], v[12:13], v[4:5] op_sel_hi:[1,0]
	v_pk_add_f32 v[2:3], v[2:3], v[6:7]
	v_pk_fma_f32 v[6:7], v[12:13], v[36:37], v[4:5] op_sel:[0,0,1] op_sel_hi:[1,1,0] neg_lo:[0,0,1] neg_hi:[0,0,1]
	v_pk_fma_f32 v[4:5], v[12:13], v[36:37], v[4:5] op_sel:[0,0,1] op_sel_hi:[1,0,0]
	v_mov_b32_e32 v4, v35
	v_mov_b32_e32 v7, v5
	s_waitcnt lgkmcnt(0)
	v_pk_mul_f32 v[4:5], v[14:15], v[4:5] op_sel_hi:[1,0]
	v_pk_add_f32 v[2:3], v[2:3], v[6:7]
	v_pk_fma_f32 v[6:7], v[14:15], v[34:35], v[4:5] op_sel:[0,0,1] op_sel_hi:[1,1,0] neg_lo:[0,0,1] neg_hi:[0,0,1]
	v_pk_fma_f32 v[4:5], v[14:15], v[34:35], v[4:5] op_sel:[0,0,1] op_sel_hi:[1,0,0]
	s_waitcnt vmcnt(1)
	v_mov_b32_e32 v4, v43
	v_mov_b32_e32 v7, v5
	v_pk_mul_f32 v[4:5], v[16:17], v[4:5] op_sel_hi:[1,0]
	v_pk_add_f32 v[2:3], v[2:3], v[6:7]
	s_waitcnt vmcnt(0)
	v_pk_fma_f32 v[6:7], v[16:17], v[42:43], v[4:5] op_sel:[0,0,1] op_sel_hi:[1,1,0] neg_lo:[0,0,1] neg_hi:[0,0,1]
	v_pk_fma_f32 v[4:5], v[16:17], v[42:43], v[4:5] op_sel:[0,0,1] op_sel_hi:[1,0,0]
	v_mov_b32_e32 v7, v5
	v_pk_add_f32 v[2:3], v[2:3], v[6:7]
	v_pk_add_f32 v[2:3], v[26:27], v[2:3] neg_lo:[0,1] neg_hi:[0,1]
	buffer_store_dword v3, off, s[0:3], 0 offset:284
	buffer_store_dword v2, off, s[0:3], 0 offset:280
	s_and_saveexec_b64 s[4:5], vcc
	s_cbranch_execz .LBB119_281
; %bb.280:
	buffer_load_dword v2, off, s[0:3], 0 offset:272
	buffer_load_dword v3, off, s[0:3], 0 offset:276
	v_mov_b32_e32 v1, 0
	buffer_store_dword v1, off, s[0:3], 0 offset:272
	buffer_store_dword v1, off, s[0:3], 0 offset:276
	s_waitcnt vmcnt(2)
	ds_write_b64 v161, v[2:3]
.LBB119_281:
	s_or_b64 exec, exec, s[4:5]
	s_waitcnt lgkmcnt(0)
	; wave barrier
	s_waitcnt lgkmcnt(0)
	buffer_load_dword v52, off, s[0:3], 0 offset:284
	buffer_load_dword v54, off, s[0:3], 0 offset:292
	;; [unrolled: 1-line block ×44, first 2 shown]
	v_mov_b32_e32 v1, 0
	ds_read2_b64 v[2:5], v1 offset0:91 offset1:92
	ds_read2_b64 v[6:9], v1 offset0:93 offset1:94
	;; [unrolled: 1-line block ×8, first 2 shown]
	v_cmp_lt_u32_e32 vcc, 33, v0
	s_waitcnt vmcnt(43) lgkmcnt(7)
	v_mul_f32_e32 v57, v2, v52
	s_waitcnt vmcnt(42)
	v_mul_f32_e32 v81, v4, v54
	s_waitcnt vmcnt(41) lgkmcnt(6)
	v_mul_f32_e32 v82, v6, v56
	v_mul_f32_e32 v52, v3, v52
	s_waitcnt vmcnt(40)
	v_mul_f32_e32 v83, v8, v58
	s_waitcnt vmcnt(39) lgkmcnt(5)
	v_mul_f32_e32 v84, v10, v59
	s_waitcnt vmcnt(38)
	v_mul_f32_e32 v85, v12, v60
	s_waitcnt vmcnt(37) lgkmcnt(4)
	;; [unrolled: 4-line block ×4, first 2 shown]
	v_mul_f32_e32 v90, v22, v65
	s_waitcnt vmcnt(32)
	v_mul_f32_e32 v53, v24, v66
	s_waitcnt vmcnt(30)
	v_fmac_f32_e32 v57, v3, v68
	s_waitcnt vmcnt(29)
	v_fmac_f32_e32 v81, v5, v69
	v_add_f32_e32 v3, 0, v57
	s_waitcnt vmcnt(28)
	v_fmac_f32_e32 v82, v7, v70
	v_add_f32_e32 v3, v3, v81
	;; [unrolled: 3-line block ×10, first 2 shown]
	v_add_f32_e32 v57, v3, v90
	v_fma_f32 v2, v2, v68, -v52
	v_mul_f32_e32 v3, v5, v54
	v_add_f32_e32 v2, 0, v2
	v_fma_f32 v3, v4, v69, -v3
	v_add_f32_e32 v2, v2, v3
	v_mul_f32_e32 v3, v7, v56
	v_fma_f32 v3, v6, v70, -v3
	v_add_f32_e32 v2, v2, v3
	v_mul_f32_e32 v3, v9, v58
	;; [unrolled: 3-line block ×9, first 2 shown]
	v_fma_f32 v3, v22, v78, -v3
	s_waitcnt vmcnt(13)
	v_mov_b32_e32 v14, v39
	v_add_f32_e32 v56, v2, v3
	v_mul_f32_e32 v2, v25, v66
	s_waitcnt lgkmcnt(1)
	v_pk_mul_f32 v[14:15], v[28:29], v[14:15] op_sel_hi:[1,0]
	v_mul_f32_e32 v55, v26, v67
	v_fmac_f32_e32 v53, v25, v79
	v_fma_f32 v52, v24, v79, -v2
	v_mul_f32_e32 v2, v27, v67
	s_waitcnt vmcnt(12)
	v_pk_fma_f32 v[16:17], v[28:29], v[38:39], v[14:15] op_sel:[0,0,1] op_sel_hi:[1,1,0] neg_lo:[0,0,1] neg_hi:[0,0,1]
	v_pk_fma_f32 v[14:15], v[28:29], v[38:39], v[14:15] op_sel:[0,0,1] op_sel_hi:[1,0,0]
	v_fmac_f32_e32 v55, v27, v80
	v_fma_f32 v54, v26, v80, -v2
	v_pk_add_f32 v[12:13], v[56:57], v[52:53]
	v_mov_b32_e32 v14, v37
	v_pk_add_f32 v[12:13], v[12:13], v[54:55]
	v_mov_b32_e32 v17, v15
	s_waitcnt lgkmcnt(0)
	v_pk_mul_f32 v[14:15], v[30:31], v[14:15] op_sel_hi:[1,0]
	v_pk_add_f32 v[12:13], v[12:13], v[16:17]
	v_pk_fma_f32 v[16:17], v[30:31], v[36:37], v[14:15] op_sel:[0,0,1] op_sel_hi:[1,1,0] neg_lo:[0,0,1] neg_hi:[0,0,1]
	v_pk_fma_f32 v[14:15], v[30:31], v[36:37], v[14:15] op_sel:[0,0,1] op_sel_hi:[1,0,0]
	s_waitcnt vmcnt(5)
	v_mov_b32_e32 v14, v47
	ds_read2_b64 v[2:5], v1 offset0:107 offset1:108
	ds_read2_b64 v[6:9], v1 offset0:109 offset1:110
	ds_read_b64 v[10:11], v1 offset:888
	v_mov_b32_e32 v17, v15
	v_pk_mul_f32 v[14:15], v[32:33], v[14:15] op_sel_hi:[1,0]
	v_pk_add_f32 v[12:13], v[12:13], v[16:17]
	s_waitcnt vmcnt(4)
	v_pk_fma_f32 v[16:17], v[32:33], v[46:47], v[14:15] op_sel:[0,0,1] op_sel_hi:[1,1,0] neg_lo:[0,0,1] neg_hi:[0,0,1]
	v_pk_fma_f32 v[14:15], v[32:33], v[46:47], v[14:15] op_sel:[0,0,1] op_sel_hi:[1,0,0]
	v_mov_b32_e32 v14, v45
	v_mov_b32_e32 v17, v15
	s_waitcnt lgkmcnt(2)
	v_pk_mul_f32 v[14:15], v[2:3], v[14:15] op_sel_hi:[1,0]
	v_pk_add_f32 v[12:13], v[12:13], v[16:17]
	v_pk_fma_f32 v[16:17], v[2:3], v[44:45], v[14:15] op_sel:[0,0,1] op_sel_hi:[1,1,0] neg_lo:[0,0,1] neg_hi:[0,0,1]
	v_pk_fma_f32 v[2:3], v[2:3], v[44:45], v[14:15] op_sel:[0,0,1] op_sel_hi:[1,0,0]
	v_mov_b32_e32 v17, v3
	v_pk_add_f32 v[2:3], v[12:13], v[16:17]
	v_mov_b32_e32 v12, v43
	v_pk_mul_f32 v[12:13], v[4:5], v[12:13] op_sel_hi:[1,0]
	v_pk_fma_f32 v[14:15], v[4:5], v[42:43], v[12:13] op_sel:[0,0,1] op_sel_hi:[1,1,0] neg_lo:[0,0,1] neg_hi:[0,0,1]
	v_pk_fma_f32 v[4:5], v[4:5], v[42:43], v[12:13] op_sel:[0,0,1] op_sel_hi:[1,0,0]
	v_mov_b32_e32 v4, v41
	v_mov_b32_e32 v15, v5
	s_waitcnt lgkmcnt(1)
	v_pk_mul_f32 v[4:5], v[6:7], v[4:5] op_sel_hi:[1,0]
	v_pk_fma_f32 v[12:13], v[6:7], v[40:41], v[4:5] op_sel:[0,0,1] op_sel_hi:[1,1,0] neg_lo:[0,0,1] neg_hi:[0,0,1]
	v_pk_fma_f32 v[4:5], v[6:7], v[40:41], v[4:5] op_sel:[0,0,1] op_sel_hi:[1,0,0]
	s_waitcnt vmcnt(1)
	v_mov_b32_e32 v4, v51
	v_mov_b32_e32 v13, v5
	v_pk_mul_f32 v[4:5], v[8:9], v[4:5] op_sel_hi:[1,0]
	s_waitcnt vmcnt(0)
	v_pk_fma_f32 v[6:7], v[8:9], v[50:51], v[4:5] op_sel:[0,0,1] op_sel_hi:[1,1,0] neg_lo:[0,0,1] neg_hi:[0,0,1]
	v_pk_fma_f32 v[4:5], v[8:9], v[50:51], v[4:5] op_sel:[0,0,1] op_sel_hi:[1,0,0]
	v_pk_add_f32 v[2:3], v[2:3], v[14:15]
	v_mov_b32_e32 v4, v49
	v_pk_add_f32 v[2:3], v[2:3], v[12:13]
	v_mov_b32_e32 v7, v5
	s_waitcnt lgkmcnt(0)
	v_pk_mul_f32 v[4:5], v[10:11], v[4:5] op_sel_hi:[1,0]
	v_pk_add_f32 v[2:3], v[2:3], v[6:7]
	v_pk_fma_f32 v[6:7], v[10:11], v[48:49], v[4:5] op_sel:[0,0,1] op_sel_hi:[1,1,0] neg_lo:[0,0,1] neg_hi:[0,0,1]
	v_pk_fma_f32 v[4:5], v[10:11], v[48:49], v[4:5] op_sel:[0,0,1] op_sel_hi:[1,0,0]
	v_mov_b32_e32 v7, v5
	v_pk_add_f32 v[2:3], v[2:3], v[6:7]
	v_pk_add_f32 v[2:3], v[34:35], v[2:3] neg_lo:[0,1] neg_hi:[0,1]
	buffer_store_dword v3, off, s[0:3], 0 offset:276
	buffer_store_dword v2, off, s[0:3], 0 offset:272
	s_and_saveexec_b64 s[4:5], vcc
	s_cbranch_execz .LBB119_283
; %bb.282:
	buffer_load_dword v2, off, s[0:3], 0 offset:264
	buffer_load_dword v3, off, s[0:3], 0 offset:268
	s_waitcnt vmcnt(0)
	ds_write_b64 v161, v[2:3]
	buffer_store_dword v1, off, s[0:3], 0 offset:264
	buffer_store_dword v1, off, s[0:3], 0 offset:268
.LBB119_283:
	s_or_b64 exec, exec, s[4:5]
	s_waitcnt lgkmcnt(0)
	; wave barrier
	s_waitcnt lgkmcnt(0)
	buffer_load_dword v52, off, s[0:3], 0 offset:276
	buffer_load_dword v54, off, s[0:3], 0 offset:284
	;; [unrolled: 1-line block ×30, first 2 shown]
	ds_read_b128 v[2:5], v1 offset:720
	ds_read_b128 v[6:9], v1 offset:736
	;; [unrolled: 1-line block ×6, first 2 shown]
	buffer_load_dword v37, off, s[0:3], 0 offset:388
	buffer_load_dword v36, off, s[0:3], 0 offset:384
	ds_read_b128 v[26:29], v1 offset:816
	ds_read_b128 v[30:33], v1 offset:832
	buffer_load_dword v39, off, s[0:3], 0 offset:420
	buffer_load_dword v38, off, s[0:3], 0 offset:416
	;; [unrolled: 1-line block ×14, first 2 shown]
	v_cmp_lt_u32_e32 vcc, 32, v0
	s_waitcnt vmcnt(45) lgkmcnt(7)
	v_mul_f32_e32 v55, v2, v52
	s_waitcnt vmcnt(44)
	v_mul_f32_e32 v57, v4, v54
	s_waitcnt vmcnt(43) lgkmcnt(6)
	v_mul_f32_e32 v83, v6, v56
	s_waitcnt vmcnt(42)
	v_mul_f32_e32 v84, v8, v58
	s_waitcnt vmcnt(41) lgkmcnt(5)
	v_mul_f32_e32 v85, v10, v59
	s_waitcnt vmcnt(40)
	v_mul_f32_e32 v86, v12, v60
	s_waitcnt vmcnt(39) lgkmcnt(4)
	v_mul_f32_e32 v87, v14, v61
	s_waitcnt vmcnt(38)
	v_mul_f32_e32 v88, v16, v62
	s_waitcnt vmcnt(37) lgkmcnt(3)
	v_mul_f32_e32 v89, v18, v63
	s_waitcnt vmcnt(36)
	v_mul_f32_e32 v90, v20, v64
	s_waitcnt vmcnt(35) lgkmcnt(2)
	v_mul_f32_e32 v91, v22, v65
	s_waitcnt vmcnt(34)
	v_mul_f32_e32 v92, v24, v66
	s_waitcnt vmcnt(33) lgkmcnt(1)
	v_mul_f32_e32 v53, v26, v67
	s_waitcnt vmcnt(32)
	v_fmac_f32_e32 v55, v3, v68
	v_mul_f32_e32 v3, v3, v52
	v_fma_f32 v2, v2, v68, -v3
	v_mul_f32_e32 v3, v5, v54
	v_add_f32_e32 v2, 0, v2
	s_waitcnt vmcnt(31)
	v_fma_f32 v3, v4, v69, -v3
	v_add_f32_e32 v2, v2, v3
	v_mul_f32_e32 v3, v7, v56
	s_waitcnt vmcnt(30)
	v_fma_f32 v3, v6, v70, -v3
	v_add_f32_e32 v2, v2, v3
	v_mul_f32_e32 v3, v9, v58
	;; [unrolled: 4-line block ×5, first 2 shown]
	s_waitcnt vmcnt(26)
	v_fma_f32 v3, v14, v74, -v3
	v_fmac_f32_e32 v57, v5, v69
	v_add_f32_e32 v55, 0, v55
	v_add_f32_e32 v2, v2, v3
	v_mul_f32_e32 v3, v17, v62
	v_fmac_f32_e32 v83, v7, v70
	v_add_f32_e32 v55, v55, v57
	s_waitcnt vmcnt(25)
	v_fma_f32 v3, v16, v75, -v3
	v_fmac_f32_e32 v84, v9, v71
	v_add_f32_e32 v55, v55, v83
	v_add_f32_e32 v2, v2, v3
	v_mul_f32_e32 v3, v19, v63
	v_fmac_f32_e32 v85, v11, v72
	v_add_f32_e32 v55, v55, v84
	;; [unrolled: 8-line block ×5, first 2 shown]
	s_waitcnt vmcnt(21)
	v_fma_f32 v3, v24, v79, -v3
	s_waitcnt vmcnt(15)
	v_mov_b32_e32 v16, v37
	v_fmac_f32_e32 v92, v25, v79
	v_add_f32_e32 v55, v55, v91
	v_add_f32_e32 v54, v2, v3
	v_mul_f32_e32 v2, v27, v67
	s_waitcnt lgkmcnt(0)
	v_pk_mul_f32 v[16:17], v[30:31], v[16:17] op_sel_hi:[1,0]
	v_fmac_f32_e32 v53, v27, v80
	v_add_f32_e32 v55, v55, v92
	v_mul_f32_e32 v57, v28, v81
	v_fma_f32 v52, v26, v80, -v2
	v_mul_f32_e32 v2, v29, v81
	s_waitcnt vmcnt(14)
	v_pk_fma_f32 v[18:19], v[30:31], v[36:37], v[16:17] op_sel:[0,0,1] op_sel_hi:[1,1,0] neg_lo:[0,0,1] neg_hi:[0,0,1]
	v_pk_fma_f32 v[16:17], v[30:31], v[36:37], v[16:17] op_sel:[0,0,1] op_sel_hi:[1,0,0]
	v_fmac_f32_e32 v57, v29, v82
	v_fma_f32 v56, v28, v82, -v2
	v_pk_add_f32 v[14:15], v[54:55], v[52:53]
	s_waitcnt vmcnt(7)
	v_mov_b32_e32 v16, v45
	ds_read_b128 v[2:5], v1 offset:848
	ds_read_b128 v[6:9], v1 offset:864
	;; [unrolled: 1-line block ×3, first 2 shown]
	v_pk_add_f32 v[14:15], v[14:15], v[56:57]
	v_mov_b32_e32 v19, v17
	v_pk_mul_f32 v[16:17], v[32:33], v[16:17] op_sel_hi:[1,0]
	v_pk_add_f32 v[14:15], v[14:15], v[18:19]
	s_waitcnt vmcnt(6)
	v_pk_fma_f32 v[18:19], v[32:33], v[44:45], v[16:17] op_sel:[0,0,1] op_sel_hi:[1,1,0] neg_lo:[0,0,1] neg_hi:[0,0,1]
	v_pk_fma_f32 v[16:17], v[32:33], v[44:45], v[16:17] op_sel:[0,0,1] op_sel_hi:[1,0,0]
	v_mov_b32_e32 v16, v43
	v_mov_b32_e32 v19, v17
	s_waitcnt lgkmcnt(2)
	v_pk_mul_f32 v[16:17], v[2:3], v[16:17] op_sel_hi:[1,0]
	v_pk_add_f32 v[14:15], v[14:15], v[18:19]
	v_pk_fma_f32 v[18:19], v[2:3], v[42:43], v[16:17] op_sel:[0,0,1] op_sel_hi:[1,1,0] neg_lo:[0,0,1] neg_hi:[0,0,1]
	v_pk_fma_f32 v[2:3], v[2:3], v[42:43], v[16:17] op_sel:[0,0,1] op_sel_hi:[1,0,0]
	v_mov_b32_e32 v19, v3
	v_pk_add_f32 v[2:3], v[14:15], v[18:19]
	v_mov_b32_e32 v14, v41
	v_pk_mul_f32 v[14:15], v[4:5], v[14:15] op_sel_hi:[1,0]
	v_pk_fma_f32 v[16:17], v[4:5], v[40:41], v[14:15] op_sel:[0,0,1] op_sel_hi:[1,1,0] neg_lo:[0,0,1] neg_hi:[0,0,1]
	v_pk_fma_f32 v[4:5], v[4:5], v[40:41], v[14:15] op_sel:[0,0,1] op_sel_hi:[1,0,0]
	v_mov_b32_e32 v4, v39
	v_mov_b32_e32 v17, v5
	s_waitcnt lgkmcnt(1)
	v_pk_mul_f32 v[4:5], v[6:7], v[4:5] op_sel_hi:[1,0]
	v_pk_fma_f32 v[14:15], v[6:7], v[38:39], v[4:5] op_sel:[0,0,1] op_sel_hi:[1,1,0] neg_lo:[0,0,1] neg_hi:[0,0,1]
	v_pk_fma_f32 v[4:5], v[6:7], v[38:39], v[4:5] op_sel:[0,0,1] op_sel_hi:[1,0,0]
	s_waitcnt vmcnt(1)
	v_mov_b32_e32 v4, v51
	v_mov_b32_e32 v15, v5
	v_pk_mul_f32 v[4:5], v[8:9], v[4:5] op_sel_hi:[1,0]
	s_waitcnt vmcnt(0)
	v_pk_fma_f32 v[6:7], v[8:9], v[50:51], v[4:5] op_sel:[0,0,1] op_sel_hi:[1,1,0] neg_lo:[0,0,1] neg_hi:[0,0,1]
	v_pk_fma_f32 v[4:5], v[8:9], v[50:51], v[4:5] op_sel:[0,0,1] op_sel_hi:[1,0,0]
	v_pk_add_f32 v[2:3], v[2:3], v[16:17]
	v_mov_b32_e32 v4, v49
	v_pk_add_f32 v[2:3], v[2:3], v[14:15]
	v_mov_b32_e32 v7, v5
	s_waitcnt lgkmcnt(0)
	v_pk_mul_f32 v[4:5], v[10:11], v[4:5] op_sel_hi:[1,0]
	v_pk_add_f32 v[2:3], v[2:3], v[6:7]
	v_pk_fma_f32 v[6:7], v[10:11], v[48:49], v[4:5] op_sel:[0,0,1] op_sel_hi:[1,1,0] neg_lo:[0,0,1] neg_hi:[0,0,1]
	v_pk_fma_f32 v[4:5], v[10:11], v[48:49], v[4:5] op_sel:[0,0,1] op_sel_hi:[1,0,0]
	v_mov_b32_e32 v4, v47
	v_mov_b32_e32 v7, v5
	v_pk_mul_f32 v[4:5], v[12:13], v[4:5] op_sel_hi:[1,0]
	v_pk_add_f32 v[2:3], v[2:3], v[6:7]
	v_pk_fma_f32 v[6:7], v[12:13], v[46:47], v[4:5] op_sel:[0,0,1] op_sel_hi:[1,1,0] neg_lo:[0,0,1] neg_hi:[0,0,1]
	v_pk_fma_f32 v[4:5], v[12:13], v[46:47], v[4:5] op_sel:[0,0,1] op_sel_hi:[1,0,0]
	v_mov_b32_e32 v7, v5
	v_pk_add_f32 v[2:3], v[2:3], v[6:7]
	v_pk_add_f32 v[2:3], v[34:35], v[2:3] neg_lo:[0,1] neg_hi:[0,1]
	buffer_store_dword v3, off, s[0:3], 0 offset:268
	buffer_store_dword v2, off, s[0:3], 0 offset:264
	s_and_saveexec_b64 s[4:5], vcc
	s_cbranch_execz .LBB119_285
; %bb.284:
	buffer_load_dword v2, off, s[0:3], 0 offset:256
	buffer_load_dword v3, off, s[0:3], 0 offset:260
	v_mov_b32_e32 v1, 0
	buffer_store_dword v1, off, s[0:3], 0 offset:256
	buffer_store_dword v1, off, s[0:3], 0 offset:260
	s_waitcnt vmcnt(2)
	ds_write_b64 v161, v[2:3]
.LBB119_285:
	s_or_b64 exec, exec, s[4:5]
	s_waitcnt lgkmcnt(0)
	; wave barrier
	s_waitcnt lgkmcnt(0)
	buffer_load_dword v50, off, s[0:3], 0 offset:268
	buffer_load_dword v54, off, s[0:3], 0 offset:276
	;; [unrolled: 1-line block ×32, first 2 shown]
	v_mov_b32_e32 v1, 0
	buffer_load_dword v37, off, s[0:3], 0 offset:412
	buffer_load_dword v36, off, s[0:3], 0 offset:408
	buffer_load_dword v39, off, s[0:3], 0 offset:404
	buffer_load_dword v38, off, s[0:3], 0 offset:400
	buffer_load_dword v41, off, s[0:3], 0 offset:396
	buffer_load_dword v40, off, s[0:3], 0 offset:392
	buffer_load_dword v43, off, s[0:3], 0 offset:388
	buffer_load_dword v42, off, s[0:3], 0 offset:384
	buffer_load_dword v45, off, s[0:3], 0 offset:420
	buffer_load_dword v47, off, s[0:3], 0 offset:444
	buffer_load_dword v46, off, s[0:3], 0 offset:440
	buffer_load_dword v49, off, s[0:3], 0 offset:436
	buffer_load_dword v48, off, s[0:3], 0 offset:432
	ds_read2_b64 v[2:5], v1 offset0:89 offset1:90
	ds_read2_b64 v[6:9], v1 offset0:91 offset1:92
	;; [unrolled: 1-line block ×8, first 2 shown]
	v_cmp_lt_u32_e32 vcc, 31, v0
	s_waitcnt vmcnt(44) lgkmcnt(7)
	v_mul_f32_e32 v44, v2, v50
	s_waitcnt vmcnt(43)
	v_mul_f32_e32 v51, v4, v54
	s_waitcnt vmcnt(42) lgkmcnt(6)
	v_mul_f32_e32 v52, v6, v56
	s_waitcnt vmcnt(41)
	v_mul_f32_e32 v53, v8, v58
	s_waitcnt vmcnt(40) lgkmcnt(5)
	v_mul_f32_e32 v55, v10, v59
	s_waitcnt vmcnt(39)
	v_mul_f32_e32 v57, v12, v60
	s_waitcnt vmcnt(38) lgkmcnt(4)
	v_mul_f32_e32 v85, v14, v61
	s_waitcnt vmcnt(37)
	v_mul_f32_e32 v86, v16, v62
	s_waitcnt vmcnt(36) lgkmcnt(3)
	v_mul_f32_e32 v87, v18, v63
	s_waitcnt vmcnt(35)
	v_mul_f32_e32 v88, v20, v64
	s_waitcnt vmcnt(34) lgkmcnt(2)
	v_mul_f32_e32 v89, v22, v65
	s_waitcnt vmcnt(33)
	v_mul_f32_e32 v90, v24, v66
	s_waitcnt vmcnt(32) lgkmcnt(1)
	v_mul_f32_e32 v91, v26, v67
	s_waitcnt vmcnt(31)
	v_fmac_f32_e32 v44, v3, v68
	s_waitcnt vmcnt(30)
	v_fmac_f32_e32 v51, v5, v69
	v_add_f32_e32 v44, 0, v44
	s_waitcnt vmcnt(29)
	v_fmac_f32_e32 v52, v7, v70
	v_add_f32_e32 v44, v44, v51
	;; [unrolled: 3-line block ×12, first 2 shown]
	v_add_f32_e32 v51, v44, v91
	buffer_load_dword v53, off, s[0:3], 0 offset:428
	buffer_load_dword v52, off, s[0:3], 0 offset:424
	;; [unrolled: 1-line block ×3, first 2 shown]
	v_mul_f32_e32 v3, v3, v50
	v_fma_f32 v2, v2, v68, -v3
	v_mul_f32_e32 v3, v5, v54
	v_add_f32_e32 v2, 0, v2
	v_fma_f32 v3, v4, v69, -v3
	v_add_f32_e32 v2, v2, v3
	v_mul_f32_e32 v3, v7, v56
	v_fma_f32 v3, v6, v70, -v3
	v_add_f32_e32 v2, v2, v3
	v_mul_f32_e32 v3, v9, v58
	v_fma_f32 v3, v8, v71, -v3
	v_add_f32_e32 v2, v2, v3
	v_mul_f32_e32 v3, v11, v59
	v_fma_f32 v3, v10, v72, -v3
	v_add_f32_e32 v2, v2, v3
	v_mul_f32_e32 v3, v13, v60
	v_fma_f32 v3, v12, v73, -v3
	v_add_f32_e32 v2, v2, v3
	v_mul_f32_e32 v3, v15, v61
	v_fma_f32 v3, v14, v74, -v3
	v_add_f32_e32 v2, v2, v3
	v_mul_f32_e32 v3, v17, v62
	v_fma_f32 v3, v16, v75, -v3
	v_add_f32_e32 v2, v2, v3
	v_mul_f32_e32 v3, v19, v63
	v_fma_f32 v3, v18, v76, -v3
	v_add_f32_e32 v2, v2, v3
	v_mul_f32_e32 v3, v21, v64
	v_fma_f32 v3, v20, v77, -v3
	v_add_f32_e32 v2, v2, v3
	v_mul_f32_e32 v3, v23, v65
	v_fma_f32 v3, v22, v78, -v3
	v_add_f32_e32 v2, v2, v3
	v_mul_f32_e32 v3, v25, v66
	v_fma_f32 v3, v24, v79, -v3
	v_add_f32_e32 v2, v2, v3
	v_mul_f32_e32 v3, v27, v67
	v_fma_f32 v3, v26, v80, -v3
	v_add_f32_e32 v50, v2, v3
	s_waitcnt vmcnt(21)
	v_mul_f32_e32 v2, v29, v81
	s_waitcnt vmcnt(9)
	v_mov_b32_e32 v18, v43
	v_mul_f32_e32 v55, v28, v81
	v_fma_f32 v54, v28, v82, -v2
	s_waitcnt lgkmcnt(0)
	v_mul_f32_e32 v2, v31, v83
	v_pk_mul_f32 v[18:19], v[32:33], v[18:19] op_sel_hi:[1,0]
	v_fmac_f32_e32 v55, v29, v82
	v_mul_f32_e32 v57, v30, v83
	v_fma_f32 v56, v30, v84, -v2
	ds_read2_b64 v[2:5], v1 offset0:105 offset1:106
	ds_read2_b64 v[6:9], v1 offset0:107 offset1:108
	ds_read2_b64 v[10:13], v1 offset0:109 offset1:110
	ds_read_b64 v[14:15], v1 offset:888
	s_waitcnt vmcnt(8)
	v_pk_fma_f32 v[20:21], v[32:33], v[42:43], v[18:19] op_sel:[0,0,1] op_sel_hi:[1,1,0] neg_lo:[0,0,1] neg_hi:[0,0,1]
	v_pk_fma_f32 v[18:19], v[32:33], v[42:43], v[18:19] op_sel:[0,0,1] op_sel_hi:[1,0,0]
	v_fmac_f32_e32 v57, v31, v84
	v_pk_add_f32 v[16:17], v[50:51], v[54:55]
	v_mov_b32_e32 v18, v41
	v_pk_add_f32 v[16:17], v[16:17], v[56:57]
	v_mov_b32_e32 v21, v19
	s_waitcnt lgkmcnt(3)
	v_pk_mul_f32 v[18:19], v[2:3], v[18:19] op_sel_hi:[1,0]
	v_pk_add_f32 v[16:17], v[16:17], v[20:21]
	v_pk_fma_f32 v[20:21], v[2:3], v[40:41], v[18:19] op_sel:[0,0,1] op_sel_hi:[1,1,0] neg_lo:[0,0,1] neg_hi:[0,0,1]
	v_pk_fma_f32 v[2:3], v[2:3], v[40:41], v[18:19] op_sel:[0,0,1] op_sel_hi:[1,0,0]
	v_mov_b32_e32 v21, v3
	v_pk_add_f32 v[2:3], v[16:17], v[20:21]
	v_mov_b32_e32 v16, v39
	v_pk_mul_f32 v[16:17], v[4:5], v[16:17] op_sel_hi:[1,0]
	v_pk_fma_f32 v[18:19], v[4:5], v[38:39], v[16:17] op_sel:[0,0,1] op_sel_hi:[1,1,0] neg_lo:[0,0,1] neg_hi:[0,0,1]
	v_pk_fma_f32 v[4:5], v[4:5], v[38:39], v[16:17] op_sel:[0,0,1] op_sel_hi:[1,0,0]
	v_mov_b32_e32 v4, v37
	v_mov_b32_e32 v19, v5
	s_waitcnt lgkmcnt(2)
	v_pk_mul_f32 v[4:5], v[6:7], v[4:5] op_sel_hi:[1,0]
	v_pk_fma_f32 v[16:17], v[6:7], v[36:37], v[4:5] op_sel:[0,0,1] op_sel_hi:[1,1,0] neg_lo:[0,0,1] neg_hi:[0,0,1]
	v_pk_fma_f32 v[4:5], v[6:7], v[36:37], v[4:5] op_sel:[0,0,1] op_sel_hi:[1,0,0]
	s_waitcnt vmcnt(7)
	v_mov_b32_e32 v4, v45
	v_mov_b32_e32 v17, v5
	v_pk_mul_f32 v[4:5], v[8:9], v[4:5] op_sel_hi:[1,0]
	v_pk_add_f32 v[2:3], v[2:3], v[18:19]
	v_pk_add_f32 v[2:3], v[2:3], v[16:17]
	s_waitcnt vmcnt(0)
	v_pk_fma_f32 v[6:7], v[8:9], v[44:45], v[4:5] op_sel:[0,0,1] op_sel_hi:[1,1,0] neg_lo:[0,0,1] neg_hi:[0,0,1]
	v_pk_fma_f32 v[4:5], v[8:9], v[44:45], v[4:5] op_sel:[0,0,1] op_sel_hi:[1,0,0]
	v_mov_b32_e32 v4, v53
	v_mov_b32_e32 v7, v5
	s_waitcnt lgkmcnt(1)
	v_pk_mul_f32 v[4:5], v[10:11], v[4:5] op_sel_hi:[1,0]
	v_pk_add_f32 v[2:3], v[2:3], v[6:7]
	v_pk_fma_f32 v[6:7], v[10:11], v[52:53], v[4:5] op_sel:[0,0,1] op_sel_hi:[1,1,0] neg_lo:[0,0,1] neg_hi:[0,0,1]
	v_pk_fma_f32 v[4:5], v[10:11], v[52:53], v[4:5] op_sel:[0,0,1] op_sel_hi:[1,0,0]
	v_mov_b32_e32 v4, v49
	v_mov_b32_e32 v7, v5
	v_pk_mul_f32 v[4:5], v[12:13], v[4:5] op_sel_hi:[1,0]
	v_pk_add_f32 v[2:3], v[2:3], v[6:7]
	v_pk_fma_f32 v[6:7], v[12:13], v[48:49], v[4:5] op_sel:[0,0,1] op_sel_hi:[1,1,0] neg_lo:[0,0,1] neg_hi:[0,0,1]
	v_pk_fma_f32 v[4:5], v[12:13], v[48:49], v[4:5] op_sel:[0,0,1] op_sel_hi:[1,0,0]
	v_mov_b32_e32 v4, v47
	v_mov_b32_e32 v7, v5
	s_waitcnt lgkmcnt(0)
	v_pk_mul_f32 v[4:5], v[14:15], v[4:5] op_sel_hi:[1,0]
	v_pk_add_f32 v[2:3], v[2:3], v[6:7]
	v_pk_fma_f32 v[6:7], v[14:15], v[46:47], v[4:5] op_sel:[0,0,1] op_sel_hi:[1,1,0] neg_lo:[0,0,1] neg_hi:[0,0,1]
	v_pk_fma_f32 v[4:5], v[14:15], v[46:47], v[4:5] op_sel:[0,0,1] op_sel_hi:[1,0,0]
	v_mov_b32_e32 v7, v5
	v_pk_add_f32 v[2:3], v[2:3], v[6:7]
	v_pk_add_f32 v[2:3], v[34:35], v[2:3] neg_lo:[0,1] neg_hi:[0,1]
	buffer_store_dword v3, off, s[0:3], 0 offset:260
	buffer_store_dword v2, off, s[0:3], 0 offset:256
	s_and_saveexec_b64 s[4:5], vcc
	s_cbranch_execz .LBB119_287
; %bb.286:
	buffer_load_dword v2, off, s[0:3], 0 offset:248
	buffer_load_dword v3, off, s[0:3], 0 offset:252
	s_waitcnt vmcnt(0)
	ds_write_b64 v161, v[2:3]
	buffer_store_dword v1, off, s[0:3], 0 offset:248
	buffer_store_dword v1, off, s[0:3], 0 offset:252
.LBB119_287:
	s_or_b64 exec, exec, s[4:5]
	s_waitcnt lgkmcnt(0)
	; wave barrier
	s_waitcnt lgkmcnt(0)
	buffer_load_dword v50, off, s[0:3], 0 offset:260
	buffer_load_dword v52, off, s[0:3], 0 offset:268
	;; [unrolled: 1-line block ×34, first 2 shown]
	ds_read_b128 v[2:5], v1 offset:704
	ds_read_b128 v[6:9], v1 offset:720
	;; [unrolled: 1-line block ×8, first 2 shown]
	buffer_load_dword v37, off, s[0:3], 0 offset:404
	buffer_load_dword v36, off, s[0:3], 0 offset:400
	;; [unrolled: 1-line block ×9, first 2 shown]
	v_cmp_lt_u32_e32 vcc, 30, v0
	s_waitcnt vmcnt(42) lgkmcnt(7)
	v_mul_f32_e32 v42, v2, v50
	s_waitcnt vmcnt(41)
	v_mul_f32_e32 v46, v4, v52
	s_waitcnt vmcnt(40) lgkmcnt(6)
	v_mul_f32_e32 v47, v6, v54
	s_waitcnt vmcnt(39)
	v_mul_f32_e32 v48, v8, v58
	;; [unrolled: 4-line block ×7, first 2 shown]
	s_waitcnt vmcnt(28)
	v_fmac_f32_e32 v42, v3, v69
	s_waitcnt vmcnt(27)
	v_fmac_f32_e32 v46, v5, v70
	v_add_f32_e32 v42, 0, v42
	s_waitcnt vmcnt(26)
	v_fmac_f32_e32 v47, v7, v71
	v_add_f32_e32 v42, v42, v46
	;; [unrolled: 3-line block ×12, first 2 shown]
	v_add_f32_e32 v51, v42, v89
	buffer_load_dword v47, off, s[0:3], 0 offset:428
	buffer_load_dword v46, off, s[0:3], 0 offset:424
	;; [unrolled: 1-line block ×7, first 2 shown]
	v_mul_f32_e32 v3, v3, v50
	v_fma_f32 v2, v2, v69, -v3
	v_mul_f32_e32 v3, v5, v52
	v_add_f32_e32 v2, 0, v2
	v_fma_f32 v3, v4, v70, -v3
	v_add_f32_e32 v2, v2, v3
	v_mul_f32_e32 v3, v7, v54
	v_fma_f32 v3, v6, v71, -v3
	v_add_f32_e32 v2, v2, v3
	v_mul_f32_e32 v3, v9, v58
	;; [unrolled: 3-line block ×12, first 2 shown]
	s_waitcnt vmcnt(22)
	v_fma_f32 v3, v28, v82, -v3
	v_add_f32_e32 v50, v2, v3
	s_waitcnt vmcnt(21) lgkmcnt(0)
	v_mul_f32_e32 v2, v31, v83
	s_waitcnt vmcnt(20)
	v_fma_f32 v52, v30, v84, -v2
	s_waitcnt vmcnt(19)
	v_mul_f32_e32 v2, v33, v85
	s_waitcnt vmcnt(18)
	v_fma_f32 v54, v32, v86, -v2
	ds_read_b128 v[2:5], v1 offset:832
	ds_read_b128 v[6:9], v1 offset:848
	;; [unrolled: 1-line block ×4, first 2 shown]
	v_fmac_f32_e32 v90, v29, v82
	v_mul_f32_e32 v53, v30, v83
	s_waitcnt vmcnt(11)
	v_mov_b32_e32 v20, v41
	v_add_f32_e32 v51, v51, v90
	v_fmac_f32_e32 v53, v31, v84
	v_mul_f32_e32 v55, v32, v85
	s_waitcnt lgkmcnt(3)
	v_pk_mul_f32 v[20:21], v[2:3], v[20:21] op_sel_hi:[1,0]
	v_fmac_f32_e32 v55, v33, v86
	v_pk_add_f32 v[18:19], v[50:51], v[52:53]
	s_waitcnt vmcnt(10)
	v_pk_fma_f32 v[22:23], v[2:3], v[40:41], v[20:21] op_sel:[0,0,1] op_sel_hi:[1,1,0] neg_lo:[0,0,1] neg_hi:[0,0,1]
	v_pk_fma_f32 v[2:3], v[2:3], v[40:41], v[20:21] op_sel:[0,0,1] op_sel_hi:[1,0,0]
	v_pk_add_f32 v[18:19], v[18:19], v[54:55]
	v_mov_b32_e32 v23, v3
	v_pk_add_f32 v[2:3], v[18:19], v[22:23]
	v_mov_b32_e32 v18, v39
	v_pk_mul_f32 v[18:19], v[4:5], v[18:19] op_sel_hi:[1,0]
	v_pk_fma_f32 v[20:21], v[4:5], v[38:39], v[18:19] op_sel:[0,0,1] op_sel_hi:[1,1,0] neg_lo:[0,0,1] neg_hi:[0,0,1]
	v_pk_fma_f32 v[4:5], v[4:5], v[38:39], v[18:19] op_sel:[0,0,1] op_sel_hi:[1,0,0]
	v_mov_b32_e32 v4, v37
	v_mov_b32_e32 v21, v5
	s_waitcnt lgkmcnt(2)
	v_pk_mul_f32 v[4:5], v[6:7], v[4:5] op_sel_hi:[1,0]
	v_pk_fma_f32 v[18:19], v[6:7], v[36:37], v[4:5] op_sel:[0,0,1] op_sel_hi:[1,1,0] neg_lo:[0,0,1] neg_hi:[0,0,1]
	v_pk_fma_f32 v[4:5], v[6:7], v[36:37], v[4:5] op_sel:[0,0,1] op_sel_hi:[1,0,0]
	s_waitcnt vmcnt(9)
	v_mov_b32_e32 v4, v43
	v_mov_b32_e32 v19, v5
	v_pk_mul_f32 v[4:5], v[8:9], v[4:5] op_sel_hi:[1,0]
	v_pk_add_f32 v[2:3], v[2:3], v[20:21]
	v_pk_add_f32 v[2:3], v[2:3], v[18:19]
	s_waitcnt vmcnt(2)
	v_pk_fma_f32 v[6:7], v[8:9], v[42:43], v[4:5] op_sel:[0,0,1] op_sel_hi:[1,1,0] neg_lo:[0,0,1] neg_hi:[0,0,1]
	v_pk_fma_f32 v[4:5], v[8:9], v[42:43], v[4:5] op_sel:[0,0,1] op_sel_hi:[1,0,0]
	v_mov_b32_e32 v4, v49
	v_mov_b32_e32 v7, v5
	s_waitcnt lgkmcnt(1)
	v_pk_mul_f32 v[4:5], v[10:11], v[4:5] op_sel_hi:[1,0]
	v_pk_add_f32 v[2:3], v[2:3], v[6:7]
	v_pk_fma_f32 v[6:7], v[10:11], v[48:49], v[4:5] op_sel:[0,0,1] op_sel_hi:[1,1,0] neg_lo:[0,0,1] neg_hi:[0,0,1]
	v_pk_fma_f32 v[4:5], v[10:11], v[48:49], v[4:5] op_sel:[0,0,1] op_sel_hi:[1,0,0]
	v_mov_b32_e32 v4, v47
	v_mov_b32_e32 v7, v5
	v_pk_mul_f32 v[4:5], v[12:13], v[4:5] op_sel_hi:[1,0]
	v_pk_add_f32 v[2:3], v[2:3], v[6:7]
	v_pk_fma_f32 v[6:7], v[12:13], v[46:47], v[4:5] op_sel:[0,0,1] op_sel_hi:[1,1,0] neg_lo:[0,0,1] neg_hi:[0,0,1]
	v_pk_fma_f32 v[4:5], v[12:13], v[46:47], v[4:5] op_sel:[0,0,1] op_sel_hi:[1,0,0]
	v_mov_b32_e32 v4, v45
	v_mov_b32_e32 v7, v5
	s_waitcnt lgkmcnt(0)
	v_pk_mul_f32 v[4:5], v[14:15], v[4:5] op_sel_hi:[1,0]
	v_pk_add_f32 v[2:3], v[2:3], v[6:7]
	v_pk_fma_f32 v[6:7], v[14:15], v[44:45], v[4:5] op_sel:[0,0,1] op_sel_hi:[1,1,0] neg_lo:[0,0,1] neg_hi:[0,0,1]
	v_pk_fma_f32 v[4:5], v[14:15], v[44:45], v[4:5] op_sel:[0,0,1] op_sel_hi:[1,0,0]
	s_waitcnt vmcnt(1)
	v_mov_b32_e32 v4, v57
	v_mov_b32_e32 v7, v5
	v_pk_mul_f32 v[4:5], v[16:17], v[4:5] op_sel_hi:[1,0]
	v_pk_add_f32 v[2:3], v[2:3], v[6:7]
	s_waitcnt vmcnt(0)
	v_pk_fma_f32 v[6:7], v[16:17], v[56:57], v[4:5] op_sel:[0,0,1] op_sel_hi:[1,1,0] neg_lo:[0,0,1] neg_hi:[0,0,1]
	v_pk_fma_f32 v[4:5], v[16:17], v[56:57], v[4:5] op_sel:[0,0,1] op_sel_hi:[1,0,0]
	v_mov_b32_e32 v7, v5
	v_pk_add_f32 v[2:3], v[2:3], v[6:7]
	v_pk_add_f32 v[2:3], v[34:35], v[2:3] neg_lo:[0,1] neg_hi:[0,1]
	buffer_store_dword v3, off, s[0:3], 0 offset:252
	buffer_store_dword v2, off, s[0:3], 0 offset:248
	s_and_saveexec_b64 s[4:5], vcc
	s_cbranch_execz .LBB119_289
; %bb.288:
	buffer_load_dword v2, off, s[0:3], 0 offset:240
	buffer_load_dword v3, off, s[0:3], 0 offset:244
	v_mov_b32_e32 v1, 0
	buffer_store_dword v1, off, s[0:3], 0 offset:240
	buffer_store_dword v1, off, s[0:3], 0 offset:244
	s_waitcnt vmcnt(2)
	ds_write_b64 v161, v[2:3]
.LBB119_289:
	s_or_b64 exec, exec, s[4:5]
	s_waitcnt lgkmcnt(0)
	; wave barrier
	s_waitcnt lgkmcnt(0)
	buffer_load_dword v56, off, s[0:3], 0 offset:252
	buffer_load_dword v58, off, s[0:3], 0 offset:260
	;; [unrolled: 1-line block ×36, first 2 shown]
	v_mov_b32_e32 v1, 0
	buffer_load_dword v45, off, s[0:3], 0 offset:396
	buffer_load_dword v44, off, s[0:3], 0 offset:392
	;; [unrolled: 1-line block ×5, first 2 shown]
	ds_read2_b64 v[4:7], v1 offset0:87 offset1:88
	ds_read2_b64 v[8:11], v1 offset0:89 offset1:90
	;; [unrolled: 1-line block ×8, first 2 shown]
	v_cmp_lt_u32_e32 vcc, 29, v0
	s_waitcnt vmcnt(40) lgkmcnt(7)
	v_mul_f32_e32 v36, v4, v56
	s_waitcnt vmcnt(39)
	v_mul_f32_e32 v37, v6, v58
	s_waitcnt vmcnt(38) lgkmcnt(6)
	v_mul_f32_e32 v38, v8, v60
	s_waitcnt vmcnt(37)
	v_mul_f32_e32 v39, v10, v66
	s_waitcnt vmcnt(36) lgkmcnt(5)
	v_mul_f32_e32 v40, v12, v67
	s_waitcnt vmcnt(35)
	v_mul_f32_e32 v41, v14, v68
	s_waitcnt vmcnt(34) lgkmcnt(4)
	v_mul_f32_e32 v42, v16, v69
	s_waitcnt vmcnt(33)
	v_mul_f32_e32 v43, v18, v70
	s_waitcnt vmcnt(32) lgkmcnt(3)
	v_mul_f32_e32 v48, v20, v71
	s_waitcnt vmcnt(31)
	v_mul_f32_e32 v50, v22, v72
	s_waitcnt vmcnt(30) lgkmcnt(2)
	v_mul_f32_e32 v51, v24, v73
	s_waitcnt vmcnt(29)
	v_mul_f32_e32 v52, v26, v74
	s_waitcnt vmcnt(28) lgkmcnt(1)
	v_mul_f32_e32 v53, v28, v75
	s_waitcnt vmcnt(27)
	v_mul_f32_e32 v54, v30, v76
	s_waitcnt vmcnt(26) lgkmcnt(0)
	v_mul_f32_e32 v57, v32, v77
	s_waitcnt vmcnt(25)
	v_fmac_f32_e32 v36, v5, v78
	s_waitcnt vmcnt(24)
	v_fmac_f32_e32 v37, v7, v79
	v_add_f32_e32 v36, 0, v36
	s_waitcnt vmcnt(23)
	v_fmac_f32_e32 v38, v9, v80
	v_add_f32_e32 v36, v36, v37
	s_waitcnt vmcnt(22)
	v_fmac_f32_e32 v39, v11, v81
	v_add_f32_e32 v36, v36, v38
	s_waitcnt vmcnt(21)
	v_fmac_f32_e32 v40, v13, v82
	v_add_f32_e32 v36, v36, v39
	s_waitcnt vmcnt(20)
	v_fmac_f32_e32 v41, v15, v83
	v_add_f32_e32 v36, v36, v40
	s_waitcnt vmcnt(19)
	v_fmac_f32_e32 v42, v17, v84
	v_add_f32_e32 v36, v36, v41
	s_waitcnt vmcnt(18)
	v_fmac_f32_e32 v43, v19, v85
	v_add_f32_e32 v36, v36, v42
	s_waitcnt vmcnt(17)
	v_fmac_f32_e32 v48, v21, v86
	v_add_f32_e32 v36, v36, v43
	s_waitcnt vmcnt(16)
	v_fmac_f32_e32 v50, v23, v87
	v_add_f32_e32 v36, v36, v48
	s_waitcnt vmcnt(15)
	v_fmac_f32_e32 v51, v25, v88
	v_add_f32_e32 v36, v36, v50
	s_waitcnt vmcnt(14)
	v_fmac_f32_e32 v52, v27, v89
	v_add_f32_e32 v36, v36, v51
	s_waitcnt vmcnt(13)
	v_fmac_f32_e32 v53, v29, v90
	v_add_f32_e32 v36, v36, v52
	s_waitcnt vmcnt(12)
	v_fmac_f32_e32 v54, v31, v91
	v_add_f32_e32 v36, v36, v53
	v_add_f32_e32 v40, v36, v54
	buffer_load_dword v51, off, s[0:3], 0 offset:428
	buffer_load_dword v50, off, s[0:3], 0 offset:424
	buffer_load_dword v53, off, s[0:3], 0 offset:420
	buffer_load_dword v52, off, s[0:3], 0 offset:416
	buffer_load_dword v55, off, s[0:3], 0 offset:412
	buffer_load_dword v54, off, s[0:3], 0 offset:408
	buffer_load_dword v48, off, s[0:3], 0 offset:400
	s_waitcnt vmcnt(18)
	v_fmac_f32_e32 v57, v33, v92
	ds_read2_b64 v[36:39], v1 offset0:103 offset1:104
	v_add_f32_e32 v57, v40, v57
	ds_read2_b64 v[40:43], v1 offset0:105 offset1:106
	buffer_load_dword v63, off, s[0:3], 0 offset:444
	buffer_load_dword v62, off, s[0:3], 0 offset:440
	;; [unrolled: 1-line block ×4, first 2 shown]
	v_mul_f32_e32 v5, v5, v56
	v_fma_f32 v4, v4, v78, -v5
	v_mul_f32_e32 v5, v7, v58
	v_add_f32_e32 v4, 0, v4
	v_fma_f32 v5, v6, v79, -v5
	v_add_f32_e32 v4, v4, v5
	v_mul_f32_e32 v5, v9, v60
	v_fma_f32 v5, v8, v80, -v5
	v_add_f32_e32 v4, v4, v5
	v_mul_f32_e32 v5, v11, v66
	;; [unrolled: 3-line block ×13, first 2 shown]
	v_fma_f32 v5, v32, v92, -v5
	s_waitcnt vmcnt(13)
	v_mov_b32_e32 v16, v47
	v_mul_f32_e32 v59, v34, v93
	v_add_f32_e32 v56, v4, v5
	v_mul_f32_e32 v4, v35, v93
	s_waitcnt lgkmcnt(1)
	v_pk_mul_f32 v[16:17], v[38:39], v[16:17] op_sel_hi:[1,0]
	v_fmac_f32_e32 v59, v35, v94
	v_mul_f32_e32 v61, v36, v95
	v_fma_f32 v58, v34, v94, -v4
	v_mul_f32_e32 v4, v37, v95
	s_waitcnt vmcnt(12)
	v_pk_fma_f32 v[18:19], v[38:39], v[46:47], v[16:17] op_sel:[0,0,1] op_sel_hi:[1,1,0] neg_lo:[0,0,1] neg_hi:[0,0,1]
	v_pk_fma_f32 v[16:17], v[38:39], v[46:47], v[16:17] op_sel:[0,0,1] op_sel_hi:[1,0,0]
	v_fmac_f32_e32 v61, v37, v96
	v_fma_f32 v60, v36, v96, -v4
	v_pk_add_f32 v[14:15], v[56:57], v[58:59]
	v_mov_b32_e32 v16, v45
	v_pk_add_f32 v[14:15], v[14:15], v[60:61]
	v_mov_b32_e32 v19, v17
	s_waitcnt lgkmcnt(0)
	v_pk_mul_f32 v[16:17], v[40:41], v[16:17] op_sel_hi:[1,0]
	v_pk_add_f32 v[14:15], v[14:15], v[18:19]
	v_pk_fma_f32 v[18:19], v[40:41], v[44:45], v[16:17] op_sel:[0,0,1] op_sel_hi:[1,1,0] neg_lo:[0,0,1] neg_hi:[0,0,1]
	v_pk_fma_f32 v[16:17], v[40:41], v[44:45], v[16:17] op_sel:[0,0,1] op_sel_hi:[1,0,0]
	s_waitcnt vmcnt(11)
	v_mov_b32_e32 v16, v49
	ds_read2_b64 v[4:7], v1 offset0:107 offset1:108
	ds_read2_b64 v[8:11], v1 offset0:109 offset1:110
	ds_read_b64 v[12:13], v1 offset:888
	v_mov_b32_e32 v19, v17
	v_pk_mul_f32 v[16:17], v[42:43], v[16:17] op_sel_hi:[1,0]
	v_pk_add_f32 v[14:15], v[14:15], v[18:19]
	s_waitcnt vmcnt(4)
	v_pk_fma_f32 v[18:19], v[42:43], v[48:49], v[16:17] op_sel:[0,0,1] op_sel_hi:[1,1,0] neg_lo:[0,0,1] neg_hi:[0,0,1]
	v_pk_fma_f32 v[16:17], v[42:43], v[48:49], v[16:17] op_sel:[0,0,1] op_sel_hi:[1,0,0]
	v_mov_b32_e32 v16, v55
	v_mov_b32_e32 v19, v17
	s_waitcnt lgkmcnt(2)
	v_pk_mul_f32 v[16:17], v[4:5], v[16:17] op_sel_hi:[1,0]
	v_pk_add_f32 v[14:15], v[14:15], v[18:19]
	v_pk_fma_f32 v[18:19], v[4:5], v[54:55], v[16:17] op_sel:[0,0,1] op_sel_hi:[1,1,0] neg_lo:[0,0,1] neg_hi:[0,0,1]
	v_pk_fma_f32 v[4:5], v[4:5], v[54:55], v[16:17] op_sel:[0,0,1] op_sel_hi:[1,0,0]
	v_mov_b32_e32 v19, v5
	v_pk_add_f32 v[4:5], v[14:15], v[18:19]
	v_mov_b32_e32 v14, v53
	v_pk_mul_f32 v[14:15], v[6:7], v[14:15] op_sel_hi:[1,0]
	v_pk_fma_f32 v[16:17], v[6:7], v[52:53], v[14:15] op_sel:[0,0,1] op_sel_hi:[1,1,0] neg_lo:[0,0,1] neg_hi:[0,0,1]
	v_pk_fma_f32 v[6:7], v[6:7], v[52:53], v[14:15] op_sel:[0,0,1] op_sel_hi:[1,0,0]
	v_mov_b32_e32 v6, v51
	v_mov_b32_e32 v17, v7
	s_waitcnt lgkmcnt(1)
	v_pk_mul_f32 v[6:7], v[8:9], v[6:7] op_sel_hi:[1,0]
	v_pk_fma_f32 v[14:15], v[8:9], v[50:51], v[6:7] op_sel:[0,0,1] op_sel_hi:[1,1,0] neg_lo:[0,0,1] neg_hi:[0,0,1]
	v_pk_fma_f32 v[6:7], v[8:9], v[50:51], v[6:7] op_sel:[0,0,1] op_sel_hi:[1,0,0]
	s_waitcnt vmcnt(1)
	v_mov_b32_e32 v6, v65
	v_mov_b32_e32 v15, v7
	v_pk_mul_f32 v[6:7], v[10:11], v[6:7] op_sel_hi:[1,0]
	s_waitcnt vmcnt(0)
	v_pk_fma_f32 v[8:9], v[10:11], v[64:65], v[6:7] op_sel:[0,0,1] op_sel_hi:[1,1,0] neg_lo:[0,0,1] neg_hi:[0,0,1]
	v_pk_fma_f32 v[6:7], v[10:11], v[64:65], v[6:7] op_sel:[0,0,1] op_sel_hi:[1,0,0]
	v_pk_add_f32 v[4:5], v[4:5], v[16:17]
	v_mov_b32_e32 v6, v63
	v_pk_add_f32 v[4:5], v[4:5], v[14:15]
	v_mov_b32_e32 v9, v7
	s_waitcnt lgkmcnt(0)
	v_pk_mul_f32 v[6:7], v[12:13], v[6:7] op_sel_hi:[1,0]
	v_pk_add_f32 v[4:5], v[4:5], v[8:9]
	v_pk_fma_f32 v[8:9], v[12:13], v[62:63], v[6:7] op_sel:[0,0,1] op_sel_hi:[1,1,0] neg_lo:[0,0,1] neg_hi:[0,0,1]
	v_pk_fma_f32 v[6:7], v[12:13], v[62:63], v[6:7] op_sel:[0,0,1] op_sel_hi:[1,0,0]
	v_mov_b32_e32 v9, v7
	v_pk_add_f32 v[4:5], v[4:5], v[8:9]
	v_pk_add_f32 v[2:3], v[2:3], v[4:5] neg_lo:[0,1] neg_hi:[0,1]
	buffer_store_dword v3, off, s[0:3], 0 offset:244
	buffer_store_dword v2, off, s[0:3], 0 offset:240
	s_and_saveexec_b64 s[4:5], vcc
	s_cbranch_execz .LBB119_291
; %bb.290:
	buffer_load_dword v2, off, s[0:3], 0 offset:232
	buffer_load_dword v3, off, s[0:3], 0 offset:236
	s_waitcnt vmcnt(0)
	ds_write_b64 v161, v[2:3]
	buffer_store_dword v1, off, s[0:3], 0 offset:232
	buffer_store_dword v1, off, s[0:3], 0 offset:236
.LBB119_291:
	s_or_b64 exec, exec, s[4:5]
	s_waitcnt lgkmcnt(0)
	; wave barrier
	s_waitcnt lgkmcnt(0)
	buffer_load_dword v54, off, s[0:3], 0 offset:244
	buffer_load_dword v56, off, s[0:3], 0 offset:252
	;; [unrolled: 1-line block ×38, first 2 shown]
	ds_read_b128 v[2:5], v1 offset:688
	ds_read_b128 v[6:9], v1 offset:704
	;; [unrolled: 1-line block ×8, first 2 shown]
	buffer_load_dword v45, off, s[0:3], 0 offset:388
	buffer_load_dword v44, off, s[0:3], 0 offset:384
	;; [unrolled: 1-line block ×4, first 2 shown]
	v_cmp_lt_u32_e32 vcc, 28, v0
	s_waitcnt vmcnt(41) lgkmcnt(7)
	v_mul_f32_e32 v34, v2, v54
	s_waitcnt vmcnt(40)
	v_mul_f32_e32 v35, v4, v56
	s_waitcnt vmcnt(39) lgkmcnt(6)
	v_mul_f32_e32 v36, v6, v58
	s_waitcnt vmcnt(38)
	v_mul_f32_e32 v37, v8, v66
	;; [unrolled: 4-line block ×7, first 2 shown]
	s_waitcnt vmcnt(27) lgkmcnt(0)
	v_mul_f32_e32 v55, v30, v77
	s_waitcnt vmcnt(26)
	v_fmac_f32_e32 v34, v3, v78
	s_waitcnt vmcnt(25)
	v_fmac_f32_e32 v35, v5, v79
	v_add_f32_e32 v34, 0, v34
	s_waitcnt vmcnt(24)
	v_fmac_f32_e32 v36, v7, v80
	v_add_f32_e32 v34, v34, v35
	;; [unrolled: 3-line block ×13, first 2 shown]
	v_add_f32_e32 v34, v34, v53
	buffer_load_dword v49, off, s[0:3], 0 offset:412
	buffer_load_dword v48, off, s[0:3], 0 offset:408
	;; [unrolled: 1-line block ×6, first 2 shown]
	s_waitcnt vmcnt(18)
	v_fmac_f32_e32 v55, v31, v92
	s_waitcnt vmcnt(17)
	v_mul_f32_e32 v39, v32, v93
	v_add_f32_e32 v38, v34, v55
	s_waitcnt vmcnt(16)
	v_fmac_f32_e32 v39, v33, v94
	ds_read_b128 v[34:37], v1 offset:816
	v_add_f32_e32 v55, v38, v39
	ds_read_b128 v[38:41], v1 offset:832
	buffer_load_dword v61, off, s[0:3], 0 offset:444
	buffer_load_dword v60, off, s[0:3], 0 offset:440
	;; [unrolled: 1-line block ×6, first 2 shown]
	v_mul_f32_e32 v3, v3, v54
	v_fma_f32 v2, v2, v78, -v3
	v_mul_f32_e32 v3, v5, v56
	v_add_f32_e32 v2, 0, v2
	v_fma_f32 v3, v4, v79, -v3
	v_add_f32_e32 v2, v2, v3
	v_mul_f32_e32 v3, v7, v58
	v_fma_f32 v3, v6, v80, -v3
	v_add_f32_e32 v2, v2, v3
	v_mul_f32_e32 v3, v9, v66
	;; [unrolled: 3-line block ×14, first 2 shown]
	v_fma_f32 v3, v32, v94, -v3
	s_waitcnt vmcnt(15)
	v_mov_b32_e32 v16, v45
	s_waitcnt lgkmcnt(1)
	v_mul_f32_e32 v57, v34, v95
	v_add_f32_e32 v54, v2, v3
	v_mul_f32_e32 v2, v35, v95
	s_waitcnt lgkmcnt(0)
	v_pk_mul_f32 v[16:17], v[38:39], v[16:17] op_sel_hi:[1,0]
	v_fmac_f32_e32 v57, v35, v96
	v_mul_f32_e32 v59, v36, v97
	v_fma_f32 v56, v34, v96, -v2
	v_mul_f32_e32 v2, v37, v97
	s_waitcnt vmcnt(14)
	v_pk_fma_f32 v[18:19], v[38:39], v[44:45], v[16:17] op_sel:[0,0,1] op_sel_hi:[1,1,0] neg_lo:[0,0,1] neg_hi:[0,0,1]
	v_pk_fma_f32 v[16:17], v[38:39], v[44:45], v[16:17] op_sel:[0,0,1] op_sel_hi:[1,0,0]
	v_fmac_f32_e32 v59, v37, v98
	v_fma_f32 v58, v36, v98, -v2
	v_pk_add_f32 v[14:15], v[54:55], v[56:57]
	ds_read_b128 v[2:5], v1 offset:848
	ds_read_b128 v[6:9], v1 offset:864
	;; [unrolled: 1-line block ×3, first 2 shown]
	v_pk_add_f32 v[14:15], v[14:15], v[58:59]
	v_mov_b32_e32 v19, v17
	v_pk_add_f32 v[14:15], v[14:15], v[18:19]
	s_waitcnt vmcnt(7)
	v_mov_b32_e32 v16, v53
	v_pk_mul_f32 v[16:17], v[40:41], v[16:17] op_sel_hi:[1,0]
	s_waitcnt vmcnt(6)
	v_pk_fma_f32 v[18:19], v[40:41], v[52:53], v[16:17] op_sel:[0,0,1] op_sel_hi:[1,1,0] neg_lo:[0,0,1] neg_hi:[0,0,1]
	v_pk_fma_f32 v[16:17], v[40:41], v[52:53], v[16:17] op_sel:[0,0,1] op_sel_hi:[1,0,0]
	v_mov_b32_e32 v16, v51
	v_mov_b32_e32 v19, v17
	s_waitcnt lgkmcnt(2)
	v_pk_mul_f32 v[16:17], v[2:3], v[16:17] op_sel_hi:[1,0]
	v_pk_add_f32 v[14:15], v[14:15], v[18:19]
	v_pk_fma_f32 v[18:19], v[2:3], v[50:51], v[16:17] op_sel:[0,0,1] op_sel_hi:[1,1,0] neg_lo:[0,0,1] neg_hi:[0,0,1]
	v_pk_fma_f32 v[2:3], v[2:3], v[50:51], v[16:17] op_sel:[0,0,1] op_sel_hi:[1,0,0]
	v_mov_b32_e32 v19, v3
	v_pk_add_f32 v[2:3], v[14:15], v[18:19]
	v_mov_b32_e32 v14, v49
	v_pk_mul_f32 v[14:15], v[4:5], v[14:15] op_sel_hi:[1,0]
	v_pk_fma_f32 v[16:17], v[4:5], v[48:49], v[14:15] op_sel:[0,0,1] op_sel_hi:[1,1,0] neg_lo:[0,0,1] neg_hi:[0,0,1]
	v_pk_fma_f32 v[4:5], v[4:5], v[48:49], v[14:15] op_sel:[0,0,1] op_sel_hi:[1,0,0]
	v_mov_b32_e32 v4, v47
	v_mov_b32_e32 v17, v5
	s_waitcnt lgkmcnt(1)
	v_pk_mul_f32 v[4:5], v[6:7], v[4:5] op_sel_hi:[1,0]
	v_pk_fma_f32 v[14:15], v[6:7], v[46:47], v[4:5] op_sel:[0,0,1] op_sel_hi:[1,1,0] neg_lo:[0,0,1] neg_hi:[0,0,1]
	v_pk_fma_f32 v[4:5], v[6:7], v[46:47], v[4:5] op_sel:[0,0,1] op_sel_hi:[1,0,0]
	s_waitcnt vmcnt(1)
	v_mov_b32_e32 v4, v65
	v_mov_b32_e32 v15, v5
	v_pk_mul_f32 v[4:5], v[8:9], v[4:5] op_sel_hi:[1,0]
	s_waitcnt vmcnt(0)
	v_pk_fma_f32 v[6:7], v[8:9], v[64:65], v[4:5] op_sel:[0,0,1] op_sel_hi:[1,1,0] neg_lo:[0,0,1] neg_hi:[0,0,1]
	v_pk_fma_f32 v[4:5], v[8:9], v[64:65], v[4:5] op_sel:[0,0,1] op_sel_hi:[1,0,0]
	v_pk_add_f32 v[2:3], v[2:3], v[16:17]
	v_mov_b32_e32 v4, v63
	v_pk_add_f32 v[2:3], v[2:3], v[14:15]
	v_mov_b32_e32 v7, v5
	s_waitcnt lgkmcnt(0)
	v_pk_mul_f32 v[4:5], v[10:11], v[4:5] op_sel_hi:[1,0]
	v_pk_add_f32 v[2:3], v[2:3], v[6:7]
	v_pk_fma_f32 v[6:7], v[10:11], v[62:63], v[4:5] op_sel:[0,0,1] op_sel_hi:[1,1,0] neg_lo:[0,0,1] neg_hi:[0,0,1]
	v_pk_fma_f32 v[4:5], v[10:11], v[62:63], v[4:5] op_sel:[0,0,1] op_sel_hi:[1,0,0]
	v_mov_b32_e32 v4, v61
	v_mov_b32_e32 v7, v5
	v_pk_mul_f32 v[4:5], v[12:13], v[4:5] op_sel_hi:[1,0]
	v_pk_add_f32 v[2:3], v[2:3], v[6:7]
	v_pk_fma_f32 v[6:7], v[12:13], v[60:61], v[4:5] op_sel:[0,0,1] op_sel_hi:[1,1,0] neg_lo:[0,0,1] neg_hi:[0,0,1]
	v_pk_fma_f32 v[4:5], v[12:13], v[60:61], v[4:5] op_sel:[0,0,1] op_sel_hi:[1,0,0]
	v_mov_b32_e32 v7, v5
	v_pk_add_f32 v[2:3], v[2:3], v[6:7]
	v_pk_add_f32 v[2:3], v[42:43], v[2:3] neg_lo:[0,1] neg_hi:[0,1]
	buffer_store_dword v3, off, s[0:3], 0 offset:236
	buffer_store_dword v2, off, s[0:3], 0 offset:232
	s_and_saveexec_b64 s[4:5], vcc
	s_cbranch_execz .LBB119_293
; %bb.292:
	buffer_load_dword v2, off, s[0:3], 0 offset:224
	buffer_load_dword v3, off, s[0:3], 0 offset:228
	v_mov_b32_e32 v1, 0
	buffer_store_dword v1, off, s[0:3], 0 offset:224
	buffer_store_dword v1, off, s[0:3], 0 offset:228
	s_waitcnt vmcnt(2)
	ds_write_b64 v161, v[2:3]
.LBB119_293:
	s_or_b64 exec, exec, s[4:5]
	s_waitcnt lgkmcnt(0)
	; wave barrier
	s_waitcnt lgkmcnt(0)
	buffer_load_dword v52, off, s[0:3], 0 offset:236
	buffer_load_dword v54, off, s[0:3], 0 offset:244
	;; [unrolled: 1-line block ×40, first 2 shown]
	v_mov_b32_e32 v1, 0
	ds_read2_b64 v[4:7], v1 offset0:85 offset1:86
	ds_read2_b64 v[8:11], v1 offset0:87 offset1:88
	;; [unrolled: 1-line block ×8, first 2 shown]
	v_cmp_lt_u32_e32 vcc, 27, v0
	s_waitcnt vmcnt(39) lgkmcnt(7)
	v_mul_f32_e32 v36, v4, v52
	s_waitcnt vmcnt(38)
	v_mul_f32_e32 v37, v6, v54
	s_waitcnt vmcnt(37) lgkmcnt(6)
	v_mul_f32_e32 v38, v8, v56
	s_waitcnt vmcnt(36)
	v_mul_f32_e32 v39, v10, v66
	;; [unrolled: 4-line block ×8, first 2 shown]
	s_waitcnt vmcnt(23)
	v_fmac_f32_e32 v36, v5, v79
	s_waitcnt vmcnt(22)
	v_fmac_f32_e32 v37, v7, v80
	v_add_f32_e32 v36, 0, v36
	s_waitcnt vmcnt(21)
	v_fmac_f32_e32 v38, v9, v81
	v_add_f32_e32 v36, v36, v37
	;; [unrolled: 3-line block ×14, first 2 shown]
	v_add_f32_e32 v36, v36, v50
	s_waitcnt vmcnt(8)
	v_fmac_f32_e32 v51, v35, v94
	v_add_f32_e32 v53, v36, v51
	ds_read2_b64 v[36:39], v1 offset0:101 offset1:102
	buffer_load_dword v45, off, s[0:3], 0 offset:388
	buffer_load_dword v47, off, s[0:3], 0 offset:412
	;; [unrolled: 1-line block ×8, first 2 shown]
	ds_read2_b64 v[40:43], v1 offset0:103 offset1:104
	buffer_load_dword v59, off, s[0:3], 0 offset:444
	buffer_load_dword v58, off, s[0:3], 0 offset:440
	;; [unrolled: 1-line block ×8, first 2 shown]
	v_mul_f32_e32 v5, v5, v52
	v_fma_f32 v4, v4, v79, -v5
	v_mul_f32_e32 v5, v7, v54
	v_add_f32_e32 v4, 0, v4
	v_fma_f32 v5, v6, v80, -v5
	v_add_f32_e32 v4, v4, v5
	v_mul_f32_e32 v5, v9, v56
	v_fma_f32 v5, v8, v81, -v5
	v_add_f32_e32 v4, v4, v5
	v_mul_f32_e32 v5, v11, v66
	;; [unrolled: 3-line block ×14, first 2 shown]
	v_fma_f32 v5, v34, v94, -v5
	v_add_f32_e32 v4, v4, v5
	s_waitcnt vmcnt(23) lgkmcnt(1)
	v_mul_f32_e32 v5, v37, v95
	v_mul_f32_e32 v55, v36, v95
	s_waitcnt vmcnt(22)
	v_fma_f32 v5, v36, v96, -v5
	v_fmac_f32_e32 v55, v37, v96
	v_add_f32_e32 v52, v4, v5
	s_waitcnt vmcnt(21)
	v_mul_f32_e32 v4, v39, v97
	v_add_f32_e32 v53, v53, v55
	v_mul_f32_e32 v55, v38, v97
	s_waitcnt vmcnt(20)
	v_fma_f32 v54, v38, v98, -v4
	s_waitcnt vmcnt(19) lgkmcnt(0)
	v_mul_f32_e32 v4, v41, v99
	v_fmac_f32_e32 v55, v39, v98
	v_mul_f32_e32 v57, v40, v99
	s_waitcnt vmcnt(18)
	v_fma_f32 v56, v40, v100, -v4
	ds_read2_b64 v[4:7], v1 offset0:105 offset1:106
	ds_read2_b64 v[8:11], v1 offset0:107 offset1:108
	;; [unrolled: 1-line block ×3, first 2 shown]
	ds_read_b64 v[16:17], v1 offset:888
	v_fmac_f32_e32 v57, v41, v100
	v_pk_add_f32 v[18:19], v[52:53], v[54:55]
	v_pk_add_f32 v[18:19], v[18:19], v[56:57]
	s_waitcnt vmcnt(15)
	v_mov_b32_e32 v20, v45
	v_pk_mul_f32 v[20:21], v[42:43], v[20:21] op_sel_hi:[1,0]
	s_waitcnt vmcnt(8)
	v_pk_fma_f32 v[22:23], v[42:43], v[44:45], v[20:21] op_sel:[0,0,1] op_sel_hi:[1,1,0] neg_lo:[0,0,1] neg_hi:[0,0,1]
	v_pk_fma_f32 v[20:21], v[42:43], v[44:45], v[20:21] op_sel:[0,0,1] op_sel_hi:[1,0,0]
	v_mov_b32_e32 v20, v51
	v_mov_b32_e32 v23, v21
	s_waitcnt lgkmcnt(3)
	v_pk_mul_f32 v[20:21], v[4:5], v[20:21] op_sel_hi:[1,0]
	v_pk_add_f32 v[18:19], v[18:19], v[22:23]
	v_pk_fma_f32 v[22:23], v[4:5], v[50:51], v[20:21] op_sel:[0,0,1] op_sel_hi:[1,1,0] neg_lo:[0,0,1] neg_hi:[0,0,1]
	v_pk_fma_f32 v[4:5], v[4:5], v[50:51], v[20:21] op_sel:[0,0,1] op_sel_hi:[1,0,0]
	v_mov_b32_e32 v23, v5
	v_pk_add_f32 v[4:5], v[18:19], v[22:23]
	v_mov_b32_e32 v18, v49
	v_pk_mul_f32 v[18:19], v[6:7], v[18:19] op_sel_hi:[1,0]
	v_pk_fma_f32 v[20:21], v[6:7], v[48:49], v[18:19] op_sel:[0,0,1] op_sel_hi:[1,1,0] neg_lo:[0,0,1] neg_hi:[0,0,1]
	v_pk_fma_f32 v[6:7], v[6:7], v[48:49], v[18:19] op_sel:[0,0,1] op_sel_hi:[1,0,0]
	v_mov_b32_e32 v6, v47
	v_mov_b32_e32 v21, v7
	s_waitcnt lgkmcnt(2)
	v_pk_mul_f32 v[6:7], v[8:9], v[6:7] op_sel_hi:[1,0]
	v_pk_fma_f32 v[18:19], v[8:9], v[46:47], v[6:7] op_sel:[0,0,1] op_sel_hi:[1,1,0] neg_lo:[0,0,1] neg_hi:[0,0,1]
	v_pk_fma_f32 v[6:7], v[8:9], v[46:47], v[6:7] op_sel:[0,0,1] op_sel_hi:[1,0,0]
	s_waitcnt vmcnt(1)
	v_mov_b32_e32 v6, v65
	v_mov_b32_e32 v19, v7
	v_pk_mul_f32 v[6:7], v[10:11], v[6:7] op_sel_hi:[1,0]
	s_waitcnt vmcnt(0)
	v_pk_fma_f32 v[8:9], v[10:11], v[64:65], v[6:7] op_sel:[0,0,1] op_sel_hi:[1,1,0] neg_lo:[0,0,1] neg_hi:[0,0,1]
	v_pk_fma_f32 v[6:7], v[10:11], v[64:65], v[6:7] op_sel:[0,0,1] op_sel_hi:[1,0,0]
	v_pk_add_f32 v[4:5], v[4:5], v[20:21]
	v_mov_b32_e32 v6, v63
	v_pk_add_f32 v[4:5], v[4:5], v[18:19]
	v_mov_b32_e32 v9, v7
	s_waitcnt lgkmcnt(1)
	v_pk_mul_f32 v[6:7], v[12:13], v[6:7] op_sel_hi:[1,0]
	v_pk_add_f32 v[4:5], v[4:5], v[8:9]
	v_pk_fma_f32 v[8:9], v[12:13], v[62:63], v[6:7] op_sel:[0,0,1] op_sel_hi:[1,1,0] neg_lo:[0,0,1] neg_hi:[0,0,1]
	v_pk_fma_f32 v[6:7], v[12:13], v[62:63], v[6:7] op_sel:[0,0,1] op_sel_hi:[1,0,0]
	v_mov_b32_e32 v6, v61
	v_mov_b32_e32 v9, v7
	v_pk_mul_f32 v[6:7], v[14:15], v[6:7] op_sel_hi:[1,0]
	v_pk_add_f32 v[4:5], v[4:5], v[8:9]
	v_pk_fma_f32 v[8:9], v[14:15], v[60:61], v[6:7] op_sel:[0,0,1] op_sel_hi:[1,1,0] neg_lo:[0,0,1] neg_hi:[0,0,1]
	v_pk_fma_f32 v[6:7], v[14:15], v[60:61], v[6:7] op_sel:[0,0,1] op_sel_hi:[1,0,0]
	v_mov_b32_e32 v6, v59
	v_mov_b32_e32 v9, v7
	s_waitcnt lgkmcnt(0)
	v_pk_mul_f32 v[6:7], v[16:17], v[6:7] op_sel_hi:[1,0]
	v_pk_add_f32 v[4:5], v[4:5], v[8:9]
	v_pk_fma_f32 v[8:9], v[16:17], v[58:59], v[6:7] op_sel:[0,0,1] op_sel_hi:[1,1,0] neg_lo:[0,0,1] neg_hi:[0,0,1]
	v_pk_fma_f32 v[6:7], v[16:17], v[58:59], v[6:7] op_sel:[0,0,1] op_sel_hi:[1,0,0]
	v_mov_b32_e32 v9, v7
	v_pk_add_f32 v[4:5], v[4:5], v[8:9]
	v_pk_add_f32 v[2:3], v[2:3], v[4:5] neg_lo:[0,1] neg_hi:[0,1]
	buffer_store_dword v3, off, s[0:3], 0 offset:228
	buffer_store_dword v2, off, s[0:3], 0 offset:224
	s_and_saveexec_b64 s[4:5], vcc
	s_cbranch_execz .LBB119_295
; %bb.294:
	buffer_load_dword v2, off, s[0:3], 0 offset:216
	buffer_load_dword v3, off, s[0:3], 0 offset:220
	s_waitcnt vmcnt(0)
	ds_write_b64 v161, v[2:3]
	buffer_store_dword v1, off, s[0:3], 0 offset:216
	buffer_store_dword v1, off, s[0:3], 0 offset:220
.LBB119_295:
	s_or_b64 exec, exec, s[4:5]
	s_waitcnt lgkmcnt(0)
	; wave barrier
	s_waitcnt lgkmcnt(0)
	buffer_load_dword v44, off, s[0:3], 0 offset:228
	buffer_load_dword v46, off, s[0:3], 0 offset:236
	;; [unrolled: 1-line block ×42, first 2 shown]
	ds_read_b128 v[4:7], v1 offset:672
	ds_read_b128 v[8:11], v1 offset:688
	;; [unrolled: 1-line block ×8, first 2 shown]
	v_cmp_lt_u32_e32 vcc, 26, v0
	s_waitcnt vmcnt(41) lgkmcnt(7)
	v_mul_f32_e32 v36, v4, v44
	s_waitcnt vmcnt(40)
	v_mul_f32_e32 v37, v6, v46
	s_waitcnt vmcnt(39) lgkmcnt(6)
	v_mul_f32_e32 v38, v8, v54
	s_waitcnt vmcnt(38)
	v_mul_f32_e32 v39, v10, v66
	;; [unrolled: 4-line block ×7, first 2 shown]
	s_waitcnt vmcnt(27) lgkmcnt(0)
	v_mul_f32_e32 v52, v32, v77
	s_waitcnt vmcnt(26)
	v_fmac_f32_e32 v36, v5, v78
	s_waitcnt vmcnt(25)
	v_fmac_f32_e32 v37, v7, v79
	v_add_f32_e32 v36, 0, v36
	s_waitcnt vmcnt(24)
	v_fmac_f32_e32 v38, v9, v80
	v_add_f32_e32 v36, v36, v37
	;; [unrolled: 3-line block ×14, first 2 shown]
	s_waitcnt vmcnt(11)
	v_mul_f32_e32 v41, v34, v93
	v_add_f32_e32 v40, v36, v52
	s_waitcnt vmcnt(10)
	v_fmac_f32_e32 v41, v35, v94
	ds_read_b128 v[36:39], v1 offset:800
	v_add_f32_e32 v45, v40, v41
	ds_read_b128 v[40:43], v1 offset:816
	buffer_load_dword v49, off, s[0:3], 0 offset:388
	buffer_load_dword v51, off, s[0:3], 0 offset:404
	;; [unrolled: 1-line block ×16, first 2 shown]
	v_mul_f32_e32 v5, v5, v44
	v_fma_f32 v4, v4, v78, -v5
	v_mul_f32_e32 v5, v7, v46
	v_add_f32_e32 v4, 0, v4
	v_fma_f32 v5, v6, v79, -v5
	v_add_f32_e32 v4, v4, v5
	v_mul_f32_e32 v5, v9, v54
	v_fma_f32 v5, v8, v80, -v5
	v_add_f32_e32 v4, v4, v5
	v_mul_f32_e32 v5, v11, v66
	;; [unrolled: 3-line block ×14, first 2 shown]
	v_fma_f32 v5, v34, v94, -v5
	v_add_f32_e32 v4, v4, v5
	s_waitcnt vmcnt(25) lgkmcnt(1)
	v_mul_f32_e32 v5, v37, v95
	s_waitcnt vmcnt(24)
	v_fma_f32 v5, v36, v96, -v5
	v_add_f32_e32 v4, v4, v5
	s_waitcnt vmcnt(23)
	v_mul_f32_e32 v5, v39, v97
	v_mul_f32_e32 v47, v36, v95
	s_waitcnt vmcnt(22)
	v_fma_f32 v5, v38, v98, -v5
	v_fmac_f32_e32 v47, v37, v96
	v_add_f32_e32 v44, v4, v5
	s_waitcnt vmcnt(21) lgkmcnt(0)
	v_mul_f32_e32 v4, v41, v99
	v_add_f32_e32 v45, v45, v47
	v_mul_f32_e32 v47, v38, v97
	s_waitcnt vmcnt(20)
	v_fma_f32 v46, v40, v100, -v4
	s_waitcnt vmcnt(19)
	v_mul_f32_e32 v4, v43, v101
	v_fmac_f32_e32 v47, v39, v98
	s_waitcnt vmcnt(18)
	v_fma_f32 v54, v42, v102, -v4
	ds_read_b128 v[4:7], v1 offset:832
	ds_read_b128 v[8:11], v1 offset:848
	ds_read_b128 v[12:15], v1 offset:864
	ds_read_b128 v[16:19], v1 offset:880
	v_add_f32_e32 v45, v45, v47
	v_mul_f32_e32 v47, v40, v99
	v_fmac_f32_e32 v47, v41, v100
	v_mul_f32_e32 v55, v42, v101
	v_fmac_f32_e32 v55, v43, v102
	v_pk_add_f32 v[20:21], v[44:45], v[46:47]
	v_pk_add_f32 v[20:21], v[20:21], v[54:55]
	s_waitcnt vmcnt(15)
	v_mov_b32_e32 v22, v49
	s_waitcnt lgkmcnt(3)
	v_pk_mul_f32 v[22:23], v[4:5], v[22:23] op_sel_hi:[1,0]
	s_waitcnt vmcnt(10)
	v_pk_fma_f32 v[24:25], v[4:5], v[48:49], v[22:23] op_sel:[0,0,1] op_sel_hi:[1,1,0] neg_lo:[0,0,1] neg_hi:[0,0,1]
	v_pk_fma_f32 v[4:5], v[4:5], v[48:49], v[22:23] op_sel:[0,0,1] op_sel_hi:[1,0,0]
	v_mov_b32_e32 v25, v5
	v_pk_add_f32 v[4:5], v[20:21], v[24:25]
	v_mov_b32_e32 v20, v53
	v_pk_mul_f32 v[20:21], v[6:7], v[20:21] op_sel_hi:[1,0]
	v_pk_fma_f32 v[22:23], v[6:7], v[52:53], v[20:21] op_sel:[0,0,1] op_sel_hi:[1,1,0] neg_lo:[0,0,1] neg_hi:[0,0,1]
	v_pk_fma_f32 v[6:7], v[6:7], v[52:53], v[20:21] op_sel:[0,0,1] op_sel_hi:[1,0,0]
	v_mov_b32_e32 v6, v51
	v_mov_b32_e32 v23, v7
	s_waitcnt lgkmcnt(2)
	v_pk_mul_f32 v[6:7], v[8:9], v[6:7] op_sel_hi:[1,0]
	v_pk_fma_f32 v[20:21], v[8:9], v[50:51], v[6:7] op_sel:[0,0,1] op_sel_hi:[1,1,0] neg_lo:[0,0,1] neg_hi:[0,0,1]
	v_pk_fma_f32 v[6:7], v[8:9], v[50:51], v[6:7] op_sel:[0,0,1] op_sel_hi:[1,0,0]
	s_waitcnt vmcnt(3)
	v_mov_b32_e32 v6, v63
	v_mov_b32_e32 v21, v7
	v_pk_mul_f32 v[6:7], v[10:11], v[6:7] op_sel_hi:[1,0]
	s_waitcnt vmcnt(2)
	v_pk_fma_f32 v[8:9], v[10:11], v[62:63], v[6:7] op_sel:[0,0,1] op_sel_hi:[1,1,0] neg_lo:[0,0,1] neg_hi:[0,0,1]
	v_pk_fma_f32 v[6:7], v[10:11], v[62:63], v[6:7] op_sel:[0,0,1] op_sel_hi:[1,0,0]
	v_pk_add_f32 v[4:5], v[4:5], v[22:23]
	v_mov_b32_e32 v6, v61
	v_pk_add_f32 v[4:5], v[4:5], v[20:21]
	v_mov_b32_e32 v9, v7
	s_waitcnt lgkmcnt(1)
	v_pk_mul_f32 v[6:7], v[12:13], v[6:7] op_sel_hi:[1,0]
	v_pk_add_f32 v[4:5], v[4:5], v[8:9]
	v_pk_fma_f32 v[8:9], v[12:13], v[60:61], v[6:7] op_sel:[0,0,1] op_sel_hi:[1,1,0] neg_lo:[0,0,1] neg_hi:[0,0,1]
	v_pk_fma_f32 v[6:7], v[12:13], v[60:61], v[6:7] op_sel:[0,0,1] op_sel_hi:[1,0,0]
	v_mov_b32_e32 v6, v59
	v_mov_b32_e32 v9, v7
	v_pk_mul_f32 v[6:7], v[14:15], v[6:7] op_sel_hi:[1,0]
	v_pk_add_f32 v[4:5], v[4:5], v[8:9]
	v_pk_fma_f32 v[8:9], v[14:15], v[58:59], v[6:7] op_sel:[0,0,1] op_sel_hi:[1,1,0] neg_lo:[0,0,1] neg_hi:[0,0,1]
	v_pk_fma_f32 v[6:7], v[14:15], v[58:59], v[6:7] op_sel:[0,0,1] op_sel_hi:[1,0,0]
	v_mov_b32_e32 v6, v57
	v_mov_b32_e32 v9, v7
	s_waitcnt lgkmcnt(0)
	v_pk_mul_f32 v[6:7], v[16:17], v[6:7] op_sel_hi:[1,0]
	v_pk_add_f32 v[4:5], v[4:5], v[8:9]
	v_pk_fma_f32 v[8:9], v[16:17], v[56:57], v[6:7] op_sel:[0,0,1] op_sel_hi:[1,1,0] neg_lo:[0,0,1] neg_hi:[0,0,1]
	v_pk_fma_f32 v[6:7], v[16:17], v[56:57], v[6:7] op_sel:[0,0,1] op_sel_hi:[1,0,0]
	s_waitcnt vmcnt(1)
	v_mov_b32_e32 v6, v65
	v_mov_b32_e32 v9, v7
	v_pk_mul_f32 v[6:7], v[18:19], v[6:7] op_sel_hi:[1,0]
	v_pk_add_f32 v[4:5], v[4:5], v[8:9]
	s_waitcnt vmcnt(0)
	v_pk_fma_f32 v[8:9], v[18:19], v[64:65], v[6:7] op_sel:[0,0,1] op_sel_hi:[1,1,0] neg_lo:[0,0,1] neg_hi:[0,0,1]
	v_pk_fma_f32 v[6:7], v[18:19], v[64:65], v[6:7] op_sel:[0,0,1] op_sel_hi:[1,0,0]
	v_mov_b32_e32 v9, v7
	v_pk_add_f32 v[4:5], v[4:5], v[8:9]
	v_pk_add_f32 v[2:3], v[2:3], v[4:5] neg_lo:[0,1] neg_hi:[0,1]
	buffer_store_dword v3, off, s[0:3], 0 offset:220
	buffer_store_dword v2, off, s[0:3], 0 offset:216
	s_and_saveexec_b64 s[4:5], vcc
	s_cbranch_execz .LBB119_297
; %bb.296:
	buffer_load_dword v2, off, s[0:3], 0 offset:208
	buffer_load_dword v3, off, s[0:3], 0 offset:212
	v_mov_b32_e32 v1, 0
	buffer_store_dword v1, off, s[0:3], 0 offset:208
	buffer_store_dword v1, off, s[0:3], 0 offset:212
	s_waitcnt vmcnt(2)
	ds_write_b64 v161, v[2:3]
.LBB119_297:
	s_or_b64 exec, exec, s[4:5]
	s_waitcnt lgkmcnt(0)
	; wave barrier
	s_waitcnt lgkmcnt(0)
	buffer_load_dword v52, off, s[0:3], 0 offset:220
	buffer_load_dword v58, off, s[0:3], 0 offset:228
	;; [unrolled: 1-line block ×44, first 2 shown]
	v_mov_b32_e32 v1, 0
	ds_read2_b64 v[4:7], v1 offset0:83 offset1:84
	ds_read2_b64 v[8:11], v1 offset0:85 offset1:86
	;; [unrolled: 1-line block ×8, first 2 shown]
	v_cmp_lt_u32_e32 vcc, 25, v0
	s_waitcnt vmcnt(43) lgkmcnt(7)
	v_mul_f32_e32 v36, v4, v52
	s_waitcnt vmcnt(42)
	v_mul_f32_e32 v37, v6, v58
	s_waitcnt vmcnt(41) lgkmcnt(6)
	v_mul_f32_e32 v38, v8, v60
	s_waitcnt vmcnt(40)
	v_mul_f32_e32 v39, v10, v74
	;; [unrolled: 4-line block ×7, first 2 shown]
	s_waitcnt vmcnt(29)
	v_fmac_f32_e32 v36, v5, v85
	s_waitcnt vmcnt(28)
	v_fmac_f32_e32 v37, v7, v86
	v_add_f32_e32 v36, 0, v36
	s_waitcnt vmcnt(27)
	v_fmac_f32_e32 v38, v9, v87
	v_add_f32_e32 v36, v36, v37
	;; [unrolled: 3-line block ×12, first 2 shown]
	v_add_f32_e32 v36, v36, v48
	s_waitcnt vmcnt(16)
	v_fmac_f32_e32 v49, v31, v98
	s_waitcnt vmcnt(15) lgkmcnt(0)
	v_mul_f32_e32 v37, v32, v99
	v_add_f32_e32 v36, v36, v49
	s_waitcnt vmcnt(14)
	v_fmac_f32_e32 v37, v33, v100
	v_add_f32_e32 v40, v36, v37
	ds_read2_b64 v[36:39], v1 offset0:99 offset1:100
	s_waitcnt vmcnt(13)
	v_mul_f32_e32 v41, v34, v101
	s_waitcnt vmcnt(12)
	v_fmac_f32_e32 v41, v35, v102
	v_add_f32_e32 v44, v40, v41
	ds_read2_b64 v[40:43], v1 offset0:101 offset1:102
	s_waitcnt vmcnt(11) lgkmcnt(1)
	v_mul_f32_e32 v45, v36, v103
	s_waitcnt vmcnt(10)
	v_fmac_f32_e32 v45, v37, v104
	v_add_f32_e32 v44, v44, v45
	s_waitcnt vmcnt(9)
	v_mul_f32_e32 v45, v38, v105
	s_waitcnt vmcnt(8)
	v_fmac_f32_e32 v45, v39, v106
	v_add_f32_e32 v44, v44, v45
	s_waitcnt vmcnt(7) lgkmcnt(0)
	v_mul_f32_e32 v45, v40, v107
	s_waitcnt vmcnt(6)
	v_fmac_f32_e32 v45, v41, v108
	v_add_f32_e32 v53, v44, v45
	ds_read2_b64 v[44:47], v1 offset0:103 offset1:104
	buffer_load_dword v55, off, s[0:3], 0 offset:396
	buffer_load_dword v54, off, s[0:3], 0 offset:392
	;; [unrolled: 1-line block ×4, first 2 shown]
	ds_read2_b64 v[48:51], v1 offset0:105 offset1:106
	buffer_load_dword v63, off, s[0:3], 0 offset:428
	buffer_load_dword v62, off, s[0:3], 0 offset:424
	;; [unrolled: 1-line block ×12, first 2 shown]
	v_mul_f32_e32 v5, v5, v52
	v_fma_f32 v4, v4, v85, -v5
	v_mul_f32_e32 v5, v7, v58
	v_add_f32_e32 v4, 0, v4
	v_fma_f32 v5, v6, v86, -v5
	v_add_f32_e32 v4, v4, v5
	v_mul_f32_e32 v5, v9, v60
	v_fma_f32 v5, v8, v87, -v5
	v_add_f32_e32 v4, v4, v5
	v_mul_f32_e32 v5, v11, v74
	;; [unrolled: 3-line block ×17, first 2 shown]
	v_fma_f32 v5, v40, v108, -v5
	s_waitcnt vmcnt(21)
	v_mul_f32_e32 v59, v42, v109
	v_add_f32_e32 v52, v4, v5
	v_mul_f32_e32 v4, v43, v109
	s_waitcnt vmcnt(20)
	v_fmac_f32_e32 v59, v43, v110
	s_waitcnt vmcnt(19) lgkmcnt(1)
	v_mul_f32_e32 v61, v44, v111
	v_fma_f32 v58, v42, v110, -v4
	v_mul_f32_e32 v4, v45, v111
	s_waitcnt vmcnt(18)
	v_fmac_f32_e32 v61, v45, v112
	v_fma_f32 v60, v44, v112, -v4
	v_pk_add_f32 v[14:15], v[52:53], v[58:59]
	v_pk_add_f32 v[14:15], v[14:15], v[60:61]
	ds_read2_b64 v[4:7], v1 offset0:107 offset1:108
	ds_read2_b64 v[8:11], v1 offset0:109 offset1:110
	ds_read_b64 v[12:13], v1 offset:888
	s_waitcnt vmcnt(13)
	v_mov_b32_e32 v16, v57
	v_pk_mul_f32 v[16:17], v[46:47], v[16:17] op_sel_hi:[1,0]
	s_waitcnt vmcnt(12)
	v_pk_fma_f32 v[18:19], v[46:47], v[56:57], v[16:17] op_sel:[0,0,1] op_sel_hi:[1,1,0] neg_lo:[0,0,1] neg_hi:[0,0,1]
	v_pk_fma_f32 v[16:17], v[46:47], v[56:57], v[16:17] op_sel:[0,0,1] op_sel_hi:[1,0,0]
	v_mov_b32_e32 v16, v55
	v_mov_b32_e32 v19, v17
	s_waitcnt lgkmcnt(3)
	v_pk_mul_f32 v[16:17], v[48:49], v[16:17] op_sel_hi:[1,0]
	v_pk_add_f32 v[14:15], v[14:15], v[18:19]
	v_pk_fma_f32 v[18:19], v[48:49], v[54:55], v[16:17] op_sel:[0,0,1] op_sel_hi:[1,1,0] neg_lo:[0,0,1] neg_hi:[0,0,1]
	v_pk_fma_f32 v[16:17], v[48:49], v[54:55], v[16:17] op_sel:[0,0,1] op_sel_hi:[1,0,0]
	s_waitcnt vmcnt(5)
	v_mov_b32_e32 v16, v69
	v_mov_b32_e32 v19, v17
	v_pk_mul_f32 v[16:17], v[50:51], v[16:17] op_sel_hi:[1,0]
	v_pk_add_f32 v[14:15], v[14:15], v[18:19]
	s_waitcnt vmcnt(4)
	v_pk_fma_f32 v[18:19], v[50:51], v[68:69], v[16:17] op_sel:[0,0,1] op_sel_hi:[1,1,0] neg_lo:[0,0,1] neg_hi:[0,0,1]
	v_pk_fma_f32 v[16:17], v[50:51], v[68:69], v[16:17] op_sel:[0,0,1] op_sel_hi:[1,0,0]
	v_mov_b32_e32 v16, v67
	v_mov_b32_e32 v19, v17
	s_waitcnt lgkmcnt(2)
	v_pk_mul_f32 v[16:17], v[4:5], v[16:17] op_sel_hi:[1,0]
	v_pk_add_f32 v[14:15], v[14:15], v[18:19]
	v_pk_fma_f32 v[18:19], v[4:5], v[66:67], v[16:17] op_sel:[0,0,1] op_sel_hi:[1,1,0] neg_lo:[0,0,1] neg_hi:[0,0,1]
	v_pk_fma_f32 v[4:5], v[4:5], v[66:67], v[16:17] op_sel:[0,0,1] op_sel_hi:[1,0,0]
	v_mov_b32_e32 v19, v5
	v_pk_add_f32 v[4:5], v[14:15], v[18:19]
	v_mov_b32_e32 v14, v65
	v_pk_mul_f32 v[14:15], v[6:7], v[14:15] op_sel_hi:[1,0]
	v_pk_fma_f32 v[16:17], v[6:7], v[64:65], v[14:15] op_sel:[0,0,1] op_sel_hi:[1,1,0] neg_lo:[0,0,1] neg_hi:[0,0,1]
	v_pk_fma_f32 v[6:7], v[6:7], v[64:65], v[14:15] op_sel:[0,0,1] op_sel_hi:[1,0,0]
	v_mov_b32_e32 v6, v63
	v_mov_b32_e32 v17, v7
	s_waitcnt lgkmcnt(1)
	v_pk_mul_f32 v[6:7], v[8:9], v[6:7] op_sel_hi:[1,0]
	v_pk_fma_f32 v[14:15], v[8:9], v[62:63], v[6:7] op_sel:[0,0,1] op_sel_hi:[1,1,0] neg_lo:[0,0,1] neg_hi:[0,0,1]
	v_pk_fma_f32 v[6:7], v[8:9], v[62:63], v[6:7] op_sel:[0,0,1] op_sel_hi:[1,0,0]
	s_waitcnt vmcnt(1)
	v_mov_b32_e32 v6, v73
	v_mov_b32_e32 v15, v7
	v_pk_mul_f32 v[6:7], v[10:11], v[6:7] op_sel_hi:[1,0]
	s_waitcnt vmcnt(0)
	v_pk_fma_f32 v[8:9], v[10:11], v[72:73], v[6:7] op_sel:[0,0,1] op_sel_hi:[1,1,0] neg_lo:[0,0,1] neg_hi:[0,0,1]
	v_pk_fma_f32 v[6:7], v[10:11], v[72:73], v[6:7] op_sel:[0,0,1] op_sel_hi:[1,0,0]
	v_pk_add_f32 v[4:5], v[4:5], v[16:17]
	v_mov_b32_e32 v6, v71
	v_pk_add_f32 v[4:5], v[4:5], v[14:15]
	v_mov_b32_e32 v9, v7
	s_waitcnt lgkmcnt(0)
	v_pk_mul_f32 v[6:7], v[12:13], v[6:7] op_sel_hi:[1,0]
	v_pk_add_f32 v[4:5], v[4:5], v[8:9]
	v_pk_fma_f32 v[8:9], v[12:13], v[70:71], v[6:7] op_sel:[0,0,1] op_sel_hi:[1,1,0] neg_lo:[0,0,1] neg_hi:[0,0,1]
	v_pk_fma_f32 v[6:7], v[12:13], v[70:71], v[6:7] op_sel:[0,0,1] op_sel_hi:[1,0,0]
	v_mov_b32_e32 v9, v7
	v_pk_add_f32 v[4:5], v[4:5], v[8:9]
	v_pk_add_f32 v[2:3], v[2:3], v[4:5] neg_lo:[0,1] neg_hi:[0,1]
	buffer_store_dword v3, off, s[0:3], 0 offset:212
	buffer_store_dword v2, off, s[0:3], 0 offset:208
	s_and_saveexec_b64 s[4:5], vcc
	s_cbranch_execz .LBB119_299
; %bb.298:
	buffer_load_dword v2, off, s[0:3], 0 offset:200
	buffer_load_dword v3, off, s[0:3], 0 offset:204
	s_waitcnt vmcnt(0)
	ds_write_b64 v161, v[2:3]
	buffer_store_dword v1, off, s[0:3], 0 offset:200
	buffer_store_dword v1, off, s[0:3], 0 offset:204
.LBB119_299:
	s_or_b64 exec, exec, s[4:5]
	s_waitcnt lgkmcnt(0)
	; wave barrier
	s_waitcnt lgkmcnt(0)
	buffer_load_dword v54, off, s[0:3], 0 offset:212
	buffer_load_dword v56, off, s[0:3], 0 offset:220
	;; [unrolled: 1-line block ×46, first 2 shown]
	ds_read_b128 v[4:7], v1 offset:656
	ds_read_b128 v[8:11], v1 offset:672
	;; [unrolled: 1-line block ×8, first 2 shown]
	v_cmp_lt_u32_e32 vcc, 24, v0
	s_waitcnt vmcnt(45) lgkmcnt(7)
	v_mul_f32_e32 v36, v4, v54
	s_waitcnt vmcnt(44)
	v_mul_f32_e32 v37, v6, v56
	s_waitcnt vmcnt(43) lgkmcnt(6)
	v_mul_f32_e32 v38, v8, v58
	s_waitcnt vmcnt(42)
	v_mul_f32_e32 v39, v10, v74
	;; [unrolled: 4-line block ×6, first 2 shown]
	s_waitcnt vmcnt(33) lgkmcnt(1)
	v_mul_f32_e32 v48, v28, v83
	s_waitcnt vmcnt(32)
	v_fmac_f32_e32 v36, v5, v84
	s_waitcnt vmcnt(31)
	v_fmac_f32_e32 v37, v7, v85
	v_add_f32_e32 v36, 0, v36
	s_waitcnt vmcnt(30)
	v_fmac_f32_e32 v38, v9, v86
	v_add_f32_e32 v36, v36, v37
	s_waitcnt vmcnt(29)
	v_fmac_f32_e32 v39, v11, v87
	v_add_f32_e32 v36, v36, v38
	s_waitcnt vmcnt(28)
	v_fmac_f32_e32 v40, v13, v88
	v_add_f32_e32 v36, v36, v39
	s_waitcnt vmcnt(27)
	v_fmac_f32_e32 v41, v15, v89
	v_add_f32_e32 v36, v36, v40
	s_waitcnt vmcnt(26)
	v_fmac_f32_e32 v42, v17, v90
	v_add_f32_e32 v36, v36, v41
	s_waitcnt vmcnt(25)
	v_fmac_f32_e32 v43, v19, v91
	v_add_f32_e32 v36, v36, v42
	s_waitcnt vmcnt(24)
	v_fmac_f32_e32 v44, v21, v92
	v_add_f32_e32 v36, v36, v43
	s_waitcnt vmcnt(23)
	v_fmac_f32_e32 v45, v23, v93
	v_add_f32_e32 v36, v36, v44
	s_waitcnt vmcnt(22)
	v_fmac_f32_e32 v46, v25, v94
	v_add_f32_e32 v36, v36, v45
	s_waitcnt vmcnt(21)
	v_fmac_f32_e32 v47, v27, v95
	v_add_f32_e32 v36, v36, v46
	s_waitcnt vmcnt(20)
	v_fmac_f32_e32 v48, v29, v96
	v_add_f32_e32 v36, v36, v47
	s_waitcnt vmcnt(19)
	v_mul_f32_e32 v37, v30, v97
	v_add_f32_e32 v36, v36, v48
	s_waitcnt vmcnt(18)
	v_fmac_f32_e32 v37, v31, v98
	v_add_f32_e32 v36, v36, v37
	s_waitcnt vmcnt(17) lgkmcnt(0)
	v_mul_f32_e32 v37, v32, v99
	s_waitcnt vmcnt(16)
	v_fmac_f32_e32 v37, v33, v100
	v_add_f32_e32 v40, v36, v37
	ds_read_b128 v[36:39], v1 offset:784
	s_waitcnt vmcnt(15)
	v_mul_f32_e32 v41, v34, v101
	s_waitcnt vmcnt(14)
	v_fmac_f32_e32 v41, v35, v102
	v_add_f32_e32 v44, v40, v41
	ds_read_b128 v[40:43], v1 offset:800
	buffer_load_dword v53, off, s[0:3], 0 offset:388
	buffer_load_dword v52, off, s[0:3], 0 offset:384
	s_waitcnt vmcnt(15) lgkmcnt(1)
	v_mul_f32_e32 v45, v36, v103
	s_waitcnt vmcnt(14)
	v_fmac_f32_e32 v45, v37, v104
	v_add_f32_e32 v44, v44, v45
	s_waitcnt vmcnt(13)
	v_mul_f32_e32 v45, v38, v105
	s_waitcnt vmcnt(12)
	v_fmac_f32_e32 v45, v39, v106
	v_add_f32_e32 v44, v44, v45
	s_waitcnt vmcnt(11) lgkmcnt(0)
	v_mul_f32_e32 v45, v40, v107
	s_waitcnt vmcnt(10)
	v_fmac_f32_e32 v45, v41, v108
	s_waitcnt vmcnt(9)
	v_mul_f32_e32 v49, v42, v109
	v_add_f32_e32 v48, v44, v45
	s_waitcnt vmcnt(8)
	v_fmac_f32_e32 v49, v43, v110
	ds_read_b128 v[44:47], v1 offset:816
	v_add_f32_e32 v55, v48, v49
	ds_read_b128 v[48:51], v1 offset:832
	buffer_load_dword v61, off, s[0:3], 0 offset:420
	buffer_load_dword v60, off, s[0:3], 0 offset:416
	;; [unrolled: 1-line block ×14, first 2 shown]
	v_mul_f32_e32 v5, v5, v54
	v_fma_f32 v4, v4, v84, -v5
	v_mul_f32_e32 v5, v7, v56
	v_add_f32_e32 v4, 0, v4
	v_fma_f32 v5, v6, v85, -v5
	v_add_f32_e32 v4, v4, v5
	v_mul_f32_e32 v5, v9, v58
	v_fma_f32 v5, v8, v86, -v5
	v_add_f32_e32 v4, v4, v5
	v_mul_f32_e32 v5, v11, v74
	;; [unrolled: 3-line block ×18, first 2 shown]
	v_fma_f32 v5, v42, v110, -v5
	s_waitcnt vmcnt(21) lgkmcnt(1)
	v_mul_f32_e32 v57, v44, v111
	v_add_f32_e32 v54, v4, v5
	v_mul_f32_e32 v4, v45, v111
	s_waitcnt vmcnt(20)
	v_fmac_f32_e32 v57, v45, v112
	s_waitcnt vmcnt(15)
	v_mov_b32_e32 v18, v53
	s_waitcnt lgkmcnt(0)
	v_pk_mul_f32 v[18:19], v[48:49], v[18:19] op_sel_hi:[1,0]
	v_mul_f32_e32 v59, v46, v113
	v_fma_f32 v56, v44, v112, -v4
	v_mul_f32_e32 v4, v47, v113
	s_waitcnt vmcnt(14)
	v_pk_fma_f32 v[20:21], v[48:49], v[52:53], v[18:19] op_sel:[0,0,1] op_sel_hi:[1,1,0] neg_lo:[0,0,1] neg_hi:[0,0,1]
	v_pk_fma_f32 v[18:19], v[48:49], v[52:53], v[18:19] op_sel:[0,0,1] op_sel_hi:[1,0,0]
	v_fmac_f32_e32 v59, v47, v114
	v_fma_f32 v58, v46, v114, -v4
	v_pk_add_f32 v[16:17], v[54:55], v[56:57]
	s_waitcnt vmcnt(7)
	v_mov_b32_e32 v18, v67
	ds_read_b128 v[4:7], v1 offset:848
	ds_read_b128 v[8:11], v1 offset:864
	;; [unrolled: 1-line block ×3, first 2 shown]
	v_pk_add_f32 v[16:17], v[16:17], v[58:59]
	v_mov_b32_e32 v21, v19
	v_pk_mul_f32 v[18:19], v[50:51], v[18:19] op_sel_hi:[1,0]
	v_pk_add_f32 v[16:17], v[16:17], v[20:21]
	s_waitcnt vmcnt(6)
	v_pk_fma_f32 v[20:21], v[50:51], v[66:67], v[18:19] op_sel:[0,0,1] op_sel_hi:[1,1,0] neg_lo:[0,0,1] neg_hi:[0,0,1]
	v_pk_fma_f32 v[18:19], v[50:51], v[66:67], v[18:19] op_sel:[0,0,1] op_sel_hi:[1,0,0]
	v_mov_b32_e32 v18, v65
	v_mov_b32_e32 v21, v19
	s_waitcnt lgkmcnt(2)
	v_pk_mul_f32 v[18:19], v[4:5], v[18:19] op_sel_hi:[1,0]
	v_pk_add_f32 v[16:17], v[16:17], v[20:21]
	v_pk_fma_f32 v[20:21], v[4:5], v[64:65], v[18:19] op_sel:[0,0,1] op_sel_hi:[1,1,0] neg_lo:[0,0,1] neg_hi:[0,0,1]
	v_pk_fma_f32 v[4:5], v[4:5], v[64:65], v[18:19] op_sel:[0,0,1] op_sel_hi:[1,0,0]
	v_mov_b32_e32 v21, v5
	v_pk_add_f32 v[4:5], v[16:17], v[20:21]
	v_mov_b32_e32 v16, v63
	v_pk_mul_f32 v[16:17], v[6:7], v[16:17] op_sel_hi:[1,0]
	v_pk_fma_f32 v[18:19], v[6:7], v[62:63], v[16:17] op_sel:[0,0,1] op_sel_hi:[1,1,0] neg_lo:[0,0,1] neg_hi:[0,0,1]
	v_pk_fma_f32 v[6:7], v[6:7], v[62:63], v[16:17] op_sel:[0,0,1] op_sel_hi:[1,0,0]
	v_mov_b32_e32 v6, v61
	v_mov_b32_e32 v19, v7
	s_waitcnt lgkmcnt(1)
	v_pk_mul_f32 v[6:7], v[8:9], v[6:7] op_sel_hi:[1,0]
	v_pk_fma_f32 v[16:17], v[8:9], v[60:61], v[6:7] op_sel:[0,0,1] op_sel_hi:[1,1,0] neg_lo:[0,0,1] neg_hi:[0,0,1]
	v_pk_fma_f32 v[6:7], v[8:9], v[60:61], v[6:7] op_sel:[0,0,1] op_sel_hi:[1,0,0]
	s_waitcnt vmcnt(1)
	v_mov_b32_e32 v6, v73
	v_mov_b32_e32 v17, v7
	v_pk_mul_f32 v[6:7], v[10:11], v[6:7] op_sel_hi:[1,0]
	s_waitcnt vmcnt(0)
	v_pk_fma_f32 v[8:9], v[10:11], v[72:73], v[6:7] op_sel:[0,0,1] op_sel_hi:[1,1,0] neg_lo:[0,0,1] neg_hi:[0,0,1]
	v_pk_fma_f32 v[6:7], v[10:11], v[72:73], v[6:7] op_sel:[0,0,1] op_sel_hi:[1,0,0]
	v_pk_add_f32 v[4:5], v[4:5], v[18:19]
	v_mov_b32_e32 v6, v71
	v_pk_add_f32 v[4:5], v[4:5], v[16:17]
	v_mov_b32_e32 v9, v7
	s_waitcnt lgkmcnt(0)
	v_pk_mul_f32 v[6:7], v[12:13], v[6:7] op_sel_hi:[1,0]
	v_pk_add_f32 v[4:5], v[4:5], v[8:9]
	v_pk_fma_f32 v[8:9], v[12:13], v[70:71], v[6:7] op_sel:[0,0,1] op_sel_hi:[1,1,0] neg_lo:[0,0,1] neg_hi:[0,0,1]
	v_pk_fma_f32 v[6:7], v[12:13], v[70:71], v[6:7] op_sel:[0,0,1] op_sel_hi:[1,0,0]
	v_mov_b32_e32 v6, v69
	v_mov_b32_e32 v9, v7
	v_pk_mul_f32 v[6:7], v[14:15], v[6:7] op_sel_hi:[1,0]
	v_pk_add_f32 v[4:5], v[4:5], v[8:9]
	v_pk_fma_f32 v[8:9], v[14:15], v[68:69], v[6:7] op_sel:[0,0,1] op_sel_hi:[1,1,0] neg_lo:[0,0,1] neg_hi:[0,0,1]
	v_pk_fma_f32 v[6:7], v[14:15], v[68:69], v[6:7] op_sel:[0,0,1] op_sel_hi:[1,0,0]
	v_mov_b32_e32 v9, v7
	v_pk_add_f32 v[4:5], v[4:5], v[8:9]
	v_pk_add_f32 v[2:3], v[2:3], v[4:5] neg_lo:[0,1] neg_hi:[0,1]
	buffer_store_dword v3, off, s[0:3], 0 offset:204
	buffer_store_dword v2, off, s[0:3], 0 offset:200
	s_and_saveexec_b64 s[4:5], vcc
	s_cbranch_execz .LBB119_301
; %bb.300:
	buffer_load_dword v2, off, s[0:3], 0 offset:192
	buffer_load_dword v3, off, s[0:3], 0 offset:196
	v_mov_b32_e32 v1, 0
	buffer_store_dword v1, off, s[0:3], 0 offset:192
	buffer_store_dword v1, off, s[0:3], 0 offset:196
	s_waitcnt vmcnt(2)
	ds_write_b64 v161, v[2:3]
.LBB119_301:
	s_or_b64 exec, exec, s[4:5]
	s_waitcnt lgkmcnt(0)
	; wave barrier
	s_waitcnt lgkmcnt(0)
	buffer_load_dword v52, off, s[0:3], 0 offset:204
	buffer_load_dword v54, off, s[0:3], 0 offset:212
	buffer_load_dword v56, off, s[0:3], 0 offset:220
	buffer_load_dword v74, off, s[0:3], 0 offset:228
	buffer_load_dword v75, off, s[0:3], 0 offset:236
	buffer_load_dword v76, off, s[0:3], 0 offset:244
	buffer_load_dword v77, off, s[0:3], 0 offset:252
	buffer_load_dword v78, off, s[0:3], 0 offset:260
	buffer_load_dword v79, off, s[0:3], 0 offset:268
	buffer_load_dword v80, off, s[0:3], 0 offset:276
	buffer_load_dword v81, off, s[0:3], 0 offset:284
	buffer_load_dword v82, off, s[0:3], 0 offset:292
	buffer_load_dword v83, off, s[0:3], 0 offset:200
	buffer_load_dword v84, off, s[0:3], 0 offset:208
	buffer_load_dword v85, off, s[0:3], 0 offset:216
	buffer_load_dword v86, off, s[0:3], 0 offset:224
	buffer_load_dword v87, off, s[0:3], 0 offset:232
	buffer_load_dword v88, off, s[0:3], 0 offset:240
	buffer_load_dword v89, off, s[0:3], 0 offset:248
	buffer_load_dword v90, off, s[0:3], 0 offset:256
	buffer_load_dword v91, off, s[0:3], 0 offset:264
	buffer_load_dword v92, off, s[0:3], 0 offset:272
	buffer_load_dword v93, off, s[0:3], 0 offset:280
	buffer_load_dword v94, off, s[0:3], 0 offset:288
	buffer_load_dword v95, off, s[0:3], 0 offset:300
	buffer_load_dword v96, off, s[0:3], 0 offset:296
	buffer_load_dword v97, off, s[0:3], 0 offset:308
	buffer_load_dword v98, off, s[0:3], 0 offset:304
	buffer_load_dword v99, off, s[0:3], 0 offset:316
	buffer_load_dword v100, off, s[0:3], 0 offset:312
	buffer_load_dword v101, off, s[0:3], 0 offset:324
	buffer_load_dword v102, off, s[0:3], 0 offset:320
	buffer_load_dword v103, off, s[0:3], 0 offset:332
	buffer_load_dword v104, off, s[0:3], 0 offset:328
	buffer_load_dword v105, off, s[0:3], 0 offset:340
	buffer_load_dword v106, off, s[0:3], 0 offset:336
	buffer_load_dword v107, off, s[0:3], 0 offset:348
	buffer_load_dword v108, off, s[0:3], 0 offset:344
	buffer_load_dword v109, off, s[0:3], 0 offset:356
	buffer_load_dword v110, off, s[0:3], 0 offset:352
	buffer_load_dword v111, off, s[0:3], 0 offset:360
	buffer_load_dword v112, off, s[0:3], 0 offset:364
	buffer_load_dword v2, off, s[0:3], 0 offset:192
	buffer_load_dword v3, off, s[0:3], 0 offset:196
	buffer_load_dword v113, off, s[0:3], 0 offset:372
	buffer_load_dword v114, off, s[0:3], 0 offset:368
	buffer_load_dword v115, off, s[0:3], 0 offset:380
	buffer_load_dword v116, off, s[0:3], 0 offset:376
	v_mov_b32_e32 v1, 0
	ds_read2_b64 v[4:7], v1 offset0:81 offset1:82
	ds_read2_b64 v[8:11], v1 offset0:83 offset1:84
	;; [unrolled: 1-line block ×6, first 2 shown]
	v_cmp_lt_u32_e32 vcc, 23, v0
	s_waitcnt vmcnt(47) lgkmcnt(5)
	v_mul_f32_e32 v28, v4, v52
	s_waitcnt vmcnt(46)
	v_mul_f32_e32 v29, v6, v54
	s_waitcnt vmcnt(45) lgkmcnt(4)
	v_mul_f32_e32 v30, v8, v56
	s_waitcnt vmcnt(44)
	v_mul_f32_e32 v31, v10, v74
	;; [unrolled: 4-line block ×6, first 2 shown]
	s_waitcnt vmcnt(35)
	v_fmac_f32_e32 v28, v5, v83
	s_waitcnt vmcnt(34)
	v_fmac_f32_e32 v29, v7, v84
	v_add_f32_e32 v28, 0, v28
	s_waitcnt vmcnt(33)
	v_fmac_f32_e32 v30, v9, v85
	v_add_f32_e32 v28, v28, v29
	;; [unrolled: 3-line block ×8, first 2 shown]
	v_add_f32_e32 v32, v28, v36
	ds_read2_b64 v[28:31], v1 offset0:93 offset1:94
	s_waitcnt vmcnt(26)
	v_fmac_f32_e32 v37, v23, v92
	s_waitcnt vmcnt(25)
	v_fmac_f32_e32 v38, v25, v93
	v_add_f32_e32 v32, v32, v37
	s_waitcnt vmcnt(24)
	v_fmac_f32_e32 v39, v27, v94
	v_add_f32_e32 v32, v32, v38
	v_add_f32_e32 v36, v32, v39
	ds_read2_b64 v[32:35], v1 offset0:95 offset1:96
	s_waitcnt vmcnt(23) lgkmcnt(1)
	v_mul_f32_e32 v37, v28, v95
	s_waitcnt vmcnt(22)
	v_fmac_f32_e32 v37, v29, v96
	v_add_f32_e32 v36, v36, v37
	s_waitcnt vmcnt(21)
	v_mul_f32_e32 v37, v30, v97
	s_waitcnt vmcnt(20)
	v_fmac_f32_e32 v37, v31, v98
	v_add_f32_e32 v36, v36, v37
	s_waitcnt vmcnt(19) lgkmcnt(0)
	v_mul_f32_e32 v37, v32, v99
	s_waitcnt vmcnt(18)
	v_fmac_f32_e32 v37, v33, v100
	v_add_f32_e32 v40, v36, v37
	ds_read2_b64 v[36:39], v1 offset0:97 offset1:98
	s_waitcnt vmcnt(17)
	v_mul_f32_e32 v41, v34, v101
	s_waitcnt vmcnt(16)
	v_fmac_f32_e32 v41, v35, v102
	v_add_f32_e32 v44, v40, v41
	ds_read2_b64 v[40:43], v1 offset0:99 offset1:100
	s_waitcnt vmcnt(15) lgkmcnt(1)
	v_mul_f32_e32 v45, v36, v103
	s_waitcnt vmcnt(14)
	v_fmac_f32_e32 v45, v37, v104
	v_add_f32_e32 v44, v44, v45
	s_waitcnt vmcnt(13)
	v_mul_f32_e32 v45, v38, v105
	s_waitcnt vmcnt(12)
	v_fmac_f32_e32 v45, v39, v106
	v_add_f32_e32 v44, v44, v45
	s_waitcnt vmcnt(11) lgkmcnt(0)
	v_mul_f32_e32 v45, v40, v107
	s_waitcnt vmcnt(10)
	v_fmac_f32_e32 v45, v41, v108
	s_waitcnt vmcnt(9)
	v_mul_f32_e32 v49, v42, v109
	v_add_f32_e32 v48, v44, v45
	s_waitcnt vmcnt(8)
	v_fmac_f32_e32 v49, v43, v110
	ds_read2_b64 v[44:47], v1 offset0:101 offset1:102
	v_add_f32_e32 v53, v48, v49
	ds_read2_b64 v[48:51], v1 offset0:103 offset1:104
	buffer_load_dword v59, off, s[0:3], 0 offset:412
	buffer_load_dword v58, off, s[0:3], 0 offset:408
	;; [unrolled: 1-line block ×16, first 2 shown]
	v_mul_f32_e32 v5, v5, v52
	v_fma_f32 v4, v4, v83, -v5
	v_mul_f32_e32 v5, v7, v54
	v_add_f32_e32 v4, 0, v4
	v_fma_f32 v5, v6, v84, -v5
	v_add_f32_e32 v4, v4, v5
	v_mul_f32_e32 v5, v9, v56
	v_fma_f32 v5, v8, v85, -v5
	v_add_f32_e32 v4, v4, v5
	v_mul_f32_e32 v5, v11, v74
	;; [unrolled: 3-line block ×18, first 2 shown]
	v_fma_f32 v5, v42, v110, -v5
	v_add_f32_e32 v4, v4, v5
	s_waitcnt vmcnt(22) lgkmcnt(1)
	v_mul_f32_e32 v5, v45, v112
	v_mul_f32_e32 v55, v44, v112
	v_fma_f32 v5, v44, v111, -v5
	v_fmac_f32_e32 v55, v45, v111
	v_add_f32_e32 v52, v4, v5
	s_waitcnt vmcnt(19)
	v_mul_f32_e32 v4, v47, v113
	v_add_f32_e32 v53, v53, v55
	v_mul_f32_e32 v55, v46, v113
	s_waitcnt vmcnt(18)
	v_fma_f32 v54, v46, v114, -v4
	s_waitcnt vmcnt(17) lgkmcnt(0)
	v_mul_f32_e32 v4, v49, v115
	s_waitcnt vmcnt(9)
	v_mov_b32_e32 v20, v65
	v_pk_mul_f32 v[20:21], v[50:51], v[20:21] op_sel_hi:[1,0]
	v_fmac_f32_e32 v55, v47, v114
	v_mul_f32_e32 v57, v48, v115
	v_fma_f32 v56, v48, v116, -v4
	ds_read2_b64 v[4:7], v1 offset0:105 offset1:106
	ds_read2_b64 v[8:11], v1 offset0:107 offset1:108
	;; [unrolled: 1-line block ×3, first 2 shown]
	ds_read_b64 v[16:17], v1 offset:888
	s_waitcnt vmcnt(8)
	v_pk_fma_f32 v[22:23], v[50:51], v[64:65], v[20:21] op_sel:[0,0,1] op_sel_hi:[1,1,0] neg_lo:[0,0,1] neg_hi:[0,0,1]
	v_pk_fma_f32 v[20:21], v[50:51], v[64:65], v[20:21] op_sel:[0,0,1] op_sel_hi:[1,0,0]
	v_fmac_f32_e32 v57, v49, v116
	v_pk_add_f32 v[18:19], v[52:53], v[54:55]
	v_mov_b32_e32 v20, v63
	v_pk_add_f32 v[18:19], v[18:19], v[56:57]
	v_mov_b32_e32 v23, v21
	s_waitcnt lgkmcnt(3)
	v_pk_mul_f32 v[20:21], v[4:5], v[20:21] op_sel_hi:[1,0]
	v_pk_add_f32 v[18:19], v[18:19], v[22:23]
	v_pk_fma_f32 v[22:23], v[4:5], v[62:63], v[20:21] op_sel:[0,0,1] op_sel_hi:[1,1,0] neg_lo:[0,0,1] neg_hi:[0,0,1]
	v_pk_fma_f32 v[4:5], v[4:5], v[62:63], v[20:21] op_sel:[0,0,1] op_sel_hi:[1,0,0]
	v_mov_b32_e32 v23, v5
	v_pk_add_f32 v[4:5], v[18:19], v[22:23]
	v_mov_b32_e32 v18, v61
	v_pk_mul_f32 v[18:19], v[6:7], v[18:19] op_sel_hi:[1,0]
	v_pk_fma_f32 v[20:21], v[6:7], v[60:61], v[18:19] op_sel:[0,0,1] op_sel_hi:[1,1,0] neg_lo:[0,0,1] neg_hi:[0,0,1]
	v_pk_fma_f32 v[6:7], v[6:7], v[60:61], v[18:19] op_sel:[0,0,1] op_sel_hi:[1,0,0]
	v_mov_b32_e32 v6, v59
	v_mov_b32_e32 v21, v7
	s_waitcnt lgkmcnt(2)
	v_pk_mul_f32 v[6:7], v[8:9], v[6:7] op_sel_hi:[1,0]
	v_pk_fma_f32 v[18:19], v[8:9], v[58:59], v[6:7] op_sel:[0,0,1] op_sel_hi:[1,1,0] neg_lo:[0,0,1] neg_hi:[0,0,1]
	v_pk_fma_f32 v[6:7], v[8:9], v[58:59], v[6:7] op_sel:[0,0,1] op_sel_hi:[1,0,0]
	s_waitcnt vmcnt(1)
	v_mov_b32_e32 v6, v73
	v_mov_b32_e32 v19, v7
	v_pk_mul_f32 v[6:7], v[10:11], v[6:7] op_sel_hi:[1,0]
	s_waitcnt vmcnt(0)
	v_pk_fma_f32 v[8:9], v[10:11], v[72:73], v[6:7] op_sel:[0,0,1] op_sel_hi:[1,1,0] neg_lo:[0,0,1] neg_hi:[0,0,1]
	v_pk_fma_f32 v[6:7], v[10:11], v[72:73], v[6:7] op_sel:[0,0,1] op_sel_hi:[1,0,0]
	v_pk_add_f32 v[4:5], v[4:5], v[20:21]
	v_mov_b32_e32 v6, v71
	v_pk_add_f32 v[4:5], v[4:5], v[18:19]
	v_mov_b32_e32 v9, v7
	s_waitcnt lgkmcnt(1)
	v_pk_mul_f32 v[6:7], v[12:13], v[6:7] op_sel_hi:[1,0]
	v_pk_add_f32 v[4:5], v[4:5], v[8:9]
	v_pk_fma_f32 v[8:9], v[12:13], v[70:71], v[6:7] op_sel:[0,0,1] op_sel_hi:[1,1,0] neg_lo:[0,0,1] neg_hi:[0,0,1]
	v_pk_fma_f32 v[6:7], v[12:13], v[70:71], v[6:7] op_sel:[0,0,1] op_sel_hi:[1,0,0]
	v_mov_b32_e32 v6, v69
	v_mov_b32_e32 v9, v7
	v_pk_mul_f32 v[6:7], v[14:15], v[6:7] op_sel_hi:[1,0]
	v_pk_add_f32 v[4:5], v[4:5], v[8:9]
	v_pk_fma_f32 v[8:9], v[14:15], v[68:69], v[6:7] op_sel:[0,0,1] op_sel_hi:[1,1,0] neg_lo:[0,0,1] neg_hi:[0,0,1]
	v_pk_fma_f32 v[6:7], v[14:15], v[68:69], v[6:7] op_sel:[0,0,1] op_sel_hi:[1,0,0]
	v_mov_b32_e32 v6, v67
	v_mov_b32_e32 v9, v7
	s_waitcnt lgkmcnt(0)
	v_pk_mul_f32 v[6:7], v[16:17], v[6:7] op_sel_hi:[1,0]
	v_pk_add_f32 v[4:5], v[4:5], v[8:9]
	v_pk_fma_f32 v[8:9], v[16:17], v[66:67], v[6:7] op_sel:[0,0,1] op_sel_hi:[1,1,0] neg_lo:[0,0,1] neg_hi:[0,0,1]
	v_pk_fma_f32 v[6:7], v[16:17], v[66:67], v[6:7] op_sel:[0,0,1] op_sel_hi:[1,0,0]
	v_mov_b32_e32 v9, v7
	v_pk_add_f32 v[4:5], v[4:5], v[8:9]
	v_pk_add_f32 v[2:3], v[2:3], v[4:5] neg_lo:[0,1] neg_hi:[0,1]
	buffer_store_dword v3, off, s[0:3], 0 offset:196
	buffer_store_dword v2, off, s[0:3], 0 offset:192
	s_and_saveexec_b64 s[4:5], vcc
	s_cbranch_execz .LBB119_303
; %bb.302:
	buffer_load_dword v2, off, s[0:3], 0 offset:184
	buffer_load_dword v3, off, s[0:3], 0 offset:188
	s_waitcnt vmcnt(0)
	ds_write_b64 v161, v[2:3]
	buffer_store_dword v1, off, s[0:3], 0 offset:184
	buffer_store_dword v1, off, s[0:3], 0 offset:188
.LBB119_303:
	s_or_b64 exec, exec, s[4:5]
	s_waitcnt lgkmcnt(0)
	; wave barrier
	s_waitcnt lgkmcnt(0)
	buffer_load_dword v52, off, s[0:3], 0 offset:196
	buffer_load_dword v54, off, s[0:3], 0 offset:204
	;; [unrolled: 1-line block ×48, first 2 shown]
	ds_read_b128 v[4:7], v1 offset:640
	ds_read_b128 v[8:11], v1 offset:656
	;; [unrolled: 1-line block ×6, first 2 shown]
	buffer_load_dword v117, off, s[0:3], 0 offset:376
	buffer_load_dword v118, off, s[0:3], 0 offset:380
	v_cmp_lt_u32_e32 vcc, 22, v0
	s_waitcnt vmcnt(49) lgkmcnt(5)
	v_mul_f32_e32 v28, v4, v52
	s_waitcnt vmcnt(48)
	v_mul_f32_e32 v29, v6, v54
	s_waitcnt vmcnt(47) lgkmcnt(4)
	v_mul_f32_e32 v30, v8, v62
	s_waitcnt vmcnt(46)
	v_mul_f32_e32 v31, v10, v74
	;; [unrolled: 4-line block ×6, first 2 shown]
	s_waitcnt vmcnt(37)
	v_fmac_f32_e32 v28, v5, v83
	s_waitcnt vmcnt(36)
	v_fmac_f32_e32 v29, v7, v84
	v_add_f32_e32 v28, 0, v28
	s_waitcnt vmcnt(35)
	v_fmac_f32_e32 v30, v9, v85
	v_add_f32_e32 v28, v28, v29
	;; [unrolled: 3-line block ×9, first 2 shown]
	v_add_f32_e32 v32, v28, v37
	ds_read_b128 v[28:31], v1 offset:736
	s_waitcnt vmcnt(27)
	v_fmac_f32_e32 v38, v25, v93
	v_add_f32_e32 v32, v32, v38
	s_waitcnt vmcnt(26)
	v_fmac_f32_e32 v39, v27, v94
	v_add_f32_e32 v36, v32, v39
	ds_read_b128 v[32:35], v1 offset:752
	s_waitcnt vmcnt(25) lgkmcnt(1)
	v_mul_f32_e32 v37, v28, v95
	s_waitcnt vmcnt(24)
	v_fmac_f32_e32 v37, v29, v96
	v_add_f32_e32 v36, v36, v37
	s_waitcnt vmcnt(23)
	v_mul_f32_e32 v37, v30, v97
	s_waitcnt vmcnt(22)
	v_fmac_f32_e32 v37, v31, v98
	v_add_f32_e32 v36, v36, v37
	s_waitcnt vmcnt(21) lgkmcnt(0)
	v_mul_f32_e32 v37, v32, v99
	s_waitcnt vmcnt(20)
	v_fmac_f32_e32 v37, v33, v100
	v_add_f32_e32 v40, v36, v37
	ds_read_b128 v[36:39], v1 offset:768
	s_waitcnt vmcnt(19)
	v_mul_f32_e32 v41, v34, v101
	s_waitcnt vmcnt(18)
	v_fmac_f32_e32 v41, v35, v102
	v_add_f32_e32 v44, v40, v41
	ds_read_b128 v[40:43], v1 offset:784
	s_waitcnt vmcnt(17) lgkmcnt(1)
	v_mul_f32_e32 v45, v36, v103
	s_waitcnt vmcnt(16)
	v_fmac_f32_e32 v45, v37, v104
	v_add_f32_e32 v44, v44, v45
	s_waitcnt vmcnt(15)
	v_mul_f32_e32 v45, v38, v105
	s_waitcnt vmcnt(14)
	v_fmac_f32_e32 v45, v39, v106
	v_add_f32_e32 v44, v44, v45
	s_waitcnt vmcnt(13) lgkmcnt(0)
	v_mul_f32_e32 v45, v40, v107
	s_waitcnt vmcnt(12)
	v_fmac_f32_e32 v45, v41, v108
	s_waitcnt vmcnt(11)
	v_mul_f32_e32 v49, v42, v109
	v_add_f32_e32 v48, v44, v45
	s_waitcnt vmcnt(10)
	v_fmac_f32_e32 v49, v43, v110
	ds_read_b128 v[44:47], v1 offset:800
	v_add_f32_e32 v53, v48, v49
	ds_read_b128 v[48:51], v1 offset:816
	buffer_load_dword v57, off, s[0:3], 0 offset:404
	buffer_load_dword v56, off, s[0:3], 0 offset:400
	;; [unrolled: 1-line block ×16, first 2 shown]
	v_mul_f32_e32 v5, v5, v52
	v_fma_f32 v4, v4, v83, -v5
	v_mul_f32_e32 v5, v7, v54
	v_add_f32_e32 v4, 0, v4
	v_fma_f32 v5, v6, v84, -v5
	v_add_f32_e32 v4, v4, v5
	v_mul_f32_e32 v5, v9, v62
	v_fma_f32 v5, v8, v85, -v5
	v_add_f32_e32 v4, v4, v5
	v_mul_f32_e32 v5, v11, v74
	v_fma_f32 v5, v10, v86, -v5
	v_add_f32_e32 v4, v4, v5
	v_mul_f32_e32 v5, v13, v75
	v_fma_f32 v5, v12, v87, -v5
	v_add_f32_e32 v4, v4, v5
	v_mul_f32_e32 v5, v15, v76
	v_fma_f32 v5, v14, v88, -v5
	v_add_f32_e32 v4, v4, v5
	v_mul_f32_e32 v5, v17, v77
	v_fma_f32 v5, v16, v89, -v5
	v_add_f32_e32 v4, v4, v5
	v_mul_f32_e32 v5, v19, v78
	v_fma_f32 v5, v18, v90, -v5
	v_add_f32_e32 v4, v4, v5
	v_mul_f32_e32 v5, v21, v79
	v_fma_f32 v5, v20, v91, -v5
	v_add_f32_e32 v4, v4, v5
	v_mul_f32_e32 v5, v23, v80
	v_fma_f32 v5, v22, v92, -v5
	v_add_f32_e32 v4, v4, v5
	v_mul_f32_e32 v5, v25, v81
	v_fma_f32 v5, v24, v93, -v5
	v_add_f32_e32 v4, v4, v5
	v_mul_f32_e32 v5, v27, v82
	v_fma_f32 v5, v26, v94, -v5
	v_add_f32_e32 v4, v4, v5
	v_mul_f32_e32 v5, v29, v95
	v_fma_f32 v5, v28, v96, -v5
	v_add_f32_e32 v4, v4, v5
	v_mul_f32_e32 v5, v31, v97
	v_fma_f32 v5, v30, v98, -v5
	v_add_f32_e32 v4, v4, v5
	v_mul_f32_e32 v5, v33, v99
	v_fma_f32 v5, v32, v100, -v5
	v_add_f32_e32 v4, v4, v5
	v_mul_f32_e32 v5, v35, v101
	v_fma_f32 v5, v34, v102, -v5
	v_add_f32_e32 v4, v4, v5
	v_mul_f32_e32 v5, v37, v103
	v_fma_f32 v5, v36, v104, -v5
	v_add_f32_e32 v4, v4, v5
	v_mul_f32_e32 v5, v39, v105
	v_fma_f32 v5, v38, v106, -v5
	v_add_f32_e32 v4, v4, v5
	v_mul_f32_e32 v5, v41, v107
	v_fma_f32 v5, v40, v108, -v5
	v_add_f32_e32 v4, v4, v5
	v_mul_f32_e32 v5, v43, v109
	v_fma_f32 v5, v42, v110, -v5
	v_add_f32_e32 v4, v4, v5
	s_waitcnt vmcnt(23) lgkmcnt(1)
	v_mul_f32_e32 v5, v45, v111
	s_waitcnt vmcnt(22)
	v_fma_f32 v5, v44, v112, -v5
	v_add_f32_e32 v4, v4, v5
	s_waitcnt vmcnt(20)
	v_mul_f32_e32 v5, v47, v114
	v_mul_f32_e32 v55, v44, v111
	v_fma_f32 v5, v46, v113, -v5
	v_fmac_f32_e32 v55, v45, v112
	v_add_f32_e32 v52, v4, v5
	s_waitcnt vmcnt(18) lgkmcnt(0)
	v_mul_f32_e32 v4, v49, v116
	v_add_f32_e32 v53, v53, v55
	v_mul_f32_e32 v55, v46, v114
	v_fma_f32 v54, v48, v115, -v4
	s_waitcnt vmcnt(16)
	v_mul_f32_e32 v4, v51, v118
	v_fmac_f32_e32 v55, v47, v113
	v_fma_f32 v62, v50, v117, -v4
	ds_read_b128 v[4:7], v1 offset:832
	ds_read_b128 v[8:11], v1 offset:848
	;; [unrolled: 1-line block ×4, first 2 shown]
	v_add_f32_e32 v53, v53, v55
	v_mul_f32_e32 v55, v48, v116
	s_waitcnt vmcnt(11)
	v_mov_b32_e32 v22, v61
	v_fmac_f32_e32 v55, v49, v115
	v_mul_f32_e32 v63, v50, v118
	s_waitcnt lgkmcnt(3)
	v_pk_mul_f32 v[22:23], v[4:5], v[22:23] op_sel_hi:[1,0]
	v_fmac_f32_e32 v63, v51, v117
	v_pk_add_f32 v[20:21], v[52:53], v[54:55]
	s_waitcnt vmcnt(10)
	v_pk_fma_f32 v[24:25], v[4:5], v[60:61], v[22:23] op_sel:[0,0,1] op_sel_hi:[1,1,0] neg_lo:[0,0,1] neg_hi:[0,0,1]
	v_pk_fma_f32 v[4:5], v[4:5], v[60:61], v[22:23] op_sel:[0,0,1] op_sel_hi:[1,0,0]
	v_pk_add_f32 v[20:21], v[20:21], v[62:63]
	v_mov_b32_e32 v25, v5
	v_pk_add_f32 v[4:5], v[20:21], v[24:25]
	v_mov_b32_e32 v20, v59
	v_pk_mul_f32 v[20:21], v[6:7], v[20:21] op_sel_hi:[1,0]
	v_pk_fma_f32 v[22:23], v[6:7], v[58:59], v[20:21] op_sel:[0,0,1] op_sel_hi:[1,1,0] neg_lo:[0,0,1] neg_hi:[0,0,1]
	v_pk_fma_f32 v[6:7], v[6:7], v[58:59], v[20:21] op_sel:[0,0,1] op_sel_hi:[1,0,0]
	v_mov_b32_e32 v6, v57
	v_mov_b32_e32 v23, v7
	s_waitcnt lgkmcnt(2)
	v_pk_mul_f32 v[6:7], v[8:9], v[6:7] op_sel_hi:[1,0]
	v_pk_fma_f32 v[20:21], v[8:9], v[56:57], v[6:7] op_sel:[0,0,1] op_sel_hi:[1,1,0] neg_lo:[0,0,1] neg_hi:[0,0,1]
	v_pk_fma_f32 v[6:7], v[8:9], v[56:57], v[6:7] op_sel:[0,0,1] op_sel_hi:[1,0,0]
	s_waitcnt vmcnt(3)
	v_mov_b32_e32 v6, v71
	v_mov_b32_e32 v21, v7
	v_pk_mul_f32 v[6:7], v[10:11], v[6:7] op_sel_hi:[1,0]
	s_waitcnt vmcnt(2)
	v_pk_fma_f32 v[8:9], v[10:11], v[70:71], v[6:7] op_sel:[0,0,1] op_sel_hi:[1,1,0] neg_lo:[0,0,1] neg_hi:[0,0,1]
	v_pk_fma_f32 v[6:7], v[10:11], v[70:71], v[6:7] op_sel:[0,0,1] op_sel_hi:[1,0,0]
	v_pk_add_f32 v[4:5], v[4:5], v[22:23]
	v_mov_b32_e32 v6, v69
	v_pk_add_f32 v[4:5], v[4:5], v[20:21]
	v_mov_b32_e32 v9, v7
	s_waitcnt lgkmcnt(1)
	v_pk_mul_f32 v[6:7], v[12:13], v[6:7] op_sel_hi:[1,0]
	v_pk_add_f32 v[4:5], v[4:5], v[8:9]
	v_pk_fma_f32 v[8:9], v[12:13], v[68:69], v[6:7] op_sel:[0,0,1] op_sel_hi:[1,1,0] neg_lo:[0,0,1] neg_hi:[0,0,1]
	v_pk_fma_f32 v[6:7], v[12:13], v[68:69], v[6:7] op_sel:[0,0,1] op_sel_hi:[1,0,0]
	v_mov_b32_e32 v6, v67
	v_mov_b32_e32 v9, v7
	v_pk_mul_f32 v[6:7], v[14:15], v[6:7] op_sel_hi:[1,0]
	v_pk_add_f32 v[4:5], v[4:5], v[8:9]
	v_pk_fma_f32 v[8:9], v[14:15], v[66:67], v[6:7] op_sel:[0,0,1] op_sel_hi:[1,1,0] neg_lo:[0,0,1] neg_hi:[0,0,1]
	v_pk_fma_f32 v[6:7], v[14:15], v[66:67], v[6:7] op_sel:[0,0,1] op_sel_hi:[1,0,0]
	v_mov_b32_e32 v6, v65
	v_mov_b32_e32 v9, v7
	s_waitcnt lgkmcnt(0)
	v_pk_mul_f32 v[6:7], v[16:17], v[6:7] op_sel_hi:[1,0]
	v_pk_add_f32 v[4:5], v[4:5], v[8:9]
	v_pk_fma_f32 v[8:9], v[16:17], v[64:65], v[6:7] op_sel:[0,0,1] op_sel_hi:[1,1,0] neg_lo:[0,0,1] neg_hi:[0,0,1]
	v_pk_fma_f32 v[6:7], v[16:17], v[64:65], v[6:7] op_sel:[0,0,1] op_sel_hi:[1,0,0]
	s_waitcnt vmcnt(1)
	v_mov_b32_e32 v6, v73
	v_mov_b32_e32 v9, v7
	v_pk_mul_f32 v[6:7], v[18:19], v[6:7] op_sel_hi:[1,0]
	v_pk_add_f32 v[4:5], v[4:5], v[8:9]
	s_waitcnt vmcnt(0)
	v_pk_fma_f32 v[8:9], v[18:19], v[72:73], v[6:7] op_sel:[0,0,1] op_sel_hi:[1,1,0] neg_lo:[0,0,1] neg_hi:[0,0,1]
	v_pk_fma_f32 v[6:7], v[18:19], v[72:73], v[6:7] op_sel:[0,0,1] op_sel_hi:[1,0,0]
	v_mov_b32_e32 v9, v7
	v_pk_add_f32 v[4:5], v[4:5], v[8:9]
	v_pk_add_f32 v[2:3], v[2:3], v[4:5] neg_lo:[0,1] neg_hi:[0,1]
	buffer_store_dword v3, off, s[0:3], 0 offset:188
	buffer_store_dword v2, off, s[0:3], 0 offset:184
	s_and_saveexec_b64 s[4:5], vcc
	s_cbranch_execz .LBB119_305
; %bb.304:
	buffer_load_dword v2, off, s[0:3], 0 offset:176
	buffer_load_dword v3, off, s[0:3], 0 offset:180
	v_mov_b32_e32 v1, 0
	buffer_store_dword v1, off, s[0:3], 0 offset:176
	buffer_store_dword v1, off, s[0:3], 0 offset:180
	s_waitcnt vmcnt(2)
	ds_write_b64 v161, v[2:3]
.LBB119_305:
	s_or_b64 exec, exec, s[4:5]
	s_waitcnt lgkmcnt(0)
	; wave barrier
	s_waitcnt lgkmcnt(0)
	buffer_load_dword v60, off, s[0:3], 0 offset:188
	buffer_load_dword v66, off, s[0:3], 0 offset:196
	;; [unrolled: 1-line block ×52, first 2 shown]
	v_mov_b32_e32 v1, 0
	ds_read2_b64 v[4:7], v1 offset0:79 offset1:80
	ds_read2_b64 v[8:11], v1 offset0:81 offset1:82
	;; [unrolled: 1-line block ×6, first 2 shown]
	v_cmp_lt_u32_e32 vcc, 21, v0
	s_waitcnt vmcnt(51) lgkmcnt(5)
	v_mul_f32_e32 v28, v4, v60
	s_waitcnt vmcnt(50)
	v_mul_f32_e32 v29, v6, v66
	s_waitcnt vmcnt(49) lgkmcnt(4)
	v_mul_f32_e32 v30, v8, v68
	s_waitcnt vmcnt(48)
	v_mul_f32_e32 v31, v10, v82
	s_waitcnt vmcnt(47) lgkmcnt(3)
	v_mul_f32_e32 v32, v12, v83
	s_waitcnt vmcnt(46)
	v_mul_f32_e32 v33, v14, v84
	s_waitcnt vmcnt(45) lgkmcnt(2)
	v_mul_f32_e32 v34, v16, v85
	s_waitcnt vmcnt(44)
	v_mul_f32_e32 v35, v18, v86
	s_waitcnt vmcnt(43) lgkmcnt(1)
	v_mul_f32_e32 v36, v20, v87
	s_waitcnt vmcnt(42)
	v_mul_f32_e32 v37, v22, v88
	s_waitcnt vmcnt(41) lgkmcnt(0)
	v_mul_f32_e32 v38, v24, v89
	s_waitcnt vmcnt(40)
	v_fmac_f32_e32 v28, v5, v90
	s_waitcnt vmcnt(39)
	v_fmac_f32_e32 v29, v7, v91
	v_add_f32_e32 v28, 0, v28
	s_waitcnt vmcnt(38)
	v_fmac_f32_e32 v30, v9, v92
	v_add_f32_e32 v28, v28, v29
	;; [unrolled: 3-line block ×9, first 2 shown]
	v_add_f32_e32 v28, v28, v37
	s_waitcnt vmcnt(30)
	v_fmac_f32_e32 v38, v25, v100
	v_add_f32_e32 v32, v28, v38
	ds_read2_b64 v[28:31], v1 offset0:91 offset1:92
	s_waitcnt vmcnt(29)
	v_mul_f32_e32 v33, v26, v101
	s_waitcnt vmcnt(28)
	v_fmac_f32_e32 v33, v27, v102
	v_add_f32_e32 v36, v32, v33
	ds_read2_b64 v[32:35], v1 offset0:93 offset1:94
	s_waitcnt vmcnt(27) lgkmcnt(1)
	v_mul_f32_e32 v37, v28, v103
	s_waitcnt vmcnt(26)
	v_fmac_f32_e32 v37, v29, v104
	v_add_f32_e32 v36, v36, v37
	s_waitcnt vmcnt(25)
	v_mul_f32_e32 v37, v30, v105
	s_waitcnt vmcnt(24)
	v_fmac_f32_e32 v37, v31, v106
	v_add_f32_e32 v36, v36, v37
	s_waitcnt vmcnt(23) lgkmcnt(0)
	v_mul_f32_e32 v37, v32, v107
	s_waitcnt vmcnt(22)
	v_fmac_f32_e32 v37, v33, v108
	v_add_f32_e32 v40, v36, v37
	ds_read2_b64 v[36:39], v1 offset0:95 offset1:96
	s_waitcnt vmcnt(21)
	v_mul_f32_e32 v41, v34, v109
	s_waitcnt vmcnt(20)
	v_fmac_f32_e32 v41, v35, v110
	v_add_f32_e32 v44, v40, v41
	ds_read2_b64 v[40:43], v1 offset0:97 offset1:98
	s_waitcnt vmcnt(19) lgkmcnt(1)
	v_mul_f32_e32 v45, v36, v111
	s_waitcnt vmcnt(18)
	v_fmac_f32_e32 v45, v37, v112
	v_add_f32_e32 v44, v44, v45
	s_waitcnt vmcnt(17)
	v_mul_f32_e32 v45, v38, v113
	s_waitcnt vmcnt(16)
	v_fmac_f32_e32 v45, v39, v114
	v_add_f32_e32 v44, v44, v45
	s_waitcnt vmcnt(14) lgkmcnt(0)
	v_mul_f32_e32 v45, v40, v116
	v_fmac_f32_e32 v45, v41, v115
	v_add_f32_e32 v48, v44, v45
	ds_read2_b64 v[44:47], v1 offset0:99 offset1:100
	s_waitcnt vmcnt(10)
	v_mul_f32_e32 v49, v42, v118
	v_fmac_f32_e32 v49, v43, v117
	v_add_f32_e32 v52, v48, v49
	ds_read2_b64 v[48:51], v1 offset0:101 offset1:102
	s_waitcnt vmcnt(8) lgkmcnt(1)
	v_mul_f32_e32 v53, v44, v120
	v_fmac_f32_e32 v53, v45, v119
	v_add_f32_e32 v52, v52, v53
	s_waitcnt vmcnt(6)
	v_mul_f32_e32 v53, v46, v122
	v_fmac_f32_e32 v53, v47, v121
	v_add_f32_e32 v52, v52, v53
	s_waitcnt vmcnt(4) lgkmcnt(0)
	v_mul_f32_e32 v53, v48, v124
	v_fmac_f32_e32 v53, v49, v123
	v_add_f32_e32 v61, v52, v53
	ds_read2_b64 v[52:55], v1 offset0:103 offset1:104
	buffer_load_dword v63, off, s[0:3], 0 offset:396
	buffer_load_dword v62, off, s[0:3], 0 offset:392
	;; [unrolled: 1-line block ×4, first 2 shown]
	ds_read2_b64 v[56:59], v1 offset0:105 offset1:106
	buffer_load_dword v71, off, s[0:3], 0 offset:428
	buffer_load_dword v70, off, s[0:3], 0 offset:424
	;; [unrolled: 1-line block ×12, first 2 shown]
	v_mul_f32_e32 v5, v5, v60
	v_fma_f32 v4, v4, v90, -v5
	v_mul_f32_e32 v5, v7, v66
	v_add_f32_e32 v4, 0, v4
	v_fma_f32 v5, v6, v91, -v5
	v_add_f32_e32 v4, v4, v5
	v_mul_f32_e32 v5, v9, v68
	v_fma_f32 v5, v8, v92, -v5
	v_add_f32_e32 v4, v4, v5
	v_mul_f32_e32 v5, v11, v82
	;; [unrolled: 3-line block ×21, first 2 shown]
	v_fma_f32 v5, v48, v123, -v5
	s_waitcnt vmcnt(18)
	v_mul_f32_e32 v67, v50, v126
	v_add_f32_e32 v60, v4, v5
	v_mul_f32_e32 v4, v51, v126
	v_fmac_f32_e32 v67, v51, v125
	s_waitcnt vmcnt(16) lgkmcnt(1)
	v_mul_f32_e32 v69, v52, v128
	v_fma_f32 v66, v50, v125, -v4
	v_mul_f32_e32 v4, v53, v128
	v_fmac_f32_e32 v69, v53, v127
	s_waitcnt vmcnt(13)
	v_mov_b32_e32 v16, v65
	v_pk_mul_f32 v[16:17], v[54:55], v[16:17] op_sel_hi:[1,0]
	s_waitcnt vmcnt(12)
	v_pk_fma_f32 v[18:19], v[54:55], v[64:65], v[16:17] op_sel:[0,0,1] op_sel_hi:[1,1,0] neg_lo:[0,0,1] neg_hi:[0,0,1]
	v_pk_fma_f32 v[16:17], v[54:55], v[64:65], v[16:17] op_sel:[0,0,1] op_sel_hi:[1,0,0]
	v_fma_f32 v68, v52, v127, -v4
	v_pk_add_f32 v[14:15], v[60:61], v[66:67]
	v_mov_b32_e32 v16, v63
	v_pk_add_f32 v[14:15], v[14:15], v[68:69]
	v_mov_b32_e32 v19, v17
	s_waitcnt lgkmcnt(0)
	v_pk_mul_f32 v[16:17], v[56:57], v[16:17] op_sel_hi:[1,0]
	v_pk_add_f32 v[14:15], v[14:15], v[18:19]
	v_pk_fma_f32 v[18:19], v[56:57], v[62:63], v[16:17] op_sel:[0,0,1] op_sel_hi:[1,1,0] neg_lo:[0,0,1] neg_hi:[0,0,1]
	v_pk_fma_f32 v[16:17], v[56:57], v[62:63], v[16:17] op_sel:[0,0,1] op_sel_hi:[1,0,0]
	s_waitcnt vmcnt(5)
	v_mov_b32_e32 v16, v77
	ds_read2_b64 v[4:7], v1 offset0:107 offset1:108
	ds_read2_b64 v[8:11], v1 offset0:109 offset1:110
	ds_read_b64 v[12:13], v1 offset:888
	v_mov_b32_e32 v19, v17
	v_pk_mul_f32 v[16:17], v[58:59], v[16:17] op_sel_hi:[1,0]
	v_pk_add_f32 v[14:15], v[14:15], v[18:19]
	s_waitcnt vmcnt(4)
	v_pk_fma_f32 v[18:19], v[58:59], v[76:77], v[16:17] op_sel:[0,0,1] op_sel_hi:[1,1,0] neg_lo:[0,0,1] neg_hi:[0,0,1]
	v_pk_fma_f32 v[16:17], v[58:59], v[76:77], v[16:17] op_sel:[0,0,1] op_sel_hi:[1,0,0]
	v_mov_b32_e32 v16, v75
	v_mov_b32_e32 v19, v17
	s_waitcnt lgkmcnt(2)
	v_pk_mul_f32 v[16:17], v[4:5], v[16:17] op_sel_hi:[1,0]
	v_pk_add_f32 v[14:15], v[14:15], v[18:19]
	v_pk_fma_f32 v[18:19], v[4:5], v[74:75], v[16:17] op_sel:[0,0,1] op_sel_hi:[1,1,0] neg_lo:[0,0,1] neg_hi:[0,0,1]
	v_pk_fma_f32 v[4:5], v[4:5], v[74:75], v[16:17] op_sel:[0,0,1] op_sel_hi:[1,0,0]
	v_mov_b32_e32 v19, v5
	v_pk_add_f32 v[4:5], v[14:15], v[18:19]
	v_mov_b32_e32 v14, v73
	v_pk_mul_f32 v[14:15], v[6:7], v[14:15] op_sel_hi:[1,0]
	v_pk_fma_f32 v[16:17], v[6:7], v[72:73], v[14:15] op_sel:[0,0,1] op_sel_hi:[1,1,0] neg_lo:[0,0,1] neg_hi:[0,0,1]
	v_pk_fma_f32 v[6:7], v[6:7], v[72:73], v[14:15] op_sel:[0,0,1] op_sel_hi:[1,0,0]
	v_mov_b32_e32 v6, v71
	v_mov_b32_e32 v17, v7
	s_waitcnt lgkmcnt(1)
	v_pk_mul_f32 v[6:7], v[8:9], v[6:7] op_sel_hi:[1,0]
	v_pk_fma_f32 v[14:15], v[8:9], v[70:71], v[6:7] op_sel:[0,0,1] op_sel_hi:[1,1,0] neg_lo:[0,0,1] neg_hi:[0,0,1]
	v_pk_fma_f32 v[6:7], v[8:9], v[70:71], v[6:7] op_sel:[0,0,1] op_sel_hi:[1,0,0]
	s_waitcnt vmcnt(1)
	v_mov_b32_e32 v6, v81
	v_mov_b32_e32 v15, v7
	v_pk_mul_f32 v[6:7], v[10:11], v[6:7] op_sel_hi:[1,0]
	s_waitcnt vmcnt(0)
	v_pk_fma_f32 v[8:9], v[10:11], v[80:81], v[6:7] op_sel:[0,0,1] op_sel_hi:[1,1,0] neg_lo:[0,0,1] neg_hi:[0,0,1]
	v_pk_fma_f32 v[6:7], v[10:11], v[80:81], v[6:7] op_sel:[0,0,1] op_sel_hi:[1,0,0]
	v_pk_add_f32 v[4:5], v[4:5], v[16:17]
	v_mov_b32_e32 v6, v79
	v_pk_add_f32 v[4:5], v[4:5], v[14:15]
	v_mov_b32_e32 v9, v7
	s_waitcnt lgkmcnt(0)
	v_pk_mul_f32 v[6:7], v[12:13], v[6:7] op_sel_hi:[1,0]
	v_pk_add_f32 v[4:5], v[4:5], v[8:9]
	v_pk_fma_f32 v[8:9], v[12:13], v[78:79], v[6:7] op_sel:[0,0,1] op_sel_hi:[1,1,0] neg_lo:[0,0,1] neg_hi:[0,0,1]
	v_pk_fma_f32 v[6:7], v[12:13], v[78:79], v[6:7] op_sel:[0,0,1] op_sel_hi:[1,0,0]
	v_mov_b32_e32 v9, v7
	v_pk_add_f32 v[4:5], v[4:5], v[8:9]
	v_pk_add_f32 v[2:3], v[2:3], v[4:5] neg_lo:[0,1] neg_hi:[0,1]
	buffer_store_dword v3, off, s[0:3], 0 offset:180
	buffer_store_dword v2, off, s[0:3], 0 offset:176
	s_and_saveexec_b64 s[4:5], vcc
	s_cbranch_execz .LBB119_307
; %bb.306:
	buffer_load_dword v2, off, s[0:3], 0 offset:168
	buffer_load_dword v3, off, s[0:3], 0 offset:172
	s_waitcnt vmcnt(0)
	ds_write_b64 v161, v[2:3]
	buffer_store_dword v1, off, s[0:3], 0 offset:168
	buffer_store_dword v1, off, s[0:3], 0 offset:172
.LBB119_307:
	s_or_b64 exec, exec, s[4:5]
	s_waitcnt lgkmcnt(0)
	; wave barrier
	s_waitcnt lgkmcnt(0)
	buffer_load_dword v62, off, s[0:3], 0 offset:180
	buffer_load_dword v64, off, s[0:3], 0 offset:188
	;; [unrolled: 1-line block ×42, first 2 shown]
	ds_read_b128 v[4:7], v1 offset:624
	ds_read_b128 v[8:11], v1 offset:640
	buffer_load_dword v119, off, s[0:3], 0 offset:336
	buffer_load_dword v120, off, s[0:3], 0 offset:340
	ds_read_b128 v[12:15], v1 offset:656
	ds_read_b128 v[16:19], v1 offset:672
	buffer_load_dword v121, off, s[0:3], 0 offset:344
	buffer_load_dword v122, off, s[0:3], 0 offset:348
	;; [unrolled: 1-line block ×4, first 2 shown]
	ds_read_b128 v[20:23], v1 offset:688
	ds_read_b128 v[24:27], v1 offset:704
	buffer_load_dword v125, off, s[0:3], 0 offset:360
	buffer_load_dword v126, off, s[0:3], 0 offset:364
	;; [unrolled: 1-line block ×6, first 2 shown]
	v_cmp_lt_u32_e32 vcc, 20, v0
	s_waitcnt vmcnt(53) lgkmcnt(5)
	v_mul_f32_e32 v28, v4, v62
	s_waitcnt vmcnt(52)
	v_mul_f32_e32 v29, v6, v64
	s_waitcnt vmcnt(51) lgkmcnt(4)
	v_mul_f32_e32 v30, v8, v66
	s_waitcnt vmcnt(50)
	v_mul_f32_e32 v31, v10, v82
	;; [unrolled: 4-line block ×5, first 2 shown]
	s_waitcnt vmcnt(43)
	v_fmac_f32_e32 v28, v5, v89
	s_waitcnt vmcnt(42)
	v_fmac_f32_e32 v29, v7, v90
	v_add_f32_e32 v28, 0, v28
	s_waitcnt vmcnt(41)
	v_fmac_f32_e32 v30, v9, v91
	v_add_f32_e32 v28, v28, v29
	;; [unrolled: 3-line block ×9, first 2 shown]
	s_waitcnt vmcnt(33) lgkmcnt(0)
	v_mul_f32_e32 v29, v24, v99
	v_add_f32_e32 v28, v28, v37
	s_waitcnt vmcnt(32)
	v_fmac_f32_e32 v29, v25, v100
	v_add_f32_e32 v32, v28, v29
	ds_read_b128 v[28:31], v1 offset:720
	s_waitcnt vmcnt(31)
	v_mul_f32_e32 v33, v26, v101
	s_waitcnt vmcnt(30)
	v_fmac_f32_e32 v33, v27, v102
	v_add_f32_e32 v36, v32, v33
	ds_read_b128 v[32:35], v1 offset:736
	s_waitcnt vmcnt(29) lgkmcnt(1)
	v_mul_f32_e32 v37, v28, v103
	s_waitcnt vmcnt(28)
	v_fmac_f32_e32 v37, v29, v104
	v_add_f32_e32 v36, v36, v37
	s_waitcnt vmcnt(27)
	v_mul_f32_e32 v37, v30, v105
	s_waitcnt vmcnt(26)
	v_fmac_f32_e32 v37, v31, v106
	v_add_f32_e32 v36, v36, v37
	s_waitcnt vmcnt(25) lgkmcnt(0)
	v_mul_f32_e32 v37, v32, v107
	s_waitcnt vmcnt(24)
	v_fmac_f32_e32 v37, v33, v108
	v_add_f32_e32 v40, v36, v37
	ds_read_b128 v[36:39], v1 offset:752
	s_waitcnt vmcnt(23)
	v_mul_f32_e32 v41, v34, v109
	s_waitcnt vmcnt(22)
	v_fmac_f32_e32 v41, v35, v110
	v_add_f32_e32 v44, v40, v41
	ds_read_b128 v[40:43], v1 offset:768
	s_waitcnt vmcnt(21) lgkmcnt(1)
	v_mul_f32_e32 v45, v36, v111
	s_waitcnt vmcnt(20)
	v_fmac_f32_e32 v45, v37, v112
	v_add_f32_e32 v44, v44, v45
	s_waitcnt vmcnt(18)
	v_mul_f32_e32 v45, v38, v114
	v_fmac_f32_e32 v45, v39, v113
	v_add_f32_e32 v44, v44, v45
	s_waitcnt vmcnt(15) lgkmcnt(0)
	v_mul_f32_e32 v45, v40, v115
	s_waitcnt vmcnt(14)
	v_fmac_f32_e32 v45, v41, v116
	v_add_f32_e32 v48, v44, v45
	ds_read_b128 v[44:47], v1 offset:784
	s_waitcnt vmcnt(12)
	v_mul_f32_e32 v49, v42, v118
	v_fmac_f32_e32 v49, v43, v117
	v_add_f32_e32 v52, v48, v49
	ds_read_b128 v[48:51], v1 offset:800
	buffer_load_dword v61, off, s[0:3], 0 offset:388
	buffer_load_dword v60, off, s[0:3], 0 offset:384
	s_waitcnt vmcnt(12) lgkmcnt(1)
	v_mul_f32_e32 v53, v44, v120
	v_fmac_f32_e32 v53, v45, v119
	v_add_f32_e32 v52, v52, v53
	s_waitcnt vmcnt(10)
	v_mul_f32_e32 v53, v46, v122
	v_fmac_f32_e32 v53, v47, v121
	v_add_f32_e32 v52, v52, v53
	s_waitcnt vmcnt(8) lgkmcnt(0)
	v_mul_f32_e32 v53, v48, v124
	v_fmac_f32_e32 v53, v49, v123
	s_waitcnt vmcnt(6)
	v_mul_f32_e32 v57, v50, v126
	v_add_f32_e32 v56, v52, v53
	v_fmac_f32_e32 v57, v51, v125
	ds_read_b128 v[52:55], v1 offset:816
	v_add_f32_e32 v63, v56, v57
	ds_read_b128 v[56:59], v1 offset:832
	buffer_load_dword v69, off, s[0:3], 0 offset:420
	buffer_load_dword v68, off, s[0:3], 0 offset:416
	;; [unrolled: 1-line block ×14, first 2 shown]
	v_mul_f32_e32 v5, v5, v62
	v_fma_f32 v4, v4, v89, -v5
	v_mul_f32_e32 v5, v7, v64
	v_add_f32_e32 v4, 0, v4
	v_fma_f32 v5, v6, v90, -v5
	v_add_f32_e32 v4, v4, v5
	v_mul_f32_e32 v5, v9, v66
	v_fma_f32 v5, v8, v91, -v5
	v_add_f32_e32 v4, v4, v5
	v_mul_f32_e32 v5, v11, v82
	v_fma_f32 v5, v10, v92, -v5
	v_add_f32_e32 v4, v4, v5
	v_mul_f32_e32 v5, v13, v83
	v_fma_f32 v5, v12, v93, -v5
	v_add_f32_e32 v4, v4, v5
	v_mul_f32_e32 v5, v15, v84
	v_fma_f32 v5, v14, v94, -v5
	v_add_f32_e32 v4, v4, v5
	v_mul_f32_e32 v5, v17, v85
	v_fma_f32 v5, v16, v95, -v5
	v_add_f32_e32 v4, v4, v5
	v_mul_f32_e32 v5, v19, v86
	v_fma_f32 v5, v18, v96, -v5
	v_add_f32_e32 v4, v4, v5
	v_mul_f32_e32 v5, v21, v87
	v_fma_f32 v5, v20, v97, -v5
	v_add_f32_e32 v4, v4, v5
	v_mul_f32_e32 v5, v23, v88
	v_fma_f32 v5, v22, v98, -v5
	v_add_f32_e32 v4, v4, v5
	v_mul_f32_e32 v5, v25, v99
	v_fma_f32 v5, v24, v100, -v5
	v_add_f32_e32 v4, v4, v5
	v_mul_f32_e32 v5, v27, v101
	v_fma_f32 v5, v26, v102, -v5
	v_add_f32_e32 v4, v4, v5
	v_mul_f32_e32 v5, v29, v103
	v_fma_f32 v5, v28, v104, -v5
	v_add_f32_e32 v4, v4, v5
	v_mul_f32_e32 v5, v31, v105
	v_fma_f32 v5, v30, v106, -v5
	v_add_f32_e32 v4, v4, v5
	v_mul_f32_e32 v5, v33, v107
	v_fma_f32 v5, v32, v108, -v5
	v_add_f32_e32 v4, v4, v5
	v_mul_f32_e32 v5, v35, v109
	v_fma_f32 v5, v34, v110, -v5
	v_add_f32_e32 v4, v4, v5
	v_mul_f32_e32 v5, v37, v111
	v_fma_f32 v5, v36, v112, -v5
	v_add_f32_e32 v4, v4, v5
	v_mul_f32_e32 v5, v39, v114
	v_fma_f32 v5, v38, v113, -v5
	v_add_f32_e32 v4, v4, v5
	v_mul_f32_e32 v5, v41, v115
	v_fma_f32 v5, v40, v116, -v5
	v_add_f32_e32 v4, v4, v5
	v_mul_f32_e32 v5, v43, v118
	v_fma_f32 v5, v42, v117, -v5
	v_add_f32_e32 v4, v4, v5
	v_mul_f32_e32 v5, v45, v120
	v_fma_f32 v5, v44, v119, -v5
	v_add_f32_e32 v4, v4, v5
	v_mul_f32_e32 v5, v47, v122
	v_fma_f32 v5, v46, v121, -v5
	v_add_f32_e32 v4, v4, v5
	v_mul_f32_e32 v5, v49, v124
	v_fma_f32 v5, v48, v123, -v5
	v_add_f32_e32 v4, v4, v5
	v_mul_f32_e32 v5, v51, v126
	v_fma_f32 v5, v50, v125, -v5
	s_waitcnt vmcnt(15)
	v_mov_b32_e32 v18, v61
	s_waitcnt lgkmcnt(1)
	v_mul_f32_e32 v65, v52, v128
	v_add_f32_e32 v62, v4, v5
	v_mul_f32_e32 v4, v53, v128
	s_waitcnt lgkmcnt(0)
	v_pk_mul_f32 v[18:19], v[56:57], v[18:19] op_sel_hi:[1,0]
	v_fmac_f32_e32 v65, v53, v127
	v_mul_f32_e32 v67, v54, v130
	v_fma_f32 v64, v52, v127, -v4
	v_mul_f32_e32 v4, v55, v130
	s_waitcnt vmcnt(14)
	v_pk_fma_f32 v[20:21], v[56:57], v[60:61], v[18:19] op_sel:[0,0,1] op_sel_hi:[1,1,0] neg_lo:[0,0,1] neg_hi:[0,0,1]
	v_pk_fma_f32 v[18:19], v[56:57], v[60:61], v[18:19] op_sel:[0,0,1] op_sel_hi:[1,0,0]
	v_fmac_f32_e32 v67, v55, v129
	v_fma_f32 v66, v54, v129, -v4
	v_pk_add_f32 v[16:17], v[62:63], v[64:65]
	s_waitcnt vmcnt(7)
	v_mov_b32_e32 v18, v75
	ds_read_b128 v[4:7], v1 offset:848
	ds_read_b128 v[8:11], v1 offset:864
	;; [unrolled: 1-line block ×3, first 2 shown]
	v_pk_add_f32 v[16:17], v[16:17], v[66:67]
	v_mov_b32_e32 v21, v19
	v_pk_mul_f32 v[18:19], v[58:59], v[18:19] op_sel_hi:[1,0]
	v_pk_add_f32 v[16:17], v[16:17], v[20:21]
	s_waitcnt vmcnt(6)
	v_pk_fma_f32 v[20:21], v[58:59], v[74:75], v[18:19] op_sel:[0,0,1] op_sel_hi:[1,1,0] neg_lo:[0,0,1] neg_hi:[0,0,1]
	v_pk_fma_f32 v[18:19], v[58:59], v[74:75], v[18:19] op_sel:[0,0,1] op_sel_hi:[1,0,0]
	v_mov_b32_e32 v18, v73
	v_mov_b32_e32 v21, v19
	s_waitcnt lgkmcnt(2)
	v_pk_mul_f32 v[18:19], v[4:5], v[18:19] op_sel_hi:[1,0]
	v_pk_add_f32 v[16:17], v[16:17], v[20:21]
	v_pk_fma_f32 v[20:21], v[4:5], v[72:73], v[18:19] op_sel:[0,0,1] op_sel_hi:[1,1,0] neg_lo:[0,0,1] neg_hi:[0,0,1]
	v_pk_fma_f32 v[4:5], v[4:5], v[72:73], v[18:19] op_sel:[0,0,1] op_sel_hi:[1,0,0]
	v_mov_b32_e32 v21, v5
	v_pk_add_f32 v[4:5], v[16:17], v[20:21]
	v_mov_b32_e32 v16, v71
	v_pk_mul_f32 v[16:17], v[6:7], v[16:17] op_sel_hi:[1,0]
	v_pk_fma_f32 v[18:19], v[6:7], v[70:71], v[16:17] op_sel:[0,0,1] op_sel_hi:[1,1,0] neg_lo:[0,0,1] neg_hi:[0,0,1]
	v_pk_fma_f32 v[6:7], v[6:7], v[70:71], v[16:17] op_sel:[0,0,1] op_sel_hi:[1,0,0]
	v_mov_b32_e32 v6, v69
	v_mov_b32_e32 v19, v7
	s_waitcnt lgkmcnt(1)
	v_pk_mul_f32 v[6:7], v[8:9], v[6:7] op_sel_hi:[1,0]
	v_pk_fma_f32 v[16:17], v[8:9], v[68:69], v[6:7] op_sel:[0,0,1] op_sel_hi:[1,1,0] neg_lo:[0,0,1] neg_hi:[0,0,1]
	v_pk_fma_f32 v[6:7], v[8:9], v[68:69], v[6:7] op_sel:[0,0,1] op_sel_hi:[1,0,0]
	s_waitcnt vmcnt(1)
	v_mov_b32_e32 v6, v81
	v_mov_b32_e32 v17, v7
	v_pk_mul_f32 v[6:7], v[10:11], v[6:7] op_sel_hi:[1,0]
	s_waitcnt vmcnt(0)
	v_pk_fma_f32 v[8:9], v[10:11], v[80:81], v[6:7] op_sel:[0,0,1] op_sel_hi:[1,1,0] neg_lo:[0,0,1] neg_hi:[0,0,1]
	v_pk_fma_f32 v[6:7], v[10:11], v[80:81], v[6:7] op_sel:[0,0,1] op_sel_hi:[1,0,0]
	v_pk_add_f32 v[4:5], v[4:5], v[18:19]
	v_mov_b32_e32 v6, v79
	v_pk_add_f32 v[4:5], v[4:5], v[16:17]
	v_mov_b32_e32 v9, v7
	s_waitcnt lgkmcnt(0)
	v_pk_mul_f32 v[6:7], v[12:13], v[6:7] op_sel_hi:[1,0]
	v_pk_add_f32 v[4:5], v[4:5], v[8:9]
	v_pk_fma_f32 v[8:9], v[12:13], v[78:79], v[6:7] op_sel:[0,0,1] op_sel_hi:[1,1,0] neg_lo:[0,0,1] neg_hi:[0,0,1]
	v_pk_fma_f32 v[6:7], v[12:13], v[78:79], v[6:7] op_sel:[0,0,1] op_sel_hi:[1,0,0]
	v_mov_b32_e32 v6, v77
	v_mov_b32_e32 v9, v7
	v_pk_mul_f32 v[6:7], v[14:15], v[6:7] op_sel_hi:[1,0]
	v_pk_add_f32 v[4:5], v[4:5], v[8:9]
	v_pk_fma_f32 v[8:9], v[14:15], v[76:77], v[6:7] op_sel:[0,0,1] op_sel_hi:[1,1,0] neg_lo:[0,0,1] neg_hi:[0,0,1]
	v_pk_fma_f32 v[6:7], v[14:15], v[76:77], v[6:7] op_sel:[0,0,1] op_sel_hi:[1,0,0]
	v_mov_b32_e32 v9, v7
	v_pk_add_f32 v[4:5], v[4:5], v[8:9]
	v_pk_add_f32 v[2:3], v[2:3], v[4:5] neg_lo:[0,1] neg_hi:[0,1]
	buffer_store_dword v3, off, s[0:3], 0 offset:172
	buffer_store_dword v2, off, s[0:3], 0 offset:168
	s_and_saveexec_b64 s[4:5], vcc
	s_cbranch_execz .LBB119_309
; %bb.308:
	buffer_load_dword v2, off, s[0:3], 0 offset:160
	buffer_load_dword v3, off, s[0:3], 0 offset:164
	v_mov_b32_e32 v1, 0
	buffer_store_dword v1, off, s[0:3], 0 offset:160
	buffer_store_dword v1, off, s[0:3], 0 offset:164
	s_waitcnt vmcnt(2)
	ds_write_b64 v161, v[2:3]
.LBB119_309:
	s_or_b64 exec, exec, s[4:5]
	s_waitcnt lgkmcnt(0)
	; wave barrier
	s_waitcnt lgkmcnt(0)
	buffer_load_dword v60, off, s[0:3], 0 offset:172
	buffer_load_dword v62, off, s[0:3], 0 offset:180
	buffer_load_dword v64, off, s[0:3], 0 offset:188
	buffer_load_dword v82, off, s[0:3], 0 offset:196
	buffer_load_dword v83, off, s[0:3], 0 offset:204
	buffer_load_dword v84, off, s[0:3], 0 offset:212
	buffer_load_dword v85, off, s[0:3], 0 offset:220
	buffer_load_dword v86, off, s[0:3], 0 offset:228
	buffer_load_dword v87, off, s[0:3], 0 offset:236
	buffer_load_dword v88, off, s[0:3], 0 offset:168
	buffer_load_dword v89, off, s[0:3], 0 offset:176
	buffer_load_dword v90, off, s[0:3], 0 offset:184
	buffer_load_dword v91, off, s[0:3], 0 offset:192
	buffer_load_dword v92, off, s[0:3], 0 offset:200
	buffer_load_dword v93, off, s[0:3], 0 offset:208
	buffer_load_dword v94, off, s[0:3], 0 offset:216
	buffer_load_dword v95, off, s[0:3], 0 offset:224
	buffer_load_dword v96, off, s[0:3], 0 offset:232
	buffer_load_dword v97, off, s[0:3], 0 offset:244
	buffer_load_dword v98, off, s[0:3], 0 offset:240
	buffer_load_dword v99, off, s[0:3], 0 offset:252
	buffer_load_dword v100, off, s[0:3], 0 offset:248
	buffer_load_dword v101, off, s[0:3], 0 offset:260
	buffer_load_dword v102, off, s[0:3], 0 offset:256
	buffer_load_dword v103, off, s[0:3], 0 offset:268
	buffer_load_dword v104, off, s[0:3], 0 offset:264
	buffer_load_dword v105, off, s[0:3], 0 offset:276
	buffer_load_dword v106, off, s[0:3], 0 offset:272
	buffer_load_dword v107, off, s[0:3], 0 offset:284
	buffer_load_dword v108, off, s[0:3], 0 offset:280
	buffer_load_dword v109, off, s[0:3], 0 offset:288
	buffer_load_dword v110, off, s[0:3], 0 offset:292
	buffer_load_dword v2, off, s[0:3], 0 offset:160
	buffer_load_dword v3, off, s[0:3], 0 offset:164
	buffer_load_dword v111, off, s[0:3], 0 offset:296
	buffer_load_dword v112, off, s[0:3], 0 offset:300
	buffer_load_dword v113, off, s[0:3], 0 offset:304
	buffer_load_dword v114, off, s[0:3], 0 offset:308
	buffer_load_dword v115, off, s[0:3], 0 offset:312
	buffer_load_dword v116, off, s[0:3], 0 offset:316
	buffer_load_dword v117, off, s[0:3], 0 offset:320
	buffer_load_dword v118, off, s[0:3], 0 offset:324
	buffer_load_dword v119, off, s[0:3], 0 offset:328
	buffer_load_dword v120, off, s[0:3], 0 offset:332
	buffer_load_dword v121, off, s[0:3], 0 offset:336
	buffer_load_dword v122, off, s[0:3], 0 offset:340
	buffer_load_dword v123, off, s[0:3], 0 offset:344
	buffer_load_dword v124, off, s[0:3], 0 offset:348
	buffer_load_dword v125, off, s[0:3], 0 offset:352
	buffer_load_dword v126, off, s[0:3], 0 offset:356
	buffer_load_dword v127, off, s[0:3], 0 offset:360
	buffer_load_dword v128, off, s[0:3], 0 offset:364
	buffer_load_dword v129, off, s[0:3], 0 offset:368
	buffer_load_dword v130, off, s[0:3], 0 offset:372
	buffer_load_dword v131, off, s[0:3], 0 offset:376
	buffer_load_dword v132, off, s[0:3], 0 offset:380
	v_mov_b32_e32 v1, 0
	ds_read2_b64 v[4:7], v1 offset0:77 offset1:78
	ds_read2_b64 v[8:11], v1 offset0:79 offset1:80
	;; [unrolled: 1-line block ×6, first 2 shown]
	v_cmp_lt_u32_e32 vcc, 19, v0
	s_waitcnt vmcnt(55) lgkmcnt(5)
	v_mul_f32_e32 v28, v4, v60
	s_waitcnt vmcnt(54)
	v_mul_f32_e32 v29, v6, v62
	s_waitcnt vmcnt(53) lgkmcnt(4)
	v_mul_f32_e32 v30, v8, v64
	s_waitcnt vmcnt(52)
	v_mul_f32_e32 v31, v10, v82
	;; [unrolled: 4-line block ×4, first 2 shown]
	s_waitcnt vmcnt(47) lgkmcnt(1)
	v_mul_f32_e32 v36, v20, v87
	s_waitcnt vmcnt(46)
	v_fmac_f32_e32 v28, v5, v88
	s_waitcnt vmcnt(45)
	v_fmac_f32_e32 v29, v7, v89
	v_add_f32_e32 v28, 0, v28
	s_waitcnt vmcnt(44)
	v_fmac_f32_e32 v30, v9, v90
	v_add_f32_e32 v28, v28, v29
	;; [unrolled: 3-line block ×7, first 2 shown]
	v_add_f32_e32 v28, v28, v35
	s_waitcnt vmcnt(38)
	v_fmac_f32_e32 v36, v21, v96
	s_waitcnt vmcnt(37)
	v_mul_f32_e32 v29, v22, v97
	v_add_f32_e32 v28, v28, v36
	s_waitcnt vmcnt(36)
	v_fmac_f32_e32 v29, v23, v98
	v_add_f32_e32 v28, v28, v29
	s_waitcnt vmcnt(35) lgkmcnt(0)
	v_mul_f32_e32 v29, v24, v99
	s_waitcnt vmcnt(34)
	v_fmac_f32_e32 v29, v25, v100
	v_add_f32_e32 v32, v28, v29
	ds_read2_b64 v[28:31], v1 offset0:89 offset1:90
	s_waitcnt vmcnt(33)
	v_mul_f32_e32 v33, v26, v101
	s_waitcnt vmcnt(32)
	v_fmac_f32_e32 v33, v27, v102
	v_add_f32_e32 v36, v32, v33
	ds_read2_b64 v[32:35], v1 offset0:91 offset1:92
	s_waitcnt vmcnt(31) lgkmcnt(1)
	v_mul_f32_e32 v37, v28, v103
	s_waitcnt vmcnt(30)
	v_fmac_f32_e32 v37, v29, v104
	v_add_f32_e32 v36, v36, v37
	s_waitcnt vmcnt(29)
	v_mul_f32_e32 v37, v30, v105
	s_waitcnt vmcnt(28)
	v_fmac_f32_e32 v37, v31, v106
	v_add_f32_e32 v36, v36, v37
	s_waitcnt vmcnt(27) lgkmcnt(0)
	v_mul_f32_e32 v37, v32, v107
	s_waitcnt vmcnt(26)
	v_fmac_f32_e32 v37, v33, v108
	v_add_f32_e32 v40, v36, v37
	ds_read2_b64 v[36:39], v1 offset0:93 offset1:94
	s_waitcnt vmcnt(24)
	v_mul_f32_e32 v41, v34, v110
	v_fmac_f32_e32 v41, v35, v109
	v_add_f32_e32 v44, v40, v41
	ds_read2_b64 v[40:43], v1 offset0:95 offset1:96
	s_waitcnt vmcnt(20) lgkmcnt(1)
	v_mul_f32_e32 v45, v36, v112
	v_fmac_f32_e32 v45, v37, v111
	v_add_f32_e32 v44, v44, v45
	s_waitcnt vmcnt(18)
	v_mul_f32_e32 v45, v38, v114
	v_fmac_f32_e32 v45, v39, v113
	v_add_f32_e32 v44, v44, v45
	s_waitcnt vmcnt(16) lgkmcnt(0)
	v_mul_f32_e32 v45, v40, v116
	v_fmac_f32_e32 v45, v41, v115
	v_add_f32_e32 v48, v44, v45
	ds_read2_b64 v[44:47], v1 offset0:97 offset1:98
	s_waitcnt vmcnt(14)
	v_mul_f32_e32 v49, v42, v118
	v_fmac_f32_e32 v49, v43, v117
	v_add_f32_e32 v52, v48, v49
	ds_read2_b64 v[48:51], v1 offset0:99 offset1:100
	s_waitcnt vmcnt(12) lgkmcnt(1)
	v_mul_f32_e32 v53, v44, v120
	v_fmac_f32_e32 v53, v45, v119
	v_add_f32_e32 v52, v52, v53
	s_waitcnt vmcnt(10)
	v_mul_f32_e32 v53, v46, v122
	v_fmac_f32_e32 v53, v47, v121
	v_add_f32_e32 v52, v52, v53
	s_waitcnt vmcnt(8) lgkmcnt(0)
	v_mul_f32_e32 v53, v48, v124
	v_fmac_f32_e32 v53, v49, v123
	s_waitcnt vmcnt(6)
	v_mul_f32_e32 v57, v50, v126
	v_add_f32_e32 v56, v52, v53
	v_fmac_f32_e32 v57, v51, v125
	ds_read2_b64 v[52:55], v1 offset0:101 offset1:102
	v_add_f32_e32 v61, v56, v57
	ds_read2_b64 v[56:59], v1 offset0:103 offset1:104
	buffer_load_dword v67, off, s[0:3], 0 offset:412
	buffer_load_dword v66, off, s[0:3], 0 offset:408
	buffer_load_dword v69, off, s[0:3], 0 offset:404
	buffer_load_dword v68, off, s[0:3], 0 offset:400
	buffer_load_dword v71, off, s[0:3], 0 offset:396
	buffer_load_dword v70, off, s[0:3], 0 offset:392
	buffer_load_dword v73, off, s[0:3], 0 offset:388
	buffer_load_dword v72, off, s[0:3], 0 offset:384
	buffer_load_dword v75, off, s[0:3], 0 offset:444
	buffer_load_dword v74, off, s[0:3], 0 offset:440
	buffer_load_dword v77, off, s[0:3], 0 offset:436
	buffer_load_dword v76, off, s[0:3], 0 offset:432
	buffer_load_dword v79, off, s[0:3], 0 offset:428
	buffer_load_dword v78, off, s[0:3], 0 offset:424
	buffer_load_dword v81, off, s[0:3], 0 offset:420
	buffer_load_dword v80, off, s[0:3], 0 offset:416
	v_mul_f32_e32 v5, v5, v60
	v_fma_f32 v4, v4, v88, -v5
	v_mul_f32_e32 v5, v7, v62
	v_add_f32_e32 v4, 0, v4
	v_fma_f32 v5, v6, v89, -v5
	v_add_f32_e32 v4, v4, v5
	v_mul_f32_e32 v5, v9, v64
	v_fma_f32 v5, v8, v90, -v5
	v_add_f32_e32 v4, v4, v5
	v_mul_f32_e32 v5, v11, v82
	;; [unrolled: 3-line block ×22, first 2 shown]
	v_fma_f32 v5, v50, v125, -v5
	v_add_f32_e32 v4, v4, v5
	s_waitcnt vmcnt(20) lgkmcnt(1)
	v_mul_f32_e32 v5, v53, v128
	v_mul_f32_e32 v63, v52, v128
	v_fma_f32 v5, v52, v127, -v5
	v_fmac_f32_e32 v63, v53, v127
	v_add_f32_e32 v60, v4, v5
	s_waitcnt vmcnt(18)
	v_mul_f32_e32 v4, v55, v130
	s_waitcnt vmcnt(9)
	v_mov_b32_e32 v20, v73
	v_add_f32_e32 v61, v61, v63
	v_mul_f32_e32 v63, v54, v130
	v_fma_f32 v62, v54, v129, -v4
	s_waitcnt lgkmcnt(0)
	v_mul_f32_e32 v4, v57, v132
	v_pk_mul_f32 v[20:21], v[58:59], v[20:21] op_sel_hi:[1,0]
	v_fmac_f32_e32 v63, v55, v129
	v_mul_f32_e32 v65, v56, v132
	v_fma_f32 v64, v56, v131, -v4
	ds_read2_b64 v[4:7], v1 offset0:105 offset1:106
	ds_read2_b64 v[8:11], v1 offset0:107 offset1:108
	;; [unrolled: 1-line block ×3, first 2 shown]
	ds_read_b64 v[16:17], v1 offset:888
	s_waitcnt vmcnt(8)
	v_pk_fma_f32 v[22:23], v[58:59], v[72:73], v[20:21] op_sel:[0,0,1] op_sel_hi:[1,1,0] neg_lo:[0,0,1] neg_hi:[0,0,1]
	v_pk_fma_f32 v[20:21], v[58:59], v[72:73], v[20:21] op_sel:[0,0,1] op_sel_hi:[1,0,0]
	v_fmac_f32_e32 v65, v57, v131
	v_pk_add_f32 v[18:19], v[60:61], v[62:63]
	v_mov_b32_e32 v20, v71
	v_pk_add_f32 v[18:19], v[18:19], v[64:65]
	v_mov_b32_e32 v23, v21
	s_waitcnt lgkmcnt(3)
	v_pk_mul_f32 v[20:21], v[4:5], v[20:21] op_sel_hi:[1,0]
	v_pk_add_f32 v[18:19], v[18:19], v[22:23]
	v_pk_fma_f32 v[22:23], v[4:5], v[70:71], v[20:21] op_sel:[0,0,1] op_sel_hi:[1,1,0] neg_lo:[0,0,1] neg_hi:[0,0,1]
	v_pk_fma_f32 v[4:5], v[4:5], v[70:71], v[20:21] op_sel:[0,0,1] op_sel_hi:[1,0,0]
	v_mov_b32_e32 v23, v5
	v_pk_add_f32 v[4:5], v[18:19], v[22:23]
	v_mov_b32_e32 v18, v69
	v_pk_mul_f32 v[18:19], v[6:7], v[18:19] op_sel_hi:[1,0]
	v_pk_fma_f32 v[20:21], v[6:7], v[68:69], v[18:19] op_sel:[0,0,1] op_sel_hi:[1,1,0] neg_lo:[0,0,1] neg_hi:[0,0,1]
	v_pk_fma_f32 v[6:7], v[6:7], v[68:69], v[18:19] op_sel:[0,0,1] op_sel_hi:[1,0,0]
	v_mov_b32_e32 v6, v67
	v_mov_b32_e32 v21, v7
	s_waitcnt lgkmcnt(2)
	v_pk_mul_f32 v[6:7], v[8:9], v[6:7] op_sel_hi:[1,0]
	v_pk_fma_f32 v[18:19], v[8:9], v[66:67], v[6:7] op_sel:[0,0,1] op_sel_hi:[1,1,0] neg_lo:[0,0,1] neg_hi:[0,0,1]
	v_pk_fma_f32 v[6:7], v[8:9], v[66:67], v[6:7] op_sel:[0,0,1] op_sel_hi:[1,0,0]
	s_waitcnt vmcnt(1)
	v_mov_b32_e32 v6, v81
	v_mov_b32_e32 v19, v7
	v_pk_mul_f32 v[6:7], v[10:11], v[6:7] op_sel_hi:[1,0]
	s_waitcnt vmcnt(0)
	v_pk_fma_f32 v[8:9], v[10:11], v[80:81], v[6:7] op_sel:[0,0,1] op_sel_hi:[1,1,0] neg_lo:[0,0,1] neg_hi:[0,0,1]
	v_pk_fma_f32 v[6:7], v[10:11], v[80:81], v[6:7] op_sel:[0,0,1] op_sel_hi:[1,0,0]
	v_pk_add_f32 v[4:5], v[4:5], v[20:21]
	v_mov_b32_e32 v6, v79
	v_pk_add_f32 v[4:5], v[4:5], v[18:19]
	v_mov_b32_e32 v9, v7
	s_waitcnt lgkmcnt(1)
	v_pk_mul_f32 v[6:7], v[12:13], v[6:7] op_sel_hi:[1,0]
	v_pk_add_f32 v[4:5], v[4:5], v[8:9]
	v_pk_fma_f32 v[8:9], v[12:13], v[78:79], v[6:7] op_sel:[0,0,1] op_sel_hi:[1,1,0] neg_lo:[0,0,1] neg_hi:[0,0,1]
	v_pk_fma_f32 v[6:7], v[12:13], v[78:79], v[6:7] op_sel:[0,0,1] op_sel_hi:[1,0,0]
	v_mov_b32_e32 v6, v77
	v_mov_b32_e32 v9, v7
	v_pk_mul_f32 v[6:7], v[14:15], v[6:7] op_sel_hi:[1,0]
	v_pk_add_f32 v[4:5], v[4:5], v[8:9]
	v_pk_fma_f32 v[8:9], v[14:15], v[76:77], v[6:7] op_sel:[0,0,1] op_sel_hi:[1,1,0] neg_lo:[0,0,1] neg_hi:[0,0,1]
	v_pk_fma_f32 v[6:7], v[14:15], v[76:77], v[6:7] op_sel:[0,0,1] op_sel_hi:[1,0,0]
	v_mov_b32_e32 v6, v75
	v_mov_b32_e32 v9, v7
	s_waitcnt lgkmcnt(0)
	v_pk_mul_f32 v[6:7], v[16:17], v[6:7] op_sel_hi:[1,0]
	v_pk_add_f32 v[4:5], v[4:5], v[8:9]
	v_pk_fma_f32 v[8:9], v[16:17], v[74:75], v[6:7] op_sel:[0,0,1] op_sel_hi:[1,1,0] neg_lo:[0,0,1] neg_hi:[0,0,1]
	v_pk_fma_f32 v[6:7], v[16:17], v[74:75], v[6:7] op_sel:[0,0,1] op_sel_hi:[1,0,0]
	v_mov_b32_e32 v9, v7
	v_pk_add_f32 v[4:5], v[4:5], v[8:9]
	v_pk_add_f32 v[2:3], v[2:3], v[4:5] neg_lo:[0,1] neg_hi:[0,1]
	buffer_store_dword v3, off, s[0:3], 0 offset:164
	buffer_store_dword v2, off, s[0:3], 0 offset:160
	s_and_saveexec_b64 s[4:5], vcc
	s_cbranch_execz .LBB119_311
; %bb.310:
	buffer_load_dword v2, off, s[0:3], 0 offset:152
	buffer_load_dword v3, off, s[0:3], 0 offset:156
	s_waitcnt vmcnt(0)
	ds_write_b64 v161, v[2:3]
	buffer_store_dword v1, off, s[0:3], 0 offset:152
	buffer_store_dword v1, off, s[0:3], 0 offset:156
.LBB119_311:
	s_or_b64 exec, exec, s[4:5]
	s_waitcnt lgkmcnt(0)
	; wave barrier
	s_waitcnt lgkmcnt(0)
	buffer_load_dword v60, off, s[0:3], 0 offset:164
	buffer_load_dword v62, off, s[0:3], 0 offset:172
	;; [unrolled: 1-line block ×36, first 2 shown]
	ds_read_b128 v[4:7], v1 offset:608
	ds_read_b128 v[8:11], v1 offset:624
	buffer_load_dword v113, off, s[0:3], 0 offset:296
	buffer_load_dword v114, off, s[0:3], 0 offset:300
	;; [unrolled: 1-line block ×4, first 2 shown]
	ds_read_b128 v[12:15], v1 offset:640
	ds_read_b128 v[16:19], v1 offset:656
	buffer_load_dword v117, off, s[0:3], 0 offset:312
	buffer_load_dword v118, off, s[0:3], 0 offset:316
	ds_read_b128 v[20:23], v1 offset:672
	ds_read_b128 v[24:27], v1 offset:688
	buffer_load_dword v119, off, s[0:3], 0 offset:320
	buffer_load_dword v120, off, s[0:3], 0 offset:324
	;; [unrolled: 1-line block ×16, first 2 shown]
	v_cmp_lt_u32_e32 vcc, 18, v0
	s_waitcnt vmcnt(57) lgkmcnt(5)
	v_mul_f32_e32 v28, v4, v60
	s_waitcnt vmcnt(56)
	v_mul_f32_e32 v29, v6, v62
	s_waitcnt vmcnt(55) lgkmcnt(4)
	v_mul_f32_e32 v30, v8, v70
	s_waitcnt vmcnt(54)
	v_mul_f32_e32 v31, v10, v82
	;; [unrolled: 4-line block ×4, first 2 shown]
	s_waitcnt vmcnt(49)
	v_fmac_f32_e32 v28, v5, v87
	s_waitcnt vmcnt(48)
	v_fmac_f32_e32 v29, v7, v88
	v_add_f32_e32 v28, 0, v28
	s_waitcnt vmcnt(47)
	v_fmac_f32_e32 v30, v9, v89
	v_add_f32_e32 v28, v28, v29
	s_waitcnt vmcnt(46)
	v_fmac_f32_e32 v31, v11, v90
	v_add_f32_e32 v28, v28, v30
	s_waitcnt vmcnt(45)
	v_fmac_f32_e32 v32, v13, v91
	v_add_f32_e32 v28, v28, v31
	s_waitcnt vmcnt(44)
	v_fmac_f32_e32 v33, v15, v92
	v_add_f32_e32 v28, v28, v32
	s_waitcnt vmcnt(43)
	v_fmac_f32_e32 v34, v17, v93
	v_add_f32_e32 v28, v28, v33
	s_waitcnt vmcnt(42)
	v_fmac_f32_e32 v35, v19, v94
	v_add_f32_e32 v28, v28, v34
	s_waitcnt vmcnt(41) lgkmcnt(1)
	v_mul_f32_e32 v29, v20, v95
	v_add_f32_e32 v28, v28, v35
	s_waitcnt vmcnt(40)
	v_fmac_f32_e32 v29, v21, v96
	v_add_f32_e32 v28, v28, v29
	s_waitcnt vmcnt(39)
	v_mul_f32_e32 v29, v22, v97
	s_waitcnt vmcnt(38)
	v_fmac_f32_e32 v29, v23, v98
	v_add_f32_e32 v28, v28, v29
	s_waitcnt vmcnt(37) lgkmcnt(0)
	v_mul_f32_e32 v29, v24, v99
	s_waitcnt vmcnt(36)
	v_fmac_f32_e32 v29, v25, v100
	v_add_f32_e32 v32, v28, v29
	ds_read_b128 v[28:31], v1 offset:704
	s_waitcnt vmcnt(35)
	v_mul_f32_e32 v33, v26, v101
	s_waitcnt vmcnt(34)
	v_fmac_f32_e32 v33, v27, v102
	v_add_f32_e32 v36, v32, v33
	ds_read_b128 v[32:35], v1 offset:720
	s_waitcnt vmcnt(33) lgkmcnt(1)
	v_mul_f32_e32 v37, v28, v103
	s_waitcnt vmcnt(32)
	v_fmac_f32_e32 v37, v29, v104
	v_add_f32_e32 v36, v36, v37
	s_waitcnt vmcnt(31)
	v_mul_f32_e32 v37, v30, v105
	s_waitcnt vmcnt(30)
	v_fmac_f32_e32 v37, v31, v106
	v_add_f32_e32 v36, v36, v37
	s_waitcnt vmcnt(29) lgkmcnt(0)
	v_mul_f32_e32 v37, v32, v107
	s_waitcnt vmcnt(28)
	v_fmac_f32_e32 v37, v33, v108
	v_add_f32_e32 v40, v36, v37
	ds_read_b128 v[36:39], v1 offset:736
	s_waitcnt vmcnt(25)
	v_mul_f32_e32 v41, v34, v109
	s_waitcnt vmcnt(24)
	v_fmac_f32_e32 v41, v35, v110
	v_add_f32_e32 v44, v40, v41
	ds_read_b128 v[40:43], v1 offset:752
	s_waitcnt vmcnt(22) lgkmcnt(1)
	v_mul_f32_e32 v45, v36, v112
	v_fmac_f32_e32 v45, v37, v111
	v_add_f32_e32 v44, v44, v45
	s_waitcnt vmcnt(20)
	v_mul_f32_e32 v45, v38, v114
	v_fmac_f32_e32 v45, v39, v113
	v_add_f32_e32 v44, v44, v45
	s_waitcnt vmcnt(18) lgkmcnt(0)
	v_mul_f32_e32 v45, v40, v116
	v_fmac_f32_e32 v45, v41, v115
	v_add_f32_e32 v48, v44, v45
	ds_read_b128 v[44:47], v1 offset:768
	s_waitcnt vmcnt(16)
	v_mul_f32_e32 v49, v42, v118
	v_fmac_f32_e32 v49, v43, v117
	v_add_f32_e32 v52, v48, v49
	ds_read_b128 v[48:51], v1 offset:784
	s_waitcnt vmcnt(14) lgkmcnt(1)
	v_mul_f32_e32 v53, v44, v120
	v_fmac_f32_e32 v53, v45, v119
	v_add_f32_e32 v52, v52, v53
	s_waitcnt vmcnt(12)
	v_mul_f32_e32 v53, v46, v122
	v_fmac_f32_e32 v53, v47, v121
	v_add_f32_e32 v52, v52, v53
	s_waitcnt vmcnt(10) lgkmcnt(0)
	v_mul_f32_e32 v53, v48, v124
	v_fmac_f32_e32 v53, v49, v123
	s_waitcnt vmcnt(8)
	v_mul_f32_e32 v57, v50, v126
	v_add_f32_e32 v56, v52, v53
	v_fmac_f32_e32 v57, v51, v125
	ds_read_b128 v[52:55], v1 offset:800
	v_add_f32_e32 v61, v56, v57
	ds_read_b128 v[56:59], v1 offset:816
	buffer_load_dword v65, off, s[0:3], 0 offset:404
	buffer_load_dword v64, off, s[0:3], 0 offset:400
	;; [unrolled: 1-line block ×16, first 2 shown]
	v_mul_f32_e32 v5, v5, v60
	v_fma_f32 v4, v4, v87, -v5
	v_mul_f32_e32 v5, v7, v62
	v_add_f32_e32 v4, 0, v4
	v_fma_f32 v5, v6, v88, -v5
	v_add_f32_e32 v4, v4, v5
	v_mul_f32_e32 v5, v9, v70
	v_fma_f32 v5, v8, v89, -v5
	v_add_f32_e32 v4, v4, v5
	v_mul_f32_e32 v5, v11, v82
	;; [unrolled: 3-line block ×22, first 2 shown]
	v_fma_f32 v5, v50, v125, -v5
	v_add_f32_e32 v4, v4, v5
	s_waitcnt vmcnt(22) lgkmcnt(1)
	v_mul_f32_e32 v5, v53, v128
	v_fma_f32 v5, v52, v127, -v5
	v_add_f32_e32 v4, v4, v5
	s_waitcnt vmcnt(20)
	v_mul_f32_e32 v5, v55, v130
	v_mul_f32_e32 v63, v52, v128
	v_fma_f32 v5, v54, v129, -v5
	v_fmac_f32_e32 v63, v53, v127
	v_add_f32_e32 v60, v4, v5
	s_waitcnt vmcnt(18) lgkmcnt(0)
	v_mul_f32_e32 v4, v57, v132
	v_add_f32_e32 v61, v61, v63
	v_mul_f32_e32 v63, v54, v130
	v_fma_f32 v62, v56, v131, -v4
	s_waitcnt vmcnt(16)
	v_mul_f32_e32 v4, v59, v134
	v_fmac_f32_e32 v63, v55, v129
	v_fma_f32 v70, v58, v133, -v4
	ds_read_b128 v[4:7], v1 offset:832
	ds_read_b128 v[8:11], v1 offset:848
	ds_read_b128 v[12:15], v1 offset:864
	ds_read_b128 v[16:19], v1 offset:880
	v_add_f32_e32 v61, v61, v63
	v_mul_f32_e32 v63, v56, v132
	s_waitcnt vmcnt(11)
	v_mov_b32_e32 v22, v69
	v_fmac_f32_e32 v63, v57, v131
	v_mul_f32_e32 v71, v58, v134
	s_waitcnt lgkmcnt(3)
	v_pk_mul_f32 v[22:23], v[4:5], v[22:23] op_sel_hi:[1,0]
	v_fmac_f32_e32 v71, v59, v133
	v_pk_add_f32 v[20:21], v[60:61], v[62:63]
	s_waitcnt vmcnt(10)
	v_pk_fma_f32 v[24:25], v[4:5], v[68:69], v[22:23] op_sel:[0,0,1] op_sel_hi:[1,1,0] neg_lo:[0,0,1] neg_hi:[0,0,1]
	v_pk_fma_f32 v[4:5], v[4:5], v[68:69], v[22:23] op_sel:[0,0,1] op_sel_hi:[1,0,0]
	v_pk_add_f32 v[20:21], v[20:21], v[70:71]
	v_mov_b32_e32 v25, v5
	v_pk_add_f32 v[4:5], v[20:21], v[24:25]
	v_mov_b32_e32 v20, v67
	v_pk_mul_f32 v[20:21], v[6:7], v[20:21] op_sel_hi:[1,0]
	v_pk_fma_f32 v[22:23], v[6:7], v[66:67], v[20:21] op_sel:[0,0,1] op_sel_hi:[1,1,0] neg_lo:[0,0,1] neg_hi:[0,0,1]
	v_pk_fma_f32 v[6:7], v[6:7], v[66:67], v[20:21] op_sel:[0,0,1] op_sel_hi:[1,0,0]
	v_mov_b32_e32 v6, v65
	v_mov_b32_e32 v23, v7
	s_waitcnt lgkmcnt(2)
	v_pk_mul_f32 v[6:7], v[8:9], v[6:7] op_sel_hi:[1,0]
	v_pk_fma_f32 v[20:21], v[8:9], v[64:65], v[6:7] op_sel:[0,0,1] op_sel_hi:[1,1,0] neg_lo:[0,0,1] neg_hi:[0,0,1]
	v_pk_fma_f32 v[6:7], v[8:9], v[64:65], v[6:7] op_sel:[0,0,1] op_sel_hi:[1,0,0]
	s_waitcnt vmcnt(3)
	v_mov_b32_e32 v6, v79
	v_mov_b32_e32 v21, v7
	v_pk_mul_f32 v[6:7], v[10:11], v[6:7] op_sel_hi:[1,0]
	s_waitcnt vmcnt(2)
	v_pk_fma_f32 v[8:9], v[10:11], v[78:79], v[6:7] op_sel:[0,0,1] op_sel_hi:[1,1,0] neg_lo:[0,0,1] neg_hi:[0,0,1]
	v_pk_fma_f32 v[6:7], v[10:11], v[78:79], v[6:7] op_sel:[0,0,1] op_sel_hi:[1,0,0]
	v_pk_add_f32 v[4:5], v[4:5], v[22:23]
	v_mov_b32_e32 v6, v77
	v_pk_add_f32 v[4:5], v[4:5], v[20:21]
	v_mov_b32_e32 v9, v7
	s_waitcnt lgkmcnt(1)
	v_pk_mul_f32 v[6:7], v[12:13], v[6:7] op_sel_hi:[1,0]
	v_pk_add_f32 v[4:5], v[4:5], v[8:9]
	v_pk_fma_f32 v[8:9], v[12:13], v[76:77], v[6:7] op_sel:[0,0,1] op_sel_hi:[1,1,0] neg_lo:[0,0,1] neg_hi:[0,0,1]
	v_pk_fma_f32 v[6:7], v[12:13], v[76:77], v[6:7] op_sel:[0,0,1] op_sel_hi:[1,0,0]
	v_mov_b32_e32 v6, v75
	v_mov_b32_e32 v9, v7
	v_pk_mul_f32 v[6:7], v[14:15], v[6:7] op_sel_hi:[1,0]
	v_pk_add_f32 v[4:5], v[4:5], v[8:9]
	v_pk_fma_f32 v[8:9], v[14:15], v[74:75], v[6:7] op_sel:[0,0,1] op_sel_hi:[1,1,0] neg_lo:[0,0,1] neg_hi:[0,0,1]
	v_pk_fma_f32 v[6:7], v[14:15], v[74:75], v[6:7] op_sel:[0,0,1] op_sel_hi:[1,0,0]
	v_mov_b32_e32 v6, v73
	v_mov_b32_e32 v9, v7
	s_waitcnt lgkmcnt(0)
	v_pk_mul_f32 v[6:7], v[16:17], v[6:7] op_sel_hi:[1,0]
	v_pk_add_f32 v[4:5], v[4:5], v[8:9]
	v_pk_fma_f32 v[8:9], v[16:17], v[72:73], v[6:7] op_sel:[0,0,1] op_sel_hi:[1,1,0] neg_lo:[0,0,1] neg_hi:[0,0,1]
	v_pk_fma_f32 v[6:7], v[16:17], v[72:73], v[6:7] op_sel:[0,0,1] op_sel_hi:[1,0,0]
	s_waitcnt vmcnt(1)
	v_mov_b32_e32 v6, v81
	v_mov_b32_e32 v9, v7
	v_pk_mul_f32 v[6:7], v[18:19], v[6:7] op_sel_hi:[1,0]
	v_pk_add_f32 v[4:5], v[4:5], v[8:9]
	s_waitcnt vmcnt(0)
	v_pk_fma_f32 v[8:9], v[18:19], v[80:81], v[6:7] op_sel:[0,0,1] op_sel_hi:[1,1,0] neg_lo:[0,0,1] neg_hi:[0,0,1]
	v_pk_fma_f32 v[6:7], v[18:19], v[80:81], v[6:7] op_sel:[0,0,1] op_sel_hi:[1,0,0]
	v_mov_b32_e32 v9, v7
	v_pk_add_f32 v[4:5], v[4:5], v[8:9]
	v_pk_add_f32 v[2:3], v[2:3], v[4:5] neg_lo:[0,1] neg_hi:[0,1]
	buffer_store_dword v3, off, s[0:3], 0 offset:156
	buffer_store_dword v2, off, s[0:3], 0 offset:152
	s_and_saveexec_b64 s[4:5], vcc
	s_cbranch_execz .LBB119_313
; %bb.312:
	buffer_load_dword v2, off, s[0:3], 0 offset:144
	buffer_load_dword v3, off, s[0:3], 0 offset:148
	v_mov_b32_e32 v1, 0
	buffer_store_dword v1, off, s[0:3], 0 offset:144
	buffer_store_dword v1, off, s[0:3], 0 offset:148
	s_waitcnt vmcnt(2)
	ds_write_b64 v161, v[2:3]
.LBB119_313:
	s_or_b64 exec, exec, s[4:5]
	s_waitcnt lgkmcnt(0)
	; wave barrier
	s_waitcnt lgkmcnt(0)
	buffer_load_dword v32, off, s[0:3], 0 offset:156
	buffer_load_dword v34, off, s[0:3], 0 offset:164
	;; [unrolled: 1-line block ×60, first 2 shown]
	v_mov_b32_e32 v50, 0
	ds_read2_b64 v[22:25], v50 offset0:75 offset1:76
	ds_read2_b64 v[18:21], v50 offset0:77 offset1:78
	;; [unrolled: 1-line block ×14, first 2 shown]
	v_cmp_lt_u32_e32 vcc, 17, v0
	s_waitcnt vmcnt(59) lgkmcnt(13)
	v_mul_f32_e32 v2, v22, v32
	s_waitcnt vmcnt(58)
	v_mul_f32_e32 v3, v24, v34
	s_waitcnt vmcnt(57) lgkmcnt(12)
	v_mul_f32_e32 v4, v18, v1
	s_waitcnt vmcnt(56)
	v_mul_f32_e32 v5, v20, v51
	;; [unrolled: 4-line block ×3, first 2 shown]
	s_waitcnt vmcnt(53) lgkmcnt(10)
	v_mul_f32_e32 v31, v10, v30
	s_waitcnt vmcnt(52)
	v_fmac_f32_e32 v2, v23, v64
	s_waitcnt vmcnt(51)
	v_fmac_f32_e32 v3, v25, v58
	v_add_f32_e32 v2, 0, v2
	s_waitcnt vmcnt(50)
	v_fmac_f32_e32 v4, v19, v67
	v_add_f32_e32 v2, v2, v3
	;; [unrolled: 3-line block ×6, first 2 shown]
	s_waitcnt vmcnt(45)
	v_mul_f32_e32 v3, v12, v63
	v_add_f32_e32 v2, v2, v31
	s_waitcnt vmcnt(44)
	v_fmac_f32_e32 v3, v13, v62
	v_add_f32_e32 v2, v2, v3
	s_waitcnt vmcnt(43) lgkmcnt(9)
	v_mul_f32_e32 v3, v6, v61
	s_waitcnt vmcnt(42)
	v_fmac_f32_e32 v3, v7, v60
	v_add_f32_e32 v2, v2, v3
	s_waitcnt vmcnt(41)
	v_mul_f32_e32 v3, v8, v57
	s_waitcnt vmcnt(40)
	v_fmac_f32_e32 v3, v9, v56
	v_add_f32_e32 v2, v2, v3
	s_waitcnt vmcnt(39) lgkmcnt(8)
	v_mul_f32_e32 v3, v76, v55
	s_waitcnt vmcnt(38)
	v_fmac_f32_e32 v3, v77, v75
	v_add_f32_e32 v2, v2, v3
	s_waitcnt vmcnt(37)
	v_mul_f32_e32 v3, v78, v71
	;; [unrolled: 10-line block ×4, first 2 shown]
	v_fmac_f32_e32 v3, v87, v113
	v_add_f32_e32 v2, v2, v3
	s_waitcnt vmcnt(24) lgkmcnt(5)
	v_mul_f32_e32 v3, v88, v116
	v_fmac_f32_e32 v3, v89, v115
	v_add_f32_e32 v2, v2, v3
	s_waitcnt vmcnt(22)
	v_mul_f32_e32 v3, v90, v118
	v_fmac_f32_e32 v3, v91, v117
	v_add_f32_e32 v2, v2, v3
	s_waitcnt vmcnt(20) lgkmcnt(4)
	v_mul_f32_e32 v3, v92, v120
	v_fmac_f32_e32 v3, v93, v119
	v_add_f32_e32 v2, v2, v3
	s_waitcnt vmcnt(18)
	v_mul_f32_e32 v3, v94, v122
	;; [unrolled: 8-line block ×5, first 2 shown]
	v_fmac_f32_e32 v3, v107, v133
	v_add_f32_e32 v28, v2, v3
	ds_read2_b64 v[2:5], v50 offset0:103 offset1:104
	s_waitcnt vmcnt(4) lgkmcnt(1)
	v_mul_f32_e32 v29, v108, v136
	v_fmac_f32_e32 v29, v109, v135
	v_add_f32_e32 v33, v28, v29
	buffer_load_dword v29, off, s[0:3], 0 offset:388
	buffer_load_dword v28, off, s[0:3], 0 offset:384
	;; [unrolled: 1-line block ×16, first 2 shown]
	v_mul_f32_e32 v23, v23, v32
	v_fma_f32 v22, v22, v64, -v23
	v_mul_f32_e32 v23, v25, v34
	v_add_f32_e32 v22, 0, v22
	v_fma_f32 v23, v24, v58, -v23
	v_mul_f32_e32 v1, v19, v1
	v_add_f32_e32 v22, v22, v23
	;; [unrolled: 3-line block ×4, first 2 shown]
	v_fma_f32 v14, v14, v59, -v15
	v_add_f32_e32 v1, v1, v14
	v_mul_f32_e32 v14, v17, v53
	v_fma_f32 v14, v16, v54, -v14
	v_mul_f32_e32 v11, v11, v30
	v_add_f32_e32 v1, v1, v14
	v_fma_f32 v10, v10, v66, -v11
	v_add_f32_e32 v1, v1, v10
	v_mul_f32_e32 v10, v13, v63
	v_fma_f32 v10, v12, v62, -v10
	v_mul_f32_e32 v7, v7, v61
	v_add_f32_e32 v1, v1, v10
	v_fma_f32 v6, v6, v60, -v7
	v_add_f32_e32 v1, v1, v6
	v_mul_f32_e32 v6, v9, v57
	v_fma_f32 v6, v8, v56, -v6
	v_add_f32_e32 v1, v1, v6
	v_mul_f32_e32 v6, v77, v55
	;; [unrolled: 3-line block ×18, first 2 shown]
	v_fma_f32 v6, v108, v135, -v6
	s_waitcnt vmcnt(18)
	v_mul_f32_e32 v35, v110, v138
	v_add_f32_e32 v32, v1, v6
	v_mul_f32_e32 v1, v111, v138
	s_waitcnt vmcnt(15)
	v_mov_b32_e32 v20, v29
	v_fmac_f32_e32 v35, v111, v137
	s_waitcnt lgkmcnt(0)
	v_mul_f32_e32 v31, v2, v140
	v_fma_f32 v34, v110, v137, -v1
	v_mul_f32_e32 v1, v3, v140
	v_pk_mul_f32 v[20:21], v[4:5], v[20:21] op_sel_hi:[1,0]
	v_fmac_f32_e32 v31, v3, v139
	v_fma_f32 v30, v2, v139, -v1
	v_pk_add_f32 v[18:19], v[32:33], v[34:35]
	s_waitcnt vmcnt(14)
	v_pk_fma_f32 v[22:23], v[4:5], v[28:29], v[20:21] op_sel:[0,0,1] op_sel_hi:[1,1,0] neg_lo:[0,0,1] neg_hi:[0,0,1]
	v_pk_fma_f32 v[4:5], v[4:5], v[28:29], v[20:21] op_sel:[0,0,1] op_sel_hi:[1,0,0]
	ds_read2_b64 v[6:9], v50 offset0:105 offset1:106
	ds_read2_b64 v[10:13], v50 offset0:107 offset1:108
	;; [unrolled: 1-line block ×3, first 2 shown]
	ds_read_b64 v[2:3], v50 offset:888
	v_pk_add_f32 v[18:19], v[18:19], v[30:31]
	v_mov_b32_e32 v23, v5
	v_pk_add_f32 v[4:5], v[18:19], v[22:23]
	s_waitcnt vmcnt(13)
	v_mov_b32_e32 v18, v49
	s_waitcnt lgkmcnt(3)
	v_pk_mul_f32 v[18:19], v[6:7], v[18:19] op_sel_hi:[1,0]
	s_waitcnt vmcnt(12)
	v_pk_fma_f32 v[20:21], v[6:7], v[48:49], v[18:19] op_sel:[0,0,1] op_sel_hi:[1,1,0] neg_lo:[0,0,1] neg_hi:[0,0,1]
	v_pk_fma_f32 v[6:7], v[6:7], v[48:49], v[18:19] op_sel:[0,0,1] op_sel_hi:[1,0,0]
	s_waitcnt vmcnt(11)
	v_mov_b32_e32 v6, v47
	v_mov_b32_e32 v21, v7
	v_pk_mul_f32 v[6:7], v[8:9], v[6:7] op_sel_hi:[1,0]
	s_waitcnt vmcnt(10)
	v_pk_fma_f32 v[18:19], v[8:9], v[46:47], v[6:7] op_sel:[0,0,1] op_sel_hi:[1,1,0] neg_lo:[0,0,1] neg_hi:[0,0,1]
	v_pk_fma_f32 v[6:7], v[8:9], v[46:47], v[6:7] op_sel:[0,0,1] op_sel_hi:[1,0,0]
	s_waitcnt vmcnt(9)
	v_mov_b32_e32 v6, v45
	v_mov_b32_e32 v19, v7
	s_waitcnt lgkmcnt(2)
	v_pk_mul_f32 v[6:7], v[10:11], v[6:7] op_sel_hi:[1,0]
	s_waitcnt vmcnt(8)
	v_pk_fma_f32 v[8:9], v[10:11], v[44:45], v[6:7] op_sel:[0,0,1] op_sel_hi:[1,1,0] neg_lo:[0,0,1] neg_hi:[0,0,1]
	v_pk_fma_f32 v[6:7], v[10:11], v[44:45], v[6:7] op_sel:[0,0,1] op_sel_hi:[1,0,0]
	v_pk_add_f32 v[4:5], v[4:5], v[20:21]
	s_waitcnt vmcnt(7)
	v_mov_b32_e32 v6, v43
	v_pk_add_f32 v[4:5], v[4:5], v[18:19]
	v_mov_b32_e32 v9, v7
	v_pk_mul_f32 v[6:7], v[12:13], v[6:7] op_sel_hi:[1,0]
	v_pk_add_f32 v[4:5], v[4:5], v[8:9]
	s_waitcnt vmcnt(6)
	v_pk_fma_f32 v[8:9], v[12:13], v[42:43], v[6:7] op_sel:[0,0,1] op_sel_hi:[1,1,0] neg_lo:[0,0,1] neg_hi:[0,0,1]
	v_pk_fma_f32 v[6:7], v[12:13], v[42:43], v[6:7] op_sel:[0,0,1] op_sel_hi:[1,0,0]
	s_waitcnt vmcnt(5)
	v_mov_b32_e32 v6, v41
	v_mov_b32_e32 v9, v7
	s_waitcnt lgkmcnt(1)
	v_pk_mul_f32 v[6:7], v[14:15], v[6:7] op_sel_hi:[1,0]
	v_pk_add_f32 v[4:5], v[4:5], v[8:9]
	s_waitcnt vmcnt(4)
	v_pk_fma_f32 v[8:9], v[14:15], v[40:41], v[6:7] op_sel:[0,0,1] op_sel_hi:[1,1,0] neg_lo:[0,0,1] neg_hi:[0,0,1]
	v_pk_fma_f32 v[6:7], v[14:15], v[40:41], v[6:7] op_sel:[0,0,1] op_sel_hi:[1,0,0]
	s_waitcnt vmcnt(3)
	v_mov_b32_e32 v6, v39
	v_mov_b32_e32 v9, v7
	v_pk_mul_f32 v[6:7], v[16:17], v[6:7] op_sel_hi:[1,0]
	v_pk_add_f32 v[4:5], v[4:5], v[8:9]
	s_waitcnt vmcnt(2)
	v_pk_fma_f32 v[8:9], v[16:17], v[38:39], v[6:7] op_sel:[0,0,1] op_sel_hi:[1,1,0] neg_lo:[0,0,1] neg_hi:[0,0,1]
	v_pk_fma_f32 v[6:7], v[16:17], v[38:39], v[6:7] op_sel:[0,0,1] op_sel_hi:[1,0,0]
	s_waitcnt vmcnt(1)
	v_mov_b32_e32 v6, v37
	v_mov_b32_e32 v9, v7
	s_waitcnt lgkmcnt(0)
	v_pk_mul_f32 v[6:7], v[2:3], v[6:7] op_sel_hi:[1,0]
	v_pk_add_f32 v[4:5], v[4:5], v[8:9]
	s_waitcnt vmcnt(0)
	v_pk_fma_f32 v[8:9], v[2:3], v[36:37], v[6:7] op_sel:[0,0,1] op_sel_hi:[1,1,0] neg_lo:[0,0,1] neg_hi:[0,0,1]
	v_pk_fma_f32 v[2:3], v[2:3], v[36:37], v[6:7] op_sel:[0,0,1] op_sel_hi:[1,0,0]
	v_mov_b32_e32 v9, v3
	v_pk_add_f32 v[2:3], v[4:5], v[8:9]
	v_pk_add_f32 v[2:3], v[26:27], v[2:3] neg_lo:[0,1] neg_hi:[0,1]
	buffer_store_dword v3, off, s[0:3], 0 offset:148
	buffer_store_dword v2, off, s[0:3], 0 offset:144
	s_and_saveexec_b64 s[4:5], vcc
	s_cbranch_execz .LBB119_315
; %bb.314:
	buffer_load_dword v2, off, s[0:3], 0 offset:136
	buffer_load_dword v3, off, s[0:3], 0 offset:140
	s_waitcnt vmcnt(0)
	ds_write_b64 v161, v[2:3]
	buffer_store_dword v50, off, s[0:3], 0 offset:136
	buffer_store_dword v50, off, s[0:3], 0 offset:140
.LBB119_315:
	s_or_b64 exec, exec, s[4:5]
	s_waitcnt lgkmcnt(0)
	; wave barrier
	s_waitcnt lgkmcnt(0)
	buffer_load_dword v1, off, s[0:3], 0 offset:148
	buffer_load_dword v51, off, s[0:3], 0 offset:156
	;; [unrolled: 1-line block ×32, first 2 shown]
	ds_read_b128 v[16:19], v50 offset:592
	ds_read_b128 v[6:9], v50 offset:608
	buffer_load_dword v117, off, s[0:3], 0 offset:264
	buffer_load_dword v118, off, s[0:3], 0 offset:268
	ds_read_b128 v[10:13], v50 offset:624
	ds_read_b128 v[2:5], v50 offset:640
	buffer_load_dword v119, off, s[0:3], 0 offset:272
	buffer_load_dword v120, off, s[0:3], 0 offset:276
	;; [unrolled: 1-line block ×28, first 2 shown]
	ds_read_b128 v[56:59], v50 offset:784
	ds_read_b128 v[60:63], v50 offset:800
	v_cmp_lt_u32_e32 vcc, 16, v0
	ds_read_b128 v[52:55], v50 offset:768
	s_waitcnt vmcnt(61) lgkmcnt(6)
	v_mul_f32_e32 v20, v16, v1
	s_waitcnt vmcnt(60)
	v_mul_f32_e32 v21, v18, v51
	s_waitcnt vmcnt(59) lgkmcnt(5)
	v_mul_f32_e32 v23, v8, v72
	s_waitcnt vmcnt(58) lgkmcnt(4)
	v_mul_f32_e32 v24, v10, v74
	s_waitcnt vmcnt(57)
	v_mul_f32_e32 v25, v12, v76
	s_waitcnt vmcnt(56)
	;; [unrolled: 2-line block ×3, first 2 shown]
	v_fmac_f32_e32 v22, v7, v93
	s_waitcnt vmcnt(54)
	v_fmac_f32_e32 v21, v19, v94
	s_waitcnt vmcnt(53)
	v_fmac_f32_e32 v20, v17, v95
	v_add_f32_e32 v20, 0, v20
	v_add_f32_e32 v20, v20, v21
	;; [unrolled: 1-line block ×3, first 2 shown]
	s_waitcnt vmcnt(49)
	v_fmac_f32_e32 v24, v11, v99
	s_waitcnt vmcnt(48)
	v_fmac_f32_e32 v23, v9, v100
	v_add_f32_e32 v20, v20, v23
	s_waitcnt lgkmcnt(3)
	v_mul_f32_e32 v26, v2, v96
	v_fmac_f32_e32 v25, v13, v98
	v_add_f32_e32 v20, v20, v24
	v_fmac_f32_e32 v26, v3, v97
	v_add_f32_e32 v20, v20, v25
	v_add_f32_e32 v24, v20, v26
	ds_read_b128 v[20:23], v50 offset:656
	s_waitcnt vmcnt(44)
	v_mul_f32_e32 v25, v4, v104
	s_waitcnt vmcnt(43)
	v_fmac_f32_e32 v25, v5, v105
	v_add_f32_e32 v28, v24, v25
	ds_read_b128 v[24:27], v50 offset:672
	s_waitcnt vmcnt(42) lgkmcnt(1)
	v_mul_f32_e32 v29, v20, v106
	v_fmac_f32_e32 v29, v21, v103
	v_add_f32_e32 v28, v28, v29
	s_waitcnt vmcnt(41)
	v_mul_f32_e32 v29, v22, v107
	v_fmac_f32_e32 v29, v23, v102
	v_add_f32_e32 v28, v28, v29
	s_waitcnt vmcnt(40) lgkmcnt(0)
	v_mul_f32_e32 v29, v24, v108
	v_fmac_f32_e32 v29, v25, v101
	v_add_f32_e32 v32, v28, v29
	ds_read_b128 v[28:31], v50 offset:688
	s_waitcnt vmcnt(34)
	v_mul_f32_e32 v33, v26, v114
	s_waitcnt vmcnt(33)
	v_fmac_f32_e32 v33, v27, v115
	v_add_f32_e32 v36, v32, v33
	ds_read_b128 v[32:35], v50 offset:704
	s_waitcnt vmcnt(32) lgkmcnt(1)
	v_mul_f32_e32 v37, v28, v116
	v_fmac_f32_e32 v37, v29, v113
	v_add_f32_e32 v36, v36, v37
	v_mul_f32_e32 v37, v30, v110
	v_fmac_f32_e32 v37, v31, v109
	v_add_f32_e32 v36, v36, v37
	s_waitcnt lgkmcnt(0)
	v_mul_f32_e32 v37, v32, v112
	v_fmac_f32_e32 v37, v33, v111
	v_add_f32_e32 v40, v36, v37
	ds_read_b128 v[36:39], v50 offset:720
	s_waitcnt vmcnt(28)
	v_mul_f32_e32 v41, v34, v118
	v_fmac_f32_e32 v41, v35, v117
	v_add_f32_e32 v44, v40, v41
	ds_read_b128 v[40:43], v50 offset:736
	s_waitcnt vmcnt(26) lgkmcnt(1)
	v_mul_f32_e32 v45, v36, v120
	v_fmac_f32_e32 v45, v37, v119
	v_add_f32_e32 v44, v44, v45
	s_waitcnt vmcnt(24)
	v_mul_f32_e32 v45, v38, v122
	v_fmac_f32_e32 v45, v39, v121
	v_add_f32_e32 v44, v44, v45
	s_waitcnt vmcnt(22) lgkmcnt(0)
	v_mul_f32_e32 v45, v40, v124
	v_fmac_f32_e32 v45, v41, v123
	v_add_f32_e32 v48, v44, v45
	ds_read_b128 v[44:47], v50 offset:752
	s_waitcnt vmcnt(20)
	v_mul_f32_e32 v49, v42, v126
	v_fmac_f32_e32 v49, v43, v125
	v_add_f32_e32 v48, v48, v49
	s_waitcnt vmcnt(4)
	v_mul_f32_e32 v69, v62, v142
	s_waitcnt lgkmcnt(0)
	v_mul_f32_e32 v49, v44, v128
	v_fmac_f32_e32 v49, v45, v127
	v_add_f32_e32 v48, v48, v49
	v_mul_f32_e32 v49, v46, v130
	v_fmac_f32_e32 v49, v47, v129
	v_add_f32_e32 v48, v48, v49
	;; [unrolled: 3-line block ×7, first 2 shown]
	buffer_load_dword v49, off, s[0:3], 0 offset:388
	buffer_load_dword v48, off, s[0:3], 0 offset:384
	v_fmac_f32_e32 v69, v63, v141
	ds_read_b128 v[64:67], v50 offset:816
	v_add_f32_e32 v73, v68, v69
	ds_read_b128 v[68:71], v50 offset:832
	buffer_load_dword v79, off, s[0:3], 0 offset:420
	buffer_load_dword v78, off, s[0:3], 0 offset:416
	;; [unrolled: 1-line block ×14, first 2 shown]
	v_mul_f32_e32 v1, v17, v1
	v_fma_f32 v1, v16, v95, -v1
	v_mul_f32_e32 v16, v19, v51
	v_add_f32_e32 v1, 0, v1
	v_fma_f32 v16, v18, v94, -v16
	v_mul_f32_e32 v7, v7, v92
	v_add_f32_e32 v1, v1, v16
	v_fma_f32 v6, v6, v93, -v7
	v_add_f32_e32 v1, v1, v6
	v_mul_f32_e32 v6, v9, v72
	v_fma_f32 v6, v8, v100, -v6
	v_add_f32_e32 v1, v1, v6
	v_mul_f32_e32 v6, v11, v74
	;; [unrolled: 3-line block ×3, first 2 shown]
	v_fma_f32 v6, v12, v98, -v6
	v_mul_f32_e32 v3, v3, v96
	v_add_f32_e32 v1, v1, v6
	v_fma_f32 v2, v2, v97, -v3
	v_add_f32_e32 v1, v1, v2
	v_mul_f32_e32 v2, v5, v104
	v_fma_f32 v2, v4, v105, -v2
	v_add_f32_e32 v1, v1, v2
	v_mul_f32_e32 v2, v21, v106
	;; [unrolled: 3-line block ×21, first 2 shown]
	v_fma_f32 v2, v62, v141, -v2
	s_waitcnt vmcnt(15)
	v_mov_b32_e32 v18, v49
	s_waitcnt lgkmcnt(1)
	v_mul_f32_e32 v75, v64, v206
	v_add_f32_e32 v72, v1, v2
	v_mul_f32_e32 v1, v65, v206
	s_waitcnt lgkmcnt(0)
	v_pk_mul_f32 v[18:19], v[68:69], v[18:19] op_sel_hi:[1,0]
	v_fmac_f32_e32 v75, v65, v143
	v_mul_f32_e32 v77, v66, v208
	v_fma_f32 v74, v64, v143, -v1
	v_mul_f32_e32 v1, v67, v208
	s_waitcnt vmcnt(14)
	v_pk_fma_f32 v[20:21], v[68:69], v[48:49], v[18:19] op_sel:[0,0,1] op_sel_hi:[1,1,0] neg_lo:[0,0,1] neg_hi:[0,0,1]
	v_pk_fma_f32 v[18:19], v[68:69], v[48:49], v[18:19] op_sel:[0,0,1] op_sel_hi:[1,0,0]
	v_fmac_f32_e32 v77, v67, v207
	v_fma_f32 v76, v66, v207, -v1
	v_pk_add_f32 v[16:17], v[72:73], v[74:75]
	s_waitcnt vmcnt(7)
	v_mov_b32_e32 v18, v85
	ds_read_b128 v[2:5], v50 offset:848
	ds_read_b128 v[6:9], v50 offset:864
	;; [unrolled: 1-line block ×3, first 2 shown]
	v_pk_add_f32 v[16:17], v[16:17], v[76:77]
	v_mov_b32_e32 v21, v19
	v_pk_mul_f32 v[18:19], v[70:71], v[18:19] op_sel_hi:[1,0]
	v_pk_add_f32 v[16:17], v[16:17], v[20:21]
	s_waitcnt vmcnt(6)
	v_pk_fma_f32 v[20:21], v[70:71], v[84:85], v[18:19] op_sel:[0,0,1] op_sel_hi:[1,1,0] neg_lo:[0,0,1] neg_hi:[0,0,1]
	v_pk_fma_f32 v[18:19], v[70:71], v[84:85], v[18:19] op_sel:[0,0,1] op_sel_hi:[1,0,0]
	v_mov_b32_e32 v18, v83
	v_mov_b32_e32 v21, v19
	s_waitcnt lgkmcnt(2)
	v_pk_mul_f32 v[18:19], v[2:3], v[18:19] op_sel_hi:[1,0]
	v_pk_add_f32 v[16:17], v[16:17], v[20:21]
	v_pk_fma_f32 v[20:21], v[2:3], v[82:83], v[18:19] op_sel:[0,0,1] op_sel_hi:[1,1,0] neg_lo:[0,0,1] neg_hi:[0,0,1]
	v_pk_fma_f32 v[2:3], v[2:3], v[82:83], v[18:19] op_sel:[0,0,1] op_sel_hi:[1,0,0]
	v_mov_b32_e32 v21, v3
	v_pk_add_f32 v[2:3], v[16:17], v[20:21]
	v_mov_b32_e32 v16, v81
	v_pk_mul_f32 v[16:17], v[4:5], v[16:17] op_sel_hi:[1,0]
	v_pk_fma_f32 v[18:19], v[4:5], v[80:81], v[16:17] op_sel:[0,0,1] op_sel_hi:[1,1,0] neg_lo:[0,0,1] neg_hi:[0,0,1]
	v_pk_fma_f32 v[4:5], v[4:5], v[80:81], v[16:17] op_sel:[0,0,1] op_sel_hi:[1,0,0]
	v_mov_b32_e32 v4, v79
	v_mov_b32_e32 v19, v5
	s_waitcnt lgkmcnt(1)
	v_pk_mul_f32 v[4:5], v[6:7], v[4:5] op_sel_hi:[1,0]
	v_pk_fma_f32 v[16:17], v[6:7], v[78:79], v[4:5] op_sel:[0,0,1] op_sel_hi:[1,1,0] neg_lo:[0,0,1] neg_hi:[0,0,1]
	v_pk_fma_f32 v[4:5], v[6:7], v[78:79], v[4:5] op_sel:[0,0,1] op_sel_hi:[1,0,0]
	s_waitcnt vmcnt(1)
	v_mov_b32_e32 v4, v91
	v_mov_b32_e32 v17, v5
	v_pk_mul_f32 v[4:5], v[8:9], v[4:5] op_sel_hi:[1,0]
	s_waitcnt vmcnt(0)
	v_pk_fma_f32 v[6:7], v[8:9], v[90:91], v[4:5] op_sel:[0,0,1] op_sel_hi:[1,1,0] neg_lo:[0,0,1] neg_hi:[0,0,1]
	v_pk_fma_f32 v[4:5], v[8:9], v[90:91], v[4:5] op_sel:[0,0,1] op_sel_hi:[1,0,0]
	v_pk_add_f32 v[2:3], v[2:3], v[18:19]
	v_mov_b32_e32 v4, v89
	v_pk_add_f32 v[2:3], v[2:3], v[16:17]
	v_mov_b32_e32 v7, v5
	s_waitcnt lgkmcnt(0)
	v_pk_mul_f32 v[4:5], v[10:11], v[4:5] op_sel_hi:[1,0]
	v_pk_add_f32 v[2:3], v[2:3], v[6:7]
	v_pk_fma_f32 v[6:7], v[10:11], v[88:89], v[4:5] op_sel:[0,0,1] op_sel_hi:[1,1,0] neg_lo:[0,0,1] neg_hi:[0,0,1]
	v_pk_fma_f32 v[4:5], v[10:11], v[88:89], v[4:5] op_sel:[0,0,1] op_sel_hi:[1,0,0]
	v_mov_b32_e32 v4, v87
	v_mov_b32_e32 v7, v5
	v_pk_mul_f32 v[4:5], v[12:13], v[4:5] op_sel_hi:[1,0]
	v_pk_add_f32 v[2:3], v[2:3], v[6:7]
	v_pk_fma_f32 v[6:7], v[12:13], v[86:87], v[4:5] op_sel:[0,0,1] op_sel_hi:[1,1,0] neg_lo:[0,0,1] neg_hi:[0,0,1]
	v_pk_fma_f32 v[4:5], v[12:13], v[86:87], v[4:5] op_sel:[0,0,1] op_sel_hi:[1,0,0]
	v_mov_b32_e32 v7, v5
	v_pk_add_f32 v[2:3], v[2:3], v[6:7]
	v_pk_add_f32 v[2:3], v[14:15], v[2:3] neg_lo:[0,1] neg_hi:[0,1]
	buffer_store_dword v3, off, s[0:3], 0 offset:140
	buffer_store_dword v2, off, s[0:3], 0 offset:136
	s_and_saveexec_b64 s[4:5], vcc
	s_cbranch_execz .LBB119_317
; %bb.316:
	buffer_load_dword v2, off, s[0:3], 0 offset:128
	buffer_load_dword v3, off, s[0:3], 0 offset:132
	v_mov_b32_e32 v1, 0
	buffer_store_dword v1, off, s[0:3], 0 offset:128
	buffer_store_dword v1, off, s[0:3], 0 offset:132
	s_waitcnt vmcnt(2)
	ds_write_b64 v161, v[2:3]
.LBB119_317:
	s_or_b64 exec, exec, s[4:5]
	s_waitcnt lgkmcnt(0)
	; wave barrier
	s_waitcnt lgkmcnt(0)
	buffer_load_dword v68, off, s[0:3], 0 offset:140
	buffer_load_dword v70, off, s[0:3], 0 offset:148
	;; [unrolled: 1-line block ×48, first 2 shown]
	v_mov_b32_e32 v1, 0
	ds_read2_b64 v[2:5], v1 offset0:73 offset1:74
	buffer_load_dword v133, off, s[0:3], 0 offset:320
	buffer_load_dword v134, off, s[0:3], 0 offset:324
	;; [unrolled: 1-line block ×8, first 2 shown]
	ds_read2_b64 v[8:11], v1 offset0:75 offset1:76
	ds_read2_b64 v[12:15], v1 offset0:77 offset1:78
	;; [unrolled: 1-line block ×3, first 2 shown]
	buffer_load_dword v141, off, s[0:3], 0 offset:352
	buffer_load_dword v142, off, s[0:3], 0 offset:356
	;; [unrolled: 1-line block ×8, first 2 shown]
	v_cmp_lt_u32_e32 vcc, 15, v0
	s_waitcnt vmcnt(62) lgkmcnt(3)
	v_mul_f32_e32 v20, v2, v68
	v_mul_f32_e32 v21, v4, v70
	s_waitcnt vmcnt(61) lgkmcnt(2)
	v_mul_f32_e32 v23, v10, v72
	s_waitcnt vmcnt(60) lgkmcnt(1)
	v_mul_f32_e32 v24, v12, v90
	s_waitcnt vmcnt(59)
	v_mul_f32_e32 v25, v14, v91
	s_waitcnt vmcnt(58)
	;; [unrolled: 2-line block ×3, first 2 shown]
	v_fmac_f32_e32 v22, v9, v93
	s_waitcnt vmcnt(56)
	v_fmac_f32_e32 v21, v5, v94
	s_waitcnt vmcnt(55)
	v_fmac_f32_e32 v20, v3, v95
	v_add_f32_e32 v20, 0, v20
	v_add_f32_e32 v20, v20, v21
	;; [unrolled: 1-line block ×3, first 2 shown]
	s_waitcnt vmcnt(51)
	v_fmac_f32_e32 v24, v13, v99
	s_waitcnt vmcnt(50)
	v_fmac_f32_e32 v23, v11, v100
	v_add_f32_e32 v20, v20, v23
	s_waitcnt lgkmcnt(0)
	v_mul_f32_e32 v26, v16, v96
	v_fmac_f32_e32 v25, v15, v98
	v_add_f32_e32 v20, v20, v24
	v_fmac_f32_e32 v26, v17, v97
	v_add_f32_e32 v20, v20, v25
	v_add_f32_e32 v24, v20, v26
	ds_read2_b64 v[20:23], v1 offset0:81 offset1:82
	s_waitcnt vmcnt(45)
	v_mul_f32_e32 v25, v18, v105
	s_waitcnt vmcnt(44)
	v_fmac_f32_e32 v25, v19, v106
	v_add_f32_e32 v28, v24, v25
	ds_read2_b64 v[24:27], v1 offset0:83 offset1:84
	s_waitcnt vmcnt(43) lgkmcnt(1)
	v_mul_f32_e32 v29, v20, v107
	v_fmac_f32_e32 v29, v21, v104
	v_add_f32_e32 v28, v28, v29
	s_waitcnt vmcnt(42)
	v_mul_f32_e32 v29, v22, v108
	v_fmac_f32_e32 v29, v23, v103
	v_add_f32_e32 v28, v28, v29
	s_waitcnt lgkmcnt(0)
	v_mul_f32_e32 v29, v24, v102
	v_fmac_f32_e32 v29, v25, v101
	v_add_f32_e32 v32, v28, v29
	ds_read2_b64 v[28:31], v1 offset0:85 offset1:86
	s_waitcnt vmcnt(38)
	v_mul_f32_e32 v33, v26, v110
	v_fmac_f32_e32 v33, v27, v109
	v_add_f32_e32 v36, v32, v33
	ds_read2_b64 v[32:35], v1 offset0:87 offset1:88
	s_waitcnt vmcnt(36) lgkmcnt(1)
	v_mul_f32_e32 v37, v28, v112
	v_fmac_f32_e32 v37, v29, v111
	v_add_f32_e32 v36, v36, v37
	s_waitcnt vmcnt(34)
	v_mul_f32_e32 v37, v30, v114
	v_fmac_f32_e32 v37, v31, v113
	v_add_f32_e32 v36, v36, v37
	s_waitcnt vmcnt(32) lgkmcnt(0)
	v_mul_f32_e32 v37, v32, v116
	v_fmac_f32_e32 v37, v33, v115
	v_add_f32_e32 v40, v36, v37
	ds_read2_b64 v[36:39], v1 offset0:89 offset1:90
	s_waitcnt vmcnt(30)
	v_mul_f32_e32 v41, v34, v118
	v_fmac_f32_e32 v41, v35, v117
	v_add_f32_e32 v44, v40, v41
	ds_read2_b64 v[40:43], v1 offset0:91 offset1:92
	s_waitcnt vmcnt(28) lgkmcnt(1)
	v_mul_f32_e32 v45, v36, v120
	v_fmac_f32_e32 v45, v37, v119
	v_add_f32_e32 v44, v44, v45
	s_waitcnt vmcnt(26)
	v_mul_f32_e32 v45, v38, v122
	v_fmac_f32_e32 v45, v39, v121
	v_add_f32_e32 v44, v44, v45
	s_waitcnt vmcnt(24) lgkmcnt(0)
	v_mul_f32_e32 v45, v40, v124
	v_fmac_f32_e32 v45, v41, v123
	v_add_f32_e32 v48, v44, v45
	ds_read2_b64 v[44:47], v1 offset0:93 offset1:94
	s_waitcnt vmcnt(22)
	v_mul_f32_e32 v49, v42, v126
	v_fmac_f32_e32 v49, v43, v125
	v_add_f32_e32 v52, v48, v49
	ds_read2_b64 v[48:51], v1 offset0:95 offset1:96
	s_waitcnt vmcnt(20) lgkmcnt(1)
	v_mul_f32_e32 v53, v44, v128
	v_fmac_f32_e32 v53, v45, v127
	v_add_f32_e32 v52, v52, v53
	s_waitcnt vmcnt(18)
	v_mul_f32_e32 v53, v46, v130
	v_fmac_f32_e32 v53, v47, v129
	v_add_f32_e32 v52, v52, v53
	s_waitcnt vmcnt(16) lgkmcnt(0)
	v_mul_f32_e32 v53, v48, v132
	v_fmac_f32_e32 v53, v49, v131
	v_add_f32_e32 v56, v52, v53
	ds_read2_b64 v[52:55], v1 offset0:97 offset1:98
	s_waitcnt vmcnt(14)
	v_mul_f32_e32 v57, v50, v134
	v_fmac_f32_e32 v57, v51, v133
	v_add_f32_e32 v60, v56, v57
	ds_read2_b64 v[56:59], v1 offset0:99 offset1:100
	s_waitcnt vmcnt(12) lgkmcnt(1)
	v_mul_f32_e32 v61, v52, v136
	v_fmac_f32_e32 v61, v53, v135
	v_add_f32_e32 v60, v60, v61
	s_waitcnt vmcnt(10)
	v_mul_f32_e32 v61, v54, v138
	v_fmac_f32_e32 v61, v55, v137
	v_add_f32_e32 v60, v60, v61
	s_waitcnt vmcnt(8) lgkmcnt(0)
	v_mul_f32_e32 v61, v56, v140
	v_fmac_f32_e32 v61, v57, v139
	s_waitcnt vmcnt(6)
	v_mul_f32_e32 v65, v58, v142
	v_add_f32_e32 v64, v60, v61
	v_fmac_f32_e32 v65, v59, v141
	ds_read2_b64 v[60:63], v1 offset0:101 offset1:102
	v_add_f32_e32 v69, v64, v65
	ds_read2_b64 v[64:67], v1 offset0:103 offset1:104
	buffer_load_dword v75, off, s[0:3], 0 offset:412
	buffer_load_dword v74, off, s[0:3], 0 offset:408
	;; [unrolled: 1-line block ×16, first 2 shown]
	v_mul_f32_e32 v3, v3, v68
	v_fma_f32 v2, v2, v95, -v3
	v_mul_f32_e32 v3, v5, v70
	v_add_f32_e32 v2, 0, v2
	v_fma_f32 v3, v4, v94, -v3
	v_add_f32_e32 v2, v2, v3
	v_mul_f32_e32 v3, v9, v92
	v_fma_f32 v3, v8, v93, -v3
	v_add_f32_e32 v2, v2, v3
	v_mul_f32_e32 v3, v11, v72
	;; [unrolled: 3-line block ×26, first 2 shown]
	v_fma_f32 v3, v58, v141, -v3
	v_add_f32_e32 v2, v2, v3
	s_waitcnt vmcnt(20) lgkmcnt(1)
	v_mul_f32_e32 v3, v61, v206
	v_mul_f32_e32 v71, v60, v206
	v_fma_f32 v3, v60, v143, -v3
	v_fmac_f32_e32 v71, v61, v143
	v_add_f32_e32 v68, v2, v3
	s_waitcnt vmcnt(18)
	v_mul_f32_e32 v2, v63, v208
	s_waitcnt vmcnt(9)
	v_mov_b32_e32 v20, v81
	v_add_f32_e32 v69, v69, v71
	v_mul_f32_e32 v71, v62, v208
	v_fma_f32 v70, v62, v207, -v2
	s_waitcnt lgkmcnt(0)
	v_mul_f32_e32 v2, v65, v210
	v_pk_mul_f32 v[20:21], v[66:67], v[20:21] op_sel_hi:[1,0]
	v_fmac_f32_e32 v71, v63, v207
	v_mul_f32_e32 v73, v64, v210
	v_fma_f32 v72, v64, v209, -v2
	ds_read2_b64 v[2:5], v1 offset0:105 offset1:106
	ds_read2_b64 v[8:11], v1 offset0:107 offset1:108
	;; [unrolled: 1-line block ×3, first 2 shown]
	ds_read_b64 v[16:17], v1 offset:888
	s_waitcnt vmcnt(8)
	v_pk_fma_f32 v[22:23], v[66:67], v[80:81], v[20:21] op_sel:[0,0,1] op_sel_hi:[1,1,0] neg_lo:[0,0,1] neg_hi:[0,0,1]
	v_pk_fma_f32 v[20:21], v[66:67], v[80:81], v[20:21] op_sel:[0,0,1] op_sel_hi:[1,0,0]
	v_fmac_f32_e32 v73, v65, v209
	v_pk_add_f32 v[18:19], v[68:69], v[70:71]
	v_mov_b32_e32 v20, v79
	v_pk_add_f32 v[18:19], v[18:19], v[72:73]
	v_mov_b32_e32 v23, v21
	s_waitcnt lgkmcnt(3)
	v_pk_mul_f32 v[20:21], v[2:3], v[20:21] op_sel_hi:[1,0]
	v_pk_add_f32 v[18:19], v[18:19], v[22:23]
	v_pk_fma_f32 v[22:23], v[2:3], v[78:79], v[20:21] op_sel:[0,0,1] op_sel_hi:[1,1,0] neg_lo:[0,0,1] neg_hi:[0,0,1]
	v_pk_fma_f32 v[2:3], v[2:3], v[78:79], v[20:21] op_sel:[0,0,1] op_sel_hi:[1,0,0]
	v_mov_b32_e32 v23, v3
	v_pk_add_f32 v[2:3], v[18:19], v[22:23]
	v_mov_b32_e32 v18, v77
	v_pk_mul_f32 v[18:19], v[4:5], v[18:19] op_sel_hi:[1,0]
	v_pk_fma_f32 v[20:21], v[4:5], v[76:77], v[18:19] op_sel:[0,0,1] op_sel_hi:[1,1,0] neg_lo:[0,0,1] neg_hi:[0,0,1]
	v_pk_fma_f32 v[4:5], v[4:5], v[76:77], v[18:19] op_sel:[0,0,1] op_sel_hi:[1,0,0]
	v_mov_b32_e32 v4, v75
	v_mov_b32_e32 v21, v5
	s_waitcnt lgkmcnt(2)
	v_pk_mul_f32 v[4:5], v[8:9], v[4:5] op_sel_hi:[1,0]
	v_pk_fma_f32 v[18:19], v[8:9], v[74:75], v[4:5] op_sel:[0,0,1] op_sel_hi:[1,1,0] neg_lo:[0,0,1] neg_hi:[0,0,1]
	v_pk_fma_f32 v[4:5], v[8:9], v[74:75], v[4:5] op_sel:[0,0,1] op_sel_hi:[1,0,0]
	s_waitcnt vmcnt(1)
	v_mov_b32_e32 v4, v89
	v_mov_b32_e32 v19, v5
	v_pk_mul_f32 v[4:5], v[10:11], v[4:5] op_sel_hi:[1,0]
	s_waitcnt vmcnt(0)
	v_pk_fma_f32 v[8:9], v[10:11], v[88:89], v[4:5] op_sel:[0,0,1] op_sel_hi:[1,1,0] neg_lo:[0,0,1] neg_hi:[0,0,1]
	v_pk_fma_f32 v[4:5], v[10:11], v[88:89], v[4:5] op_sel:[0,0,1] op_sel_hi:[1,0,0]
	v_pk_add_f32 v[2:3], v[2:3], v[20:21]
	v_mov_b32_e32 v4, v87
	v_pk_add_f32 v[2:3], v[2:3], v[18:19]
	v_mov_b32_e32 v9, v5
	s_waitcnt lgkmcnt(1)
	v_pk_mul_f32 v[4:5], v[12:13], v[4:5] op_sel_hi:[1,0]
	v_pk_add_f32 v[2:3], v[2:3], v[8:9]
	v_pk_fma_f32 v[8:9], v[12:13], v[86:87], v[4:5] op_sel:[0,0,1] op_sel_hi:[1,1,0] neg_lo:[0,0,1] neg_hi:[0,0,1]
	v_pk_fma_f32 v[4:5], v[12:13], v[86:87], v[4:5] op_sel:[0,0,1] op_sel_hi:[1,0,0]
	v_mov_b32_e32 v4, v85
	v_mov_b32_e32 v9, v5
	v_pk_mul_f32 v[4:5], v[14:15], v[4:5] op_sel_hi:[1,0]
	v_pk_add_f32 v[2:3], v[2:3], v[8:9]
	v_pk_fma_f32 v[8:9], v[14:15], v[84:85], v[4:5] op_sel:[0,0,1] op_sel_hi:[1,1,0] neg_lo:[0,0,1] neg_hi:[0,0,1]
	v_pk_fma_f32 v[4:5], v[14:15], v[84:85], v[4:5] op_sel:[0,0,1] op_sel_hi:[1,0,0]
	v_mov_b32_e32 v4, v83
	v_mov_b32_e32 v9, v5
	s_waitcnt lgkmcnt(0)
	v_pk_mul_f32 v[4:5], v[16:17], v[4:5] op_sel_hi:[1,0]
	v_pk_add_f32 v[2:3], v[2:3], v[8:9]
	v_pk_fma_f32 v[8:9], v[16:17], v[82:83], v[4:5] op_sel:[0,0,1] op_sel_hi:[1,1,0] neg_lo:[0,0,1] neg_hi:[0,0,1]
	v_pk_fma_f32 v[4:5], v[16:17], v[82:83], v[4:5] op_sel:[0,0,1] op_sel_hi:[1,0,0]
	v_mov_b32_e32 v9, v5
	v_pk_add_f32 v[2:3], v[2:3], v[8:9]
	v_pk_add_f32 v[2:3], v[6:7], v[2:3] neg_lo:[0,1] neg_hi:[0,1]
	buffer_store_dword v3, off, s[0:3], 0 offset:132
	buffer_store_dword v2, off, s[0:3], 0 offset:128
	s_and_saveexec_b64 s[4:5], vcc
	s_cbranch_execz .LBB119_319
; %bb.318:
	buffer_load_dword v2, off, s[0:3], 0 offset:120
	buffer_load_dword v3, off, s[0:3], 0 offset:124
	s_waitcnt vmcnt(0)
	ds_write_b64 v161, v[2:3]
	buffer_store_dword v1, off, s[0:3], 0 offset:120
	buffer_store_dword v1, off, s[0:3], 0 offset:124
.LBB119_319:
	s_or_b64 exec, exec, s[4:5]
	s_waitcnt lgkmcnt(0)
	; wave barrier
	s_waitcnt lgkmcnt(0)
	buffer_load_dword v68, off, s[0:3], 0 offset:132
	buffer_load_dword v70, off, s[0:3], 0 offset:140
	;; [unrolled: 1-line block ×26, first 2 shown]
	ds_read_b128 v[14:17], v1 offset:576
	ds_read_b128 v[6:9], v1 offset:592
	buffer_load_dword v111, off, s[0:3], 0 offset:224
	buffer_load_dword v112, off, s[0:3], 0 offset:228
	ds_read_b128 v[10:13], v1 offset:608
	ds_read_b128 v[2:5], v1 offset:624
	buffer_load_dword v113, off, s[0:3], 0 offset:232
	buffer_load_dword v114, off, s[0:3], 0 offset:236
	buffer_load_dword v115, off, s[0:3], 0 offset:240
	buffer_load_dword v116, off, s[0:3], 0 offset:244
	buffer_load_dword v117, off, s[0:3], 0 offset:248
	buffer_load_dword v118, off, s[0:3], 0 offset:252
	buffer_load_dword v119, off, s[0:3], 0 offset:256
	buffer_load_dword v120, off, s[0:3], 0 offset:260
	buffer_load_dword v121, off, s[0:3], 0 offset:264
	buffer_load_dword v122, off, s[0:3], 0 offset:268
	buffer_load_dword v123, off, s[0:3], 0 offset:272
	buffer_load_dword v124, off, s[0:3], 0 offset:276
	buffer_load_dword v125, off, s[0:3], 0 offset:280
	buffer_load_dword v126, off, s[0:3], 0 offset:284
	buffer_load_dword v127, off, s[0:3], 0 offset:288
	buffer_load_dword v128, off, s[0:3], 0 offset:292
	buffer_load_dword v129, off, s[0:3], 0 offset:296
	buffer_load_dword v130, off, s[0:3], 0 offset:300
	buffer_load_dword v131, off, s[0:3], 0 offset:304
	buffer_load_dword v132, off, s[0:3], 0 offset:308
	buffer_load_dword v133, off, s[0:3], 0 offset:312
	buffer_load_dword v134, off, s[0:3], 0 offset:316
	buffer_load_dword v135, off, s[0:3], 0 offset:320
	buffer_load_dword v136, off, s[0:3], 0 offset:324
	buffer_load_dword v137, off, s[0:3], 0 offset:328
	buffer_load_dword v138, off, s[0:3], 0 offset:332
	buffer_load_dword v139, off, s[0:3], 0 offset:336
	buffer_load_dword v140, off, s[0:3], 0 offset:340
	buffer_load_dword v141, off, s[0:3], 0 offset:344
	buffer_load_dword v142, off, s[0:3], 0 offset:348
	buffer_load_dword v143, off, s[0:3], 0 offset:352
	buffer_load_dword v206, off, s[0:3], 0 offset:356
	v_cmp_lt_u32_e32 vcc, 14, v0
	s_waitcnt vmcnt(59) lgkmcnt(3)
	v_mul_f32_e32 v20, v14, v68
	s_waitcnt vmcnt(58)
	v_mul_f32_e32 v21, v16, v70
	s_waitcnt vmcnt(57) lgkmcnt(2)
	v_mul_f32_e32 v23, v8, v78
	s_waitcnt vmcnt(56) lgkmcnt(1)
	v_mul_f32_e32 v24, v10, v90
	s_waitcnt vmcnt(55)
	v_mul_f32_e32 v25, v12, v91
	s_waitcnt vmcnt(54)
	v_mul_f32_e32 v22, v6, v92
	s_waitcnt vmcnt(53) lgkmcnt(0)
	v_mul_f32_e32 v26, v2, v93
	s_waitcnt vmcnt(52)
	v_mul_f32_e32 v27, v4, v94
	s_waitcnt vmcnt(51)
	v_fmac_f32_e32 v22, v7, v95
	s_waitcnt vmcnt(50)
	v_fmac_f32_e32 v21, v17, v96
	;; [unrolled: 2-line block ×3, first 2 shown]
	v_add_f32_e32 v20, 0, v20
	v_add_f32_e32 v20, v20, v21
	;; [unrolled: 1-line block ×3, first 2 shown]
	s_waitcnt vmcnt(45)
	v_fmac_f32_e32 v23, v9, v101
	v_fmac_f32_e32 v24, v11, v100
	v_add_f32_e32 v20, v20, v23
	v_fmac_f32_e32 v25, v13, v99
	v_add_f32_e32 v20, v20, v24
	;; [unrolled: 2-line block ×3, first 2 shown]
	v_add_f32_e32 v24, v20, v26
	ds_read_b128 v[20:23], v1 offset:640
	s_waitcnt vmcnt(41)
	v_fmac_f32_e32 v27, v5, v105
	buffer_load_dword v207, off, s[0:3], 0 offset:360
	buffer_load_dword v208, off, s[0:3], 0 offset:364
	v_add_f32_e32 v28, v24, v27
	buffer_load_dword v209, off, s[0:3], 0 offset:368
	buffer_load_dword v210, off, s[0:3], 0 offset:372
	ds_read_b128 v[24:27], v1 offset:656
	s_waitcnt vmcnt(44) lgkmcnt(1)
	v_mul_f32_e32 v29, v20, v106
	v_fmac_f32_e32 v29, v21, v104
	v_add_f32_e32 v28, v28, v29
	s_waitcnt vmcnt(43)
	v_mul_f32_e32 v29, v22, v107
	v_fmac_f32_e32 v29, v23, v103
	v_add_f32_e32 v28, v28, v29
	s_waitcnt vmcnt(42) lgkmcnt(0)
	v_mul_f32_e32 v29, v24, v108
	v_fmac_f32_e32 v29, v25, v102
	buffer_load_dword v211, off, s[0:3], 0 offset:376
	buffer_load_dword v212, off, s[0:3], 0 offset:380
	v_add_f32_e32 v32, v28, v29
	ds_read_b128 v[28:31], v1 offset:672
	s_waitcnt vmcnt(40)
	v_mul_f32_e32 v33, v26, v110
	v_fmac_f32_e32 v33, v27, v109
	v_add_f32_e32 v36, v32, v33
	ds_read_b128 v[32:35], v1 offset:688
	s_waitcnt vmcnt(38) lgkmcnt(1)
	v_mul_f32_e32 v37, v28, v112
	v_fmac_f32_e32 v37, v29, v111
	v_add_f32_e32 v36, v36, v37
	s_waitcnt vmcnt(36)
	v_mul_f32_e32 v37, v30, v114
	v_fmac_f32_e32 v37, v31, v113
	v_add_f32_e32 v36, v36, v37
	s_waitcnt vmcnt(34) lgkmcnt(0)
	v_mul_f32_e32 v37, v32, v116
	v_fmac_f32_e32 v37, v33, v115
	v_add_f32_e32 v40, v36, v37
	ds_read_b128 v[36:39], v1 offset:704
	s_waitcnt vmcnt(32)
	v_mul_f32_e32 v41, v34, v118
	v_fmac_f32_e32 v41, v35, v117
	v_add_f32_e32 v44, v40, v41
	ds_read_b128 v[40:43], v1 offset:720
	s_waitcnt vmcnt(30) lgkmcnt(1)
	v_mul_f32_e32 v45, v36, v120
	v_fmac_f32_e32 v45, v37, v119
	v_add_f32_e32 v44, v44, v45
	s_waitcnt vmcnt(28)
	v_mul_f32_e32 v45, v38, v122
	v_fmac_f32_e32 v45, v39, v121
	v_add_f32_e32 v44, v44, v45
	s_waitcnt vmcnt(26) lgkmcnt(0)
	v_mul_f32_e32 v45, v40, v124
	v_fmac_f32_e32 v45, v41, v123
	;; [unrolled: 18-line block ×4, first 2 shown]
	s_waitcnt vmcnt(8)
	v_mul_f32_e32 v65, v58, v142
	v_add_f32_e32 v64, v60, v61
	v_fmac_f32_e32 v65, v59, v141
	ds_read_b128 v[60:63], v1 offset:800
	v_add_f32_e32 v69, v64, v65
	ds_read_b128 v[64:67], v1 offset:816
	buffer_load_dword v73, off, s[0:3], 0 offset:404
	buffer_load_dword v72, off, s[0:3], 0 offset:400
	;; [unrolled: 1-line block ×16, first 2 shown]
	v_mul_f32_e32 v15, v15, v68
	v_fma_f32 v14, v14, v97, -v15
	v_mul_f32_e32 v15, v17, v70
	v_add_f32_e32 v14, 0, v14
	v_fma_f32 v15, v16, v96, -v15
	v_mul_f32_e32 v7, v7, v92
	v_add_f32_e32 v14, v14, v15
	v_fma_f32 v6, v6, v95, -v7
	v_mul_f32_e32 v7, v9, v78
	v_add_f32_e32 v6, v14, v6
	v_fma_f32 v7, v8, v101, -v7
	v_add_f32_e32 v6, v6, v7
	v_mul_f32_e32 v7, v11, v90
	v_fma_f32 v7, v10, v100, -v7
	v_add_f32_e32 v6, v6, v7
	v_mul_f32_e32 v7, v13, v91
	v_fma_f32 v7, v12, v99, -v7
	v_mul_f32_e32 v3, v3, v93
	v_add_f32_e32 v6, v6, v7
	v_fma_f32 v2, v2, v98, -v3
	v_mul_f32_e32 v3, v5, v94
	v_add_f32_e32 v2, v6, v2
	v_fma_f32 v3, v4, v105, -v3
	v_add_f32_e32 v2, v2, v3
	v_mul_f32_e32 v3, v21, v106
	v_fma_f32 v3, v20, v104, -v3
	v_add_f32_e32 v2, v2, v3
	v_mul_f32_e32 v3, v23, v107
	;; [unrolled: 3-line block ×20, first 2 shown]
	v_fma_f32 v3, v58, v141, -v3
	v_add_f32_e32 v2, v2, v3
	s_waitcnt vmcnt(22) lgkmcnt(1)
	v_mul_f32_e32 v3, v61, v206
	v_fma_f32 v3, v60, v143, -v3
	v_add_f32_e32 v2, v2, v3
	s_waitcnt vmcnt(20)
	v_mul_f32_e32 v3, v63, v208
	v_mul_f32_e32 v71, v60, v206
	v_fma_f32 v3, v62, v207, -v3
	v_fmac_f32_e32 v71, v61, v143
	v_add_f32_e32 v68, v2, v3
	s_waitcnt vmcnt(18) lgkmcnt(0)
	v_mul_f32_e32 v2, v65, v210
	v_add_f32_e32 v69, v69, v71
	v_mul_f32_e32 v71, v62, v208
	v_fma_f32 v70, v64, v209, -v2
	s_waitcnt vmcnt(16)
	v_mul_f32_e32 v2, v67, v212
	v_fmac_f32_e32 v71, v63, v207
	v_fma_f32 v78, v66, v211, -v2
	ds_read_b128 v[2:5], v1 offset:832
	ds_read_b128 v[6:9], v1 offset:848
	;; [unrolled: 1-line block ×4, first 2 shown]
	v_add_f32_e32 v69, v69, v71
	v_mul_f32_e32 v71, v64, v210
	s_waitcnt vmcnt(11)
	v_mov_b32_e32 v22, v77
	v_fmac_f32_e32 v71, v65, v209
	v_mul_f32_e32 v79, v66, v212
	s_waitcnt lgkmcnt(3)
	v_pk_mul_f32 v[22:23], v[2:3], v[22:23] op_sel_hi:[1,0]
	v_fmac_f32_e32 v79, v67, v211
	v_pk_add_f32 v[20:21], v[68:69], v[70:71]
	s_waitcnt vmcnt(10)
	v_pk_fma_f32 v[24:25], v[2:3], v[76:77], v[22:23] op_sel:[0,0,1] op_sel_hi:[1,1,0] neg_lo:[0,0,1] neg_hi:[0,0,1]
	v_pk_fma_f32 v[2:3], v[2:3], v[76:77], v[22:23] op_sel:[0,0,1] op_sel_hi:[1,0,0]
	v_pk_add_f32 v[20:21], v[20:21], v[78:79]
	v_mov_b32_e32 v25, v3
	v_pk_add_f32 v[2:3], v[20:21], v[24:25]
	v_mov_b32_e32 v20, v75
	v_pk_mul_f32 v[20:21], v[4:5], v[20:21] op_sel_hi:[1,0]
	v_pk_fma_f32 v[22:23], v[4:5], v[74:75], v[20:21] op_sel:[0,0,1] op_sel_hi:[1,1,0] neg_lo:[0,0,1] neg_hi:[0,0,1]
	v_pk_fma_f32 v[4:5], v[4:5], v[74:75], v[20:21] op_sel:[0,0,1] op_sel_hi:[1,0,0]
	v_mov_b32_e32 v4, v73
	v_mov_b32_e32 v23, v5
	s_waitcnt lgkmcnt(2)
	v_pk_mul_f32 v[4:5], v[6:7], v[4:5] op_sel_hi:[1,0]
	v_pk_fma_f32 v[20:21], v[6:7], v[72:73], v[4:5] op_sel:[0,0,1] op_sel_hi:[1,1,0] neg_lo:[0,0,1] neg_hi:[0,0,1]
	v_pk_fma_f32 v[4:5], v[6:7], v[72:73], v[4:5] op_sel:[0,0,1] op_sel_hi:[1,0,0]
	s_waitcnt vmcnt(3)
	v_mov_b32_e32 v4, v87
	v_mov_b32_e32 v21, v5
	v_pk_mul_f32 v[4:5], v[8:9], v[4:5] op_sel_hi:[1,0]
	s_waitcnt vmcnt(2)
	v_pk_fma_f32 v[6:7], v[8:9], v[86:87], v[4:5] op_sel:[0,0,1] op_sel_hi:[1,1,0] neg_lo:[0,0,1] neg_hi:[0,0,1]
	v_pk_fma_f32 v[4:5], v[8:9], v[86:87], v[4:5] op_sel:[0,0,1] op_sel_hi:[1,0,0]
	v_pk_add_f32 v[2:3], v[2:3], v[22:23]
	v_mov_b32_e32 v4, v85
	v_pk_add_f32 v[2:3], v[2:3], v[20:21]
	v_mov_b32_e32 v7, v5
	s_waitcnt lgkmcnt(1)
	v_pk_mul_f32 v[4:5], v[10:11], v[4:5] op_sel_hi:[1,0]
	v_pk_add_f32 v[2:3], v[2:3], v[6:7]
	v_pk_fma_f32 v[6:7], v[10:11], v[84:85], v[4:5] op_sel:[0,0,1] op_sel_hi:[1,1,0] neg_lo:[0,0,1] neg_hi:[0,0,1]
	v_pk_fma_f32 v[4:5], v[10:11], v[84:85], v[4:5] op_sel:[0,0,1] op_sel_hi:[1,0,0]
	v_mov_b32_e32 v4, v83
	v_mov_b32_e32 v7, v5
	v_pk_mul_f32 v[4:5], v[12:13], v[4:5] op_sel_hi:[1,0]
	v_pk_add_f32 v[2:3], v[2:3], v[6:7]
	v_pk_fma_f32 v[6:7], v[12:13], v[82:83], v[4:5] op_sel:[0,0,1] op_sel_hi:[1,1,0] neg_lo:[0,0,1] neg_hi:[0,0,1]
	v_pk_fma_f32 v[4:5], v[12:13], v[82:83], v[4:5] op_sel:[0,0,1] op_sel_hi:[1,0,0]
	v_mov_b32_e32 v4, v81
	v_mov_b32_e32 v7, v5
	s_waitcnt lgkmcnt(0)
	v_pk_mul_f32 v[4:5], v[14:15], v[4:5] op_sel_hi:[1,0]
	v_pk_add_f32 v[2:3], v[2:3], v[6:7]
	v_pk_fma_f32 v[6:7], v[14:15], v[80:81], v[4:5] op_sel:[0,0,1] op_sel_hi:[1,1,0] neg_lo:[0,0,1] neg_hi:[0,0,1]
	v_pk_fma_f32 v[4:5], v[14:15], v[80:81], v[4:5] op_sel:[0,0,1] op_sel_hi:[1,0,0]
	s_waitcnt vmcnt(1)
	v_mov_b32_e32 v4, v89
	v_mov_b32_e32 v7, v5
	v_pk_mul_f32 v[4:5], v[16:17], v[4:5] op_sel_hi:[1,0]
	v_pk_add_f32 v[2:3], v[2:3], v[6:7]
	s_waitcnt vmcnt(0)
	v_pk_fma_f32 v[6:7], v[16:17], v[88:89], v[4:5] op_sel:[0,0,1] op_sel_hi:[1,1,0] neg_lo:[0,0,1] neg_hi:[0,0,1]
	v_pk_fma_f32 v[4:5], v[16:17], v[88:89], v[4:5] op_sel:[0,0,1] op_sel_hi:[1,0,0]
	v_mov_b32_e32 v7, v5
	v_pk_add_f32 v[2:3], v[2:3], v[6:7]
	v_pk_add_f32 v[2:3], v[18:19], v[2:3] neg_lo:[0,1] neg_hi:[0,1]
	buffer_store_dword v3, off, s[0:3], 0 offset:124
	buffer_store_dword v2, off, s[0:3], 0 offset:120
	s_and_saveexec_b64 s[4:5], vcc
	s_cbranch_execz .LBB119_321
; %bb.320:
	buffer_load_dword v2, off, s[0:3], 0 offset:112
	buffer_load_dword v3, off, s[0:3], 0 offset:116
	v_mov_b32_e32 v1, 0
	buffer_store_dword v1, off, s[0:3], 0 offset:112
	buffer_store_dword v1, off, s[0:3], 0 offset:116
	s_waitcnt vmcnt(2)
	ds_write_b64 v161, v[2:3]
.LBB119_321:
	s_or_b64 exec, exec, s[4:5]
	v_mov_b32_e32 v206, 0
	s_waitcnt lgkmcnt(0)
	; wave barrier
	s_waitcnt lgkmcnt(0)
	ds_read2_b64 v[2:5], v206 offset0:71 offset1:72
	buffer_load_dword v70, off, s[0:3], 0 offset:112
	buffer_load_dword v71, off, s[0:3], 0 offset:116
	;; [unrolled: 1-line block ×16, first 2 shown]
	v_cmp_lt_u32_e32 vcc, 13, v0
	s_waitcnt vmcnt(12) lgkmcnt(0)
	v_mul_f32_e32 v6, v2, v78
	v_fmac_f32_e32 v6, v3, v1
	s_waitcnt vmcnt(10)
	v_mul_f32_e32 v7, v4, v95
	v_add_f32_e32 v6, 0, v6
	v_fmac_f32_e32 v7, v5, v72
	v_add_f32_e32 v10, v6, v7
	ds_read2_b64 v[6:9], v206 offset0:73 offset1:74
	v_mul_f32_e32 v3, v3, v78
	v_fma_f32 v1, v2, v1, -v3
	v_mul_f32_e32 v2, v5, v95
	v_add_f32_e32 v1, 0, v1
	s_waitcnt vmcnt(8) lgkmcnt(0)
	v_mul_f32_e32 v11, v6, v97
	v_fmac_f32_e32 v11, v7, v74
	v_add_f32_e32 v10, v10, v11
	s_waitcnt vmcnt(6)
	v_mul_f32_e32 v11, v8, v99
	v_fmac_f32_e32 v11, v9, v94
	v_add_f32_e32 v14, v10, v11
	ds_read2_b64 v[10:13], v206 offset0:75 offset1:76
	v_fma_f32 v2, v4, v72, -v2
	v_add_f32_e32 v1, v1, v2
	v_mul_f32_e32 v2, v7, v97
	v_fma_f32 v2, v6, v74, -v2
	s_waitcnt vmcnt(4) lgkmcnt(0)
	v_mul_f32_e32 v15, v10, v101
	v_fmac_f32_e32 v15, v11, v96
	v_add_f32_e32 v14, v14, v15
	s_waitcnt vmcnt(2)
	v_mul_f32_e32 v15, v12, v102
	v_fmac_f32_e32 v15, v13, v98
	v_add_f32_e32 v18, v14, v15
	ds_read2_b64 v[14:17], v206 offset0:77 offset1:78
	buffer_load_dword v104, off, s[0:3], 0 offset:176
	buffer_load_dword v105, off, s[0:3], 0 offset:180
	v_add_f32_e32 v1, v1, v2
	v_mul_f32_e32 v2, v9, v99
	v_fma_f32 v2, v8, v94, -v2
	s_waitcnt vmcnt(2) lgkmcnt(0)
	v_mul_f32_e32 v19, v14, v103
	v_fmac_f32_e32 v19, v15, v100
	v_add_f32_e32 v18, v18, v19
	v_add_f32_e32 v1, v1, v2
	v_mul_f32_e32 v2, v11, v101
	v_fma_f32 v2, v10, v96, -v2
	v_add_f32_e32 v1, v1, v2
	v_mul_f32_e32 v2, v13, v102
	v_fma_f32 v2, v12, v98, -v2
	;; [unrolled: 3-line block ×3, first 2 shown]
	v_add_f32_e32 v1, v1, v2
	s_waitcnt vmcnt(0)
	v_mul_f32_e32 v19, v16, v105
	v_fmac_f32_e32 v19, v17, v104
	v_add_f32_e32 v22, v18, v19
	ds_read2_b64 v[18:21], v206 offset0:79 offset1:80
	buffer_load_dword v106, off, s[0:3], 0 offset:184
	buffer_load_dword v107, off, s[0:3], 0 offset:188
	buffer_load_dword v108, off, s[0:3], 0 offset:192
	buffer_load_dword v109, off, s[0:3], 0 offset:196
	ds_read2_b64 v[26:29], v206 offset0:81 offset1:82
	buffer_load_dword v110, off, s[0:3], 0 offset:200
	buffer_load_dword v111, off, s[0:3], 0 offset:204
	buffer_load_dword v112, off, s[0:3], 0 offset:208
	buffer_load_dword v113, off, s[0:3], 0 offset:212
	;; [unrolled: 5-line block ×12, first 2 shown]
	v_mul_f32_e32 v2, v17, v105
	v_fma_f32 v2, v16, v104, -v2
	v_add_f32_e32 v1, v1, v2
	s_waitcnt vmcnt(46) lgkmcnt(11)
	v_mul_f32_e32 v23, v18, v107
	v_fmac_f32_e32 v23, v19, v106
	v_add_f32_e32 v22, v22, v23
	s_waitcnt vmcnt(44)
	v_mul_f32_e32 v23, v20, v109
	v_fmac_f32_e32 v23, v21, v108
	v_add_f32_e32 v22, v22, v23
	s_waitcnt vmcnt(42) lgkmcnt(10)
	v_mul_f32_e32 v23, v26, v111
	v_fmac_f32_e32 v23, v27, v110
	v_add_f32_e32 v22, v22, v23
	s_waitcnt vmcnt(40)
	v_mul_f32_e32 v23, v28, v113
	v_fmac_f32_e32 v23, v29, v112
	;; [unrolled: 8-line block ×11, first 2 shown]
	v_add_f32_e32 v22, v22, v23
	s_waitcnt vmcnt(2) lgkmcnt(0)
	v_mul_f32_e32 v23, v66, v214
	v_fmac_f32_e32 v23, v67, v213
	v_add_f32_e32 v73, v22, v23
	ds_read2_b64 v[22:25], v206 offset0:103 offset1:104
	buffer_load_dword v217, off, s[0:3], 0 offset:376
	buffer_load_dword v218, off, s[0:3], 0 offset:380
	buffer_load_dword v77, off, s[0:3], 0 offset:388
	buffer_load_dword v76, off, s[0:3], 0 offset:384
	buffer_load_dword v93, off, s[0:3], 0 offset:396
	buffer_load_dword v92, off, s[0:3], 0 offset:392
	buffer_load_dword v91, off, s[0:3], 0 offset:404
	buffer_load_dword v90, off, s[0:3], 0 offset:400
	buffer_load_dword v89, off, s[0:3], 0 offset:412
	buffer_load_dword v88, off, s[0:3], 0 offset:408
	buffer_load_dword v87, off, s[0:3], 0 offset:420
	buffer_load_dword v86, off, s[0:3], 0 offset:416
	buffer_load_dword v85, off, s[0:3], 0 offset:428
	buffer_load_dword v84, off, s[0:3], 0 offset:424
	buffer_load_dword v83, off, s[0:3], 0 offset:436
	buffer_load_dword v82, off, s[0:3], 0 offset:432
	buffer_load_dword v81, off, s[0:3], 0 offset:444
	buffer_load_dword v80, off, s[0:3], 0 offset:440
	v_mul_f32_e32 v2, v19, v107
	v_fma_f32 v2, v18, v106, -v2
	v_add_f32_e32 v1, v1, v2
	v_mul_f32_e32 v2, v21, v109
	v_fma_f32 v2, v20, v108, -v2
	v_add_f32_e32 v1, v1, v2
	;; [unrolled: 3-line block ×22, first 2 shown]
	v_mul_f32_e32 v2, v67, v214
	v_fma_f32 v2, v66, v213, -v2
	s_waitcnt vmcnt(15)
	v_mov_b32_e32 v18, v77
	v_mul_f32_e32 v75, v68, v216
	v_add_f32_e32 v72, v1, v2
	v_mul_f32_e32 v1, v69, v216
	s_waitcnt lgkmcnt(0)
	v_pk_mul_f32 v[18:19], v[24:25], v[18:19] op_sel_hi:[1,0]
	v_fmac_f32_e32 v75, v69, v215
	v_fma_f32 v74, v68, v215, -v1
	ds_read2_b64 v[2:5], v206 offset0:105 offset1:106
	ds_read2_b64 v[6:9], v206 offset0:107 offset1:108
	;; [unrolled: 1-line block ×3, first 2 shown]
	ds_read_b64 v[14:15], v206 offset:888
	s_waitcnt vmcnt(14)
	v_pk_fma_f32 v[20:21], v[24:25], v[76:77], v[18:19] op_sel:[0,0,1] op_sel_hi:[1,1,0] neg_lo:[0,0,1] neg_hi:[0,0,1]
	v_pk_fma_f32 v[18:19], v[24:25], v[76:77], v[18:19] op_sel:[0,0,1] op_sel_hi:[1,0,0]
	v_mul_f32_e32 v79, v22, v218
	v_mul_f32_e32 v1, v23, v218
	v_fmac_f32_e32 v79, v23, v217
	v_fma_f32 v78, v22, v217, -v1
	v_pk_add_f32 v[16:17], v[72:73], v[74:75]
	s_waitcnt vmcnt(13)
	v_mov_b32_e32 v18, v93
	v_pk_add_f32 v[16:17], v[16:17], v[78:79]
	v_mov_b32_e32 v21, v19
	s_waitcnt lgkmcnt(3)
	v_pk_mul_f32 v[18:19], v[2:3], v[18:19] op_sel_hi:[1,0]
	v_pk_add_f32 v[16:17], v[16:17], v[20:21]
	s_waitcnt vmcnt(12)
	v_pk_fma_f32 v[20:21], v[2:3], v[92:93], v[18:19] op_sel:[0,0,1] op_sel_hi:[1,1,0] neg_lo:[0,0,1] neg_hi:[0,0,1]
	v_pk_fma_f32 v[2:3], v[2:3], v[92:93], v[18:19] op_sel:[0,0,1] op_sel_hi:[1,0,0]
	v_mov_b32_e32 v21, v3
	v_pk_add_f32 v[2:3], v[16:17], v[20:21]
	s_waitcnt vmcnt(11)
	v_mov_b32_e32 v16, v91
	v_pk_mul_f32 v[16:17], v[4:5], v[16:17] op_sel_hi:[1,0]
	s_waitcnt vmcnt(10)
	v_pk_fma_f32 v[18:19], v[4:5], v[90:91], v[16:17] op_sel:[0,0,1] op_sel_hi:[1,1,0] neg_lo:[0,0,1] neg_hi:[0,0,1]
	v_pk_fma_f32 v[4:5], v[4:5], v[90:91], v[16:17] op_sel:[0,0,1] op_sel_hi:[1,0,0]
	s_waitcnt vmcnt(9)
	v_mov_b32_e32 v4, v89
	v_mov_b32_e32 v19, v5
	s_waitcnt lgkmcnt(2)
	v_pk_mul_f32 v[4:5], v[6:7], v[4:5] op_sel_hi:[1,0]
	s_waitcnt vmcnt(8)
	v_pk_fma_f32 v[16:17], v[6:7], v[88:89], v[4:5] op_sel:[0,0,1] op_sel_hi:[1,1,0] neg_lo:[0,0,1] neg_hi:[0,0,1]
	v_pk_fma_f32 v[4:5], v[6:7], v[88:89], v[4:5] op_sel:[0,0,1] op_sel_hi:[1,0,0]
	s_waitcnt vmcnt(7)
	v_mov_b32_e32 v4, v87
	v_mov_b32_e32 v17, v5
	v_pk_mul_f32 v[4:5], v[8:9], v[4:5] op_sel_hi:[1,0]
	s_waitcnt vmcnt(6)
	v_pk_fma_f32 v[6:7], v[8:9], v[86:87], v[4:5] op_sel:[0,0,1] op_sel_hi:[1,1,0] neg_lo:[0,0,1] neg_hi:[0,0,1]
	v_pk_fma_f32 v[4:5], v[8:9], v[86:87], v[4:5] op_sel:[0,0,1] op_sel_hi:[1,0,0]
	v_pk_add_f32 v[2:3], v[2:3], v[18:19]
	s_waitcnt vmcnt(5)
	v_mov_b32_e32 v4, v85
	v_pk_add_f32 v[2:3], v[2:3], v[16:17]
	v_mov_b32_e32 v7, v5
	s_waitcnt lgkmcnt(1)
	v_pk_mul_f32 v[4:5], v[10:11], v[4:5] op_sel_hi:[1,0]
	v_pk_add_f32 v[2:3], v[2:3], v[6:7]
	s_waitcnt vmcnt(4)
	v_pk_fma_f32 v[6:7], v[10:11], v[84:85], v[4:5] op_sel:[0,0,1] op_sel_hi:[1,1,0] neg_lo:[0,0,1] neg_hi:[0,0,1]
	v_pk_fma_f32 v[4:5], v[10:11], v[84:85], v[4:5] op_sel:[0,0,1] op_sel_hi:[1,0,0]
	s_waitcnt vmcnt(3)
	v_mov_b32_e32 v4, v83
	v_mov_b32_e32 v7, v5
	v_pk_mul_f32 v[4:5], v[12:13], v[4:5] op_sel_hi:[1,0]
	v_pk_add_f32 v[2:3], v[2:3], v[6:7]
	s_waitcnt vmcnt(2)
	v_pk_fma_f32 v[6:7], v[12:13], v[82:83], v[4:5] op_sel:[0,0,1] op_sel_hi:[1,1,0] neg_lo:[0,0,1] neg_hi:[0,0,1]
	v_pk_fma_f32 v[4:5], v[12:13], v[82:83], v[4:5] op_sel:[0,0,1] op_sel_hi:[1,0,0]
	s_waitcnt vmcnt(1)
	v_mov_b32_e32 v4, v81
	v_mov_b32_e32 v7, v5
	s_waitcnt lgkmcnt(0)
	v_pk_mul_f32 v[4:5], v[14:15], v[4:5] op_sel_hi:[1,0]
	v_pk_add_f32 v[2:3], v[2:3], v[6:7]
	s_waitcnt vmcnt(0)
	v_pk_fma_f32 v[6:7], v[14:15], v[80:81], v[4:5] op_sel:[0,0,1] op_sel_hi:[1,1,0] neg_lo:[0,0,1] neg_hi:[0,0,1]
	v_pk_fma_f32 v[4:5], v[14:15], v[80:81], v[4:5] op_sel:[0,0,1] op_sel_hi:[1,0,0]
	v_mov_b32_e32 v7, v5
	v_pk_add_f32 v[2:3], v[2:3], v[6:7]
	v_pk_add_f32 v[2:3], v[70:71], v[2:3] neg_lo:[0,1] neg_hi:[0,1]
	buffer_store_dword v3, off, s[0:3], 0 offset:116
	buffer_store_dword v2, off, s[0:3], 0 offset:112
	s_and_saveexec_b64 s[4:5], vcc
	s_cbranch_execz .LBB119_323
; %bb.322:
	buffer_load_dword v2, off, s[0:3], 0 offset:104
	buffer_load_dword v3, off, s[0:3], 0 offset:108
	s_waitcnt vmcnt(0)
	ds_write_b64 v161, v[2:3]
	buffer_store_dword v206, off, s[0:3], 0 offset:104
	buffer_store_dword v206, off, s[0:3], 0 offset:108
.LBB119_323:
	s_or_b64 exec, exec, s[4:5]
	s_waitcnt lgkmcnt(0)
	; wave barrier
	s_waitcnt lgkmcnt(0)
	buffer_load_dword v1, off, s[0:3], 0 offset:116
	buffer_load_dword v78, off, s[0:3], 0 offset:124
	buffer_load_dword v80, off, s[0:3], 0 offset:140
	buffer_load_dword v82, off, s[0:3], 0 offset:148
	buffer_load_dword v98, off, s[0:3], 0 offset:156
	buffer_load_dword v99, off, s[0:3], 0 offset:132
	buffer_load_dword v100, off, s[0:3], 0 offset:164
	buffer_load_dword v101, off, s[0:3], 0 offset:172
	buffer_load_dword v102, off, s[0:3], 0 offset:128
	buffer_load_dword v103, off, s[0:3], 0 offset:120
	buffer_load_dword v104, off, s[0:3], 0 offset:112
	buffer_load_dword v105, off, s[0:3], 0 offset:160
	buffer_load_dword v106, off, s[0:3], 0 offset:152
	buffer_load_dword v107, off, s[0:3], 0 offset:144
	buffer_load_dword v108, off, s[0:3], 0 offset:136
	buffer_load_dword v109, off, s[0:3], 0 offset:192
	buffer_load_dword v110, off, s[0:3], 0 offset:184
	buffer_load_dword v111, off, s[0:3], 0 offset:176
	buffer_load_dword v112, off, s[0:3], 0 offset:168
	buffer_load_dword v113, off, s[0:3], 0 offset:180
	buffer_load_dword v114, off, s[0:3], 0 offset:188
	buffer_load_dword v115, off, s[0:3], 0 offset:196
	buffer_load_dword v26, off, s[0:3], 0 offset:104
	buffer_load_dword v27, off, s[0:3], 0 offset:108
	ds_read_b128 v[22:25], v206 offset:560
	ds_read_b128 v[18:21], v206 offset:576
	;; [unrolled: 1-line block ×4, first 2 shown]
	buffer_load_dword v116, off, s[0:3], 0 offset:200
	buffer_load_dword v117, off, s[0:3], 0 offset:204
	ds_read_b128 v[10:13], v206 offset:624
	ds_read_b128 v[2:5], v206 offset:640
	buffer_load_dword v118, off, s[0:3], 0 offset:208
	buffer_load_dword v119, off, s[0:3], 0 offset:212
	;; [unrolled: 1-line block ×44, first 2 shown]
	v_cmp_lt_u32_e32 vcc, 12, v0
	s_waitcnt vmcnt(62) lgkmcnt(5)
	v_mul_f32_e32 v28, v22, v1
	v_mul_f32_e32 v29, v24, v78
	s_waitcnt lgkmcnt(4)
	v_mul_f32_e32 v31, v20, v80
	s_waitcnt lgkmcnt(3)
	v_mul_f32_e32 v32, v14, v82
	v_mul_f32_e32 v33, v16, v98
	;; [unrolled: 1-line block ×3, first 2 shown]
	s_waitcnt lgkmcnt(2)
	v_mul_f32_e32 v34, v6, v100
	v_mul_f32_e32 v35, v8, v101
	s_waitcnt vmcnt(61)
	v_fmac_f32_e32 v30, v19, v102
	s_waitcnt vmcnt(60)
	v_fmac_f32_e32 v29, v25, v103
	;; [unrolled: 2-line block ×3, first 2 shown]
	v_add_f32_e32 v28, 0, v28
	v_add_f32_e32 v28, v28, v29
	;; [unrolled: 1-line block ×3, first 2 shown]
	s_waitcnt vmcnt(55)
	v_fmac_f32_e32 v31, v21, v108
	v_fmac_f32_e32 v32, v15, v107
	v_add_f32_e32 v28, v28, v31
	v_fmac_f32_e32 v33, v17, v106
	v_add_f32_e32 v28, v28, v32
	v_fmac_f32_e32 v34, v7, v105
	v_add_f32_e32 v28, v28, v33
	s_waitcnt vmcnt(51)
	v_fmac_f32_e32 v35, v9, v112
	v_add_f32_e32 v28, v28, v34
	s_waitcnt vmcnt(50) lgkmcnt(1)
	v_mul_f32_e32 v29, v10, v113
	v_add_f32_e32 v28, v28, v35
	v_fmac_f32_e32 v29, v11, v111
	v_add_f32_e32 v28, v28, v29
	s_waitcnt vmcnt(49)
	v_mul_f32_e32 v29, v12, v114
	v_fmac_f32_e32 v29, v13, v110
	v_add_f32_e32 v28, v28, v29
	s_waitcnt vmcnt(48) lgkmcnt(0)
	v_mul_f32_e32 v29, v2, v115
	v_fmac_f32_e32 v29, v3, v109
	v_add_f32_e32 v32, v28, v29
	ds_read_b128 v[28:31], v206 offset:656
	s_waitcnt vmcnt(44)
	v_mul_f32_e32 v33, v4, v117
	v_fmac_f32_e32 v33, v5, v116
	v_add_f32_e32 v36, v32, v33
	ds_read_b128 v[32:35], v206 offset:672
	s_waitcnt vmcnt(42) lgkmcnt(1)
	v_mul_f32_e32 v37, v28, v119
	v_fmac_f32_e32 v37, v29, v118
	v_add_f32_e32 v36, v36, v37
	s_waitcnt vmcnt(40)
	v_mul_f32_e32 v37, v30, v121
	v_fmac_f32_e32 v37, v31, v120
	v_add_f32_e32 v36, v36, v37
	s_waitcnt vmcnt(38) lgkmcnt(0)
	v_mul_f32_e32 v37, v32, v123
	v_fmac_f32_e32 v37, v33, v122
	v_add_f32_e32 v40, v36, v37
	ds_read_b128 v[36:39], v206 offset:688
	s_waitcnt vmcnt(36)
	v_mul_f32_e32 v41, v34, v125
	v_fmac_f32_e32 v41, v35, v124
	v_add_f32_e32 v44, v40, v41
	ds_read_b128 v[40:43], v206 offset:704
	s_waitcnt vmcnt(34) lgkmcnt(1)
	v_mul_f32_e32 v45, v36, v127
	;; [unrolled: 18-line block ×4, first 2 shown]
	v_fmac_f32_e32 v61, v53, v142
	v_add_f32_e32 v60, v60, v61
	s_waitcnt vmcnt(16)
	v_mul_f32_e32 v61, v54, v208
	v_fmac_f32_e32 v61, v55, v207
	v_add_f32_e32 v60, v60, v61
	s_waitcnt vmcnt(14) lgkmcnt(0)
	v_mul_f32_e32 v61, v56, v210
	v_fmac_f32_e32 v61, v57, v209
	v_add_f32_e32 v64, v60, v61
	ds_read_b128 v[60:63], v206 offset:784
	s_waitcnt vmcnt(12)
	v_mul_f32_e32 v65, v58, v212
	v_fmac_f32_e32 v65, v59, v211
	v_add_f32_e32 v68, v64, v65
	ds_read_b128 v[64:67], v206 offset:800
	buffer_load_dword v77, off, s[0:3], 0 offset:388
	buffer_load_dword v76, off, s[0:3], 0 offset:384
	s_waitcnt vmcnt(12) lgkmcnt(1)
	v_mul_f32_e32 v69, v60, v214
	v_fmac_f32_e32 v69, v61, v213
	v_add_f32_e32 v68, v68, v69
	s_waitcnt vmcnt(10)
	v_mul_f32_e32 v69, v62, v216
	v_fmac_f32_e32 v69, v63, v215
	v_add_f32_e32 v68, v68, v69
	s_waitcnt vmcnt(8) lgkmcnt(0)
	v_mul_f32_e32 v69, v64, v218
	v_fmac_f32_e32 v69, v65, v217
	s_waitcnt vmcnt(6)
	v_mul_f32_e32 v73, v66, v220
	v_add_f32_e32 v72, v68, v69
	v_fmac_f32_e32 v73, v67, v219
	ds_read_b128 v[68:71], v206 offset:816
	v_add_f32_e32 v79, v72, v73
	ds_read_b128 v[72:75], v206 offset:832
	buffer_load_dword v85, off, s[0:3], 0 offset:420
	buffer_load_dword v84, off, s[0:3], 0 offset:416
	;; [unrolled: 1-line block ×14, first 2 shown]
	v_mul_f32_e32 v1, v23, v1
	v_fma_f32 v1, v22, v104, -v1
	v_mul_f32_e32 v22, v25, v78
	v_add_f32_e32 v1, 0, v1
	v_fma_f32 v22, v24, v103, -v22
	v_mul_f32_e32 v19, v19, v99
	v_add_f32_e32 v1, v1, v22
	v_fma_f32 v18, v18, v102, -v19
	v_add_f32_e32 v1, v1, v18
	v_mul_f32_e32 v18, v21, v80
	v_fma_f32 v18, v20, v108, -v18
	v_mul_f32_e32 v15, v15, v82
	v_add_f32_e32 v1, v1, v18
	v_fma_f32 v14, v14, v107, -v15
	v_add_f32_e32 v1, v1, v14
	v_mul_f32_e32 v14, v17, v98
	;; [unrolled: 6-line block ×3, first 2 shown]
	v_fma_f32 v6, v8, v112, -v6
	v_add_f32_e32 v1, v1, v6
	v_mul_f32_e32 v6, v11, v113
	v_fma_f32 v6, v10, v111, -v6
	v_add_f32_e32 v1, v1, v6
	v_mul_f32_e32 v6, v13, v114
	v_fma_f32 v6, v12, v110, -v6
	v_mul_f32_e32 v3, v3, v115
	v_add_f32_e32 v1, v1, v6
	v_fma_f32 v2, v2, v109, -v3
	v_add_f32_e32 v1, v1, v2
	v_mul_f32_e32 v2, v5, v117
	v_fma_f32 v2, v4, v116, -v2
	v_add_f32_e32 v1, v1, v2
	v_mul_f32_e32 v2, v29, v119
	;; [unrolled: 3-line block ×21, first 2 shown]
	v_fma_f32 v2, v66, v219, -v2
	s_waitcnt vmcnt(15)
	v_mov_b32_e32 v16, v77
	s_waitcnt lgkmcnt(1)
	v_mul_f32_e32 v81, v68, v222
	v_add_f32_e32 v78, v1, v2
	v_mul_f32_e32 v1, v69, v222
	s_waitcnt lgkmcnt(0)
	v_pk_mul_f32 v[16:17], v[72:73], v[16:17] op_sel_hi:[1,0]
	v_fmac_f32_e32 v81, v69, v221
	v_mul_f32_e32 v83, v70, v224
	v_fma_f32 v80, v68, v221, -v1
	v_mul_f32_e32 v1, v71, v224
	s_waitcnt vmcnt(14)
	v_pk_fma_f32 v[18:19], v[72:73], v[76:77], v[16:17] op_sel:[0,0,1] op_sel_hi:[1,1,0] neg_lo:[0,0,1] neg_hi:[0,0,1]
	v_pk_fma_f32 v[16:17], v[72:73], v[76:77], v[16:17] op_sel:[0,0,1] op_sel_hi:[1,0,0]
	v_fmac_f32_e32 v83, v71, v223
	v_fma_f32 v82, v70, v223, -v1
	v_pk_add_f32 v[14:15], v[78:79], v[80:81]
	s_waitcnt vmcnt(7)
	v_mov_b32_e32 v16, v91
	ds_read_b128 v[2:5], v206 offset:848
	ds_read_b128 v[6:9], v206 offset:864
	;; [unrolled: 1-line block ×3, first 2 shown]
	v_pk_add_f32 v[14:15], v[14:15], v[82:83]
	v_mov_b32_e32 v19, v17
	v_pk_mul_f32 v[16:17], v[74:75], v[16:17] op_sel_hi:[1,0]
	v_pk_add_f32 v[14:15], v[14:15], v[18:19]
	s_waitcnt vmcnt(6)
	v_pk_fma_f32 v[18:19], v[74:75], v[90:91], v[16:17] op_sel:[0,0,1] op_sel_hi:[1,1,0] neg_lo:[0,0,1] neg_hi:[0,0,1]
	v_pk_fma_f32 v[16:17], v[74:75], v[90:91], v[16:17] op_sel:[0,0,1] op_sel_hi:[1,0,0]
	v_mov_b32_e32 v16, v89
	v_mov_b32_e32 v19, v17
	s_waitcnt lgkmcnt(2)
	v_pk_mul_f32 v[16:17], v[2:3], v[16:17] op_sel_hi:[1,0]
	v_pk_add_f32 v[14:15], v[14:15], v[18:19]
	v_pk_fma_f32 v[18:19], v[2:3], v[88:89], v[16:17] op_sel:[0,0,1] op_sel_hi:[1,1,0] neg_lo:[0,0,1] neg_hi:[0,0,1]
	v_pk_fma_f32 v[2:3], v[2:3], v[88:89], v[16:17] op_sel:[0,0,1] op_sel_hi:[1,0,0]
	v_mov_b32_e32 v19, v3
	v_pk_add_f32 v[2:3], v[14:15], v[18:19]
	v_mov_b32_e32 v14, v87
	v_pk_mul_f32 v[14:15], v[4:5], v[14:15] op_sel_hi:[1,0]
	v_pk_fma_f32 v[16:17], v[4:5], v[86:87], v[14:15] op_sel:[0,0,1] op_sel_hi:[1,1,0] neg_lo:[0,0,1] neg_hi:[0,0,1]
	v_pk_fma_f32 v[4:5], v[4:5], v[86:87], v[14:15] op_sel:[0,0,1] op_sel_hi:[1,0,0]
	v_mov_b32_e32 v4, v85
	v_mov_b32_e32 v17, v5
	s_waitcnt lgkmcnt(1)
	v_pk_mul_f32 v[4:5], v[6:7], v[4:5] op_sel_hi:[1,0]
	v_pk_fma_f32 v[14:15], v[6:7], v[84:85], v[4:5] op_sel:[0,0,1] op_sel_hi:[1,1,0] neg_lo:[0,0,1] neg_hi:[0,0,1]
	v_pk_fma_f32 v[4:5], v[6:7], v[84:85], v[4:5] op_sel:[0,0,1] op_sel_hi:[1,0,0]
	s_waitcnt vmcnt(1)
	v_mov_b32_e32 v4, v97
	v_mov_b32_e32 v15, v5
	v_pk_mul_f32 v[4:5], v[8:9], v[4:5] op_sel_hi:[1,0]
	s_waitcnt vmcnt(0)
	v_pk_fma_f32 v[6:7], v[8:9], v[96:97], v[4:5] op_sel:[0,0,1] op_sel_hi:[1,1,0] neg_lo:[0,0,1] neg_hi:[0,0,1]
	v_pk_fma_f32 v[4:5], v[8:9], v[96:97], v[4:5] op_sel:[0,0,1] op_sel_hi:[1,0,0]
	v_pk_add_f32 v[2:3], v[2:3], v[16:17]
	v_mov_b32_e32 v4, v95
	v_pk_add_f32 v[2:3], v[2:3], v[14:15]
	v_mov_b32_e32 v7, v5
	s_waitcnt lgkmcnt(0)
	v_pk_mul_f32 v[4:5], v[10:11], v[4:5] op_sel_hi:[1,0]
	v_pk_add_f32 v[2:3], v[2:3], v[6:7]
	v_pk_fma_f32 v[6:7], v[10:11], v[94:95], v[4:5] op_sel:[0,0,1] op_sel_hi:[1,1,0] neg_lo:[0,0,1] neg_hi:[0,0,1]
	v_pk_fma_f32 v[4:5], v[10:11], v[94:95], v[4:5] op_sel:[0,0,1] op_sel_hi:[1,0,0]
	v_mov_b32_e32 v4, v93
	v_mov_b32_e32 v7, v5
	v_pk_mul_f32 v[4:5], v[12:13], v[4:5] op_sel_hi:[1,0]
	v_pk_add_f32 v[2:3], v[2:3], v[6:7]
	v_pk_fma_f32 v[6:7], v[12:13], v[92:93], v[4:5] op_sel:[0,0,1] op_sel_hi:[1,1,0] neg_lo:[0,0,1] neg_hi:[0,0,1]
	v_pk_fma_f32 v[4:5], v[12:13], v[92:93], v[4:5] op_sel:[0,0,1] op_sel_hi:[1,0,0]
	v_mov_b32_e32 v7, v5
	v_pk_add_f32 v[2:3], v[2:3], v[6:7]
	v_pk_add_f32 v[2:3], v[26:27], v[2:3] neg_lo:[0,1] neg_hi:[0,1]
	buffer_store_dword v3, off, s[0:3], 0 offset:108
	buffer_store_dword v2, off, s[0:3], 0 offset:104
	s_and_saveexec_b64 s[4:5], vcc
	s_cbranch_execz .LBB119_325
; %bb.324:
	buffer_load_dword v2, off, s[0:3], 0 offset:96
	buffer_load_dword v3, off, s[0:3], 0 offset:100
	v_mov_b32_e32 v1, 0
	buffer_store_dword v1, off, s[0:3], 0 offset:96
	buffer_store_dword v1, off, s[0:3], 0 offset:100
	s_waitcnt vmcnt(2)
	ds_write_b64 v161, v[2:3]
.LBB119_325:
	s_or_b64 exec, exec, s[4:5]
	s_waitcnt lgkmcnt(0)
	; wave barrier
	s_waitcnt lgkmcnt(0)
	buffer_load_dword v76, off, s[0:3], 0 offset:108
	buffer_load_dword v78, off, s[0:3], 0 offset:116
	;; [unrolled: 1-line block ×56, first 2 shown]
	v_mov_b32_e32 v1, 0
	ds_read2_b64 v[4:7], v1 offset0:69 offset1:70
	ds_read2_b64 v[8:11], v1 offset0:71 offset1:72
	;; [unrolled: 1-line block ×6, first 2 shown]
	buffer_load_dword v211, off, s[0:3], 0 offset:320
	buffer_load_dword v212, off, s[0:3], 0 offset:324
	;; [unrolled: 1-line block ×16, first 2 shown]
	v_cmp_lt_u32_e32 vcc, 11, v0
	s_waitcnt vmcnt(62) lgkmcnt(5)
	v_mul_f32_e32 v28, v4, v76
	v_mul_f32_e32 v29, v6, v78
	s_waitcnt lgkmcnt(4)
	v_mul_f32_e32 v31, v10, v80
	s_waitcnt lgkmcnt(3)
	v_mul_f32_e32 v32, v12, v98
	v_mul_f32_e32 v33, v14, v99
	;; [unrolled: 1-line block ×3, first 2 shown]
	s_waitcnt lgkmcnt(2)
	v_mul_f32_e32 v34, v16, v101
	v_mul_f32_e32 v35, v18, v102
	s_waitcnt lgkmcnt(1)
	v_mul_f32_e32 v36, v20, v103
	v_fmac_f32_e32 v30, v9, v104
	s_waitcnt vmcnt(61)
	v_fmac_f32_e32 v29, v7, v105
	s_waitcnt vmcnt(60)
	v_fmac_f32_e32 v28, v5, v106
	v_add_f32_e32 v28, 0, v28
	v_add_f32_e32 v28, v28, v29
	;; [unrolled: 1-line block ×3, first 2 shown]
	s_waitcnt vmcnt(56)
	v_fmac_f32_e32 v31, v11, v110
	v_fmac_f32_e32 v32, v13, v109
	v_add_f32_e32 v28, v28, v31
	v_fmac_f32_e32 v33, v15, v108
	v_add_f32_e32 v28, v28, v32
	;; [unrolled: 2-line block ×3, first 2 shown]
	s_waitcnt vmcnt(52)
	v_fmac_f32_e32 v35, v19, v114
	v_add_f32_e32 v28, v28, v34
	v_add_f32_e32 v28, v28, v35
	v_fmac_f32_e32 v36, v21, v113
	s_waitcnt vmcnt(51)
	v_mul_f32_e32 v29, v22, v115
	v_add_f32_e32 v28, v28, v36
	v_fmac_f32_e32 v29, v23, v112
	v_add_f32_e32 v28, v28, v29
	s_waitcnt vmcnt(50) lgkmcnt(0)
	v_mul_f32_e32 v29, v24, v116
	v_fmac_f32_e32 v29, v25, v111
	v_add_f32_e32 v32, v28, v29
	ds_read2_b64 v[28:31], v1 offset0:81 offset1:82
	s_waitcnt vmcnt(46)
	v_mul_f32_e32 v33, v26, v118
	v_fmac_f32_e32 v33, v27, v117
	v_add_f32_e32 v36, v32, v33
	ds_read2_b64 v[32:35], v1 offset0:83 offset1:84
	s_waitcnt vmcnt(44) lgkmcnt(1)
	v_mul_f32_e32 v37, v28, v120
	v_fmac_f32_e32 v37, v29, v119
	v_add_f32_e32 v36, v36, v37
	s_waitcnt vmcnt(42)
	v_mul_f32_e32 v37, v30, v122
	v_fmac_f32_e32 v37, v31, v121
	v_add_f32_e32 v36, v36, v37
	s_waitcnt vmcnt(40) lgkmcnt(0)
	v_mul_f32_e32 v37, v32, v124
	v_fmac_f32_e32 v37, v33, v123
	v_add_f32_e32 v40, v36, v37
	ds_read2_b64 v[36:39], v1 offset0:85 offset1:86
	s_waitcnt vmcnt(38)
	v_mul_f32_e32 v41, v34, v126
	v_fmac_f32_e32 v41, v35, v125
	v_add_f32_e32 v44, v40, v41
	ds_read2_b64 v[40:43], v1 offset0:87 offset1:88
	s_waitcnt vmcnt(36) lgkmcnt(1)
	v_mul_f32_e32 v45, v36, v128
	v_fmac_f32_e32 v45, v37, v127
	v_add_f32_e32 v44, v44, v45
	s_waitcnt vmcnt(34)
	v_mul_f32_e32 v45, v38, v130
	;; [unrolled: 18-line block ×5, first 2 shown]
	v_fmac_f32_e32 v69, v63, v215
	v_add_f32_e32 v68, v68, v69
	s_waitcnt vmcnt(8) lgkmcnt(0)
	v_mul_f32_e32 v69, v64, v218
	v_fmac_f32_e32 v69, v65, v217
	s_waitcnt vmcnt(6)
	v_mul_f32_e32 v73, v66, v220
	v_add_f32_e32 v72, v68, v69
	v_fmac_f32_e32 v73, v67, v219
	ds_read2_b64 v[68:71], v1 offset0:101 offset1:102
	v_add_f32_e32 v77, v72, v73
	ds_read2_b64 v[72:75], v1 offset0:103 offset1:104
	buffer_load_dword v83, off, s[0:3], 0 offset:412
	buffer_load_dword v82, off, s[0:3], 0 offset:408
	;; [unrolled: 1-line block ×16, first 2 shown]
	v_mul_f32_e32 v5, v5, v76
	v_fma_f32 v4, v4, v106, -v5
	v_mul_f32_e32 v5, v7, v78
	v_add_f32_e32 v4, 0, v4
	v_fma_f32 v5, v6, v105, -v5
	v_add_f32_e32 v4, v4, v5
	v_mul_f32_e32 v5, v9, v100
	v_fma_f32 v5, v8, v104, -v5
	v_add_f32_e32 v4, v4, v5
	v_mul_f32_e32 v5, v11, v80
	;; [unrolled: 3-line block ×30, first 2 shown]
	v_fma_f32 v5, v66, v219, -v5
	v_add_f32_e32 v4, v4, v5
	s_waitcnt vmcnt(20) lgkmcnt(1)
	v_mul_f32_e32 v5, v69, v222
	v_mul_f32_e32 v79, v68, v222
	v_fma_f32 v5, v68, v221, -v5
	v_fmac_f32_e32 v79, v69, v221
	v_add_f32_e32 v76, v4, v5
	s_waitcnt vmcnt(18)
	v_mul_f32_e32 v4, v71, v224
	s_waitcnt vmcnt(9)
	v_mov_b32_e32 v20, v89
	v_add_f32_e32 v77, v77, v79
	v_mul_f32_e32 v79, v70, v224
	v_fma_f32 v78, v70, v223, -v4
	s_waitcnt lgkmcnt(0)
	v_mul_f32_e32 v4, v73, v226
	v_pk_mul_f32 v[20:21], v[74:75], v[20:21] op_sel_hi:[1,0]
	v_fmac_f32_e32 v79, v71, v223
	v_mul_f32_e32 v81, v72, v226
	v_fma_f32 v80, v72, v225, -v4
	ds_read2_b64 v[4:7], v1 offset0:105 offset1:106
	ds_read2_b64 v[8:11], v1 offset0:107 offset1:108
	;; [unrolled: 1-line block ×3, first 2 shown]
	ds_read_b64 v[16:17], v1 offset:888
	s_waitcnt vmcnt(8)
	v_pk_fma_f32 v[22:23], v[74:75], v[88:89], v[20:21] op_sel:[0,0,1] op_sel_hi:[1,1,0] neg_lo:[0,0,1] neg_hi:[0,0,1]
	v_pk_fma_f32 v[20:21], v[74:75], v[88:89], v[20:21] op_sel:[0,0,1] op_sel_hi:[1,0,0]
	v_fmac_f32_e32 v81, v73, v225
	v_pk_add_f32 v[18:19], v[76:77], v[78:79]
	v_mov_b32_e32 v20, v87
	v_pk_add_f32 v[18:19], v[18:19], v[80:81]
	v_mov_b32_e32 v23, v21
	s_waitcnt lgkmcnt(3)
	v_pk_mul_f32 v[20:21], v[4:5], v[20:21] op_sel_hi:[1,0]
	v_pk_add_f32 v[18:19], v[18:19], v[22:23]
	v_pk_fma_f32 v[22:23], v[4:5], v[86:87], v[20:21] op_sel:[0,0,1] op_sel_hi:[1,1,0] neg_lo:[0,0,1] neg_hi:[0,0,1]
	v_pk_fma_f32 v[4:5], v[4:5], v[86:87], v[20:21] op_sel:[0,0,1] op_sel_hi:[1,0,0]
	v_mov_b32_e32 v23, v5
	v_pk_add_f32 v[4:5], v[18:19], v[22:23]
	v_mov_b32_e32 v18, v85
	v_pk_mul_f32 v[18:19], v[6:7], v[18:19] op_sel_hi:[1,0]
	v_pk_fma_f32 v[20:21], v[6:7], v[84:85], v[18:19] op_sel:[0,0,1] op_sel_hi:[1,1,0] neg_lo:[0,0,1] neg_hi:[0,0,1]
	v_pk_fma_f32 v[6:7], v[6:7], v[84:85], v[18:19] op_sel:[0,0,1] op_sel_hi:[1,0,0]
	v_mov_b32_e32 v6, v83
	v_mov_b32_e32 v21, v7
	s_waitcnt lgkmcnt(2)
	v_pk_mul_f32 v[6:7], v[8:9], v[6:7] op_sel_hi:[1,0]
	v_pk_fma_f32 v[18:19], v[8:9], v[82:83], v[6:7] op_sel:[0,0,1] op_sel_hi:[1,1,0] neg_lo:[0,0,1] neg_hi:[0,0,1]
	v_pk_fma_f32 v[6:7], v[8:9], v[82:83], v[6:7] op_sel:[0,0,1] op_sel_hi:[1,0,0]
	s_waitcnt vmcnt(1)
	v_mov_b32_e32 v6, v97
	v_mov_b32_e32 v19, v7
	v_pk_mul_f32 v[6:7], v[10:11], v[6:7] op_sel_hi:[1,0]
	s_waitcnt vmcnt(0)
	v_pk_fma_f32 v[8:9], v[10:11], v[96:97], v[6:7] op_sel:[0,0,1] op_sel_hi:[1,1,0] neg_lo:[0,0,1] neg_hi:[0,0,1]
	v_pk_fma_f32 v[6:7], v[10:11], v[96:97], v[6:7] op_sel:[0,0,1] op_sel_hi:[1,0,0]
	v_pk_add_f32 v[4:5], v[4:5], v[20:21]
	v_mov_b32_e32 v6, v95
	v_pk_add_f32 v[4:5], v[4:5], v[18:19]
	v_mov_b32_e32 v9, v7
	s_waitcnt lgkmcnt(1)
	v_pk_mul_f32 v[6:7], v[12:13], v[6:7] op_sel_hi:[1,0]
	v_pk_add_f32 v[4:5], v[4:5], v[8:9]
	v_pk_fma_f32 v[8:9], v[12:13], v[94:95], v[6:7] op_sel:[0,0,1] op_sel_hi:[1,1,0] neg_lo:[0,0,1] neg_hi:[0,0,1]
	v_pk_fma_f32 v[6:7], v[12:13], v[94:95], v[6:7] op_sel:[0,0,1] op_sel_hi:[1,0,0]
	v_mov_b32_e32 v6, v93
	v_mov_b32_e32 v9, v7
	v_pk_mul_f32 v[6:7], v[14:15], v[6:7] op_sel_hi:[1,0]
	v_pk_add_f32 v[4:5], v[4:5], v[8:9]
	v_pk_fma_f32 v[8:9], v[14:15], v[92:93], v[6:7] op_sel:[0,0,1] op_sel_hi:[1,1,0] neg_lo:[0,0,1] neg_hi:[0,0,1]
	v_pk_fma_f32 v[6:7], v[14:15], v[92:93], v[6:7] op_sel:[0,0,1] op_sel_hi:[1,0,0]
	v_mov_b32_e32 v6, v91
	v_mov_b32_e32 v9, v7
	s_waitcnt lgkmcnt(0)
	v_pk_mul_f32 v[6:7], v[16:17], v[6:7] op_sel_hi:[1,0]
	v_pk_add_f32 v[4:5], v[4:5], v[8:9]
	v_pk_fma_f32 v[8:9], v[16:17], v[90:91], v[6:7] op_sel:[0,0,1] op_sel_hi:[1,1,0] neg_lo:[0,0,1] neg_hi:[0,0,1]
	v_pk_fma_f32 v[6:7], v[16:17], v[90:91], v[6:7] op_sel:[0,0,1] op_sel_hi:[1,0,0]
	v_mov_b32_e32 v9, v7
	v_pk_add_f32 v[4:5], v[4:5], v[8:9]
	v_pk_add_f32 v[2:3], v[2:3], v[4:5] neg_lo:[0,1] neg_hi:[0,1]
	buffer_store_dword v3, off, s[0:3], 0 offset:100
	buffer_store_dword v2, off, s[0:3], 0 offset:96
	s_and_saveexec_b64 s[4:5], vcc
	s_cbranch_execz .LBB119_327
; %bb.326:
	buffer_load_dword v2, off, s[0:3], 0 offset:88
	buffer_load_dword v3, off, s[0:3], 0 offset:92
	s_waitcnt vmcnt(0)
	ds_write_b64 v161, v[2:3]
	buffer_store_dword v1, off, s[0:3], 0 offset:88
	buffer_store_dword v1, off, s[0:3], 0 offset:92
.LBB119_327:
	s_or_b64 exec, exec, s[4:5]
	s_waitcnt lgkmcnt(0)
	; wave barrier
	s_waitcnt lgkmcnt(0)
	buffer_load_dword v76, off, s[0:3], 0 offset:100
	buffer_load_dword v78, off, s[0:3], 0 offset:108
	;; [unrolled: 1-line block ×26, first 2 shown]
	ds_read_b128 v[22:25], v1 offset:544
	ds_read_b128 v[18:21], v1 offset:560
	;; [unrolled: 1-line block ×6, first 2 shown]
	buffer_load_dword v119, off, s[0:3], 0 offset:192
	buffer_load_dword v120, off, s[0:3], 0 offset:196
	;; [unrolled: 1-line block ×42, first 2 shown]
	v_cmp_lt_u32_e32 vcc, 10, v0
	s_waitcnt vmcnt(62) lgkmcnt(5)
	v_mul_f32_e32 v28, v22, v76
	v_mul_f32_e32 v29, v24, v78
	s_waitcnt lgkmcnt(4)
	v_mul_f32_e32 v31, v20, v86
	s_waitcnt lgkmcnt(3)
	v_mul_f32_e32 v32, v14, v98
	v_mul_f32_e32 v33, v16, v99
	;; [unrolled: 1-line block ×3, first 2 shown]
	s_waitcnt vmcnt(61) lgkmcnt(2)
	v_mul_f32_e32 v34, v10, v101
	s_waitcnt vmcnt(60)
	v_mul_f32_e32 v35, v12, v102
	s_waitcnt vmcnt(59) lgkmcnt(1)
	v_mul_f32_e32 v36, v6, v103
	s_waitcnt vmcnt(58)
	v_fmac_f32_e32 v30, v19, v104
	s_waitcnt vmcnt(57)
	v_fmac_f32_e32 v29, v25, v105
	;; [unrolled: 2-line block ×3, first 2 shown]
	v_add_f32_e32 v28, 0, v28
	v_add_f32_e32 v28, v28, v29
	;; [unrolled: 1-line block ×3, first 2 shown]
	s_waitcnt vmcnt(52)
	v_fmac_f32_e32 v31, v21, v110
	v_fmac_f32_e32 v32, v15, v109
	v_add_f32_e32 v28, v28, v31
	v_fmac_f32_e32 v33, v17, v108
	v_add_f32_e32 v28, v28, v32
	;; [unrolled: 2-line block ×3, first 2 shown]
	s_waitcnt vmcnt(48)
	v_fmac_f32_e32 v35, v13, v114
	v_add_f32_e32 v28, v28, v34
	v_fmac_f32_e32 v36, v7, v113
	v_add_f32_e32 v28, v28, v35
	s_waitcnt vmcnt(47)
	v_mul_f32_e32 v29, v8, v115
	v_add_f32_e32 v28, v28, v36
	v_fmac_f32_e32 v29, v9, v112
	v_add_f32_e32 v28, v28, v29
	s_waitcnt vmcnt(46) lgkmcnt(0)
	v_mul_f32_e32 v29, v2, v116
	v_fmac_f32_e32 v29, v3, v111
	v_add_f32_e32 v32, v28, v29
	ds_read_b128 v[28:31], v1 offset:640
	s_waitcnt vmcnt(42)
	v_mul_f32_e32 v33, v4, v118
	v_fmac_f32_e32 v33, v5, v117
	buffer_load_dword v223, off, s[0:3], 0 offset:360
	buffer_load_dword v224, off, s[0:3], 0 offset:364
	v_add_f32_e32 v36, v32, v33
	buffer_load_dword v225, off, s[0:3], 0 offset:368
	buffer_load_dword v226, off, s[0:3], 0 offset:372
	ds_read_b128 v[32:35], v1 offset:656
	s_waitcnt vmcnt(44) lgkmcnt(1)
	v_mul_f32_e32 v37, v28, v120
	v_fmac_f32_e32 v37, v29, v119
	v_add_f32_e32 v36, v36, v37
	s_waitcnt vmcnt(42)
	v_mul_f32_e32 v37, v30, v122
	v_fmac_f32_e32 v37, v31, v121
	v_add_f32_e32 v36, v36, v37
	s_waitcnt vmcnt(40) lgkmcnt(0)
	v_mul_f32_e32 v37, v32, v124
	v_fmac_f32_e32 v37, v33, v123
	buffer_load_dword v227, off, s[0:3], 0 offset:376
	buffer_load_dword v228, off, s[0:3], 0 offset:380
	v_add_f32_e32 v40, v36, v37
	ds_read_b128 v[36:39], v1 offset:672
	s_waitcnt vmcnt(40)
	v_mul_f32_e32 v41, v34, v126
	v_fmac_f32_e32 v41, v35, v125
	v_add_f32_e32 v44, v40, v41
	ds_read_b128 v[40:43], v1 offset:688
	s_waitcnt vmcnt(38) lgkmcnt(1)
	v_mul_f32_e32 v45, v36, v128
	v_fmac_f32_e32 v45, v37, v127
	v_add_f32_e32 v44, v44, v45
	s_waitcnt vmcnt(36)
	v_mul_f32_e32 v45, v38, v130
	v_fmac_f32_e32 v45, v39, v129
	v_add_f32_e32 v44, v44, v45
	s_waitcnt vmcnt(34) lgkmcnt(0)
	v_mul_f32_e32 v45, v40, v132
	v_fmac_f32_e32 v45, v41, v131
	v_add_f32_e32 v48, v44, v45
	ds_read_b128 v[44:47], v1 offset:704
	s_waitcnt vmcnt(32)
	v_mul_f32_e32 v49, v42, v134
	v_fmac_f32_e32 v49, v43, v133
	v_add_f32_e32 v52, v48, v49
	ds_read_b128 v[48:51], v1 offset:720
	s_waitcnt vmcnt(30) lgkmcnt(1)
	v_mul_f32_e32 v53, v44, v136
	v_fmac_f32_e32 v53, v45, v135
	v_add_f32_e32 v52, v52, v53
	s_waitcnt vmcnt(28)
	v_mul_f32_e32 v53, v46, v138
	v_fmac_f32_e32 v53, v47, v137
	v_add_f32_e32 v52, v52, v53
	s_waitcnt vmcnt(26) lgkmcnt(0)
	v_mul_f32_e32 v53, v48, v140
	v_fmac_f32_e32 v53, v49, v139
	;; [unrolled: 18-line block ×4, first 2 shown]
	s_waitcnt vmcnt(8)
	v_mul_f32_e32 v73, v66, v220
	v_add_f32_e32 v72, v68, v69
	v_fmac_f32_e32 v73, v67, v219
	ds_read_b128 v[68:71], v1 offset:800
	v_add_f32_e32 v77, v72, v73
	ds_read_b128 v[72:75], v1 offset:816
	buffer_load_dword v81, off, s[0:3], 0 offset:404
	buffer_load_dword v80, off, s[0:3], 0 offset:400
	;; [unrolled: 1-line block ×16, first 2 shown]
	v_mul_f32_e32 v23, v23, v76
	v_fma_f32 v22, v22, v106, -v23
	v_mul_f32_e32 v23, v25, v78
	v_add_f32_e32 v22, 0, v22
	v_fma_f32 v23, v24, v105, -v23
	v_mul_f32_e32 v19, v19, v100
	v_add_f32_e32 v22, v22, v23
	;; [unrolled: 3-line block ×11, first 2 shown]
	v_fma_f32 v3, v4, v117, -v3
	v_add_f32_e32 v2, v2, v3
	v_mul_f32_e32 v3, v29, v120
	v_fma_f32 v3, v28, v119, -v3
	v_add_f32_e32 v2, v2, v3
	v_mul_f32_e32 v3, v31, v122
	;; [unrolled: 3-line block ×20, first 2 shown]
	v_fma_f32 v3, v66, v219, -v3
	v_add_f32_e32 v2, v2, v3
	s_waitcnt vmcnt(22) lgkmcnt(1)
	v_mul_f32_e32 v3, v69, v222
	v_fma_f32 v3, v68, v221, -v3
	v_add_f32_e32 v2, v2, v3
	s_waitcnt vmcnt(20)
	v_mul_f32_e32 v3, v71, v224
	v_mul_f32_e32 v79, v68, v222
	v_fma_f32 v3, v70, v223, -v3
	v_fmac_f32_e32 v79, v69, v221
	v_add_f32_e32 v76, v2, v3
	s_waitcnt vmcnt(18) lgkmcnt(0)
	v_mul_f32_e32 v2, v73, v226
	v_add_f32_e32 v77, v77, v79
	v_mul_f32_e32 v79, v70, v224
	v_fma_f32 v78, v72, v225, -v2
	s_waitcnt vmcnt(16)
	v_mul_f32_e32 v2, v75, v228
	v_fmac_f32_e32 v79, v71, v223
	v_fma_f32 v86, v74, v227, -v2
	ds_read_b128 v[2:5], v1 offset:832
	ds_read_b128 v[6:9], v1 offset:848
	;; [unrolled: 1-line block ×4, first 2 shown]
	v_add_f32_e32 v77, v77, v79
	v_mul_f32_e32 v79, v72, v226
	s_waitcnt vmcnt(11)
	v_mov_b32_e32 v20, v85
	v_fmac_f32_e32 v79, v73, v225
	v_mul_f32_e32 v87, v74, v228
	s_waitcnt lgkmcnt(3)
	v_pk_mul_f32 v[20:21], v[2:3], v[20:21] op_sel_hi:[1,0]
	v_fmac_f32_e32 v87, v75, v227
	v_pk_add_f32 v[18:19], v[76:77], v[78:79]
	s_waitcnt vmcnt(10)
	v_pk_fma_f32 v[22:23], v[2:3], v[84:85], v[20:21] op_sel:[0,0,1] op_sel_hi:[1,1,0] neg_lo:[0,0,1] neg_hi:[0,0,1]
	v_pk_fma_f32 v[2:3], v[2:3], v[84:85], v[20:21] op_sel:[0,0,1] op_sel_hi:[1,0,0]
	v_pk_add_f32 v[18:19], v[18:19], v[86:87]
	v_mov_b32_e32 v23, v3
	v_pk_add_f32 v[2:3], v[18:19], v[22:23]
	v_mov_b32_e32 v18, v83
	v_pk_mul_f32 v[18:19], v[4:5], v[18:19] op_sel_hi:[1,0]
	v_pk_fma_f32 v[20:21], v[4:5], v[82:83], v[18:19] op_sel:[0,0,1] op_sel_hi:[1,1,0] neg_lo:[0,0,1] neg_hi:[0,0,1]
	v_pk_fma_f32 v[4:5], v[4:5], v[82:83], v[18:19] op_sel:[0,0,1] op_sel_hi:[1,0,0]
	v_mov_b32_e32 v4, v81
	v_mov_b32_e32 v21, v5
	s_waitcnt lgkmcnt(2)
	v_pk_mul_f32 v[4:5], v[6:7], v[4:5] op_sel_hi:[1,0]
	v_pk_fma_f32 v[18:19], v[6:7], v[80:81], v[4:5] op_sel:[0,0,1] op_sel_hi:[1,1,0] neg_lo:[0,0,1] neg_hi:[0,0,1]
	v_pk_fma_f32 v[4:5], v[6:7], v[80:81], v[4:5] op_sel:[0,0,1] op_sel_hi:[1,0,0]
	s_waitcnt vmcnt(3)
	v_mov_b32_e32 v4, v95
	v_mov_b32_e32 v19, v5
	v_pk_mul_f32 v[4:5], v[8:9], v[4:5] op_sel_hi:[1,0]
	s_waitcnt vmcnt(2)
	v_pk_fma_f32 v[6:7], v[8:9], v[94:95], v[4:5] op_sel:[0,0,1] op_sel_hi:[1,1,0] neg_lo:[0,0,1] neg_hi:[0,0,1]
	v_pk_fma_f32 v[4:5], v[8:9], v[94:95], v[4:5] op_sel:[0,0,1] op_sel_hi:[1,0,0]
	v_pk_add_f32 v[2:3], v[2:3], v[20:21]
	v_mov_b32_e32 v4, v93
	v_pk_add_f32 v[2:3], v[2:3], v[18:19]
	v_mov_b32_e32 v7, v5
	s_waitcnt lgkmcnt(1)
	v_pk_mul_f32 v[4:5], v[10:11], v[4:5] op_sel_hi:[1,0]
	v_pk_add_f32 v[2:3], v[2:3], v[6:7]
	v_pk_fma_f32 v[6:7], v[10:11], v[92:93], v[4:5] op_sel:[0,0,1] op_sel_hi:[1,1,0] neg_lo:[0,0,1] neg_hi:[0,0,1]
	v_pk_fma_f32 v[4:5], v[10:11], v[92:93], v[4:5] op_sel:[0,0,1] op_sel_hi:[1,0,0]
	v_mov_b32_e32 v4, v91
	v_mov_b32_e32 v7, v5
	v_pk_mul_f32 v[4:5], v[12:13], v[4:5] op_sel_hi:[1,0]
	v_pk_add_f32 v[2:3], v[2:3], v[6:7]
	v_pk_fma_f32 v[6:7], v[12:13], v[90:91], v[4:5] op_sel:[0,0,1] op_sel_hi:[1,1,0] neg_lo:[0,0,1] neg_hi:[0,0,1]
	v_pk_fma_f32 v[4:5], v[12:13], v[90:91], v[4:5] op_sel:[0,0,1] op_sel_hi:[1,0,0]
	v_mov_b32_e32 v4, v89
	v_mov_b32_e32 v7, v5
	s_waitcnt lgkmcnt(0)
	v_pk_mul_f32 v[4:5], v[14:15], v[4:5] op_sel_hi:[1,0]
	v_pk_add_f32 v[2:3], v[2:3], v[6:7]
	v_pk_fma_f32 v[6:7], v[14:15], v[88:89], v[4:5] op_sel:[0,0,1] op_sel_hi:[1,1,0] neg_lo:[0,0,1] neg_hi:[0,0,1]
	v_pk_fma_f32 v[4:5], v[14:15], v[88:89], v[4:5] op_sel:[0,0,1] op_sel_hi:[1,0,0]
	s_waitcnt vmcnt(1)
	v_mov_b32_e32 v4, v97
	v_mov_b32_e32 v7, v5
	v_pk_mul_f32 v[4:5], v[16:17], v[4:5] op_sel_hi:[1,0]
	v_pk_add_f32 v[2:3], v[2:3], v[6:7]
	s_waitcnt vmcnt(0)
	v_pk_fma_f32 v[6:7], v[16:17], v[96:97], v[4:5] op_sel:[0,0,1] op_sel_hi:[1,1,0] neg_lo:[0,0,1] neg_hi:[0,0,1]
	v_pk_fma_f32 v[4:5], v[16:17], v[96:97], v[4:5] op_sel:[0,0,1] op_sel_hi:[1,0,0]
	v_mov_b32_e32 v7, v5
	v_pk_add_f32 v[2:3], v[2:3], v[6:7]
	v_pk_add_f32 v[2:3], v[26:27], v[2:3] neg_lo:[0,1] neg_hi:[0,1]
	buffer_store_dword v3, off, s[0:3], 0 offset:92
	buffer_store_dword v2, off, s[0:3], 0 offset:88
	s_and_saveexec_b64 s[4:5], vcc
	s_cbranch_execz .LBB119_329
; %bb.328:
	buffer_load_dword v2, off, s[0:3], 0 offset:80
	buffer_load_dword v3, off, s[0:3], 0 offset:84
	v_mov_b32_e32 v1, 0
	buffer_store_dword v1, off, s[0:3], 0 offset:80
	buffer_store_dword v1, off, s[0:3], 0 offset:84
	s_waitcnt vmcnt(2)
	ds_write_b64 v161, v[2:3]
.LBB119_329:
	s_or_b64 exec, exec, s[4:5]
	v_mov_b32_e32 v214, 0
	s_waitcnt lgkmcnt(0)
	; wave barrier
	s_waitcnt lgkmcnt(0)
	ds_read2_b64 v[2:5], v214 offset0:67 offset1:68
	buffer_load_dword v78, off, s[0:3], 0 offset:80
	buffer_load_dword v79, off, s[0:3], 0 offset:84
	;; [unrolled: 1-line block ×16, first 2 shown]
	v_cmp_lt_u32_e32 vcc, 9, v0
	s_waitcnt vmcnt(12) lgkmcnt(0)
	v_mul_f32_e32 v6, v2, v86
	v_fmac_f32_e32 v6, v3, v80
	s_waitcnt vmcnt(10)
	v_mul_f32_e32 v7, v4, v216
	v_add_f32_e32 v6, 0, v6
	v_fmac_f32_e32 v7, v5, v82
	v_add_f32_e32 v10, v6, v7
	ds_read2_b64 v[6:9], v214 offset0:69 offset1:70
	v_mul_f32_e32 v3, v3, v86
	v_fma_f32 v2, v2, v80, -v3
	v_mul_f32_e32 v3, v5, v216
	v_add_f32_e32 v2, 0, v2
	s_waitcnt vmcnt(8) lgkmcnt(0)
	v_mul_f32_e32 v11, v6, v218
	v_fmac_f32_e32 v11, v7, v1
	v_add_f32_e32 v10, v10, v11
	s_waitcnt vmcnt(6)
	v_mul_f32_e32 v11, v8, v220
	v_fmac_f32_e32 v11, v9, v215
	v_add_f32_e32 v14, v10, v11
	ds_read2_b64 v[10:13], v214 offset0:71 offset1:72
	v_fma_f32 v3, v4, v82, -v3
	v_add_f32_e32 v2, v2, v3
	v_mul_f32_e32 v3, v7, v218
	v_fma_f32 v1, v6, v1, -v3
	s_waitcnt vmcnt(4) lgkmcnt(0)
	v_mul_f32_e32 v15, v10, v222
	v_fmac_f32_e32 v15, v11, v217
	v_add_f32_e32 v14, v14, v15
	s_waitcnt vmcnt(2)
	v_mul_f32_e32 v15, v12, v223
	v_fmac_f32_e32 v15, v13, v219
	v_add_f32_e32 v18, v14, v15
	ds_read2_b64 v[14:17], v214 offset0:73 offset1:74
	buffer_load_dword v94, off, s[0:3], 0 offset:144
	buffer_load_dword v95, off, s[0:3], 0 offset:148
	v_add_f32_e32 v1, v2, v1
	v_mul_f32_e32 v2, v9, v220
	v_fma_f32 v2, v8, v215, -v2
	s_waitcnt vmcnt(2) lgkmcnt(0)
	v_mul_f32_e32 v19, v14, v224
	v_fmac_f32_e32 v19, v15, v221
	v_add_f32_e32 v18, v18, v19
	v_add_f32_e32 v1, v1, v2
	v_mul_f32_e32 v2, v11, v222
	v_fma_f32 v2, v10, v217, -v2
	v_add_f32_e32 v1, v1, v2
	v_mul_f32_e32 v2, v13, v223
	v_fma_f32 v2, v12, v219, -v2
	;; [unrolled: 3-line block ×3, first 2 shown]
	v_add_f32_e32 v1, v1, v2
	s_waitcnt vmcnt(0)
	v_mul_f32_e32 v19, v16, v95
	v_fmac_f32_e32 v19, v17, v94
	v_add_f32_e32 v22, v18, v19
	ds_read2_b64 v[18:21], v214 offset0:75 offset1:76
	buffer_load_dword v96, off, s[0:3], 0 offset:152
	buffer_load_dword v97, off, s[0:3], 0 offset:156
	;; [unrolled: 1-line block ×4, first 2 shown]
	v_mul_f32_e32 v2, v17, v95
	v_fma_f32 v2, v16, v94, -v2
	v_add_f32_e32 v1, v1, v2
	s_waitcnt vmcnt(2) lgkmcnt(0)
	v_mul_f32_e32 v23, v18, v97
	v_fmac_f32_e32 v23, v19, v96
	v_add_f32_e32 v22, v22, v23
	s_waitcnt vmcnt(0)
	v_mul_f32_e32 v23, v20, v99
	v_fmac_f32_e32 v23, v21, v98
	v_add_f32_e32 v26, v22, v23
	ds_read2_b64 v[22:25], v214 offset0:77 offset1:78
	buffer_load_dword v100, off, s[0:3], 0 offset:168
	buffer_load_dword v101, off, s[0:3], 0 offset:172
	buffer_load_dword v102, off, s[0:3], 0 offset:176
	buffer_load_dword v103, off, s[0:3], 0 offset:180
	ds_read2_b64 v[30:33], v214 offset0:79 offset1:80
	buffer_load_dword v104, off, s[0:3], 0 offset:184
	buffer_load_dword v105, off, s[0:3], 0 offset:188
	buffer_load_dword v106, off, s[0:3], 0 offset:192
	buffer_load_dword v107, off, s[0:3], 0 offset:196
	;; [unrolled: 5-line block ×13, first 2 shown]
	v_mul_f32_e32 v2, v19, v97
	v_fma_f32 v2, v18, v96, -v2
	v_add_f32_e32 v1, v1, v2
	v_mul_f32_e32 v2, v21, v99
	v_fma_f32 v2, v20, v98, -v2
	v_add_f32_e32 v1, v1, v2
	s_waitcnt vmcnt(50) lgkmcnt(12)
	v_mul_f32_e32 v27, v22, v101
	v_fmac_f32_e32 v27, v23, v100
	v_add_f32_e32 v26, v26, v27
	s_waitcnt vmcnt(48)
	v_mul_f32_e32 v27, v24, v103
	v_fmac_f32_e32 v27, v25, v102
	v_add_f32_e32 v26, v26, v27
	s_waitcnt vmcnt(46) lgkmcnt(11)
	v_mul_f32_e32 v27, v30, v105
	v_fmac_f32_e32 v27, v31, v104
	v_add_f32_e32 v26, v26, v27
	s_waitcnt vmcnt(44)
	v_mul_f32_e32 v27, v32, v107
	v_fmac_f32_e32 v27, v33, v106
	;; [unrolled: 8-line block ×12, first 2 shown]
	v_add_f32_e32 v26, v26, v27
	s_waitcnt vmcnt(2) lgkmcnt(0)
	v_mul_f32_e32 v27, v74, v230
	v_fmac_f32_e32 v27, v75, v229
	v_add_f32_e32 v81, v26, v27
	ds_read2_b64 v[26:29], v214 offset0:103 offset1:104
	buffer_load_dword v233, off, s[0:3], 0 offset:376
	buffer_load_dword v234, off, s[0:3], 0 offset:380
	;; [unrolled: 1-line block ×18, first 2 shown]
	v_mul_f32_e32 v2, v23, v101
	v_fma_f32 v2, v22, v100, -v2
	v_add_f32_e32 v1, v1, v2
	v_mul_f32_e32 v2, v25, v103
	v_fma_f32 v2, v24, v102, -v2
	v_add_f32_e32 v1, v1, v2
	;; [unrolled: 3-line block ×24, first 2 shown]
	v_mul_f32_e32 v2, v75, v230
	v_fma_f32 v2, v74, v229, -v2
	s_waitcnt vmcnt(15)
	v_mov_b32_e32 v18, v85
	v_mul_f32_e32 v83, v76, v232
	v_add_f32_e32 v80, v1, v2
	v_mul_f32_e32 v1, v77, v232
	s_waitcnt lgkmcnt(0)
	v_pk_mul_f32 v[18:19], v[28:29], v[18:19] op_sel_hi:[1,0]
	v_fmac_f32_e32 v83, v77, v231
	v_mul_f32_e32 v87, v26, v234
	v_fma_f32 v82, v76, v231, -v1
	v_mul_f32_e32 v1, v27, v234
	ds_read2_b64 v[2:5], v214 offset0:105 offset1:106
	ds_read2_b64 v[6:9], v214 offset0:107 offset1:108
	ds_read2_b64 v[10:13], v214 offset0:109 offset1:110
	ds_read_b64 v[14:15], v214 offset:888
	s_waitcnt vmcnt(14)
	v_pk_fma_f32 v[20:21], v[28:29], v[84:85], v[18:19] op_sel:[0,0,1] op_sel_hi:[1,1,0] neg_lo:[0,0,1] neg_hi:[0,0,1]
	v_pk_fma_f32 v[18:19], v[28:29], v[84:85], v[18:19] op_sel:[0,0,1] op_sel_hi:[1,0,0]
	v_fmac_f32_e32 v87, v27, v233
	v_fma_f32 v86, v26, v233, -v1
	v_pk_add_f32 v[16:17], v[80:81], v[82:83]
	s_waitcnt vmcnt(13)
	v_mov_b32_e32 v18, v213
	v_pk_add_f32 v[16:17], v[16:17], v[86:87]
	v_mov_b32_e32 v21, v19
	s_waitcnt lgkmcnt(3)
	v_pk_mul_f32 v[18:19], v[2:3], v[18:19] op_sel_hi:[1,0]
	v_pk_add_f32 v[16:17], v[16:17], v[20:21]
	s_waitcnt vmcnt(12)
	v_pk_fma_f32 v[20:21], v[2:3], v[212:213], v[18:19] op_sel:[0,0,1] op_sel_hi:[1,1,0] neg_lo:[0,0,1] neg_hi:[0,0,1]
	v_pk_fma_f32 v[2:3], v[2:3], v[212:213], v[18:19] op_sel:[0,0,1] op_sel_hi:[1,0,0]
	v_mov_b32_e32 v21, v3
	v_pk_add_f32 v[2:3], v[16:17], v[20:21]
	s_waitcnt vmcnt(11)
	v_mov_b32_e32 v16, v211
	v_pk_mul_f32 v[16:17], v[4:5], v[16:17] op_sel_hi:[1,0]
	s_waitcnt vmcnt(10)
	v_pk_fma_f32 v[18:19], v[4:5], v[210:211], v[16:17] op_sel:[0,0,1] op_sel_hi:[1,1,0] neg_lo:[0,0,1] neg_hi:[0,0,1]
	v_pk_fma_f32 v[4:5], v[4:5], v[210:211], v[16:17] op_sel:[0,0,1] op_sel_hi:[1,0,0]
	s_waitcnt vmcnt(9)
	v_mov_b32_e32 v4, v209
	v_mov_b32_e32 v19, v5
	s_waitcnt lgkmcnt(2)
	v_pk_mul_f32 v[4:5], v[6:7], v[4:5] op_sel_hi:[1,0]
	s_waitcnt vmcnt(8)
	v_pk_fma_f32 v[16:17], v[6:7], v[208:209], v[4:5] op_sel:[0,0,1] op_sel_hi:[1,1,0] neg_lo:[0,0,1] neg_hi:[0,0,1]
	v_pk_fma_f32 v[4:5], v[6:7], v[208:209], v[4:5] op_sel:[0,0,1] op_sel_hi:[1,0,0]
	s_waitcnt vmcnt(7)
	v_mov_b32_e32 v4, v207
	v_mov_b32_e32 v17, v5
	v_pk_mul_f32 v[4:5], v[8:9], v[4:5] op_sel_hi:[1,0]
	s_waitcnt vmcnt(6)
	v_pk_fma_f32 v[6:7], v[8:9], v[206:207], v[4:5] op_sel:[0,0,1] op_sel_hi:[1,1,0] neg_lo:[0,0,1] neg_hi:[0,0,1]
	v_pk_fma_f32 v[4:5], v[8:9], v[206:207], v[4:5] op_sel:[0,0,1] op_sel_hi:[1,0,0]
	v_pk_add_f32 v[2:3], v[2:3], v[18:19]
	s_waitcnt vmcnt(5)
	v_mov_b32_e32 v4, v93
	v_pk_add_f32 v[2:3], v[2:3], v[16:17]
	v_mov_b32_e32 v7, v5
	s_waitcnt lgkmcnt(1)
	v_pk_mul_f32 v[4:5], v[10:11], v[4:5] op_sel_hi:[1,0]
	v_pk_add_f32 v[2:3], v[2:3], v[6:7]
	s_waitcnt vmcnt(4)
	v_pk_fma_f32 v[6:7], v[10:11], v[92:93], v[4:5] op_sel:[0,0,1] op_sel_hi:[1,1,0] neg_lo:[0,0,1] neg_hi:[0,0,1]
	v_pk_fma_f32 v[4:5], v[10:11], v[92:93], v[4:5] op_sel:[0,0,1] op_sel_hi:[1,0,0]
	s_waitcnt vmcnt(3)
	v_mov_b32_e32 v4, v91
	v_mov_b32_e32 v7, v5
	v_pk_mul_f32 v[4:5], v[12:13], v[4:5] op_sel_hi:[1,0]
	v_pk_add_f32 v[2:3], v[2:3], v[6:7]
	s_waitcnt vmcnt(2)
	v_pk_fma_f32 v[6:7], v[12:13], v[90:91], v[4:5] op_sel:[0,0,1] op_sel_hi:[1,1,0] neg_lo:[0,0,1] neg_hi:[0,0,1]
	v_pk_fma_f32 v[4:5], v[12:13], v[90:91], v[4:5] op_sel:[0,0,1] op_sel_hi:[1,0,0]
	s_waitcnt vmcnt(1)
	v_mov_b32_e32 v4, v89
	v_mov_b32_e32 v7, v5
	s_waitcnt lgkmcnt(0)
	v_pk_mul_f32 v[4:5], v[14:15], v[4:5] op_sel_hi:[1,0]
	v_pk_add_f32 v[2:3], v[2:3], v[6:7]
	s_waitcnt vmcnt(0)
	v_pk_fma_f32 v[6:7], v[14:15], v[88:89], v[4:5] op_sel:[0,0,1] op_sel_hi:[1,1,0] neg_lo:[0,0,1] neg_hi:[0,0,1]
	v_pk_fma_f32 v[4:5], v[14:15], v[88:89], v[4:5] op_sel:[0,0,1] op_sel_hi:[1,0,0]
	v_mov_b32_e32 v7, v5
	v_pk_add_f32 v[2:3], v[2:3], v[6:7]
	v_pk_add_f32 v[2:3], v[78:79], v[2:3] neg_lo:[0,1] neg_hi:[0,1]
	buffer_store_dword v3, off, s[0:3], 0 offset:84
	buffer_store_dword v2, off, s[0:3], 0 offset:80
	s_and_saveexec_b64 s[4:5], vcc
	s_cbranch_execz .LBB119_331
; %bb.330:
	buffer_load_dword v2, off, s[0:3], 0 offset:72
	buffer_load_dword v3, off, s[0:3], 0 offset:76
	s_waitcnt vmcnt(0)
	ds_write_b64 v161, v[2:3]
	buffer_store_dword v214, off, s[0:3], 0 offset:72
	buffer_store_dword v214, off, s[0:3], 0 offset:76
.LBB119_331:
	s_or_b64 exec, exec, s[4:5]
	s_waitcnt lgkmcnt(0)
	; wave barrier
	s_waitcnt lgkmcnt(0)
	buffer_load_dword v1, off, s[0:3], 0 offset:84
	buffer_load_dword v86, off, s[0:3], 0 offset:92
	;; [unrolled: 1-line block ×32, first 2 shown]
	ds_read_b128 v[22:25], v214 offset:528
	ds_read_b128 v[18:21], v214 offset:544
	;; [unrolled: 1-line block ×6, first 2 shown]
	buffer_load_dword v132, off, s[0:3], 0 offset:200
	buffer_load_dword v133, off, s[0:3], 0 offset:204
	;; [unrolled: 1-line block ×32, first 2 shown]
	v_cmp_lt_u32_e32 vcc, 8, v0
	s_waitcnt vmcnt(62) lgkmcnt(5)
	v_mul_f32_e32 v28, v22, v1
	v_mul_f32_e32 v29, v24, v86
	s_waitcnt vmcnt(61) lgkmcnt(4)
	v_mul_f32_e32 v31, v20, v88
	s_waitcnt vmcnt(60) lgkmcnt(3)
	v_mul_f32_e32 v32, v14, v90
	s_waitcnt vmcnt(59)
	v_mul_f32_e32 v33, v16, v106
	s_waitcnt vmcnt(58)
	v_mul_f32_e32 v30, v18, v107
	s_waitcnt vmcnt(57) lgkmcnt(2)
	v_mul_f32_e32 v34, v10, v108
	s_waitcnt vmcnt(56)
	v_mul_f32_e32 v35, v12, v109
	s_waitcnt vmcnt(55) lgkmcnt(1)
	v_mul_f32_e32 v36, v6, v110
	s_waitcnt vmcnt(54)
	v_mul_f32_e32 v37, v8, v111
	s_waitcnt vmcnt(53)
	v_fmac_f32_e32 v30, v19, v112
	s_waitcnt vmcnt(52)
	v_fmac_f32_e32 v29, v25, v113
	;; [unrolled: 2-line block ×3, first 2 shown]
	v_add_f32_e32 v28, 0, v28
	v_add_f32_e32 v28, v28, v29
	;; [unrolled: 1-line block ×3, first 2 shown]
	s_waitcnt vmcnt(47)
	v_fmac_f32_e32 v31, v21, v118
	v_fmac_f32_e32 v32, v15, v117
	v_add_f32_e32 v28, v28, v31
	v_fmac_f32_e32 v33, v17, v116
	v_add_f32_e32 v28, v28, v32
	;; [unrolled: 2-line block ×3, first 2 shown]
	s_waitcnt vmcnt(43)
	v_fmac_f32_e32 v35, v13, v122
	v_add_f32_e32 v28, v28, v34
	v_fmac_f32_e32 v36, v7, v121
	v_add_f32_e32 v28, v28, v35
	;; [unrolled: 2-line block ×3, first 2 shown]
	s_waitcnt vmcnt(42) lgkmcnt(0)
	v_mul_f32_e32 v29, v2, v123
	v_add_f32_e32 v28, v28, v37
	v_fmac_f32_e32 v29, v3, v119
	v_add_f32_e32 v32, v28, v29
	ds_read_b128 v[28:31], v214 offset:624
	buffer_load_dword v227, off, s[0:3], 0 offset:328
	buffer_load_dword v228, off, s[0:3], 0 offset:332
	s_waitcnt vmcnt(43)
	v_mul_f32_e32 v33, v4, v124
	s_waitcnt vmcnt(36)
	v_fmac_f32_e32 v33, v5, v131
	v_add_f32_e32 v36, v32, v33
	ds_read_b128 v[32:35], v214 offset:640
	buffer_load_dword v229, off, s[0:3], 0 offset:336
	buffer_load_dword v230, off, s[0:3], 0 offset:340
	buffer_load_dword v231, off, s[0:3], 0 offset:344
	buffer_load_dword v232, off, s[0:3], 0 offset:348
	buffer_load_dword v233, off, s[0:3], 0 offset:352
	buffer_load_dword v234, off, s[0:3], 0 offset:356
	buffer_load_dword v235, off, s[0:3], 0 offset:360
	buffer_load_dword v236, off, s[0:3], 0 offset:364
	s_waitcnt lgkmcnt(1)
	v_mul_f32_e32 v37, v28, v126
	v_fmac_f32_e32 v37, v29, v125
	v_add_f32_e32 v36, v36, v37
	v_mul_f32_e32 v37, v30, v128
	v_fmac_f32_e32 v37, v31, v127
	v_add_f32_e32 v36, v36, v37
	s_waitcnt lgkmcnt(0)
	v_mul_f32_e32 v37, v32, v130
	v_fmac_f32_e32 v37, v33, v129
	v_add_f32_e32 v40, v36, v37
	buffer_load_dword v237, off, s[0:3], 0 offset:368
	buffer_load_dword v238, off, s[0:3], 0 offset:372
	;; [unrolled: 1-line block ×4, first 2 shown]
	ds_read_b128 v[36:39], v214 offset:656
	s_waitcnt vmcnt(44)
	v_mul_f32_e32 v41, v34, v133
	v_fmac_f32_e32 v41, v35, v132
	v_add_f32_e32 v44, v40, v41
	ds_read_b128 v[40:43], v214 offset:672
	s_waitcnt vmcnt(42) lgkmcnt(1)
	v_mul_f32_e32 v45, v36, v135
	v_fmac_f32_e32 v45, v37, v134
	v_add_f32_e32 v44, v44, v45
	s_waitcnt vmcnt(40)
	v_mul_f32_e32 v45, v38, v137
	v_fmac_f32_e32 v45, v39, v136
	v_add_f32_e32 v44, v44, v45
	s_waitcnt vmcnt(38) lgkmcnt(0)
	v_mul_f32_e32 v45, v40, v139
	v_fmac_f32_e32 v45, v41, v138
	v_add_f32_e32 v48, v44, v45
	ds_read_b128 v[44:47], v214 offset:688
	s_waitcnt vmcnt(36)
	v_mul_f32_e32 v49, v42, v141
	v_fmac_f32_e32 v49, v43, v140
	v_add_f32_e32 v52, v48, v49
	ds_read_b128 v[48:51], v214 offset:704
	s_waitcnt vmcnt(34) lgkmcnt(1)
	v_mul_f32_e32 v53, v44, v143
	v_fmac_f32_e32 v53, v45, v142
	v_add_f32_e32 v52, v52, v53
	s_waitcnt vmcnt(32)
	v_mul_f32_e32 v53, v46, v207
	v_fmac_f32_e32 v53, v47, v206
	v_add_f32_e32 v52, v52, v53
	s_waitcnt vmcnt(30) lgkmcnt(0)
	v_mul_f32_e32 v53, v48, v209
	v_fmac_f32_e32 v53, v49, v208
	v_add_f32_e32 v56, v52, v53
	;; [unrolled: 18-line block ×4, first 2 shown]
	ds_read_b128 v[68:71], v214 offset:784
	v_mul_f32_e32 v1, v23, v1
	v_fma_f32 v1, v22, v114, -v1
	v_mul_f32_e32 v22, v25, v86
	v_add_f32_e32 v1, 0, v1
	s_waitcnt vmcnt(12)
	v_mul_f32_e32 v73, v66, v228
	v_fmac_f32_e32 v73, v67, v227
	v_add_f32_e32 v76, v72, v73
	ds_read_b128 v[72:75], v214 offset:800
	buffer_load_dword v85, off, s[0:3], 0 offset:388
	buffer_load_dword v84, off, s[0:3], 0 offset:384
	s_waitcnt vmcnt(12) lgkmcnt(1)
	v_mul_f32_e32 v77, v68, v230
	v_fmac_f32_e32 v77, v69, v229
	v_add_f32_e32 v76, v76, v77
	s_waitcnt vmcnt(10)
	v_mul_f32_e32 v77, v70, v232
	v_fmac_f32_e32 v77, v71, v231
	v_add_f32_e32 v76, v76, v77
	s_waitcnt vmcnt(8) lgkmcnt(0)
	v_mul_f32_e32 v77, v72, v234
	v_fmac_f32_e32 v77, v73, v233
	s_waitcnt vmcnt(6)
	v_mul_f32_e32 v81, v74, v236
	v_add_f32_e32 v80, v76, v77
	v_fmac_f32_e32 v81, v75, v235
	ds_read_b128 v[76:79], v214 offset:816
	v_add_f32_e32 v87, v80, v81
	ds_read_b128 v[80:83], v214 offset:832
	buffer_load_dword v93, off, s[0:3], 0 offset:420
	buffer_load_dword v92, off, s[0:3], 0 offset:416
	;; [unrolled: 1-line block ×14, first 2 shown]
	v_fma_f32 v22, v24, v113, -v22
	v_mul_f32_e32 v19, v19, v107
	v_add_f32_e32 v1, v1, v22
	v_fma_f32 v18, v18, v112, -v19
	v_add_f32_e32 v1, v1, v18
	v_mul_f32_e32 v18, v21, v88
	v_fma_f32 v18, v20, v118, -v18
	v_mul_f32_e32 v15, v15, v90
	v_add_f32_e32 v1, v1, v18
	v_fma_f32 v14, v14, v117, -v15
	v_add_f32_e32 v1, v1, v14
	v_mul_f32_e32 v14, v17, v106
	;; [unrolled: 6-line block ×5, first 2 shown]
	v_fma_f32 v2, v4, v131, -v2
	v_add_f32_e32 v1, v1, v2
	v_mul_f32_e32 v2, v29, v126
	v_fma_f32 v2, v28, v125, -v2
	v_add_f32_e32 v1, v1, v2
	v_mul_f32_e32 v2, v31, v128
	;; [unrolled: 3-line block ×24, first 2 shown]
	v_fma_f32 v2, v74, v235, -v2
	s_waitcnt vmcnt(15)
	v_mov_b32_e32 v16, v85
	s_waitcnt lgkmcnt(1)
	v_mul_f32_e32 v89, v76, v238
	v_add_f32_e32 v86, v1, v2
	v_mul_f32_e32 v1, v77, v238
	s_waitcnt lgkmcnt(0)
	v_pk_mul_f32 v[16:17], v[80:81], v[16:17] op_sel_hi:[1,0]
	v_fmac_f32_e32 v89, v77, v237
	v_mul_f32_e32 v91, v78, v240
	v_fma_f32 v88, v76, v237, -v1
	v_mul_f32_e32 v1, v79, v240
	s_waitcnt vmcnt(14)
	v_pk_fma_f32 v[18:19], v[80:81], v[84:85], v[16:17] op_sel:[0,0,1] op_sel_hi:[1,1,0] neg_lo:[0,0,1] neg_hi:[0,0,1]
	v_pk_fma_f32 v[16:17], v[80:81], v[84:85], v[16:17] op_sel:[0,0,1] op_sel_hi:[1,0,0]
	v_fmac_f32_e32 v91, v79, v239
	v_fma_f32 v90, v78, v239, -v1
	v_pk_add_f32 v[14:15], v[86:87], v[88:89]
	s_waitcnt vmcnt(7)
	v_mov_b32_e32 v16, v99
	ds_read_b128 v[2:5], v214 offset:848
	ds_read_b128 v[6:9], v214 offset:864
	;; [unrolled: 1-line block ×3, first 2 shown]
	v_pk_add_f32 v[14:15], v[14:15], v[90:91]
	v_mov_b32_e32 v19, v17
	v_pk_mul_f32 v[16:17], v[82:83], v[16:17] op_sel_hi:[1,0]
	v_pk_add_f32 v[14:15], v[14:15], v[18:19]
	s_waitcnt vmcnt(6)
	v_pk_fma_f32 v[18:19], v[82:83], v[98:99], v[16:17] op_sel:[0,0,1] op_sel_hi:[1,1,0] neg_lo:[0,0,1] neg_hi:[0,0,1]
	v_pk_fma_f32 v[16:17], v[82:83], v[98:99], v[16:17] op_sel:[0,0,1] op_sel_hi:[1,0,0]
	v_mov_b32_e32 v16, v97
	v_mov_b32_e32 v19, v17
	s_waitcnt lgkmcnt(2)
	v_pk_mul_f32 v[16:17], v[2:3], v[16:17] op_sel_hi:[1,0]
	v_pk_add_f32 v[14:15], v[14:15], v[18:19]
	v_pk_fma_f32 v[18:19], v[2:3], v[96:97], v[16:17] op_sel:[0,0,1] op_sel_hi:[1,1,0] neg_lo:[0,0,1] neg_hi:[0,0,1]
	v_pk_fma_f32 v[2:3], v[2:3], v[96:97], v[16:17] op_sel:[0,0,1] op_sel_hi:[1,0,0]
	v_mov_b32_e32 v19, v3
	v_pk_add_f32 v[2:3], v[14:15], v[18:19]
	v_mov_b32_e32 v14, v95
	v_pk_mul_f32 v[14:15], v[4:5], v[14:15] op_sel_hi:[1,0]
	v_pk_fma_f32 v[16:17], v[4:5], v[94:95], v[14:15] op_sel:[0,0,1] op_sel_hi:[1,1,0] neg_lo:[0,0,1] neg_hi:[0,0,1]
	v_pk_fma_f32 v[4:5], v[4:5], v[94:95], v[14:15] op_sel:[0,0,1] op_sel_hi:[1,0,0]
	v_mov_b32_e32 v4, v93
	v_mov_b32_e32 v17, v5
	s_waitcnt lgkmcnt(1)
	v_pk_mul_f32 v[4:5], v[6:7], v[4:5] op_sel_hi:[1,0]
	v_pk_fma_f32 v[14:15], v[6:7], v[92:93], v[4:5] op_sel:[0,0,1] op_sel_hi:[1,1,0] neg_lo:[0,0,1] neg_hi:[0,0,1]
	v_pk_fma_f32 v[4:5], v[6:7], v[92:93], v[4:5] op_sel:[0,0,1] op_sel_hi:[1,0,0]
	s_waitcnt vmcnt(1)
	v_mov_b32_e32 v4, v105
	v_mov_b32_e32 v15, v5
	v_pk_mul_f32 v[4:5], v[8:9], v[4:5] op_sel_hi:[1,0]
	s_waitcnt vmcnt(0)
	v_pk_fma_f32 v[6:7], v[8:9], v[104:105], v[4:5] op_sel:[0,0,1] op_sel_hi:[1,1,0] neg_lo:[0,0,1] neg_hi:[0,0,1]
	v_pk_fma_f32 v[4:5], v[8:9], v[104:105], v[4:5] op_sel:[0,0,1] op_sel_hi:[1,0,0]
	v_pk_add_f32 v[2:3], v[2:3], v[16:17]
	v_mov_b32_e32 v4, v103
	v_pk_add_f32 v[2:3], v[2:3], v[14:15]
	v_mov_b32_e32 v7, v5
	s_waitcnt lgkmcnt(0)
	v_pk_mul_f32 v[4:5], v[10:11], v[4:5] op_sel_hi:[1,0]
	v_pk_add_f32 v[2:3], v[2:3], v[6:7]
	v_pk_fma_f32 v[6:7], v[10:11], v[102:103], v[4:5] op_sel:[0,0,1] op_sel_hi:[1,1,0] neg_lo:[0,0,1] neg_hi:[0,0,1]
	v_pk_fma_f32 v[4:5], v[10:11], v[102:103], v[4:5] op_sel:[0,0,1] op_sel_hi:[1,0,0]
	v_mov_b32_e32 v4, v101
	v_mov_b32_e32 v7, v5
	v_pk_mul_f32 v[4:5], v[12:13], v[4:5] op_sel_hi:[1,0]
	v_pk_add_f32 v[2:3], v[2:3], v[6:7]
	v_pk_fma_f32 v[6:7], v[12:13], v[100:101], v[4:5] op_sel:[0,0,1] op_sel_hi:[1,1,0] neg_lo:[0,0,1] neg_hi:[0,0,1]
	v_pk_fma_f32 v[4:5], v[12:13], v[100:101], v[4:5] op_sel:[0,0,1] op_sel_hi:[1,0,0]
	v_mov_b32_e32 v7, v5
	v_pk_add_f32 v[2:3], v[2:3], v[6:7]
	v_pk_add_f32 v[2:3], v[26:27], v[2:3] neg_lo:[0,1] neg_hi:[0,1]
	buffer_store_dword v3, off, s[0:3], 0 offset:76
	buffer_store_dword v2, off, s[0:3], 0 offset:72
	s_and_saveexec_b64 s[4:5], vcc
	s_cbranch_execz .LBB119_333
; %bb.332:
	buffer_load_dword v2, off, s[0:3], 0 offset:64
	buffer_load_dword v3, off, s[0:3], 0 offset:68
	v_mov_b32_e32 v1, 0
	buffer_store_dword v1, off, s[0:3], 0 offset:64
	buffer_store_dword v1, off, s[0:3], 0 offset:68
	s_waitcnt vmcnt(2)
	ds_write_b64 v161, v[2:3]
.LBB119_333:
	s_or_b64 exec, exec, s[4:5]
	s_waitcnt lgkmcnt(0)
	; wave barrier
	s_waitcnt lgkmcnt(0)
	buffer_load_dword v32, off, s[0:3], 0 offset:76
	buffer_load_dword v31, off, s[0:3], 0 offset:84
	buffer_load_dword v30, off, s[0:3], 0 offset:100
	buffer_load_dword v29, off, s[0:3], 0 offset:108
	buffer_load_dword v1, off, s[0:3], 0 offset:116
	buffer_load_dword v33, off, s[0:3], 0 offset:92
	buffer_load_dword v28, off, s[0:3], 0 offset:124
	buffer_load_dword v34, off, s[0:3], 0 offset:132
	buffer_load_dword v37, off, s[0:3], 0 offset:140
	buffer_load_dword v94, off, s[0:3], 0 offset:148
	buffer_load_dword v96, off, s[0:3], 0 offset:88
	buffer_load_dword v114, off, s[0:3], 0 offset:80
	buffer_load_dword v115, off, s[0:3], 0 offset:72
	buffer_load_dword v116, off, s[0:3], 0 offset:120
	buffer_load_dword v117, off, s[0:3], 0 offset:112
	buffer_load_dword v118, off, s[0:3], 0 offset:104
	buffer_load_dword v119, off, s[0:3], 0 offset:96
	buffer_load_dword v120, off, s[0:3], 0 offset:152
	buffer_load_dword v121, off, s[0:3], 0 offset:144
	buffer_load_dword v122, off, s[0:3], 0 offset:136
	buffer_load_dword v123, off, s[0:3], 0 offset:128
	buffer_load_dword v124, off, s[0:3], 0 offset:156
	buffer_load_dword v125, off, s[0:3], 0 offset:168
	buffer_load_dword v126, off, s[0:3], 0 offset:172
	buffer_load_dword v127, off, s[0:3], 0 offset:176
	buffer_load_dword v128, off, s[0:3], 0 offset:180
	buffer_load_dword v129, off, s[0:3], 0 offset:184
	buffer_load_dword v130, off, s[0:3], 0 offset:188
	buffer_load_dword v131, off, s[0:3], 0 offset:164
	buffer_load_dword v132, off, s[0:3], 0 offset:160
	buffer_load_dword v26, off, s[0:3], 0 offset:64
	buffer_load_dword v27, off, s[0:3], 0 offset:68
	buffer_load_dword v133, off, s[0:3], 0 offset:192
	buffer_load_dword v134, off, s[0:3], 0 offset:196
	buffer_load_dword v135, off, s[0:3], 0 offset:200
	buffer_load_dword v136, off, s[0:3], 0 offset:204
	buffer_load_dword v137, off, s[0:3], 0 offset:208
	buffer_load_dword v138, off, s[0:3], 0 offset:212
	buffer_load_dword v139, off, s[0:3], 0 offset:216
	buffer_load_dword v140, off, s[0:3], 0 offset:220
	buffer_load_dword v141, off, s[0:3], 0 offset:224
	buffer_load_dword v142, off, s[0:3], 0 offset:228
	buffer_load_dword v143, off, s[0:3], 0 offset:232
	buffer_load_dword v206, off, s[0:3], 0 offset:236
	buffer_load_dword v207, off, s[0:3], 0 offset:240
	buffer_load_dword v208, off, s[0:3], 0 offset:244
	buffer_load_dword v209, off, s[0:3], 0 offset:248
	buffer_load_dword v210, off, s[0:3], 0 offset:252
	v_mov_b32_e32 v36, 0
	ds_read2_b64 v[22:25], v36 offset0:65 offset1:66
	ds_read2_b64 v[18:21], v36 offset0:67 offset1:68
	;; [unrolled: 1-line block ×6, first 2 shown]
	buffer_load_dword v211, off, s[0:3], 0 offset:256
	buffer_load_dword v212, off, s[0:3], 0 offset:260
	;; [unrolled: 1-line block ×12, first 2 shown]
	v_cmp_lt_u32_e32 vcc, 7, v0
	s_waitcnt vmcnt(59) lgkmcnt(5)
	v_mul_f32_e32 v35, v22, v32
	s_waitcnt vmcnt(58)
	v_mul_f32_e32 v38, v24, v31
	s_waitcnt vmcnt(57) lgkmcnt(4)
	v_mul_f32_e32 v40, v20, v30
	s_waitcnt vmcnt(56) lgkmcnt(3)
	v_mul_f32_e32 v41, v14, v29
	s_waitcnt vmcnt(55)
	v_mul_f32_e32 v42, v16, v1
	s_waitcnt vmcnt(54)
	v_mul_f32_e32 v39, v18, v33
	s_waitcnt vmcnt(53) lgkmcnt(2)
	v_mul_f32_e32 v43, v10, v28
	s_waitcnt vmcnt(52)
	v_mul_f32_e32 v44, v12, v34
	s_waitcnt vmcnt(51) lgkmcnt(1)
	v_mul_f32_e32 v45, v6, v37
	s_waitcnt vmcnt(50)
	v_mul_f32_e32 v46, v8, v94
	s_waitcnt vmcnt(49)
	v_fmac_f32_e32 v39, v19, v96
	s_waitcnt vmcnt(48)
	v_fmac_f32_e32 v38, v25, v114
	;; [unrolled: 2-line block ×3, first 2 shown]
	v_add_f32_e32 v35, 0, v35
	v_add_f32_e32 v35, v35, v38
	;; [unrolled: 1-line block ×3, first 2 shown]
	s_waitcnt vmcnt(43)
	v_fmac_f32_e32 v40, v21, v119
	v_fmac_f32_e32 v41, v15, v118
	v_add_f32_e32 v35, v35, v40
	v_fmac_f32_e32 v42, v17, v117
	v_add_f32_e32 v35, v35, v41
	v_fmac_f32_e32 v43, v11, v116
	v_add_f32_e32 v35, v35, v42
	s_waitcnt vmcnt(39)
	v_fmac_f32_e32 v44, v13, v123
	v_add_f32_e32 v35, v35, v43
	v_fmac_f32_e32 v45, v7, v122
	v_add_f32_e32 v35, v35, v44
	;; [unrolled: 2-line block ×3, first 2 shown]
	s_waitcnt vmcnt(38) lgkmcnt(0)
	v_mul_f32_e32 v38, v2, v124
	v_add_f32_e32 v35, v35, v46
	v_fmac_f32_e32 v38, v3, v120
	v_add_f32_e32 v35, v35, v38
	ds_read2_b64 v[38:41], v36 offset0:77 offset1:78
	buffer_load_dword v223, off, s[0:3], 0 offset:304
	buffer_load_dword v224, off, s[0:3], 0 offset:308
	;; [unrolled: 1-line block ×4, first 2 shown]
	s_waitcnt vmcnt(35)
	v_mul_f32_e32 v42, v4, v131
	s_waitcnt vmcnt(34)
	v_fmac_f32_e32 v42, v5, v132
	v_add_f32_e32 v35, v35, v42
	ds_read2_b64 v[42:45], v36 offset0:79 offset1:80
	buffer_load_dword v227, off, s[0:3], 0 offset:320
	buffer_load_dword v228, off, s[0:3], 0 offset:324
	;; [unrolled: 1-line block ×10, first 2 shown]
	s_waitcnt lgkmcnt(1)
	v_mul_f32_e32 v46, v38, v126
	v_fmac_f32_e32 v46, v39, v125
	v_add_f32_e32 v35, v35, v46
	v_mul_f32_e32 v46, v40, v128
	v_fmac_f32_e32 v46, v41, v127
	v_add_f32_e32 v35, v35, v46
	s_waitcnt lgkmcnt(0)
	v_mul_f32_e32 v46, v42, v130
	v_fmac_f32_e32 v46, v43, v129
	v_add_f32_e32 v35, v35, v46
	buffer_load_dword v237, off, s[0:3], 0 offset:360
	buffer_load_dword v238, off, s[0:3], 0 offset:364
	;; [unrolled: 1-line block ×6, first 2 shown]
	ds_read2_b64 v[46:49], v36 offset0:81 offset1:82
	s_waitcnt vmcnt(46)
	v_mul_f32_e32 v50, v44, v134
	v_fmac_f32_e32 v50, v45, v133
	v_add_f32_e32 v35, v35, v50
	ds_read2_b64 v[50:53], v36 offset0:83 offset1:84
	s_waitcnt vmcnt(44) lgkmcnt(1)
	v_mul_f32_e32 v54, v46, v136
	v_fmac_f32_e32 v54, v47, v135
	v_add_f32_e32 v35, v35, v54
	s_waitcnt vmcnt(42)
	v_mul_f32_e32 v54, v48, v138
	v_fmac_f32_e32 v54, v49, v137
	v_add_f32_e32 v35, v35, v54
	s_waitcnt vmcnt(40) lgkmcnt(0)
	v_mul_f32_e32 v54, v50, v140
	v_fmac_f32_e32 v54, v51, v139
	v_add_f32_e32 v35, v35, v54
	ds_read2_b64 v[54:57], v36 offset0:85 offset1:86
	s_waitcnt vmcnt(38)
	v_mul_f32_e32 v58, v52, v142
	v_fmac_f32_e32 v58, v53, v141
	v_add_f32_e32 v35, v35, v58
	ds_read2_b64 v[58:61], v36 offset0:87 offset1:88
	s_waitcnt vmcnt(36) lgkmcnt(1)
	v_mul_f32_e32 v62, v54, v206
	v_fmac_f32_e32 v62, v55, v143
	v_add_f32_e32 v35, v35, v62
	s_waitcnt vmcnt(34)
	v_mul_f32_e32 v62, v56, v208
	v_fmac_f32_e32 v62, v57, v207
	v_add_f32_e32 v35, v35, v62
	s_waitcnt vmcnt(32) lgkmcnt(0)
	v_mul_f32_e32 v62, v58, v210
	v_fmac_f32_e32 v62, v59, v209
	v_add_f32_e32 v35, v35, v62
	;; [unrolled: 18-line block ×3, first 2 shown]
	ds_read2_b64 v[70:73], v36 offset0:93 offset1:94
	s_waitcnt vmcnt(22)
	v_mul_f32_e32 v74, v68, v220
	v_fmac_f32_e32 v74, v69, v219
	v_add_f32_e32 v35, v35, v74
	ds_read2_b64 v[74:77], v36 offset0:95 offset1:96
	s_waitcnt vmcnt(20) lgkmcnt(1)
	v_mul_f32_e32 v78, v70, v222
	v_fmac_f32_e32 v78, v71, v221
	v_add_f32_e32 v35, v35, v78
	v_mul_f32_e32 v23, v23, v32
	v_fma_f32 v22, v22, v115, -v23
	v_mul_f32_e32 v23, v25, v31
	v_add_f32_e32 v22, 0, v22
	v_fma_f32 v23, v24, v114, -v23
	v_mul_f32_e32 v19, v19, v33
	v_add_f32_e32 v22, v22, v23
	v_fma_f32 v18, v18, v96, -v19
	v_mul_f32_e32 v19, v21, v30
	s_waitcnt vmcnt(18)
	v_mul_f32_e32 v78, v72, v224
	v_fmac_f32_e32 v78, v73, v223
	v_add_f32_e32 v35, v35, v78
	s_waitcnt vmcnt(16) lgkmcnt(0)
	v_mul_f32_e32 v78, v74, v226
	v_fmac_f32_e32 v78, v75, v225
	v_add_f32_e32 v35, v35, v78
	ds_read2_b64 v[78:81], v36 offset0:97 offset1:98
	s_waitcnt vmcnt(14)
	v_mul_f32_e32 v82, v76, v228
	v_fmac_f32_e32 v82, v77, v227
	v_add_f32_e32 v35, v35, v82
	ds_read2_b64 v[82:85], v36 offset0:99 offset1:100
	s_waitcnt vmcnt(12) lgkmcnt(1)
	v_mul_f32_e32 v86, v78, v230
	v_fmac_f32_e32 v86, v79, v229
	v_add_f32_e32 v35, v35, v86
	s_waitcnt vmcnt(10)
	v_mul_f32_e32 v86, v80, v232
	v_fmac_f32_e32 v86, v81, v231
	v_add_f32_e32 v35, v35, v86
	s_waitcnt vmcnt(8) lgkmcnt(0)
	v_mul_f32_e32 v86, v82, v234
	v_fmac_f32_e32 v86, v83, v233
	s_waitcnt vmcnt(6)
	v_mul_f32_e32 v90, v84, v236
	v_add_f32_e32 v35, v35, v86
	v_fmac_f32_e32 v90, v85, v235
	ds_read2_b64 v[86:89], v36 offset0:101 offset1:102
	v_add_f32_e32 v35, v35, v90
	ds_read2_b64 v[90:93], v36 offset0:103 offset1:104
	buffer_load_dword v99, off, s[0:3], 0 offset:412
	buffer_load_dword v98, off, s[0:3], 0 offset:408
	;; [unrolled: 1-line block ×16, first 2 shown]
	v_add_f32_e32 v18, v22, v18
	v_fma_f32 v19, v20, v119, -v19
	v_mul_f32_e32 v15, v15, v29
	v_add_f32_e32 v18, v18, v19
	v_fma_f32 v14, v14, v118, -v15
	v_mul_f32_e32 v1, v17, v1
	;; [unrolled: 3-line block ×3, first 2 shown]
	v_add_f32_e32 v1, v14, v1
	v_fma_f32 v10, v10, v116, -v11
	v_add_f32_e32 v1, v1, v10
	v_mul_f32_e32 v10, v13, v34
	v_fma_f32 v10, v12, v123, -v10
	v_mul_f32_e32 v7, v7, v37
	v_add_f32_e32 v1, v1, v10
	v_fma_f32 v6, v6, v122, -v7
	v_add_f32_e32 v1, v1, v6
	v_mul_f32_e32 v6, v9, v94
	v_fma_f32 v6, v8, v121, -v6
	v_mul_f32_e32 v3, v3, v124
	v_add_f32_e32 v1, v1, v6
	v_fma_f32 v2, v2, v120, -v3
	v_add_f32_e32 v1, v1, v2
	v_mul_f32_e32 v2, v5, v131
	v_fma_f32 v2, v4, v132, -v2
	v_add_f32_e32 v1, v1, v2
	v_mul_f32_e32 v2, v39, v126
	;; [unrolled: 3-line block ×25, first 2 shown]
	v_fma_f32 v2, v84, v235, -v2
	s_waitcnt vmcnt(20) lgkmcnt(1)
	v_mul_f32_e32 v95, v86, v238
	v_add_f32_e32 v1, v1, v2
	v_mul_f32_e32 v2, v87, v238
	v_fmac_f32_e32 v95, v87, v237
	v_fma_f32 v2, v86, v237, -v2
	s_waitcnt vmcnt(9)
	v_mov_b32_e32 v18, v105
	v_add_f32_e32 v35, v35, v95
	v_mul_f32_e32 v95, v88, v240
	v_add_f32_e32 v34, v1, v2
	v_mul_f32_e32 v1, v89, v240
	s_waitcnt lgkmcnt(0)
	v_pk_mul_f32 v[18:19], v[92:93], v[18:19] op_sel_hi:[1,0]
	v_fmac_f32_e32 v95, v89, v239
	v_mul_f32_e32 v97, v90, v242
	v_fma_f32 v94, v88, v239, -v1
	v_mul_f32_e32 v1, v91, v242
	ds_read2_b64 v[2:5], v36 offset0:105 offset1:106
	ds_read2_b64 v[6:9], v36 offset0:107 offset1:108
	;; [unrolled: 1-line block ×3, first 2 shown]
	ds_read_b64 v[14:15], v36 offset:888
	s_waitcnt vmcnt(8)
	v_pk_fma_f32 v[20:21], v[92:93], v[104:105], v[18:19] op_sel:[0,0,1] op_sel_hi:[1,1,0] neg_lo:[0,0,1] neg_hi:[0,0,1]
	v_pk_fma_f32 v[18:19], v[92:93], v[104:105], v[18:19] op_sel:[0,0,1] op_sel_hi:[1,0,0]
	v_fmac_f32_e32 v97, v91, v241
	v_fma_f32 v96, v90, v241, -v1
	v_pk_add_f32 v[16:17], v[34:35], v[94:95]
	v_mov_b32_e32 v18, v103
	v_pk_add_f32 v[16:17], v[16:17], v[96:97]
	v_mov_b32_e32 v21, v19
	s_waitcnt lgkmcnt(3)
	v_pk_mul_f32 v[18:19], v[2:3], v[18:19] op_sel_hi:[1,0]
	v_pk_add_f32 v[16:17], v[16:17], v[20:21]
	v_pk_fma_f32 v[20:21], v[2:3], v[102:103], v[18:19] op_sel:[0,0,1] op_sel_hi:[1,1,0] neg_lo:[0,0,1] neg_hi:[0,0,1]
	v_pk_fma_f32 v[2:3], v[2:3], v[102:103], v[18:19] op_sel:[0,0,1] op_sel_hi:[1,0,0]
	v_mov_b32_e32 v21, v3
	v_pk_add_f32 v[2:3], v[16:17], v[20:21]
	v_mov_b32_e32 v16, v101
	v_pk_mul_f32 v[16:17], v[4:5], v[16:17] op_sel_hi:[1,0]
	v_pk_fma_f32 v[18:19], v[4:5], v[100:101], v[16:17] op_sel:[0,0,1] op_sel_hi:[1,1,0] neg_lo:[0,0,1] neg_hi:[0,0,1]
	v_pk_fma_f32 v[4:5], v[4:5], v[100:101], v[16:17] op_sel:[0,0,1] op_sel_hi:[1,0,0]
	v_mov_b32_e32 v4, v99
	v_mov_b32_e32 v19, v5
	s_waitcnt lgkmcnt(2)
	v_pk_mul_f32 v[4:5], v[6:7], v[4:5] op_sel_hi:[1,0]
	v_pk_fma_f32 v[16:17], v[6:7], v[98:99], v[4:5] op_sel:[0,0,1] op_sel_hi:[1,1,0] neg_lo:[0,0,1] neg_hi:[0,0,1]
	v_pk_fma_f32 v[4:5], v[6:7], v[98:99], v[4:5] op_sel:[0,0,1] op_sel_hi:[1,0,0]
	s_waitcnt vmcnt(1)
	v_mov_b32_e32 v4, v113
	v_mov_b32_e32 v17, v5
	v_pk_mul_f32 v[4:5], v[8:9], v[4:5] op_sel_hi:[1,0]
	s_waitcnt vmcnt(0)
	v_pk_fma_f32 v[6:7], v[8:9], v[112:113], v[4:5] op_sel:[0,0,1] op_sel_hi:[1,1,0] neg_lo:[0,0,1] neg_hi:[0,0,1]
	v_pk_fma_f32 v[4:5], v[8:9], v[112:113], v[4:5] op_sel:[0,0,1] op_sel_hi:[1,0,0]
	v_pk_add_f32 v[2:3], v[2:3], v[18:19]
	v_mov_b32_e32 v4, v111
	v_pk_add_f32 v[2:3], v[2:3], v[16:17]
	v_mov_b32_e32 v7, v5
	s_waitcnt lgkmcnt(1)
	v_pk_mul_f32 v[4:5], v[10:11], v[4:5] op_sel_hi:[1,0]
	v_pk_add_f32 v[2:3], v[2:3], v[6:7]
	v_pk_fma_f32 v[6:7], v[10:11], v[110:111], v[4:5] op_sel:[0,0,1] op_sel_hi:[1,1,0] neg_lo:[0,0,1] neg_hi:[0,0,1]
	v_pk_fma_f32 v[4:5], v[10:11], v[110:111], v[4:5] op_sel:[0,0,1] op_sel_hi:[1,0,0]
	v_mov_b32_e32 v4, v109
	v_mov_b32_e32 v7, v5
	v_pk_mul_f32 v[4:5], v[12:13], v[4:5] op_sel_hi:[1,0]
	v_pk_add_f32 v[2:3], v[2:3], v[6:7]
	v_pk_fma_f32 v[6:7], v[12:13], v[108:109], v[4:5] op_sel:[0,0,1] op_sel_hi:[1,1,0] neg_lo:[0,0,1] neg_hi:[0,0,1]
	v_pk_fma_f32 v[4:5], v[12:13], v[108:109], v[4:5] op_sel:[0,0,1] op_sel_hi:[1,0,0]
	v_mov_b32_e32 v4, v107
	v_mov_b32_e32 v7, v5
	s_waitcnt lgkmcnt(0)
	v_pk_mul_f32 v[4:5], v[14:15], v[4:5] op_sel_hi:[1,0]
	v_pk_add_f32 v[2:3], v[2:3], v[6:7]
	v_pk_fma_f32 v[6:7], v[14:15], v[106:107], v[4:5] op_sel:[0,0,1] op_sel_hi:[1,1,0] neg_lo:[0,0,1] neg_hi:[0,0,1]
	v_pk_fma_f32 v[4:5], v[14:15], v[106:107], v[4:5] op_sel:[0,0,1] op_sel_hi:[1,0,0]
	v_mov_b32_e32 v7, v5
	v_pk_add_f32 v[2:3], v[2:3], v[6:7]
	v_pk_add_f32 v[2:3], v[26:27], v[2:3] neg_lo:[0,1] neg_hi:[0,1]
	buffer_store_dword v3, off, s[0:3], 0 offset:68
	buffer_store_dword v2, off, s[0:3], 0 offset:64
	s_and_saveexec_b64 s[4:5], vcc
	s_cbranch_execz .LBB119_335
; %bb.334:
	buffer_load_dword v2, off, s[0:3], 0 offset:56
	buffer_load_dword v3, off, s[0:3], 0 offset:60
	s_waitcnt vmcnt(0)
	ds_write_b64 v161, v[2:3]
	buffer_store_dword v36, off, s[0:3], 0 offset:56
	buffer_store_dword v36, off, s[0:3], 0 offset:60
.LBB119_335:
	s_or_b64 exec, exec, s[4:5]
	s_waitcnt lgkmcnt(0)
	; wave barrier
	s_waitcnt lgkmcnt(0)
	buffer_load_dword v41, off, s[0:3], 0 offset:68
	buffer_load_dword v40, off, s[0:3], 0 offset:76
	;; [unrolled: 1-line block ×32, first 2 shown]
	ds_read_b128 v[22:25], v36 offset:512
	ds_read_b128 v[18:21], v36 offset:528
	;; [unrolled: 1-line block ×6, first 2 shown]
	buffer_load_dword v133, off, s[0:3], 0 offset:184
	buffer_load_dword v134, off, s[0:3], 0 offset:188
	;; [unrolled: 1-line block ×26, first 2 shown]
	v_cmp_lt_u32_e32 vcc, 6, v0
	s_waitcnt vmcnt(57) lgkmcnt(5)
	v_mul_f32_e32 v26, v22, v41
	s_waitcnt vmcnt(56)
	v_mul_f32_e32 v27, v24, v40
	s_waitcnt vmcnt(55) lgkmcnt(4)
	v_mul_f32_e32 v29, v20, v39
	s_waitcnt vmcnt(54) lgkmcnt(3)
	v_mul_f32_e32 v30, v14, v38
	s_waitcnt vmcnt(53)
	v_mul_f32_e32 v31, v16, v1
	s_waitcnt vmcnt(52)
	v_mul_f32_e32 v28, v18, v42
	s_waitcnt vmcnt(51) lgkmcnt(2)
	v_mul_f32_e32 v32, v10, v37
	s_waitcnt vmcnt(50)
	v_mul_f32_e32 v33, v12, v43
	s_waitcnt vmcnt(49) lgkmcnt(1)
	;; [unrolled: 4-line block ×3, first 2 shown]
	v_mul_f32_e32 v46, v2, v102
	s_waitcnt vmcnt(46)
	v_fmac_f32_e32 v28, v19, v114
	s_waitcnt vmcnt(45)
	v_fmac_f32_e32 v27, v25, v115
	;; [unrolled: 2-line block ×3, first 2 shown]
	v_add_f32_e32 v26, 0, v26
	v_add_f32_e32 v26, v26, v27
	;; [unrolled: 1-line block ×3, first 2 shown]
	s_waitcnt vmcnt(40)
	v_fmac_f32_e32 v29, v21, v120
	v_fmac_f32_e32 v30, v15, v119
	v_add_f32_e32 v26, v26, v29
	v_fmac_f32_e32 v31, v17, v118
	v_add_f32_e32 v26, v26, v30
	v_fmac_f32_e32 v32, v11, v117
	v_add_f32_e32 v26, v26, v31
	s_waitcnt vmcnt(36)
	v_fmac_f32_e32 v33, v13, v124
	v_add_f32_e32 v26, v26, v32
	v_fmac_f32_e32 v44, v7, v123
	v_add_f32_e32 v26, v26, v33
	;; [unrolled: 2-line block ×4, first 2 shown]
	s_waitcnt vmcnt(30)
	v_mul_f32_e32 v27, v4, v130
	v_add_f32_e32 v26, v26, v46
	s_waitcnt vmcnt(29)
	v_fmac_f32_e32 v27, v5, v131
	v_add_f32_e32 v44, v26, v27
	ds_read_b128 v[26:29], v36 offset:608
	buffer_load_dword v221, off, s[0:3], 0 offset:288
	buffer_load_dword v222, off, s[0:3], 0 offset:292
	ds_read_b128 v[30:33], v36 offset:624
	buffer_load_dword v223, off, s[0:3], 0 offset:296
	buffer_load_dword v224, off, s[0:3], 0 offset:300
	;; [unrolled: 1-line block ×14, first 2 shown]
	s_waitcnt vmcnt(44) lgkmcnt(1)
	v_mul_f32_e32 v45, v26, v132
	v_fmac_f32_e32 v45, v27, v129
	v_add_f32_e32 v44, v44, v45
	v_mul_f32_e32 v45, v28, v126
	v_fmac_f32_e32 v45, v29, v125
	v_add_f32_e32 v44, v44, v45
	s_waitcnt lgkmcnt(0)
	v_mul_f32_e32 v45, v30, v128
	v_fmac_f32_e32 v45, v31, v127
	v_add_f32_e32 v48, v44, v45
	buffer_load_dword v237, off, s[0:3], 0 offset:352
	buffer_load_dword v238, off, s[0:3], 0 offset:356
	ds_read_b128 v[44:47], v36 offset:640
	s_waitcnt vmcnt(42)
	v_mul_f32_e32 v49, v32, v134
	v_fmac_f32_e32 v49, v33, v133
	buffer_load_dword v239, off, s[0:3], 0 offset:360
	buffer_load_dword v240, off, s[0:3], 0 offset:364
	v_add_f32_e32 v52, v48, v49
	buffer_load_dword v241, off, s[0:3], 0 offset:368
	buffer_load_dword v242, off, s[0:3], 0 offset:372
	ds_read_b128 v[48:51], v36 offset:656
	s_waitcnt vmcnt(44) lgkmcnt(1)
	v_mul_f32_e32 v53, v44, v136
	v_fmac_f32_e32 v53, v45, v135
	v_add_f32_e32 v52, v52, v53
	s_waitcnt vmcnt(42)
	v_mul_f32_e32 v53, v46, v138
	v_fmac_f32_e32 v53, v47, v137
	v_add_f32_e32 v52, v52, v53
	s_waitcnt vmcnt(40) lgkmcnt(0)
	v_mul_f32_e32 v53, v48, v140
	v_fmac_f32_e32 v53, v49, v139
	buffer_load_dword v243, off, s[0:3], 0 offset:376
	buffer_load_dword v244, off, s[0:3], 0 offset:380
	v_add_f32_e32 v56, v52, v53
	ds_read_b128 v[52:55], v36 offset:672
	s_waitcnt vmcnt(40)
	v_mul_f32_e32 v57, v50, v142
	v_fmac_f32_e32 v57, v51, v141
	v_add_f32_e32 v60, v56, v57
	ds_read_b128 v[56:59], v36 offset:688
	s_waitcnt vmcnt(38) lgkmcnt(1)
	v_mul_f32_e32 v61, v52, v206
	v_fmac_f32_e32 v61, v53, v143
	v_add_f32_e32 v60, v60, v61
	s_waitcnt vmcnt(36)
	v_mul_f32_e32 v61, v54, v208
	v_fmac_f32_e32 v61, v55, v207
	v_add_f32_e32 v60, v60, v61
	s_waitcnt vmcnt(34) lgkmcnt(0)
	v_mul_f32_e32 v61, v56, v210
	v_fmac_f32_e32 v61, v57, v209
	v_add_f32_e32 v64, v60, v61
	ds_read_b128 v[60:63], v36 offset:704
	s_waitcnt vmcnt(32)
	v_mul_f32_e32 v65, v58, v212
	v_fmac_f32_e32 v65, v59, v211
	v_add_f32_e32 v68, v64, v65
	ds_read_b128 v[64:67], v36 offset:720
	s_waitcnt vmcnt(30) lgkmcnt(1)
	v_mul_f32_e32 v69, v60, v214
	v_fmac_f32_e32 v69, v61, v213
	v_add_f32_e32 v68, v68, v69
	s_waitcnt vmcnt(28)
	v_mul_f32_e32 v69, v62, v216
	v_fmac_f32_e32 v69, v63, v215
	v_add_f32_e32 v68, v68, v69
	s_waitcnt vmcnt(26) lgkmcnt(0)
	v_mul_f32_e32 v69, v64, v218
	v_fmac_f32_e32 v69, v65, v217
	v_add_f32_e32 v72, v68, v69
	ds_read_b128 v[68:71], v36 offset:736
	s_waitcnt vmcnt(24)
	v_mul_f32_e32 v73, v66, v220
	v_fmac_f32_e32 v73, v67, v219
	v_add_f32_e32 v76, v72, v73
	ds_read_b128 v[72:75], v36 offset:752
	v_mul_f32_e32 v23, v23, v41
	v_fma_f32 v22, v22, v116, -v23
	v_mul_f32_e32 v23, v25, v40
	v_add_f32_e32 v22, 0, v22
	v_fma_f32 v23, v24, v115, -v23
	v_mul_f32_e32 v19, v19, v42
	v_add_f32_e32 v22, v22, v23
	;; [unrolled: 3-line block ×3, first 2 shown]
	v_fma_f32 v19, v20, v120, -v19
	s_waitcnt vmcnt(22) lgkmcnt(1)
	v_mul_f32_e32 v77, v68, v222
	v_fmac_f32_e32 v77, v69, v221
	v_add_f32_e32 v76, v76, v77
	s_waitcnt vmcnt(20)
	v_mul_f32_e32 v77, v70, v224
	v_fmac_f32_e32 v77, v71, v223
	v_add_f32_e32 v76, v76, v77
	s_waitcnt vmcnt(18) lgkmcnt(0)
	v_mul_f32_e32 v77, v72, v226
	v_fmac_f32_e32 v77, v73, v225
	v_add_f32_e32 v80, v76, v77
	ds_read_b128 v[76:79], v36 offset:768
	s_waitcnt vmcnt(16)
	v_mul_f32_e32 v81, v74, v228
	v_fmac_f32_e32 v81, v75, v227
	v_add_f32_e32 v84, v80, v81
	ds_read_b128 v[80:83], v36 offset:784
	s_waitcnt vmcnt(14) lgkmcnt(1)
	v_mul_f32_e32 v85, v76, v230
	v_fmac_f32_e32 v85, v77, v229
	v_add_f32_e32 v84, v84, v85
	s_waitcnt vmcnt(12)
	v_mul_f32_e32 v85, v78, v232
	v_fmac_f32_e32 v85, v79, v231
	v_add_f32_e32 v84, v84, v85
	s_waitcnt vmcnt(10) lgkmcnt(0)
	v_mul_f32_e32 v85, v80, v234
	v_fmac_f32_e32 v85, v81, v233
	s_waitcnt vmcnt(8)
	v_mul_f32_e32 v89, v82, v236
	v_add_f32_e32 v88, v84, v85
	v_fmac_f32_e32 v89, v83, v235
	ds_read_b128 v[84:87], v36 offset:800
	v_add_f32_e32 v93, v88, v89
	ds_read_b128 v[88:91], v36 offset:816
	buffer_load_dword v97, off, s[0:3], 0 offset:404
	buffer_load_dword v96, off, s[0:3], 0 offset:400
	;; [unrolled: 1-line block ×16, first 2 shown]
	v_mul_f32_e32 v15, v15, v38
	v_add_f32_e32 v18, v18, v19
	v_fma_f32 v14, v14, v119, -v15
	v_mul_f32_e32 v1, v17, v1
	v_add_f32_e32 v14, v18, v14
	v_fma_f32 v1, v16, v118, -v1
	;; [unrolled: 3-line block ×3, first 2 shown]
	v_add_f32_e32 v1, v1, v10
	v_mul_f32_e32 v10, v13, v43
	v_fma_f32 v10, v12, v124, -v10
	v_mul_f32_e32 v7, v7, v92
	v_add_f32_e32 v1, v1, v10
	v_fma_f32 v6, v6, v123, -v7
	v_add_f32_e32 v1, v1, v6
	v_mul_f32_e32 v6, v9, v94
	v_fma_f32 v6, v8, v122, -v6
	v_mul_f32_e32 v3, v3, v102
	v_add_f32_e32 v1, v1, v6
	v_fma_f32 v2, v2, v121, -v3
	v_add_f32_e32 v1, v1, v2
	v_mul_f32_e32 v2, v5, v130
	v_fma_f32 v2, v4, v131, -v2
	v_add_f32_e32 v1, v1, v2
	v_mul_f32_e32 v2, v27, v132
	v_fma_f32 v2, v26, v129, -v2
	v_add_f32_e32 v1, v1, v2
	v_mul_f32_e32 v2, v29, v126
	v_fma_f32 v2, v28, v125, -v2
	v_add_f32_e32 v1, v1, v2
	v_mul_f32_e32 v2, v31, v128
	v_fma_f32 v2, v30, v127, -v2
	v_add_f32_e32 v1, v1, v2
	v_mul_f32_e32 v2, v33, v134
	v_fma_f32 v2, v32, v133, -v2
	v_add_f32_e32 v1, v1, v2
	v_mul_f32_e32 v2, v45, v136
	v_fma_f32 v2, v44, v135, -v2
	v_add_f32_e32 v1, v1, v2
	v_mul_f32_e32 v2, v47, v138
	v_fma_f32 v2, v46, v137, -v2
	v_add_f32_e32 v1, v1, v2
	v_mul_f32_e32 v2, v49, v140
	v_fma_f32 v2, v48, v139, -v2
	v_add_f32_e32 v1, v1, v2
	v_mul_f32_e32 v2, v51, v142
	v_fma_f32 v2, v50, v141, -v2
	v_add_f32_e32 v1, v1, v2
	v_mul_f32_e32 v2, v53, v206
	v_fma_f32 v2, v52, v143, -v2
	v_add_f32_e32 v1, v1, v2
	v_mul_f32_e32 v2, v55, v208
	v_fma_f32 v2, v54, v207, -v2
	v_add_f32_e32 v1, v1, v2
	v_mul_f32_e32 v2, v57, v210
	v_fma_f32 v2, v56, v209, -v2
	v_add_f32_e32 v1, v1, v2
	v_mul_f32_e32 v2, v59, v212
	v_fma_f32 v2, v58, v211, -v2
	v_add_f32_e32 v1, v1, v2
	v_mul_f32_e32 v2, v61, v214
	v_fma_f32 v2, v60, v213, -v2
	v_add_f32_e32 v1, v1, v2
	v_mul_f32_e32 v2, v63, v216
	v_fma_f32 v2, v62, v215, -v2
	v_add_f32_e32 v1, v1, v2
	v_mul_f32_e32 v2, v65, v218
	v_fma_f32 v2, v64, v217, -v2
	v_add_f32_e32 v1, v1, v2
	v_mul_f32_e32 v2, v67, v220
	v_fma_f32 v2, v66, v219, -v2
	v_add_f32_e32 v1, v1, v2
	v_mul_f32_e32 v2, v69, v222
	v_fma_f32 v2, v68, v221, -v2
	v_add_f32_e32 v1, v1, v2
	v_mul_f32_e32 v2, v71, v224
	v_fma_f32 v2, v70, v223, -v2
	v_add_f32_e32 v1, v1, v2
	v_mul_f32_e32 v2, v73, v226
	v_fma_f32 v2, v72, v225, -v2
	v_add_f32_e32 v1, v1, v2
	v_mul_f32_e32 v2, v75, v228
	v_fma_f32 v2, v74, v227, -v2
	v_add_f32_e32 v1, v1, v2
	v_mul_f32_e32 v2, v77, v230
	v_fma_f32 v2, v76, v229, -v2
	v_add_f32_e32 v1, v1, v2
	v_mul_f32_e32 v2, v79, v232
	v_fma_f32 v2, v78, v231, -v2
	v_add_f32_e32 v1, v1, v2
	v_mul_f32_e32 v2, v81, v234
	v_fma_f32 v2, v80, v233, -v2
	v_add_f32_e32 v1, v1, v2
	v_mul_f32_e32 v2, v83, v236
	v_fma_f32 v2, v82, v235, -v2
	v_add_f32_e32 v1, v1, v2
	s_waitcnt vmcnt(22) lgkmcnt(1)
	v_mul_f32_e32 v2, v85, v238
	v_mul_f32_e32 v95, v84, v238
	v_fma_f32 v2, v84, v237, -v2
	v_fmac_f32_e32 v95, v85, v237
	v_add_f32_e32 v1, v1, v2
	s_waitcnt vmcnt(20)
	v_mul_f32_e32 v2, v87, v240
	v_add_f32_e32 v93, v93, v95
	v_mul_f32_e32 v95, v86, v240
	v_fma_f32 v2, v86, v239, -v2
	v_fmac_f32_e32 v95, v87, v239
	v_add_f32_e32 v92, v1, v2
	ds_read_b128 v[2:5], v36 offset:832
	ds_read_b128 v[6:9], v36 offset:848
	;; [unrolled: 1-line block ×4, first 2 shown]
	v_add_f32_e32 v93, v93, v95
	s_waitcnt vmcnt(18) lgkmcnt(4)
	v_mul_f32_e32 v95, v88, v242
	v_mul_f32_e32 v1, v89, v242
	s_waitcnt vmcnt(11)
	v_mov_b32_e32 v20, v101
	v_fmac_f32_e32 v95, v89, v241
	v_mul_f32_e32 v103, v90, v244
	v_fma_f32 v94, v88, v241, -v1
	v_mul_f32_e32 v1, v91, v244
	s_waitcnt lgkmcnt(3)
	v_pk_mul_f32 v[20:21], v[2:3], v[20:21] op_sel_hi:[1,0]
	v_fmac_f32_e32 v103, v91, v243
	v_fma_f32 v102, v90, v243, -v1
	v_pk_add_f32 v[18:19], v[92:93], v[94:95]
	s_waitcnt vmcnt(10)
	v_pk_fma_f32 v[22:23], v[2:3], v[100:101], v[20:21] op_sel:[0,0,1] op_sel_hi:[1,1,0] neg_lo:[0,0,1] neg_hi:[0,0,1]
	v_pk_fma_f32 v[2:3], v[2:3], v[100:101], v[20:21] op_sel:[0,0,1] op_sel_hi:[1,0,0]
	v_pk_add_f32 v[18:19], v[18:19], v[102:103]
	v_mov_b32_e32 v23, v3
	v_pk_add_f32 v[2:3], v[18:19], v[22:23]
	v_mov_b32_e32 v18, v99
	v_pk_mul_f32 v[18:19], v[4:5], v[18:19] op_sel_hi:[1,0]
	v_pk_fma_f32 v[20:21], v[4:5], v[98:99], v[18:19] op_sel:[0,0,1] op_sel_hi:[1,1,0] neg_lo:[0,0,1] neg_hi:[0,0,1]
	v_pk_fma_f32 v[4:5], v[4:5], v[98:99], v[18:19] op_sel:[0,0,1] op_sel_hi:[1,0,0]
	v_mov_b32_e32 v4, v97
	v_mov_b32_e32 v21, v5
	s_waitcnt lgkmcnt(2)
	v_pk_mul_f32 v[4:5], v[6:7], v[4:5] op_sel_hi:[1,0]
	v_pk_fma_f32 v[18:19], v[6:7], v[96:97], v[4:5] op_sel:[0,0,1] op_sel_hi:[1,1,0] neg_lo:[0,0,1] neg_hi:[0,0,1]
	v_pk_fma_f32 v[4:5], v[6:7], v[96:97], v[4:5] op_sel:[0,0,1] op_sel_hi:[1,0,0]
	s_waitcnt vmcnt(3)
	v_mov_b32_e32 v4, v111
	v_mov_b32_e32 v19, v5
	v_pk_mul_f32 v[4:5], v[8:9], v[4:5] op_sel_hi:[1,0]
	s_waitcnt vmcnt(2)
	v_pk_fma_f32 v[6:7], v[8:9], v[110:111], v[4:5] op_sel:[0,0,1] op_sel_hi:[1,1,0] neg_lo:[0,0,1] neg_hi:[0,0,1]
	v_pk_fma_f32 v[4:5], v[8:9], v[110:111], v[4:5] op_sel:[0,0,1] op_sel_hi:[1,0,0]
	v_pk_add_f32 v[2:3], v[2:3], v[20:21]
	v_mov_b32_e32 v4, v109
	v_pk_add_f32 v[2:3], v[2:3], v[18:19]
	v_mov_b32_e32 v7, v5
	s_waitcnt lgkmcnt(1)
	v_pk_mul_f32 v[4:5], v[10:11], v[4:5] op_sel_hi:[1,0]
	v_pk_add_f32 v[2:3], v[2:3], v[6:7]
	v_pk_fma_f32 v[6:7], v[10:11], v[108:109], v[4:5] op_sel:[0,0,1] op_sel_hi:[1,1,0] neg_lo:[0,0,1] neg_hi:[0,0,1]
	v_pk_fma_f32 v[4:5], v[10:11], v[108:109], v[4:5] op_sel:[0,0,1] op_sel_hi:[1,0,0]
	v_mov_b32_e32 v4, v107
	v_mov_b32_e32 v7, v5
	v_pk_mul_f32 v[4:5], v[12:13], v[4:5] op_sel_hi:[1,0]
	v_pk_add_f32 v[2:3], v[2:3], v[6:7]
	v_pk_fma_f32 v[6:7], v[12:13], v[106:107], v[4:5] op_sel:[0,0,1] op_sel_hi:[1,1,0] neg_lo:[0,0,1] neg_hi:[0,0,1]
	v_pk_fma_f32 v[4:5], v[12:13], v[106:107], v[4:5] op_sel:[0,0,1] op_sel_hi:[1,0,0]
	v_mov_b32_e32 v4, v105
	v_mov_b32_e32 v7, v5
	s_waitcnt lgkmcnt(0)
	v_pk_mul_f32 v[4:5], v[14:15], v[4:5] op_sel_hi:[1,0]
	v_pk_add_f32 v[2:3], v[2:3], v[6:7]
	v_pk_fma_f32 v[6:7], v[14:15], v[104:105], v[4:5] op_sel:[0,0,1] op_sel_hi:[1,1,0] neg_lo:[0,0,1] neg_hi:[0,0,1]
	v_pk_fma_f32 v[4:5], v[14:15], v[104:105], v[4:5] op_sel:[0,0,1] op_sel_hi:[1,0,0]
	s_waitcnt vmcnt(1)
	v_mov_b32_e32 v4, v113
	v_mov_b32_e32 v7, v5
	v_pk_mul_f32 v[4:5], v[16:17], v[4:5] op_sel_hi:[1,0]
	v_pk_add_f32 v[2:3], v[2:3], v[6:7]
	s_waitcnt vmcnt(0)
	v_pk_fma_f32 v[6:7], v[16:17], v[112:113], v[4:5] op_sel:[0,0,1] op_sel_hi:[1,1,0] neg_lo:[0,0,1] neg_hi:[0,0,1]
	v_pk_fma_f32 v[4:5], v[16:17], v[112:113], v[4:5] op_sel:[0,0,1] op_sel_hi:[1,0,0]
	v_mov_b32_e32 v7, v5
	v_pk_add_f32 v[2:3], v[2:3], v[6:7]
	v_pk_add_f32 v[2:3], v[34:35], v[2:3] neg_lo:[0,1] neg_hi:[0,1]
	buffer_store_dword v3, off, s[0:3], 0 offset:60
	buffer_store_dword v2, off, s[0:3], 0 offset:56
	s_and_saveexec_b64 s[4:5], vcc
	s_cbranch_execz .LBB119_337
; %bb.336:
	buffer_load_dword v2, off, s[0:3], 0 offset:48
	buffer_load_dword v3, off, s[0:3], 0 offset:52
	v_mov_b32_e32 v1, 0
	buffer_store_dword v1, off, s[0:3], 0 offset:48
	buffer_store_dword v1, off, s[0:3], 0 offset:52
	s_waitcnt vmcnt(2)
	ds_write_b64 v161, v[2:3]
.LBB119_337:
	s_or_b64 exec, exec, s[4:5]
	v_mov_b32_e32 v222, 0
	s_waitcnt lgkmcnt(0)
	; wave barrier
	s_waitcnt lgkmcnt(0)
	ds_read2_b64 v[2:5], v222 offset0:63 offset1:64
	buffer_load_dword v86, off, s[0:3], 0 offset:48
	buffer_load_dword v87, off, s[0:3], 0 offset:52
	;; [unrolled: 1-line block ×16, first 2 shown]
	v_cmp_lt_u32_e32 vcc, 5, v0
	s_waitcnt vmcnt(12) lgkmcnt(0)
	v_mul_f32_e32 v1, v2, v223
	v_fmac_f32_e32 v1, v3, v88
	s_waitcnt vmcnt(10)
	v_mul_f32_e32 v6, v4, v225
	v_add_f32_e32 v1, 0, v1
	v_fmac_f32_e32 v6, v5, v90
	v_add_f32_e32 v1, v1, v6
	ds_read2_b64 v[6:9], v222 offset0:65 offset1:66
	v_mul_f32_e32 v3, v3, v223
	v_fma_f32 v2, v2, v88, -v3
	v_mul_f32_e32 v3, v5, v225
	v_add_f32_e32 v2, 0, v2
	s_waitcnt vmcnt(8) lgkmcnt(0)
	v_mul_f32_e32 v10, v6, v227
	v_fmac_f32_e32 v10, v7, v206
	v_add_f32_e32 v1, v1, v10
	s_waitcnt vmcnt(6)
	v_mul_f32_e32 v10, v8, v229
	v_fmac_f32_e32 v10, v9, v224
	v_add_f32_e32 v1, v1, v10
	ds_read2_b64 v[10:13], v222 offset0:67 offset1:68
	v_fma_f32 v3, v4, v90, -v3
	v_add_f32_e32 v2, v2, v3
	v_mul_f32_e32 v3, v7, v227
	v_fma_f32 v3, v6, v206, -v3
	s_waitcnt vmcnt(4) lgkmcnt(0)
	v_mul_f32_e32 v14, v10, v231
	v_fmac_f32_e32 v14, v11, v226
	v_add_f32_e32 v1, v1, v14
	s_waitcnt vmcnt(2)
	v_mul_f32_e32 v14, v12, v232
	v_fmac_f32_e32 v14, v13, v228
	v_add_f32_e32 v1, v1, v14
	ds_read2_b64 v[14:17], v222 offset0:69 offset1:70
	buffer_load_dword v234, off, s[0:3], 0 offset:112
	buffer_load_dword v235, off, s[0:3], 0 offset:116
	v_add_f32_e32 v2, v2, v3
	v_mul_f32_e32 v3, v9, v229
	v_fma_f32 v3, v8, v224, -v3
	s_waitcnt vmcnt(2) lgkmcnt(0)
	v_mul_f32_e32 v18, v14, v233
	v_fmac_f32_e32 v18, v15, v230
	v_add_f32_e32 v1, v1, v18
	v_add_f32_e32 v2, v2, v3
	v_mul_f32_e32 v3, v11, v231
	v_fma_f32 v3, v10, v226, -v3
	v_add_f32_e32 v2, v2, v3
	v_mul_f32_e32 v3, v13, v232
	v_fma_f32 v3, v12, v228, -v3
	v_add_f32_e32 v2, v2, v3
	v_mul_f32_e32 v3, v15, v233
	v_fma_f32 v3, v14, v230, -v3
	v_add_f32_e32 v2, v2, v3
	s_waitcnt vmcnt(0)
	v_mul_f32_e32 v18, v16, v235
	v_fmac_f32_e32 v18, v17, v234
	v_add_f32_e32 v22, v1, v18
	ds_read2_b64 v[18:21], v222 offset0:71 offset1:72
	buffer_load_dword v236, off, s[0:3], 0 offset:120
	buffer_load_dword v1, off, s[0:3], 0 offset:124
	;; [unrolled: 1-line block ×4, first 2 shown]
	v_mul_f32_e32 v3, v17, v235
	v_fma_f32 v3, v16, v234, -v3
	v_add_f32_e32 v2, v2, v3
	s_waitcnt vmcnt(2) lgkmcnt(0)
	v_mul_f32_e32 v23, v18, v1
	v_fmac_f32_e32 v23, v19, v236
	v_add_f32_e32 v22, v22, v23
	s_waitcnt vmcnt(0)
	v_mul_f32_e32 v23, v20, v94
	v_fmac_f32_e32 v23, v21, v237
	v_add_f32_e32 v26, v22, v23
	ds_read2_b64 v[22:25], v222 offset0:73 offset1:74
	buffer_load_dword v95, off, s[0:3], 0 offset:136
	buffer_load_dword v238, off, s[0:3], 0 offset:140
	;; [unrolled: 1-line block ×4, first 2 shown]
	v_mul_f32_e32 v1, v19, v1
	v_fma_f32 v1, v18, v236, -v1
	v_add_f32_e32 v1, v2, v1
	v_mul_f32_e32 v2, v21, v94
	v_fma_f32 v2, v20, v237, -v2
	v_add_f32_e32 v1, v1, v2
	s_waitcnt vmcnt(2) lgkmcnt(0)
	v_mul_f32_e32 v27, v22, v238
	v_fmac_f32_e32 v27, v23, v95
	v_add_f32_e32 v26, v26, v27
	s_waitcnt vmcnt(0)
	v_mul_f32_e32 v27, v24, v96
	v_fmac_f32_e32 v27, v25, v239
	v_add_f32_e32 v30, v26, v27
	ds_read2_b64 v[26:29], v222 offset0:75 offset1:76
	buffer_load_dword v97, off, s[0:3], 0 offset:152
	buffer_load_dword v98, off, s[0:3], 0 offset:156
	;; [unrolled: 1-line block ×4, first 2 shown]
	v_mul_f32_e32 v2, v23, v238
	v_fma_f32 v2, v22, v95, -v2
	v_add_f32_e32 v1, v1, v2
	v_mul_f32_e32 v2, v25, v96
	v_fma_f32 v2, v24, v239, -v2
	v_add_f32_e32 v1, v1, v2
	s_waitcnt vmcnt(2) lgkmcnt(0)
	v_mul_f32_e32 v31, v26, v98
	v_fmac_f32_e32 v31, v27, v97
	v_add_f32_e32 v30, v30, v31
	s_waitcnt vmcnt(0)
	v_mul_f32_e32 v31, v28, v100
	v_fmac_f32_e32 v31, v29, v99
	v_add_f32_e32 v34, v30, v31
	ds_read2_b64 v[30:33], v222 offset0:77 offset1:78
	buffer_load_dword v101, off, s[0:3], 0 offset:168
	buffer_load_dword v102, off, s[0:3], 0 offset:172
	buffer_load_dword v103, off, s[0:3], 0 offset:176
	buffer_load_dword v104, off, s[0:3], 0 offset:180
	ds_read2_b64 v[38:41], v222 offset0:79 offset1:80
	buffer_load_dword v105, off, s[0:3], 0 offset:184
	buffer_load_dword v106, off, s[0:3], 0 offset:188
	buffer_load_dword v107, off, s[0:3], 0 offset:192
	buffer_load_dword v108, off, s[0:3], 0 offset:196
	;; [unrolled: 5-line block ×13, first 2 shown]
	v_mul_f32_e32 v2, v27, v98
	v_fma_f32 v2, v26, v97, -v2
	v_add_f32_e32 v1, v1, v2
	v_mul_f32_e32 v2, v29, v100
	v_fma_f32 v2, v28, v99, -v2
	v_add_f32_e32 v1, v1, v2
	s_waitcnt vmcnt(50) lgkmcnt(12)
	v_mul_f32_e32 v35, v30, v102
	v_fmac_f32_e32 v35, v31, v101
	v_add_f32_e32 v34, v34, v35
	s_waitcnt vmcnt(48)
	v_mul_f32_e32 v35, v32, v104
	v_fmac_f32_e32 v35, v33, v103
	v_add_f32_e32 v34, v34, v35
	s_waitcnt vmcnt(46) lgkmcnt(11)
	v_mul_f32_e32 v35, v38, v106
	v_fmac_f32_e32 v35, v39, v105
	v_add_f32_e32 v34, v34, v35
	s_waitcnt vmcnt(44)
	v_mul_f32_e32 v35, v40, v108
	v_fmac_f32_e32 v35, v41, v107
	;; [unrolled: 8-line block ×12, first 2 shown]
	v_add_f32_e32 v34, v34, v35
	s_waitcnt vmcnt(2) lgkmcnt(0)
	v_mul_f32_e32 v35, v82, v143
	v_fmac_f32_e32 v35, v83, v142
	v_add_f32_e32 v89, v34, v35
	ds_read2_b64 v[34:37], v222 offset0:103 offset1:104
	buffer_load_dword v249, off, s[0:3], 0 offset:376
	buffer_load_dword v250, off, s[0:3], 0 offset:380
	;; [unrolled: 1-line block ×18, first 2 shown]
	v_mul_f32_e32 v2, v31, v102
	v_fma_f32 v2, v30, v101, -v2
	v_add_f32_e32 v1, v1, v2
	v_mul_f32_e32 v2, v33, v104
	v_fma_f32 v2, v32, v103, -v2
	v_add_f32_e32 v1, v1, v2
	;; [unrolled: 3-line block ×24, first 2 shown]
	v_mul_f32_e32 v2, v83, v143
	v_fma_f32 v2, v82, v142, -v2
	s_waitcnt vmcnt(15)
	v_mov_b32_e32 v18, v93
	v_mul_f32_e32 v91, v84, v248
	v_add_f32_e32 v88, v1, v2
	v_mul_f32_e32 v1, v85, v248
	s_waitcnt lgkmcnt(0)
	v_pk_mul_f32 v[18:19], v[36:37], v[18:19] op_sel_hi:[1,0]
	v_fmac_f32_e32 v91, v85, v247
	v_mul_f32_e32 v207, v34, v250
	v_fma_f32 v90, v84, v247, -v1
	v_mul_f32_e32 v1, v35, v250
	ds_read2_b64 v[2:5], v222 offset0:105 offset1:106
	ds_read2_b64 v[6:9], v222 offset0:107 offset1:108
	;; [unrolled: 1-line block ×3, first 2 shown]
	ds_read_b64 v[14:15], v222 offset:888
	s_waitcnt vmcnt(14)
	v_pk_fma_f32 v[20:21], v[36:37], v[92:93], v[18:19] op_sel:[0,0,1] op_sel_hi:[1,1,0] neg_lo:[0,0,1] neg_hi:[0,0,1]
	v_pk_fma_f32 v[18:19], v[36:37], v[92:93], v[18:19] op_sel:[0,0,1] op_sel_hi:[1,0,0]
	v_fmac_f32_e32 v207, v35, v249
	v_fma_f32 v206, v34, v249, -v1
	v_pk_add_f32 v[16:17], v[88:89], v[90:91]
	s_waitcnt vmcnt(13)
	v_mov_b32_e32 v18, v221
	v_pk_add_f32 v[16:17], v[16:17], v[206:207]
	v_mov_b32_e32 v21, v19
	s_waitcnt lgkmcnt(3)
	v_pk_mul_f32 v[18:19], v[2:3], v[18:19] op_sel_hi:[1,0]
	v_pk_add_f32 v[16:17], v[16:17], v[20:21]
	s_waitcnt vmcnt(12)
	v_pk_fma_f32 v[20:21], v[2:3], v[220:221], v[18:19] op_sel:[0,0,1] op_sel_hi:[1,1,0] neg_lo:[0,0,1] neg_hi:[0,0,1]
	v_pk_fma_f32 v[2:3], v[2:3], v[220:221], v[18:19] op_sel:[0,0,1] op_sel_hi:[1,0,0]
	v_mov_b32_e32 v21, v3
	v_pk_add_f32 v[2:3], v[16:17], v[20:21]
	s_waitcnt vmcnt(11)
	v_mov_b32_e32 v16, v219
	v_pk_mul_f32 v[16:17], v[4:5], v[16:17] op_sel_hi:[1,0]
	s_waitcnt vmcnt(10)
	v_pk_fma_f32 v[18:19], v[4:5], v[218:219], v[16:17] op_sel:[0,0,1] op_sel_hi:[1,1,0] neg_lo:[0,0,1] neg_hi:[0,0,1]
	v_pk_fma_f32 v[4:5], v[4:5], v[218:219], v[16:17] op_sel:[0,0,1] op_sel_hi:[1,0,0]
	s_waitcnt vmcnt(9)
	v_mov_b32_e32 v4, v217
	v_mov_b32_e32 v19, v5
	s_waitcnt lgkmcnt(2)
	v_pk_mul_f32 v[4:5], v[6:7], v[4:5] op_sel_hi:[1,0]
	s_waitcnt vmcnt(8)
	v_pk_fma_f32 v[16:17], v[6:7], v[216:217], v[4:5] op_sel:[0,0,1] op_sel_hi:[1,1,0] neg_lo:[0,0,1] neg_hi:[0,0,1]
	v_pk_fma_f32 v[4:5], v[6:7], v[216:217], v[4:5] op_sel:[0,0,1] op_sel_hi:[1,0,0]
	s_waitcnt vmcnt(7)
	v_mov_b32_e32 v4, v215
	v_mov_b32_e32 v17, v5
	v_pk_mul_f32 v[4:5], v[8:9], v[4:5] op_sel_hi:[1,0]
	s_waitcnt vmcnt(6)
	v_pk_fma_f32 v[6:7], v[8:9], v[214:215], v[4:5] op_sel:[0,0,1] op_sel_hi:[1,1,0] neg_lo:[0,0,1] neg_hi:[0,0,1]
	v_pk_fma_f32 v[4:5], v[8:9], v[214:215], v[4:5] op_sel:[0,0,1] op_sel_hi:[1,0,0]
	v_pk_add_f32 v[2:3], v[2:3], v[18:19]
	s_waitcnt vmcnt(5)
	v_mov_b32_e32 v4, v213
	v_pk_add_f32 v[2:3], v[2:3], v[16:17]
	v_mov_b32_e32 v7, v5
	s_waitcnt lgkmcnt(1)
	v_pk_mul_f32 v[4:5], v[10:11], v[4:5] op_sel_hi:[1,0]
	v_pk_add_f32 v[2:3], v[2:3], v[6:7]
	s_waitcnt vmcnt(4)
	v_pk_fma_f32 v[6:7], v[10:11], v[212:213], v[4:5] op_sel:[0,0,1] op_sel_hi:[1,1,0] neg_lo:[0,0,1] neg_hi:[0,0,1]
	v_pk_fma_f32 v[4:5], v[10:11], v[212:213], v[4:5] op_sel:[0,0,1] op_sel_hi:[1,0,0]
	s_waitcnt vmcnt(3)
	v_mov_b32_e32 v4, v211
	v_mov_b32_e32 v7, v5
	v_pk_mul_f32 v[4:5], v[12:13], v[4:5] op_sel_hi:[1,0]
	v_pk_add_f32 v[2:3], v[2:3], v[6:7]
	s_waitcnt vmcnt(2)
	v_pk_fma_f32 v[6:7], v[12:13], v[210:211], v[4:5] op_sel:[0,0,1] op_sel_hi:[1,1,0] neg_lo:[0,0,1] neg_hi:[0,0,1]
	v_pk_fma_f32 v[4:5], v[12:13], v[210:211], v[4:5] op_sel:[0,0,1] op_sel_hi:[1,0,0]
	s_waitcnt vmcnt(1)
	v_mov_b32_e32 v4, v209
	v_mov_b32_e32 v7, v5
	s_waitcnt lgkmcnt(0)
	v_pk_mul_f32 v[4:5], v[14:15], v[4:5] op_sel_hi:[1,0]
	v_pk_add_f32 v[2:3], v[2:3], v[6:7]
	s_waitcnt vmcnt(0)
	v_pk_fma_f32 v[6:7], v[14:15], v[208:209], v[4:5] op_sel:[0,0,1] op_sel_hi:[1,1,0] neg_lo:[0,0,1] neg_hi:[0,0,1]
	v_pk_fma_f32 v[4:5], v[14:15], v[208:209], v[4:5] op_sel:[0,0,1] op_sel_hi:[1,0,0]
	v_mov_b32_e32 v7, v5
	v_pk_add_f32 v[2:3], v[2:3], v[6:7]
	v_pk_add_f32 v[2:3], v[86:87], v[2:3] neg_lo:[0,1] neg_hi:[0,1]
	buffer_store_dword v3, off, s[0:3], 0 offset:52
	buffer_store_dword v2, off, s[0:3], 0 offset:48
	s_and_saveexec_b64 s[4:5], vcc
	s_cbranch_execz .LBB119_339
; %bb.338:
	buffer_load_dword v2, off, s[0:3], 0 offset:40
	buffer_load_dword v3, off, s[0:3], 0 offset:44
	s_waitcnt vmcnt(0)
	ds_write_b64 v161, v[2:3]
	buffer_store_dword v222, off, s[0:3], 0 offset:40
	buffer_store_dword v222, off, s[0:3], 0 offset:44
.LBB119_339:
	s_or_b64 exec, exec, s[4:5]
	s_waitcnt lgkmcnt(0)
	; wave barrier
	s_waitcnt lgkmcnt(0)
	buffer_load_dword v40, off, s[0:3], 0 offset:52
	buffer_load_dword v39, off, s[0:3], 0 offset:60
	;; [unrolled: 1-line block ×32, first 2 shown]
	ds_read_b128 v[22:25], v222 offset:496
	ds_read_b128 v[18:21], v222 offset:512
	;; [unrolled: 1-line block ×6, first 2 shown]
	buffer_load_dword v140, off, s[0:3], 0 offset:168
	buffer_load_dword v141, off, s[0:3], 0 offset:172
	;; [unrolled: 1-line block ×20, first 2 shown]
	v_cmp_lt_u32_e32 vcc, 4, v0
	s_waitcnt vmcnt(51) lgkmcnt(5)
	v_mul_f32_e32 v26, v22, v40
	s_waitcnt vmcnt(50)
	v_mul_f32_e32 v27, v24, v39
	s_waitcnt vmcnt(49) lgkmcnt(4)
	v_mul_f32_e32 v29, v20, v38
	s_waitcnt vmcnt(48) lgkmcnt(3)
	v_mul_f32_e32 v30, v14, v37
	s_waitcnt vmcnt(47)
	v_mul_f32_e32 v31, v16, v36
	s_waitcnt vmcnt(46) lgkmcnt(2)
	v_mul_f32_e32 v32, v10, v1
	s_waitcnt vmcnt(45)
	v_mul_f32_e32 v28, v18, v41
	s_waitcnt vmcnt(44)
	v_mul_f32_e32 v33, v12, v42
	s_waitcnt vmcnt(43) lgkmcnt(1)
	v_mul_f32_e32 v47, v6, v43
	s_waitcnt vmcnt(42)
	v_mul_f32_e32 v48, v8, v44
	s_waitcnt vmcnt(41) lgkmcnt(0)
	v_mul_f32_e32 v49, v2, v45
	s_waitcnt vmcnt(40)
	v_mul_f32_e32 v50, v4, v46
	s_waitcnt vmcnt(39)
	v_fmac_f32_e32 v28, v19, v106
	s_waitcnt vmcnt(38)
	v_fmac_f32_e32 v27, v25, v108
	s_waitcnt vmcnt(37)
	v_fmac_f32_e32 v26, v23, v124
	v_add_f32_e32 v26, 0, v26
	v_add_f32_e32 v26, v26, v27
	;; [unrolled: 1-line block ×3, first 2 shown]
	s_waitcnt vmcnt(33)
	v_fmac_f32_e32 v29, v21, v128
	v_fmac_f32_e32 v30, v15, v127
	v_add_f32_e32 v26, v26, v29
	v_fmac_f32_e32 v31, v17, v126
	v_add_f32_e32 v26, v26, v30
	;; [unrolled: 2-line block ×3, first 2 shown]
	s_waitcnt vmcnt(29)
	v_fmac_f32_e32 v33, v13, v132
	v_add_f32_e32 v26, v26, v32
	v_fmac_f32_e32 v47, v7, v131
	v_add_f32_e32 v26, v26, v33
	;; [unrolled: 2-line block ×4, first 2 shown]
	v_add_f32_e32 v30, v26, v49
	ds_read_b128 v[26:29], v222 offset:592
	buffer_load_dword v223, off, s[0:3], 0 offset:248
	buffer_load_dword v224, off, s[0:3], 0 offset:252
	;; [unrolled: 1-line block ×4, first 2 shown]
	s_waitcnt vmcnt(28)
	v_fmac_f32_e32 v50, v5, v137
	v_add_f32_e32 v47, v30, v50
	ds_read_b128 v[30:33], v222 offset:608
	buffer_load_dword v227, off, s[0:3], 0 offset:264
	buffer_load_dword v228, off, s[0:3], 0 offset:268
	;; [unrolled: 1-line block ×12, first 2 shown]
	s_waitcnt vmcnt(39) lgkmcnt(1)
	v_mul_f32_e32 v48, v26, v138
	v_fmac_f32_e32 v48, v27, v136
	buffer_load_dword v239, off, s[0:3], 0 offset:312
	buffer_load_dword v240, off, s[0:3], 0 offset:316
	v_add_f32_e32 v47, v47, v48
	s_waitcnt vmcnt(40)
	v_mul_f32_e32 v48, v28, v139
	v_fmac_f32_e32 v48, v29, v135
	buffer_load_dword v241, off, s[0:3], 0 offset:320
	buffer_load_dword v242, off, s[0:3], 0 offset:324
	v_add_f32_e32 v47, v47, v48
	s_waitcnt lgkmcnt(0)
	v_mul_f32_e32 v48, v30, v134
	v_fmac_f32_e32 v48, v31, v133
	v_add_f32_e32 v47, v47, v48
	ds_read_b128 v[48:51], v222 offset:624
	buffer_load_dword v243, off, s[0:3], 0 offset:328
	buffer_load_dword v244, off, s[0:3], 0 offset:332
	s_waitcnt vmcnt(40)
	v_mul_f32_e32 v52, v32, v141
	v_fmac_f32_e32 v52, v33, v140
	v_add_f32_e32 v47, v47, v52
	ds_read_b128 v[52:55], v222 offset:640
	buffer_load_dword v245, off, s[0:3], 0 offset:336
	buffer_load_dword v246, off, s[0:3], 0 offset:340
	;; [unrolled: 1-line block ×8, first 2 shown]
	s_waitcnt vmcnt(46) lgkmcnt(1)
	v_mul_f32_e32 v56, v48, v143
	v_fmac_f32_e32 v56, v49, v142
	v_add_f32_e32 v47, v47, v56
	s_waitcnt vmcnt(44)
	v_mul_f32_e32 v56, v50, v207
	v_fmac_f32_e32 v56, v51, v206
	v_add_f32_e32 v47, v47, v56
	s_waitcnt vmcnt(42) lgkmcnt(0)
	v_mul_f32_e32 v56, v52, v209
	v_fmac_f32_e32 v56, v53, v208
	v_add_f32_e32 v47, v47, v56
	buffer_load_dword v253, off, s[0:3], 0 offset:368
	buffer_load_dword v254, off, s[0:3], 0 offset:372
	;; [unrolled: 1-line block ×4, first 2 shown]
	ds_read_b128 v[56:59], v222 offset:656
	s_waitcnt vmcnt(44)
	v_mul_f32_e32 v60, v54, v211
	v_fmac_f32_e32 v60, v55, v210
	v_add_f32_e32 v47, v47, v60
	ds_read_b128 v[60:63], v222 offset:672
	s_waitcnt vmcnt(42) lgkmcnt(1)
	v_mul_f32_e32 v64, v56, v213
	v_fmac_f32_e32 v64, v57, v212
	v_add_f32_e32 v47, v47, v64
	s_waitcnt vmcnt(40)
	v_mul_f32_e32 v64, v58, v215
	v_fmac_f32_e32 v64, v59, v214
	v_add_f32_e32 v47, v47, v64
	s_waitcnt vmcnt(38) lgkmcnt(0)
	v_mul_f32_e32 v64, v60, v217
	v_fmac_f32_e32 v64, v61, v216
	v_add_f32_e32 v47, v47, v64
	ds_read_b128 v[64:67], v222 offset:688
	s_waitcnt vmcnt(36)
	v_mul_f32_e32 v68, v62, v219
	v_fmac_f32_e32 v68, v63, v218
	v_add_f32_e32 v47, v47, v68
	ds_read_b128 v[68:71], v222 offset:704
	s_waitcnt vmcnt(34) lgkmcnt(1)
	v_mul_f32_e32 v72, v64, v221
	v_fmac_f32_e32 v72, v65, v220
	v_add_f32_e32 v47, v47, v72
	v_mul_f32_e32 v23, v23, v40
	v_fma_f32 v22, v22, v124, -v23
	v_mul_f32_e32 v23, v25, v39
	v_add_f32_e32 v22, 0, v22
	v_fma_f32 v23, v24, v108, -v23
	v_mul_f32_e32 v19, v19, v41
	v_add_f32_e32 v22, v22, v23
	;; [unrolled: 3-line block ×5, first 2 shown]
	s_waitcnt vmcnt(32)
	v_mul_f32_e32 v72, v66, v224
	v_fmac_f32_e32 v72, v67, v223
	v_add_f32_e32 v47, v47, v72
	s_waitcnt vmcnt(30) lgkmcnt(0)
	v_mul_f32_e32 v72, v68, v226
	v_fmac_f32_e32 v72, v69, v225
	v_add_f32_e32 v47, v47, v72
	ds_read_b128 v[72:75], v222 offset:720
	s_waitcnt vmcnt(28)
	v_mul_f32_e32 v76, v70, v228
	v_fmac_f32_e32 v76, v71, v227
	v_add_f32_e32 v47, v47, v76
	ds_read_b128 v[76:79], v222 offset:736
	s_waitcnt vmcnt(26) lgkmcnt(1)
	v_mul_f32_e32 v80, v72, v230
	v_fmac_f32_e32 v80, v73, v229
	v_add_f32_e32 v47, v47, v80
	s_waitcnt vmcnt(24)
	v_mul_f32_e32 v80, v74, v232
	v_fmac_f32_e32 v80, v75, v231
	v_add_f32_e32 v47, v47, v80
	s_waitcnt vmcnt(22) lgkmcnt(0)
	v_mul_f32_e32 v80, v76, v234
	v_fmac_f32_e32 v80, v77, v233
	v_add_f32_e32 v47, v47, v80
	ds_read_b128 v[80:83], v222 offset:752
	s_waitcnt vmcnt(20)
	v_mul_f32_e32 v84, v78, v236
	v_fmac_f32_e32 v84, v79, v235
	v_add_f32_e32 v47, v47, v84
	ds_read_b128 v[84:87], v222 offset:768
	s_waitcnt vmcnt(18) lgkmcnt(1)
	v_mul_f32_e32 v88, v80, v238
	v_fmac_f32_e32 v88, v81, v237
	v_add_f32_e32 v47, v47, v88
	s_waitcnt vmcnt(16)
	v_mul_f32_e32 v88, v82, v240
	v_fmac_f32_e32 v88, v83, v239
	v_add_f32_e32 v47, v47, v88
	s_waitcnt vmcnt(14) lgkmcnt(0)
	v_mul_f32_e32 v88, v84, v242
	v_fmac_f32_e32 v88, v85, v241
	v_add_f32_e32 v47, v47, v88
	ds_read_b128 v[88:91], v222 offset:784
	s_waitcnt vmcnt(12)
	v_mul_f32_e32 v92, v86, v244
	v_fmac_f32_e32 v92, v87, v243
	v_add_f32_e32 v47, v47, v92
	ds_read_b128 v[92:95], v222 offset:800
	buffer_load_dword v105, off, s[0:3], 0 offset:388
	buffer_load_dword v104, off, s[0:3], 0 offset:384
	s_waitcnt vmcnt(12) lgkmcnt(1)
	v_mul_f32_e32 v96, v88, v246
	v_fmac_f32_e32 v96, v89, v245
	v_add_f32_e32 v47, v47, v96
	s_waitcnt vmcnt(10)
	v_mul_f32_e32 v96, v90, v248
	v_fmac_f32_e32 v96, v91, v247
	v_add_f32_e32 v47, v47, v96
	s_waitcnt vmcnt(8) lgkmcnt(0)
	v_mul_f32_e32 v96, v92, v250
	v_fmac_f32_e32 v96, v93, v249
	s_waitcnt vmcnt(6)
	v_mul_f32_e32 v100, v94, v252
	v_add_f32_e32 v47, v47, v96
	v_fmac_f32_e32 v100, v95, v251
	ds_read_b128 v[96:99], v222 offset:816
	v_add_f32_e32 v47, v47, v100
	ds_read_b128 v[100:103], v222 offset:832
	buffer_load_dword v111, off, s[0:3], 0 offset:420
	buffer_load_dword v110, off, s[0:3], 0 offset:416
	;; [unrolled: 1-line block ×14, first 2 shown]
	v_fma_f32 v15, v16, v126, -v15
	v_mul_f32_e32 v1, v11, v1
	v_add_f32_e32 v14, v14, v15
	v_fma_f32 v1, v10, v125, -v1
	v_mul_f32_e32 v10, v13, v42
	v_add_f32_e32 v1, v14, v1
	;; [unrolled: 3-line block ×3, first 2 shown]
	v_fma_f32 v6, v6, v131, -v7
	v_add_f32_e32 v1, v1, v6
	v_mul_f32_e32 v6, v9, v44
	v_fma_f32 v6, v8, v130, -v6
	v_mul_f32_e32 v3, v3, v45
	v_add_f32_e32 v1, v1, v6
	v_fma_f32 v2, v2, v129, -v3
	v_add_f32_e32 v1, v1, v2
	v_mul_f32_e32 v2, v5, v46
	v_fma_f32 v2, v4, v137, -v2
	v_add_f32_e32 v1, v1, v2
	v_mul_f32_e32 v2, v27, v138
	;; [unrolled: 3-line block ×29, first 2 shown]
	v_fma_f32 v2, v94, v251, -v2
	s_waitcnt vmcnt(15)
	v_mov_b32_e32 v16, v105
	s_waitcnt lgkmcnt(1)
	v_mul_f32_e32 v107, v96, v254
	v_add_f32_e32 v46, v1, v2
	v_mul_f32_e32 v1, v97, v254
	s_waitcnt lgkmcnt(0)
	v_pk_mul_f32 v[16:17], v[100:101], v[16:17] op_sel_hi:[1,0]
	v_fmac_f32_e32 v107, v97, v253
	v_mul_f32_e32 v109, v98, v144
	v_fma_f32 v106, v96, v253, -v1
	v_mul_f32_e32 v1, v99, v144
	s_waitcnt vmcnt(14)
	v_pk_fma_f32 v[18:19], v[100:101], v[104:105], v[16:17] op_sel:[0,0,1] op_sel_hi:[1,1,0] neg_lo:[0,0,1] neg_hi:[0,0,1]
	v_pk_fma_f32 v[16:17], v[100:101], v[104:105], v[16:17] op_sel:[0,0,1] op_sel_hi:[1,0,0]
	v_fmac_f32_e32 v109, v99, v255
	v_fma_f32 v108, v98, v255, -v1
	v_pk_add_f32 v[14:15], v[46:47], v[106:107]
	s_waitcnt vmcnt(7)
	v_mov_b32_e32 v16, v117
	ds_read_b128 v[2:5], v222 offset:848
	ds_read_b128 v[6:9], v222 offset:864
	;; [unrolled: 1-line block ×3, first 2 shown]
	v_pk_add_f32 v[14:15], v[14:15], v[108:109]
	v_mov_b32_e32 v19, v17
	v_pk_mul_f32 v[16:17], v[102:103], v[16:17] op_sel_hi:[1,0]
	v_pk_add_f32 v[14:15], v[14:15], v[18:19]
	s_waitcnt vmcnt(6)
	v_pk_fma_f32 v[18:19], v[102:103], v[116:117], v[16:17] op_sel:[0,0,1] op_sel_hi:[1,1,0] neg_lo:[0,0,1] neg_hi:[0,0,1]
	v_pk_fma_f32 v[16:17], v[102:103], v[116:117], v[16:17] op_sel:[0,0,1] op_sel_hi:[1,0,0]
	v_mov_b32_e32 v16, v115
	v_mov_b32_e32 v19, v17
	s_waitcnt lgkmcnt(2)
	v_pk_mul_f32 v[16:17], v[2:3], v[16:17] op_sel_hi:[1,0]
	v_pk_add_f32 v[14:15], v[14:15], v[18:19]
	v_pk_fma_f32 v[18:19], v[2:3], v[114:115], v[16:17] op_sel:[0,0,1] op_sel_hi:[1,1,0] neg_lo:[0,0,1] neg_hi:[0,0,1]
	v_pk_fma_f32 v[2:3], v[2:3], v[114:115], v[16:17] op_sel:[0,0,1] op_sel_hi:[1,0,0]
	v_mov_b32_e32 v19, v3
	v_pk_add_f32 v[2:3], v[14:15], v[18:19]
	v_mov_b32_e32 v14, v113
	v_pk_mul_f32 v[14:15], v[4:5], v[14:15] op_sel_hi:[1,0]
	v_pk_fma_f32 v[16:17], v[4:5], v[112:113], v[14:15] op_sel:[0,0,1] op_sel_hi:[1,1,0] neg_lo:[0,0,1] neg_hi:[0,0,1]
	v_pk_fma_f32 v[4:5], v[4:5], v[112:113], v[14:15] op_sel:[0,0,1] op_sel_hi:[1,0,0]
	v_mov_b32_e32 v4, v111
	v_mov_b32_e32 v17, v5
	s_waitcnt lgkmcnt(1)
	v_pk_mul_f32 v[4:5], v[6:7], v[4:5] op_sel_hi:[1,0]
	v_pk_fma_f32 v[14:15], v[6:7], v[110:111], v[4:5] op_sel:[0,0,1] op_sel_hi:[1,1,0] neg_lo:[0,0,1] neg_hi:[0,0,1]
	v_pk_fma_f32 v[4:5], v[6:7], v[110:111], v[4:5] op_sel:[0,0,1] op_sel_hi:[1,0,0]
	s_waitcnt vmcnt(1)
	v_mov_b32_e32 v4, v123
	v_mov_b32_e32 v15, v5
	v_pk_mul_f32 v[4:5], v[8:9], v[4:5] op_sel_hi:[1,0]
	s_waitcnt vmcnt(0)
	v_pk_fma_f32 v[6:7], v[8:9], v[122:123], v[4:5] op_sel:[0,0,1] op_sel_hi:[1,1,0] neg_lo:[0,0,1] neg_hi:[0,0,1]
	v_pk_fma_f32 v[4:5], v[8:9], v[122:123], v[4:5] op_sel:[0,0,1] op_sel_hi:[1,0,0]
	v_pk_add_f32 v[2:3], v[2:3], v[16:17]
	v_mov_b32_e32 v4, v121
	v_pk_add_f32 v[2:3], v[2:3], v[14:15]
	v_mov_b32_e32 v7, v5
	s_waitcnt lgkmcnt(0)
	v_pk_mul_f32 v[4:5], v[10:11], v[4:5] op_sel_hi:[1,0]
	v_pk_add_f32 v[2:3], v[2:3], v[6:7]
	v_pk_fma_f32 v[6:7], v[10:11], v[120:121], v[4:5] op_sel:[0,0,1] op_sel_hi:[1,1,0] neg_lo:[0,0,1] neg_hi:[0,0,1]
	v_pk_fma_f32 v[4:5], v[10:11], v[120:121], v[4:5] op_sel:[0,0,1] op_sel_hi:[1,0,0]
	v_mov_b32_e32 v4, v119
	v_mov_b32_e32 v7, v5
	v_pk_mul_f32 v[4:5], v[12:13], v[4:5] op_sel_hi:[1,0]
	v_pk_add_f32 v[2:3], v[2:3], v[6:7]
	v_pk_fma_f32 v[6:7], v[12:13], v[118:119], v[4:5] op_sel:[0,0,1] op_sel_hi:[1,1,0] neg_lo:[0,0,1] neg_hi:[0,0,1]
	v_pk_fma_f32 v[4:5], v[12:13], v[118:119], v[4:5] op_sel:[0,0,1] op_sel_hi:[1,0,0]
	v_mov_b32_e32 v7, v5
	v_pk_add_f32 v[2:3], v[2:3], v[6:7]
	v_pk_add_f32 v[2:3], v[34:35], v[2:3] neg_lo:[0,1] neg_hi:[0,1]
	buffer_store_dword v3, off, s[0:3], 0 offset:44
	buffer_store_dword v2, off, s[0:3], 0 offset:40
	s_and_saveexec_b64 s[4:5], vcc
	s_cbranch_execz .LBB119_341
; %bb.340:
	buffer_load_dword v2, off, s[0:3], 0 offset:32
	buffer_load_dword v3, off, s[0:3], 0 offset:36
	v_mov_b32_e32 v1, 0
	buffer_store_dword v1, off, s[0:3], 0 offset:32
	buffer_store_dword v1, off, s[0:3], 0 offset:36
	s_waitcnt vmcnt(2)
	ds_write_b64 v161, v[2:3]
.LBB119_341:
	s_or_b64 exec, exec, s[4:5]
	s_waitcnt lgkmcnt(0)
	; wave barrier
	s_waitcnt lgkmcnt(0)
	buffer_load_dword v45, off, s[0:3], 0 offset:44
	buffer_load_dword v43, off, s[0:3], 0 offset:52
	;; [unrolled: 1-line block ×48, first 2 shown]
	v_mov_b32_e32 v44, 0
	ds_read2_b64 v[22:25], v44 offset0:61 offset1:62
	ds_read2_b64 v[18:21], v44 offset0:63 offset1:64
	ds_read2_b64 v[14:17], v44 offset0:65 offset1:66
	ds_read2_b64 v[10:13], v44 offset0:67 offset1:68
	ds_read2_b64 v[6:9], v44 offset0:69 offset1:70
	ds_read2_b64 v[2:5], v44 offset0:71 offset1:72
	buffer_load_dword v217, off, s[0:3], 0 offset:224
	buffer_load_dword v218, off, s[0:3], 0 offset:228
	v_cmp_lt_u32_e32 vcc, 3, v0
	s_waitcnt vmcnt(49) lgkmcnt(5)
	v_mul_f32_e32 v26, v22, v45
	s_waitcnt vmcnt(48)
	v_mul_f32_e32 v27, v24, v43
	s_waitcnt vmcnt(47) lgkmcnt(4)
	v_mul_f32_e32 v29, v20, v42
	s_waitcnt vmcnt(46) lgkmcnt(3)
	v_mul_f32_e32 v30, v14, v41
	s_waitcnt vmcnt(45)
	v_mul_f32_e32 v31, v16, v40
	s_waitcnt vmcnt(44) lgkmcnt(2)
	v_mul_f32_e32 v32, v10, v1
	s_waitcnt vmcnt(43)
	v_mul_f32_e32 v28, v18, v46
	s_waitcnt vmcnt(42)
	v_mul_f32_e32 v33, v12, v47
	s_waitcnt vmcnt(41) lgkmcnt(1)
	v_mul_f32_e32 v34, v6, v48
	s_waitcnt vmcnt(40)
	v_mul_f32_e32 v35, v8, v49
	s_waitcnt vmcnt(39) lgkmcnt(0)
	v_mul_f32_e32 v36, v2, v50
	s_waitcnt vmcnt(38)
	v_mul_f32_e32 v37, v4, v51
	s_waitcnt vmcnt(37)
	v_fmac_f32_e32 v28, v19, v57
	s_waitcnt vmcnt(36)
	v_fmac_f32_e32 v27, v25, v60
	;; [unrolled: 2-line block ×3, first 2 shown]
	v_add_f32_e32 v26, 0, v26
	v_add_f32_e32 v26, v26, v27
	;; [unrolled: 1-line block ×3, first 2 shown]
	s_waitcnt vmcnt(31)
	v_fmac_f32_e32 v29, v21, v62
	v_fmac_f32_e32 v30, v15, v59
	v_add_f32_e32 v26, v26, v29
	v_fmac_f32_e32 v31, v17, v56
	v_add_f32_e32 v26, v26, v30
	;; [unrolled: 2-line block ×3, first 2 shown]
	s_waitcnt vmcnt(27)
	v_fmac_f32_e32 v33, v13, v58
	v_add_f32_e32 v26, v26, v32
	v_fmac_f32_e32 v34, v7, v55
	v_add_f32_e32 v26, v26, v33
	;; [unrolled: 2-line block ×4, first 2 shown]
	s_waitcnt vmcnt(22)
	v_fmac_f32_e32 v37, v5, v138
	v_add_f32_e32 v26, v26, v36
	v_add_f32_e32 v34, v26, v37
	ds_read2_b64 v[26:29], v44 offset0:73 offset1:74
	buffer_load_dword v219, off, s[0:3], 0 offset:232
	buffer_load_dword v220, off, s[0:3], 0 offset:236
	ds_read2_b64 v[30:33], v44 offset0:75 offset1:76
	buffer_load_dword v221, off, s[0:3], 0 offset:240
	buffer_load_dword v222, off, s[0:3], 0 offset:244
	;; [unrolled: 1-line block ×12, first 2 shown]
	s_waitcnt vmcnt(35) lgkmcnt(1)
	v_mul_f32_e32 v35, v26, v139
	v_fmac_f32_e32 v35, v27, v137
	buffer_load_dword v233, off, s[0:3], 0 offset:288
	buffer_load_dword v234, off, s[0:3], 0 offset:292
	v_add_f32_e32 v34, v34, v35
	s_waitcnt vmcnt(36)
	v_mul_f32_e32 v35, v28, v140
	v_fmac_f32_e32 v35, v29, v136
	v_add_f32_e32 v34, v34, v35
	s_waitcnt lgkmcnt(0)
	v_mul_f32_e32 v35, v30, v118
	buffer_load_dword v235, off, s[0:3], 0 offset:296
	buffer_load_dword v236, off, s[0:3], 0 offset:300
	v_fmac_f32_e32 v35, v31, v61
	v_add_f32_e32 v63, v34, v35
	ds_read2_b64 v[34:37], v44 offset0:77 offset1:78
	buffer_load_dword v237, off, s[0:3], 0 offset:304
	buffer_load_dword v238, off, s[0:3], 0 offset:308
	;; [unrolled: 1-line block ×4, first 2 shown]
	s_waitcnt vmcnt(38)
	v_mul_f32_e32 v64, v32, v142
	v_fmac_f32_e32 v64, v33, v141
	v_add_f32_e32 v63, v63, v64
	ds_read2_b64 v[64:67], v44 offset0:79 offset1:80
	buffer_load_dword v241, off, s[0:3], 0 offset:320
	buffer_load_dword v242, off, s[0:3], 0 offset:324
	;; [unrolled: 1-line block ×10, first 2 shown]
	s_waitcnt vmcnt(46) lgkmcnt(1)
	v_mul_f32_e32 v68, v34, v144
	v_fmac_f32_e32 v68, v35, v143
	v_add_f32_e32 v63, v63, v68
	s_waitcnt vmcnt(44)
	v_mul_f32_e32 v68, v36, v206
	v_fmac_f32_e32 v68, v37, v145
	v_add_f32_e32 v63, v63, v68
	s_waitcnt vmcnt(42) lgkmcnt(0)
	v_mul_f32_e32 v68, v64, v208
	v_fmac_f32_e32 v68, v65, v207
	v_add_f32_e32 v63, v63, v68
	buffer_load_dword v251, off, s[0:3], 0 offset:360
	buffer_load_dword v252, off, s[0:3], 0 offset:364
	;; [unrolled: 1-line block ×6, first 2 shown]
	ds_read2_b64 v[68:71], v44 offset0:81 offset1:82
	s_waitcnt vmcnt(46)
	v_mul_f32_e32 v72, v66, v210
	v_fmac_f32_e32 v72, v67, v209
	v_add_f32_e32 v63, v63, v72
	ds_read2_b64 v[72:75], v44 offset0:83 offset1:84
	s_waitcnt vmcnt(44) lgkmcnt(1)
	v_mul_f32_e32 v76, v68, v212
	v_fmac_f32_e32 v76, v69, v211
	v_add_f32_e32 v63, v63, v76
	s_waitcnt vmcnt(42)
	v_mul_f32_e32 v76, v70, v214
	v_fmac_f32_e32 v76, v71, v213
	v_add_f32_e32 v63, v63, v76
	s_waitcnt vmcnt(40) lgkmcnt(0)
	v_mul_f32_e32 v76, v72, v216
	v_fmac_f32_e32 v76, v73, v215
	v_add_f32_e32 v63, v63, v76
	ds_read2_b64 v[76:79], v44 offset0:85 offset1:86
	s_waitcnt vmcnt(38)
	v_mul_f32_e32 v80, v74, v218
	v_fmac_f32_e32 v80, v75, v217
	v_add_f32_e32 v63, v63, v80
	ds_read2_b64 v[80:83], v44 offset0:87 offset1:88
	v_mul_f32_e32 v23, v23, v45
	v_fma_f32 v22, v22, v116, -v23
	v_mul_f32_e32 v23, v25, v43
	v_add_f32_e32 v22, 0, v22
	v_fma_f32 v23, v24, v60, -v23
	v_mul_f32_e32 v19, v19, v46
	v_add_f32_e32 v22, v22, v23
	;; [unrolled: 3-line block ×6, first 2 shown]
	v_fma_f32 v1, v10, v54, -v1
	s_waitcnt vmcnt(36) lgkmcnt(1)
	v_mul_f32_e32 v84, v76, v220
	v_fmac_f32_e32 v84, v77, v219
	v_add_f32_e32 v63, v63, v84
	s_waitcnt vmcnt(34)
	v_mul_f32_e32 v84, v78, v222
	v_fmac_f32_e32 v84, v79, v221
	v_add_f32_e32 v63, v63, v84
	s_waitcnt vmcnt(32) lgkmcnt(0)
	v_mul_f32_e32 v84, v80, v224
	v_fmac_f32_e32 v84, v81, v223
	v_add_f32_e32 v63, v63, v84
	ds_read2_b64 v[84:87], v44 offset0:89 offset1:90
	s_waitcnt vmcnt(30)
	v_mul_f32_e32 v88, v82, v226
	v_fmac_f32_e32 v88, v83, v225
	v_add_f32_e32 v63, v63, v88
	ds_read2_b64 v[88:91], v44 offset0:91 offset1:92
	s_waitcnt vmcnt(28) lgkmcnt(1)
	v_mul_f32_e32 v92, v84, v228
	v_fmac_f32_e32 v92, v85, v227
	v_add_f32_e32 v63, v63, v92
	s_waitcnt vmcnt(26)
	v_mul_f32_e32 v92, v86, v230
	v_fmac_f32_e32 v92, v87, v229
	v_add_f32_e32 v63, v63, v92
	s_waitcnt vmcnt(24) lgkmcnt(0)
	v_mul_f32_e32 v92, v88, v232
	v_fmac_f32_e32 v92, v89, v231
	v_add_f32_e32 v63, v63, v92
	ds_read2_b64 v[92:95], v44 offset0:93 offset1:94
	s_waitcnt vmcnt(22)
	v_mul_f32_e32 v96, v90, v234
	v_fmac_f32_e32 v96, v91, v233
	v_add_f32_e32 v63, v63, v96
	ds_read2_b64 v[96:99], v44 offset0:95 offset1:96
	;; [unrolled: 18-line block ×3, first 2 shown]
	s_waitcnt vmcnt(12) lgkmcnt(1)
	v_mul_f32_e32 v108, v100, v244
	v_fmac_f32_e32 v108, v101, v243
	v_add_f32_e32 v63, v63, v108
	s_waitcnt vmcnt(10)
	v_mul_f32_e32 v108, v102, v246
	v_fmac_f32_e32 v108, v103, v245
	v_add_f32_e32 v63, v63, v108
	s_waitcnt vmcnt(8) lgkmcnt(0)
	v_mul_f32_e32 v108, v104, v248
	v_fmac_f32_e32 v108, v105, v247
	s_waitcnt vmcnt(6)
	v_mul_f32_e32 v112, v106, v250
	v_add_f32_e32 v63, v63, v108
	v_fmac_f32_e32 v112, v107, v249
	ds_read2_b64 v[108:111], v44 offset0:101 offset1:102
	v_add_f32_e32 v63, v63, v112
	ds_read2_b64 v[112:115], v44 offset0:103 offset1:104
	buffer_load_dword v121, off, s[0:3], 0 offset:412
	buffer_load_dword v120, off, s[0:3], 0 offset:408
	;; [unrolled: 1-line block ×16, first 2 shown]
	v_mul_f32_e32 v10, v13, v47
	v_add_f32_e32 v1, v14, v1
	v_fma_f32 v10, v12, v58, -v10
	v_mul_f32_e32 v7, v7, v48
	v_add_f32_e32 v1, v1, v10
	v_fma_f32 v6, v6, v55, -v7
	v_add_f32_e32 v1, v1, v6
	v_mul_f32_e32 v6, v9, v49
	v_fma_f32 v6, v8, v53, -v6
	v_mul_f32_e32 v3, v3, v50
	v_add_f32_e32 v1, v1, v6
	v_fma_f32 v2, v2, v52, -v3
	v_add_f32_e32 v1, v1, v2
	v_mul_f32_e32 v2, v5, v51
	v_fma_f32 v2, v4, v138, -v2
	v_add_f32_e32 v1, v1, v2
	v_mul_f32_e32 v2, v27, v139
	v_fma_f32 v2, v26, v137, -v2
	v_add_f32_e32 v1, v1, v2
	v_mul_f32_e32 v2, v29, v140
	v_fma_f32 v2, v28, v136, -v2
	v_add_f32_e32 v1, v1, v2
	v_mul_f32_e32 v2, v31, v118
	v_fma_f32 v2, v30, v61, -v2
	v_add_f32_e32 v1, v1, v2
	v_mul_f32_e32 v2, v33, v142
	v_fma_f32 v2, v32, v141, -v2
	v_add_f32_e32 v1, v1, v2
	v_mul_f32_e32 v2, v35, v144
	v_fma_f32 v2, v34, v143, -v2
	v_add_f32_e32 v1, v1, v2
	v_mul_f32_e32 v2, v37, v206
	v_fma_f32 v2, v36, v145, -v2
	v_add_f32_e32 v1, v1, v2
	v_mul_f32_e32 v2, v65, v208
	v_fma_f32 v2, v64, v207, -v2
	v_add_f32_e32 v1, v1, v2
	v_mul_f32_e32 v2, v67, v210
	v_fma_f32 v2, v66, v209, -v2
	v_add_f32_e32 v1, v1, v2
	v_mul_f32_e32 v2, v69, v212
	v_fma_f32 v2, v68, v211, -v2
	v_add_f32_e32 v1, v1, v2
	v_mul_f32_e32 v2, v71, v214
	v_fma_f32 v2, v70, v213, -v2
	v_add_f32_e32 v1, v1, v2
	v_mul_f32_e32 v2, v73, v216
	v_fma_f32 v2, v72, v215, -v2
	v_add_f32_e32 v1, v1, v2
	v_mul_f32_e32 v2, v75, v218
	v_fma_f32 v2, v74, v217, -v2
	v_add_f32_e32 v1, v1, v2
	v_mul_f32_e32 v2, v77, v220
	v_fma_f32 v2, v76, v219, -v2
	v_add_f32_e32 v1, v1, v2
	v_mul_f32_e32 v2, v79, v222
	v_fma_f32 v2, v78, v221, -v2
	v_add_f32_e32 v1, v1, v2
	v_mul_f32_e32 v2, v81, v224
	v_fma_f32 v2, v80, v223, -v2
	v_add_f32_e32 v1, v1, v2
	v_mul_f32_e32 v2, v83, v226
	v_fma_f32 v2, v82, v225, -v2
	v_add_f32_e32 v1, v1, v2
	v_mul_f32_e32 v2, v85, v228
	v_fma_f32 v2, v84, v227, -v2
	v_add_f32_e32 v1, v1, v2
	v_mul_f32_e32 v2, v87, v230
	v_fma_f32 v2, v86, v229, -v2
	v_add_f32_e32 v1, v1, v2
	v_mul_f32_e32 v2, v89, v232
	v_fma_f32 v2, v88, v231, -v2
	v_add_f32_e32 v1, v1, v2
	v_mul_f32_e32 v2, v91, v234
	v_fma_f32 v2, v90, v233, -v2
	v_add_f32_e32 v1, v1, v2
	v_mul_f32_e32 v2, v93, v236
	v_fma_f32 v2, v92, v235, -v2
	v_add_f32_e32 v1, v1, v2
	v_mul_f32_e32 v2, v95, v238
	v_fma_f32 v2, v94, v237, -v2
	v_add_f32_e32 v1, v1, v2
	v_mul_f32_e32 v2, v97, v240
	v_fma_f32 v2, v96, v239, -v2
	v_add_f32_e32 v1, v1, v2
	v_mul_f32_e32 v2, v99, v242
	v_fma_f32 v2, v98, v241, -v2
	v_add_f32_e32 v1, v1, v2
	v_mul_f32_e32 v2, v101, v244
	v_fma_f32 v2, v100, v243, -v2
	v_add_f32_e32 v1, v1, v2
	v_mul_f32_e32 v2, v103, v246
	v_fma_f32 v2, v102, v245, -v2
	v_add_f32_e32 v1, v1, v2
	v_mul_f32_e32 v2, v105, v248
	v_fma_f32 v2, v104, v247, -v2
	v_add_f32_e32 v1, v1, v2
	v_mul_f32_e32 v2, v107, v250
	v_fma_f32 v2, v106, v249, -v2
	s_waitcnt vmcnt(20) lgkmcnt(1)
	v_mul_f32_e32 v117, v108, v252
	v_add_f32_e32 v1, v1, v2
	v_mul_f32_e32 v2, v109, v252
	v_fmac_f32_e32 v117, v109, v251
	v_fma_f32 v2, v108, v251, -v2
	s_waitcnt vmcnt(9)
	v_mov_b32_e32 v18, v127
	v_add_f32_e32 v63, v63, v117
	v_mul_f32_e32 v117, v110, v254
	v_add_f32_e32 v62, v1, v2
	v_mul_f32_e32 v1, v111, v254
	s_waitcnt lgkmcnt(0)
	v_pk_mul_f32 v[18:19], v[114:115], v[18:19] op_sel_hi:[1,0]
	v_fmac_f32_e32 v117, v111, v253
	v_mul_f32_e32 v119, v112, v146
	v_fma_f32 v116, v110, v253, -v1
	v_mul_f32_e32 v1, v113, v146
	ds_read2_b64 v[2:5], v44 offset0:105 offset1:106
	ds_read2_b64 v[6:9], v44 offset0:107 offset1:108
	;; [unrolled: 1-line block ×3, first 2 shown]
	ds_read_b64 v[14:15], v44 offset:888
	s_waitcnt vmcnt(8)
	v_pk_fma_f32 v[20:21], v[114:115], v[126:127], v[18:19] op_sel:[0,0,1] op_sel_hi:[1,1,0] neg_lo:[0,0,1] neg_hi:[0,0,1]
	v_pk_fma_f32 v[18:19], v[114:115], v[126:127], v[18:19] op_sel:[0,0,1] op_sel_hi:[1,0,0]
	v_fmac_f32_e32 v119, v113, v255
	v_fma_f32 v118, v112, v255, -v1
	v_pk_add_f32 v[16:17], v[62:63], v[116:117]
	v_mov_b32_e32 v18, v125
	v_pk_add_f32 v[16:17], v[16:17], v[118:119]
	v_mov_b32_e32 v21, v19
	s_waitcnt lgkmcnt(3)
	v_pk_mul_f32 v[18:19], v[2:3], v[18:19] op_sel_hi:[1,0]
	v_pk_add_f32 v[16:17], v[16:17], v[20:21]
	v_pk_fma_f32 v[20:21], v[2:3], v[124:125], v[18:19] op_sel:[0,0,1] op_sel_hi:[1,1,0] neg_lo:[0,0,1] neg_hi:[0,0,1]
	v_pk_fma_f32 v[2:3], v[2:3], v[124:125], v[18:19] op_sel:[0,0,1] op_sel_hi:[1,0,0]
	v_mov_b32_e32 v21, v3
	v_pk_add_f32 v[2:3], v[16:17], v[20:21]
	v_mov_b32_e32 v16, v123
	v_pk_mul_f32 v[16:17], v[4:5], v[16:17] op_sel_hi:[1,0]
	v_pk_fma_f32 v[18:19], v[4:5], v[122:123], v[16:17] op_sel:[0,0,1] op_sel_hi:[1,1,0] neg_lo:[0,0,1] neg_hi:[0,0,1]
	v_pk_fma_f32 v[4:5], v[4:5], v[122:123], v[16:17] op_sel:[0,0,1] op_sel_hi:[1,0,0]
	v_mov_b32_e32 v4, v121
	v_mov_b32_e32 v19, v5
	s_waitcnt lgkmcnt(2)
	v_pk_mul_f32 v[4:5], v[6:7], v[4:5] op_sel_hi:[1,0]
	v_pk_fma_f32 v[16:17], v[6:7], v[120:121], v[4:5] op_sel:[0,0,1] op_sel_hi:[1,1,0] neg_lo:[0,0,1] neg_hi:[0,0,1]
	v_pk_fma_f32 v[4:5], v[6:7], v[120:121], v[4:5] op_sel:[0,0,1] op_sel_hi:[1,0,0]
	s_waitcnt vmcnt(1)
	v_mov_b32_e32 v4, v135
	v_mov_b32_e32 v17, v5
	v_pk_mul_f32 v[4:5], v[8:9], v[4:5] op_sel_hi:[1,0]
	s_waitcnt vmcnt(0)
	v_pk_fma_f32 v[6:7], v[8:9], v[134:135], v[4:5] op_sel:[0,0,1] op_sel_hi:[1,1,0] neg_lo:[0,0,1] neg_hi:[0,0,1]
	v_pk_fma_f32 v[4:5], v[8:9], v[134:135], v[4:5] op_sel:[0,0,1] op_sel_hi:[1,0,0]
	v_pk_add_f32 v[2:3], v[2:3], v[18:19]
	v_mov_b32_e32 v4, v133
	v_pk_add_f32 v[2:3], v[2:3], v[16:17]
	v_mov_b32_e32 v7, v5
	s_waitcnt lgkmcnt(1)
	v_pk_mul_f32 v[4:5], v[10:11], v[4:5] op_sel_hi:[1,0]
	v_pk_add_f32 v[2:3], v[2:3], v[6:7]
	v_pk_fma_f32 v[6:7], v[10:11], v[132:133], v[4:5] op_sel:[0,0,1] op_sel_hi:[1,1,0] neg_lo:[0,0,1] neg_hi:[0,0,1]
	v_pk_fma_f32 v[4:5], v[10:11], v[132:133], v[4:5] op_sel:[0,0,1] op_sel_hi:[1,0,0]
	v_mov_b32_e32 v4, v131
	v_mov_b32_e32 v7, v5
	v_pk_mul_f32 v[4:5], v[12:13], v[4:5] op_sel_hi:[1,0]
	v_pk_add_f32 v[2:3], v[2:3], v[6:7]
	v_pk_fma_f32 v[6:7], v[12:13], v[130:131], v[4:5] op_sel:[0,0,1] op_sel_hi:[1,1,0] neg_lo:[0,0,1] neg_hi:[0,0,1]
	v_pk_fma_f32 v[4:5], v[12:13], v[130:131], v[4:5] op_sel:[0,0,1] op_sel_hi:[1,0,0]
	v_mov_b32_e32 v4, v129
	v_mov_b32_e32 v7, v5
	s_waitcnt lgkmcnt(0)
	v_pk_mul_f32 v[4:5], v[14:15], v[4:5] op_sel_hi:[1,0]
	v_pk_add_f32 v[2:3], v[2:3], v[6:7]
	v_pk_fma_f32 v[6:7], v[14:15], v[128:129], v[4:5] op_sel:[0,0,1] op_sel_hi:[1,1,0] neg_lo:[0,0,1] neg_hi:[0,0,1]
	v_pk_fma_f32 v[4:5], v[14:15], v[128:129], v[4:5] op_sel:[0,0,1] op_sel_hi:[1,0,0]
	v_mov_b32_e32 v7, v5
	v_pk_add_f32 v[2:3], v[2:3], v[6:7]
	v_pk_add_f32 v[2:3], v[38:39], v[2:3] neg_lo:[0,1] neg_hi:[0,1]
	buffer_store_dword v3, off, s[0:3], 0 offset:36
	buffer_store_dword v2, off, s[0:3], 0 offset:32
	s_and_saveexec_b64 s[4:5], vcc
	s_cbranch_execz .LBB119_343
; %bb.342:
	buffer_load_dword v2, off, s[0:3], 0 offset:24
	buffer_load_dword v3, off, s[0:3], 0 offset:28
	s_waitcnt vmcnt(0)
	ds_write_b64 v161, v[2:3]
	buffer_store_dword v44, off, s[0:3], 0 offset:24
	buffer_store_dword v44, off, s[0:3], 0 offset:28
.LBB119_343:
	s_or_b64 exec, exec, s[4:5]
	s_waitcnt lgkmcnt(0)
	; wave barrier
	s_waitcnt lgkmcnt(0)
	buffer_load_dword v49, off, s[0:3], 0 offset:36
	buffer_load_dword v48, off, s[0:3], 0 offset:44
	;; [unrolled: 1-line block ×32, first 2 shown]
	ds_read_b128 v[26:29], v44 offset:480
	ds_read_b128 v[22:25], v44 offset:496
	;; [unrolled: 1-line block ×4, first 2 shown]
	buffer_load_dword v141, off, s[0:3], 0 offset:152
	buffer_load_dword v142, off, s[0:3], 0 offset:156
	ds_read_b128 v[14:17], v44 offset:544
	ds_read_b128 v[6:9], v44 offset:560
	;; [unrolled: 1-line block ×3, first 2 shown]
	buffer_load_dword v143, off, s[0:3], 0 offset:160
	buffer_load_dword v144, off, s[0:3], 0 offset:164
	buffer_load_dword v145, off, s[0:3], 0 offset:168
	buffer_load_dword v146, off, s[0:3], 0 offset:172
	buffer_load_dword v147, off, s[0:3], 0 offset:176
	buffer_load_dword v206, off, s[0:3], 0 offset:180
	buffer_load_dword v207, off, s[0:3], 0 offset:184
	buffer_load_dword v208, off, s[0:3], 0 offset:188
	buffer_load_dword v209, off, s[0:3], 0 offset:192
	buffer_load_dword v210, off, s[0:3], 0 offset:196
	buffer_load_dword v211, off, s[0:3], 0 offset:200
	buffer_load_dword v212, off, s[0:3], 0 offset:204
	buffer_load_dword v213, off, s[0:3], 0 offset:208
	buffer_load_dword v214, off, s[0:3], 0 offset:212
	buffer_load_dword v215, off, s[0:3], 0 offset:216
	buffer_load_dword v216, off, s[0:3], 0 offset:220
	v_cmp_lt_u32_e32 vcc, 2, v0
	s_waitcnt vmcnt(49) lgkmcnt(6)
	v_mul_f32_e32 v30, v26, v49
	s_waitcnt vmcnt(48)
	v_mul_f32_e32 v31, v28, v48
	s_waitcnt vmcnt(47) lgkmcnt(5)
	v_mul_f32_e32 v33, v24, v47
	s_waitcnt vmcnt(46) lgkmcnt(4)
	v_mul_f32_e32 v34, v18, v46
	s_waitcnt vmcnt(45)
	v_mul_f32_e32 v35, v20, v1
	s_waitcnt vmcnt(44)
	v_mul_f32_e32 v32, v22, v50
	s_waitcnt vmcnt(43) lgkmcnt(3)
	v_mul_f32_e32 v36, v10, v45
	s_waitcnt vmcnt(42)
	v_mul_f32_e32 v37, v12, v51
	s_waitcnt vmcnt(41) lgkmcnt(2)
	;; [unrolled: 4-line block ×3, first 2 shown]
	v_mul_f32_e32 v40, v6, v54
	s_waitcnt vmcnt(38)
	v_mul_f32_e32 v41, v8, v55
	s_waitcnt vmcnt(37)
	v_fmac_f32_e32 v32, v23, v61
	s_waitcnt vmcnt(36)
	v_fmac_f32_e32 v31, v29, v64
	;; [unrolled: 2-line block ×3, first 2 shown]
	v_add_f32_e32 v30, 0, v30
	v_add_f32_e32 v30, v30, v31
	;; [unrolled: 1-line block ×3, first 2 shown]
	s_waitcnt vmcnt(31)
	v_fmac_f32_e32 v33, v25, v65
	v_fmac_f32_e32 v34, v19, v63
	v_add_f32_e32 v30, v30, v33
	v_fmac_f32_e32 v35, v21, v60
	v_add_f32_e32 v30, v30, v34
	;; [unrolled: 2-line block ×3, first 2 shown]
	s_waitcnt vmcnt(27)
	v_fmac_f32_e32 v37, v13, v62
	v_add_f32_e32 v30, v30, v36
	v_fmac_f32_e32 v38, v15, v59
	v_add_f32_e32 v30, v30, v37
	;; [unrolled: 2-line block ×4, first 2 shown]
	s_waitcnt vmcnt(23)
	v_fmac_f32_e32 v41, v9, v137
	v_add_f32_e32 v30, v30, v40
	v_add_f32_e32 v34, v30, v41
	ds_read_b128 v[30:33], v44 offset:592
	buffer_load_dword v217, off, s[0:3], 0 offset:224
	buffer_load_dword v218, off, s[0:3], 0 offset:228
	buffer_load_dword v219, off, s[0:3], 0 offset:232
	buffer_load_dword v220, off, s[0:3], 0 offset:236
	buffer_load_dword v221, off, s[0:3], 0 offset:240
	buffer_load_dword v222, off, s[0:3], 0 offset:244
	buffer_load_dword v223, off, s[0:3], 0 offset:248
	buffer_load_dword v224, off, s[0:3], 0 offset:252
	buffer_load_dword v225, off, s[0:3], 0 offset:256
	buffer_load_dword v226, off, s[0:3], 0 offset:260
	buffer_load_dword v227, off, s[0:3], 0 offset:264
	buffer_load_dword v228, off, s[0:3], 0 offset:268
	s_waitcnt vmcnt(34) lgkmcnt(1)
	v_mul_f32_e32 v35, v2, v138
	v_fmac_f32_e32 v35, v3, v136
	buffer_load_dword v229, off, s[0:3], 0 offset:272
	buffer_load_dword v230, off, s[0:3], 0 offset:276
	v_add_f32_e32 v34, v34, v35
	s_waitcnt vmcnt(35)
	v_mul_f32_e32 v35, v4, v139
	v_fmac_f32_e32 v35, v5, v124
	v_add_f32_e32 v34, v34, v35
	s_waitcnt vmcnt(34) lgkmcnt(0)
	v_mul_f32_e32 v35, v30, v140
	v_fmac_f32_e32 v35, v31, v66
	buffer_load_dword v231, off, s[0:3], 0 offset:280
	buffer_load_dword v232, off, s[0:3], 0 offset:284
	v_add_f32_e32 v34, v34, v35
	s_waitcnt vmcnt(32)
	v_mul_f32_e32 v35, v32, v142
	v_fmac_f32_e32 v35, v33, v141
	v_add_f32_e32 v67, v34, v35
	ds_read_b128 v[34:37], v44 offset:608
	buffer_load_dword v233, off, s[0:3], 0 offset:288
	buffer_load_dword v234, off, s[0:3], 0 offset:292
	ds_read_b128 v[38:41], v44 offset:624
	buffer_load_dword v235, off, s[0:3], 0 offset:296
	buffer_load_dword v236, off, s[0:3], 0 offset:300
	;; [unrolled: 1-line block ×14, first 2 shown]
	s_waitcnt vmcnt(46) lgkmcnt(1)
	v_mul_f32_e32 v68, v34, v144
	v_fmac_f32_e32 v68, v35, v143
	v_add_f32_e32 v67, v67, v68
	s_waitcnt vmcnt(44)
	v_mul_f32_e32 v68, v36, v146
	v_fmac_f32_e32 v68, v37, v145
	v_add_f32_e32 v67, v67, v68
	s_waitcnt vmcnt(42) lgkmcnt(0)
	v_mul_f32_e32 v68, v38, v206
	v_fmac_f32_e32 v68, v39, v147
	v_add_f32_e32 v67, v67, v68
	buffer_load_dword v249, off, s[0:3], 0 offset:352
	buffer_load_dword v250, off, s[0:3], 0 offset:356
	ds_read_b128 v[68:71], v44 offset:640
	s_waitcnt vmcnt(42)
	v_mul_f32_e32 v72, v40, v208
	v_fmac_f32_e32 v72, v41, v207
	buffer_load_dword v251, off, s[0:3], 0 offset:360
	buffer_load_dword v252, off, s[0:3], 0 offset:364
	v_add_f32_e32 v67, v67, v72
	buffer_load_dword v253, off, s[0:3], 0 offset:368
	buffer_load_dword v254, off, s[0:3], 0 offset:372
	ds_read_b128 v[72:75], v44 offset:656
	s_waitcnt vmcnt(44) lgkmcnt(1)
	v_mul_f32_e32 v76, v68, v210
	v_fmac_f32_e32 v76, v69, v209
	v_add_f32_e32 v67, v67, v76
	s_waitcnt vmcnt(42)
	v_mul_f32_e32 v76, v70, v212
	v_fmac_f32_e32 v76, v71, v211
	v_add_f32_e32 v67, v67, v76
	s_waitcnt vmcnt(40) lgkmcnt(0)
	v_mul_f32_e32 v76, v72, v214
	v_fmac_f32_e32 v76, v73, v213
	buffer_load_dword v255, off, s[0:3], 0 offset:376
	buffer_load_dword v148, off, s[0:3], 0 offset:380
	v_add_f32_e32 v67, v67, v76
	ds_read_b128 v[76:79], v44 offset:672
	s_waitcnt vmcnt(40)
	v_mul_f32_e32 v80, v74, v216
	v_fmac_f32_e32 v80, v75, v215
	v_add_f32_e32 v67, v67, v80
	ds_read_b128 v[80:83], v44 offset:688
	v_mul_f32_e32 v27, v27, v49
	v_fma_f32 v26, v26, v116, -v27
	v_mul_f32_e32 v27, v29, v48
	v_add_f32_e32 v26, 0, v26
	v_fma_f32 v27, v28, v64, -v27
	v_mul_f32_e32 v23, v23, v50
	v_add_f32_e32 v26, v26, v27
	;; [unrolled: 3-line block ×5, first 2 shown]
	v_fma_f32 v1, v20, v60, -v1
	v_mul_f32_e32 v11, v11, v45
	s_waitcnt vmcnt(38) lgkmcnt(1)
	v_mul_f32_e32 v84, v76, v218
	v_fmac_f32_e32 v84, v77, v217
	v_add_f32_e32 v67, v67, v84
	s_waitcnt vmcnt(36)
	v_mul_f32_e32 v84, v78, v220
	v_fmac_f32_e32 v84, v79, v219
	v_add_f32_e32 v67, v67, v84
	s_waitcnt vmcnt(34) lgkmcnt(0)
	v_mul_f32_e32 v84, v80, v222
	v_fmac_f32_e32 v84, v81, v221
	v_add_f32_e32 v67, v67, v84
	ds_read_b128 v[84:87], v44 offset:704
	s_waitcnt vmcnt(32)
	v_mul_f32_e32 v88, v82, v224
	v_fmac_f32_e32 v88, v83, v223
	v_add_f32_e32 v67, v67, v88
	ds_read_b128 v[88:91], v44 offset:720
	s_waitcnt vmcnt(30) lgkmcnt(1)
	v_mul_f32_e32 v92, v84, v226
	v_fmac_f32_e32 v92, v85, v225
	v_add_f32_e32 v67, v67, v92
	s_waitcnt vmcnt(28)
	v_mul_f32_e32 v92, v86, v228
	v_fmac_f32_e32 v92, v87, v227
	v_add_f32_e32 v67, v67, v92
	s_waitcnt vmcnt(26) lgkmcnt(0)
	v_mul_f32_e32 v92, v88, v230
	v_fmac_f32_e32 v92, v89, v229
	v_add_f32_e32 v67, v67, v92
	ds_read_b128 v[92:95], v44 offset:736
	s_waitcnt vmcnt(24)
	v_mul_f32_e32 v96, v90, v232
	v_fmac_f32_e32 v96, v91, v231
	v_add_f32_e32 v67, v67, v96
	ds_read_b128 v[96:99], v44 offset:752
	;; [unrolled: 18-line block ×3, first 2 shown]
	s_waitcnt vmcnt(14) lgkmcnt(1)
	v_mul_f32_e32 v108, v100, v242
	v_fmac_f32_e32 v108, v101, v241
	v_add_f32_e32 v67, v67, v108
	s_waitcnt vmcnt(12)
	v_mul_f32_e32 v108, v102, v244
	v_fmac_f32_e32 v108, v103, v243
	v_add_f32_e32 v67, v67, v108
	s_waitcnt vmcnt(10) lgkmcnt(0)
	v_mul_f32_e32 v108, v104, v246
	v_fmac_f32_e32 v108, v105, v245
	s_waitcnt vmcnt(8)
	v_mul_f32_e32 v112, v106, v248
	v_add_f32_e32 v67, v67, v108
	v_fmac_f32_e32 v112, v107, v247
	ds_read_b128 v[108:111], v44 offset:800
	v_add_f32_e32 v67, v67, v112
	ds_read_b128 v[112:115], v44 offset:816
	buffer_load_dword v119, off, s[0:3], 0 offset:404
	buffer_load_dword v118, off, s[0:3], 0 offset:400
	;; [unrolled: 1-line block ×6, first 2 shown]
	v_add_f32_e32 v1, v18, v1
	v_fma_f32 v10, v10, v58, -v11
	v_add_f32_e32 v1, v1, v10
	v_mul_f32_e32 v10, v13, v51
	v_fma_f32 v10, v12, v62, -v10
	buffer_load_dword v127, off, s[0:3], 0 offset:436
	buffer_load_dword v126, off, s[0:3], 0 offset:432
	buffer_load_dword v129, off, s[0:3], 0 offset:428
	buffer_load_dword v128, off, s[0:3], 0 offset:424
	buffer_load_dword v131, off, s[0:3], 0 offset:420
	buffer_load_dword v130, off, s[0:3], 0 offset:416
	buffer_load_dword v133, off, s[0:3], 0 offset:412
	buffer_load_dword v132, off, s[0:3], 0 offset:408
	buffer_load_dword v135, off, s[0:3], 0 offset:444
	buffer_load_dword v134, off, s[0:3], 0 offset:440
	v_add_f32_e32 v1, v1, v10
	v_mul_f32_e32 v10, v15, v52
	v_fma_f32 v10, v14, v59, -v10
	v_add_f32_e32 v1, v1, v10
	v_mul_f32_e32 v10, v17, v53
	v_fma_f32 v10, v16, v57, -v10
	v_mul_f32_e32 v7, v7, v54
	v_add_f32_e32 v1, v1, v10
	v_fma_f32 v6, v6, v56, -v7
	v_add_f32_e32 v1, v1, v6
	v_mul_f32_e32 v6, v9, v55
	v_fma_f32 v6, v8, v137, -v6
	v_mul_f32_e32 v3, v3, v138
	v_add_f32_e32 v1, v1, v6
	v_fma_f32 v2, v2, v136, -v3
	v_add_f32_e32 v1, v1, v2
	v_mul_f32_e32 v2, v5, v139
	v_fma_f32 v2, v4, v124, -v2
	v_add_f32_e32 v1, v1, v2
	v_mul_f32_e32 v2, v31, v140
	v_fma_f32 v2, v30, v66, -v2
	v_add_f32_e32 v1, v1, v2
	v_mul_f32_e32 v2, v33, v142
	v_fma_f32 v2, v32, v141, -v2
	v_add_f32_e32 v1, v1, v2
	v_mul_f32_e32 v2, v35, v144
	v_fma_f32 v2, v34, v143, -v2
	v_add_f32_e32 v1, v1, v2
	v_mul_f32_e32 v2, v37, v146
	v_fma_f32 v2, v36, v145, -v2
	v_add_f32_e32 v1, v1, v2
	v_mul_f32_e32 v2, v39, v206
	v_fma_f32 v2, v38, v147, -v2
	v_add_f32_e32 v1, v1, v2
	v_mul_f32_e32 v2, v41, v208
	v_fma_f32 v2, v40, v207, -v2
	v_add_f32_e32 v1, v1, v2
	v_mul_f32_e32 v2, v69, v210
	v_fma_f32 v2, v68, v209, -v2
	v_add_f32_e32 v1, v1, v2
	v_mul_f32_e32 v2, v71, v212
	v_fma_f32 v2, v70, v211, -v2
	v_add_f32_e32 v1, v1, v2
	v_mul_f32_e32 v2, v73, v214
	v_fma_f32 v2, v72, v213, -v2
	v_add_f32_e32 v1, v1, v2
	v_mul_f32_e32 v2, v75, v216
	v_fma_f32 v2, v74, v215, -v2
	v_add_f32_e32 v1, v1, v2
	v_mul_f32_e32 v2, v77, v218
	v_fma_f32 v2, v76, v217, -v2
	v_add_f32_e32 v1, v1, v2
	v_mul_f32_e32 v2, v79, v220
	v_fma_f32 v2, v78, v219, -v2
	v_add_f32_e32 v1, v1, v2
	v_mul_f32_e32 v2, v81, v222
	v_fma_f32 v2, v80, v221, -v2
	v_add_f32_e32 v1, v1, v2
	v_mul_f32_e32 v2, v83, v224
	v_fma_f32 v2, v82, v223, -v2
	v_add_f32_e32 v1, v1, v2
	v_mul_f32_e32 v2, v85, v226
	v_fma_f32 v2, v84, v225, -v2
	v_add_f32_e32 v1, v1, v2
	v_mul_f32_e32 v2, v87, v228
	v_fma_f32 v2, v86, v227, -v2
	v_add_f32_e32 v1, v1, v2
	v_mul_f32_e32 v2, v89, v230
	v_fma_f32 v2, v88, v229, -v2
	v_add_f32_e32 v1, v1, v2
	v_mul_f32_e32 v2, v91, v232
	v_fma_f32 v2, v90, v231, -v2
	v_add_f32_e32 v1, v1, v2
	v_mul_f32_e32 v2, v93, v234
	v_fma_f32 v2, v92, v233, -v2
	v_add_f32_e32 v1, v1, v2
	v_mul_f32_e32 v2, v95, v236
	v_fma_f32 v2, v94, v235, -v2
	v_add_f32_e32 v1, v1, v2
	v_mul_f32_e32 v2, v97, v238
	v_fma_f32 v2, v96, v237, -v2
	v_add_f32_e32 v1, v1, v2
	v_mul_f32_e32 v2, v99, v240
	v_fma_f32 v2, v98, v239, -v2
	v_add_f32_e32 v1, v1, v2
	v_mul_f32_e32 v2, v101, v242
	v_fma_f32 v2, v100, v241, -v2
	v_add_f32_e32 v1, v1, v2
	v_mul_f32_e32 v2, v103, v244
	v_fma_f32 v2, v102, v243, -v2
	v_add_f32_e32 v1, v1, v2
	v_mul_f32_e32 v2, v105, v246
	v_fma_f32 v2, v104, v245, -v2
	v_add_f32_e32 v1, v1, v2
	v_mul_f32_e32 v2, v107, v248
	v_fma_f32 v2, v106, v247, -v2
	v_add_f32_e32 v1, v1, v2
	s_waitcnt vmcnt(22) lgkmcnt(1)
	v_mul_f32_e32 v2, v109, v250
	v_mul_f32_e32 v117, v108, v250
	v_fma_f32 v2, v108, v249, -v2
	v_fmac_f32_e32 v117, v109, v249
	v_add_f32_e32 v1, v1, v2
	s_waitcnt vmcnt(20)
	v_mul_f32_e32 v2, v111, v252
	v_add_f32_e32 v67, v67, v117
	v_mul_f32_e32 v117, v110, v252
	v_fma_f32 v2, v110, v251, -v2
	v_fmac_f32_e32 v117, v111, v251
	v_add_f32_e32 v66, v1, v2
	ds_read_b128 v[2:5], v44 offset:832
	ds_read_b128 v[6:9], v44 offset:848
	;; [unrolled: 1-line block ×4, first 2 shown]
	v_add_f32_e32 v67, v67, v117
	s_waitcnt vmcnt(18) lgkmcnt(4)
	v_mul_f32_e32 v117, v112, v254
	v_mul_f32_e32 v1, v113, v254
	s_waitcnt vmcnt(11)
	v_mov_b32_e32 v20, v123
	v_fmac_f32_e32 v117, v113, v253
	v_mul_f32_e32 v125, v114, v148
	v_fma_f32 v116, v112, v253, -v1
	v_mul_f32_e32 v1, v115, v148
	s_waitcnt lgkmcnt(3)
	v_pk_mul_f32 v[20:21], v[2:3], v[20:21] op_sel_hi:[1,0]
	v_fmac_f32_e32 v125, v115, v255
	v_fma_f32 v124, v114, v255, -v1
	v_pk_add_f32 v[18:19], v[66:67], v[116:117]
	s_waitcnt vmcnt(10)
	v_pk_fma_f32 v[22:23], v[2:3], v[122:123], v[20:21] op_sel:[0,0,1] op_sel_hi:[1,1,0] neg_lo:[0,0,1] neg_hi:[0,0,1]
	v_pk_fma_f32 v[2:3], v[2:3], v[122:123], v[20:21] op_sel:[0,0,1] op_sel_hi:[1,0,0]
	v_pk_add_f32 v[18:19], v[18:19], v[124:125]
	v_mov_b32_e32 v23, v3
	v_pk_add_f32 v[2:3], v[18:19], v[22:23]
	v_mov_b32_e32 v18, v121
	v_pk_mul_f32 v[18:19], v[4:5], v[18:19] op_sel_hi:[1,0]
	v_pk_fma_f32 v[20:21], v[4:5], v[120:121], v[18:19] op_sel:[0,0,1] op_sel_hi:[1,1,0] neg_lo:[0,0,1] neg_hi:[0,0,1]
	v_pk_fma_f32 v[4:5], v[4:5], v[120:121], v[18:19] op_sel:[0,0,1] op_sel_hi:[1,0,0]
	v_mov_b32_e32 v4, v119
	v_mov_b32_e32 v21, v5
	s_waitcnt lgkmcnt(2)
	v_pk_mul_f32 v[4:5], v[6:7], v[4:5] op_sel_hi:[1,0]
	v_pk_fma_f32 v[18:19], v[6:7], v[118:119], v[4:5] op_sel:[0,0,1] op_sel_hi:[1,1,0] neg_lo:[0,0,1] neg_hi:[0,0,1]
	v_pk_fma_f32 v[4:5], v[6:7], v[118:119], v[4:5] op_sel:[0,0,1] op_sel_hi:[1,0,0]
	s_waitcnt vmcnt(3)
	v_mov_b32_e32 v4, v133
	v_mov_b32_e32 v19, v5
	v_pk_mul_f32 v[4:5], v[8:9], v[4:5] op_sel_hi:[1,0]
	s_waitcnt vmcnt(2)
	v_pk_fma_f32 v[6:7], v[8:9], v[132:133], v[4:5] op_sel:[0,0,1] op_sel_hi:[1,1,0] neg_lo:[0,0,1] neg_hi:[0,0,1]
	v_pk_fma_f32 v[4:5], v[8:9], v[132:133], v[4:5] op_sel:[0,0,1] op_sel_hi:[1,0,0]
	v_pk_add_f32 v[2:3], v[2:3], v[20:21]
	v_mov_b32_e32 v4, v131
	v_pk_add_f32 v[2:3], v[2:3], v[18:19]
	v_mov_b32_e32 v7, v5
	s_waitcnt lgkmcnt(1)
	v_pk_mul_f32 v[4:5], v[10:11], v[4:5] op_sel_hi:[1,0]
	v_pk_add_f32 v[2:3], v[2:3], v[6:7]
	v_pk_fma_f32 v[6:7], v[10:11], v[130:131], v[4:5] op_sel:[0,0,1] op_sel_hi:[1,1,0] neg_lo:[0,0,1] neg_hi:[0,0,1]
	v_pk_fma_f32 v[4:5], v[10:11], v[130:131], v[4:5] op_sel:[0,0,1] op_sel_hi:[1,0,0]
	v_mov_b32_e32 v4, v129
	v_mov_b32_e32 v7, v5
	v_pk_mul_f32 v[4:5], v[12:13], v[4:5] op_sel_hi:[1,0]
	v_pk_add_f32 v[2:3], v[2:3], v[6:7]
	v_pk_fma_f32 v[6:7], v[12:13], v[128:129], v[4:5] op_sel:[0,0,1] op_sel_hi:[1,1,0] neg_lo:[0,0,1] neg_hi:[0,0,1]
	v_pk_fma_f32 v[4:5], v[12:13], v[128:129], v[4:5] op_sel:[0,0,1] op_sel_hi:[1,0,0]
	v_mov_b32_e32 v4, v127
	v_mov_b32_e32 v7, v5
	s_waitcnt lgkmcnt(0)
	v_pk_mul_f32 v[4:5], v[14:15], v[4:5] op_sel_hi:[1,0]
	v_pk_add_f32 v[2:3], v[2:3], v[6:7]
	v_pk_fma_f32 v[6:7], v[14:15], v[126:127], v[4:5] op_sel:[0,0,1] op_sel_hi:[1,1,0] neg_lo:[0,0,1] neg_hi:[0,0,1]
	v_pk_fma_f32 v[4:5], v[14:15], v[126:127], v[4:5] op_sel:[0,0,1] op_sel_hi:[1,0,0]
	s_waitcnt vmcnt(1)
	v_mov_b32_e32 v4, v135
	v_mov_b32_e32 v7, v5
	v_pk_mul_f32 v[4:5], v[16:17], v[4:5] op_sel_hi:[1,0]
	v_pk_add_f32 v[2:3], v[2:3], v[6:7]
	s_waitcnt vmcnt(0)
	v_pk_fma_f32 v[6:7], v[16:17], v[134:135], v[4:5] op_sel:[0,0,1] op_sel_hi:[1,1,0] neg_lo:[0,0,1] neg_hi:[0,0,1]
	v_pk_fma_f32 v[4:5], v[16:17], v[134:135], v[4:5] op_sel:[0,0,1] op_sel_hi:[1,0,0]
	v_mov_b32_e32 v7, v5
	v_pk_add_f32 v[2:3], v[2:3], v[6:7]
	v_pk_add_f32 v[2:3], v[42:43], v[2:3] neg_lo:[0,1] neg_hi:[0,1]
	buffer_store_dword v3, off, s[0:3], 0 offset:28
	buffer_store_dword v2, off, s[0:3], 0 offset:24
	s_and_saveexec_b64 s[4:5], vcc
	s_cbranch_execz .LBB119_345
; %bb.344:
	buffer_load_dword v2, off, s[0:3], 0 offset:16
	buffer_load_dword v3, off, s[0:3], 0 offset:20
	v_mov_b32_e32 v1, 0
	buffer_store_dword v1, off, s[0:3], 0 offset:16
	buffer_store_dword v1, off, s[0:3], 0 offset:20
	s_waitcnt vmcnt(2)
	ds_write_b64 v161, v[2:3]
.LBB119_345:
	s_or_b64 exec, exec, s[4:5]
	v_mov_b32_e32 v230, 0
	s_waitcnt lgkmcnt(0)
	; wave barrier
	s_waitcnt lgkmcnt(0)
	ds_read2_b64 v[2:5], v230 offset0:59 offset1:60
	buffer_load_dword v206, off, s[0:3], 0 offset:16
	buffer_load_dword v207, off, s[0:3], 0 offset:20
	;; [unrolled: 1-line block ×16, first 2 shown]
	v_cmp_lt_u32_e32 vcc, 1, v0
	s_waitcnt vmcnt(12) lgkmcnt(0)
	v_mul_f32_e32 v1, v2, v231
	v_fmac_f32_e32 v1, v3, v208
	s_waitcnt vmcnt(10)
	v_mul_f32_e32 v6, v4, v233
	v_add_f32_e32 v1, 0, v1
	v_fmac_f32_e32 v6, v5, v210
	v_add_f32_e32 v1, v1, v6
	ds_read2_b64 v[6:9], v230 offset0:61 offset1:62
	v_mul_f32_e32 v3, v3, v231
	v_fma_f32 v2, v2, v208, -v3
	v_mul_f32_e32 v3, v5, v233
	v_add_f32_e32 v2, 0, v2
	s_waitcnt vmcnt(8) lgkmcnt(0)
	v_mul_f32_e32 v10, v6, v235
	v_fmac_f32_e32 v10, v7, v214
	v_add_f32_e32 v1, v1, v10
	s_waitcnt vmcnt(6)
	v_mul_f32_e32 v10, v8, v237
	v_fmac_f32_e32 v10, v9, v232
	v_add_f32_e32 v1, v1, v10
	ds_read2_b64 v[10:13], v230 offset0:63 offset1:64
	v_fma_f32 v3, v4, v210, -v3
	v_add_f32_e32 v2, v2, v3
	v_mul_f32_e32 v3, v7, v235
	v_fma_f32 v3, v6, v214, -v3
	s_waitcnt vmcnt(4) lgkmcnt(0)
	v_mul_f32_e32 v14, v10, v239
	v_fmac_f32_e32 v14, v11, v234
	v_add_f32_e32 v1, v1, v14
	s_waitcnt vmcnt(2)
	v_mul_f32_e32 v14, v12, v240
	v_fmac_f32_e32 v14, v13, v236
	v_add_f32_e32 v1, v1, v14
	ds_read2_b64 v[14:17], v230 offset0:65 offset1:66
	buffer_load_dword v242, off, s[0:3], 0 offset:80
	buffer_load_dword v243, off, s[0:3], 0 offset:84
	v_add_f32_e32 v2, v2, v3
	v_mul_f32_e32 v3, v9, v237
	v_fma_f32 v3, v8, v232, -v3
	s_waitcnt vmcnt(2) lgkmcnt(0)
	v_mul_f32_e32 v18, v14, v241
	v_fmac_f32_e32 v18, v15, v238
	v_add_f32_e32 v1, v1, v18
	v_add_f32_e32 v2, v2, v3
	v_mul_f32_e32 v3, v11, v239
	v_fma_f32 v3, v10, v234, -v3
	v_add_f32_e32 v2, v2, v3
	v_mul_f32_e32 v3, v13, v240
	v_fma_f32 v3, v12, v236, -v3
	;; [unrolled: 3-line block ×3, first 2 shown]
	v_add_f32_e32 v2, v2, v3
	s_waitcnt vmcnt(0)
	v_mul_f32_e32 v18, v16, v243
	v_fmac_f32_e32 v18, v17, v242
	v_add_f32_e32 v1, v1, v18
	ds_read2_b64 v[18:21], v230 offset0:67 offset1:68
	buffer_load_dword v244, off, s[0:3], 0 offset:88
	buffer_load_dword v245, off, s[0:3], 0 offset:92
	;; [unrolled: 1-line block ×4, first 2 shown]
	v_mul_f32_e32 v3, v17, v243
	v_fma_f32 v3, v16, v242, -v3
	v_add_f32_e32 v2, v2, v3
	s_waitcnt vmcnt(2) lgkmcnt(0)
	v_mul_f32_e32 v22, v18, v245
	v_fmac_f32_e32 v22, v19, v244
	v_add_f32_e32 v1, v1, v22
	s_waitcnt vmcnt(0)
	v_mul_f32_e32 v22, v20, v247
	v_fmac_f32_e32 v22, v21, v246
	v_add_f32_e32 v1, v1, v22
	ds_read2_b64 v[22:25], v230 offset0:69 offset1:70
	buffer_load_dword v248, off, s[0:3], 0 offset:104
	buffer_load_dword v249, off, s[0:3], 0 offset:108
	buffer_load_dword v250, off, s[0:3], 0 offset:112
	buffer_load_dword v251, off, s[0:3], 0 offset:116
	v_mul_f32_e32 v3, v19, v245
	v_fma_f32 v3, v18, v244, -v3
	v_add_f32_e32 v2, v2, v3
	v_mul_f32_e32 v3, v21, v247
	v_fma_f32 v3, v20, v246, -v3
	v_add_f32_e32 v2, v2, v3
	s_waitcnt vmcnt(2) lgkmcnt(0)
	v_mul_f32_e32 v26, v22, v249
	v_fmac_f32_e32 v26, v23, v248
	v_add_f32_e32 v1, v1, v26
	s_waitcnt vmcnt(0)
	v_mul_f32_e32 v26, v24, v251
	v_fmac_f32_e32 v26, v25, v250
	v_add_f32_e32 v1, v1, v26
	ds_read2_b64 v[26:29], v230 offset0:71 offset1:72
	buffer_load_dword v252, off, s[0:3], 0 offset:120
	buffer_load_dword v253, off, s[0:3], 0 offset:124
	buffer_load_dword v254, off, s[0:3], 0 offset:128
	buffer_load_dword v255, off, s[0:3], 0 offset:132
	v_mul_f32_e32 v3, v23, v249
	v_fma_f32 v3, v22, v248, -v3
	v_add_f32_e32 v2, v2, v3
	;; [unrolled: 19-line block ×4, first 2 shown]
	v_mul_f32_e32 v2, v33, v96
	v_fma_f32 v2, v32, v95, -v2
	v_add_f32_e32 v1, v1, v2
	s_waitcnt vmcnt(2) lgkmcnt(0)
	v_mul_f32_e32 v39, v34, v98
	v_fmac_f32_e32 v39, v35, v97
	v_add_f32_e32 v38, v38, v39
	s_waitcnt vmcnt(0)
	v_mul_f32_e32 v39, v36, v100
	v_fmac_f32_e32 v39, v37, v99
	v_add_f32_e32 v42, v38, v39
	ds_read2_b64 v[38:41], v230 offset0:77 offset1:78
	buffer_load_dword v101, off, s[0:3], 0 offset:168
	buffer_load_dword v102, off, s[0:3], 0 offset:172
	buffer_load_dword v103, off, s[0:3], 0 offset:176
	buffer_load_dword v104, off, s[0:3], 0 offset:180
	ds_read2_b64 v[46:49], v230 offset0:79 offset1:80
	buffer_load_dword v105, off, s[0:3], 0 offset:184
	buffer_load_dword v106, off, s[0:3], 0 offset:188
	buffer_load_dword v107, off, s[0:3], 0 offset:192
	buffer_load_dword v108, off, s[0:3], 0 offset:196
	;; [unrolled: 5-line block ×13, first 2 shown]
	v_mul_f32_e32 v2, v35, v98
	v_fma_f32 v2, v34, v97, -v2
	v_add_f32_e32 v1, v1, v2
	v_mul_f32_e32 v2, v37, v100
	v_fma_f32 v2, v36, v99, -v2
	v_add_f32_e32 v1, v1, v2
	s_waitcnt vmcnt(50) lgkmcnt(12)
	v_mul_f32_e32 v43, v38, v102
	v_fmac_f32_e32 v43, v39, v101
	v_add_f32_e32 v42, v42, v43
	s_waitcnt vmcnt(48)
	v_mul_f32_e32 v43, v40, v104
	v_fmac_f32_e32 v43, v41, v103
	v_add_f32_e32 v42, v42, v43
	s_waitcnt vmcnt(46) lgkmcnt(11)
	v_mul_f32_e32 v43, v46, v106
	v_fmac_f32_e32 v43, v47, v105
	v_add_f32_e32 v42, v42, v43
	s_waitcnt vmcnt(44)
	v_mul_f32_e32 v43, v48, v108
	v_fmac_f32_e32 v43, v49, v107
	;; [unrolled: 8-line block ×12, first 2 shown]
	v_add_f32_e32 v42, v42, v43
	s_waitcnt vmcnt(2) lgkmcnt(0)
	v_mul_f32_e32 v43, v90, v150
	v_fmac_f32_e32 v43, v91, v149
	v_add_f32_e32 v209, v42, v43
	ds_read2_b64 v[42:45], v230 offset0:103 offset1:104
	buffer_load_dword v153, off, s[0:3], 0 offset:376
	buffer_load_dword v154, off, s[0:3], 0 offset:380
	buffer_load_dword v213, off, s[0:3], 0 offset:388
	buffer_load_dword v212, off, s[0:3], 0 offset:384
	buffer_load_dword v229, off, s[0:3], 0 offset:396
	buffer_load_dword v228, off, s[0:3], 0 offset:392
	buffer_load_dword v227, off, s[0:3], 0 offset:404
	buffer_load_dword v226, off, s[0:3], 0 offset:400
	buffer_load_dword v225, off, s[0:3], 0 offset:412
	buffer_load_dword v224, off, s[0:3], 0 offset:408
	buffer_load_dword v223, off, s[0:3], 0 offset:420
	buffer_load_dword v222, off, s[0:3], 0 offset:416
	buffer_load_dword v221, off, s[0:3], 0 offset:428
	buffer_load_dword v220, off, s[0:3], 0 offset:424
	buffer_load_dword v219, off, s[0:3], 0 offset:436
	buffer_load_dword v218, off, s[0:3], 0 offset:432
	buffer_load_dword v217, off, s[0:3], 0 offset:444
	buffer_load_dword v216, off, s[0:3], 0 offset:440
	v_mul_f32_e32 v2, v39, v102
	v_fma_f32 v2, v38, v101, -v2
	v_add_f32_e32 v1, v1, v2
	v_mul_f32_e32 v2, v41, v104
	v_fma_f32 v2, v40, v103, -v2
	v_add_f32_e32 v1, v1, v2
	;; [unrolled: 3-line block ×24, first 2 shown]
	v_mul_f32_e32 v2, v91, v150
	v_fma_f32 v2, v90, v149, -v2
	s_waitcnt vmcnt(15)
	v_mov_b32_e32 v18, v213
	v_mul_f32_e32 v211, v92, v152
	v_add_f32_e32 v208, v1, v2
	v_mul_f32_e32 v1, v93, v152
	s_waitcnt lgkmcnt(0)
	v_pk_mul_f32 v[18:19], v[44:45], v[18:19] op_sel_hi:[1,0]
	v_fmac_f32_e32 v211, v93, v151
	v_mul_f32_e32 v215, v42, v154
	v_fma_f32 v210, v92, v151, -v1
	v_mul_f32_e32 v1, v43, v154
	ds_read2_b64 v[2:5], v230 offset0:105 offset1:106
	ds_read2_b64 v[6:9], v230 offset0:107 offset1:108
	;; [unrolled: 1-line block ×3, first 2 shown]
	ds_read_b64 v[14:15], v230 offset:888
	s_waitcnt vmcnt(14)
	v_pk_fma_f32 v[20:21], v[44:45], v[212:213], v[18:19] op_sel:[0,0,1] op_sel_hi:[1,1,0] neg_lo:[0,0,1] neg_hi:[0,0,1]
	v_pk_fma_f32 v[18:19], v[44:45], v[212:213], v[18:19] op_sel:[0,0,1] op_sel_hi:[1,0,0]
	v_fmac_f32_e32 v215, v43, v153
	v_fma_f32 v214, v42, v153, -v1
	v_pk_add_f32 v[16:17], v[208:209], v[210:211]
	s_waitcnt vmcnt(13)
	v_mov_b32_e32 v18, v229
	v_pk_add_f32 v[16:17], v[16:17], v[214:215]
	v_mov_b32_e32 v21, v19
	s_waitcnt lgkmcnt(3)
	v_pk_mul_f32 v[18:19], v[2:3], v[18:19] op_sel_hi:[1,0]
	v_pk_add_f32 v[16:17], v[16:17], v[20:21]
	s_waitcnt vmcnt(12)
	v_pk_fma_f32 v[20:21], v[2:3], v[228:229], v[18:19] op_sel:[0,0,1] op_sel_hi:[1,1,0] neg_lo:[0,0,1] neg_hi:[0,0,1]
	v_pk_fma_f32 v[2:3], v[2:3], v[228:229], v[18:19] op_sel:[0,0,1] op_sel_hi:[1,0,0]
	v_mov_b32_e32 v21, v3
	v_pk_add_f32 v[2:3], v[16:17], v[20:21]
	s_waitcnt vmcnt(11)
	v_mov_b32_e32 v16, v227
	v_pk_mul_f32 v[16:17], v[4:5], v[16:17] op_sel_hi:[1,0]
	s_waitcnt vmcnt(10)
	v_pk_fma_f32 v[18:19], v[4:5], v[226:227], v[16:17] op_sel:[0,0,1] op_sel_hi:[1,1,0] neg_lo:[0,0,1] neg_hi:[0,0,1]
	v_pk_fma_f32 v[4:5], v[4:5], v[226:227], v[16:17] op_sel:[0,0,1] op_sel_hi:[1,0,0]
	s_waitcnt vmcnt(9)
	v_mov_b32_e32 v4, v225
	v_mov_b32_e32 v19, v5
	s_waitcnt lgkmcnt(2)
	v_pk_mul_f32 v[4:5], v[6:7], v[4:5] op_sel_hi:[1,0]
	s_waitcnt vmcnt(8)
	v_pk_fma_f32 v[16:17], v[6:7], v[224:225], v[4:5] op_sel:[0,0,1] op_sel_hi:[1,1,0] neg_lo:[0,0,1] neg_hi:[0,0,1]
	v_pk_fma_f32 v[4:5], v[6:7], v[224:225], v[4:5] op_sel:[0,0,1] op_sel_hi:[1,0,0]
	s_waitcnt vmcnt(7)
	v_mov_b32_e32 v4, v223
	v_mov_b32_e32 v17, v5
	v_pk_mul_f32 v[4:5], v[8:9], v[4:5] op_sel_hi:[1,0]
	s_waitcnt vmcnt(6)
	v_pk_fma_f32 v[6:7], v[8:9], v[222:223], v[4:5] op_sel:[0,0,1] op_sel_hi:[1,1,0] neg_lo:[0,0,1] neg_hi:[0,0,1]
	v_pk_fma_f32 v[4:5], v[8:9], v[222:223], v[4:5] op_sel:[0,0,1] op_sel_hi:[1,0,0]
	v_pk_add_f32 v[2:3], v[2:3], v[18:19]
	s_waitcnt vmcnt(5)
	v_mov_b32_e32 v4, v221
	v_pk_add_f32 v[2:3], v[2:3], v[16:17]
	v_mov_b32_e32 v7, v5
	s_waitcnt lgkmcnt(1)
	v_pk_mul_f32 v[4:5], v[10:11], v[4:5] op_sel_hi:[1,0]
	v_pk_add_f32 v[2:3], v[2:3], v[6:7]
	s_waitcnt vmcnt(4)
	v_pk_fma_f32 v[6:7], v[10:11], v[220:221], v[4:5] op_sel:[0,0,1] op_sel_hi:[1,1,0] neg_lo:[0,0,1] neg_hi:[0,0,1]
	v_pk_fma_f32 v[4:5], v[10:11], v[220:221], v[4:5] op_sel:[0,0,1] op_sel_hi:[1,0,0]
	s_waitcnt vmcnt(3)
	v_mov_b32_e32 v4, v219
	v_mov_b32_e32 v7, v5
	v_pk_mul_f32 v[4:5], v[12:13], v[4:5] op_sel_hi:[1,0]
	v_pk_add_f32 v[2:3], v[2:3], v[6:7]
	s_waitcnt vmcnt(2)
	v_pk_fma_f32 v[6:7], v[12:13], v[218:219], v[4:5] op_sel:[0,0,1] op_sel_hi:[1,1,0] neg_lo:[0,0,1] neg_hi:[0,0,1]
	v_pk_fma_f32 v[4:5], v[12:13], v[218:219], v[4:5] op_sel:[0,0,1] op_sel_hi:[1,0,0]
	s_waitcnt vmcnt(1)
	v_mov_b32_e32 v4, v217
	v_mov_b32_e32 v7, v5
	s_waitcnt lgkmcnt(0)
	v_pk_mul_f32 v[4:5], v[14:15], v[4:5] op_sel_hi:[1,0]
	v_pk_add_f32 v[2:3], v[2:3], v[6:7]
	s_waitcnt vmcnt(0)
	v_pk_fma_f32 v[6:7], v[14:15], v[216:217], v[4:5] op_sel:[0,0,1] op_sel_hi:[1,1,0] neg_lo:[0,0,1] neg_hi:[0,0,1]
	v_pk_fma_f32 v[4:5], v[14:15], v[216:217], v[4:5] op_sel:[0,0,1] op_sel_hi:[1,0,0]
	v_mov_b32_e32 v7, v5
	v_pk_add_f32 v[2:3], v[2:3], v[6:7]
	v_pk_add_f32 v[2:3], v[206:207], v[2:3] neg_lo:[0,1] neg_hi:[0,1]
	buffer_store_dword v3, off, s[0:3], 0 offset:20
	buffer_store_dword v2, off, s[0:3], 0 offset:16
	s_and_saveexec_b64 s[4:5], vcc
	s_cbranch_execz .LBB119_347
; %bb.346:
	buffer_load_dword v2, off, s[0:3], 0 offset:8
	buffer_load_dword v3, off, s[0:3], 0 offset:12
	s_waitcnt vmcnt(0)
	ds_write_b64 v161, v[2:3]
	buffer_store_dword v230, off, s[0:3], 0 offset:8
	buffer_store_dword v230, off, s[0:3], 0 offset:12
.LBB119_347:
	s_or_b64 exec, exec, s[4:5]
	s_waitcnt lgkmcnt(0)
	; wave barrier
	s_waitcnt lgkmcnt(0)
	buffer_load_dword v48, off, s[0:3], 0 offset:20
	buffer_load_dword v47, off, s[0:3], 0 offset:28
	;; [unrolled: 1-line block ×34, first 2 shown]
	ds_read_b128 v[30:33], v230 offset:464
	ds_read_b128 v[26:29], v230 offset:480
	;; [unrolled: 1-line block ×6, first 2 shown]
	buffer_load_dword v150, off, s[0:3], 0 offset:144
	buffer_load_dword v151, off, s[0:3], 0 offset:148
	ds_read_b128 v[10:13], v230 offset:560
	ds_read_b128 v[2:5], v230 offset:576
	buffer_load_dword v152, off, s[0:3], 0 offset:152
	buffer_load_dword v153, off, s[0:3], 0 offset:156
	;; [unrolled: 1-line block ×24, first 2 shown]
	v_cmp_ne_u32_e32 vcc, 0, v0
	s_waitcnt vmcnt(59) lgkmcnt(7)
	v_mul_f32_e32 v34, v30, v48
	s_waitcnt vmcnt(58)
	v_mul_f32_e32 v35, v32, v47
	s_waitcnt vmcnt(57) lgkmcnt(6)
	v_mul_f32_e32 v37, v28, v46
	s_waitcnt vmcnt(56) lgkmcnt(5)
	v_mul_f32_e32 v38, v22, v45
	s_waitcnt vmcnt(55)
	v_mul_f32_e32 v39, v24, v1
	s_waitcnt vmcnt(54)
	v_mul_f32_e32 v36, v26, v49
	s_waitcnt vmcnt(53) lgkmcnt(4)
	v_mul_f32_e32 v40, v18, v44
	s_waitcnt vmcnt(52)
	v_mul_f32_e32 v41, v20, v108
	s_waitcnt vmcnt(51) lgkmcnt(3)
	;; [unrolled: 4-line block ×3, first 2 shown]
	v_mul_f32_e32 v52, v6, v128
	s_waitcnt vmcnt(48)
	v_mul_f32_e32 v53, v8, v129
	s_waitcnt vmcnt(47)
	v_fmac_f32_e32 v36, v27, v130
	s_waitcnt vmcnt(46)
	v_fmac_f32_e32 v35, v33, v131
	;; [unrolled: 2-line block ×3, first 2 shown]
	v_add_f32_e32 v34, 0, v34
	v_add_f32_e32 v34, v34, v35
	;; [unrolled: 1-line block ×3, first 2 shown]
	s_waitcnt vmcnt(41)
	v_fmac_f32_e32 v37, v29, v136
	v_fmac_f32_e32 v38, v23, v135
	v_add_f32_e32 v34, v34, v37
	v_fmac_f32_e32 v39, v25, v134
	v_add_f32_e32 v34, v34, v38
	;; [unrolled: 2-line block ×3, first 2 shown]
	s_waitcnt vmcnt(37)
	v_fmac_f32_e32 v41, v21, v140
	v_add_f32_e32 v34, v34, v40
	v_fmac_f32_e32 v50, v15, v139
	v_add_f32_e32 v34, v34, v41
	;; [unrolled: 2-line block ×4, first 2 shown]
	s_waitcnt vmcnt(33)
	v_fmac_f32_e32 v53, v9, v144
	v_add_f32_e32 v34, v34, v52
	s_waitcnt vmcnt(32) lgkmcnt(1)
	v_mul_f32_e32 v35, v10, v145
	v_add_f32_e32 v34, v34, v53
	v_fmac_f32_e32 v35, v11, v143
	v_add_f32_e32 v34, v34, v35
	s_waitcnt vmcnt(31)
	v_mul_f32_e32 v35, v12, v146
	v_fmac_f32_e32 v35, v13, v142
	v_add_f32_e32 v34, v34, v35
	s_waitcnt vmcnt(30) lgkmcnt(0)
	v_mul_f32_e32 v35, v2, v147
	v_fmac_f32_e32 v35, v3, v141
	v_add_f32_e32 v38, v34, v35
	ds_read_b128 v[34:37], v230 offset:592
	buffer_load_dword v226, off, s[0:3], 0 offset:248
	buffer_load_dword v227, off, s[0:3], 0 offset:252
	;; [unrolled: 1-line block ×4, first 2 shown]
	s_waitcnt vmcnt(32)
	v_mul_f32_e32 v39, v4, v149
	v_fmac_f32_e32 v39, v5, v148
	v_add_f32_e32 v50, v38, v39
	ds_read_b128 v[38:41], v230 offset:608
	buffer_load_dword v231, off, s[0:3], 0 offset:264
	buffer_load_dword v232, off, s[0:3], 0 offset:268
	;; [unrolled: 1-line block ×12, first 2 shown]
	s_waitcnt vmcnt(40) lgkmcnt(1)
	v_mul_f32_e32 v51, v34, v151
	v_fmac_f32_e32 v51, v35, v150
	buffer_load_dword v243, off, s[0:3], 0 offset:312
	buffer_load_dword v244, off, s[0:3], 0 offset:316
	v_add_f32_e32 v50, v50, v51
	s_waitcnt vmcnt(40)
	v_mul_f32_e32 v51, v36, v153
	v_fmac_f32_e32 v51, v37, v152
	buffer_load_dword v245, off, s[0:3], 0 offset:320
	buffer_load_dword v246, off, s[0:3], 0 offset:324
	v_add_f32_e32 v50, v50, v51
	s_waitcnt vmcnt(40) lgkmcnt(0)
	v_mul_f32_e32 v51, v38, v155
	v_fmac_f32_e32 v51, v39, v154
	v_add_f32_e32 v54, v50, v51
	ds_read_b128 v[50:53], v230 offset:624
	buffer_load_dword v247, off, s[0:3], 0 offset:328
	buffer_load_dword v248, off, s[0:3], 0 offset:332
	s_waitcnt vmcnt(40)
	v_mul_f32_e32 v55, v40, v207
	v_fmac_f32_e32 v55, v41, v206
	v_add_f32_e32 v58, v54, v55
	ds_read_b128 v[54:57], v230 offset:640
	buffer_load_dword v249, off, s[0:3], 0 offset:336
	buffer_load_dword v250, off, s[0:3], 0 offset:340
	;; [unrolled: 1-line block ×8, first 2 shown]
	s_waitcnt vmcnt(46) lgkmcnt(1)
	v_mul_f32_e32 v59, v50, v209
	v_fmac_f32_e32 v59, v51, v208
	v_add_f32_e32 v58, v58, v59
	s_waitcnt vmcnt(44)
	v_mul_f32_e32 v59, v52, v211
	v_fmac_f32_e32 v59, v53, v210
	v_add_f32_e32 v58, v58, v59
	s_waitcnt vmcnt(42) lgkmcnt(0)
	v_mul_f32_e32 v59, v54, v213
	v_fmac_f32_e32 v59, v55, v212
	v_add_f32_e32 v62, v58, v59
	buffer_load_dword v157, off, s[0:3], 0 offset:368
	buffer_load_dword v158, off, s[0:3], 0 offset:372
	;; [unrolled: 1-line block ×4, first 2 shown]
	ds_read_b128 v[58:61], v230 offset:656
	s_waitcnt vmcnt(44)
	v_mul_f32_e32 v63, v56, v215
	v_fmac_f32_e32 v63, v57, v214
	v_add_f32_e32 v66, v62, v63
	ds_read_b128 v[62:65], v230 offset:672
	s_waitcnt vmcnt(42) lgkmcnt(1)
	v_mul_f32_e32 v67, v58, v217
	v_fmac_f32_e32 v67, v59, v216
	v_add_f32_e32 v66, v66, v67
	s_waitcnt vmcnt(40)
	v_mul_f32_e32 v67, v60, v219
	v_fmac_f32_e32 v67, v61, v218
	v_add_f32_e32 v66, v66, v67
	s_waitcnt vmcnt(38) lgkmcnt(0)
	v_mul_f32_e32 v67, v62, v221
	v_fmac_f32_e32 v67, v63, v220
	v_add_f32_e32 v70, v66, v67
	ds_read_b128 v[66:69], v230 offset:688
	s_waitcnt vmcnt(36)
	v_mul_f32_e32 v71, v64, v223
	v_fmac_f32_e32 v71, v65, v222
	v_add_f32_e32 v74, v70, v71
	ds_read_b128 v[70:73], v230 offset:704
	s_waitcnt vmcnt(34) lgkmcnt(1)
	v_mul_f32_e32 v75, v66, v225
	v_fmac_f32_e32 v75, v67, v224
	v_add_f32_e32 v74, v74, v75
	v_mul_f32_e32 v31, v31, v48
	v_fma_f32 v30, v30, v132, -v31
	v_mul_f32_e32 v31, v33, v47
	v_add_f32_e32 v30, 0, v30
	v_fma_f32 v31, v32, v131, -v31
	v_mul_f32_e32 v27, v27, v49
	v_add_f32_e32 v30, v30, v31
	;; [unrolled: 3-line block ×4, first 2 shown]
	v_fma_f32 v22, v22, v135, -v23
	v_mul_f32_e32 v1, v25, v1
	s_waitcnt vmcnt(32)
	v_mul_f32_e32 v75, v68, v227
	v_fmac_f32_e32 v75, v69, v226
	v_add_f32_e32 v74, v74, v75
	s_waitcnt vmcnt(30) lgkmcnt(0)
	v_mul_f32_e32 v75, v70, v229
	v_fmac_f32_e32 v75, v71, v228
	v_add_f32_e32 v78, v74, v75
	ds_read_b128 v[74:77], v230 offset:720
	s_waitcnt vmcnt(28)
	v_mul_f32_e32 v79, v72, v232
	v_fmac_f32_e32 v79, v73, v231
	v_add_f32_e32 v82, v78, v79
	ds_read_b128 v[78:81], v230 offset:736
	s_waitcnt vmcnt(26) lgkmcnt(1)
	v_mul_f32_e32 v83, v74, v234
	v_fmac_f32_e32 v83, v75, v233
	v_add_f32_e32 v82, v82, v83
	s_waitcnt vmcnt(24)
	v_mul_f32_e32 v83, v76, v236
	v_fmac_f32_e32 v83, v77, v235
	v_add_f32_e32 v82, v82, v83
	s_waitcnt vmcnt(22) lgkmcnt(0)
	v_mul_f32_e32 v83, v78, v238
	v_fmac_f32_e32 v83, v79, v237
	v_add_f32_e32 v86, v82, v83
	ds_read_b128 v[82:85], v230 offset:752
	s_waitcnt vmcnt(20)
	v_mul_f32_e32 v87, v80, v240
	v_fmac_f32_e32 v87, v81, v239
	v_add_f32_e32 v90, v86, v87
	ds_read_b128 v[86:89], v230 offset:768
	s_waitcnt vmcnt(18) lgkmcnt(1)
	v_mul_f32_e32 v91, v82, v242
	v_fmac_f32_e32 v91, v83, v241
	v_add_f32_e32 v90, v90, v91
	s_waitcnt vmcnt(16)
	v_mul_f32_e32 v91, v84, v244
	v_fmac_f32_e32 v91, v85, v243
	v_add_f32_e32 v90, v90, v91
	s_waitcnt vmcnt(14) lgkmcnt(0)
	v_mul_f32_e32 v91, v86, v246
	v_fmac_f32_e32 v91, v87, v245
	v_add_f32_e32 v94, v90, v91
	ds_read_b128 v[90:93], v230 offset:784
	s_waitcnt vmcnt(12)
	v_mul_f32_e32 v95, v88, v248
	v_fmac_f32_e32 v95, v89, v247
	v_add_f32_e32 v98, v94, v95
	ds_read_b128 v[94:97], v230 offset:800
	buffer_load_dword v107, off, s[0:3], 0 offset:388
	buffer_load_dword v106, off, s[0:3], 0 offset:384
	s_waitcnt vmcnt(12) lgkmcnt(1)
	v_mul_f32_e32 v99, v90, v250
	v_fmac_f32_e32 v99, v91, v249
	v_add_f32_e32 v98, v98, v99
	s_waitcnt vmcnt(10)
	v_mul_f32_e32 v99, v92, v252
	v_fmac_f32_e32 v99, v93, v251
	v_add_f32_e32 v98, v98, v99
	s_waitcnt vmcnt(8) lgkmcnt(0)
	v_mul_f32_e32 v99, v94, v254
	v_fmac_f32_e32 v99, v95, v253
	s_waitcnt vmcnt(6)
	v_mul_f32_e32 v103, v96, v156
	v_add_f32_e32 v22, v26, v22
	v_fma_f32 v1, v24, v134, -v1
	v_mul_f32_e32 v19, v19, v44
	v_add_f32_e32 v102, v98, v99
	v_fmac_f32_e32 v103, v97, v255
	v_add_f32_e32 v1, v22, v1
	v_fma_f32 v18, v18, v133, -v19
	ds_read_b128 v[98:101], v230 offset:816
	v_add_f32_e32 v109, v102, v103
	ds_read_b128 v[102:105], v230 offset:832
	buffer_load_dword v115, off, s[0:3], 0 offset:420
	buffer_load_dword v114, off, s[0:3], 0 offset:416
	;; [unrolled: 1-line block ×14, first 2 shown]
	v_add_f32_e32 v1, v1, v18
	v_mul_f32_e32 v18, v21, v108
	v_fma_f32 v18, v20, v140, -v18
	v_mul_f32_e32 v15, v15, v110
	v_add_f32_e32 v1, v1, v18
	v_fma_f32 v14, v14, v139, -v15
	v_add_f32_e32 v1, v1, v14
	v_mul_f32_e32 v14, v17, v112
	v_fma_f32 v14, v16, v138, -v14
	v_mul_f32_e32 v7, v7, v128
	v_add_f32_e32 v1, v1, v14
	v_fma_f32 v6, v6, v137, -v7
	v_add_f32_e32 v1, v1, v6
	v_mul_f32_e32 v6, v9, v129
	v_fma_f32 v6, v8, v144, -v6
	v_add_f32_e32 v1, v1, v6
	v_mul_f32_e32 v6, v11, v145
	;; [unrolled: 3-line block ×3, first 2 shown]
	v_fma_f32 v6, v12, v142, -v6
	v_mul_f32_e32 v3, v3, v147
	v_add_f32_e32 v1, v1, v6
	v_fma_f32 v2, v2, v141, -v3
	v_add_f32_e32 v1, v1, v2
	v_mul_f32_e32 v2, v5, v149
	v_fma_f32 v2, v4, v148, -v2
	v_add_f32_e32 v1, v1, v2
	v_mul_f32_e32 v2, v35, v151
	;; [unrolled: 3-line block ×29, first 2 shown]
	v_fma_f32 v2, v96, v255, -v2
	s_waitcnt vmcnt(15)
	v_mov_b32_e32 v16, v107
	s_waitcnt lgkmcnt(1)
	v_mul_f32_e32 v111, v98, v158
	v_add_f32_e32 v108, v1, v2
	v_mul_f32_e32 v1, v99, v158
	s_waitcnt lgkmcnt(0)
	v_pk_mul_f32 v[16:17], v[102:103], v[16:17] op_sel_hi:[1,0]
	v_fmac_f32_e32 v111, v99, v157
	v_mul_f32_e32 v113, v100, v160
	v_fma_f32 v110, v98, v157, -v1
	v_mul_f32_e32 v1, v101, v160
	s_waitcnt vmcnt(14)
	v_pk_fma_f32 v[18:19], v[102:103], v[106:107], v[16:17] op_sel:[0,0,1] op_sel_hi:[1,1,0] neg_lo:[0,0,1] neg_hi:[0,0,1]
	v_pk_fma_f32 v[16:17], v[102:103], v[106:107], v[16:17] op_sel:[0,0,1] op_sel_hi:[1,0,0]
	v_fmac_f32_e32 v113, v101, v159
	v_fma_f32 v112, v100, v159, -v1
	v_pk_add_f32 v[14:15], v[108:109], v[110:111]
	s_waitcnt vmcnt(7)
	v_mov_b32_e32 v16, v121
	ds_read_b128 v[2:5], v230 offset:848
	ds_read_b128 v[6:9], v230 offset:864
	;; [unrolled: 1-line block ×3, first 2 shown]
	v_pk_add_f32 v[14:15], v[14:15], v[112:113]
	v_mov_b32_e32 v19, v17
	v_pk_mul_f32 v[16:17], v[104:105], v[16:17] op_sel_hi:[1,0]
	v_pk_add_f32 v[14:15], v[14:15], v[18:19]
	s_waitcnt vmcnt(6)
	v_pk_fma_f32 v[18:19], v[104:105], v[120:121], v[16:17] op_sel:[0,0,1] op_sel_hi:[1,1,0] neg_lo:[0,0,1] neg_hi:[0,0,1]
	v_pk_fma_f32 v[16:17], v[104:105], v[120:121], v[16:17] op_sel:[0,0,1] op_sel_hi:[1,0,0]
	v_mov_b32_e32 v16, v119
	v_mov_b32_e32 v19, v17
	s_waitcnt lgkmcnt(2)
	v_pk_mul_f32 v[16:17], v[2:3], v[16:17] op_sel_hi:[1,0]
	v_pk_add_f32 v[14:15], v[14:15], v[18:19]
	v_pk_fma_f32 v[18:19], v[2:3], v[118:119], v[16:17] op_sel:[0,0,1] op_sel_hi:[1,1,0] neg_lo:[0,0,1] neg_hi:[0,0,1]
	v_pk_fma_f32 v[2:3], v[2:3], v[118:119], v[16:17] op_sel:[0,0,1] op_sel_hi:[1,0,0]
	v_mov_b32_e32 v19, v3
	v_pk_add_f32 v[2:3], v[14:15], v[18:19]
	v_mov_b32_e32 v14, v117
	v_pk_mul_f32 v[14:15], v[4:5], v[14:15] op_sel_hi:[1,0]
	v_pk_fma_f32 v[16:17], v[4:5], v[116:117], v[14:15] op_sel:[0,0,1] op_sel_hi:[1,1,0] neg_lo:[0,0,1] neg_hi:[0,0,1]
	v_pk_fma_f32 v[4:5], v[4:5], v[116:117], v[14:15] op_sel:[0,0,1] op_sel_hi:[1,0,0]
	v_mov_b32_e32 v4, v115
	v_mov_b32_e32 v17, v5
	s_waitcnt lgkmcnt(1)
	v_pk_mul_f32 v[4:5], v[6:7], v[4:5] op_sel_hi:[1,0]
	v_pk_fma_f32 v[14:15], v[6:7], v[114:115], v[4:5] op_sel:[0,0,1] op_sel_hi:[1,1,0] neg_lo:[0,0,1] neg_hi:[0,0,1]
	v_pk_fma_f32 v[4:5], v[6:7], v[114:115], v[4:5] op_sel:[0,0,1] op_sel_hi:[1,0,0]
	s_waitcnt vmcnt(1)
	v_mov_b32_e32 v4, v127
	v_mov_b32_e32 v15, v5
	v_pk_mul_f32 v[4:5], v[8:9], v[4:5] op_sel_hi:[1,0]
	s_waitcnt vmcnt(0)
	v_pk_fma_f32 v[6:7], v[8:9], v[126:127], v[4:5] op_sel:[0,0,1] op_sel_hi:[1,1,0] neg_lo:[0,0,1] neg_hi:[0,0,1]
	v_pk_fma_f32 v[4:5], v[8:9], v[126:127], v[4:5] op_sel:[0,0,1] op_sel_hi:[1,0,0]
	v_pk_add_f32 v[2:3], v[2:3], v[16:17]
	v_mov_b32_e32 v4, v125
	v_pk_add_f32 v[2:3], v[2:3], v[14:15]
	v_mov_b32_e32 v7, v5
	s_waitcnt lgkmcnt(0)
	v_pk_mul_f32 v[4:5], v[10:11], v[4:5] op_sel_hi:[1,0]
	v_pk_add_f32 v[2:3], v[2:3], v[6:7]
	v_pk_fma_f32 v[6:7], v[10:11], v[124:125], v[4:5] op_sel:[0,0,1] op_sel_hi:[1,1,0] neg_lo:[0,0,1] neg_hi:[0,0,1]
	v_pk_fma_f32 v[4:5], v[10:11], v[124:125], v[4:5] op_sel:[0,0,1] op_sel_hi:[1,0,0]
	v_mov_b32_e32 v4, v123
	v_mov_b32_e32 v7, v5
	v_pk_mul_f32 v[4:5], v[12:13], v[4:5] op_sel_hi:[1,0]
	v_pk_add_f32 v[2:3], v[2:3], v[6:7]
	v_pk_fma_f32 v[6:7], v[12:13], v[122:123], v[4:5] op_sel:[0,0,1] op_sel_hi:[1,1,0] neg_lo:[0,0,1] neg_hi:[0,0,1]
	v_pk_fma_f32 v[4:5], v[12:13], v[122:123], v[4:5] op_sel:[0,0,1] op_sel_hi:[1,0,0]
	v_mov_b32_e32 v7, v5
	v_pk_add_f32 v[2:3], v[2:3], v[6:7]
	v_pk_add_f32 v[2:3], v[42:43], v[2:3] neg_lo:[0,1] neg_hi:[0,1]
	buffer_store_dword v3, off, s[0:3], 0 offset:12
	buffer_store_dword v2, off, s[0:3], 0 offset:8
	s_and_saveexec_b64 s[4:5], vcc
	s_cbranch_execz .LBB119_349
; %bb.348:
	buffer_load_dword v0, off, s[0:3], 0
	buffer_load_dword v1, off, s[0:3], 0 offset:4
	v_mov_b32_e32 v2, 0
	buffer_store_dword v2, off, s[0:3], 0
	buffer_store_dword v2, off, s[0:3], 0 offset:4
	s_waitcnt vmcnt(2)
	ds_write_b64 v161, v[0:1]
.LBB119_349:
	s_or_b64 exec, exec, s[4:5]
	s_waitcnt lgkmcnt(0)
	; wave barrier
	s_waitcnt lgkmcnt(0)
	buffer_load_dword v55, off, s[0:3], 0 offset:12
	buffer_load_dword v54, off, s[0:3], 0 offset:20
	;; [unrolled: 1-line block ×38, first 2 shown]
	buffer_load_dword v48, off, s[0:3], 0
	buffer_load_dword v49, off, s[0:3], 0 offset:4
	buffer_load_dword v87, off, s[0:3], 0 offset:160
	buffer_load_dword v140, off, s[0:3], 0 offset:164
	buffer_load_dword v144, off, s[0:3], 0 offset:168
	buffer_load_dword v145, off, s[0:3], 0 offset:172
	buffer_load_dword v146, off, s[0:3], 0 offset:176
	buffer_load_dword v147, off, s[0:3], 0 offset:180
	buffer_load_dword v148, off, s[0:3], 0 offset:184
	buffer_load_dword v149, off, s[0:3], 0 offset:188
	v_mov_b32_e32 v56, 0
	ds_read2_b64 v[20:23], v56 offset0:57 offset1:58
	ds_read2_b64 v[16:19], v56 offset0:59 offset1:60
	;; [unrolled: 1-line block ×6, first 2 shown]
	s_and_b64 vcc, exec, s[16:17]
	s_waitcnt vmcnt(47) lgkmcnt(5)
	v_mul_f32_e32 v24, v20, v55
	s_waitcnt vmcnt(46)
	v_mul_f32_e32 v25, v22, v54
	s_waitcnt vmcnt(45) lgkmcnt(4)
	v_mul_f32_e32 v27, v18, v53
	s_waitcnt vmcnt(44) lgkmcnt(3)
	v_mul_f32_e32 v28, v12, v52
	s_waitcnt vmcnt(43)
	v_mul_f32_e32 v29, v14, v50
	s_waitcnt vmcnt(42)
	v_mul_f32_e32 v26, v16, v57
	s_waitcnt vmcnt(41) lgkmcnt(2)
	v_mul_f32_e32 v30, v8, v51
	s_waitcnt vmcnt(40)
	v_mul_f32_e32 v31, v10, v58
	s_waitcnt vmcnt(39) lgkmcnt(1)
	;; [unrolled: 4-line block ×3, first 2 shown]
	v_mul_f32_e32 v34, v0, v61
	s_waitcnt vmcnt(36)
	v_mul_f32_e32 v35, v2, v62
	s_waitcnt vmcnt(35)
	v_fmac_f32_e32 v26, v17, v68
	s_waitcnt vmcnt(34)
	v_fmac_f32_e32 v25, v23, v71
	;; [unrolled: 2-line block ×3, first 2 shown]
	v_add_f32_e32 v24, 0, v24
	v_add_f32_e32 v24, v24, v25
	;; [unrolled: 1-line block ×3, first 2 shown]
	s_waitcnt vmcnt(29)
	v_fmac_f32_e32 v27, v19, v73
	v_fmac_f32_e32 v28, v13, v70
	v_add_f32_e32 v24, v24, v27
	v_fmac_f32_e32 v29, v15, v67
	v_add_f32_e32 v24, v24, v28
	;; [unrolled: 2-line block ×3, first 2 shown]
	s_waitcnt vmcnt(25)
	v_fmac_f32_e32 v31, v11, v69
	v_add_f32_e32 v24, v24, v30
	v_fmac_f32_e32 v32, v5, v66
	v_add_f32_e32 v24, v24, v31
	;; [unrolled: 2-line block ×4, first 2 shown]
	s_waitcnt vmcnt(21)
	v_fmac_f32_e32 v35, v3, v80
	v_add_f32_e32 v28, v28, v34
	ds_read2_b64 v[24:27], v56 offset0:69 offset1:70
	v_add_f32_e32 v32, v28, v35
	ds_read2_b64 v[28:31], v56 offset0:71 offset1:72
	buffer_load_dword v150, off, s[0:3], 0 offset:192
	buffer_load_dword v151, off, s[0:3], 0 offset:196
	;; [unrolled: 1-line block ×6, first 2 shown]
	s_waitcnt vmcnt(26) lgkmcnt(1)
	v_mul_f32_e32 v33, v24, v79
	v_fmac_f32_e32 v33, v25, v77
	buffer_load_dword v156, off, s[0:3], 0 offset:216
	buffer_load_dword v157, off, s[0:3], 0 offset:220
	v_add_f32_e32 v32, v32, v33
	s_waitcnt vmcnt(27)
	v_mul_f32_e32 v33, v26, v78
	v_fmac_f32_e32 v33, v27, v75
	v_add_f32_e32 v32, v32, v33
	s_waitcnt vmcnt(26) lgkmcnt(0)
	v_mul_f32_e32 v33, v28, v76
	v_fmac_f32_e32 v33, v29, v72
	buffer_load_dword v158, off, s[0:3], 0 offset:224
	buffer_load_dword v159, off, s[0:3], 0 offset:228
	v_add_f32_e32 v32, v32, v33
	s_waitcnt vmcnt(21)
	v_mul_f32_e32 v33, v30, v136
	s_waitcnt vmcnt(20)
	v_fmac_f32_e32 v33, v31, v138
	v_add_f32_e32 v40, v32, v33
	ds_read2_b64 v[32:35], v56 offset0:73 offset1:74
	buffer_load_dword v160, off, s[0:3], 0 offset:232
	buffer_load_dword v161, off, s[0:3], 0 offset:236
	ds_read2_b64 v[36:39], v56 offset0:75 offset1:76
	buffer_load_dword v220, off, s[0:3], 0 offset:240
	buffer_load_dword v221, off, s[0:3], 0 offset:244
	;; [unrolled: 1-line block ×12, first 2 shown]
	s_waitcnt lgkmcnt(1)
	v_mul_f32_e32 v41, v32, v82
	v_fmac_f32_e32 v41, v33, v81
	buffer_load_dword v232, off, s[0:3], 0 offset:288
	buffer_load_dword v233, off, s[0:3], 0 offset:292
	v_add_f32_e32 v40, v40, v41
	v_mul_f32_e32 v41, v34, v84
	v_fmac_f32_e32 v41, v35, v83
	v_add_f32_e32 v40, v40, v41
	s_waitcnt lgkmcnt(0)
	v_mul_f32_e32 v41, v36, v86
	buffer_load_dword v234, off, s[0:3], 0 offset:296
	buffer_load_dword v235, off, s[0:3], 0 offset:300
	v_fmac_f32_e32 v41, v37, v85
	v_add_f32_e32 v44, v40, v41
	ds_read2_b64 v[40:43], v56 offset0:77 offset1:78
	buffer_load_dword v236, off, s[0:3], 0 offset:304
	buffer_load_dword v237, off, s[0:3], 0 offset:308
	;; [unrolled: 1-line block ×4, first 2 shown]
	s_waitcnt vmcnt(38)
	v_mul_f32_e32 v45, v38, v140
	v_fmac_f32_e32 v45, v39, v87
	v_add_f32_e32 v88, v44, v45
	ds_read2_b64 v[44:47], v56 offset0:79 offset1:80
	buffer_load_dword v240, off, s[0:3], 0 offset:320
	buffer_load_dword v241, off, s[0:3], 0 offset:324
	;; [unrolled: 1-line block ×10, first 2 shown]
	s_waitcnt vmcnt(46) lgkmcnt(1)
	v_mul_f32_e32 v89, v40, v145
	v_fmac_f32_e32 v89, v41, v144
	v_add_f32_e32 v88, v88, v89
	s_waitcnt vmcnt(44)
	v_mul_f32_e32 v89, v42, v147
	v_fmac_f32_e32 v89, v43, v146
	v_add_f32_e32 v88, v88, v89
	s_waitcnt vmcnt(42) lgkmcnt(0)
	v_mul_f32_e32 v89, v44, v149
	v_fmac_f32_e32 v89, v45, v148
	v_add_f32_e32 v92, v88, v89
	buffer_load_dword v250, off, s[0:3], 0 offset:360
	buffer_load_dword v251, off, s[0:3], 0 offset:364
	;; [unrolled: 1-line block ×6, first 2 shown]
	ds_read2_b64 v[88:91], v56 offset0:81 offset1:82
	v_mul_f32_e32 v21, v21, v55
	v_fma_f32 v20, v20, v74, -v21
	v_mul_f32_e32 v21, v23, v54
	v_add_f32_e32 v20, 0, v20
	v_fma_f32 v21, v22, v71, -v21
	v_mul_f32_e32 v17, v17, v57
	v_add_f32_e32 v20, v20, v21
	;; [unrolled: 3-line block ×6, first 2 shown]
	v_fma_f32 v8, v8, v65, -v9
	s_waitcnt vmcnt(46)
	v_mul_f32_e32 v93, v46, v151
	v_fmac_f32_e32 v93, v47, v150
	v_add_f32_e32 v96, v92, v93
	ds_read2_b64 v[92:95], v56 offset0:83 offset1:84
	s_waitcnt vmcnt(44) lgkmcnt(1)
	v_mul_f32_e32 v97, v88, v153
	v_fmac_f32_e32 v97, v89, v152
	v_add_f32_e32 v96, v96, v97
	s_waitcnt vmcnt(42)
	v_mul_f32_e32 v97, v90, v155
	v_fmac_f32_e32 v97, v91, v154
	v_add_f32_e32 v96, v96, v97
	s_waitcnt vmcnt(40) lgkmcnt(0)
	v_mul_f32_e32 v97, v92, v157
	v_fmac_f32_e32 v97, v93, v156
	v_add_f32_e32 v100, v96, v97
	ds_read2_b64 v[96:99], v56 offset0:85 offset1:86
	s_waitcnt vmcnt(38)
	v_mul_f32_e32 v101, v94, v159
	v_fmac_f32_e32 v101, v95, v158
	v_add_f32_e32 v104, v100, v101
	ds_read2_b64 v[100:103], v56 offset0:87 offset1:88
	s_waitcnt vmcnt(36) lgkmcnt(1)
	v_mul_f32_e32 v105, v96, v161
	v_fmac_f32_e32 v105, v97, v160
	v_add_f32_e32 v104, v104, v105
	s_waitcnt vmcnt(34)
	v_mul_f32_e32 v105, v98, v221
	v_fmac_f32_e32 v105, v99, v220
	v_add_f32_e32 v104, v104, v105
	s_waitcnt vmcnt(32) lgkmcnt(0)
	v_mul_f32_e32 v105, v100, v223
	v_fmac_f32_e32 v105, v101, v222
	v_add_f32_e32 v108, v104, v105
	ds_read2_b64 v[104:107], v56 offset0:89 offset1:90
	;; [unrolled: 18-line block ×4, first 2 shown]
	s_waitcnt vmcnt(14)
	v_mul_f32_e32 v125, v118, v241
	v_fmac_f32_e32 v125, v119, v240
	v_add_f32_e32 v128, v124, v125
	ds_read2_b64 v[124:127], v56 offset0:99 offset1:100
	s_waitcnt vmcnt(12) lgkmcnt(1)
	v_mul_f32_e32 v129, v120, v243
	v_fmac_f32_e32 v129, v121, v242
	v_add_f32_e32 v128, v128, v129
	s_waitcnt vmcnt(10)
	v_mul_f32_e32 v129, v122, v245
	v_fmac_f32_e32 v129, v123, v244
	v_add_f32_e32 v128, v128, v129
	s_waitcnt vmcnt(8) lgkmcnt(0)
	v_mul_f32_e32 v129, v124, v247
	v_fmac_f32_e32 v129, v125, v246
	s_waitcnt vmcnt(6)
	v_mul_f32_e32 v133, v126, v249
	v_add_f32_e32 v132, v128, v129
	v_fmac_f32_e32 v133, v127, v248
	v_mul_f32_e32 v9, v11, v58
	ds_read2_b64 v[128:131], v56 offset0:101 offset1:102
	v_add_f32_e32 v137, v132, v133
	ds_read2_b64 v[132:135], v56 offset0:103 offset1:104
	buffer_load_dword v143, off, s[0:3], 0 offset:412
	buffer_load_dword v142, off, s[0:3], 0 offset:408
	;; [unrolled: 1-line block ×16, first 2 shown]
	v_add_f32_e32 v8, v12, v8
	v_fma_f32 v9, v10, v69, -v9
	v_mul_f32_e32 v5, v5, v59
	v_add_f32_e32 v8, v8, v9
	v_fma_f32 v4, v4, v66, -v5
	v_mul_f32_e32 v5, v7, v60
	;; [unrolled: 3-line block ×4, first 2 shown]
	v_add_f32_e32 v0, v4, v0
	v_fma_f32 v1, v2, v80, -v1
	v_add_f32_e32 v0, v0, v1
	v_mul_f32_e32 v1, v25, v79
	v_fma_f32 v1, v24, v77, -v1
	v_add_f32_e32 v0, v0, v1
	v_mul_f32_e32 v1, v27, v78
	;; [unrolled: 3-line block ×32, first 2 shown]
	v_fma_f32 v1, v126, v248, -v1
	v_add_f32_e32 v0, v0, v1
	s_waitcnt vmcnt(20) lgkmcnt(1)
	v_mul_f32_e32 v1, v129, v251
	v_mul_f32_e32 v139, v128, v251
	v_fma_f32 v1, v128, v250, -v1
	v_fmac_f32_e32 v139, v129, v250
	v_add_f32_e32 v136, v0, v1
	s_waitcnt vmcnt(18)
	v_mul_f32_e32 v0, v131, v253
	s_waitcnt vmcnt(9)
	v_mov_b32_e32 v16, v211
	v_add_f32_e32 v137, v137, v139
	v_mul_f32_e32 v139, v130, v253
	v_fma_f32 v138, v130, v252, -v0
	s_waitcnt lgkmcnt(0)
	v_mul_f32_e32 v0, v133, v255
	v_pk_mul_f32 v[16:17], v[134:135], v[16:17] op_sel_hi:[1,0]
	v_fmac_f32_e32 v139, v131, v252
	v_mul_f32_e32 v141, v132, v255
	v_fma_f32 v140, v132, v254, -v0
	ds_read2_b64 v[0:3], v56 offset0:105 offset1:106
	ds_read2_b64 v[4:7], v56 offset0:107 offset1:108
	;; [unrolled: 1-line block ×3, first 2 shown]
	ds_read_b64 v[12:13], v56 offset:888
	s_waitcnt vmcnt(8)
	v_pk_fma_f32 v[18:19], v[134:135], v[210:211], v[16:17] op_sel:[0,0,1] op_sel_hi:[1,1,0] neg_lo:[0,0,1] neg_hi:[0,0,1]
	v_pk_fma_f32 v[16:17], v[134:135], v[210:211], v[16:17] op_sel:[0,0,1] op_sel_hi:[1,0,0]
	v_fmac_f32_e32 v141, v133, v254
	v_pk_add_f32 v[14:15], v[136:137], v[138:139]
	v_mov_b32_e32 v16, v209
	v_pk_add_f32 v[14:15], v[14:15], v[140:141]
	v_mov_b32_e32 v19, v17
	s_waitcnt lgkmcnt(3)
	v_pk_mul_f32 v[16:17], v[0:1], v[16:17] op_sel_hi:[1,0]
	v_pk_add_f32 v[14:15], v[14:15], v[18:19]
	v_pk_fma_f32 v[18:19], v[0:1], v[208:209], v[16:17] op_sel:[0,0,1] op_sel_hi:[1,1,0] neg_lo:[0,0,1] neg_hi:[0,0,1]
	v_pk_fma_f32 v[0:1], v[0:1], v[208:209], v[16:17] op_sel:[0,0,1] op_sel_hi:[1,0,0]
	v_mov_b32_e32 v19, v1
	v_pk_add_f32 v[0:1], v[14:15], v[18:19]
	v_mov_b32_e32 v14, v207
	v_pk_mul_f32 v[14:15], v[2:3], v[14:15] op_sel_hi:[1,0]
	v_pk_fma_f32 v[16:17], v[2:3], v[206:207], v[14:15] op_sel:[0,0,1] op_sel_hi:[1,1,0] neg_lo:[0,0,1] neg_hi:[0,0,1]
	v_pk_fma_f32 v[2:3], v[2:3], v[206:207], v[14:15] op_sel:[0,0,1] op_sel_hi:[1,0,0]
	v_mov_b32_e32 v2, v143
	v_mov_b32_e32 v17, v3
	s_waitcnt lgkmcnt(2)
	v_pk_mul_f32 v[2:3], v[4:5], v[2:3] op_sel_hi:[1,0]
	v_pk_fma_f32 v[14:15], v[4:5], v[142:143], v[2:3] op_sel:[0,0,1] op_sel_hi:[1,1,0] neg_lo:[0,0,1] neg_hi:[0,0,1]
	v_pk_fma_f32 v[2:3], v[4:5], v[142:143], v[2:3] op_sel:[0,0,1] op_sel_hi:[1,0,0]
	s_waitcnt vmcnt(1)
	v_mov_b32_e32 v2, v219
	v_mov_b32_e32 v15, v3
	v_pk_mul_f32 v[2:3], v[6:7], v[2:3] op_sel_hi:[1,0]
	s_waitcnt vmcnt(0)
	v_pk_fma_f32 v[4:5], v[6:7], v[218:219], v[2:3] op_sel:[0,0,1] op_sel_hi:[1,1,0] neg_lo:[0,0,1] neg_hi:[0,0,1]
	v_pk_fma_f32 v[2:3], v[6:7], v[218:219], v[2:3] op_sel:[0,0,1] op_sel_hi:[1,0,0]
	v_pk_add_f32 v[0:1], v[0:1], v[16:17]
	v_mov_b32_e32 v2, v217
	v_pk_add_f32 v[0:1], v[0:1], v[14:15]
	v_mov_b32_e32 v5, v3
	s_waitcnt lgkmcnt(1)
	v_pk_mul_f32 v[2:3], v[8:9], v[2:3] op_sel_hi:[1,0]
	v_pk_add_f32 v[0:1], v[0:1], v[4:5]
	v_pk_fma_f32 v[4:5], v[8:9], v[216:217], v[2:3] op_sel:[0,0,1] op_sel_hi:[1,1,0] neg_lo:[0,0,1] neg_hi:[0,0,1]
	v_pk_fma_f32 v[2:3], v[8:9], v[216:217], v[2:3] op_sel:[0,0,1] op_sel_hi:[1,0,0]
	v_mov_b32_e32 v2, v215
	v_mov_b32_e32 v5, v3
	v_pk_mul_f32 v[2:3], v[10:11], v[2:3] op_sel_hi:[1,0]
	v_pk_add_f32 v[0:1], v[0:1], v[4:5]
	v_pk_fma_f32 v[4:5], v[10:11], v[214:215], v[2:3] op_sel:[0,0,1] op_sel_hi:[1,1,0] neg_lo:[0,0,1] neg_hi:[0,0,1]
	v_pk_fma_f32 v[2:3], v[10:11], v[214:215], v[2:3] op_sel:[0,0,1] op_sel_hi:[1,0,0]
	v_mov_b32_e32 v2, v213
	v_mov_b32_e32 v5, v3
	s_waitcnt lgkmcnt(0)
	v_pk_mul_f32 v[2:3], v[12:13], v[2:3] op_sel_hi:[1,0]
	v_pk_add_f32 v[0:1], v[0:1], v[4:5]
	v_pk_fma_f32 v[4:5], v[12:13], v[212:213], v[2:3] op_sel:[0,0,1] op_sel_hi:[1,1,0] neg_lo:[0,0,1] neg_hi:[0,0,1]
	v_pk_fma_f32 v[2:3], v[12:13], v[212:213], v[2:3] op_sel:[0,0,1] op_sel_hi:[1,0,0]
	v_mov_b32_e32 v5, v3
	v_pk_add_f32 v[0:1], v[0:1], v[4:5]
	v_pk_add_f32 v[0:1], v[48:49], v[0:1] neg_lo:[0,1] neg_hi:[0,1]
	buffer_store_dword v1, off, s[0:3], 0 offset:4
	buffer_store_dword v0, off, s[0:3], 0
	s_cbranch_vccz .LBB119_461
; %bb.350:
	v_pk_mov_b32 v[0:1], s[10:11], s[10:11] op_sel:[0,1]
	flat_load_dword v0, v[0:1] offset:216
	s_waitcnt vmcnt(0) lgkmcnt(0)
	v_add_u32_e32 v0, -1, v0
	v_cmp_ne_u32_e32 vcc, 54, v0
	s_and_saveexec_b64 s[4:5], vcc
	s_cbranch_execz .LBB119_352
; %bb.351:
	v_mov_b32_e32 v1, 0
	v_lshl_add_u32 v0, v0, 3, v1
	buffer_load_dword v1, v0, s[0:3], 0 offen
	buffer_load_dword v2, v0, s[0:3], 0 offen offset:4
	buffer_load_dword v3, off, s[0:3], 0 offset:436
	buffer_load_dword v4, off, s[0:3], 0 offset:432
	s_waitcnt vmcnt(3)
	buffer_store_dword v1, off, s[0:3], 0 offset:432
	s_waitcnt vmcnt(3)
	buffer_store_dword v2, off, s[0:3], 0 offset:436
	s_waitcnt vmcnt(3)
	buffer_store_dword v3, v0, s[0:3], 0 offen offset:4
	s_waitcnt vmcnt(3)
	buffer_store_dword v4, v0, s[0:3], 0 offen
.LBB119_352:
	s_or_b64 exec, exec, s[4:5]
	v_pk_mov_b32 v[0:1], s[10:11], s[10:11] op_sel:[0,1]
	flat_load_dword v0, v[0:1] offset:212
	s_waitcnt vmcnt(0) lgkmcnt(0)
	v_add_u32_e32 v0, -1, v0
	v_cmp_ne_u32_e32 vcc, 53, v0
	s_and_saveexec_b64 s[4:5], vcc
	s_cbranch_execz .LBB119_354
; %bb.353:
	v_mov_b32_e32 v1, 0
	v_lshl_add_u32 v0, v0, 3, v1
	buffer_load_dword v1, v0, s[0:3], 0 offen
	buffer_load_dword v2, v0, s[0:3], 0 offen offset:4
	buffer_load_dword v3, off, s[0:3], 0 offset:424
	buffer_load_dword v4, off, s[0:3], 0 offset:428
	s_waitcnt vmcnt(3)
	buffer_store_dword v1, off, s[0:3], 0 offset:424
	s_waitcnt vmcnt(3)
	buffer_store_dword v2, off, s[0:3], 0 offset:428
	s_waitcnt vmcnt(3)
	buffer_store_dword v3, v0, s[0:3], 0 offen
	s_waitcnt vmcnt(3)
	buffer_store_dword v4, v0, s[0:3], 0 offen offset:4
.LBB119_354:
	s_or_b64 exec, exec, s[4:5]
	v_pk_mov_b32 v[0:1], s[10:11], s[10:11] op_sel:[0,1]
	flat_load_dword v0, v[0:1] offset:208
	s_waitcnt vmcnt(0) lgkmcnt(0)
	v_add_u32_e32 v0, -1, v0
	v_cmp_ne_u32_e32 vcc, 52, v0
	s_and_saveexec_b64 s[4:5], vcc
	s_cbranch_execz .LBB119_356
; %bb.355:
	v_mov_b32_e32 v1, 0
	v_lshl_add_u32 v0, v0, 3, v1
	buffer_load_dword v1, v0, s[0:3], 0 offen
	buffer_load_dword v2, v0, s[0:3], 0 offen offset:4
	buffer_load_dword v3, off, s[0:3], 0 offset:420
	buffer_load_dword v4, off, s[0:3], 0 offset:416
	s_waitcnt vmcnt(3)
	buffer_store_dword v1, off, s[0:3], 0 offset:416
	s_waitcnt vmcnt(3)
	buffer_store_dword v2, off, s[0:3], 0 offset:420
	s_waitcnt vmcnt(3)
	buffer_store_dword v3, v0, s[0:3], 0 offen offset:4
	s_waitcnt vmcnt(3)
	buffer_store_dword v4, v0, s[0:3], 0 offen
.LBB119_356:
	s_or_b64 exec, exec, s[4:5]
	v_pk_mov_b32 v[0:1], s[10:11], s[10:11] op_sel:[0,1]
	flat_load_dword v0, v[0:1] offset:204
	s_waitcnt vmcnt(0) lgkmcnt(0)
	v_add_u32_e32 v0, -1, v0
	v_cmp_ne_u32_e32 vcc, 51, v0
	s_and_saveexec_b64 s[4:5], vcc
	s_cbranch_execz .LBB119_358
; %bb.357:
	v_mov_b32_e32 v1, 0
	v_lshl_add_u32 v0, v0, 3, v1
	buffer_load_dword v1, v0, s[0:3], 0 offen
	buffer_load_dword v2, v0, s[0:3], 0 offen offset:4
	buffer_load_dword v3, off, s[0:3], 0 offset:408
	buffer_load_dword v4, off, s[0:3], 0 offset:412
	s_waitcnt vmcnt(3)
	buffer_store_dword v1, off, s[0:3], 0 offset:408
	s_waitcnt vmcnt(3)
	buffer_store_dword v2, off, s[0:3], 0 offset:412
	s_waitcnt vmcnt(3)
	buffer_store_dword v3, v0, s[0:3], 0 offen
	s_waitcnt vmcnt(3)
	buffer_store_dword v4, v0, s[0:3], 0 offen offset:4
.LBB119_358:
	s_or_b64 exec, exec, s[4:5]
	;; [unrolled: 48-line block ×27, first 2 shown]
	v_pk_mov_b32 v[0:1], s[10:11], s[10:11] op_sel:[0,1]
	flat_load_dword v2, v[0:1]
	s_nop 0
	buffer_load_dword v0, off, s[0:3], 0
	buffer_load_dword v1, off, s[0:3], 0 offset:4
	s_waitcnt vmcnt(0) lgkmcnt(0)
	v_add_u32_e32 v2, -1, v2
	v_cmp_ne_u32_e32 vcc, 0, v2
	s_and_saveexec_b64 s[4:5], vcc
	s_cbranch_execz .LBB119_460
; %bb.459:
	v_mov_b32_e32 v3, 0
	v_lshl_add_u32 v2, v2, 3, v3
	buffer_load_dword v3, v2, s[0:3], 0 offen offset:4
	buffer_load_dword v4, v2, s[0:3], 0 offen
	s_waitcnt vmcnt(1)
	buffer_store_dword v3, off, s[0:3], 0 offset:4
	s_waitcnt vmcnt(1)
	buffer_store_dword v4, off, s[0:3], 0
	buffer_store_dword v1, v2, s[0:3], 0 offen offset:4
	buffer_store_dword v0, v2, s[0:3], 0 offen
	buffer_load_dword v0, off, s[0:3], 0
	s_nop 0
	buffer_load_dword v1, off, s[0:3], 0 offset:4
.LBB119_460:
	s_or_b64 exec, exec, s[4:5]
.LBB119_461:
	buffer_load_dword v2, off, s[0:3], 0 offset:8
	buffer_load_dword v3, off, s[0:3], 0 offset:12
	;; [unrolled: 1-line block ×110, first 2 shown]
	s_waitcnt vmcnt(62)
	global_store_dwordx2 v[196:197], v[0:1], off
	global_store_dwordx2 v[198:199], v[2:3], off
	v_accvgpr_read_b32 v0, a0
	v_accvgpr_read_b32 v1, a1
	global_store_dwordx2 v[0:1], v[4:5], off
	v_accvgpr_read_b32 v0, a2
	v_accvgpr_read_b32 v1, a3
	;; [unrolled: 3-line block ×24, first 2 shown]
	s_waitcnt vmcnt(62)
	global_store_dwordx2 v[0:1], v[50:51], off
	v_accvgpr_read_b32 v0, a48
	v_accvgpr_read_b32 v1, a49
	global_store_dwordx2 v[0:1], v[52:53], off
	v_accvgpr_read_b32 v0, a50
	v_accvgpr_read_b32 v1, a51
	;; [unrolled: 3-line block ×10, first 2 shown]
	global_store_dwordx2 v[0:1], v[70:71], off
	global_store_dwordx2 v[162:163], v[72:73], off
	s_waitcnt vmcnt(62)
	global_store_dwordx2 v[164:165], v[74:75], off
	global_store_dwordx2 v[166:167], v[76:77], off
	;; [unrolled: 1-line block ×6, first 2 shown]
	s_waitcnt vmcnt(62)
	global_store_dwordx2 v[176:177], v[86:87], off
	global_store_dwordx2 v[178:179], v[88:89], off
	;; [unrolled: 1-line block ×3, first 2 shown]
	s_waitcnt vmcnt(62)
	global_store_dwordx2 v[182:183], v[92:93], off
	global_store_dwordx2 v[184:185], v[94:95], off
	s_waitcnt vmcnt(62)
	global_store_dwordx2 v[186:187], v[96:97], off
	s_waitcnt vmcnt(61)
	;; [unrolled: 2-line block ×8, first 2 shown]
	global_store_dwordx2 v[204:205], v[110:111], off
	s_endpgm
	.section	.rodata,"a",@progbits
	.p2align	6, 0x0
	.amdhsa_kernel _ZN9rocsolver6v33100L18getri_kernel_smallILi56E19rocblas_complex_numIfEPKPS3_EEvT1_iilPiilS8_bb
		.amdhsa_group_segment_fixed_size 900
		.amdhsa_private_segment_fixed_size 464
		.amdhsa_kernarg_size 60
		.amdhsa_user_sgpr_count 8
		.amdhsa_user_sgpr_private_segment_buffer 1
		.amdhsa_user_sgpr_dispatch_ptr 0
		.amdhsa_user_sgpr_queue_ptr 0
		.amdhsa_user_sgpr_kernarg_segment_ptr 1
		.amdhsa_user_sgpr_dispatch_id 0
		.amdhsa_user_sgpr_flat_scratch_init 1
		.amdhsa_user_sgpr_kernarg_preload_length 0
		.amdhsa_user_sgpr_kernarg_preload_offset 0
		.amdhsa_user_sgpr_private_segment_size 0
		.amdhsa_uses_dynamic_stack 0
		.amdhsa_system_sgpr_private_segment_wavefront_offset 1
		.amdhsa_system_sgpr_workgroup_id_x 1
		.amdhsa_system_sgpr_workgroup_id_y 0
		.amdhsa_system_sgpr_workgroup_id_z 0
		.amdhsa_system_sgpr_workgroup_info 0
		.amdhsa_system_vgpr_workitem_id 0
		.amdhsa_next_free_vgpr 324
		.amdhsa_next_free_sgpr 22
		.amdhsa_accum_offset 256
		.amdhsa_reserve_vcc 1
		.amdhsa_reserve_flat_scratch 1
		.amdhsa_float_round_mode_32 0
		.amdhsa_float_round_mode_16_64 0
		.amdhsa_float_denorm_mode_32 3
		.amdhsa_float_denorm_mode_16_64 3
		.amdhsa_dx10_clamp 1
		.amdhsa_ieee_mode 1
		.amdhsa_fp16_overflow 0
		.amdhsa_tg_split 0
		.amdhsa_exception_fp_ieee_invalid_op 0
		.amdhsa_exception_fp_denorm_src 0
		.amdhsa_exception_fp_ieee_div_zero 0
		.amdhsa_exception_fp_ieee_overflow 0
		.amdhsa_exception_fp_ieee_underflow 0
		.amdhsa_exception_fp_ieee_inexact 0
		.amdhsa_exception_int_div_zero 0
	.end_amdhsa_kernel
	.section	.text._ZN9rocsolver6v33100L18getri_kernel_smallILi56E19rocblas_complex_numIfEPKPS3_EEvT1_iilPiilS8_bb,"axG",@progbits,_ZN9rocsolver6v33100L18getri_kernel_smallILi56E19rocblas_complex_numIfEPKPS3_EEvT1_iilPiilS8_bb,comdat
.Lfunc_end119:
	.size	_ZN9rocsolver6v33100L18getri_kernel_smallILi56E19rocblas_complex_numIfEPKPS3_EEvT1_iilPiilS8_bb, .Lfunc_end119-_ZN9rocsolver6v33100L18getri_kernel_smallILi56E19rocblas_complex_numIfEPKPS3_EEvT1_iilPiilS8_bb
                                        ; -- End function
	.section	.AMDGPU.csdata,"",@progbits
; Kernel info:
; codeLenInByte = 119644
; NumSgprs: 28
; NumVgprs: 256
; NumAgprs: 68
; TotalNumVgprs: 324
; ScratchSize: 464
; MemoryBound: 0
; FloatMode: 240
; IeeeMode: 1
; LDSByteSize: 900 bytes/workgroup (compile time only)
; SGPRBlocks: 3
; VGPRBlocks: 40
; NumSGPRsForWavesPerEU: 28
; NumVGPRsForWavesPerEU: 324
; AccumOffset: 256
; Occupancy: 1
; WaveLimiterHint : 1
; COMPUTE_PGM_RSRC2:SCRATCH_EN: 1
; COMPUTE_PGM_RSRC2:USER_SGPR: 8
; COMPUTE_PGM_RSRC2:TRAP_HANDLER: 0
; COMPUTE_PGM_RSRC2:TGID_X_EN: 1
; COMPUTE_PGM_RSRC2:TGID_Y_EN: 0
; COMPUTE_PGM_RSRC2:TGID_Z_EN: 0
; COMPUTE_PGM_RSRC2:TIDIG_COMP_CNT: 0
; COMPUTE_PGM_RSRC3_GFX90A:ACCUM_OFFSET: 63
; COMPUTE_PGM_RSRC3_GFX90A:TG_SPLIT: 0
	.section	.text._ZN9rocsolver6v33100L18getri_kernel_smallILi57E19rocblas_complex_numIfEPKPS3_EEvT1_iilPiilS8_bb,"axG",@progbits,_ZN9rocsolver6v33100L18getri_kernel_smallILi57E19rocblas_complex_numIfEPKPS3_EEvT1_iilPiilS8_bb,comdat
	.globl	_ZN9rocsolver6v33100L18getri_kernel_smallILi57E19rocblas_complex_numIfEPKPS3_EEvT1_iilPiilS8_bb ; -- Begin function _ZN9rocsolver6v33100L18getri_kernel_smallILi57E19rocblas_complex_numIfEPKPS3_EEvT1_iilPiilS8_bb
	.p2align	8
	.type	_ZN9rocsolver6v33100L18getri_kernel_smallILi57E19rocblas_complex_numIfEPKPS3_EEvT1_iilPiilS8_bb,@function
_ZN9rocsolver6v33100L18getri_kernel_smallILi57E19rocblas_complex_numIfEPKPS3_EEvT1_iilPiilS8_bb: ; @_ZN9rocsolver6v33100L18getri_kernel_smallILi57E19rocblas_complex_numIfEPKPS3_EEvT1_iilPiilS8_bb
; %bb.0:
	s_add_u32 flat_scratch_lo, s6, s9
	s_addc_u32 flat_scratch_hi, s7, 0
	s_add_u32 s0, s0, s9
	s_addc_u32 s1, s1, 0
	v_cmp_gt_u32_e32 vcc, 57, v0
	s_and_saveexec_b64 s[6:7], vcc
	s_cbranch_execz .LBB120_242
; %bb.1:
	s_load_dword s20, s[4:5], 0x38
	s_load_dwordx2 s[6:7], s[4:5], 0x0
	s_load_dwordx4 s[12:15], s[4:5], 0x28
	s_waitcnt lgkmcnt(0)
	s_bitcmp1_b32 s20, 8
	s_cselect_b64 s[16:17], -1, 0
	s_ashr_i32 s9, s8, 31
	s_lshl_b64 s[10:11], s[8:9], 3
	s_add_u32 s6, s6, s10
	s_addc_u32 s7, s7, s11
	s_load_dwordx2 s[18:19], s[6:7], 0x0
	s_bfe_u32 s6, s20, 0x10008
	s_cmp_eq_u32 s6, 0
                                        ; implicit-def: $sgpr10_sgpr11
	s_cbranch_scc1 .LBB120_3
; %bb.2:
	s_load_dword s6, s[4:5], 0x20
	s_load_dwordx2 s[10:11], s[4:5], 0x18
	s_mul_i32 s7, s8, s13
	s_mul_hi_u32 s13, s8, s12
	s_add_i32 s13, s13, s7
	s_mul_i32 s21, s9, s12
	s_add_i32 s13, s13, s21
	s_mul_i32 s12, s8, s12
	s_waitcnt lgkmcnt(0)
	s_ashr_i32 s7, s6, 31
	s_lshl_b64 s[12:13], s[12:13], 2
	s_add_u32 s10, s10, s12
	s_addc_u32 s11, s11, s13
	s_lshl_b64 s[6:7], s[6:7], 2
	s_add_u32 s10, s10, s6
	s_addc_u32 s11, s11, s7
.LBB120_3:
	s_load_dwordx2 s[6:7], s[4:5], 0x8
	v_lshlrev_b32_e32 v6, 3, v0
	s_waitcnt lgkmcnt(0)
	s_ashr_i32 s5, s6, 31
	s_mov_b32 s4, s6
	s_lshl_b64 s[4:5], s[4:5], 3
	s_add_u32 s4, s18, s4
	s_addc_u32 s5, s19, s5
	s_add_i32 s6, s7, s7
	v_add_u32_e32 v2, s6, v0
	v_ashrrev_i32_e32 v3, 31, v2
	v_lshlrev_b64 v[4:5], 3, v[2:3]
	v_add_u32_e32 v2, s7, v2
	v_mov_b32_e32 v1, s5
	v_add_co_u32_e32 v12, vcc, s4, v4
	v_ashrrev_i32_e32 v3, 31, v2
	v_addc_co_u32_e32 v13, vcc, v1, v5, vcc
	v_lshlrev_b64 v[4:5], 3, v[2:3]
	v_add_u32_e32 v2, s7, v2
	v_add_co_u32_e32 v14, vcc, s4, v4
	v_ashrrev_i32_e32 v3, 31, v2
	v_addc_co_u32_e32 v15, vcc, v1, v5, vcc
	v_lshlrev_b64 v[4:5], 3, v[2:3]
	v_add_u32_e32 v2, s7, v2
	;; [unrolled: 5-line block ×46, first 2 shown]
	v_add_co_u32_e32 v186, vcc, s4, v4
	v_ashrrev_i32_e32 v3, 31, v2
	v_addc_co_u32_e32 v187, vcc, v1, v5, vcc
	v_lshlrev_b64 v[4:5], 3, v[2:3]
	v_add_co_u32_e32 v188, vcc, s4, v4
	v_addc_co_u32_e32 v189, vcc, v1, v5, vcc
	v_mov_b32_e32 v7, s5
	v_add_co_u32_e32 v196, vcc, s4, v6
	s_ashr_i32 s13, s7, 31
	s_mov_b32 s12, s7
	v_add_u32_e32 v2, s7, v2
	v_addc_co_u32_e32 v197, vcc, 0, v7, vcc
	s_lshl_b64 s[12:13], s[12:13], 3
	v_ashrrev_i32_e32 v3, 31, v2
	v_mov_b32_e32 v7, s13
	v_add_co_u32_e32 v200, vcc, s12, v196
	v_addc_co_u32_e32 v201, vcc, v197, v7, vcc
	v_lshlrev_b64 v[10:11], 3, v[2:3]
	v_add_u32_e32 v2, s7, v2
	v_accvgpr_write_b32 a0, v12
	v_add_co_u32_e32 v190, vcc, s4, v10
	v_accvgpr_write_b32 a2, v14
	v_ashrrev_i32_e32 v3, 31, v2
	v_accvgpr_write_b32 a4, v16
	global_load_dwordx2 v[4:5], v6, s[4:5]
	v_accvgpr_write_b32 a1, v13
	global_load_dwordx2 v[12:13], v[12:13], off
	v_addc_co_u32_e32 v191, vcc, v1, v11, vcc
	global_load_dwordx2 v[10:11], v[14:15], off
	v_accvgpr_write_b32 a3, v15
	v_accvgpr_write_b32 a5, v17
	global_load_dwordx2 v[16:17], v[16:17], off
	v_lshlrev_b64 v[14:15], 3, v[2:3]
	v_accvgpr_write_b32 a6, v18
	v_add_co_u32_e32 v192, vcc, s4, v14
	v_accvgpr_write_b32 a10, v22
	v_accvgpr_write_b32 a7, v19
	global_load_dwordx2 v[18:19], v[18:19], off
	v_addc_co_u32_e32 v193, vcc, v1, v15, vcc
	global_load_dwordx2 v[14:15], v[20:21], off
	v_accvgpr_write_b32 a11, v23
	global_load_dwordx2 v[22:23], v[22:23], off
	v_add_u32_e32 v2, s7, v2
	v_ashrrev_i32_e32 v3, 31, v2
	v_accvgpr_write_b32 a8, v20
	v_accvgpr_write_b32 a16, v28
	;; [unrolled: 1-line block ×4, first 2 shown]
	global_load_dwordx2 v[28:29], v[28:29], off
	v_lshlrev_b64 v[20:21], 3, v[2:3]
	v_add_co_u32_e32 v194, vcc, s4, v20
	global_load_dwordx2 v[8:9], v[200:201], off
	v_addc_co_u32_e32 v195, vcc, v1, v21, vcc
	global_load_dwordx2 v[20:21], v[24:25], off
	v_accvgpr_write_b32 a12, v24
	v_accvgpr_write_b32 a20, v32
	;; [unrolled: 1-line block ×4, first 2 shown]
	global_load_dwordx2 v[32:33], v[32:33], off
	v_accvgpr_write_b32 a22, v34
	v_add_u32_e32 v2, s7, v2
	v_accvgpr_write_b32 a23, v35
	global_load_dwordx2 v[34:35], v[34:35], off
	v_ashrrev_i32_e32 v3, 31, v2
	v_accvgpr_write_b32 a14, v26
	v_accvgpr_write_b32 a15, v27
	;; [unrolled: 1-line block ×7, first 2 shown]
	global_load_dwordx2 v[38:39], v[38:39], off
	v_accvgpr_write_b32 a47, v59
	v_accvgpr_write_b32 a24, v36
	;; [unrolled: 1-line block ×27, first 2 shown]
	s_waitcnt vmcnt(12)
	buffer_store_dword v5, off, s[0:3], 0 offset:4
	buffer_store_dword v4, off, s[0:3], 0
	global_load_dwordx2 v[4:5], v[58:59], off
	v_accvgpr_write_b32 a51, v63
	s_waitcnt vmcnt(14)
	buffer_store_dword v13, off, s[0:3], 0 offset:20
	buffer_store_dword v12, off, s[0:3], 0 offset:16
	global_load_dwordx2 v[12:13], v[66:67], off
	v_accvgpr_write_b32 a63, v75
	s_waitcnt vmcnt(16)
	buffer_store_dword v11, off, s[0:3], 0 offset:28
	buffer_store_dword v10, off, s[0:3], 0 offset:24
	global_load_dwordx2 v[10:11], v[70:71], off
	v_accvgpr_write_b32 a40, v52
	s_waitcnt vmcnt(18)
	buffer_store_dword v17, off, s[0:3], 0 offset:36
	buffer_store_dword v16, off, s[0:3], 0 offset:32
	global_load_dwordx2 v[16:17], v[74:75], off
	v_accvgpr_write_b32 a64, v76
	v_accvgpr_write_b32 a41, v53
	s_waitcnt vmcnt(20)
	buffer_store_dword v19, off, s[0:3], 0 offset:44
	s_waitcnt vmcnt(20)
	buffer_store_dword v15, off, s[0:3], 0 offset:52
	buffer_store_dword v14, off, s[0:3], 0 offset:48
	s_waitcnt vmcnt(21)
	buffer_store_dword v23, off, s[0:3], 0 offset:60
	buffer_store_dword v22, off, s[0:3], 0 offset:56
	global_load_dwordx2 v[22:23], v[168:169], off
	v_accvgpr_write_b32 a65, v77
	global_load_dwordx2 v[24:25], v[26:27], off
	global_load_dwordx2 v[58:59], v[68:69], off
	;; [unrolled: 1-line block ×3, first 2 shown]
	v_accvgpr_write_b32 a44, v56
	s_waitcnt vmcnt(26)
	buffer_store_dword v28, off, s[0:3], 0 offset:80
	buffer_store_dword v29, off, s[0:3], 0 offset:84
	global_load_dwordx2 v[28:29], v[180:181], off
	v_accvgpr_write_b32 a54, v66
	s_waitcnt vmcnt(28)
	buffer_store_dword v9, off, s[0:3], 0 offset:12
	buffer_store_dword v8, off, s[0:3], 0 offset:8
	global_load_dwordx2 v[8:9], v[62:63], off
	;; [unrolled: 5-line block ×3, first 2 shown]
	v_lshlrev_b64 v[26:27], 3, v[2:3]
	v_add_co_u32_e32 v198, vcc, s4, v26
	v_addc_co_u32_e32 v199, vcc, v1, v27, vcc
	global_load_dwordx2 v[26:27], v[30:31], off
	v_add_u32_e32 v2, s7, v2
	v_ashrrev_i32_e32 v3, 31, v2
	v_lshlrev_b64 v[30:31], 3, v[2:3]
	v_add_co_u32_e32 v202, vcc, s4, v30
	v_addc_co_u32_e32 v203, vcc, v1, v31, vcc
	global_load_dwordx2 v[30:31], v[36:37], off
	v_add_u32_e32 v2, s7, v2
	v_ashrrev_i32_e32 v3, 31, v2
	s_waitcnt vmcnt(33)
	buffer_store_dword v34, off, s[0:3], 0 offset:104
	buffer_store_dword v35, off, s[0:3], 0 offset:108
	global_load_dwordx2 v[34:35], v[192:193], off
	v_accvgpr_write_b32 a55, v67
	global_load_dwordx2 v[68:69], v[170:171], off
	global_load_dwordx2 v[82:83], v[202:203], off
	;; [unrolled: 1-line block ×3, first 2 shown]
	v_accvgpr_write_b32 a52, v64
	buffer_store_dword v32, off, s[0:3], 0 offset:96
	buffer_store_dword v33, off, s[0:3], 0 offset:100
	global_load_dwordx2 v[32:33], v[188:189], off
	v_accvgpr_write_b32 a58, v70
	buffer_store_dword v18, off, s[0:3], 0 offset:40
	global_load_dwordx2 v[18:19], v[78:79], off
	v_accvgpr_write_b32 a53, v65
	v_accvgpr_write_b32 a59, v71
	s_waitcnt vmcnt(43)
	buffer_store_dword v38, off, s[0:3], 0 offset:120
	buffer_store_dword v39, off, s[0:3], 0 offset:124
	v_accvgpr_write_b32 a66, v78
	v_accvgpr_write_b32 a67, v79
	;; [unrolled: 1-line block ×4, first 2 shown]
	s_bitcmp0_b32 s20, 0
	s_waitcnt vmcnt(26)
	buffer_store_dword v24, off, s[0:3], 0 offset:72
	buffer_store_dword v25, off, s[0:3], 0 offset:76
	global_load_dwordx2 v[24:25], v[176:177], off
	v_lshlrev_b64 v[36:37], 3, v[2:3]
	v_add_u32_e32 v2, s7, v2
	v_add_co_u32_e32 v204, vcc, s4, v36
	v_ashrrev_i32_e32 v3, 31, v2
	v_addc_co_u32_e32 v205, vcc, v1, v37, vcc
	v_lshlrev_b64 v[2:3], 3, v[2:3]
	global_load_dwordx2 v[36:37], v[40:41], off
	v_add_co_u32_e32 v206, vcc, s4, v2
	v_addc_co_u32_e32 v207, vcc, v1, v3, vcc
	global_load_dwordx2 v[2:3], v[54:55], off
	global_load_dwordx2 v[40:41], v[42:43], off
	;; [unrolled: 1-line block ×5, first 2 shown]
	s_mov_b64 s[6:7], -1
	global_load_dwordx2 v[54:55], v[60:61], off
	global_load_dwordx2 v[42:43], v[44:45], off
	s_waitcnt vmcnt(25)
	buffer_store_dword v26, off, s[0:3], 0 offset:88
	buffer_store_dword v27, off, s[0:3], 0 offset:92
	global_load_dwordx2 v[26:27], v[184:185], off
	s_nop 0
	global_load_dwordx2 v[44:45], v[46:47], off
	global_load_dwordx2 v[60:61], v[72:73], off
	;; [unrolled: 1-line block ×3, first 2 shown]
	s_nop 0
	global_load_dwordx2 v[46:47], v[48:49], off
	global_load_dwordx2 v[72:73], v[178:179], off
	;; [unrolled: 1-line block ×5, first 2 shown]
	s_nop 0
	global_load_dwordx2 v[48:49], v[50:51], off
	s_nop 0
	global_load_dwordx2 v[50:51], v[52:53], off
	;; [unrolled: 2-line block ×3, first 2 shown]
	s_waitcnt vmcnt(38)
	buffer_store_dword v31, off, s[0:3], 0 offset:116
	buffer_store_dword v30, off, s[0:3], 0 offset:112
	global_load_dwordx2 v[30:31], v[198:199], off
	s_nop 0
	global_load_dwordx2 v[56:57], v[64:65], off
	s_nop 0
	;; [unrolled: 2-line block ×3, first 2 shown]
	global_load_dwordx2 v[80:81], v[194:195], off
	s_waitcnt vmcnt(27)
	buffer_store_dword v36, off, s[0:3], 0 offset:128
	buffer_store_dword v37, off, s[0:3], 0 offset:132
	s_waitcnt vmcnt(27)
	buffer_store_dword v40, off, s[0:3], 0 offset:136
	buffer_store_dword v41, off, s[0:3], 0 offset:140
	;; [unrolled: 3-line block ×7, first 2 shown]
	buffer_store_dword v2, off, s[0:3], 0 offset:184
	buffer_store_dword v3, off, s[0:3], 0 offset:188
	s_waitcnt vmcnt(22)
	buffer_store_dword v52, off, s[0:3], 0 offset:192
	buffer_store_dword v53, off, s[0:3], 0 offset:196
	;; [unrolled: 1-line block ×8, first 2 shown]
	s_waitcnt vmcnt(26)
	buffer_store_dword v56, off, s[0:3], 0 offset:224
	buffer_store_dword v57, off, s[0:3], 0 offset:228
	;; [unrolled: 1-line block ×16, first 2 shown]
	s_waitcnt vmcnt(41)
	buffer_store_dword v64, off, s[0:3], 0 offset:288
	buffer_store_dword v65, off, s[0:3], 0 offset:292
	;; [unrolled: 1-line block ×32, first 2 shown]
	s_waitcnt vmcnt(62)
	buffer_store_dword v80, off, s[0:3], 0 offset:416
	buffer_store_dword v81, off, s[0:3], 0 offset:420
	;; [unrolled: 1-line block ×10, first 2 shown]
	s_cbranch_scc1 .LBB120_240
; %bb.4:
	v_cmp_eq_u32_e64 s[4:5], 0, v0
	s_and_saveexec_b64 s[6:7], s[4:5]
	s_cbranch_execz .LBB120_6
; %bb.5:
	v_mov_b32_e32 v1, 0
	ds_write_b32 v1, v1 offset:456
.LBB120_6:
	s_or_b64 exec, exec, s[6:7]
	v_mov_b32_e32 v1, 0
	v_lshl_add_u32 v7, v0, 3, v1
	s_waitcnt lgkmcnt(0)
	; wave barrier
	s_waitcnt lgkmcnt(0)
	buffer_load_dword v1, v7, s[0:3], 0 offen
	buffer_load_dword v2, v7, s[0:3], 0 offen offset:4
	s_waitcnt vmcnt(1)
	v_cmp_eq_f32_e32 vcc, 0, v1
	s_waitcnt vmcnt(0)
	v_cmp_eq_f32_e64 s[6:7], 0, v2
	s_and_b64 s[6:7], vcc, s[6:7]
	s_and_saveexec_b64 s[12:13], s[6:7]
	s_cbranch_execz .LBB120_10
; %bb.7:
	v_mov_b32_e32 v1, 0
	ds_read_b32 v3, v1 offset:456
	v_add_u32_e32 v2, 1, v0
	s_waitcnt lgkmcnt(0)
	v_readfirstlane_b32 s6, v3
	s_cmp_eq_u32 s6, 0
	s_cselect_b64 s[18:19], -1, 0
	v_cmp_gt_i32_e32 vcc, s6, v2
	s_or_b64 s[18:19], s[18:19], vcc
	s_and_b64 exec, exec, s[18:19]
	s_cbranch_execz .LBB120_10
; %bb.8:
	s_mov_b64 s[18:19], 0
	v_mov_b32_e32 v3, s6
.LBB120_9:                              ; =>This Inner Loop Header: Depth=1
	ds_cmpst_rtn_b32 v3, v1, v3, v2 offset:456
	s_waitcnt lgkmcnt(0)
	v_cmp_ne_u32_e32 vcc, 0, v3
	v_cmp_le_i32_e64 s[6:7], v3, v2
	s_and_b64 s[6:7], vcc, s[6:7]
	s_and_b64 s[6:7], exec, s[6:7]
	s_or_b64 s[18:19], s[6:7], s[18:19]
	s_andn2_b64 exec, exec, s[18:19]
	s_cbranch_execnz .LBB120_9
.LBB120_10:
	s_or_b64 exec, exec, s[12:13]
	v_mov_b32_e32 v2, 0
	s_waitcnt lgkmcnt(0)
	; wave barrier
	ds_read_b32 v1, v2 offset:456
	s_and_saveexec_b64 s[6:7], s[4:5]
	s_cbranch_execz .LBB120_12
; %bb.11:
	s_lshl_b64 s[12:13], s[8:9], 2
	s_add_u32 s12, s14, s12
	s_addc_u32 s13, s15, s13
	s_waitcnt lgkmcnt(0)
	global_store_dword v2, v1, s[12:13]
.LBB120_12:
	s_or_b64 exec, exec, s[6:7]
	s_waitcnt lgkmcnt(0)
	v_cmp_ne_u32_e32 vcc, 0, v1
	s_mov_b64 s[6:7], 0
	s_cbranch_vccnz .LBB120_240
; %bb.13:
	buffer_load_dword v8, v7, s[0:3], 0 offen offset:4
	buffer_load_dword v3, v7, s[0:3], 0 offen
	s_waitcnt vmcnt(1)
	v_cmp_gt_f32_e32 vcc, 0, v8
	v_cndmask_b32_e64 v1, v8, -v8, vcc
	s_waitcnt vmcnt(0)
	v_cmp_gt_f32_e32 vcc, 0, v3
	v_cndmask_b32_e64 v2, v3, -v3, vcc
	v_cmp_ngt_f32_e32 vcc, v2, v1
                                        ; implicit-def: $vgpr1
                                        ; implicit-def: $vgpr2
	s_and_saveexec_b64 s[6:7], vcc
	s_xor_b64 s[6:7], exec, s[6:7]
                                        ; implicit-def: $vgpr4_vgpr5
	s_cbranch_execz .LBB120_15
; %bb.14:
	v_div_scale_f32 v1, s[12:13], v8, v8, v3
	v_rcp_f32_e32 v2, v1
	v_div_scale_f32 v4, vcc, v3, v8, v3
	v_fma_f32 v5, -v1, v2, 1.0
	v_fmac_f32_e32 v2, v5, v2
	v_mul_f32_e32 v5, v4, v2
	v_fma_f32 v9, -v1, v5, v4
	v_fmac_f32_e32 v5, v9, v2
	v_fma_f32 v1, -v1, v5, v4
	v_div_fmas_f32 v1, v1, v2, v5
	v_div_fixup_f32 v2, v1, v8, v3
	v_fmac_f32_e32 v8, v3, v2
	v_div_scale_f32 v1, s[12:13], v8, v8, -1.0
	v_rcp_f32_e32 v3, v1
	v_fma_f32 v4, -v1, v3, 1.0
	v_fmac_f32_e32 v3, v4, v3
	v_div_scale_f32 v4, vcc, -1.0, v8, -1.0
	v_mul_f32_e32 v5, v4, v3
	v_fma_f32 v9, -v1, v5, v4
	v_fmac_f32_e32 v5, v9, v3
	v_fma_f32 v1, -v1, v5, v4
	v_div_fmas_f32 v1, v1, v3, v5
	v_div_fixup_f32 v1, v1, v8, -1.0
	v_mul_f32_e32 v2, v2, v1
	v_xor_b32_e32 v4, 0x80000000, v2
                                        ; implicit-def: $vgpr3
                                        ; implicit-def: $vgpr8
.LBB120_15:
	s_andn2_saveexec_b64 s[6:7], s[6:7]
	s_cbranch_execz .LBB120_17
; %bb.16:
	v_div_scale_f32 v1, s[12:13], v3, v3, v8
	v_rcp_f32_e32 v2, v1
	v_div_scale_f32 v4, vcc, v8, v3, v8
	v_fma_f32 v5, -v1, v2, 1.0
	v_fmac_f32_e32 v2, v5, v2
	v_mul_f32_e32 v5, v4, v2
	v_fma_f32 v9, -v1, v5, v4
	v_fmac_f32_e32 v5, v9, v2
	v_fma_f32 v1, -v1, v5, v4
	v_div_fmas_f32 v1, v1, v2, v5
	v_div_fixup_f32 v1, v1, v3, v8
	v_fmac_f32_e32 v3, v8, v1
	v_div_scale_f32 v2, s[12:13], v3, v3, 1.0
	v_rcp_f32_e32 v4, v2
	v_fma_f32 v5, -v2, v4, 1.0
	v_fmac_f32_e32 v4, v5, v4
	v_div_scale_f32 v5, vcc, 1.0, v3, 1.0
	v_mul_f32_e32 v8, v5, v4
	v_fma_f32 v9, -v2, v8, v5
	v_fmac_f32_e32 v8, v9, v4
	v_fma_f32 v2, -v2, v8, v5
	v_div_fmas_f32 v2, v2, v4, v8
	v_div_fixup_f32 v4, v2, v3, 1.0
	v_xor_b32_e32 v2, 0x80000000, v4
	v_mul_f32_e64 v1, v1, -v4
.LBB120_17:
	s_or_b64 exec, exec, s[6:7]
	buffer_store_dword v1, v7, s[0:3], 0 offen offset:4
	buffer_store_dword v4, v7, s[0:3], 0 offen
	buffer_load_dword v5, off, s[0:3], 0 offset:12
	s_nop 0
	buffer_load_dword v4, off, s[0:3], 0 offset:8
	v_xor_b32_e32 v3, 0x80000000, v1
	v_add_u32_e32 v1, 0x1d0, v6
	s_waitcnt vmcnt(0)
	ds_write2_b64 v6, v[2:3], v[4:5] offset1:58
	s_waitcnt lgkmcnt(0)
	; wave barrier
	s_waitcnt lgkmcnt(0)
	s_and_saveexec_b64 s[6:7], s[4:5]
	s_cbranch_execz .LBB120_19
; %bb.18:
	buffer_load_dword v8, v7, s[0:3], 0 offen offset:4
	buffer_load_dword v9, v7, s[0:3], 0 offen
	ds_read_b64 v[2:3], v1
	v_mov_b32_e32 v4, 0
	ds_read_b64 v[4:5], v4 offset:8
	s_waitcnt vmcnt(1) lgkmcnt(1)
	v_mul_f32_e32 v10, v3, v8
	v_mul_f32_e32 v8, v2, v8
	s_waitcnt vmcnt(0)
	v_fmac_f32_e32 v8, v3, v9
	v_fma_f32 v2, v2, v9, -v10
	v_add_f32_e32 v3, 0, v8
	v_add_f32_e32 v2, 0, v2
	s_waitcnt lgkmcnt(0)
	v_mul_f32_e32 v8, v3, v5
	v_mul_f32_e32 v5, v2, v5
	v_fma_f32 v2, v2, v4, -v8
	v_fmac_f32_e32 v5, v3, v4
	buffer_store_dword v2, off, s[0:3], 0 offset:8
	buffer_store_dword v5, off, s[0:3], 0 offset:12
.LBB120_19:
	s_or_b64 exec, exec, s[6:7]
	s_waitcnt lgkmcnt(0)
	; wave barrier
	buffer_load_dword v2, off, s[0:3], 0 offset:16
	buffer_load_dword v3, off, s[0:3], 0 offset:20
	v_cmp_gt_u32_e32 vcc, 2, v0
	s_waitcnt vmcnt(0)
	ds_write_b64 v1, v[2:3]
	s_waitcnt lgkmcnt(0)
	; wave barrier
	s_waitcnt lgkmcnt(0)
	s_and_saveexec_b64 s[6:7], vcc
	s_cbranch_execz .LBB120_23
; %bb.20:
	buffer_load_dword v4, v7, s[0:3], 0 offen offset:4
	buffer_load_dword v5, v7, s[0:3], 0 offen
	ds_read_b64 v[2:3], v1
	s_waitcnt vmcnt(1) lgkmcnt(0)
	v_mul_f32_e32 v7, v3, v4
	v_mul_f32_e32 v4, v2, v4
	s_waitcnt vmcnt(0)
	v_fma_f32 v2, v2, v5, -v7
	v_fmac_f32_e32 v4, v3, v5
	v_add_f32_e32 v3, 0, v2
	v_add_f32_e32 v2, 0, v4
	s_and_saveexec_b64 s[12:13], s[4:5]
	s_cbranch_execz .LBB120_22
; %bb.21:
	buffer_load_dword v7, off, s[0:3], 0 offset:12
	buffer_load_dword v8, off, s[0:3], 0 offset:8
	v_mov_b32_e32 v4, 0
	ds_read_b64 v[4:5], v4 offset:472
	s_waitcnt vmcnt(1) lgkmcnt(0)
	v_mul_f32_e32 v9, v4, v7
	v_mul_f32_e32 v7, v5, v7
	s_waitcnt vmcnt(0)
	v_fmac_f32_e32 v9, v5, v8
	v_fma_f32 v4, v4, v8, -v7
	v_add_f32_e32 v2, v2, v9
	v_add_f32_e32 v3, v3, v4
.LBB120_22:
	s_or_b64 exec, exec, s[12:13]
	v_mov_b32_e32 v4, 0
	ds_read_b64 v[4:5], v4 offset:16
	s_waitcnt lgkmcnt(0)
	v_mul_f32_e32 v7, v2, v5
	v_mul_f32_e32 v5, v3, v5
	v_fma_f32 v3, v3, v4, -v7
	v_fmac_f32_e32 v5, v2, v4
	buffer_store_dword v3, off, s[0:3], 0 offset:16
	buffer_store_dword v5, off, s[0:3], 0 offset:20
.LBB120_23:
	s_or_b64 exec, exec, s[6:7]
	s_waitcnt lgkmcnt(0)
	; wave barrier
	buffer_load_dword v2, off, s[0:3], 0 offset:24
	buffer_load_dword v3, off, s[0:3], 0 offset:28
	v_cmp_gt_u32_e32 vcc, 3, v0
	s_waitcnt vmcnt(0)
	ds_write_b64 v1, v[2:3]
	v_add_u32_e32 v2, -1, v0
	s_waitcnt lgkmcnt(0)
	; wave barrier
	s_waitcnt lgkmcnt(0)
	s_and_saveexec_b64 s[4:5], vcc
	s_cbranch_execz .LBB120_27
; %bb.24:
	v_add_u32_e32 v4, -1, v0
	v_add_u32_e32 v5, 0x1d0, v6
	v_add_u32_e32 v7, 0, v6
	s_mov_b64 s[6:7], 0
	v_mov_b32_e32 v3, 0
	v_mov_b32_e32 v8, 0
.LBB120_25:                             ; =>This Inner Loop Header: Depth=1
	buffer_load_dword v9, v7, s[0:3], 0 offen offset:4
	buffer_load_dword v12, v7, s[0:3], 0 offen
	ds_read_b64 v[10:11], v5
	v_add_u32_e32 v4, 1, v4
	v_cmp_lt_u32_e32 vcc, 1, v4
	v_add_u32_e32 v5, 8, v5
	v_add_u32_e32 v7, 8, v7
	s_or_b64 s[6:7], vcc, s[6:7]
	s_waitcnt vmcnt(1) lgkmcnt(0)
	v_mul_f32_e32 v13, v11, v9
	v_mul_f32_e32 v9, v10, v9
	s_waitcnt vmcnt(0)
	v_fma_f32 v10, v10, v12, -v13
	v_fmac_f32_e32 v9, v11, v12
	v_add_f32_e32 v8, v8, v10
	v_add_f32_e32 v3, v3, v9
	s_andn2_b64 exec, exec, s[6:7]
	s_cbranch_execnz .LBB120_25
; %bb.26:
	s_or_b64 exec, exec, s[6:7]
	v_mov_b32_e32 v4, 0
	ds_read_b64 v[4:5], v4 offset:24
	s_waitcnt lgkmcnt(0)
	v_mul_f32_e32 v7, v3, v5
	v_mul_f32_e32 v5, v8, v5
	v_fma_f32 v7, v8, v4, -v7
	v_fmac_f32_e32 v5, v3, v4
	buffer_store_dword v7, off, s[0:3], 0 offset:24
	buffer_store_dword v5, off, s[0:3], 0 offset:28
.LBB120_27:
	s_or_b64 exec, exec, s[4:5]
	s_waitcnt lgkmcnt(0)
	; wave barrier
	buffer_load_dword v4, off, s[0:3], 0 offset:32
	buffer_load_dword v5, off, s[0:3], 0 offset:36
	v_cmp_gt_u32_e32 vcc, 4, v0
	s_waitcnt vmcnt(0)
	ds_write_b64 v1, v[4:5]
	s_waitcnt lgkmcnt(0)
	; wave barrier
	s_waitcnt lgkmcnt(0)
	s_and_saveexec_b64 s[4:5], vcc
	s_cbranch_execz .LBB120_31
; %bb.28:
	v_add_u32_e32 v4, -1, v0
	v_add_u32_e32 v5, 0x1d0, v6
	v_add_u32_e32 v7, 0, v6
	s_mov_b64 s[6:7], 0
	v_mov_b32_e32 v3, 0
	v_mov_b32_e32 v8, 0
.LBB120_29:                             ; =>This Inner Loop Header: Depth=1
	buffer_load_dword v9, v7, s[0:3], 0 offen offset:4
	buffer_load_dword v12, v7, s[0:3], 0 offen
	ds_read_b64 v[10:11], v5
	v_add_u32_e32 v4, 1, v4
	v_cmp_lt_u32_e32 vcc, 2, v4
	v_add_u32_e32 v5, 8, v5
	v_add_u32_e32 v7, 8, v7
	s_or_b64 s[6:7], vcc, s[6:7]
	s_waitcnt vmcnt(1) lgkmcnt(0)
	v_mul_f32_e32 v13, v11, v9
	v_mul_f32_e32 v9, v10, v9
	s_waitcnt vmcnt(0)
	v_fma_f32 v10, v10, v12, -v13
	v_fmac_f32_e32 v9, v11, v12
	v_add_f32_e32 v8, v8, v10
	v_add_f32_e32 v3, v3, v9
	s_andn2_b64 exec, exec, s[6:7]
	s_cbranch_execnz .LBB120_29
; %bb.30:
	s_or_b64 exec, exec, s[6:7]
	v_mov_b32_e32 v4, 0
	ds_read_b64 v[4:5], v4 offset:32
	s_waitcnt lgkmcnt(0)
	v_mul_f32_e32 v7, v3, v5
	v_mul_f32_e32 v5, v8, v5
	v_fma_f32 v7, v8, v4, -v7
	v_fmac_f32_e32 v5, v3, v4
	buffer_store_dword v7, off, s[0:3], 0 offset:32
	buffer_store_dword v5, off, s[0:3], 0 offset:36
.LBB120_31:
	s_or_b64 exec, exec, s[4:5]
	s_waitcnt lgkmcnt(0)
	; wave barrier
	buffer_load_dword v4, off, s[0:3], 0 offset:40
	buffer_load_dword v5, off, s[0:3], 0 offset:44
	v_cmp_gt_u32_e32 vcc, 5, v0
	s_waitcnt vmcnt(0)
	ds_write_b64 v1, v[4:5]
	;; [unrolled: 51-line block ×19, first 2 shown]
	s_waitcnt lgkmcnt(0)
	; wave barrier
	s_waitcnt lgkmcnt(0)
	s_and_saveexec_b64 s[4:5], vcc
	s_cbranch_execz .LBB120_103
; %bb.100:
	v_add_u32_e32 v4, -1, v0
	v_add_u32_e32 v5, 0x1d0, v6
	v_add_u32_e32 v7, 0, v6
	s_mov_b64 s[6:7], 0
	v_mov_b32_e32 v3, 0
	v_mov_b32_e32 v8, 0
.LBB120_101:                            ; =>This Inner Loop Header: Depth=1
	buffer_load_dword v9, v7, s[0:3], 0 offen offset:4
	buffer_load_dword v12, v7, s[0:3], 0 offen
	ds_read_b64 v[10:11], v5
	v_add_u32_e32 v4, 1, v4
	v_cmp_lt_u32_e32 vcc, 20, v4
	v_add_u32_e32 v5, 8, v5
	v_add_u32_e32 v7, 8, v7
	s_or_b64 s[6:7], vcc, s[6:7]
	s_waitcnt vmcnt(1) lgkmcnt(0)
	v_mul_f32_e32 v13, v11, v9
	v_mul_f32_e32 v9, v10, v9
	s_waitcnt vmcnt(0)
	v_fma_f32 v10, v10, v12, -v13
	v_fmac_f32_e32 v9, v11, v12
	v_add_f32_e32 v8, v8, v10
	v_add_f32_e32 v3, v3, v9
	s_andn2_b64 exec, exec, s[6:7]
	s_cbranch_execnz .LBB120_101
; %bb.102:
	s_or_b64 exec, exec, s[6:7]
	v_mov_b32_e32 v4, 0
	ds_read_b64 v[4:5], v4 offset:176
	s_waitcnt lgkmcnt(0)
	v_mul_f32_e32 v7, v3, v5
	v_mul_f32_e32 v5, v8, v5
	v_fma_f32 v7, v8, v4, -v7
	v_fmac_f32_e32 v5, v3, v4
	buffer_store_dword v7, off, s[0:3], 0 offset:176
	buffer_store_dword v5, off, s[0:3], 0 offset:180
.LBB120_103:
	s_or_b64 exec, exec, s[4:5]
	s_waitcnt lgkmcnt(0)
	; wave barrier
	buffer_load_dword v4, off, s[0:3], 0 offset:184
	buffer_load_dword v5, off, s[0:3], 0 offset:188
	v_cmp_gt_u32_e32 vcc, 23, v0
	s_waitcnt vmcnt(0)
	ds_write_b64 v1, v[4:5]
	s_waitcnt lgkmcnt(0)
	; wave barrier
	s_waitcnt lgkmcnt(0)
	s_and_saveexec_b64 s[4:5], vcc
	s_cbranch_execz .LBB120_107
; %bb.104:
	v_add_u32_e32 v4, -1, v0
	v_add_u32_e32 v5, 0x1d0, v6
	v_add_u32_e32 v7, 0, v6
	s_mov_b64 s[6:7], 0
	v_mov_b32_e32 v3, 0
	v_mov_b32_e32 v8, 0
.LBB120_105:                            ; =>This Inner Loop Header: Depth=1
	buffer_load_dword v9, v7, s[0:3], 0 offen offset:4
	buffer_load_dword v12, v7, s[0:3], 0 offen
	ds_read_b64 v[10:11], v5
	v_add_u32_e32 v4, 1, v4
	v_cmp_lt_u32_e32 vcc, 21, v4
	v_add_u32_e32 v5, 8, v5
	v_add_u32_e32 v7, 8, v7
	s_or_b64 s[6:7], vcc, s[6:7]
	s_waitcnt vmcnt(1) lgkmcnt(0)
	v_mul_f32_e32 v13, v11, v9
	v_mul_f32_e32 v9, v10, v9
	s_waitcnt vmcnt(0)
	v_fma_f32 v10, v10, v12, -v13
	v_fmac_f32_e32 v9, v11, v12
	v_add_f32_e32 v8, v8, v10
	v_add_f32_e32 v3, v3, v9
	s_andn2_b64 exec, exec, s[6:7]
	s_cbranch_execnz .LBB120_105
; %bb.106:
	s_or_b64 exec, exec, s[6:7]
	v_mov_b32_e32 v4, 0
	ds_read_b64 v[4:5], v4 offset:184
	s_waitcnt lgkmcnt(0)
	v_mul_f32_e32 v7, v3, v5
	v_mul_f32_e32 v5, v8, v5
	v_fma_f32 v7, v8, v4, -v7
	v_fmac_f32_e32 v5, v3, v4
	buffer_store_dword v7, off, s[0:3], 0 offset:184
	buffer_store_dword v5, off, s[0:3], 0 offset:188
.LBB120_107:
	s_or_b64 exec, exec, s[4:5]
	s_waitcnt lgkmcnt(0)
	; wave barrier
	buffer_load_dword v4, off, s[0:3], 0 offset:192
	buffer_load_dword v5, off, s[0:3], 0 offset:196
	v_cmp_gt_u32_e32 vcc, 24, v0
	s_waitcnt vmcnt(0)
	ds_write_b64 v1, v[4:5]
	;; [unrolled: 51-line block ×33, first 2 shown]
	s_waitcnt lgkmcnt(0)
	; wave barrier
	s_waitcnt lgkmcnt(0)
	s_and_saveexec_b64 s[4:5], vcc
	s_cbranch_execz .LBB120_235
; %bb.232:
	v_add_u32_e32 v4, -1, v0
	v_add_u32_e32 v5, 0x1d0, v6
	v_add_u32_e32 v7, 0, v6
	s_mov_b64 s[6:7], 0
	v_mov_b32_e32 v3, 0
	v_mov_b32_e32 v8, 0
.LBB120_233:                            ; =>This Inner Loop Header: Depth=1
	buffer_load_dword v9, v7, s[0:3], 0 offen offset:4
	buffer_load_dword v12, v7, s[0:3], 0 offen
	ds_read_b64 v[10:11], v5
	v_add_u32_e32 v4, 1, v4
	v_cmp_lt_u32_e32 vcc, 53, v4
	v_add_u32_e32 v5, 8, v5
	v_add_u32_e32 v7, 8, v7
	s_or_b64 s[6:7], vcc, s[6:7]
	s_waitcnt vmcnt(1) lgkmcnt(0)
	v_mul_f32_e32 v13, v11, v9
	v_mul_f32_e32 v9, v10, v9
	s_waitcnt vmcnt(0)
	v_fma_f32 v10, v10, v12, -v13
	v_fmac_f32_e32 v9, v11, v12
	v_add_f32_e32 v8, v8, v10
	v_add_f32_e32 v3, v3, v9
	s_andn2_b64 exec, exec, s[6:7]
	s_cbranch_execnz .LBB120_233
; %bb.234:
	s_or_b64 exec, exec, s[6:7]
	v_mov_b32_e32 v4, 0
	ds_read_b64 v[4:5], v4 offset:440
	s_waitcnt lgkmcnt(0)
	v_mul_f32_e32 v7, v3, v5
	v_mul_f32_e32 v5, v8, v5
	v_fma_f32 v7, v8, v4, -v7
	v_fmac_f32_e32 v5, v3, v4
	buffer_store_dword v7, off, s[0:3], 0 offset:440
	buffer_store_dword v5, off, s[0:3], 0 offset:444
.LBB120_235:
	s_or_b64 exec, exec, s[4:5]
	s_waitcnt lgkmcnt(0)
	; wave barrier
	buffer_load_dword v4, off, s[0:3], 0 offset:448
	buffer_load_dword v5, off, s[0:3], 0 offset:452
	v_cmp_ne_u32_e32 vcc, 56, v0
	s_waitcnt vmcnt(0)
	ds_write_b64 v1, v[4:5]
	s_waitcnt lgkmcnt(0)
	; wave barrier
	s_waitcnt lgkmcnt(0)
	s_and_saveexec_b64 s[4:5], vcc
	s_cbranch_execz .LBB120_239
; %bb.236:
	v_add_u32_e32 v3, 0x1d0, v6
	v_add_u32_e32 v4, 0, v6
	s_mov_b64 s[6:7], 0
	v_mov_b32_e32 v1, 0
	v_mov_b32_e32 v5, 0
.LBB120_237:                            ; =>This Inner Loop Header: Depth=1
	buffer_load_dword v8, v4, s[0:3], 0 offen offset:4
	buffer_load_dword v9, v4, s[0:3], 0 offen
	ds_read_b64 v[6:7], v3
	v_add_u32_e32 v2, 1, v2
	v_cmp_lt_u32_e32 vcc, 54, v2
	v_add_u32_e32 v3, 8, v3
	v_add_u32_e32 v4, 8, v4
	s_or_b64 s[6:7], vcc, s[6:7]
	s_waitcnt vmcnt(1) lgkmcnt(0)
	v_mul_f32_e32 v10, v7, v8
	v_mul_f32_e32 v8, v6, v8
	s_waitcnt vmcnt(0)
	v_fma_f32 v6, v6, v9, -v10
	v_fmac_f32_e32 v8, v7, v9
	v_add_f32_e32 v5, v5, v6
	v_add_f32_e32 v1, v1, v8
	s_andn2_b64 exec, exec, s[6:7]
	s_cbranch_execnz .LBB120_237
; %bb.238:
	s_or_b64 exec, exec, s[6:7]
	v_mov_b32_e32 v2, 0
	ds_read_b64 v[2:3], v2 offset:448
	s_waitcnt lgkmcnt(0)
	v_mul_f32_e32 v4, v1, v3
	v_mul_f32_e32 v3, v5, v3
	v_fma_f32 v4, v5, v2, -v4
	v_fmac_f32_e32 v3, v1, v2
	buffer_store_dword v4, off, s[0:3], 0 offset:448
	buffer_store_dword v3, off, s[0:3], 0 offset:452
.LBB120_239:
	s_or_b64 exec, exec, s[4:5]
	s_mov_b64 s[6:7], -1
	s_waitcnt lgkmcnt(0)
	; wave barrier
.LBB120_240:
	s_and_b64 vcc, exec, s[6:7]
	s_cbranch_vccz .LBB120_242
; %bb.241:
	s_lshl_b64 s[4:5], s[8:9], 2
	s_add_u32 s4, s14, s4
	s_addc_u32 s5, s15, s5
	v_mov_b32_e32 v1, 0
	global_load_dword v1, v1, s[4:5]
	s_waitcnt vmcnt(0)
	v_cmp_ne_u32_e32 vcc, 0, v1
	s_cbranch_vccz .LBB120_243
.LBB120_242:
	s_endpgm
.LBB120_243:
	v_mov_b32_e32 v1, 0x1d0
	v_lshl_add_u32 v165, v0, 3, v1
	v_cmp_eq_u32_e32 vcc, 56, v0
	s_and_saveexec_b64 s[4:5], vcc
	s_cbranch_execz .LBB120_245
; %bb.244:
	buffer_load_dword v2, off, s[0:3], 0 offset:440
	buffer_load_dword v3, off, s[0:3], 0 offset:444
	v_mov_b32_e32 v1, 0
	buffer_store_dword v1, off, s[0:3], 0 offset:440
	buffer_store_dword v1, off, s[0:3], 0 offset:444
	s_waitcnt vmcnt(2)
	ds_write_b64 v165, v[2:3]
.LBB120_245:
	s_or_b64 exec, exec, s[4:5]
	s_waitcnt lgkmcnt(0)
	; wave barrier
	s_waitcnt lgkmcnt(0)
	buffer_load_dword v3, off, s[0:3], 0 offset:452
	buffer_load_dword v2, off, s[0:3], 0 offset:448
	;; [unrolled: 1-line block ×4, first 2 shown]
	v_mov_b32_e32 v1, 0
	ds_read_b64 v[6:7], v1 offset:912
	v_cmp_lt_u32_e32 vcc, 54, v0
	s_waitcnt vmcnt(3)
	v_mov_b32_e32 v8, v3
	s_waitcnt lgkmcnt(0)
	v_pk_mul_f32 v[8:9], v[6:7], v[8:9] op_sel_hi:[1,0]
	s_waitcnt vmcnt(2)
	v_pk_fma_f32 v[10:11], v[6:7], v[2:3], v[8:9] op_sel:[0,0,1] op_sel_hi:[1,1,0] neg_lo:[0,0,1] neg_hi:[0,0,1]
	v_pk_fma_f32 v[2:3], v[6:7], v[2:3], v[8:9] op_sel:[0,0,1] op_sel_hi:[1,0,0]
	v_mov_b32_e32 v11, v3
	v_pk_add_f32 v[2:3], v[10:11], 0 op_sel_hi:[1,0]
	s_waitcnt vmcnt(0)
	v_pk_add_f32 v[2:3], v[4:5], v[2:3] neg_lo:[0,1] neg_hi:[0,1]
	buffer_store_dword v2, off, s[0:3], 0 offset:440
	buffer_store_dword v3, off, s[0:3], 0 offset:444
	s_and_saveexec_b64 s[4:5], vcc
	s_cbranch_execz .LBB120_247
; %bb.246:
	buffer_load_dword v2, off, s[0:3], 0 offset:432
	buffer_load_dword v3, off, s[0:3], 0 offset:436
	s_waitcnt vmcnt(0)
	ds_write_b64 v165, v[2:3]
	buffer_store_dword v1, off, s[0:3], 0 offset:432
	buffer_store_dword v1, off, s[0:3], 0 offset:436
.LBB120_247:
	s_or_b64 exec, exec, s[4:5]
	s_waitcnt lgkmcnt(0)
	; wave barrier
	s_waitcnt lgkmcnt(0)
	buffer_load_dword v7, off, s[0:3], 0 offset:444
	buffer_load_dword v9, off, s[0:3], 0 offset:452
	;; [unrolled: 1-line block ×6, first 2 shown]
	ds_read2_b64 v[2:5], v1 offset0:113 offset1:114
	v_cmp_lt_u32_e32 vcc, 53, v0
	s_waitcnt vmcnt(5)
	v_mov_b32_e32 v12, v7
	s_waitcnt vmcnt(4)
	v_mov_b32_e32 v14, v9
	s_waitcnt lgkmcnt(0)
	v_pk_mul_f32 v[12:13], v[2:3], v[12:13] op_sel_hi:[1,0]
	v_pk_mul_f32 v[14:15], v[4:5], v[14:15] op_sel_hi:[1,0]
	s_waitcnt vmcnt(3)
	v_pk_fma_f32 v[16:17], v[2:3], v[6:7], v[12:13] op_sel:[0,0,1] op_sel_hi:[1,1,0] neg_lo:[0,0,1] neg_hi:[0,0,1]
	v_pk_fma_f32 v[2:3], v[2:3], v[6:7], v[12:13] op_sel:[0,0,1] op_sel_hi:[1,0,0]
	s_waitcnt vmcnt(2)
	v_pk_fma_f32 v[6:7], v[4:5], v[8:9], v[14:15] op_sel:[0,0,1] op_sel_hi:[1,1,0] neg_lo:[0,0,1] neg_hi:[0,0,1]
	v_pk_fma_f32 v[4:5], v[4:5], v[8:9], v[14:15] op_sel:[0,0,1] op_sel_hi:[1,0,0]
	v_mov_b32_e32 v17, v3
	v_mov_b32_e32 v7, v5
	v_pk_add_f32 v[2:3], v[16:17], 0 op_sel_hi:[1,0]
	v_pk_add_f32 v[2:3], v[2:3], v[6:7]
	s_waitcnt vmcnt(0)
	v_pk_add_f32 v[2:3], v[10:11], v[2:3] neg_lo:[0,1] neg_hi:[0,1]
	buffer_store_dword v2, off, s[0:3], 0 offset:432
	buffer_store_dword v3, off, s[0:3], 0 offset:436
	s_and_saveexec_b64 s[4:5], vcc
	s_cbranch_execz .LBB120_249
; %bb.248:
	buffer_load_dword v2, off, s[0:3], 0 offset:424
	buffer_load_dword v3, off, s[0:3], 0 offset:428
	v_mov_b32_e32 v1, 0
	buffer_store_dword v1, off, s[0:3], 0 offset:424
	buffer_store_dword v1, off, s[0:3], 0 offset:428
	s_waitcnt vmcnt(2)
	ds_write_b64 v165, v[2:3]
.LBB120_249:
	s_or_b64 exec, exec, s[4:5]
	s_waitcnt lgkmcnt(0)
	; wave barrier
	s_waitcnt lgkmcnt(0)
	buffer_load_dword v7, off, s[0:3], 0 offset:436
	buffer_load_dword v9, off, s[0:3], 0 offset:444
	;; [unrolled: 1-line block ×8, first 2 shown]
	v_mov_b32_e32 v1, 0
	ds_read_b128 v[2:5], v1 offset:896
	ds_read_b64 v[14:15], v1 offset:912
	v_cmp_lt_u32_e32 vcc, 52, v0
	s_waitcnt vmcnt(7)
	v_mov_b32_e32 v16, v7
	s_waitcnt vmcnt(6)
	v_mov_b32_e32 v18, v9
	s_waitcnt lgkmcnt(1)
	v_pk_mul_f32 v[16:17], v[2:3], v[16:17] op_sel_hi:[1,0]
	s_waitcnt vmcnt(5)
	v_mov_b32_e32 v20, v11
	v_pk_mul_f32 v[18:19], v[4:5], v[18:19] op_sel_hi:[1,0]
	s_waitcnt vmcnt(4)
	v_pk_fma_f32 v[22:23], v[2:3], v[6:7], v[16:17] op_sel:[0,0,1] op_sel_hi:[1,1,0] neg_lo:[0,0,1] neg_hi:[0,0,1]
	v_pk_fma_f32 v[2:3], v[2:3], v[6:7], v[16:17] op_sel:[0,0,1] op_sel_hi:[1,0,0]
	s_waitcnt lgkmcnt(0)
	v_pk_mul_f32 v[20:21], v[14:15], v[20:21] op_sel_hi:[1,0]
	s_waitcnt vmcnt(3)
	v_pk_fma_f32 v[6:7], v[4:5], v[8:9], v[18:19] op_sel:[0,0,1] op_sel_hi:[1,1,0] neg_lo:[0,0,1] neg_hi:[0,0,1]
	v_pk_fma_f32 v[4:5], v[4:5], v[8:9], v[18:19] op_sel:[0,0,1] op_sel_hi:[1,0,0]
	v_mov_b32_e32 v23, v3
	s_waitcnt vmcnt(2)
	v_pk_fma_f32 v[8:9], v[14:15], v[10:11], v[20:21] op_sel:[0,0,1] op_sel_hi:[1,1,0] neg_lo:[0,0,1] neg_hi:[0,0,1]
	v_pk_fma_f32 v[10:11], v[14:15], v[10:11], v[20:21] op_sel:[0,0,1] op_sel_hi:[1,0,0]
	v_mov_b32_e32 v7, v5
	v_pk_add_f32 v[2:3], v[22:23], 0 op_sel_hi:[1,0]
	v_mov_b32_e32 v9, v11
	v_pk_add_f32 v[2:3], v[2:3], v[6:7]
	v_pk_add_f32 v[2:3], v[2:3], v[8:9]
	s_waitcnt vmcnt(0)
	v_pk_add_f32 v[2:3], v[12:13], v[2:3] neg_lo:[0,1] neg_hi:[0,1]
	buffer_store_dword v2, off, s[0:3], 0 offset:424
	buffer_store_dword v3, off, s[0:3], 0 offset:428
	s_and_saveexec_b64 s[4:5], vcc
	s_cbranch_execz .LBB120_251
; %bb.250:
	buffer_load_dword v2, off, s[0:3], 0 offset:416
	buffer_load_dword v3, off, s[0:3], 0 offset:420
	s_waitcnt vmcnt(0)
	ds_write_b64 v165, v[2:3]
	buffer_store_dword v1, off, s[0:3], 0 offset:416
	buffer_store_dword v1, off, s[0:3], 0 offset:420
.LBB120_251:
	s_or_b64 exec, exec, s[4:5]
	s_waitcnt lgkmcnt(0)
	; wave barrier
	s_waitcnt lgkmcnt(0)
	buffer_load_dword v11, off, s[0:3], 0 offset:428
	buffer_load_dword v13, off, s[0:3], 0 offset:436
	;; [unrolled: 1-line block ×10, first 2 shown]
	ds_read2_b64 v[2:5], v1 offset0:111 offset1:112
	ds_read2_b64 v[6:9], v1 offset0:113 offset1:114
	v_cmp_lt_u32_e32 vcc, 51, v0
	s_waitcnt vmcnt(9)
	v_mov_b32_e32 v20, v11
	s_waitcnt vmcnt(8)
	v_mov_b32_e32 v22, v13
	s_waitcnt lgkmcnt(1)
	v_pk_mul_f32 v[20:21], v[2:3], v[20:21] op_sel_hi:[1,0]
	s_waitcnt vmcnt(7)
	v_mov_b32_e32 v24, v15
	v_pk_mul_f32 v[22:23], v[4:5], v[22:23] op_sel_hi:[1,0]
	s_waitcnt vmcnt(5)
	v_pk_fma_f32 v[28:29], v[2:3], v[10:11], v[20:21] op_sel:[0,0,1] op_sel_hi:[1,1,0] neg_lo:[0,0,1] neg_hi:[0,0,1]
	v_pk_fma_f32 v[2:3], v[2:3], v[10:11], v[20:21] op_sel:[0,0,1] op_sel_hi:[1,0,0]
	v_mov_b32_e32 v26, v17
	s_waitcnt lgkmcnt(0)
	v_pk_mul_f32 v[24:25], v[6:7], v[24:25] op_sel_hi:[1,0]
	s_waitcnt vmcnt(4)
	v_pk_fma_f32 v[10:11], v[4:5], v[12:13], v[22:23] op_sel:[0,0,1] op_sel_hi:[1,1,0] neg_lo:[0,0,1] neg_hi:[0,0,1]
	v_pk_fma_f32 v[4:5], v[4:5], v[12:13], v[22:23] op_sel:[0,0,1] op_sel_hi:[1,0,0]
	v_mov_b32_e32 v29, v3
	v_pk_mul_f32 v[26:27], v[8:9], v[26:27] op_sel_hi:[1,0]
	s_waitcnt vmcnt(3)
	v_pk_fma_f32 v[12:13], v[6:7], v[14:15], v[24:25] op_sel:[0,0,1] op_sel_hi:[1,1,0] neg_lo:[0,0,1] neg_hi:[0,0,1]
	v_pk_fma_f32 v[6:7], v[6:7], v[14:15], v[24:25] op_sel:[0,0,1] op_sel_hi:[1,0,0]
	v_mov_b32_e32 v11, v5
	v_pk_add_f32 v[2:3], v[28:29], 0 op_sel_hi:[1,0]
	s_waitcnt vmcnt(2)
	v_pk_fma_f32 v[14:15], v[8:9], v[16:17], v[26:27] op_sel:[0,0,1] op_sel_hi:[1,1,0] neg_lo:[0,0,1] neg_hi:[0,0,1]
	v_pk_fma_f32 v[8:9], v[8:9], v[16:17], v[26:27] op_sel:[0,0,1] op_sel_hi:[1,0,0]
	v_mov_b32_e32 v13, v7
	v_pk_add_f32 v[2:3], v[2:3], v[10:11]
	v_mov_b32_e32 v15, v9
	v_pk_add_f32 v[2:3], v[2:3], v[12:13]
	v_pk_add_f32 v[2:3], v[2:3], v[14:15]
	s_waitcnt vmcnt(0)
	v_pk_add_f32 v[2:3], v[18:19], v[2:3] neg_lo:[0,1] neg_hi:[0,1]
	buffer_store_dword v2, off, s[0:3], 0 offset:416
	buffer_store_dword v3, off, s[0:3], 0 offset:420
	s_and_saveexec_b64 s[4:5], vcc
	s_cbranch_execz .LBB120_253
; %bb.252:
	buffer_load_dword v2, off, s[0:3], 0 offset:408
	buffer_load_dword v3, off, s[0:3], 0 offset:412
	v_mov_b32_e32 v1, 0
	buffer_store_dword v1, off, s[0:3], 0 offset:408
	buffer_store_dword v1, off, s[0:3], 0 offset:412
	s_waitcnt vmcnt(2)
	ds_write_b64 v165, v[2:3]
.LBB120_253:
	s_or_b64 exec, exec, s[4:5]
	s_waitcnt lgkmcnt(0)
	; wave barrier
	s_waitcnt lgkmcnt(0)
	buffer_load_dword v11, off, s[0:3], 0 offset:420
	buffer_load_dword v13, off, s[0:3], 0 offset:428
	;; [unrolled: 1-line block ×12, first 2 shown]
	v_mov_b32_e32 v1, 0
	ds_read_b128 v[2:5], v1 offset:880
	ds_read_b128 v[6:9], v1 offset:896
	ds_read_b64 v[22:23], v1 offset:912
	v_cmp_lt_u32_e32 vcc, 50, v0
	s_waitcnt vmcnt(11)
	v_mov_b32_e32 v24, v11
	s_waitcnt vmcnt(10)
	v_mov_b32_e32 v26, v13
	s_waitcnt lgkmcnt(2)
	v_pk_mul_f32 v[24:25], v[2:3], v[24:25] op_sel_hi:[1,0]
	s_waitcnt vmcnt(9)
	v_mov_b32_e32 v28, v15
	v_pk_mul_f32 v[26:27], v[4:5], v[26:27] op_sel_hi:[1,0]
	s_waitcnt vmcnt(6)
	v_pk_fma_f32 v[34:35], v[2:3], v[10:11], v[24:25] op_sel:[0,0,1] op_sel_hi:[1,1,0] neg_lo:[0,0,1] neg_hi:[0,0,1]
	v_pk_fma_f32 v[2:3], v[2:3], v[10:11], v[24:25] op_sel:[0,0,1] op_sel_hi:[1,0,0]
	v_mov_b32_e32 v30, v17
	s_waitcnt lgkmcnt(1)
	v_pk_mul_f32 v[28:29], v[6:7], v[28:29] op_sel_hi:[1,0]
	s_waitcnt vmcnt(5)
	v_pk_fma_f32 v[10:11], v[4:5], v[12:13], v[26:27] op_sel:[0,0,1] op_sel_hi:[1,1,0] neg_lo:[0,0,1] neg_hi:[0,0,1]
	v_pk_fma_f32 v[4:5], v[4:5], v[12:13], v[26:27] op_sel:[0,0,1] op_sel_hi:[1,0,0]
	v_mov_b32_e32 v35, v3
	v_mov_b32_e32 v32, v19
	v_pk_mul_f32 v[30:31], v[8:9], v[30:31] op_sel_hi:[1,0]
	s_waitcnt vmcnt(4)
	v_pk_fma_f32 v[12:13], v[6:7], v[14:15], v[28:29] op_sel:[0,0,1] op_sel_hi:[1,1,0] neg_lo:[0,0,1] neg_hi:[0,0,1]
	v_pk_fma_f32 v[6:7], v[6:7], v[14:15], v[28:29] op_sel:[0,0,1] op_sel_hi:[1,0,0]
	v_mov_b32_e32 v11, v5
	v_pk_add_f32 v[2:3], v[34:35], 0 op_sel_hi:[1,0]
	s_waitcnt lgkmcnt(0)
	v_pk_mul_f32 v[32:33], v[22:23], v[32:33] op_sel_hi:[1,0]
	s_waitcnt vmcnt(3)
	v_pk_fma_f32 v[14:15], v[8:9], v[16:17], v[30:31] op_sel:[0,0,1] op_sel_hi:[1,1,0] neg_lo:[0,0,1] neg_hi:[0,0,1]
	v_pk_fma_f32 v[8:9], v[8:9], v[16:17], v[30:31] op_sel:[0,0,1] op_sel_hi:[1,0,0]
	v_mov_b32_e32 v13, v7
	v_pk_add_f32 v[2:3], v[2:3], v[10:11]
	s_waitcnt vmcnt(2)
	v_pk_fma_f32 v[16:17], v[22:23], v[18:19], v[32:33] op_sel:[0,0,1] op_sel_hi:[1,1,0] neg_lo:[0,0,1] neg_hi:[0,0,1]
	v_pk_fma_f32 v[18:19], v[22:23], v[18:19], v[32:33] op_sel:[0,0,1] op_sel_hi:[1,0,0]
	v_mov_b32_e32 v15, v9
	v_pk_add_f32 v[2:3], v[2:3], v[12:13]
	v_mov_b32_e32 v17, v19
	v_pk_add_f32 v[2:3], v[2:3], v[14:15]
	v_pk_add_f32 v[2:3], v[2:3], v[16:17]
	s_waitcnt vmcnt(0)
	v_pk_add_f32 v[2:3], v[20:21], v[2:3] neg_lo:[0,1] neg_hi:[0,1]
	buffer_store_dword v2, off, s[0:3], 0 offset:408
	buffer_store_dword v3, off, s[0:3], 0 offset:412
	s_and_saveexec_b64 s[4:5], vcc
	s_cbranch_execz .LBB120_255
; %bb.254:
	buffer_load_dword v2, off, s[0:3], 0 offset:400
	buffer_load_dword v3, off, s[0:3], 0 offset:404
	s_waitcnt vmcnt(0)
	ds_write_b64 v165, v[2:3]
	buffer_store_dword v1, off, s[0:3], 0 offset:400
	buffer_store_dword v1, off, s[0:3], 0 offset:404
.LBB120_255:
	s_or_b64 exec, exec, s[4:5]
	s_waitcnt lgkmcnt(0)
	; wave barrier
	s_waitcnt lgkmcnt(0)
	buffer_load_dword v15, off, s[0:3], 0 offset:412
	buffer_load_dword v17, off, s[0:3], 0 offset:420
	;; [unrolled: 1-line block ×14, first 2 shown]
	ds_read2_b64 v[2:5], v1 offset0:109 offset1:110
	ds_read2_b64 v[6:9], v1 offset0:111 offset1:112
	;; [unrolled: 1-line block ×3, first 2 shown]
	v_cmp_lt_u32_e32 vcc, 49, v0
	s_waitcnt vmcnt(13)
	v_mov_b32_e32 v28, v15
	s_waitcnt vmcnt(12)
	v_mov_b32_e32 v30, v17
	s_waitcnt lgkmcnt(2)
	v_pk_mul_f32 v[28:29], v[2:3], v[28:29] op_sel_hi:[1,0]
	s_waitcnt vmcnt(11)
	v_mov_b32_e32 v32, v19
	v_pk_mul_f32 v[30:31], v[4:5], v[30:31] op_sel_hi:[1,0]
	s_waitcnt vmcnt(10)
	v_mov_b32_e32 v34, v21
	s_waitcnt vmcnt(7)
	v_pk_fma_f32 v[40:41], v[2:3], v[14:15], v[28:29] op_sel:[0,0,1] op_sel_hi:[1,1,0] neg_lo:[0,0,1] neg_hi:[0,0,1]
	v_pk_fma_f32 v[2:3], v[2:3], v[14:15], v[28:29] op_sel:[0,0,1] op_sel_hi:[1,0,0]
	s_waitcnt lgkmcnt(1)
	v_pk_mul_f32 v[32:33], v[6:7], v[32:33] op_sel_hi:[1,0]
	s_waitcnt vmcnt(6)
	v_pk_fma_f32 v[14:15], v[4:5], v[16:17], v[30:31] op_sel:[0,0,1] op_sel_hi:[1,1,0] neg_lo:[0,0,1] neg_hi:[0,0,1]
	v_pk_fma_f32 v[4:5], v[4:5], v[16:17], v[30:31] op_sel:[0,0,1] op_sel_hi:[1,0,0]
	v_mov_b32_e32 v41, v3
	v_mov_b32_e32 v36, v23
	v_pk_mul_f32 v[34:35], v[8:9], v[34:35] op_sel_hi:[1,0]
	s_waitcnt vmcnt(5)
	v_pk_fma_f32 v[16:17], v[6:7], v[18:19], v[32:33] op_sel:[0,0,1] op_sel_hi:[1,1,0] neg_lo:[0,0,1] neg_hi:[0,0,1]
	v_pk_fma_f32 v[6:7], v[6:7], v[18:19], v[32:33] op_sel:[0,0,1] op_sel_hi:[1,0,0]
	v_mov_b32_e32 v15, v5
	v_pk_add_f32 v[2:3], v[40:41], 0 op_sel_hi:[1,0]
	v_mov_b32_e32 v38, v25
	s_waitcnt lgkmcnt(0)
	v_pk_mul_f32 v[36:37], v[10:11], v[36:37] op_sel_hi:[1,0]
	s_waitcnt vmcnt(4)
	v_pk_fma_f32 v[18:19], v[8:9], v[20:21], v[34:35] op_sel:[0,0,1] op_sel_hi:[1,1,0] neg_lo:[0,0,1] neg_hi:[0,0,1]
	v_pk_fma_f32 v[8:9], v[8:9], v[20:21], v[34:35] op_sel:[0,0,1] op_sel_hi:[1,0,0]
	v_mov_b32_e32 v17, v7
	v_pk_add_f32 v[2:3], v[2:3], v[14:15]
	v_pk_mul_f32 v[38:39], v[12:13], v[38:39] op_sel_hi:[1,0]
	s_waitcnt vmcnt(3)
	v_pk_fma_f32 v[20:21], v[10:11], v[22:23], v[36:37] op_sel:[0,0,1] op_sel_hi:[1,1,0] neg_lo:[0,0,1] neg_hi:[0,0,1]
	v_pk_fma_f32 v[10:11], v[10:11], v[22:23], v[36:37] op_sel:[0,0,1] op_sel_hi:[1,0,0]
	v_mov_b32_e32 v19, v9
	v_pk_add_f32 v[2:3], v[2:3], v[16:17]
	s_waitcnt vmcnt(2)
	v_pk_fma_f32 v[22:23], v[12:13], v[24:25], v[38:39] op_sel:[0,0,1] op_sel_hi:[1,1,0] neg_lo:[0,0,1] neg_hi:[0,0,1]
	v_pk_fma_f32 v[12:13], v[12:13], v[24:25], v[38:39] op_sel:[0,0,1] op_sel_hi:[1,0,0]
	v_mov_b32_e32 v21, v11
	v_pk_add_f32 v[2:3], v[2:3], v[18:19]
	v_mov_b32_e32 v23, v13
	v_pk_add_f32 v[2:3], v[2:3], v[20:21]
	v_pk_add_f32 v[2:3], v[2:3], v[22:23]
	s_waitcnt vmcnt(0)
	v_pk_add_f32 v[2:3], v[26:27], v[2:3] neg_lo:[0,1] neg_hi:[0,1]
	buffer_store_dword v2, off, s[0:3], 0 offset:400
	buffer_store_dword v3, off, s[0:3], 0 offset:404
	s_and_saveexec_b64 s[4:5], vcc
	s_cbranch_execz .LBB120_257
; %bb.256:
	buffer_load_dword v2, off, s[0:3], 0 offset:392
	buffer_load_dword v3, off, s[0:3], 0 offset:396
	v_mov_b32_e32 v1, 0
	buffer_store_dword v1, off, s[0:3], 0 offset:392
	buffer_store_dword v1, off, s[0:3], 0 offset:396
	s_waitcnt vmcnt(2)
	ds_write_b64 v165, v[2:3]
.LBB120_257:
	s_or_b64 exec, exec, s[4:5]
	s_waitcnt lgkmcnt(0)
	; wave barrier
	s_waitcnt lgkmcnt(0)
	buffer_load_dword v15, off, s[0:3], 0 offset:404
	buffer_load_dword v17, off, s[0:3], 0 offset:412
	;; [unrolled: 1-line block ×16, first 2 shown]
	v_mov_b32_e32 v1, 0
	ds_read_b128 v[2:5], v1 offset:864
	ds_read_b128 v[6:9], v1 offset:880
	;; [unrolled: 1-line block ×3, first 2 shown]
	ds_read_b64 v[30:31], v1 offset:912
	v_cmp_lt_u32_e32 vcc, 48, v0
	s_waitcnt vmcnt(15)
	v_mov_b32_e32 v32, v15
	s_waitcnt vmcnt(14)
	v_mov_b32_e32 v34, v17
	s_waitcnt lgkmcnt(3)
	v_pk_mul_f32 v[32:33], v[2:3], v[32:33] op_sel_hi:[1,0]
	s_waitcnt vmcnt(13)
	v_mov_b32_e32 v36, v19
	v_pk_mul_f32 v[34:35], v[4:5], v[34:35] op_sel_hi:[1,0]
	s_waitcnt vmcnt(12)
	v_mov_b32_e32 v38, v21
	s_waitcnt lgkmcnt(2)
	v_pk_mul_f32 v[36:37], v[6:7], v[36:37] op_sel_hi:[1,0]
	s_waitcnt vmcnt(8)
	v_pk_fma_f32 v[46:47], v[2:3], v[14:15], v[32:33] op_sel:[0,0,1] op_sel_hi:[1,1,0] neg_lo:[0,0,1] neg_hi:[0,0,1]
	v_pk_fma_f32 v[2:3], v[2:3], v[14:15], v[32:33] op_sel:[0,0,1] op_sel_hi:[1,0,0]
	s_waitcnt vmcnt(7)
	v_pk_fma_f32 v[14:15], v[4:5], v[16:17], v[34:35] op_sel:[0,0,1] op_sel_hi:[1,1,0] neg_lo:[0,0,1] neg_hi:[0,0,1]
	v_pk_fma_f32 v[4:5], v[4:5], v[16:17], v[34:35] op_sel:[0,0,1] op_sel_hi:[1,0,0]
	v_mov_b32_e32 v47, v3
	v_mov_b32_e32 v40, v23
	v_pk_mul_f32 v[38:39], v[8:9], v[38:39] op_sel_hi:[1,0]
	s_waitcnt vmcnt(6)
	v_pk_fma_f32 v[16:17], v[6:7], v[18:19], v[36:37] op_sel:[0,0,1] op_sel_hi:[1,1,0] neg_lo:[0,0,1] neg_hi:[0,0,1]
	v_pk_fma_f32 v[6:7], v[6:7], v[18:19], v[36:37] op_sel:[0,0,1] op_sel_hi:[1,0,0]
	v_mov_b32_e32 v15, v5
	v_pk_add_f32 v[2:3], v[46:47], 0 op_sel_hi:[1,0]
	v_mov_b32_e32 v42, v25
	s_waitcnt lgkmcnt(1)
	v_pk_mul_f32 v[40:41], v[10:11], v[40:41] op_sel_hi:[1,0]
	s_waitcnt vmcnt(5)
	v_pk_fma_f32 v[18:19], v[8:9], v[20:21], v[38:39] op_sel:[0,0,1] op_sel_hi:[1,1,0] neg_lo:[0,0,1] neg_hi:[0,0,1]
	v_pk_fma_f32 v[8:9], v[8:9], v[20:21], v[38:39] op_sel:[0,0,1] op_sel_hi:[1,0,0]
	v_mov_b32_e32 v17, v7
	v_pk_add_f32 v[2:3], v[2:3], v[14:15]
	v_mov_b32_e32 v44, v27
	v_pk_mul_f32 v[42:43], v[12:13], v[42:43] op_sel_hi:[1,0]
	s_waitcnt vmcnt(4)
	v_pk_fma_f32 v[20:21], v[10:11], v[22:23], v[40:41] op_sel:[0,0,1] op_sel_hi:[1,1,0] neg_lo:[0,0,1] neg_hi:[0,0,1]
	v_pk_fma_f32 v[10:11], v[10:11], v[22:23], v[40:41] op_sel:[0,0,1] op_sel_hi:[1,0,0]
	v_mov_b32_e32 v19, v9
	v_pk_add_f32 v[2:3], v[2:3], v[16:17]
	s_waitcnt lgkmcnt(0)
	v_pk_mul_f32 v[44:45], v[30:31], v[44:45] op_sel_hi:[1,0]
	s_waitcnt vmcnt(3)
	v_pk_fma_f32 v[22:23], v[12:13], v[24:25], v[42:43] op_sel:[0,0,1] op_sel_hi:[1,1,0] neg_lo:[0,0,1] neg_hi:[0,0,1]
	v_pk_fma_f32 v[12:13], v[12:13], v[24:25], v[42:43] op_sel:[0,0,1] op_sel_hi:[1,0,0]
	v_mov_b32_e32 v21, v11
	v_pk_add_f32 v[2:3], v[2:3], v[18:19]
	s_waitcnt vmcnt(2)
	v_pk_fma_f32 v[24:25], v[30:31], v[26:27], v[44:45] op_sel:[0,0,1] op_sel_hi:[1,1,0] neg_lo:[0,0,1] neg_hi:[0,0,1]
	v_pk_fma_f32 v[26:27], v[30:31], v[26:27], v[44:45] op_sel:[0,0,1] op_sel_hi:[1,0,0]
	v_mov_b32_e32 v23, v13
	v_pk_add_f32 v[2:3], v[2:3], v[20:21]
	v_mov_b32_e32 v25, v27
	v_pk_add_f32 v[2:3], v[2:3], v[22:23]
	v_pk_add_f32 v[2:3], v[2:3], v[24:25]
	s_waitcnt vmcnt(0)
	v_pk_add_f32 v[2:3], v[28:29], v[2:3] neg_lo:[0,1] neg_hi:[0,1]
	buffer_store_dword v2, off, s[0:3], 0 offset:392
	buffer_store_dword v3, off, s[0:3], 0 offset:396
	s_and_saveexec_b64 s[4:5], vcc
	s_cbranch_execz .LBB120_259
; %bb.258:
	buffer_load_dword v2, off, s[0:3], 0 offset:384
	buffer_load_dword v3, off, s[0:3], 0 offset:388
	s_waitcnt vmcnt(0)
	ds_write_b64 v165, v[2:3]
	buffer_store_dword v1, off, s[0:3], 0 offset:384
	buffer_store_dword v1, off, s[0:3], 0 offset:388
.LBB120_259:
	s_or_b64 exec, exec, s[4:5]
	s_waitcnt lgkmcnt(0)
	; wave barrier
	s_waitcnt lgkmcnt(0)
	buffer_load_dword v19, off, s[0:3], 0 offset:396
	buffer_load_dword v21, off, s[0:3], 0 offset:404
	;; [unrolled: 1-line block ×18, first 2 shown]
	ds_read2_b64 v[2:5], v1 offset0:107 offset1:108
	ds_read2_b64 v[6:9], v1 offset0:109 offset1:110
	;; [unrolled: 1-line block ×4, first 2 shown]
	v_cmp_lt_u32_e32 vcc, 47, v0
	s_waitcnt vmcnt(17)
	v_mov_b32_e32 v36, v19
	s_waitcnt vmcnt(16)
	v_mov_b32_e32 v38, v21
	s_waitcnt lgkmcnt(3)
	v_pk_mul_f32 v[36:37], v[2:3], v[36:37] op_sel_hi:[1,0]
	s_waitcnt vmcnt(15)
	v_mov_b32_e32 v40, v23
	v_pk_mul_f32 v[38:39], v[4:5], v[38:39] op_sel_hi:[1,0]
	s_waitcnt vmcnt(14)
	v_mov_b32_e32 v42, v25
	s_waitcnt lgkmcnt(2)
	v_pk_mul_f32 v[40:41], v[6:7], v[40:41] op_sel_hi:[1,0]
	s_waitcnt vmcnt(13)
	v_mov_b32_e32 v44, v27
	s_waitcnt vmcnt(9)
	v_pk_fma_f32 v[52:53], v[2:3], v[18:19], v[36:37] op_sel:[0,0,1] op_sel_hi:[1,1,0] neg_lo:[0,0,1] neg_hi:[0,0,1]
	v_pk_fma_f32 v[2:3], v[2:3], v[18:19], v[36:37] op_sel:[0,0,1] op_sel_hi:[1,0,0]
	s_waitcnt vmcnt(8)
	v_pk_fma_f32 v[18:19], v[4:5], v[20:21], v[38:39] op_sel:[0,0,1] op_sel_hi:[1,1,0] neg_lo:[0,0,1] neg_hi:[0,0,1]
	v_pk_fma_f32 v[4:5], v[4:5], v[20:21], v[38:39] op_sel:[0,0,1] op_sel_hi:[1,0,0]
	v_mov_b32_e32 v53, v3
	v_pk_mul_f32 v[42:43], v[8:9], v[42:43] op_sel_hi:[1,0]
	s_waitcnt vmcnt(7)
	v_pk_fma_f32 v[20:21], v[6:7], v[22:23], v[40:41] op_sel:[0,0,1] op_sel_hi:[1,1,0] neg_lo:[0,0,1] neg_hi:[0,0,1]
	v_pk_fma_f32 v[6:7], v[6:7], v[22:23], v[40:41] op_sel:[0,0,1] op_sel_hi:[1,0,0]
	v_mov_b32_e32 v19, v5
	v_pk_add_f32 v[2:3], v[52:53], 0 op_sel_hi:[1,0]
	v_mov_b32_e32 v46, v29
	s_waitcnt lgkmcnt(1)
	v_pk_mul_f32 v[44:45], v[10:11], v[44:45] op_sel_hi:[1,0]
	s_waitcnt vmcnt(6)
	v_pk_fma_f32 v[22:23], v[8:9], v[24:25], v[42:43] op_sel:[0,0,1] op_sel_hi:[1,1,0] neg_lo:[0,0,1] neg_hi:[0,0,1]
	v_pk_fma_f32 v[8:9], v[8:9], v[24:25], v[42:43] op_sel:[0,0,1] op_sel_hi:[1,0,0]
	v_mov_b32_e32 v21, v7
	v_pk_add_f32 v[2:3], v[2:3], v[18:19]
	v_mov_b32_e32 v48, v31
	v_pk_mul_f32 v[46:47], v[12:13], v[46:47] op_sel_hi:[1,0]
	s_waitcnt vmcnt(5)
	v_pk_fma_f32 v[24:25], v[10:11], v[26:27], v[44:45] op_sel:[0,0,1] op_sel_hi:[1,1,0] neg_lo:[0,0,1] neg_hi:[0,0,1]
	v_pk_fma_f32 v[10:11], v[10:11], v[26:27], v[44:45] op_sel:[0,0,1] op_sel_hi:[1,0,0]
	v_mov_b32_e32 v23, v9
	v_pk_add_f32 v[2:3], v[2:3], v[20:21]
	v_mov_b32_e32 v50, v33
	s_waitcnt lgkmcnt(0)
	v_pk_mul_f32 v[48:49], v[14:15], v[48:49] op_sel_hi:[1,0]
	s_waitcnt vmcnt(4)
	v_pk_fma_f32 v[26:27], v[12:13], v[28:29], v[46:47] op_sel:[0,0,1] op_sel_hi:[1,1,0] neg_lo:[0,0,1] neg_hi:[0,0,1]
	v_pk_fma_f32 v[12:13], v[12:13], v[28:29], v[46:47] op_sel:[0,0,1] op_sel_hi:[1,0,0]
	v_mov_b32_e32 v25, v11
	v_pk_add_f32 v[2:3], v[2:3], v[22:23]
	v_pk_mul_f32 v[50:51], v[16:17], v[50:51] op_sel_hi:[1,0]
	s_waitcnt vmcnt(3)
	v_pk_fma_f32 v[28:29], v[14:15], v[30:31], v[48:49] op_sel:[0,0,1] op_sel_hi:[1,1,0] neg_lo:[0,0,1] neg_hi:[0,0,1]
	v_pk_fma_f32 v[14:15], v[14:15], v[30:31], v[48:49] op_sel:[0,0,1] op_sel_hi:[1,0,0]
	v_mov_b32_e32 v27, v13
	v_pk_add_f32 v[2:3], v[2:3], v[24:25]
	s_waitcnt vmcnt(2)
	v_pk_fma_f32 v[30:31], v[16:17], v[32:33], v[50:51] op_sel:[0,0,1] op_sel_hi:[1,1,0] neg_lo:[0,0,1] neg_hi:[0,0,1]
	v_pk_fma_f32 v[16:17], v[16:17], v[32:33], v[50:51] op_sel:[0,0,1] op_sel_hi:[1,0,0]
	v_mov_b32_e32 v29, v15
	v_pk_add_f32 v[2:3], v[2:3], v[26:27]
	v_mov_b32_e32 v31, v17
	v_pk_add_f32 v[2:3], v[2:3], v[28:29]
	v_pk_add_f32 v[2:3], v[2:3], v[30:31]
	s_waitcnt vmcnt(0)
	v_pk_add_f32 v[2:3], v[34:35], v[2:3] neg_lo:[0,1] neg_hi:[0,1]
	buffer_store_dword v2, off, s[0:3], 0 offset:384
	buffer_store_dword v3, off, s[0:3], 0 offset:388
	s_and_saveexec_b64 s[4:5], vcc
	s_cbranch_execz .LBB120_261
; %bb.260:
	buffer_load_dword v2, off, s[0:3], 0 offset:376
	buffer_load_dword v3, off, s[0:3], 0 offset:380
	v_mov_b32_e32 v1, 0
	buffer_store_dword v1, off, s[0:3], 0 offset:376
	buffer_store_dword v1, off, s[0:3], 0 offset:380
	s_waitcnt vmcnt(2)
	ds_write_b64 v165, v[2:3]
.LBB120_261:
	s_or_b64 exec, exec, s[4:5]
	v_mov_b32_e32 v1, 0
	s_waitcnt lgkmcnt(0)
	; wave barrier
	s_waitcnt lgkmcnt(0)
	ds_read_b128 v[2:5], v1 offset:848
	ds_read_b128 v[6:9], v1 offset:864
	ds_read_b128 v[10:13], v1 offset:880
	ds_read_b128 v[14:17], v1 offset:896
	buffer_load_dword v18, off, s[0:3], 0 offset:376
	buffer_load_dword v19, off, s[0:3], 0 offset:380
	;; [unrolled: 1-line block ×20, first 2 shown]
	v_cmp_lt_u32_e32 vcc, 46, v0
	s_waitcnt vmcnt(16) lgkmcnt(3)
	v_mul_f32_e32 v33, v2, v38
	v_fmac_f32_e32 v33, v3, v32
	v_mul_f32_e32 v3, v3, v38
	s_waitcnt vmcnt(14)
	v_mov_b32_e32 v38, v21
	v_pk_mul_f32 v[38:39], v[4:5], v[38:39] op_sel_hi:[1,0]
	v_fma_f32 v32, v2, v32, -v3
	v_pk_fma_f32 v[40:41], v[4:5], v[20:21], v[38:39] op_sel:[0,0,1] op_sel_hi:[1,1,0] neg_lo:[0,0,1] neg_hi:[0,0,1]
	v_pk_fma_f32 v[4:5], v[4:5], v[20:21], v[38:39] op_sel:[0,0,1] op_sel_hi:[1,0,0]
	s_waitcnt vmcnt(12)
	v_mov_b32_e32 v20, v23
	v_pk_add_f32 v[32:33], v[32:33], 0 op_sel_hi:[1,0]
	v_mov_b32_e32 v41, v5
	s_waitcnt lgkmcnt(2)
	v_pk_mul_f32 v[20:21], v[6:7], v[20:21] op_sel_hi:[1,0]
	v_pk_add_f32 v[4:5], v[32:33], v[40:41]
	v_pk_fma_f32 v[32:33], v[6:7], v[22:23], v[20:21] op_sel:[0,0,1] op_sel_hi:[1,1,0] neg_lo:[0,0,1] neg_hi:[0,0,1]
	v_pk_fma_f32 v[6:7], v[6:7], v[22:23], v[20:21] op_sel:[0,0,1] op_sel_hi:[1,0,0]
	s_waitcnt vmcnt(10)
	v_mov_b32_e32 v6, v25
	v_mov_b32_e32 v33, v7
	v_pk_mul_f32 v[6:7], v[8:9], v[6:7] op_sel_hi:[1,0]
	v_pk_fma_f32 v[20:21], v[8:9], v[24:25], v[6:7] op_sel:[0,0,1] op_sel_hi:[1,1,0] neg_lo:[0,0,1] neg_hi:[0,0,1]
	v_pk_fma_f32 v[6:7], v[8:9], v[24:25], v[6:7] op_sel:[0,0,1] op_sel_hi:[1,0,0]
	s_waitcnt vmcnt(8)
	v_mov_b32_e32 v6, v27
	v_mov_b32_e32 v21, v7
	s_waitcnt lgkmcnt(1)
	v_pk_mul_f32 v[6:7], v[10:11], v[6:7] op_sel_hi:[1,0]
	v_pk_fma_f32 v[8:9], v[10:11], v[26:27], v[6:7] op_sel:[0,0,1] op_sel_hi:[1,1,0] neg_lo:[0,0,1] neg_hi:[0,0,1]
	v_pk_fma_f32 v[6:7], v[10:11], v[26:27], v[6:7] op_sel:[0,0,1] op_sel_hi:[1,0,0]
	v_pk_add_f32 v[4:5], v[4:5], v[32:33]
	s_waitcnt vmcnt(6)
	v_mov_b32_e32 v6, v29
	v_pk_add_f32 v[4:5], v[4:5], v[20:21]
	v_mov_b32_e32 v9, v7
	v_pk_mul_f32 v[6:7], v[12:13], v[6:7] op_sel_hi:[1,0]
	v_pk_add_f32 v[4:5], v[4:5], v[8:9]
	v_pk_fma_f32 v[8:9], v[12:13], v[28:29], v[6:7] op_sel:[0,0,1] op_sel_hi:[1,1,0] neg_lo:[0,0,1] neg_hi:[0,0,1]
	v_pk_fma_f32 v[6:7], v[12:13], v[28:29], v[6:7] op_sel:[0,0,1] op_sel_hi:[1,0,0]
	s_waitcnt vmcnt(4)
	v_mov_b32_e32 v6, v31
	v_mov_b32_e32 v9, v7
	s_waitcnt lgkmcnt(0)
	v_pk_mul_f32 v[6:7], v[14:15], v[6:7] op_sel_hi:[1,0]
	ds_read_b64 v[2:3], v1 offset:912
	v_pk_add_f32 v[4:5], v[4:5], v[8:9]
	v_pk_fma_f32 v[8:9], v[14:15], v[30:31], v[6:7] op_sel:[0,0,1] op_sel_hi:[1,1,0] neg_lo:[0,0,1] neg_hi:[0,0,1]
	v_pk_fma_f32 v[6:7], v[14:15], v[30:31], v[6:7] op_sel:[0,0,1] op_sel_hi:[1,0,0]
	s_waitcnt vmcnt(3)
	v_mov_b32_e32 v6, v35
	v_mov_b32_e32 v9, v7
	v_pk_mul_f32 v[6:7], v[16:17], v[6:7] op_sel_hi:[1,0]
	v_pk_add_f32 v[4:5], v[4:5], v[8:9]
	s_waitcnt vmcnt(2)
	v_pk_fma_f32 v[8:9], v[16:17], v[34:35], v[6:7] op_sel:[0,0,1] op_sel_hi:[1,1,0] neg_lo:[0,0,1] neg_hi:[0,0,1]
	v_pk_fma_f32 v[6:7], v[16:17], v[34:35], v[6:7] op_sel:[0,0,1] op_sel_hi:[1,0,0]
	s_waitcnt vmcnt(1)
	v_mov_b32_e32 v6, v37
	v_mov_b32_e32 v9, v7
	s_waitcnt lgkmcnt(0)
	v_pk_mul_f32 v[6:7], v[2:3], v[6:7] op_sel_hi:[1,0]
	v_pk_add_f32 v[4:5], v[4:5], v[8:9]
	s_waitcnt vmcnt(0)
	v_pk_fma_f32 v[8:9], v[2:3], v[36:37], v[6:7] op_sel:[0,0,1] op_sel_hi:[1,1,0] neg_lo:[0,0,1] neg_hi:[0,0,1]
	v_pk_fma_f32 v[2:3], v[2:3], v[36:37], v[6:7] op_sel:[0,0,1] op_sel_hi:[1,0,0]
	v_mov_b32_e32 v9, v3
	v_pk_add_f32 v[2:3], v[4:5], v[8:9]
	v_pk_add_f32 v[2:3], v[18:19], v[2:3] neg_lo:[0,1] neg_hi:[0,1]
	buffer_store_dword v2, off, s[0:3], 0 offset:376
	buffer_store_dword v3, off, s[0:3], 0 offset:380
	s_and_saveexec_b64 s[4:5], vcc
	s_cbranch_execz .LBB120_263
; %bb.262:
	buffer_load_dword v2, off, s[0:3], 0 offset:368
	buffer_load_dword v3, off, s[0:3], 0 offset:372
	s_waitcnt vmcnt(0)
	ds_write_b64 v165, v[2:3]
	buffer_store_dword v1, off, s[0:3], 0 offset:368
	buffer_store_dword v1, off, s[0:3], 0 offset:372
.LBB120_263:
	s_or_b64 exec, exec, s[4:5]
	s_waitcnt lgkmcnt(0)
	; wave barrier
	s_waitcnt lgkmcnt(0)
	ds_read2_b64 v[2:5], v1 offset0:105 offset1:106
	buffer_load_dword v18, off, s[0:3], 0 offset:368
	buffer_load_dword v19, off, s[0:3], 0 offset:372
	;; [unrolled: 1-line block ×16, first 2 shown]
	ds_read2_b64 v[6:9], v1 offset0:107 offset1:108
	buffer_load_dword v35, off, s[0:3], 0 offset:436
	buffer_load_dword v34, off, s[0:3], 0 offset:432
	;; [unrolled: 1-line block ×6, first 2 shown]
	v_cmp_lt_u32_e32 vcc, 45, v0
	s_waitcnt vmcnt(18) lgkmcnt(1)
	v_mul_f32_e32 v31, v2, v11
	v_fmac_f32_e32 v31, v3, v10
	v_mul_f32_e32 v3, v3, v11
	s_waitcnt vmcnt(16)
	v_mul_f32_e32 v33, v4, v13
	v_fma_f32 v30, v2, v10, -v3
	v_mul_f32_e32 v2, v5, v13
	v_fmac_f32_e32 v33, v5, v12
	v_fma_f32 v32, v4, v12, -v2
	v_pk_add_f32 v[30:31], v[30:31], 0 op_sel_hi:[1,0]
	v_pk_add_f32 v[30:31], v[30:31], v[32:33]
	s_waitcnt vmcnt(14)
	v_mov_b32_e32 v32, v21
	s_waitcnt lgkmcnt(0)
	v_pk_mul_f32 v[32:33], v[6:7], v[32:33] op_sel_hi:[1,0]
	v_pk_fma_f32 v[40:41], v[6:7], v[20:21], v[32:33] op_sel:[0,0,1] op_sel_hi:[1,1,0] neg_lo:[0,0,1] neg_hi:[0,0,1]
	v_pk_fma_f32 v[6:7], v[6:7], v[20:21], v[32:33] op_sel:[0,0,1] op_sel_hi:[1,0,0]
	s_waitcnt vmcnt(12)
	v_mov_b32_e32 v20, v23
	ds_read2_b64 v[2:5], v1 offset0:109 offset1:110
	ds_read2_b64 v[10:13], v1 offset0:111 offset1:112
	ds_read2_b64 v[14:17], v1 offset0:113 offset1:114
	v_mov_b32_e32 v41, v7
	v_pk_mul_f32 v[20:21], v[8:9], v[20:21] op_sel_hi:[1,0]
	v_pk_add_f32 v[6:7], v[30:31], v[40:41]
	v_pk_fma_f32 v[30:31], v[8:9], v[22:23], v[20:21] op_sel:[0,0,1] op_sel_hi:[1,1,0] neg_lo:[0,0,1] neg_hi:[0,0,1]
	v_pk_fma_f32 v[8:9], v[8:9], v[22:23], v[20:21] op_sel:[0,0,1] op_sel_hi:[1,0,0]
	s_waitcnt vmcnt(10)
	v_mov_b32_e32 v8, v25
	v_mov_b32_e32 v31, v9
	s_waitcnt lgkmcnt(2)
	v_pk_mul_f32 v[8:9], v[2:3], v[8:9] op_sel_hi:[1,0]
	v_pk_fma_f32 v[20:21], v[2:3], v[24:25], v[8:9] op_sel:[0,0,1] op_sel_hi:[1,1,0] neg_lo:[0,0,1] neg_hi:[0,0,1]
	v_pk_fma_f32 v[2:3], v[2:3], v[24:25], v[8:9] op_sel:[0,0,1] op_sel_hi:[1,0,0]
	v_pk_add_f32 v[6:7], v[6:7], v[30:31]
	v_mov_b32_e32 v21, v3
	v_pk_add_f32 v[2:3], v[6:7], v[20:21]
	s_waitcnt vmcnt(8)
	v_mov_b32_e32 v6, v27
	v_pk_mul_f32 v[6:7], v[4:5], v[6:7] op_sel_hi:[1,0]
	v_pk_fma_f32 v[8:9], v[4:5], v[26:27], v[6:7] op_sel:[0,0,1] op_sel_hi:[1,1,0] neg_lo:[0,0,1] neg_hi:[0,0,1]
	v_pk_fma_f32 v[4:5], v[4:5], v[26:27], v[6:7] op_sel:[0,0,1] op_sel_hi:[1,0,0]
	s_waitcnt vmcnt(6)
	v_mov_b32_e32 v4, v29
	v_mov_b32_e32 v9, v5
	s_waitcnt lgkmcnt(1)
	v_pk_mul_f32 v[4:5], v[10:11], v[4:5] op_sel_hi:[1,0]
	v_pk_fma_f32 v[6:7], v[10:11], v[28:29], v[4:5] op_sel:[0,0,1] op_sel_hi:[1,1,0] neg_lo:[0,0,1] neg_hi:[0,0,1]
	v_pk_fma_f32 v[4:5], v[10:11], v[28:29], v[4:5] op_sel:[0,0,1] op_sel_hi:[1,0,0]
	s_waitcnt vmcnt(5)
	v_mov_b32_e32 v4, v35
	v_pk_add_f32 v[2:3], v[2:3], v[8:9]
	v_mov_b32_e32 v7, v5
	v_pk_mul_f32 v[4:5], v[12:13], v[4:5] op_sel_hi:[1,0]
	v_pk_add_f32 v[2:3], v[2:3], v[6:7]
	s_waitcnt vmcnt(4)
	v_pk_fma_f32 v[6:7], v[12:13], v[34:35], v[4:5] op_sel:[0,0,1] op_sel_hi:[1,1,0] neg_lo:[0,0,1] neg_hi:[0,0,1]
	v_pk_fma_f32 v[4:5], v[12:13], v[34:35], v[4:5] op_sel:[0,0,1] op_sel_hi:[1,0,0]
	s_waitcnt vmcnt(3)
	v_mov_b32_e32 v4, v37
	v_mov_b32_e32 v7, v5
	s_waitcnt lgkmcnt(0)
	v_pk_mul_f32 v[4:5], v[14:15], v[4:5] op_sel_hi:[1,0]
	v_pk_add_f32 v[2:3], v[2:3], v[6:7]
	s_waitcnt vmcnt(2)
	v_pk_fma_f32 v[6:7], v[14:15], v[36:37], v[4:5] op_sel:[0,0,1] op_sel_hi:[1,1,0] neg_lo:[0,0,1] neg_hi:[0,0,1]
	v_pk_fma_f32 v[4:5], v[14:15], v[36:37], v[4:5] op_sel:[0,0,1] op_sel_hi:[1,0,0]
	s_waitcnt vmcnt(1)
	v_mov_b32_e32 v4, v39
	v_mov_b32_e32 v7, v5
	v_pk_mul_f32 v[4:5], v[16:17], v[4:5] op_sel_hi:[1,0]
	v_pk_add_f32 v[2:3], v[2:3], v[6:7]
	s_waitcnt vmcnt(0)
	v_pk_fma_f32 v[6:7], v[16:17], v[38:39], v[4:5] op_sel:[0,0,1] op_sel_hi:[1,1,0] neg_lo:[0,0,1] neg_hi:[0,0,1]
	v_pk_fma_f32 v[4:5], v[16:17], v[38:39], v[4:5] op_sel:[0,0,1] op_sel_hi:[1,0,0]
	v_mov_b32_e32 v7, v5
	v_pk_add_f32 v[2:3], v[2:3], v[6:7]
	v_pk_add_f32 v[2:3], v[18:19], v[2:3] neg_lo:[0,1] neg_hi:[0,1]
	buffer_store_dword v2, off, s[0:3], 0 offset:368
	buffer_store_dword v3, off, s[0:3], 0 offset:372
	s_and_saveexec_b64 s[4:5], vcc
	s_cbranch_execz .LBB120_265
; %bb.264:
	buffer_load_dword v2, off, s[0:3], 0 offset:360
	buffer_load_dword v3, off, s[0:3], 0 offset:364
	v_mov_b32_e32 v1, 0
	buffer_store_dword v1, off, s[0:3], 0 offset:360
	buffer_store_dword v1, off, s[0:3], 0 offset:364
	s_waitcnt vmcnt(2)
	ds_write_b64 v165, v[2:3]
.LBB120_265:
	s_or_b64 exec, exec, s[4:5]
	v_mov_b32_e32 v1, 0
	s_waitcnt lgkmcnt(0)
	; wave barrier
	s_waitcnt lgkmcnt(0)
	ds_read_b128 v[4:7], v1 offset:832
	ds_read_b128 v[8:11], v1 offset:848
	;; [unrolled: 1-line block ×4, first 2 shown]
	buffer_load_dword v2, off, s[0:3], 0 offset:360
	buffer_load_dword v3, off, s[0:3], 0 offset:364
	;; [unrolled: 1-line block ×24, first 2 shown]
	v_cmp_lt_u32_e32 vcc, 44, v0
	s_waitcnt vmcnt(20) lgkmcnt(3)
	v_mul_f32_e32 v29, v4, v30
	v_fmac_f32_e32 v29, v5, v28
	v_mul_f32_e32 v5, v5, v30
	v_fma_f32 v4, v4, v28, -v5
	s_waitcnt vmcnt(18)
	v_mul_f32_e32 v31, v6, v42
	v_add_f32_e32 v28, 0, v4
	v_mul_f32_e32 v4, v7, v42
	v_add_f32_e32 v29, 0, v29
	v_fmac_f32_e32 v31, v7, v32
	v_fma_f32 v30, v6, v32, -v4
	s_waitcnt vmcnt(16) lgkmcnt(2)
	v_mul_f32_e32 v33, v8, v44
	v_mul_f32_e32 v4, v9, v44
	v_pk_add_f32 v[28:29], v[28:29], v[30:31]
	s_waitcnt vmcnt(14)
	v_mov_b32_e32 v30, v21
	v_fmac_f32_e32 v33, v9, v43
	v_fma_f32 v32, v8, v43, -v4
	v_pk_mul_f32 v[30:31], v[10:11], v[30:31] op_sel_hi:[1,0]
	v_pk_add_f32 v[28:29], v[28:29], v[32:33]
	v_pk_fma_f32 v[32:33], v[10:11], v[20:21], v[30:31] op_sel:[0,0,1] op_sel_hi:[1,1,0] neg_lo:[0,0,1] neg_hi:[0,0,1]
	v_pk_fma_f32 v[10:11], v[10:11], v[20:21], v[30:31] op_sel:[0,0,1] op_sel_hi:[1,0,0]
	s_waitcnt vmcnt(12)
	v_mov_b32_e32 v20, v23
	v_mov_b32_e32 v33, v11
	s_waitcnt lgkmcnt(1)
	v_pk_mul_f32 v[20:21], v[12:13], v[20:21] op_sel_hi:[1,0]
	v_pk_add_f32 v[10:11], v[28:29], v[32:33]
	v_pk_fma_f32 v[28:29], v[12:13], v[22:23], v[20:21] op_sel:[0,0,1] op_sel_hi:[1,1,0] neg_lo:[0,0,1] neg_hi:[0,0,1]
	v_pk_fma_f32 v[12:13], v[12:13], v[22:23], v[20:21] op_sel:[0,0,1] op_sel_hi:[1,0,0]
	s_waitcnt vmcnt(10)
	v_mov_b32_e32 v12, v25
	v_mov_b32_e32 v29, v13
	v_pk_mul_f32 v[12:13], v[14:15], v[12:13] op_sel_hi:[1,0]
	v_pk_fma_f32 v[20:21], v[14:15], v[24:25], v[12:13] op_sel:[0,0,1] op_sel_hi:[1,1,0] neg_lo:[0,0,1] neg_hi:[0,0,1]
	v_pk_fma_f32 v[12:13], v[14:15], v[24:25], v[12:13] op_sel:[0,0,1] op_sel_hi:[1,0,0]
	s_waitcnt vmcnt(8)
	v_mov_b32_e32 v12, v27
	v_mov_b32_e32 v21, v13
	s_waitcnt lgkmcnt(0)
	v_pk_mul_f32 v[12:13], v[16:17], v[12:13] op_sel_hi:[1,0]
	v_pk_fma_f32 v[14:15], v[16:17], v[26:27], v[12:13] op_sel:[0,0,1] op_sel_hi:[1,1,0] neg_lo:[0,0,1] neg_hi:[0,0,1]
	v_pk_fma_f32 v[12:13], v[16:17], v[26:27], v[12:13] op_sel:[0,0,1] op_sel_hi:[1,0,0]
	ds_read_b128 v[4:7], v1 offset:896
	ds_read_b64 v[8:9], v1 offset:912
	v_pk_add_f32 v[10:11], v[10:11], v[28:29]
	s_waitcnt vmcnt(7)
	v_mov_b32_e32 v12, v35
	v_pk_add_f32 v[10:11], v[10:11], v[20:21]
	v_mov_b32_e32 v15, v13
	v_pk_mul_f32 v[12:13], v[18:19], v[12:13] op_sel_hi:[1,0]
	v_pk_add_f32 v[10:11], v[10:11], v[14:15]
	s_waitcnt vmcnt(6)
	v_pk_fma_f32 v[14:15], v[18:19], v[34:35], v[12:13] op_sel:[0,0,1] op_sel_hi:[1,1,0] neg_lo:[0,0,1] neg_hi:[0,0,1]
	v_pk_fma_f32 v[12:13], v[18:19], v[34:35], v[12:13] op_sel:[0,0,1] op_sel_hi:[1,0,0]
	s_waitcnt vmcnt(5)
	v_mov_b32_e32 v12, v37
	v_mov_b32_e32 v15, v13
	s_waitcnt lgkmcnt(1)
	v_pk_mul_f32 v[12:13], v[4:5], v[12:13] op_sel_hi:[1,0]
	v_pk_add_f32 v[10:11], v[10:11], v[14:15]
	s_waitcnt vmcnt(4)
	v_pk_fma_f32 v[14:15], v[4:5], v[36:37], v[12:13] op_sel:[0,0,1] op_sel_hi:[1,1,0] neg_lo:[0,0,1] neg_hi:[0,0,1]
	v_pk_fma_f32 v[4:5], v[4:5], v[36:37], v[12:13] op_sel:[0,0,1] op_sel_hi:[1,0,0]
	v_mov_b32_e32 v15, v5
	v_pk_add_f32 v[4:5], v[10:11], v[14:15]
	s_waitcnt vmcnt(3)
	v_mov_b32_e32 v10, v39
	v_pk_mul_f32 v[10:11], v[6:7], v[10:11] op_sel_hi:[1,0]
	s_waitcnt vmcnt(2)
	v_pk_fma_f32 v[12:13], v[6:7], v[38:39], v[10:11] op_sel:[0,0,1] op_sel_hi:[1,1,0] neg_lo:[0,0,1] neg_hi:[0,0,1]
	v_pk_fma_f32 v[6:7], v[6:7], v[38:39], v[10:11] op_sel:[0,0,1] op_sel_hi:[1,0,0]
	s_waitcnt vmcnt(1)
	v_mov_b32_e32 v6, v41
	v_mov_b32_e32 v13, v7
	s_waitcnt lgkmcnt(0)
	v_pk_mul_f32 v[6:7], v[8:9], v[6:7] op_sel_hi:[1,0]
	s_waitcnt vmcnt(0)
	v_pk_fma_f32 v[10:11], v[8:9], v[40:41], v[6:7] op_sel:[0,0,1] op_sel_hi:[1,1,0] neg_lo:[0,0,1] neg_hi:[0,0,1]
	v_pk_fma_f32 v[6:7], v[8:9], v[40:41], v[6:7] op_sel:[0,0,1] op_sel_hi:[1,0,0]
	v_pk_add_f32 v[4:5], v[4:5], v[12:13]
	v_mov_b32_e32 v11, v7
	v_pk_add_f32 v[4:5], v[4:5], v[10:11]
	v_pk_add_f32 v[2:3], v[2:3], v[4:5] neg_lo:[0,1] neg_hi:[0,1]
	buffer_store_dword v3, off, s[0:3], 0 offset:364
	buffer_store_dword v2, off, s[0:3], 0 offset:360
	s_and_saveexec_b64 s[4:5], vcc
	s_cbranch_execz .LBB120_267
; %bb.266:
	buffer_load_dword v2, off, s[0:3], 0 offset:352
	buffer_load_dword v3, off, s[0:3], 0 offset:356
	s_waitcnt vmcnt(0)
	ds_write_b64 v165, v[2:3]
	buffer_store_dword v1, off, s[0:3], 0 offset:352
	buffer_store_dword v1, off, s[0:3], 0 offset:356
.LBB120_267:
	s_or_b64 exec, exec, s[4:5]
	s_waitcnt lgkmcnt(0)
	; wave barrier
	s_waitcnt lgkmcnt(0)
	ds_read2_b64 v[4:7], v1 offset0:103 offset1:104
	buffer_load_dword v2, off, s[0:3], 0 offset:352
	buffer_load_dword v3, off, s[0:3], 0 offset:356
	;; [unrolled: 1-line block ×16, first 2 shown]
	v_cmp_lt_u32_e32 vcc, 43, v0
	ds_read2_b64 v[12:15], v1 offset0:107 offset1:108
	s_waitcnt vmcnt(12) lgkmcnt(1)
	v_mul_f32_e32 v8, v4, v17
	v_fmac_f32_e32 v8, v5, v16
	s_waitcnt vmcnt(10)
	v_mul_f32_e32 v9, v6, v19
	v_add_f32_e32 v8, 0, v8
	v_fmac_f32_e32 v9, v7, v18
	v_add_f32_e32 v27, v8, v9
	ds_read2_b64 v[8:11], v1 offset0:105 offset1:106
	buffer_load_dword v33, off, s[0:3], 0 offset:420
	buffer_load_dword v32, off, s[0:3], 0 offset:416
	;; [unrolled: 1-line block ×10, first 2 shown]
	v_mul_f32_e32 v5, v5, v17
	v_fma_f32 v4, v4, v16, -v5
	v_mul_f32_e32 v5, v7, v19
	v_add_f32_e32 v4, 0, v4
	v_fma_f32 v5, v6, v18, -v5
	s_waitcnt vmcnt(18) lgkmcnt(0)
	v_mul_f32_e32 v29, v8, v30
	v_add_f32_e32 v26, v4, v5
	v_mul_f32_e32 v4, v9, v30
	v_fmac_f32_e32 v29, v9, v28
	v_fma_f32 v28, v8, v28, -v4
	s_waitcnt vmcnt(16)
	v_mul_f32_e32 v31, v10, v43
	v_mul_f32_e32 v4, v11, v43
	v_pk_add_f32 v[26:27], v[26:27], v[28:29]
	s_waitcnt vmcnt(14)
	v_mov_b32_e32 v28, v21
	v_fmac_f32_e32 v31, v11, v42
	v_fma_f32 v30, v10, v42, -v4
	v_pk_mul_f32 v[28:29], v[12:13], v[28:29] op_sel_hi:[1,0]
	v_pk_add_f32 v[26:27], v[26:27], v[30:31]
	v_pk_fma_f32 v[30:31], v[12:13], v[20:21], v[28:29] op_sel:[0,0,1] op_sel_hi:[1,1,0] neg_lo:[0,0,1] neg_hi:[0,0,1]
	v_pk_fma_f32 v[12:13], v[12:13], v[20:21], v[28:29] op_sel:[0,0,1] op_sel_hi:[1,0,0]
	s_waitcnt vmcnt(12)
	v_mov_b32_e32 v20, v23
	ds_read2_b64 v[4:7], v1 offset0:109 offset1:110
	ds_read2_b64 v[8:11], v1 offset0:111 offset1:112
	;; [unrolled: 1-line block ×3, first 2 shown]
	v_mov_b32_e32 v31, v13
	v_pk_mul_f32 v[20:21], v[14:15], v[20:21] op_sel_hi:[1,0]
	v_pk_add_f32 v[12:13], v[26:27], v[30:31]
	v_pk_fma_f32 v[26:27], v[14:15], v[22:23], v[20:21] op_sel:[0,0,1] op_sel_hi:[1,1,0] neg_lo:[0,0,1] neg_hi:[0,0,1]
	v_pk_fma_f32 v[14:15], v[14:15], v[22:23], v[20:21] op_sel:[0,0,1] op_sel_hi:[1,0,0]
	s_waitcnt vmcnt(10)
	v_mov_b32_e32 v14, v25
	v_mov_b32_e32 v27, v15
	s_waitcnt lgkmcnt(2)
	v_pk_mul_f32 v[14:15], v[4:5], v[14:15] op_sel_hi:[1,0]
	v_pk_fma_f32 v[20:21], v[4:5], v[24:25], v[14:15] op_sel:[0,0,1] op_sel_hi:[1,1,0] neg_lo:[0,0,1] neg_hi:[0,0,1]
	v_pk_fma_f32 v[4:5], v[4:5], v[24:25], v[14:15] op_sel:[0,0,1] op_sel_hi:[1,0,0]
	v_pk_add_f32 v[12:13], v[12:13], v[26:27]
	v_mov_b32_e32 v21, v5
	v_pk_add_f32 v[4:5], v[12:13], v[20:21]
	s_waitcnt vmcnt(9)
	v_mov_b32_e32 v12, v33
	v_pk_mul_f32 v[12:13], v[6:7], v[12:13] op_sel_hi:[1,0]
	s_waitcnt vmcnt(8)
	v_pk_fma_f32 v[14:15], v[6:7], v[32:33], v[12:13] op_sel:[0,0,1] op_sel_hi:[1,1,0] neg_lo:[0,0,1] neg_hi:[0,0,1]
	v_pk_fma_f32 v[6:7], v[6:7], v[32:33], v[12:13] op_sel:[0,0,1] op_sel_hi:[1,0,0]
	s_waitcnt vmcnt(7)
	v_mov_b32_e32 v6, v35
	v_mov_b32_e32 v15, v7
	s_waitcnt lgkmcnt(1)
	v_pk_mul_f32 v[6:7], v[8:9], v[6:7] op_sel_hi:[1,0]
	s_waitcnt vmcnt(6)
	v_pk_fma_f32 v[12:13], v[8:9], v[34:35], v[6:7] op_sel:[0,0,1] op_sel_hi:[1,1,0] neg_lo:[0,0,1] neg_hi:[0,0,1]
	v_pk_fma_f32 v[6:7], v[8:9], v[34:35], v[6:7] op_sel:[0,0,1] op_sel_hi:[1,0,0]
	s_waitcnt vmcnt(5)
	v_mov_b32_e32 v6, v37
	v_mov_b32_e32 v13, v7
	v_pk_mul_f32 v[6:7], v[10:11], v[6:7] op_sel_hi:[1,0]
	s_waitcnt vmcnt(4)
	v_pk_fma_f32 v[8:9], v[10:11], v[36:37], v[6:7] op_sel:[0,0,1] op_sel_hi:[1,1,0] neg_lo:[0,0,1] neg_hi:[0,0,1]
	v_pk_fma_f32 v[6:7], v[10:11], v[36:37], v[6:7] op_sel:[0,0,1] op_sel_hi:[1,0,0]
	v_pk_add_f32 v[4:5], v[4:5], v[14:15]
	s_waitcnt vmcnt(3)
	v_mov_b32_e32 v6, v39
	v_pk_add_f32 v[4:5], v[4:5], v[12:13]
	v_mov_b32_e32 v9, v7
	s_waitcnt lgkmcnt(0)
	v_pk_mul_f32 v[6:7], v[16:17], v[6:7] op_sel_hi:[1,0]
	v_pk_add_f32 v[4:5], v[4:5], v[8:9]
	s_waitcnt vmcnt(2)
	v_pk_fma_f32 v[8:9], v[16:17], v[38:39], v[6:7] op_sel:[0,0,1] op_sel_hi:[1,1,0] neg_lo:[0,0,1] neg_hi:[0,0,1]
	v_pk_fma_f32 v[6:7], v[16:17], v[38:39], v[6:7] op_sel:[0,0,1] op_sel_hi:[1,0,0]
	s_waitcnt vmcnt(1)
	v_mov_b32_e32 v6, v41
	v_mov_b32_e32 v9, v7
	v_pk_mul_f32 v[6:7], v[18:19], v[6:7] op_sel_hi:[1,0]
	v_pk_add_f32 v[4:5], v[4:5], v[8:9]
	s_waitcnt vmcnt(0)
	v_pk_fma_f32 v[8:9], v[18:19], v[40:41], v[6:7] op_sel:[0,0,1] op_sel_hi:[1,1,0] neg_lo:[0,0,1] neg_hi:[0,0,1]
	v_pk_fma_f32 v[6:7], v[18:19], v[40:41], v[6:7] op_sel:[0,0,1] op_sel_hi:[1,0,0]
	v_mov_b32_e32 v9, v7
	v_pk_add_f32 v[4:5], v[4:5], v[8:9]
	v_pk_add_f32 v[2:3], v[2:3], v[4:5] neg_lo:[0,1] neg_hi:[0,1]
	buffer_store_dword v3, off, s[0:3], 0 offset:356
	buffer_store_dword v2, off, s[0:3], 0 offset:352
	s_and_saveexec_b64 s[4:5], vcc
	s_cbranch_execz .LBB120_269
; %bb.268:
	buffer_load_dword v2, off, s[0:3], 0 offset:344
	buffer_load_dword v3, off, s[0:3], 0 offset:348
	v_mov_b32_e32 v1, 0
	buffer_store_dword v1, off, s[0:3], 0 offset:344
	buffer_store_dword v1, off, s[0:3], 0 offset:348
	s_waitcnt vmcnt(2)
	ds_write_b64 v165, v[2:3]
.LBB120_269:
	s_or_b64 exec, exec, s[4:5]
	v_mov_b32_e32 v1, 0
	s_waitcnt lgkmcnt(0)
	; wave barrier
	s_waitcnt lgkmcnt(0)
	ds_read_b128 v[4:7], v1 offset:816
	ds_read_b128 v[8:11], v1 offset:832
	;; [unrolled: 1-line block ×4, first 2 shown]
	buffer_load_dword v2, off, s[0:3], 0 offset:344
	buffer_load_dword v3, off, s[0:3], 0 offset:348
	;; [unrolled: 1-line block ×28, first 2 shown]
	v_cmp_lt_u32_e32 vcc, 42, v0
	s_waitcnt vmcnt(24) lgkmcnt(3)
	v_mul_f32_e32 v25, v4, v26
	v_fmac_f32_e32 v25, v5, v24
	v_mul_f32_e32 v5, v5, v26
	s_waitcnt vmcnt(22)
	v_mul_f32_e32 v27, v6, v42
	v_fma_f32 v4, v4, v24, -v5
	v_mul_f32_e32 v5, v7, v42
	v_add_f32_e32 v25, 0, v25
	v_fmac_f32_e32 v27, v7, v28
	v_add_f32_e32 v4, 0, v4
	v_fma_f32 v5, v6, v28, -v5
	v_add_f32_e32 v25, v25, v27
	s_waitcnt vmcnt(20) lgkmcnt(2)
	v_mul_f32_e32 v27, v8, v44
	v_add_f32_e32 v4, v4, v5
	v_mul_f32_e32 v5, v9, v44
	v_fmac_f32_e32 v27, v9, v43
	v_fma_f32 v5, v8, v43, -v5
	v_add_f32_e32 v25, v25, v27
	s_waitcnt vmcnt(18)
	v_mul_f32_e32 v27, v10, v46
	v_add_f32_e32 v24, v4, v5
	v_mul_f32_e32 v4, v11, v46
	v_fmac_f32_e32 v27, v11, v45
	v_fma_f32 v26, v10, v45, -v4
	s_waitcnt vmcnt(16) lgkmcnt(1)
	v_mul_f32_e32 v29, v12, v48
	v_mul_f32_e32 v4, v13, v48
	v_pk_add_f32 v[24:25], v[24:25], v[26:27]
	s_waitcnt vmcnt(14)
	v_mov_b32_e32 v26, v21
	v_fmac_f32_e32 v29, v13, v47
	v_fma_f32 v28, v12, v47, -v4
	v_pk_mul_f32 v[26:27], v[14:15], v[26:27] op_sel_hi:[1,0]
	v_pk_add_f32 v[24:25], v[24:25], v[28:29]
	v_pk_fma_f32 v[28:29], v[14:15], v[20:21], v[26:27] op_sel:[0,0,1] op_sel_hi:[1,1,0] neg_lo:[0,0,1] neg_hi:[0,0,1]
	v_pk_fma_f32 v[14:15], v[14:15], v[20:21], v[26:27] op_sel:[0,0,1] op_sel_hi:[1,0,0]
	s_waitcnt vmcnt(12)
	v_mov_b32_e32 v20, v23
	v_mov_b32_e32 v29, v15
	s_waitcnt lgkmcnt(0)
	v_pk_mul_f32 v[20:21], v[16:17], v[20:21] op_sel_hi:[1,0]
	v_pk_add_f32 v[14:15], v[24:25], v[28:29]
	v_pk_fma_f32 v[24:25], v[16:17], v[22:23], v[20:21] op_sel:[0,0,1] op_sel_hi:[1,1,0] neg_lo:[0,0,1] neg_hi:[0,0,1]
	v_pk_fma_f32 v[16:17], v[16:17], v[22:23], v[20:21] op_sel:[0,0,1] op_sel_hi:[1,0,0]
	s_waitcnt vmcnt(11)
	v_mov_b32_e32 v16, v31
	ds_read_b128 v[4:7], v1 offset:880
	ds_read_b128 v[8:11], v1 offset:896
	ds_read_b64 v[12:13], v1 offset:912
	v_mov_b32_e32 v25, v17
	v_pk_mul_f32 v[16:17], v[18:19], v[16:17] op_sel_hi:[1,0]
	s_waitcnt vmcnt(10)
	v_pk_fma_f32 v[20:21], v[18:19], v[30:31], v[16:17] op_sel:[0,0,1] op_sel_hi:[1,1,0] neg_lo:[0,0,1] neg_hi:[0,0,1]
	v_pk_fma_f32 v[16:17], v[18:19], v[30:31], v[16:17] op_sel:[0,0,1] op_sel_hi:[1,0,0]
	s_waitcnt vmcnt(9)
	v_mov_b32_e32 v16, v33
	v_mov_b32_e32 v21, v17
	s_waitcnt lgkmcnt(2)
	v_pk_mul_f32 v[16:17], v[4:5], v[16:17] op_sel_hi:[1,0]
	v_pk_add_f32 v[14:15], v[14:15], v[24:25]
	s_waitcnt vmcnt(8)
	v_pk_fma_f32 v[18:19], v[4:5], v[32:33], v[16:17] op_sel:[0,0,1] op_sel_hi:[1,1,0] neg_lo:[0,0,1] neg_hi:[0,0,1]
	v_pk_fma_f32 v[4:5], v[4:5], v[32:33], v[16:17] op_sel:[0,0,1] op_sel_hi:[1,0,0]
	v_pk_add_f32 v[14:15], v[14:15], v[20:21]
	v_mov_b32_e32 v19, v5
	v_pk_add_f32 v[4:5], v[14:15], v[18:19]
	s_waitcnt vmcnt(7)
	v_mov_b32_e32 v14, v35
	v_pk_mul_f32 v[14:15], v[6:7], v[14:15] op_sel_hi:[1,0]
	s_waitcnt vmcnt(6)
	v_pk_fma_f32 v[16:17], v[6:7], v[34:35], v[14:15] op_sel:[0,0,1] op_sel_hi:[1,1,0] neg_lo:[0,0,1] neg_hi:[0,0,1]
	v_pk_fma_f32 v[6:7], v[6:7], v[34:35], v[14:15] op_sel:[0,0,1] op_sel_hi:[1,0,0]
	s_waitcnt vmcnt(5)
	v_mov_b32_e32 v6, v37
	v_mov_b32_e32 v17, v7
	s_waitcnt lgkmcnt(1)
	v_pk_mul_f32 v[6:7], v[8:9], v[6:7] op_sel_hi:[1,0]
	s_waitcnt vmcnt(4)
	v_pk_fma_f32 v[14:15], v[8:9], v[36:37], v[6:7] op_sel:[0,0,1] op_sel_hi:[1,1,0] neg_lo:[0,0,1] neg_hi:[0,0,1]
	v_pk_fma_f32 v[6:7], v[8:9], v[36:37], v[6:7] op_sel:[0,0,1] op_sel_hi:[1,0,0]
	s_waitcnt vmcnt(3)
	v_mov_b32_e32 v6, v39
	v_mov_b32_e32 v15, v7
	v_pk_mul_f32 v[6:7], v[10:11], v[6:7] op_sel_hi:[1,0]
	s_waitcnt vmcnt(2)
	v_pk_fma_f32 v[8:9], v[10:11], v[38:39], v[6:7] op_sel:[0,0,1] op_sel_hi:[1,1,0] neg_lo:[0,0,1] neg_hi:[0,0,1]
	v_pk_fma_f32 v[6:7], v[10:11], v[38:39], v[6:7] op_sel:[0,0,1] op_sel_hi:[1,0,0]
	v_pk_add_f32 v[4:5], v[4:5], v[16:17]
	s_waitcnt vmcnt(1)
	v_mov_b32_e32 v6, v41
	v_pk_add_f32 v[4:5], v[4:5], v[14:15]
	v_mov_b32_e32 v9, v7
	s_waitcnt lgkmcnt(0)
	v_pk_mul_f32 v[6:7], v[12:13], v[6:7] op_sel_hi:[1,0]
	v_pk_add_f32 v[4:5], v[4:5], v[8:9]
	s_waitcnt vmcnt(0)
	v_pk_fma_f32 v[8:9], v[12:13], v[40:41], v[6:7] op_sel:[0,0,1] op_sel_hi:[1,1,0] neg_lo:[0,0,1] neg_hi:[0,0,1]
	v_pk_fma_f32 v[6:7], v[12:13], v[40:41], v[6:7] op_sel:[0,0,1] op_sel_hi:[1,0,0]
	v_mov_b32_e32 v9, v7
	v_pk_add_f32 v[4:5], v[4:5], v[8:9]
	v_pk_add_f32 v[2:3], v[2:3], v[4:5] neg_lo:[0,1] neg_hi:[0,1]
	buffer_store_dword v3, off, s[0:3], 0 offset:348
	buffer_store_dword v2, off, s[0:3], 0 offset:344
	s_and_saveexec_b64 s[4:5], vcc
	s_cbranch_execz .LBB120_271
; %bb.270:
	buffer_load_dword v2, off, s[0:3], 0 offset:336
	buffer_load_dword v3, off, s[0:3], 0 offset:340
	s_waitcnt vmcnt(0)
	ds_write_b64 v165, v[2:3]
	buffer_store_dword v1, off, s[0:3], 0 offset:336
	buffer_store_dword v1, off, s[0:3], 0 offset:340
.LBB120_271:
	s_or_b64 exec, exec, s[4:5]
	s_waitcnt lgkmcnt(0)
	; wave barrier
	s_waitcnt lgkmcnt(0)
	ds_read2_b64 v[4:7], v1 offset0:101 offset1:102
	buffer_load_dword v2, off, s[0:3], 0 offset:336
	buffer_load_dword v3, off, s[0:3], 0 offset:340
	;; [unrolled: 1-line block ×16, first 2 shown]
	v_cmp_lt_u32_e32 vcc, 41, v0
	ds_read2_b64 v[16:19], v1 offset0:107 offset1:108
	s_waitcnt vmcnt(12) lgkmcnt(1)
	v_mul_f32_e32 v8, v4, v24
	v_fmac_f32_e32 v8, v5, v22
	s_waitcnt vmcnt(10)
	v_mul_f32_e32 v9, v6, v42
	v_add_f32_e32 v8, 0, v8
	v_fmac_f32_e32 v9, v7, v26
	v_add_f32_e32 v12, v8, v9
	ds_read2_b64 v[8:11], v1 offset0:103 offset1:104
	v_mul_f32_e32 v5, v5, v24
	v_fma_f32 v4, v4, v22, -v5
	v_mul_f32_e32 v5, v7, v42
	v_add_f32_e32 v4, 0, v4
	s_waitcnt vmcnt(8) lgkmcnt(0)
	v_mul_f32_e32 v13, v8, v44
	v_fmac_f32_e32 v13, v9, v43
	v_add_f32_e32 v12, v12, v13
	s_waitcnt vmcnt(6)
	v_mul_f32_e32 v13, v10, v46
	v_fmac_f32_e32 v13, v11, v45
	v_add_f32_e32 v23, v12, v13
	ds_read2_b64 v[12:15], v1 offset0:105 offset1:106
	buffer_load_dword v29, off, s[0:3], 0 offset:404
	buffer_load_dword v28, off, s[0:3], 0 offset:400
	;; [unrolled: 1-line block ×14, first 2 shown]
	v_fma_f32 v5, v6, v26, -v5
	v_add_f32_e32 v4, v4, v5
	v_mul_f32_e32 v5, v9, v44
	v_fma_f32 v5, v8, v43, -v5
	v_add_f32_e32 v4, v4, v5
	v_mul_f32_e32 v5, v11, v46
	v_fma_f32 v5, v10, v45, -v5
	s_waitcnt vmcnt(18) lgkmcnt(0)
	v_mul_f32_e32 v25, v12, v48
	v_add_f32_e32 v22, v4, v5
	v_mul_f32_e32 v4, v13, v48
	v_fmac_f32_e32 v25, v13, v47
	v_fma_f32 v24, v12, v47, -v4
	s_waitcnt vmcnt(16)
	v_mul_f32_e32 v27, v14, v50
	v_mul_f32_e32 v4, v15, v50
	v_pk_add_f32 v[22:23], v[22:23], v[24:25]
	s_waitcnt vmcnt(14)
	v_mov_b32_e32 v24, v21
	v_fmac_f32_e32 v27, v15, v49
	v_fma_f32 v26, v14, v49, -v4
	v_pk_mul_f32 v[24:25], v[16:17], v[24:25] op_sel_hi:[1,0]
	v_pk_add_f32 v[22:23], v[22:23], v[26:27]
	v_pk_fma_f32 v[26:27], v[16:17], v[20:21], v[24:25] op_sel:[0,0,1] op_sel_hi:[1,1,0] neg_lo:[0,0,1] neg_hi:[0,0,1]
	v_pk_fma_f32 v[16:17], v[16:17], v[20:21], v[24:25] op_sel:[0,0,1] op_sel_hi:[1,0,0]
	ds_read2_b64 v[4:7], v1 offset0:109 offset1:110
	ds_read2_b64 v[8:11], v1 offset0:111 offset1:112
	;; [unrolled: 1-line block ×3, first 2 shown]
	v_mov_b32_e32 v27, v17
	v_pk_add_f32 v[16:17], v[22:23], v[26:27]
	s_waitcnt vmcnt(13)
	v_mov_b32_e32 v20, v29
	v_pk_mul_f32 v[20:21], v[18:19], v[20:21] op_sel_hi:[1,0]
	s_waitcnt vmcnt(12)
	v_pk_fma_f32 v[22:23], v[18:19], v[28:29], v[20:21] op_sel:[0,0,1] op_sel_hi:[1,1,0] neg_lo:[0,0,1] neg_hi:[0,0,1]
	v_pk_fma_f32 v[18:19], v[18:19], v[28:29], v[20:21] op_sel:[0,0,1] op_sel_hi:[1,0,0]
	s_waitcnt vmcnt(11)
	v_mov_b32_e32 v18, v31
	v_mov_b32_e32 v23, v19
	s_waitcnt lgkmcnt(2)
	v_pk_mul_f32 v[18:19], v[4:5], v[18:19] op_sel_hi:[1,0]
	s_waitcnt vmcnt(10)
	v_pk_fma_f32 v[20:21], v[4:5], v[30:31], v[18:19] op_sel:[0,0,1] op_sel_hi:[1,1,0] neg_lo:[0,0,1] neg_hi:[0,0,1]
	v_pk_fma_f32 v[4:5], v[4:5], v[30:31], v[18:19] op_sel:[0,0,1] op_sel_hi:[1,0,0]
	v_pk_add_f32 v[16:17], v[16:17], v[22:23]
	v_mov_b32_e32 v21, v5
	v_pk_add_f32 v[4:5], v[16:17], v[20:21]
	s_waitcnt vmcnt(9)
	v_mov_b32_e32 v16, v33
	v_pk_mul_f32 v[16:17], v[6:7], v[16:17] op_sel_hi:[1,0]
	s_waitcnt vmcnt(8)
	v_pk_fma_f32 v[18:19], v[6:7], v[32:33], v[16:17] op_sel:[0,0,1] op_sel_hi:[1,1,0] neg_lo:[0,0,1] neg_hi:[0,0,1]
	v_pk_fma_f32 v[6:7], v[6:7], v[32:33], v[16:17] op_sel:[0,0,1] op_sel_hi:[1,0,0]
	s_waitcnt vmcnt(7)
	v_mov_b32_e32 v6, v35
	v_mov_b32_e32 v19, v7
	s_waitcnt lgkmcnt(1)
	v_pk_mul_f32 v[6:7], v[8:9], v[6:7] op_sel_hi:[1,0]
	s_waitcnt vmcnt(6)
	v_pk_fma_f32 v[16:17], v[8:9], v[34:35], v[6:7] op_sel:[0,0,1] op_sel_hi:[1,1,0] neg_lo:[0,0,1] neg_hi:[0,0,1]
	v_pk_fma_f32 v[6:7], v[8:9], v[34:35], v[6:7] op_sel:[0,0,1] op_sel_hi:[1,0,0]
	s_waitcnt vmcnt(5)
	v_mov_b32_e32 v6, v37
	v_mov_b32_e32 v17, v7
	v_pk_mul_f32 v[6:7], v[10:11], v[6:7] op_sel_hi:[1,0]
	s_waitcnt vmcnt(4)
	v_pk_fma_f32 v[8:9], v[10:11], v[36:37], v[6:7] op_sel:[0,0,1] op_sel_hi:[1,1,0] neg_lo:[0,0,1] neg_hi:[0,0,1]
	v_pk_fma_f32 v[6:7], v[10:11], v[36:37], v[6:7] op_sel:[0,0,1] op_sel_hi:[1,0,0]
	v_pk_add_f32 v[4:5], v[4:5], v[18:19]
	s_waitcnt vmcnt(3)
	v_mov_b32_e32 v6, v39
	v_pk_add_f32 v[4:5], v[4:5], v[16:17]
	v_mov_b32_e32 v9, v7
	s_waitcnt lgkmcnt(0)
	v_pk_mul_f32 v[6:7], v[12:13], v[6:7] op_sel_hi:[1,0]
	v_pk_add_f32 v[4:5], v[4:5], v[8:9]
	s_waitcnt vmcnt(2)
	v_pk_fma_f32 v[8:9], v[12:13], v[38:39], v[6:7] op_sel:[0,0,1] op_sel_hi:[1,1,0] neg_lo:[0,0,1] neg_hi:[0,0,1]
	v_pk_fma_f32 v[6:7], v[12:13], v[38:39], v[6:7] op_sel:[0,0,1] op_sel_hi:[1,0,0]
	s_waitcnt vmcnt(1)
	v_mov_b32_e32 v6, v41
	v_mov_b32_e32 v9, v7
	v_pk_mul_f32 v[6:7], v[14:15], v[6:7] op_sel_hi:[1,0]
	v_pk_add_f32 v[4:5], v[4:5], v[8:9]
	s_waitcnt vmcnt(0)
	v_pk_fma_f32 v[8:9], v[14:15], v[40:41], v[6:7] op_sel:[0,0,1] op_sel_hi:[1,1,0] neg_lo:[0,0,1] neg_hi:[0,0,1]
	v_pk_fma_f32 v[6:7], v[14:15], v[40:41], v[6:7] op_sel:[0,0,1] op_sel_hi:[1,0,0]
	v_mov_b32_e32 v9, v7
	v_pk_add_f32 v[4:5], v[4:5], v[8:9]
	v_pk_add_f32 v[2:3], v[2:3], v[4:5] neg_lo:[0,1] neg_hi:[0,1]
	buffer_store_dword v3, off, s[0:3], 0 offset:340
	buffer_store_dword v2, off, s[0:3], 0 offset:336
	s_and_saveexec_b64 s[4:5], vcc
	s_cbranch_execz .LBB120_273
; %bb.272:
	buffer_load_dword v2, off, s[0:3], 0 offset:328
	buffer_load_dword v3, off, s[0:3], 0 offset:332
	v_mov_b32_e32 v1, 0
	buffer_store_dword v1, off, s[0:3], 0 offset:328
	buffer_store_dword v1, off, s[0:3], 0 offset:332
	s_waitcnt vmcnt(2)
	ds_write_b64 v165, v[2:3]
.LBB120_273:
	s_or_b64 exec, exec, s[4:5]
	s_waitcnt lgkmcnt(0)
	; wave barrier
	s_waitcnt lgkmcnt(0)
	buffer_load_dword v50, off, s[0:3], 0 offset:340
	buffer_load_dword v52, off, s[0:3], 0 offset:348
	;; [unrolled: 1-line block ×32, first 2 shown]
	v_mov_b32_e32 v1, 0
	ds_read_b128 v[2:5], v1 offset:800
	ds_read_b128 v[6:9], v1 offset:816
	;; [unrolled: 1-line block ×7, first 2 shown]
	ds_read_b64 v[48:49], v1 offset:912
	v_cmp_lt_u32_e32 vcc, 40, v0
	s_waitcnt vmcnt(31) lgkmcnt(7)
	v_mul_f32_e32 v66, v2, v50
	s_waitcnt vmcnt(30)
	v_mul_f32_e32 v67, v4, v52
	s_waitcnt vmcnt(29) lgkmcnt(6)
	v_mul_f32_e32 v68, v6, v54
	s_waitcnt vmcnt(28)
	v_mul_f32_e32 v69, v8, v55
	v_mul_f32_e32 v50, v3, v50
	;; [unrolled: 1-line block ×4, first 2 shown]
	s_waitcnt vmcnt(24)
	v_mov_b32_e32 v54, v31
	s_waitcnt lgkmcnt(5)
	v_mul_f32_e32 v70, v10, v56
	v_mul_f32_e32 v52, v5, v52
	;; [unrolled: 1-line block ×3, first 2 shown]
	s_waitcnt vmcnt(22)
	v_fmac_f32_e32 v66, v3, v59
	s_waitcnt vmcnt(21)
	v_fmac_f32_e32 v67, v5, v60
	v_fma_f32 v5, v2, v59, -v50
	s_waitcnt lgkmcnt(4)
	v_pk_mul_f32 v[2:3], v[16:17], v[54:55] op_sel_hi:[1,0]
	s_waitcnt vmcnt(20)
	v_fmac_f32_e32 v68, v7, v61
	s_waitcnt vmcnt(19)
	v_fmac_f32_e32 v69, v9, v62
	;; [unrolled: 2-line block ×3, first 2 shown]
	v_fma_f32 v7, v4, v60, -v52
	v_fma_f32 v9, v10, v63, -v72
	v_add_f32_e32 v10, 0, v66
	v_add_f32_e32 v11, 0, v5
	s_waitcnt vmcnt(12)
	v_pk_fma_f32 v[4:5], v[16:17], v[30:31], v[2:3] op_sel:[0,0,1] op_sel_hi:[1,1,0] neg_lo:[0,0,1] neg_hi:[0,0,1]
	v_pk_fma_f32 v[2:3], v[16:17], v[30:31], v[2:3] op_sel:[0,0,1] op_sel_hi:[1,0,0]
	v_fma_f32 v6, v6, v61, -v71
	v_add_f32_e32 v2, v10, v67
	v_add_f32_e32 v7, v11, v7
	v_fma_f32 v8, v8, v62, -v55
	v_mov_b32_e32 v5, v3
	v_add_f32_e32 v2, v2, v68
	v_add_f32_e32 v3, v7, v6
	v_mul_f32_e32 v51, v12, v57
	v_mul_f32_e32 v57, v13, v57
	v_add_f32_e32 v2, v2, v69
	v_add_f32_e32 v6, v3, v8
	v_mul_f32_e32 v53, v14, v58
	v_mul_f32_e32 v58, v15, v58
	v_fmac_f32_e32 v51, v13, v64
	v_fma_f32 v50, v12, v64, -v57
	v_add_f32_e32 v3, v2, v70
	v_add_f32_e32 v2, v6, v9
	v_fmac_f32_e32 v53, v15, v65
	v_fma_f32 v52, v14, v65, -v58
	v_pk_add_f32 v[2:3], v[2:3], v[50:51]
	v_mov_b32_e32 v56, v33
	v_pk_add_f32 v[2:3], v[2:3], v[52:53]
	v_pk_add_f32 v[2:3], v[2:3], v[4:5]
	s_waitcnt lgkmcnt(3)
	v_pk_mul_f32 v[4:5], v[18:19], v[56:57] op_sel_hi:[1,0]
	v_pk_fma_f32 v[6:7], v[18:19], v[32:33], v[4:5] op_sel:[0,0,1] op_sel_hi:[1,1,0] neg_lo:[0,0,1] neg_hi:[0,0,1]
	v_pk_fma_f32 v[4:5], v[18:19], v[32:33], v[4:5] op_sel:[0,0,1] op_sel_hi:[1,0,0]
	s_waitcnt vmcnt(11)
	v_mov_b32_e32 v4, v37
	v_mov_b32_e32 v7, v5
	v_pk_mul_f32 v[4:5], v[20:21], v[4:5] op_sel_hi:[1,0]
	v_pk_add_f32 v[2:3], v[2:3], v[6:7]
	v_pk_fma_f32 v[6:7], v[20:21], v[36:37], v[4:5] op_sel:[0,0,1] op_sel_hi:[1,1,0] neg_lo:[0,0,1] neg_hi:[0,0,1]
	v_pk_fma_f32 v[4:5], v[20:21], v[36:37], v[4:5] op_sel:[0,0,1] op_sel_hi:[1,0,0]
	s_waitcnt vmcnt(10)
	v_mov_b32_e32 v4, v35
	v_mov_b32_e32 v7, v5
	s_waitcnt lgkmcnt(2)
	v_pk_mul_f32 v[4:5], v[22:23], v[4:5] op_sel_hi:[1,0]
	v_pk_add_f32 v[2:3], v[2:3], v[6:7]
	v_pk_fma_f32 v[6:7], v[22:23], v[34:35], v[4:5] op_sel:[0,0,1] op_sel_hi:[1,1,0] neg_lo:[0,0,1] neg_hi:[0,0,1]
	v_pk_fma_f32 v[4:5], v[22:23], v[34:35], v[4:5] op_sel:[0,0,1] op_sel_hi:[1,0,0]
	s_waitcnt vmcnt(9)
	v_mov_b32_e32 v4, v39
	v_mov_b32_e32 v7, v5
	v_pk_mul_f32 v[4:5], v[24:25], v[4:5] op_sel_hi:[1,0]
	v_pk_add_f32 v[2:3], v[2:3], v[6:7]
	s_waitcnt vmcnt(4)
	v_pk_fma_f32 v[6:7], v[24:25], v[38:39], v[4:5] op_sel:[0,0,1] op_sel_hi:[1,1,0] neg_lo:[0,0,1] neg_hi:[0,0,1]
	v_pk_fma_f32 v[4:5], v[24:25], v[38:39], v[4:5] op_sel:[0,0,1] op_sel_hi:[1,0,0]
	v_mov_b32_e32 v4, v45
	v_mov_b32_e32 v7, v5
	s_waitcnt lgkmcnt(1)
	v_pk_mul_f32 v[4:5], v[26:27], v[4:5] op_sel_hi:[1,0]
	v_pk_add_f32 v[2:3], v[2:3], v[6:7]
	v_pk_fma_f32 v[6:7], v[26:27], v[44:45], v[4:5] op_sel:[0,0,1] op_sel_hi:[1,1,0] neg_lo:[0,0,1] neg_hi:[0,0,1]
	v_pk_fma_f32 v[4:5], v[26:27], v[44:45], v[4:5] op_sel:[0,0,1] op_sel_hi:[1,0,0]
	s_waitcnt vmcnt(3)
	v_mov_b32_e32 v4, v43
	v_mov_b32_e32 v7, v5
	v_pk_mul_f32 v[4:5], v[28:29], v[4:5] op_sel_hi:[1,0]
	v_pk_add_f32 v[2:3], v[2:3], v[6:7]
	v_pk_fma_f32 v[6:7], v[28:29], v[42:43], v[4:5] op_sel:[0,0,1] op_sel_hi:[1,1,0] neg_lo:[0,0,1] neg_hi:[0,0,1]
	v_pk_fma_f32 v[4:5], v[28:29], v[42:43], v[4:5] op_sel:[0,0,1] op_sel_hi:[1,0,0]
	s_waitcnt vmcnt(0)
	v_mov_b32_e32 v4, v41
	v_mov_b32_e32 v7, v5
	s_waitcnt lgkmcnt(0)
	v_pk_mul_f32 v[4:5], v[48:49], v[4:5] op_sel_hi:[1,0]
	v_pk_add_f32 v[2:3], v[2:3], v[6:7]
	v_pk_fma_f32 v[6:7], v[48:49], v[40:41], v[4:5] op_sel:[0,0,1] op_sel_hi:[1,1,0] neg_lo:[0,0,1] neg_hi:[0,0,1]
	v_pk_fma_f32 v[4:5], v[48:49], v[40:41], v[4:5] op_sel:[0,0,1] op_sel_hi:[1,0,0]
	v_mov_b32_e32 v7, v5
	v_pk_add_f32 v[2:3], v[2:3], v[6:7]
	v_pk_add_f32 v[2:3], v[46:47], v[2:3] neg_lo:[0,1] neg_hi:[0,1]
	buffer_store_dword v3, off, s[0:3], 0 offset:332
	buffer_store_dword v2, off, s[0:3], 0 offset:328
	s_and_saveexec_b64 s[4:5], vcc
	s_cbranch_execz .LBB120_275
; %bb.274:
	buffer_load_dword v2, off, s[0:3], 0 offset:320
	buffer_load_dword v3, off, s[0:3], 0 offset:324
	s_waitcnt vmcnt(0)
	ds_write_b64 v165, v[2:3]
	buffer_store_dword v1, off, s[0:3], 0 offset:320
	buffer_store_dword v1, off, s[0:3], 0 offset:324
.LBB120_275:
	s_or_b64 exec, exec, s[4:5]
	s_waitcnt lgkmcnt(0)
	; wave barrier
	s_waitcnt lgkmcnt(0)
	buffer_load_dword v52, off, s[0:3], 0 offset:332
	buffer_load_dword v54, off, s[0:3], 0 offset:340
	;; [unrolled: 1-line block ×32, first 2 shown]
	ds_read2_b64 v[2:5], v1 offset0:99 offset1:100
	ds_read2_b64 v[6:9], v1 offset0:101 offset1:102
	;; [unrolled: 1-line block ×4, first 2 shown]
	buffer_load_dword v51, off, s[0:3], 0 offset:452
	buffer_load_dword v50, off, s[0:3], 0 offset:448
	ds_read2_b64 v[18:21], v1 offset0:107 offset1:108
	ds_read2_b64 v[22:25], v1 offset0:109 offset1:110
	;; [unrolled: 1-line block ×4, first 2 shown]
	v_cmp_lt_u32_e32 vcc, 39, v0
	s_waitcnt vmcnt(33) lgkmcnt(7)
	v_mul_f32_e32 v1, v2, v52
	v_mul_f32_e32 v52, v3, v52
	s_waitcnt vmcnt(32)
	v_mul_f32_e32 v70, v4, v54
	v_mul_f32_e32 v54, v5, v54
	s_waitcnt vmcnt(31) lgkmcnt(6)
	v_mul_f32_e32 v71, v6, v56
	v_mul_f32_e32 v56, v7, v56
	s_waitcnt vmcnt(30)
	v_mul_f32_e32 v72, v8, v57
	v_mul_f32_e32 v57, v9, v57
	s_waitcnt vmcnt(25)
	v_fmac_f32_e32 v1, v3, v62
	v_fma_f32 v2, v2, v62, -v52
	s_waitcnt vmcnt(24)
	v_fmac_f32_e32 v70, v5, v63
	v_fma_f32 v3, v4, v63, -v54
	v_add_f32_e32 v1, 0, v1
	v_add_f32_e32 v2, 0, v2
	s_waitcnt vmcnt(23)
	v_fmac_f32_e32 v71, v7, v64
	v_fma_f32 v4, v6, v64, -v56
	v_add_f32_e32 v1, v1, v70
	v_add_f32_e32 v2, v2, v3
	s_waitcnt lgkmcnt(5)
	v_mul_f32_e32 v73, v10, v58
	v_mul_f32_e32 v58, v11, v58
	s_waitcnt vmcnt(22)
	v_fmac_f32_e32 v72, v9, v65
	v_fma_f32 v5, v8, v65, -v57
	v_add_f32_e32 v1, v1, v71
	v_add_f32_e32 v2, v2, v4
	v_mul_f32_e32 v74, v12, v59
	v_mul_f32_e32 v59, v13, v59
	s_waitcnt vmcnt(21)
	v_fmac_f32_e32 v73, v11, v66
	v_fma_f32 v6, v10, v66, -v58
	v_add_f32_e32 v1, v1, v72
	v_add_f32_e32 v2, v2, v5
	s_waitcnt vmcnt(17)
	v_mov_b32_e32 v4, v35
	s_waitcnt lgkmcnt(4)
	v_mul_f32_e32 v53, v14, v60
	v_mul_f32_e32 v60, v15, v60
	v_fmac_f32_e32 v74, v13, v67
	v_fma_f32 v7, v12, v67, -v59
	v_add_f32_e32 v1, v1, v73
	v_add_f32_e32 v2, v2, v6
	s_waitcnt lgkmcnt(3)
	v_pk_mul_f32 v[4:5], v[18:19], v[4:5] op_sel_hi:[1,0]
	v_mul_f32_e32 v55, v16, v61
	v_mul_f32_e32 v61, v17, v61
	v_fmac_f32_e32 v53, v15, v68
	v_fma_f32 v52, v14, v68, -v60
	v_add_f32_e32 v3, v1, v74
	v_add_f32_e32 v2, v2, v7
	s_waitcnt vmcnt(14)
	v_pk_fma_f32 v[6:7], v[18:19], v[34:35], v[4:5] op_sel:[0,0,1] op_sel_hi:[1,1,0] neg_lo:[0,0,1] neg_hi:[0,0,1]
	v_pk_fma_f32 v[4:5], v[18:19], v[34:35], v[4:5] op_sel:[0,0,1] op_sel_hi:[1,0,0]
	v_fmac_f32_e32 v55, v17, v69
	v_fma_f32 v54, v16, v69, -v61
	v_pk_add_f32 v[2:3], v[2:3], v[52:53]
	s_waitcnt vmcnt(13)
	v_mov_b32_e32 v4, v39
	v_pk_add_f32 v[2:3], v[2:3], v[54:55]
	v_mov_b32_e32 v7, v5
	v_pk_mul_f32 v[4:5], v[20:21], v[4:5] op_sel_hi:[1,0]
	v_pk_add_f32 v[2:3], v[2:3], v[6:7]
	v_pk_fma_f32 v[6:7], v[20:21], v[38:39], v[4:5] op_sel:[0,0,1] op_sel_hi:[1,1,0] neg_lo:[0,0,1] neg_hi:[0,0,1]
	v_pk_fma_f32 v[4:5], v[20:21], v[38:39], v[4:5] op_sel:[0,0,1] op_sel_hi:[1,0,0]
	s_waitcnt vmcnt(12)
	v_mov_b32_e32 v4, v37
	v_mov_b32_e32 v7, v5
	s_waitcnt lgkmcnt(2)
	v_pk_mul_f32 v[4:5], v[22:23], v[4:5] op_sel_hi:[1,0]
	v_pk_add_f32 v[2:3], v[2:3], v[6:7]
	v_pk_fma_f32 v[6:7], v[22:23], v[36:37], v[4:5] op_sel:[0,0,1] op_sel_hi:[1,1,0] neg_lo:[0,0,1] neg_hi:[0,0,1]
	v_pk_fma_f32 v[4:5], v[22:23], v[36:37], v[4:5] op_sel:[0,0,1] op_sel_hi:[1,0,0]
	s_waitcnt vmcnt(11)
	v_mov_b32_e32 v4, v41
	v_mov_b32_e32 v7, v5
	v_pk_mul_f32 v[4:5], v[24:25], v[4:5] op_sel_hi:[1,0]
	v_pk_add_f32 v[2:3], v[2:3], v[6:7]
	s_waitcnt vmcnt(5)
	v_pk_fma_f32 v[6:7], v[24:25], v[40:41], v[4:5] op_sel:[0,0,1] op_sel_hi:[1,1,0] neg_lo:[0,0,1] neg_hi:[0,0,1]
	v_pk_fma_f32 v[4:5], v[24:25], v[40:41], v[4:5] op_sel:[0,0,1] op_sel_hi:[1,0,0]
	v_mov_b32_e32 v4, v47
	v_mov_b32_e32 v7, v5
	s_waitcnt lgkmcnt(1)
	v_pk_mul_f32 v[4:5], v[26:27], v[4:5] op_sel_hi:[1,0]
	v_pk_add_f32 v[2:3], v[2:3], v[6:7]
	v_pk_fma_f32 v[6:7], v[26:27], v[46:47], v[4:5] op_sel:[0,0,1] op_sel_hi:[1,1,0] neg_lo:[0,0,1] neg_hi:[0,0,1]
	v_pk_fma_f32 v[4:5], v[26:27], v[46:47], v[4:5] op_sel:[0,0,1] op_sel_hi:[1,0,0]
	v_mov_b32_e32 v4, v45
	v_mov_b32_e32 v7, v5
	v_pk_mul_f32 v[4:5], v[28:29], v[4:5] op_sel_hi:[1,0]
	v_pk_add_f32 v[2:3], v[2:3], v[6:7]
	v_pk_fma_f32 v[6:7], v[28:29], v[44:45], v[4:5] op_sel:[0,0,1] op_sel_hi:[1,1,0] neg_lo:[0,0,1] neg_hi:[0,0,1]
	v_pk_fma_f32 v[4:5], v[28:29], v[44:45], v[4:5] op_sel:[0,0,1] op_sel_hi:[1,0,0]
	s_waitcnt vmcnt(2)
	v_mov_b32_e32 v4, v43
	v_mov_b32_e32 v7, v5
	s_waitcnt lgkmcnt(0)
	v_pk_mul_f32 v[4:5], v[30:31], v[4:5] op_sel_hi:[1,0]
	v_pk_add_f32 v[2:3], v[2:3], v[6:7]
	v_pk_fma_f32 v[6:7], v[30:31], v[42:43], v[4:5] op_sel:[0,0,1] op_sel_hi:[1,1,0] neg_lo:[0,0,1] neg_hi:[0,0,1]
	v_pk_fma_f32 v[4:5], v[30:31], v[42:43], v[4:5] op_sel:[0,0,1] op_sel_hi:[1,0,0]
	s_waitcnt vmcnt(1)
	v_mov_b32_e32 v4, v51
	v_mov_b32_e32 v7, v5
	v_pk_mul_f32 v[4:5], v[32:33], v[4:5] op_sel_hi:[1,0]
	v_pk_add_f32 v[2:3], v[2:3], v[6:7]
	s_waitcnt vmcnt(0)
	v_pk_fma_f32 v[6:7], v[32:33], v[50:51], v[4:5] op_sel:[0,0,1] op_sel_hi:[1,1,0] neg_lo:[0,0,1] neg_hi:[0,0,1]
	v_pk_fma_f32 v[4:5], v[32:33], v[50:51], v[4:5] op_sel:[0,0,1] op_sel_hi:[1,0,0]
	v_mov_b32_e32 v7, v5
	v_pk_add_f32 v[2:3], v[2:3], v[6:7]
	v_pk_add_f32 v[2:3], v[48:49], v[2:3] neg_lo:[0,1] neg_hi:[0,1]
	buffer_store_dword v3, off, s[0:3], 0 offset:324
	buffer_store_dword v2, off, s[0:3], 0 offset:320
	s_and_saveexec_b64 s[4:5], vcc
	s_cbranch_execz .LBB120_277
; %bb.276:
	buffer_load_dword v2, off, s[0:3], 0 offset:312
	buffer_load_dword v3, off, s[0:3], 0 offset:316
	v_mov_b32_e32 v1, 0
	buffer_store_dword v1, off, s[0:3], 0 offset:312
	buffer_store_dword v1, off, s[0:3], 0 offset:316
	s_waitcnt vmcnt(2)
	ds_write_b64 v165, v[2:3]
.LBB120_277:
	s_or_b64 exec, exec, s[4:5]
	s_waitcnt lgkmcnt(0)
	; wave barrier
	s_waitcnt lgkmcnt(0)
	buffer_load_dword v44, off, s[0:3], 0 offset:324
	buffer_load_dword v46, off, s[0:3], 0 offset:332
	;; [unrolled: 1-line block ×36, first 2 shown]
	v_mov_b32_e32 v1, 0
	ds_read_b128 v[2:5], v1 offset:784
	ds_read_b128 v[6:9], v1 offset:800
	;; [unrolled: 1-line block ×6, first 2 shown]
	v_cmp_lt_u32_e32 vcc, 38, v0
	s_waitcnt vmcnt(35) lgkmcnt(5)
	v_mul_f32_e32 v64, v2, v44
	s_waitcnt vmcnt(34)
	v_mul_f32_e32 v65, v4, v46
	v_mul_f32_e32 v44, v3, v44
	s_waitcnt vmcnt(32) lgkmcnt(4)
	v_mul_f32_e32 v67, v8, v49
	v_mul_f32_e32 v49, v9, v49
	;; [unrolled: 1-line block ×5, first 2 shown]
	s_waitcnt vmcnt(31) lgkmcnt(3)
	v_mul_f32_e32 v68, v10, v50
	s_waitcnt vmcnt(26)
	v_fmac_f32_e32 v64, v3, v55
	s_waitcnt vmcnt(25)
	v_fmac_f32_e32 v65, v5, v56
	v_fma_f32 v2, v2, v55, -v44
	s_waitcnt vmcnt(23)
	v_fma_f32 v5, v8, v58, -v49
	v_add_f32_e32 v8, 0, v64
	v_fmac_f32_e32 v66, v7, v57
	v_fma_f32 v3, v4, v56, -v46
	v_add_f32_e32 v2, 0, v2
	v_add_f32_e32 v8, v8, v65
	v_fmac_f32_e32 v67, v9, v58
	v_fma_f32 v4, v6, v57, -v48
	v_add_f32_e32 v2, v2, v3
	v_add_f32_e32 v3, v8, v66
	v_mul_f32_e32 v69, v12, v51
	v_mul_f32_e32 v50, v11, v50
	s_waitcnt vmcnt(22)
	v_fmac_f32_e32 v68, v11, v59
	v_add_f32_e32 v2, v2, v4
	v_add_f32_e32 v3, v3, v67
	s_waitcnt lgkmcnt(2)
	v_mul_f32_e32 v70, v14, v52
	v_mul_f32_e32 v51, v13, v51
	s_waitcnt vmcnt(21)
	v_fmac_f32_e32 v69, v13, v60
	v_fma_f32 v6, v10, v59, -v50
	v_add_f32_e32 v2, v2, v5
	v_add_f32_e32 v3, v3, v68
	v_mul_f32_e32 v52, v15, v52
	s_waitcnt vmcnt(20)
	v_fmac_f32_e32 v70, v15, v61
	v_fma_f32 v7, v12, v60, -v51
	v_add_f32_e32 v2, v2, v6
	v_add_f32_e32 v3, v3, v69
	;; [unrolled: 1-line block ×4, first 2 shown]
	v_fma_f32 v3, v14, v61, -v52
	s_waitcnt vmcnt(17)
	v_mov_b32_e32 v14, v27
	v_mul_f32_e32 v45, v16, v53
	v_add_f32_e32 v10, v2, v3
	v_mul_f32_e32 v2, v17, v53
	s_waitcnt lgkmcnt(1)
	v_pk_mul_f32 v[14:15], v[20:21], v[14:15] op_sel_hi:[1,0]
	v_mul_f32_e32 v47, v18, v54
	v_fmac_f32_e32 v45, v17, v62
	v_fma_f32 v44, v16, v62, -v2
	v_mul_f32_e32 v2, v19, v54
	s_waitcnt vmcnt(15)
	v_pk_fma_f32 v[16:17], v[20:21], v[26:27], v[14:15] op_sel:[0,0,1] op_sel_hi:[1,1,0] neg_lo:[0,0,1] neg_hi:[0,0,1]
	v_pk_fma_f32 v[14:15], v[20:21], v[26:27], v[14:15] op_sel:[0,0,1] op_sel_hi:[1,0,0]
	v_fmac_f32_e32 v47, v19, v63
	v_fma_f32 v46, v18, v63, -v2
	v_pk_add_f32 v[10:11], v[10:11], v[44:45]
	s_waitcnt vmcnt(12)
	v_mov_b32_e32 v14, v29
	v_pk_add_f32 v[10:11], v[10:11], v[46:47]
	v_mov_b32_e32 v17, v15
	s_waitcnt lgkmcnt(0)
	v_pk_mul_f32 v[14:15], v[22:23], v[14:15] op_sel_hi:[1,0]
	v_pk_add_f32 v[10:11], v[10:11], v[16:17]
	v_pk_fma_f32 v[16:17], v[22:23], v[28:29], v[14:15] op_sel:[0,0,1] op_sel_hi:[1,1,0] neg_lo:[0,0,1] neg_hi:[0,0,1]
	v_pk_fma_f32 v[14:15], v[22:23], v[28:29], v[14:15] op_sel:[0,0,1] op_sel_hi:[1,0,0]
	s_waitcnt vmcnt(11)
	v_mov_b32_e32 v14, v33
	ds_read_b128 v[2:5], v1 offset:880
	ds_read_b128 v[6:9], v1 offset:896
	ds_read_b64 v[12:13], v1 offset:912
	v_mov_b32_e32 v17, v15
	v_pk_mul_f32 v[14:15], v[24:25], v[14:15] op_sel_hi:[1,0]
	v_pk_add_f32 v[10:11], v[10:11], v[16:17]
	s_waitcnt vmcnt(4)
	v_pk_fma_f32 v[16:17], v[24:25], v[32:33], v[14:15] op_sel:[0,0,1] op_sel_hi:[1,1,0] neg_lo:[0,0,1] neg_hi:[0,0,1]
	v_pk_fma_f32 v[14:15], v[24:25], v[32:33], v[14:15] op_sel:[0,0,1] op_sel_hi:[1,0,0]
	v_mov_b32_e32 v14, v39
	v_mov_b32_e32 v17, v15
	s_waitcnt lgkmcnt(2)
	v_pk_mul_f32 v[14:15], v[2:3], v[14:15] op_sel_hi:[1,0]
	v_pk_add_f32 v[10:11], v[10:11], v[16:17]
	v_pk_fma_f32 v[16:17], v[2:3], v[38:39], v[14:15] op_sel:[0,0,1] op_sel_hi:[1,1,0] neg_lo:[0,0,1] neg_hi:[0,0,1]
	v_pk_fma_f32 v[2:3], v[2:3], v[38:39], v[14:15] op_sel:[0,0,1] op_sel_hi:[1,0,0]
	v_mov_b32_e32 v17, v3
	v_pk_add_f32 v[2:3], v[10:11], v[16:17]
	v_mov_b32_e32 v10, v37
	v_pk_mul_f32 v[10:11], v[4:5], v[10:11] op_sel_hi:[1,0]
	v_pk_fma_f32 v[14:15], v[4:5], v[36:37], v[10:11] op_sel:[0,0,1] op_sel_hi:[1,1,0] neg_lo:[0,0,1] neg_hi:[0,0,1]
	v_pk_fma_f32 v[4:5], v[4:5], v[36:37], v[10:11] op_sel:[0,0,1] op_sel_hi:[1,0,0]
	v_mov_b32_e32 v4, v35
	v_mov_b32_e32 v15, v5
	s_waitcnt lgkmcnt(1)
	v_pk_mul_f32 v[4:5], v[6:7], v[4:5] op_sel_hi:[1,0]
	v_pk_fma_f32 v[10:11], v[6:7], v[34:35], v[4:5] op_sel:[0,0,1] op_sel_hi:[1,1,0] neg_lo:[0,0,1] neg_hi:[0,0,1]
	v_pk_fma_f32 v[4:5], v[6:7], v[34:35], v[4:5] op_sel:[0,0,1] op_sel_hi:[1,0,0]
	s_waitcnt vmcnt(1)
	v_mov_b32_e32 v4, v43
	v_mov_b32_e32 v11, v5
	v_pk_mul_f32 v[4:5], v[8:9], v[4:5] op_sel_hi:[1,0]
	s_waitcnt vmcnt(0)
	v_pk_fma_f32 v[6:7], v[8:9], v[42:43], v[4:5] op_sel:[0,0,1] op_sel_hi:[1,1,0] neg_lo:[0,0,1] neg_hi:[0,0,1]
	v_pk_fma_f32 v[4:5], v[8:9], v[42:43], v[4:5] op_sel:[0,0,1] op_sel_hi:[1,0,0]
	v_pk_add_f32 v[2:3], v[2:3], v[14:15]
	v_mov_b32_e32 v4, v41
	v_pk_add_f32 v[2:3], v[2:3], v[10:11]
	v_mov_b32_e32 v7, v5
	s_waitcnt lgkmcnt(0)
	v_pk_mul_f32 v[4:5], v[12:13], v[4:5] op_sel_hi:[1,0]
	v_pk_add_f32 v[2:3], v[2:3], v[6:7]
	v_pk_fma_f32 v[6:7], v[12:13], v[40:41], v[4:5] op_sel:[0,0,1] op_sel_hi:[1,1,0] neg_lo:[0,0,1] neg_hi:[0,0,1]
	v_pk_fma_f32 v[4:5], v[12:13], v[40:41], v[4:5] op_sel:[0,0,1] op_sel_hi:[1,0,0]
	v_mov_b32_e32 v7, v5
	v_pk_add_f32 v[2:3], v[2:3], v[6:7]
	v_pk_add_f32 v[2:3], v[30:31], v[2:3] neg_lo:[0,1] neg_hi:[0,1]
	buffer_store_dword v3, off, s[0:3], 0 offset:316
	buffer_store_dword v2, off, s[0:3], 0 offset:312
	s_and_saveexec_b64 s[4:5], vcc
	s_cbranch_execz .LBB120_279
; %bb.278:
	buffer_load_dword v2, off, s[0:3], 0 offset:304
	buffer_load_dword v3, off, s[0:3], 0 offset:308
	s_waitcnt vmcnt(0)
	ds_write_b64 v165, v[2:3]
	buffer_store_dword v1, off, s[0:3], 0 offset:304
	buffer_store_dword v1, off, s[0:3], 0 offset:308
.LBB120_279:
	s_or_b64 exec, exec, s[4:5]
	s_waitcnt lgkmcnt(0)
	; wave barrier
	s_waitcnt lgkmcnt(0)
	buffer_load_dword v44, off, s[0:3], 0 offset:316
	buffer_load_dword v46, off, s[0:3], 0 offset:324
	;; [unrolled: 1-line block ×22, first 2 shown]
	ds_read2_b64 v[2:5], v1 offset0:97 offset1:98
	ds_read2_b64 v[6:9], v1 offset0:99 offset1:100
	buffer_load_dword v29, off, s[0:3], 0 offset:396
	buffer_load_dword v28, off, s[0:3], 0 offset:392
	;; [unrolled: 1-line block ×10, first 2 shown]
	ds_read2_b64 v[10:13], v1 offset0:101 offset1:102
	ds_read2_b64 v[14:17], v1 offset0:103 offset1:104
	ds_read2_b64 v[18:21], v1 offset0:105 offset1:106
	ds_read2_b64 v[22:25], v1 offset0:107 offset1:108
	buffer_load_dword v39, off, s[0:3], 0 offset:452
	buffer_load_dword v38, off, s[0:3], 0 offset:448
	buffer_load_dword v41, off, s[0:3], 0 offset:444
	buffer_load_dword v40, off, s[0:3], 0 offset:440
	buffer_load_dword v43, off, s[0:3], 0 offset:436
	buffer_load_dword v42, off, s[0:3], 0 offset:432
	v_cmp_lt_u32_e32 vcc, 37, v0
	s_waitcnt vmcnt(37) lgkmcnt(5)
	v_mul_f32_e32 v66, v2, v44
	s_waitcnt vmcnt(36)
	v_mul_f32_e32 v67, v4, v46
	s_waitcnt vmcnt(35) lgkmcnt(4)
	v_mul_f32_e32 v68, v6, v48
	v_mul_f32_e32 v44, v3, v44
	;; [unrolled: 1-line block ×4, first 2 shown]
	s_waitcnt vmcnt(34)
	v_mul_f32_e32 v69, v8, v49
	s_waitcnt vmcnt(33) lgkmcnt(3)
	v_mul_f32_e32 v70, v10, v50
	s_waitcnt vmcnt(32)
	v_mul_f32_e32 v71, v12, v51
	s_waitcnt vmcnt(31) lgkmcnt(2)
	v_mul_f32_e32 v72, v14, v52
	s_waitcnt vmcnt(27)
	v_fmac_f32_e32 v66, v3, v56
	s_waitcnt vmcnt(26)
	v_fmac_f32_e32 v67, v5, v57
	;; [unrolled: 2-line block ×3, first 2 shown]
	v_fma_f32 v2, v2, v56, -v44
	v_add_f32_e32 v7, 0, v66
	v_fma_f32 v3, v4, v57, -v46
	v_add_f32_e32 v2, 0, v2
	v_add_f32_e32 v7, v7, v67
	s_waitcnt vmcnt(24)
	v_fmac_f32_e32 v69, v9, v59
	v_add_f32_e32 v2, v2, v3
	v_add_f32_e32 v3, v7, v68
	s_waitcnt vmcnt(23)
	v_fmac_f32_e32 v70, v11, v60
	v_add_f32_e32 v3, v3, v69
	v_mul_f32_e32 v49, v9, v49
	s_waitcnt vmcnt(22)
	v_fmac_f32_e32 v71, v13, v61
	v_fma_f32 v4, v6, v58, -v48
	v_add_f32_e32 v3, v3, v70
	v_mul_f32_e32 v73, v16, v53
	v_mul_f32_e32 v50, v11, v50
	s_waitcnt vmcnt(21)
	v_fmac_f32_e32 v72, v15, v62
	v_fma_f32 v5, v8, v59, -v49
	v_add_f32_e32 v2, v2, v4
	v_add_f32_e32 v3, v3, v71
	v_mul_f32_e32 v51, v13, v51
	s_waitcnt vmcnt(20)
	v_fmac_f32_e32 v73, v17, v63
	v_fma_f32 v6, v10, v60, -v50
	v_add_f32_e32 v2, v2, v5
	v_add_f32_e32 v3, v3, v72
	;; [unrolled: 1-line block ×4, first 2 shown]
	v_fma_f32 v3, v12, v61, -v51
	v_add_f32_e32 v2, v2, v3
	v_mul_f32_e32 v3, v15, v52
	v_fma_f32 v3, v14, v62, -v3
	v_add_f32_e32 v2, v2, v3
	v_mul_f32_e32 v3, v17, v53
	v_fma_f32 v3, v16, v63, -v3
	s_waitcnt vmcnt(15)
	v_mov_b32_e32 v16, v29
	s_waitcnt lgkmcnt(1)
	v_mul_f32_e32 v45, v18, v54
	v_add_f32_e32 v48, v2, v3
	v_mul_f32_e32 v2, v19, v54
	s_waitcnt lgkmcnt(0)
	v_pk_mul_f32 v[16:17], v[22:23], v[16:17] op_sel_hi:[1,0]
	v_mul_f32_e32 v47, v20, v55
	v_fmac_f32_e32 v45, v19, v64
	v_fma_f32 v44, v18, v64, -v2
	v_mul_f32_e32 v2, v21, v55
	s_waitcnt vmcnt(14)
	v_pk_fma_f32 v[18:19], v[22:23], v[28:29], v[16:17] op_sel:[0,0,1] op_sel_hi:[1,1,0] neg_lo:[0,0,1] neg_hi:[0,0,1]
	v_pk_fma_f32 v[16:17], v[22:23], v[28:29], v[16:17] op_sel:[0,0,1] op_sel_hi:[1,0,0]
	v_fmac_f32_e32 v47, v21, v65
	v_fma_f32 v46, v20, v65, -v2
	v_pk_add_f32 v[14:15], v[48:49], v[44:45]
	s_waitcnt vmcnt(13)
	v_mov_b32_e32 v16, v31
	ds_read2_b64 v[2:5], v1 offset0:109 offset1:110
	ds_read2_b64 v[6:9], v1 offset0:111 offset1:112
	;; [unrolled: 1-line block ×3, first 2 shown]
	v_pk_add_f32 v[14:15], v[14:15], v[46:47]
	v_mov_b32_e32 v19, v17
	v_pk_mul_f32 v[16:17], v[24:25], v[16:17] op_sel_hi:[1,0]
	v_pk_add_f32 v[14:15], v[14:15], v[18:19]
	s_waitcnt vmcnt(6)
	v_pk_fma_f32 v[18:19], v[24:25], v[30:31], v[16:17] op_sel:[0,0,1] op_sel_hi:[1,1,0] neg_lo:[0,0,1] neg_hi:[0,0,1]
	v_pk_fma_f32 v[16:17], v[24:25], v[30:31], v[16:17] op_sel:[0,0,1] op_sel_hi:[1,0,0]
	v_mov_b32_e32 v16, v37
	v_mov_b32_e32 v19, v17
	s_waitcnt lgkmcnt(2)
	v_pk_mul_f32 v[16:17], v[2:3], v[16:17] op_sel_hi:[1,0]
	v_pk_add_f32 v[14:15], v[14:15], v[18:19]
	v_pk_fma_f32 v[18:19], v[2:3], v[36:37], v[16:17] op_sel:[0,0,1] op_sel_hi:[1,1,0] neg_lo:[0,0,1] neg_hi:[0,0,1]
	v_pk_fma_f32 v[2:3], v[2:3], v[36:37], v[16:17] op_sel:[0,0,1] op_sel_hi:[1,0,0]
	v_mov_b32_e32 v19, v3
	v_pk_add_f32 v[2:3], v[14:15], v[18:19]
	v_mov_b32_e32 v14, v35
	v_pk_mul_f32 v[14:15], v[4:5], v[14:15] op_sel_hi:[1,0]
	v_pk_fma_f32 v[16:17], v[4:5], v[34:35], v[14:15] op_sel:[0,0,1] op_sel_hi:[1,1,0] neg_lo:[0,0,1] neg_hi:[0,0,1]
	v_pk_fma_f32 v[4:5], v[4:5], v[34:35], v[14:15] op_sel:[0,0,1] op_sel_hi:[1,0,0]
	v_mov_b32_e32 v4, v33
	v_mov_b32_e32 v17, v5
	s_waitcnt lgkmcnt(1)
	v_pk_mul_f32 v[4:5], v[6:7], v[4:5] op_sel_hi:[1,0]
	v_pk_fma_f32 v[14:15], v[6:7], v[32:33], v[4:5] op_sel:[0,0,1] op_sel_hi:[1,1,0] neg_lo:[0,0,1] neg_hi:[0,0,1]
	v_pk_fma_f32 v[4:5], v[6:7], v[32:33], v[4:5] op_sel:[0,0,1] op_sel_hi:[1,0,0]
	s_waitcnt vmcnt(1)
	v_mov_b32_e32 v4, v43
	v_mov_b32_e32 v15, v5
	v_pk_mul_f32 v[4:5], v[8:9], v[4:5] op_sel_hi:[1,0]
	s_waitcnt vmcnt(0)
	v_pk_fma_f32 v[6:7], v[8:9], v[42:43], v[4:5] op_sel:[0,0,1] op_sel_hi:[1,1,0] neg_lo:[0,0,1] neg_hi:[0,0,1]
	v_pk_fma_f32 v[4:5], v[8:9], v[42:43], v[4:5] op_sel:[0,0,1] op_sel_hi:[1,0,0]
	v_pk_add_f32 v[2:3], v[2:3], v[16:17]
	v_mov_b32_e32 v4, v41
	v_pk_add_f32 v[2:3], v[2:3], v[14:15]
	v_mov_b32_e32 v7, v5
	s_waitcnt lgkmcnt(0)
	v_pk_mul_f32 v[4:5], v[10:11], v[4:5] op_sel_hi:[1,0]
	v_pk_add_f32 v[2:3], v[2:3], v[6:7]
	v_pk_fma_f32 v[6:7], v[10:11], v[40:41], v[4:5] op_sel:[0,0,1] op_sel_hi:[1,1,0] neg_lo:[0,0,1] neg_hi:[0,0,1]
	v_pk_fma_f32 v[4:5], v[10:11], v[40:41], v[4:5] op_sel:[0,0,1] op_sel_hi:[1,0,0]
	v_mov_b32_e32 v4, v39
	v_mov_b32_e32 v7, v5
	v_pk_mul_f32 v[4:5], v[12:13], v[4:5] op_sel_hi:[1,0]
	v_pk_add_f32 v[2:3], v[2:3], v[6:7]
	v_pk_fma_f32 v[6:7], v[12:13], v[38:39], v[4:5] op_sel:[0,0,1] op_sel_hi:[1,1,0] neg_lo:[0,0,1] neg_hi:[0,0,1]
	v_pk_fma_f32 v[4:5], v[12:13], v[38:39], v[4:5] op_sel:[0,0,1] op_sel_hi:[1,0,0]
	v_mov_b32_e32 v7, v5
	v_pk_add_f32 v[2:3], v[2:3], v[6:7]
	v_pk_add_f32 v[2:3], v[26:27], v[2:3] neg_lo:[0,1] neg_hi:[0,1]
	buffer_store_dword v3, off, s[0:3], 0 offset:308
	buffer_store_dword v2, off, s[0:3], 0 offset:304
	s_and_saveexec_b64 s[4:5], vcc
	s_cbranch_execz .LBB120_281
; %bb.280:
	buffer_load_dword v2, off, s[0:3], 0 offset:296
	buffer_load_dword v3, off, s[0:3], 0 offset:300
	v_mov_b32_e32 v1, 0
	buffer_store_dword v1, off, s[0:3], 0 offset:296
	buffer_store_dword v1, off, s[0:3], 0 offset:300
	s_waitcnt vmcnt(2)
	ds_write_b64 v165, v[2:3]
.LBB120_281:
	s_or_b64 exec, exec, s[4:5]
	s_waitcnt lgkmcnt(0)
	; wave barrier
	s_waitcnt lgkmcnt(0)
	buffer_load_dword v44, off, s[0:3], 0 offset:308
	buffer_load_dword v46, off, s[0:3], 0 offset:316
	;; [unrolled: 1-line block ×40, first 2 shown]
	v_mov_b32_e32 v1, 0
	ds_read_b128 v[2:5], v1 offset:768
	ds_read_b128 v[6:9], v1 offset:784
	;; [unrolled: 1-line block ×6, first 2 shown]
	v_cmp_lt_u32_e32 vcc, 36, v0
	s_waitcnt vmcnt(39) lgkmcnt(5)
	v_mul_f32_e32 v68, v2, v44
	s_waitcnt vmcnt(38)
	v_mul_f32_e32 v69, v4, v46
	s_waitcnt vmcnt(37) lgkmcnt(4)
	v_mul_f32_e32 v70, v6, v48
	v_mul_f32_e32 v44, v3, v44
	v_mul_f32_e32 v46, v5, v46
	v_mul_f32_e32 v48, v7, v48
	s_waitcnt vmcnt(36)
	v_mul_f32_e32 v71, v8, v49
	s_waitcnt vmcnt(35) lgkmcnt(3)
	v_mul_f32_e32 v72, v10, v50
	s_waitcnt vmcnt(34)
	v_mul_f32_e32 v73, v12, v51
	s_waitcnt vmcnt(33) lgkmcnt(2)
	v_mul_f32_e32 v74, v14, v52
	s_waitcnt vmcnt(32)
	v_mul_f32_e32 v75, v16, v53
	s_waitcnt vmcnt(28)
	v_fmac_f32_e32 v68, v3, v57
	s_waitcnt vmcnt(27)
	v_fmac_f32_e32 v69, v5, v58
	v_fma_f32 v2, v2, v57, -v44
	v_fma_f32 v3, v4, v58, -v46
	s_waitcnt vmcnt(26)
	v_fma_f32 v4, v6, v59, -v48
	v_add_f32_e32 v6, 0, v68
	v_fmac_f32_e32 v70, v7, v59
	v_add_f32_e32 v2, 0, v2
	v_add_f32_e32 v6, v6, v69
	s_waitcnt vmcnt(25)
	v_fmac_f32_e32 v71, v9, v60
	v_add_f32_e32 v2, v2, v3
	v_add_f32_e32 v3, v6, v70
	s_waitcnt vmcnt(24)
	v_fmac_f32_e32 v72, v11, v61
	v_add_f32_e32 v3, v3, v71
	s_waitcnt vmcnt(23)
	v_fmac_f32_e32 v73, v13, v62
	;; [unrolled: 3-line block ×3, first 2 shown]
	v_add_f32_e32 v3, v3, v73
	s_waitcnt lgkmcnt(1)
	v_mul_f32_e32 v76, v18, v54
	s_waitcnt vmcnt(21)
	v_fmac_f32_e32 v75, v17, v64
	v_add_f32_e32 v3, v3, v74
	v_mul_f32_e32 v49, v9, v49
	s_waitcnt vmcnt(20)
	v_fmac_f32_e32 v76, v19, v65
	v_add_f32_e32 v3, v3, v75
	v_fma_f32 v5, v8, v60, -v49
	v_add_f32_e32 v2, v2, v4
	v_add_f32_e32 v49, v3, v76
	v_mul_f32_e32 v3, v11, v50
	v_add_f32_e32 v2, v2, v5
	v_fma_f32 v3, v10, v61, -v3
	v_add_f32_e32 v2, v2, v3
	v_mul_f32_e32 v3, v13, v51
	v_fma_f32 v3, v12, v62, -v3
	v_add_f32_e32 v2, v2, v3
	v_mul_f32_e32 v3, v15, v52
	;; [unrolled: 3-line block ×5, first 2 shown]
	s_waitcnt vmcnt(9)
	v_mov_b32_e32 v18, v35
	v_mul_f32_e32 v45, v20, v55
	v_fma_f32 v44, v20, v66, -v2
	s_waitcnt lgkmcnt(0)
	v_mul_f32_e32 v2, v23, v56
	v_pk_mul_f32 v[18:19], v[24:25], v[18:19] op_sel_hi:[1,0]
	v_mul_f32_e32 v47, v22, v56
	v_fmac_f32_e32 v45, v21, v66
	v_fma_f32 v46, v22, v67, -v2
	ds_read_b128 v[2:5], v1 offset:864
	ds_read_b128 v[6:9], v1 offset:880
	;; [unrolled: 1-line block ×3, first 2 shown]
	ds_read_b64 v[14:15], v1 offset:912
	s_waitcnt vmcnt(8)
	v_pk_fma_f32 v[20:21], v[24:25], v[34:35], v[18:19] op_sel:[0,0,1] op_sel_hi:[1,1,0] neg_lo:[0,0,1] neg_hi:[0,0,1]
	v_pk_fma_f32 v[18:19], v[24:25], v[34:35], v[18:19] op_sel:[0,0,1] op_sel_hi:[1,0,0]
	v_fmac_f32_e32 v47, v23, v67
	v_pk_add_f32 v[16:17], v[48:49], v[44:45]
	v_mov_b32_e32 v18, v33
	v_pk_add_f32 v[16:17], v[16:17], v[46:47]
	v_mov_b32_e32 v21, v19
	s_waitcnt lgkmcnt(3)
	v_pk_mul_f32 v[18:19], v[2:3], v[18:19] op_sel_hi:[1,0]
	v_pk_add_f32 v[16:17], v[16:17], v[20:21]
	v_pk_fma_f32 v[20:21], v[2:3], v[32:33], v[18:19] op_sel:[0,0,1] op_sel_hi:[1,1,0] neg_lo:[0,0,1] neg_hi:[0,0,1]
	v_pk_fma_f32 v[2:3], v[2:3], v[32:33], v[18:19] op_sel:[0,0,1] op_sel_hi:[1,0,0]
	v_mov_b32_e32 v21, v3
	v_pk_add_f32 v[2:3], v[16:17], v[20:21]
	v_mov_b32_e32 v16, v31
	v_pk_mul_f32 v[16:17], v[4:5], v[16:17] op_sel_hi:[1,0]
	v_pk_fma_f32 v[18:19], v[4:5], v[30:31], v[16:17] op_sel:[0,0,1] op_sel_hi:[1,1,0] neg_lo:[0,0,1] neg_hi:[0,0,1]
	v_pk_fma_f32 v[4:5], v[4:5], v[30:31], v[16:17] op_sel:[0,0,1] op_sel_hi:[1,0,0]
	v_mov_b32_e32 v4, v29
	v_mov_b32_e32 v19, v5
	s_waitcnt lgkmcnt(2)
	v_pk_mul_f32 v[4:5], v[6:7], v[4:5] op_sel_hi:[1,0]
	v_pk_fma_f32 v[16:17], v[6:7], v[28:29], v[4:5] op_sel:[0,0,1] op_sel_hi:[1,1,0] neg_lo:[0,0,1] neg_hi:[0,0,1]
	v_pk_fma_f32 v[4:5], v[6:7], v[28:29], v[4:5] op_sel:[0,0,1] op_sel_hi:[1,0,0]
	s_waitcnt vmcnt(1)
	v_mov_b32_e32 v4, v43
	v_mov_b32_e32 v17, v5
	v_pk_mul_f32 v[4:5], v[8:9], v[4:5] op_sel_hi:[1,0]
	s_waitcnt vmcnt(0)
	v_pk_fma_f32 v[6:7], v[8:9], v[42:43], v[4:5] op_sel:[0,0,1] op_sel_hi:[1,1,0] neg_lo:[0,0,1] neg_hi:[0,0,1]
	v_pk_fma_f32 v[4:5], v[8:9], v[42:43], v[4:5] op_sel:[0,0,1] op_sel_hi:[1,0,0]
	v_pk_add_f32 v[2:3], v[2:3], v[18:19]
	v_mov_b32_e32 v4, v41
	v_pk_add_f32 v[2:3], v[2:3], v[16:17]
	v_mov_b32_e32 v7, v5
	s_waitcnt lgkmcnt(1)
	v_pk_mul_f32 v[4:5], v[10:11], v[4:5] op_sel_hi:[1,0]
	v_pk_add_f32 v[2:3], v[2:3], v[6:7]
	v_pk_fma_f32 v[6:7], v[10:11], v[40:41], v[4:5] op_sel:[0,0,1] op_sel_hi:[1,1,0] neg_lo:[0,0,1] neg_hi:[0,0,1]
	v_pk_fma_f32 v[4:5], v[10:11], v[40:41], v[4:5] op_sel:[0,0,1] op_sel_hi:[1,0,0]
	v_mov_b32_e32 v4, v39
	v_mov_b32_e32 v7, v5
	v_pk_mul_f32 v[4:5], v[12:13], v[4:5] op_sel_hi:[1,0]
	v_pk_add_f32 v[2:3], v[2:3], v[6:7]
	v_pk_fma_f32 v[6:7], v[12:13], v[38:39], v[4:5] op_sel:[0,0,1] op_sel_hi:[1,1,0] neg_lo:[0,0,1] neg_hi:[0,0,1]
	v_pk_fma_f32 v[4:5], v[12:13], v[38:39], v[4:5] op_sel:[0,0,1] op_sel_hi:[1,0,0]
	v_mov_b32_e32 v4, v37
	v_mov_b32_e32 v7, v5
	s_waitcnt lgkmcnt(0)
	v_pk_mul_f32 v[4:5], v[14:15], v[4:5] op_sel_hi:[1,0]
	v_pk_add_f32 v[2:3], v[2:3], v[6:7]
	v_pk_fma_f32 v[6:7], v[14:15], v[36:37], v[4:5] op_sel:[0,0,1] op_sel_hi:[1,1,0] neg_lo:[0,0,1] neg_hi:[0,0,1]
	v_pk_fma_f32 v[4:5], v[14:15], v[36:37], v[4:5] op_sel:[0,0,1] op_sel_hi:[1,0,0]
	v_mov_b32_e32 v7, v5
	v_pk_add_f32 v[2:3], v[2:3], v[6:7]
	v_pk_add_f32 v[2:3], v[26:27], v[2:3] neg_lo:[0,1] neg_hi:[0,1]
	buffer_store_dword v3, off, s[0:3], 0 offset:300
	buffer_store_dword v2, off, s[0:3], 0 offset:296
	s_and_saveexec_b64 s[4:5], vcc
	s_cbranch_execz .LBB120_283
; %bb.282:
	buffer_load_dword v2, off, s[0:3], 0 offset:288
	buffer_load_dword v3, off, s[0:3], 0 offset:292
	s_waitcnt vmcnt(0)
	ds_write_b64 v165, v[2:3]
	buffer_store_dword v1, off, s[0:3], 0 offset:288
	buffer_store_dword v1, off, s[0:3], 0 offset:292
.LBB120_283:
	s_or_b64 exec, exec, s[4:5]
	s_waitcnt lgkmcnt(0)
	; wave barrier
	s_waitcnt lgkmcnt(0)
	buffer_load_dword v44, off, s[0:3], 0 offset:300
	buffer_load_dword v46, off, s[0:3], 0 offset:308
	;; [unrolled: 1-line block ×26, first 2 shown]
	ds_read2_b64 v[2:5], v1 offset0:95 offset1:96
	ds_read2_b64 v[6:9], v1 offset0:97 offset1:98
	;; [unrolled: 1-line block ×6, first 2 shown]
	buffer_load_dword v29, off, s[0:3], 0 offset:412
	buffer_load_dword v28, off, s[0:3], 0 offset:408
	;; [unrolled: 1-line block ×16, first 2 shown]
	v_cmp_lt_u32_e32 vcc, 35, v0
	s_waitcnt vmcnt(41) lgkmcnt(5)
	v_mul_f32_e32 v70, v2, v44
	s_waitcnt vmcnt(40)
	v_mul_f32_e32 v71, v4, v46
	v_mul_f32_e32 v44, v3, v44
	s_waitcnt vmcnt(39) lgkmcnt(4)
	v_mul_f32_e32 v72, v6, v48
	v_mul_f32_e32 v46, v5, v46
	s_waitcnt vmcnt(38)
	v_mul_f32_e32 v73, v8, v50
	s_waitcnt vmcnt(37) lgkmcnt(3)
	v_mul_f32_e32 v74, v10, v51
	s_waitcnt vmcnt(36)
	v_mul_f32_e32 v75, v12, v52
	s_waitcnt vmcnt(35) lgkmcnt(2)
	;; [unrolled: 4-line block ×3, first 2 shown]
	v_mul_f32_e32 v78, v18, v55
	s_waitcnt vmcnt(32)
	v_mul_f32_e32 v79, v20, v56
	s_waitcnt vmcnt(29)
	v_fmac_f32_e32 v70, v3, v49
	s_waitcnt vmcnt(28)
	v_fmac_f32_e32 v71, v5, v59
	v_fma_f32 v2, v2, v49, -v44
	v_add_f32_e32 v5, 0, v70
	s_waitcnt vmcnt(27)
	v_fmac_f32_e32 v72, v7, v60
	v_fma_f32 v3, v4, v59, -v46
	v_add_f32_e32 v2, 0, v2
	v_add_f32_e32 v5, v5, v71
	s_waitcnt vmcnt(26)
	v_fmac_f32_e32 v73, v9, v61
	v_add_f32_e32 v2, v2, v3
	v_add_f32_e32 v3, v5, v72
	s_waitcnt vmcnt(25)
	v_fmac_f32_e32 v74, v11, v62
	v_add_f32_e32 v3, v3, v73
	s_waitcnt vmcnt(24)
	v_fmac_f32_e32 v75, v13, v63
	v_add_f32_e32 v3, v3, v74
	s_waitcnt vmcnt(23)
	v_fmac_f32_e32 v76, v15, v64
	v_add_f32_e32 v3, v3, v75
	s_waitcnt vmcnt(22)
	v_fmac_f32_e32 v77, v17, v65
	v_add_f32_e32 v3, v3, v76
	s_waitcnt vmcnt(21)
	v_fmac_f32_e32 v78, v19, v66
	v_add_f32_e32 v3, v3, v77
	v_mul_f32_e32 v48, v7, v48
	s_waitcnt vmcnt(20)
	v_fmac_f32_e32 v79, v21, v67
	v_add_f32_e32 v3, v3, v78
	v_fma_f32 v4, v6, v60, -v48
	v_add_f32_e32 v49, v3, v79
	v_mul_f32_e32 v3, v9, v50
	v_add_f32_e32 v2, v2, v4
	v_fma_f32 v3, v8, v61, -v3
	v_add_f32_e32 v2, v2, v3
	v_mul_f32_e32 v3, v11, v51
	v_fma_f32 v3, v10, v62, -v3
	v_add_f32_e32 v2, v2, v3
	v_mul_f32_e32 v3, v13, v52
	;; [unrolled: 3-line block ×6, first 2 shown]
	v_fma_f32 v3, v20, v67, -v3
	v_add_f32_e32 v48, v2, v3
	s_waitcnt lgkmcnt(0)
	v_mul_f32_e32 v2, v23, v57
	s_waitcnt vmcnt(19)
	v_fma_f32 v44, v22, v68, -v2
	v_mul_f32_e32 v2, v25, v58
	s_waitcnt vmcnt(18)
	v_fma_f32 v46, v24, v69, -v2
	ds_read2_b64 v[2:5], v1 offset0:107 offset1:108
	ds_read2_b64 v[6:9], v1 offset0:109 offset1:110
	;; [unrolled: 1-line block ×4, first 2 shown]
	v_mul_f32_e32 v45, v22, v57
	s_waitcnt vmcnt(11)
	v_mov_b32_e32 v20, v33
	v_mul_f32_e32 v47, v24, v58
	v_fmac_f32_e32 v45, v23, v68
	s_waitcnt lgkmcnt(3)
	v_pk_mul_f32 v[20:21], v[2:3], v[20:21] op_sel_hi:[1,0]
	v_fmac_f32_e32 v47, v25, v69
	v_pk_add_f32 v[18:19], v[48:49], v[44:45]
	s_waitcnt vmcnt(10)
	v_pk_fma_f32 v[22:23], v[2:3], v[32:33], v[20:21] op_sel:[0,0,1] op_sel_hi:[1,1,0] neg_lo:[0,0,1] neg_hi:[0,0,1]
	v_pk_fma_f32 v[2:3], v[2:3], v[32:33], v[20:21] op_sel:[0,0,1] op_sel_hi:[1,0,0]
	v_pk_add_f32 v[18:19], v[18:19], v[46:47]
	v_mov_b32_e32 v23, v3
	v_pk_add_f32 v[2:3], v[18:19], v[22:23]
	v_mov_b32_e32 v18, v31
	v_pk_mul_f32 v[18:19], v[4:5], v[18:19] op_sel_hi:[1,0]
	v_pk_fma_f32 v[20:21], v[4:5], v[30:31], v[18:19] op_sel:[0,0,1] op_sel_hi:[1,1,0] neg_lo:[0,0,1] neg_hi:[0,0,1]
	v_pk_fma_f32 v[4:5], v[4:5], v[30:31], v[18:19] op_sel:[0,0,1] op_sel_hi:[1,0,0]
	v_mov_b32_e32 v4, v29
	v_mov_b32_e32 v21, v5
	s_waitcnt lgkmcnt(2)
	v_pk_mul_f32 v[4:5], v[6:7], v[4:5] op_sel_hi:[1,0]
	v_pk_fma_f32 v[18:19], v[6:7], v[28:29], v[4:5] op_sel:[0,0,1] op_sel_hi:[1,1,0] neg_lo:[0,0,1] neg_hi:[0,0,1]
	v_pk_fma_f32 v[4:5], v[6:7], v[28:29], v[4:5] op_sel:[0,0,1] op_sel_hi:[1,0,0]
	s_waitcnt vmcnt(3)
	v_mov_b32_e32 v4, v41
	v_mov_b32_e32 v19, v5
	v_pk_mul_f32 v[4:5], v[8:9], v[4:5] op_sel_hi:[1,0]
	s_waitcnt vmcnt(2)
	v_pk_fma_f32 v[6:7], v[8:9], v[40:41], v[4:5] op_sel:[0,0,1] op_sel_hi:[1,1,0] neg_lo:[0,0,1] neg_hi:[0,0,1]
	v_pk_fma_f32 v[4:5], v[8:9], v[40:41], v[4:5] op_sel:[0,0,1] op_sel_hi:[1,0,0]
	v_pk_add_f32 v[2:3], v[2:3], v[20:21]
	v_mov_b32_e32 v4, v39
	v_pk_add_f32 v[2:3], v[2:3], v[18:19]
	v_mov_b32_e32 v7, v5
	s_waitcnt lgkmcnt(1)
	v_pk_mul_f32 v[4:5], v[10:11], v[4:5] op_sel_hi:[1,0]
	v_pk_add_f32 v[2:3], v[2:3], v[6:7]
	v_pk_fma_f32 v[6:7], v[10:11], v[38:39], v[4:5] op_sel:[0,0,1] op_sel_hi:[1,1,0] neg_lo:[0,0,1] neg_hi:[0,0,1]
	v_pk_fma_f32 v[4:5], v[10:11], v[38:39], v[4:5] op_sel:[0,0,1] op_sel_hi:[1,0,0]
	v_mov_b32_e32 v4, v37
	v_mov_b32_e32 v7, v5
	v_pk_mul_f32 v[4:5], v[12:13], v[4:5] op_sel_hi:[1,0]
	v_pk_add_f32 v[2:3], v[2:3], v[6:7]
	v_pk_fma_f32 v[6:7], v[12:13], v[36:37], v[4:5] op_sel:[0,0,1] op_sel_hi:[1,1,0] neg_lo:[0,0,1] neg_hi:[0,0,1]
	v_pk_fma_f32 v[4:5], v[12:13], v[36:37], v[4:5] op_sel:[0,0,1] op_sel_hi:[1,0,0]
	v_mov_b32_e32 v4, v35
	v_mov_b32_e32 v7, v5
	s_waitcnt lgkmcnt(0)
	v_pk_mul_f32 v[4:5], v[14:15], v[4:5] op_sel_hi:[1,0]
	v_pk_add_f32 v[2:3], v[2:3], v[6:7]
	v_pk_fma_f32 v[6:7], v[14:15], v[34:35], v[4:5] op_sel:[0,0,1] op_sel_hi:[1,1,0] neg_lo:[0,0,1] neg_hi:[0,0,1]
	v_pk_fma_f32 v[4:5], v[14:15], v[34:35], v[4:5] op_sel:[0,0,1] op_sel_hi:[1,0,0]
	s_waitcnt vmcnt(1)
	v_mov_b32_e32 v4, v43
	v_mov_b32_e32 v7, v5
	v_pk_mul_f32 v[4:5], v[16:17], v[4:5] op_sel_hi:[1,0]
	v_pk_add_f32 v[2:3], v[2:3], v[6:7]
	s_waitcnt vmcnt(0)
	v_pk_fma_f32 v[6:7], v[16:17], v[42:43], v[4:5] op_sel:[0,0,1] op_sel_hi:[1,1,0] neg_lo:[0,0,1] neg_hi:[0,0,1]
	v_pk_fma_f32 v[4:5], v[16:17], v[42:43], v[4:5] op_sel:[0,0,1] op_sel_hi:[1,0,0]
	v_mov_b32_e32 v7, v5
	v_pk_add_f32 v[2:3], v[2:3], v[6:7]
	v_pk_add_f32 v[2:3], v[26:27], v[2:3] neg_lo:[0,1] neg_hi:[0,1]
	buffer_store_dword v3, off, s[0:3], 0 offset:292
	buffer_store_dword v2, off, s[0:3], 0 offset:288
	s_and_saveexec_b64 s[4:5], vcc
	s_cbranch_execz .LBB120_285
; %bb.284:
	buffer_load_dword v2, off, s[0:3], 0 offset:280
	buffer_load_dword v3, off, s[0:3], 0 offset:284
	v_mov_b32_e32 v1, 0
	buffer_store_dword v1, off, s[0:3], 0 offset:280
	buffer_store_dword v1, off, s[0:3], 0 offset:284
	s_waitcnt vmcnt(2)
	ds_write_b64 v165, v[2:3]
.LBB120_285:
	s_or_b64 exec, exec, s[4:5]
	s_waitcnt lgkmcnt(0)
	; wave barrier
	s_waitcnt lgkmcnt(0)
	buffer_load_dword v52, off, s[0:3], 0 offset:292
	buffer_load_dword v54, off, s[0:3], 0 offset:300
	;; [unrolled: 1-line block ×44, first 2 shown]
	v_mov_b32_e32 v1, 0
	ds_read_b128 v[2:5], v1 offset:752
	ds_read_b128 v[6:9], v1 offset:768
	;; [unrolled: 1-line block ×8, first 2 shown]
	v_cmp_lt_u32_e32 vcc, 34, v0
	s_waitcnt vmcnt(43) lgkmcnt(7)
	v_mul_f32_e32 v57, v2, v52
	s_waitcnt vmcnt(42)
	v_mul_f32_e32 v81, v4, v54
	s_waitcnt vmcnt(41) lgkmcnt(6)
	v_mul_f32_e32 v82, v6, v56
	v_mul_f32_e32 v52, v3, v52
	s_waitcnt vmcnt(40)
	v_mul_f32_e32 v83, v8, v58
	s_waitcnt vmcnt(39) lgkmcnt(5)
	v_mul_f32_e32 v84, v10, v59
	s_waitcnt vmcnt(38)
	v_mul_f32_e32 v85, v12, v60
	s_waitcnt vmcnt(37) lgkmcnt(4)
	;; [unrolled: 4-line block ×4, first 2 shown]
	v_mul_f32_e32 v90, v22, v65
	s_waitcnt vmcnt(32)
	v_mul_f32_e32 v53, v24, v66
	s_waitcnt vmcnt(30)
	v_fmac_f32_e32 v57, v3, v68
	s_waitcnt vmcnt(29)
	v_fmac_f32_e32 v81, v5, v69
	v_add_f32_e32 v3, 0, v57
	s_waitcnt vmcnt(28)
	v_fmac_f32_e32 v82, v7, v70
	v_add_f32_e32 v3, v3, v81
	;; [unrolled: 3-line block ×10, first 2 shown]
	v_add_f32_e32 v57, v3, v90
	v_fma_f32 v2, v2, v68, -v52
	v_mul_f32_e32 v3, v5, v54
	v_add_f32_e32 v2, 0, v2
	v_fma_f32 v3, v4, v69, -v3
	v_add_f32_e32 v2, v2, v3
	v_mul_f32_e32 v3, v7, v56
	v_fma_f32 v3, v6, v70, -v3
	v_add_f32_e32 v2, v2, v3
	v_mul_f32_e32 v3, v9, v58
	;; [unrolled: 3-line block ×9, first 2 shown]
	v_fma_f32 v3, v22, v78, -v3
	s_waitcnt vmcnt(13)
	v_mov_b32_e32 v14, v39
	v_add_f32_e32 v56, v2, v3
	v_mul_f32_e32 v2, v25, v66
	s_waitcnt lgkmcnt(1)
	v_pk_mul_f32 v[14:15], v[28:29], v[14:15] op_sel_hi:[1,0]
	v_mul_f32_e32 v55, v26, v67
	v_fmac_f32_e32 v53, v25, v79
	v_fma_f32 v52, v24, v79, -v2
	v_mul_f32_e32 v2, v27, v67
	s_waitcnt vmcnt(12)
	v_pk_fma_f32 v[16:17], v[28:29], v[38:39], v[14:15] op_sel:[0,0,1] op_sel_hi:[1,1,0] neg_lo:[0,0,1] neg_hi:[0,0,1]
	v_pk_fma_f32 v[14:15], v[28:29], v[38:39], v[14:15] op_sel:[0,0,1] op_sel_hi:[1,0,0]
	v_fmac_f32_e32 v55, v27, v80
	v_fma_f32 v54, v26, v80, -v2
	v_pk_add_f32 v[12:13], v[56:57], v[52:53]
	v_mov_b32_e32 v14, v37
	v_pk_add_f32 v[12:13], v[12:13], v[54:55]
	v_mov_b32_e32 v17, v15
	s_waitcnt lgkmcnt(0)
	v_pk_mul_f32 v[14:15], v[30:31], v[14:15] op_sel_hi:[1,0]
	v_pk_add_f32 v[12:13], v[12:13], v[16:17]
	v_pk_fma_f32 v[16:17], v[30:31], v[36:37], v[14:15] op_sel:[0,0,1] op_sel_hi:[1,1,0] neg_lo:[0,0,1] neg_hi:[0,0,1]
	v_pk_fma_f32 v[14:15], v[30:31], v[36:37], v[14:15] op_sel:[0,0,1] op_sel_hi:[1,0,0]
	s_waitcnt vmcnt(5)
	v_mov_b32_e32 v14, v47
	ds_read_b128 v[2:5], v1 offset:880
	ds_read_b128 v[6:9], v1 offset:896
	ds_read_b64 v[10:11], v1 offset:912
	v_mov_b32_e32 v17, v15
	v_pk_mul_f32 v[14:15], v[32:33], v[14:15] op_sel_hi:[1,0]
	v_pk_add_f32 v[12:13], v[12:13], v[16:17]
	s_waitcnt vmcnt(4)
	v_pk_fma_f32 v[16:17], v[32:33], v[46:47], v[14:15] op_sel:[0,0,1] op_sel_hi:[1,1,0] neg_lo:[0,0,1] neg_hi:[0,0,1]
	v_pk_fma_f32 v[14:15], v[32:33], v[46:47], v[14:15] op_sel:[0,0,1] op_sel_hi:[1,0,0]
	v_mov_b32_e32 v14, v45
	v_mov_b32_e32 v17, v15
	s_waitcnt lgkmcnt(2)
	v_pk_mul_f32 v[14:15], v[2:3], v[14:15] op_sel_hi:[1,0]
	v_pk_add_f32 v[12:13], v[12:13], v[16:17]
	v_pk_fma_f32 v[16:17], v[2:3], v[44:45], v[14:15] op_sel:[0,0,1] op_sel_hi:[1,1,0] neg_lo:[0,0,1] neg_hi:[0,0,1]
	v_pk_fma_f32 v[2:3], v[2:3], v[44:45], v[14:15] op_sel:[0,0,1] op_sel_hi:[1,0,0]
	v_mov_b32_e32 v17, v3
	v_pk_add_f32 v[2:3], v[12:13], v[16:17]
	v_mov_b32_e32 v12, v43
	v_pk_mul_f32 v[12:13], v[4:5], v[12:13] op_sel_hi:[1,0]
	v_pk_fma_f32 v[14:15], v[4:5], v[42:43], v[12:13] op_sel:[0,0,1] op_sel_hi:[1,1,0] neg_lo:[0,0,1] neg_hi:[0,0,1]
	v_pk_fma_f32 v[4:5], v[4:5], v[42:43], v[12:13] op_sel:[0,0,1] op_sel_hi:[1,0,0]
	v_mov_b32_e32 v4, v41
	v_mov_b32_e32 v15, v5
	s_waitcnt lgkmcnt(1)
	v_pk_mul_f32 v[4:5], v[6:7], v[4:5] op_sel_hi:[1,0]
	v_pk_fma_f32 v[12:13], v[6:7], v[40:41], v[4:5] op_sel:[0,0,1] op_sel_hi:[1,1,0] neg_lo:[0,0,1] neg_hi:[0,0,1]
	v_pk_fma_f32 v[4:5], v[6:7], v[40:41], v[4:5] op_sel:[0,0,1] op_sel_hi:[1,0,0]
	s_waitcnt vmcnt(1)
	v_mov_b32_e32 v4, v51
	v_mov_b32_e32 v13, v5
	v_pk_mul_f32 v[4:5], v[8:9], v[4:5] op_sel_hi:[1,0]
	s_waitcnt vmcnt(0)
	v_pk_fma_f32 v[6:7], v[8:9], v[50:51], v[4:5] op_sel:[0,0,1] op_sel_hi:[1,1,0] neg_lo:[0,0,1] neg_hi:[0,0,1]
	v_pk_fma_f32 v[4:5], v[8:9], v[50:51], v[4:5] op_sel:[0,0,1] op_sel_hi:[1,0,0]
	v_pk_add_f32 v[2:3], v[2:3], v[14:15]
	v_mov_b32_e32 v4, v49
	v_pk_add_f32 v[2:3], v[2:3], v[12:13]
	v_mov_b32_e32 v7, v5
	s_waitcnt lgkmcnt(0)
	v_pk_mul_f32 v[4:5], v[10:11], v[4:5] op_sel_hi:[1,0]
	v_pk_add_f32 v[2:3], v[2:3], v[6:7]
	v_pk_fma_f32 v[6:7], v[10:11], v[48:49], v[4:5] op_sel:[0,0,1] op_sel_hi:[1,1,0] neg_lo:[0,0,1] neg_hi:[0,0,1]
	v_pk_fma_f32 v[4:5], v[10:11], v[48:49], v[4:5] op_sel:[0,0,1] op_sel_hi:[1,0,0]
	v_mov_b32_e32 v7, v5
	v_pk_add_f32 v[2:3], v[2:3], v[6:7]
	v_pk_add_f32 v[2:3], v[34:35], v[2:3] neg_lo:[0,1] neg_hi:[0,1]
	buffer_store_dword v3, off, s[0:3], 0 offset:284
	buffer_store_dword v2, off, s[0:3], 0 offset:280
	s_and_saveexec_b64 s[4:5], vcc
	s_cbranch_execz .LBB120_287
; %bb.286:
	buffer_load_dword v2, off, s[0:3], 0 offset:272
	buffer_load_dword v3, off, s[0:3], 0 offset:276
	s_waitcnt vmcnt(0)
	ds_write_b64 v165, v[2:3]
	buffer_store_dword v1, off, s[0:3], 0 offset:272
	buffer_store_dword v1, off, s[0:3], 0 offset:276
.LBB120_287:
	s_or_b64 exec, exec, s[4:5]
	s_waitcnt lgkmcnt(0)
	; wave barrier
	s_waitcnt lgkmcnt(0)
	buffer_load_dword v52, off, s[0:3], 0 offset:284
	buffer_load_dword v54, off, s[0:3], 0 offset:292
	;; [unrolled: 1-line block ×30, first 2 shown]
	ds_read2_b64 v[2:5], v1 offset0:93 offset1:94
	ds_read2_b64 v[6:9], v1 offset0:95 offset1:96
	;; [unrolled: 1-line block ×6, first 2 shown]
	buffer_load_dword v37, off, s[0:3], 0 offset:396
	buffer_load_dword v36, off, s[0:3], 0 offset:392
	ds_read2_b64 v[26:29], v1 offset0:105 offset1:106
	ds_read2_b64 v[30:33], v1 offset0:107 offset1:108
	buffer_load_dword v39, off, s[0:3], 0 offset:428
	buffer_load_dword v38, off, s[0:3], 0 offset:424
	;; [unrolled: 1-line block ×14, first 2 shown]
	v_cmp_lt_u32_e32 vcc, 33, v0
	s_waitcnt vmcnt(45) lgkmcnt(7)
	v_mul_f32_e32 v55, v2, v52
	s_waitcnt vmcnt(44)
	v_mul_f32_e32 v57, v4, v54
	s_waitcnt vmcnt(43) lgkmcnt(6)
	v_mul_f32_e32 v83, v6, v56
	s_waitcnt vmcnt(42)
	v_mul_f32_e32 v84, v8, v58
	;; [unrolled: 4-line block ×6, first 2 shown]
	s_waitcnt vmcnt(33) lgkmcnt(1)
	v_mul_f32_e32 v53, v26, v67
	s_waitcnt vmcnt(32)
	v_fmac_f32_e32 v55, v3, v68
	v_mul_f32_e32 v3, v3, v52
	v_fma_f32 v2, v2, v68, -v3
	v_mul_f32_e32 v3, v5, v54
	v_add_f32_e32 v2, 0, v2
	s_waitcnt vmcnt(31)
	v_fma_f32 v3, v4, v69, -v3
	v_add_f32_e32 v2, v2, v3
	v_mul_f32_e32 v3, v7, v56
	s_waitcnt vmcnt(30)
	v_fma_f32 v3, v6, v70, -v3
	v_add_f32_e32 v2, v2, v3
	v_mul_f32_e32 v3, v9, v58
	;; [unrolled: 4-line block ×5, first 2 shown]
	s_waitcnt vmcnt(26)
	v_fma_f32 v3, v14, v74, -v3
	v_fmac_f32_e32 v57, v5, v69
	v_add_f32_e32 v55, 0, v55
	v_add_f32_e32 v2, v2, v3
	v_mul_f32_e32 v3, v17, v62
	v_fmac_f32_e32 v83, v7, v70
	v_add_f32_e32 v55, v55, v57
	s_waitcnt vmcnt(25)
	v_fma_f32 v3, v16, v75, -v3
	v_fmac_f32_e32 v84, v9, v71
	v_add_f32_e32 v55, v55, v83
	v_add_f32_e32 v2, v2, v3
	v_mul_f32_e32 v3, v19, v63
	v_fmac_f32_e32 v85, v11, v72
	v_add_f32_e32 v55, v55, v84
	;; [unrolled: 8-line block ×5, first 2 shown]
	s_waitcnt vmcnt(21)
	v_fma_f32 v3, v24, v79, -v3
	s_waitcnt vmcnt(15)
	v_mov_b32_e32 v16, v37
	v_fmac_f32_e32 v92, v25, v79
	v_add_f32_e32 v55, v55, v91
	v_add_f32_e32 v54, v2, v3
	v_mul_f32_e32 v2, v27, v67
	s_waitcnt lgkmcnt(0)
	v_pk_mul_f32 v[16:17], v[30:31], v[16:17] op_sel_hi:[1,0]
	v_fmac_f32_e32 v53, v27, v80
	v_add_f32_e32 v55, v55, v92
	v_mul_f32_e32 v57, v28, v81
	v_fma_f32 v52, v26, v80, -v2
	v_mul_f32_e32 v2, v29, v81
	s_waitcnt vmcnt(14)
	v_pk_fma_f32 v[18:19], v[30:31], v[36:37], v[16:17] op_sel:[0,0,1] op_sel_hi:[1,1,0] neg_lo:[0,0,1] neg_hi:[0,0,1]
	v_pk_fma_f32 v[16:17], v[30:31], v[36:37], v[16:17] op_sel:[0,0,1] op_sel_hi:[1,0,0]
	v_fmac_f32_e32 v57, v29, v82
	v_fma_f32 v56, v28, v82, -v2
	v_pk_add_f32 v[14:15], v[54:55], v[52:53]
	s_waitcnt vmcnt(7)
	v_mov_b32_e32 v16, v45
	ds_read2_b64 v[2:5], v1 offset0:109 offset1:110
	ds_read2_b64 v[6:9], v1 offset0:111 offset1:112
	;; [unrolled: 1-line block ×3, first 2 shown]
	v_pk_add_f32 v[14:15], v[14:15], v[56:57]
	v_mov_b32_e32 v19, v17
	v_pk_mul_f32 v[16:17], v[32:33], v[16:17] op_sel_hi:[1,0]
	v_pk_add_f32 v[14:15], v[14:15], v[18:19]
	s_waitcnt vmcnt(6)
	v_pk_fma_f32 v[18:19], v[32:33], v[44:45], v[16:17] op_sel:[0,0,1] op_sel_hi:[1,1,0] neg_lo:[0,0,1] neg_hi:[0,0,1]
	v_pk_fma_f32 v[16:17], v[32:33], v[44:45], v[16:17] op_sel:[0,0,1] op_sel_hi:[1,0,0]
	v_mov_b32_e32 v16, v43
	v_mov_b32_e32 v19, v17
	s_waitcnt lgkmcnt(2)
	v_pk_mul_f32 v[16:17], v[2:3], v[16:17] op_sel_hi:[1,0]
	v_pk_add_f32 v[14:15], v[14:15], v[18:19]
	v_pk_fma_f32 v[18:19], v[2:3], v[42:43], v[16:17] op_sel:[0,0,1] op_sel_hi:[1,1,0] neg_lo:[0,0,1] neg_hi:[0,0,1]
	v_pk_fma_f32 v[2:3], v[2:3], v[42:43], v[16:17] op_sel:[0,0,1] op_sel_hi:[1,0,0]
	v_mov_b32_e32 v19, v3
	v_pk_add_f32 v[2:3], v[14:15], v[18:19]
	v_mov_b32_e32 v14, v41
	v_pk_mul_f32 v[14:15], v[4:5], v[14:15] op_sel_hi:[1,0]
	v_pk_fma_f32 v[16:17], v[4:5], v[40:41], v[14:15] op_sel:[0,0,1] op_sel_hi:[1,1,0] neg_lo:[0,0,1] neg_hi:[0,0,1]
	v_pk_fma_f32 v[4:5], v[4:5], v[40:41], v[14:15] op_sel:[0,0,1] op_sel_hi:[1,0,0]
	v_mov_b32_e32 v4, v39
	v_mov_b32_e32 v17, v5
	s_waitcnt lgkmcnt(1)
	v_pk_mul_f32 v[4:5], v[6:7], v[4:5] op_sel_hi:[1,0]
	v_pk_fma_f32 v[14:15], v[6:7], v[38:39], v[4:5] op_sel:[0,0,1] op_sel_hi:[1,1,0] neg_lo:[0,0,1] neg_hi:[0,0,1]
	v_pk_fma_f32 v[4:5], v[6:7], v[38:39], v[4:5] op_sel:[0,0,1] op_sel_hi:[1,0,0]
	s_waitcnt vmcnt(1)
	v_mov_b32_e32 v4, v51
	v_mov_b32_e32 v15, v5
	v_pk_mul_f32 v[4:5], v[8:9], v[4:5] op_sel_hi:[1,0]
	s_waitcnt vmcnt(0)
	v_pk_fma_f32 v[6:7], v[8:9], v[50:51], v[4:5] op_sel:[0,0,1] op_sel_hi:[1,1,0] neg_lo:[0,0,1] neg_hi:[0,0,1]
	v_pk_fma_f32 v[4:5], v[8:9], v[50:51], v[4:5] op_sel:[0,0,1] op_sel_hi:[1,0,0]
	v_pk_add_f32 v[2:3], v[2:3], v[16:17]
	v_mov_b32_e32 v4, v49
	v_pk_add_f32 v[2:3], v[2:3], v[14:15]
	v_mov_b32_e32 v7, v5
	s_waitcnt lgkmcnt(0)
	v_pk_mul_f32 v[4:5], v[10:11], v[4:5] op_sel_hi:[1,0]
	v_pk_add_f32 v[2:3], v[2:3], v[6:7]
	v_pk_fma_f32 v[6:7], v[10:11], v[48:49], v[4:5] op_sel:[0,0,1] op_sel_hi:[1,1,0] neg_lo:[0,0,1] neg_hi:[0,0,1]
	v_pk_fma_f32 v[4:5], v[10:11], v[48:49], v[4:5] op_sel:[0,0,1] op_sel_hi:[1,0,0]
	v_mov_b32_e32 v4, v47
	v_mov_b32_e32 v7, v5
	v_pk_mul_f32 v[4:5], v[12:13], v[4:5] op_sel_hi:[1,0]
	v_pk_add_f32 v[2:3], v[2:3], v[6:7]
	v_pk_fma_f32 v[6:7], v[12:13], v[46:47], v[4:5] op_sel:[0,0,1] op_sel_hi:[1,1,0] neg_lo:[0,0,1] neg_hi:[0,0,1]
	v_pk_fma_f32 v[4:5], v[12:13], v[46:47], v[4:5] op_sel:[0,0,1] op_sel_hi:[1,0,0]
	v_mov_b32_e32 v7, v5
	v_pk_add_f32 v[2:3], v[2:3], v[6:7]
	v_pk_add_f32 v[2:3], v[34:35], v[2:3] neg_lo:[0,1] neg_hi:[0,1]
	buffer_store_dword v3, off, s[0:3], 0 offset:276
	buffer_store_dword v2, off, s[0:3], 0 offset:272
	s_and_saveexec_b64 s[4:5], vcc
	s_cbranch_execz .LBB120_289
; %bb.288:
	buffer_load_dword v2, off, s[0:3], 0 offset:264
	buffer_load_dword v3, off, s[0:3], 0 offset:268
	v_mov_b32_e32 v1, 0
	buffer_store_dword v1, off, s[0:3], 0 offset:264
	buffer_store_dword v1, off, s[0:3], 0 offset:268
	s_waitcnt vmcnt(2)
	ds_write_b64 v165, v[2:3]
.LBB120_289:
	s_or_b64 exec, exec, s[4:5]
	s_waitcnt lgkmcnt(0)
	; wave barrier
	s_waitcnt lgkmcnt(0)
	buffer_load_dword v50, off, s[0:3], 0 offset:276
	buffer_load_dword v54, off, s[0:3], 0 offset:284
	;; [unrolled: 1-line block ×32, first 2 shown]
	v_mov_b32_e32 v1, 0
	buffer_load_dword v37, off, s[0:3], 0 offset:420
	buffer_load_dword v36, off, s[0:3], 0 offset:416
	;; [unrolled: 1-line block ×13, first 2 shown]
	ds_read_b128 v[2:5], v1 offset:736
	ds_read_b128 v[6:9], v1 offset:752
	;; [unrolled: 1-line block ×8, first 2 shown]
	v_cmp_lt_u32_e32 vcc, 32, v0
	s_waitcnt vmcnt(44) lgkmcnt(7)
	v_mul_f32_e32 v44, v2, v50
	s_waitcnt vmcnt(43)
	v_mul_f32_e32 v51, v4, v54
	s_waitcnt vmcnt(42) lgkmcnt(6)
	v_mul_f32_e32 v52, v6, v56
	s_waitcnt vmcnt(41)
	v_mul_f32_e32 v53, v8, v58
	;; [unrolled: 4-line block ×6, first 2 shown]
	s_waitcnt vmcnt(32) lgkmcnt(1)
	v_mul_f32_e32 v91, v26, v67
	s_waitcnt vmcnt(31)
	v_fmac_f32_e32 v44, v3, v68
	s_waitcnt vmcnt(30)
	v_fmac_f32_e32 v51, v5, v69
	v_add_f32_e32 v44, 0, v44
	s_waitcnt vmcnt(29)
	v_fmac_f32_e32 v52, v7, v70
	v_add_f32_e32 v44, v44, v51
	;; [unrolled: 3-line block ×12, first 2 shown]
	v_add_f32_e32 v51, v44, v91
	buffer_load_dword v53, off, s[0:3], 0 offset:436
	buffer_load_dword v52, off, s[0:3], 0 offset:432
	;; [unrolled: 1-line block ×3, first 2 shown]
	v_mul_f32_e32 v3, v3, v50
	v_fma_f32 v2, v2, v68, -v3
	v_mul_f32_e32 v3, v5, v54
	v_add_f32_e32 v2, 0, v2
	v_fma_f32 v3, v4, v69, -v3
	v_add_f32_e32 v2, v2, v3
	v_mul_f32_e32 v3, v7, v56
	v_fma_f32 v3, v6, v70, -v3
	v_add_f32_e32 v2, v2, v3
	v_mul_f32_e32 v3, v9, v58
	;; [unrolled: 3-line block ×11, first 2 shown]
	v_fma_f32 v3, v26, v80, -v3
	v_add_f32_e32 v50, v2, v3
	s_waitcnt vmcnt(21)
	v_mul_f32_e32 v2, v29, v81
	s_waitcnt vmcnt(9)
	v_mov_b32_e32 v18, v43
	v_mul_f32_e32 v55, v28, v81
	v_fma_f32 v54, v28, v82, -v2
	s_waitcnt lgkmcnt(0)
	v_mul_f32_e32 v2, v31, v83
	v_pk_mul_f32 v[18:19], v[32:33], v[18:19] op_sel_hi:[1,0]
	v_fmac_f32_e32 v55, v29, v82
	v_mul_f32_e32 v57, v30, v83
	v_fma_f32 v56, v30, v84, -v2
	ds_read_b128 v[2:5], v1 offset:864
	ds_read_b128 v[6:9], v1 offset:880
	;; [unrolled: 1-line block ×3, first 2 shown]
	ds_read_b64 v[14:15], v1 offset:912
	s_waitcnt vmcnt(8)
	v_pk_fma_f32 v[20:21], v[32:33], v[42:43], v[18:19] op_sel:[0,0,1] op_sel_hi:[1,1,0] neg_lo:[0,0,1] neg_hi:[0,0,1]
	v_pk_fma_f32 v[18:19], v[32:33], v[42:43], v[18:19] op_sel:[0,0,1] op_sel_hi:[1,0,0]
	v_fmac_f32_e32 v57, v31, v84
	v_pk_add_f32 v[16:17], v[50:51], v[54:55]
	v_mov_b32_e32 v18, v41
	v_pk_add_f32 v[16:17], v[16:17], v[56:57]
	v_mov_b32_e32 v21, v19
	s_waitcnt lgkmcnt(3)
	v_pk_mul_f32 v[18:19], v[2:3], v[18:19] op_sel_hi:[1,0]
	v_pk_add_f32 v[16:17], v[16:17], v[20:21]
	v_pk_fma_f32 v[20:21], v[2:3], v[40:41], v[18:19] op_sel:[0,0,1] op_sel_hi:[1,1,0] neg_lo:[0,0,1] neg_hi:[0,0,1]
	v_pk_fma_f32 v[2:3], v[2:3], v[40:41], v[18:19] op_sel:[0,0,1] op_sel_hi:[1,0,0]
	v_mov_b32_e32 v21, v3
	v_pk_add_f32 v[2:3], v[16:17], v[20:21]
	v_mov_b32_e32 v16, v39
	v_pk_mul_f32 v[16:17], v[4:5], v[16:17] op_sel_hi:[1,0]
	v_pk_fma_f32 v[18:19], v[4:5], v[38:39], v[16:17] op_sel:[0,0,1] op_sel_hi:[1,1,0] neg_lo:[0,0,1] neg_hi:[0,0,1]
	v_pk_fma_f32 v[4:5], v[4:5], v[38:39], v[16:17] op_sel:[0,0,1] op_sel_hi:[1,0,0]
	v_mov_b32_e32 v4, v37
	v_mov_b32_e32 v19, v5
	s_waitcnt lgkmcnt(2)
	v_pk_mul_f32 v[4:5], v[6:7], v[4:5] op_sel_hi:[1,0]
	v_pk_fma_f32 v[16:17], v[6:7], v[36:37], v[4:5] op_sel:[0,0,1] op_sel_hi:[1,1,0] neg_lo:[0,0,1] neg_hi:[0,0,1]
	v_pk_fma_f32 v[4:5], v[6:7], v[36:37], v[4:5] op_sel:[0,0,1] op_sel_hi:[1,0,0]
	s_waitcnt vmcnt(7)
	v_mov_b32_e32 v4, v45
	v_mov_b32_e32 v17, v5
	v_pk_mul_f32 v[4:5], v[8:9], v[4:5] op_sel_hi:[1,0]
	v_pk_add_f32 v[2:3], v[2:3], v[18:19]
	v_pk_add_f32 v[2:3], v[2:3], v[16:17]
	s_waitcnt vmcnt(0)
	v_pk_fma_f32 v[6:7], v[8:9], v[44:45], v[4:5] op_sel:[0,0,1] op_sel_hi:[1,1,0] neg_lo:[0,0,1] neg_hi:[0,0,1]
	v_pk_fma_f32 v[4:5], v[8:9], v[44:45], v[4:5] op_sel:[0,0,1] op_sel_hi:[1,0,0]
	v_mov_b32_e32 v4, v53
	v_mov_b32_e32 v7, v5
	s_waitcnt lgkmcnt(1)
	v_pk_mul_f32 v[4:5], v[10:11], v[4:5] op_sel_hi:[1,0]
	v_pk_add_f32 v[2:3], v[2:3], v[6:7]
	v_pk_fma_f32 v[6:7], v[10:11], v[52:53], v[4:5] op_sel:[0,0,1] op_sel_hi:[1,1,0] neg_lo:[0,0,1] neg_hi:[0,0,1]
	v_pk_fma_f32 v[4:5], v[10:11], v[52:53], v[4:5] op_sel:[0,0,1] op_sel_hi:[1,0,0]
	v_mov_b32_e32 v4, v49
	v_mov_b32_e32 v7, v5
	v_pk_mul_f32 v[4:5], v[12:13], v[4:5] op_sel_hi:[1,0]
	v_pk_add_f32 v[2:3], v[2:3], v[6:7]
	v_pk_fma_f32 v[6:7], v[12:13], v[48:49], v[4:5] op_sel:[0,0,1] op_sel_hi:[1,1,0] neg_lo:[0,0,1] neg_hi:[0,0,1]
	v_pk_fma_f32 v[4:5], v[12:13], v[48:49], v[4:5] op_sel:[0,0,1] op_sel_hi:[1,0,0]
	v_mov_b32_e32 v4, v47
	v_mov_b32_e32 v7, v5
	s_waitcnt lgkmcnt(0)
	v_pk_mul_f32 v[4:5], v[14:15], v[4:5] op_sel_hi:[1,0]
	v_pk_add_f32 v[2:3], v[2:3], v[6:7]
	v_pk_fma_f32 v[6:7], v[14:15], v[46:47], v[4:5] op_sel:[0,0,1] op_sel_hi:[1,1,0] neg_lo:[0,0,1] neg_hi:[0,0,1]
	v_pk_fma_f32 v[4:5], v[14:15], v[46:47], v[4:5] op_sel:[0,0,1] op_sel_hi:[1,0,0]
	v_mov_b32_e32 v7, v5
	v_pk_add_f32 v[2:3], v[2:3], v[6:7]
	v_pk_add_f32 v[2:3], v[34:35], v[2:3] neg_lo:[0,1] neg_hi:[0,1]
	buffer_store_dword v3, off, s[0:3], 0 offset:268
	buffer_store_dword v2, off, s[0:3], 0 offset:264
	s_and_saveexec_b64 s[4:5], vcc
	s_cbranch_execz .LBB120_291
; %bb.290:
	buffer_load_dword v2, off, s[0:3], 0 offset:256
	buffer_load_dword v3, off, s[0:3], 0 offset:260
	s_waitcnt vmcnt(0)
	ds_write_b64 v165, v[2:3]
	buffer_store_dword v1, off, s[0:3], 0 offset:256
	buffer_store_dword v1, off, s[0:3], 0 offset:260
.LBB120_291:
	s_or_b64 exec, exec, s[4:5]
	s_waitcnt lgkmcnt(0)
	; wave barrier
	s_waitcnt lgkmcnt(0)
	buffer_load_dword v50, off, s[0:3], 0 offset:268
	buffer_load_dword v52, off, s[0:3], 0 offset:276
	;; [unrolled: 1-line block ×34, first 2 shown]
	ds_read2_b64 v[2:5], v1 offset0:91 offset1:92
	ds_read2_b64 v[6:9], v1 offset0:93 offset1:94
	;; [unrolled: 1-line block ×8, first 2 shown]
	buffer_load_dword v37, off, s[0:3], 0 offset:412
	buffer_load_dword v36, off, s[0:3], 0 offset:408
	;; [unrolled: 1-line block ×9, first 2 shown]
	v_cmp_lt_u32_e32 vcc, 31, v0
	s_waitcnt vmcnt(42) lgkmcnt(7)
	v_mul_f32_e32 v42, v2, v50
	s_waitcnt vmcnt(41)
	v_mul_f32_e32 v46, v4, v52
	s_waitcnt vmcnt(40) lgkmcnt(6)
	v_mul_f32_e32 v47, v6, v54
	s_waitcnt vmcnt(39)
	v_mul_f32_e32 v48, v8, v58
	;; [unrolled: 4-line block ×7, first 2 shown]
	s_waitcnt vmcnt(28)
	v_fmac_f32_e32 v42, v3, v69
	s_waitcnt vmcnt(27)
	v_fmac_f32_e32 v46, v5, v70
	v_add_f32_e32 v42, 0, v42
	s_waitcnt vmcnt(26)
	v_fmac_f32_e32 v47, v7, v71
	v_add_f32_e32 v42, v42, v46
	;; [unrolled: 3-line block ×12, first 2 shown]
	v_add_f32_e32 v51, v42, v89
	buffer_load_dword v47, off, s[0:3], 0 offset:436
	buffer_load_dword v46, off, s[0:3], 0 offset:432
	;; [unrolled: 1-line block ×7, first 2 shown]
	v_mul_f32_e32 v3, v3, v50
	v_fma_f32 v2, v2, v69, -v3
	v_mul_f32_e32 v3, v5, v52
	v_add_f32_e32 v2, 0, v2
	v_fma_f32 v3, v4, v70, -v3
	v_add_f32_e32 v2, v2, v3
	v_mul_f32_e32 v3, v7, v54
	v_fma_f32 v3, v6, v71, -v3
	v_add_f32_e32 v2, v2, v3
	v_mul_f32_e32 v3, v9, v58
	;; [unrolled: 3-line block ×12, first 2 shown]
	s_waitcnt vmcnt(22)
	v_fma_f32 v3, v28, v82, -v3
	v_add_f32_e32 v50, v2, v3
	s_waitcnt vmcnt(21) lgkmcnt(0)
	v_mul_f32_e32 v2, v31, v83
	s_waitcnt vmcnt(20)
	v_fma_f32 v52, v30, v84, -v2
	s_waitcnt vmcnt(19)
	v_mul_f32_e32 v2, v33, v85
	s_waitcnt vmcnt(18)
	v_fma_f32 v54, v32, v86, -v2
	ds_read2_b64 v[2:5], v1 offset0:107 offset1:108
	ds_read2_b64 v[6:9], v1 offset0:109 offset1:110
	;; [unrolled: 1-line block ×4, first 2 shown]
	v_fmac_f32_e32 v90, v29, v82
	v_mul_f32_e32 v53, v30, v83
	s_waitcnt vmcnt(11)
	v_mov_b32_e32 v20, v41
	v_add_f32_e32 v51, v51, v90
	v_fmac_f32_e32 v53, v31, v84
	v_mul_f32_e32 v55, v32, v85
	s_waitcnt lgkmcnt(3)
	v_pk_mul_f32 v[20:21], v[2:3], v[20:21] op_sel_hi:[1,0]
	v_fmac_f32_e32 v55, v33, v86
	v_pk_add_f32 v[18:19], v[50:51], v[52:53]
	s_waitcnt vmcnt(10)
	v_pk_fma_f32 v[22:23], v[2:3], v[40:41], v[20:21] op_sel:[0,0,1] op_sel_hi:[1,1,0] neg_lo:[0,0,1] neg_hi:[0,0,1]
	v_pk_fma_f32 v[2:3], v[2:3], v[40:41], v[20:21] op_sel:[0,0,1] op_sel_hi:[1,0,0]
	v_pk_add_f32 v[18:19], v[18:19], v[54:55]
	v_mov_b32_e32 v23, v3
	v_pk_add_f32 v[2:3], v[18:19], v[22:23]
	v_mov_b32_e32 v18, v39
	v_pk_mul_f32 v[18:19], v[4:5], v[18:19] op_sel_hi:[1,0]
	v_pk_fma_f32 v[20:21], v[4:5], v[38:39], v[18:19] op_sel:[0,0,1] op_sel_hi:[1,1,0] neg_lo:[0,0,1] neg_hi:[0,0,1]
	v_pk_fma_f32 v[4:5], v[4:5], v[38:39], v[18:19] op_sel:[0,0,1] op_sel_hi:[1,0,0]
	v_mov_b32_e32 v4, v37
	v_mov_b32_e32 v21, v5
	s_waitcnt lgkmcnt(2)
	v_pk_mul_f32 v[4:5], v[6:7], v[4:5] op_sel_hi:[1,0]
	v_pk_fma_f32 v[18:19], v[6:7], v[36:37], v[4:5] op_sel:[0,0,1] op_sel_hi:[1,1,0] neg_lo:[0,0,1] neg_hi:[0,0,1]
	v_pk_fma_f32 v[4:5], v[6:7], v[36:37], v[4:5] op_sel:[0,0,1] op_sel_hi:[1,0,0]
	s_waitcnt vmcnt(9)
	v_mov_b32_e32 v4, v43
	v_mov_b32_e32 v19, v5
	v_pk_mul_f32 v[4:5], v[8:9], v[4:5] op_sel_hi:[1,0]
	v_pk_add_f32 v[2:3], v[2:3], v[20:21]
	v_pk_add_f32 v[2:3], v[2:3], v[18:19]
	s_waitcnt vmcnt(2)
	v_pk_fma_f32 v[6:7], v[8:9], v[42:43], v[4:5] op_sel:[0,0,1] op_sel_hi:[1,1,0] neg_lo:[0,0,1] neg_hi:[0,0,1]
	v_pk_fma_f32 v[4:5], v[8:9], v[42:43], v[4:5] op_sel:[0,0,1] op_sel_hi:[1,0,0]
	v_mov_b32_e32 v4, v49
	v_mov_b32_e32 v7, v5
	s_waitcnt lgkmcnt(1)
	v_pk_mul_f32 v[4:5], v[10:11], v[4:5] op_sel_hi:[1,0]
	v_pk_add_f32 v[2:3], v[2:3], v[6:7]
	v_pk_fma_f32 v[6:7], v[10:11], v[48:49], v[4:5] op_sel:[0,0,1] op_sel_hi:[1,1,0] neg_lo:[0,0,1] neg_hi:[0,0,1]
	v_pk_fma_f32 v[4:5], v[10:11], v[48:49], v[4:5] op_sel:[0,0,1] op_sel_hi:[1,0,0]
	v_mov_b32_e32 v4, v47
	v_mov_b32_e32 v7, v5
	v_pk_mul_f32 v[4:5], v[12:13], v[4:5] op_sel_hi:[1,0]
	v_pk_add_f32 v[2:3], v[2:3], v[6:7]
	v_pk_fma_f32 v[6:7], v[12:13], v[46:47], v[4:5] op_sel:[0,0,1] op_sel_hi:[1,1,0] neg_lo:[0,0,1] neg_hi:[0,0,1]
	v_pk_fma_f32 v[4:5], v[12:13], v[46:47], v[4:5] op_sel:[0,0,1] op_sel_hi:[1,0,0]
	v_mov_b32_e32 v4, v45
	v_mov_b32_e32 v7, v5
	s_waitcnt lgkmcnt(0)
	v_pk_mul_f32 v[4:5], v[14:15], v[4:5] op_sel_hi:[1,0]
	v_pk_add_f32 v[2:3], v[2:3], v[6:7]
	v_pk_fma_f32 v[6:7], v[14:15], v[44:45], v[4:5] op_sel:[0,0,1] op_sel_hi:[1,1,0] neg_lo:[0,0,1] neg_hi:[0,0,1]
	v_pk_fma_f32 v[4:5], v[14:15], v[44:45], v[4:5] op_sel:[0,0,1] op_sel_hi:[1,0,0]
	s_waitcnt vmcnt(1)
	v_mov_b32_e32 v4, v57
	v_mov_b32_e32 v7, v5
	v_pk_mul_f32 v[4:5], v[16:17], v[4:5] op_sel_hi:[1,0]
	v_pk_add_f32 v[2:3], v[2:3], v[6:7]
	s_waitcnt vmcnt(0)
	v_pk_fma_f32 v[6:7], v[16:17], v[56:57], v[4:5] op_sel:[0,0,1] op_sel_hi:[1,1,0] neg_lo:[0,0,1] neg_hi:[0,0,1]
	v_pk_fma_f32 v[4:5], v[16:17], v[56:57], v[4:5] op_sel:[0,0,1] op_sel_hi:[1,0,0]
	v_mov_b32_e32 v7, v5
	v_pk_add_f32 v[2:3], v[2:3], v[6:7]
	v_pk_add_f32 v[2:3], v[34:35], v[2:3] neg_lo:[0,1] neg_hi:[0,1]
	buffer_store_dword v3, off, s[0:3], 0 offset:260
	buffer_store_dword v2, off, s[0:3], 0 offset:256
	s_and_saveexec_b64 s[4:5], vcc
	s_cbranch_execz .LBB120_293
; %bb.292:
	buffer_load_dword v2, off, s[0:3], 0 offset:248
	buffer_load_dword v3, off, s[0:3], 0 offset:252
	v_mov_b32_e32 v1, 0
	buffer_store_dword v1, off, s[0:3], 0 offset:248
	buffer_store_dword v1, off, s[0:3], 0 offset:252
	s_waitcnt vmcnt(2)
	ds_write_b64 v165, v[2:3]
.LBB120_293:
	s_or_b64 exec, exec, s[4:5]
	s_waitcnt lgkmcnt(0)
	; wave barrier
	s_waitcnt lgkmcnt(0)
	buffer_load_dword v56, off, s[0:3], 0 offset:260
	buffer_load_dword v58, off, s[0:3], 0 offset:268
	;; [unrolled: 1-line block ×36, first 2 shown]
	v_mov_b32_e32 v1, 0
	buffer_load_dword v45, off, s[0:3], 0 offset:404
	buffer_load_dword v44, off, s[0:3], 0 offset:400
	;; [unrolled: 1-line block ×5, first 2 shown]
	ds_read_b128 v[4:7], v1 offset:720
	ds_read_b128 v[8:11], v1 offset:736
	;; [unrolled: 1-line block ×8, first 2 shown]
	v_cmp_lt_u32_e32 vcc, 30, v0
	s_waitcnt vmcnt(40) lgkmcnt(7)
	v_mul_f32_e32 v36, v4, v56
	s_waitcnt vmcnt(39)
	v_mul_f32_e32 v37, v6, v58
	s_waitcnt vmcnt(38) lgkmcnt(6)
	v_mul_f32_e32 v38, v8, v60
	s_waitcnt vmcnt(37)
	v_mul_f32_e32 v39, v10, v66
	;; [unrolled: 4-line block ×7, first 2 shown]
	s_waitcnt vmcnt(26) lgkmcnt(0)
	v_mul_f32_e32 v57, v32, v77
	s_waitcnt vmcnt(25)
	v_fmac_f32_e32 v36, v5, v78
	s_waitcnt vmcnt(24)
	v_fmac_f32_e32 v37, v7, v79
	v_add_f32_e32 v36, 0, v36
	s_waitcnt vmcnt(23)
	v_fmac_f32_e32 v38, v9, v80
	v_add_f32_e32 v36, v36, v37
	;; [unrolled: 3-line block ×13, first 2 shown]
	v_add_f32_e32 v40, v36, v54
	buffer_load_dword v51, off, s[0:3], 0 offset:436
	buffer_load_dword v50, off, s[0:3], 0 offset:432
	;; [unrolled: 1-line block ×7, first 2 shown]
	s_waitcnt vmcnt(18)
	v_fmac_f32_e32 v57, v33, v92
	ds_read_b128 v[36:39], v1 offset:848
	v_add_f32_e32 v57, v40, v57
	ds_read_b128 v[40:43], v1 offset:864
	buffer_load_dword v63, off, s[0:3], 0 offset:452
	buffer_load_dword v62, off, s[0:3], 0 offset:448
	;; [unrolled: 1-line block ×4, first 2 shown]
	v_mul_f32_e32 v5, v5, v56
	v_fma_f32 v4, v4, v78, -v5
	v_mul_f32_e32 v5, v7, v58
	v_add_f32_e32 v4, 0, v4
	v_fma_f32 v5, v6, v79, -v5
	v_add_f32_e32 v4, v4, v5
	v_mul_f32_e32 v5, v9, v60
	v_fma_f32 v5, v8, v80, -v5
	v_add_f32_e32 v4, v4, v5
	v_mul_f32_e32 v5, v11, v66
	;; [unrolled: 3-line block ×13, first 2 shown]
	v_fma_f32 v5, v32, v92, -v5
	s_waitcnt vmcnt(13)
	v_mov_b32_e32 v16, v47
	v_mul_f32_e32 v59, v34, v93
	v_add_f32_e32 v56, v4, v5
	v_mul_f32_e32 v4, v35, v93
	s_waitcnt lgkmcnt(1)
	v_pk_mul_f32 v[16:17], v[38:39], v[16:17] op_sel_hi:[1,0]
	v_fmac_f32_e32 v59, v35, v94
	v_mul_f32_e32 v61, v36, v95
	v_fma_f32 v58, v34, v94, -v4
	v_mul_f32_e32 v4, v37, v95
	s_waitcnt vmcnt(12)
	v_pk_fma_f32 v[18:19], v[38:39], v[46:47], v[16:17] op_sel:[0,0,1] op_sel_hi:[1,1,0] neg_lo:[0,0,1] neg_hi:[0,0,1]
	v_pk_fma_f32 v[16:17], v[38:39], v[46:47], v[16:17] op_sel:[0,0,1] op_sel_hi:[1,0,0]
	v_fmac_f32_e32 v61, v37, v96
	v_fma_f32 v60, v36, v96, -v4
	v_pk_add_f32 v[14:15], v[56:57], v[58:59]
	v_mov_b32_e32 v16, v45
	v_pk_add_f32 v[14:15], v[14:15], v[60:61]
	v_mov_b32_e32 v19, v17
	s_waitcnt lgkmcnt(0)
	v_pk_mul_f32 v[16:17], v[40:41], v[16:17] op_sel_hi:[1,0]
	v_pk_add_f32 v[14:15], v[14:15], v[18:19]
	v_pk_fma_f32 v[18:19], v[40:41], v[44:45], v[16:17] op_sel:[0,0,1] op_sel_hi:[1,1,0] neg_lo:[0,0,1] neg_hi:[0,0,1]
	v_pk_fma_f32 v[16:17], v[40:41], v[44:45], v[16:17] op_sel:[0,0,1] op_sel_hi:[1,0,0]
	s_waitcnt vmcnt(11)
	v_mov_b32_e32 v16, v49
	ds_read_b128 v[4:7], v1 offset:880
	ds_read_b128 v[8:11], v1 offset:896
	ds_read_b64 v[12:13], v1 offset:912
	v_mov_b32_e32 v19, v17
	v_pk_mul_f32 v[16:17], v[42:43], v[16:17] op_sel_hi:[1,0]
	v_pk_add_f32 v[14:15], v[14:15], v[18:19]
	s_waitcnt vmcnt(4)
	v_pk_fma_f32 v[18:19], v[42:43], v[48:49], v[16:17] op_sel:[0,0,1] op_sel_hi:[1,1,0] neg_lo:[0,0,1] neg_hi:[0,0,1]
	v_pk_fma_f32 v[16:17], v[42:43], v[48:49], v[16:17] op_sel:[0,0,1] op_sel_hi:[1,0,0]
	v_mov_b32_e32 v16, v55
	v_mov_b32_e32 v19, v17
	s_waitcnt lgkmcnt(2)
	v_pk_mul_f32 v[16:17], v[4:5], v[16:17] op_sel_hi:[1,0]
	v_pk_add_f32 v[14:15], v[14:15], v[18:19]
	v_pk_fma_f32 v[18:19], v[4:5], v[54:55], v[16:17] op_sel:[0,0,1] op_sel_hi:[1,1,0] neg_lo:[0,0,1] neg_hi:[0,0,1]
	v_pk_fma_f32 v[4:5], v[4:5], v[54:55], v[16:17] op_sel:[0,0,1] op_sel_hi:[1,0,0]
	v_mov_b32_e32 v19, v5
	v_pk_add_f32 v[4:5], v[14:15], v[18:19]
	v_mov_b32_e32 v14, v53
	v_pk_mul_f32 v[14:15], v[6:7], v[14:15] op_sel_hi:[1,0]
	v_pk_fma_f32 v[16:17], v[6:7], v[52:53], v[14:15] op_sel:[0,0,1] op_sel_hi:[1,1,0] neg_lo:[0,0,1] neg_hi:[0,0,1]
	v_pk_fma_f32 v[6:7], v[6:7], v[52:53], v[14:15] op_sel:[0,0,1] op_sel_hi:[1,0,0]
	v_mov_b32_e32 v6, v51
	v_mov_b32_e32 v17, v7
	s_waitcnt lgkmcnt(1)
	v_pk_mul_f32 v[6:7], v[8:9], v[6:7] op_sel_hi:[1,0]
	v_pk_fma_f32 v[14:15], v[8:9], v[50:51], v[6:7] op_sel:[0,0,1] op_sel_hi:[1,1,0] neg_lo:[0,0,1] neg_hi:[0,0,1]
	v_pk_fma_f32 v[6:7], v[8:9], v[50:51], v[6:7] op_sel:[0,0,1] op_sel_hi:[1,0,0]
	s_waitcnt vmcnt(1)
	v_mov_b32_e32 v6, v65
	v_mov_b32_e32 v15, v7
	v_pk_mul_f32 v[6:7], v[10:11], v[6:7] op_sel_hi:[1,0]
	s_waitcnt vmcnt(0)
	v_pk_fma_f32 v[8:9], v[10:11], v[64:65], v[6:7] op_sel:[0,0,1] op_sel_hi:[1,1,0] neg_lo:[0,0,1] neg_hi:[0,0,1]
	v_pk_fma_f32 v[6:7], v[10:11], v[64:65], v[6:7] op_sel:[0,0,1] op_sel_hi:[1,0,0]
	v_pk_add_f32 v[4:5], v[4:5], v[16:17]
	v_mov_b32_e32 v6, v63
	v_pk_add_f32 v[4:5], v[4:5], v[14:15]
	v_mov_b32_e32 v9, v7
	s_waitcnt lgkmcnt(0)
	v_pk_mul_f32 v[6:7], v[12:13], v[6:7] op_sel_hi:[1,0]
	v_pk_add_f32 v[4:5], v[4:5], v[8:9]
	v_pk_fma_f32 v[8:9], v[12:13], v[62:63], v[6:7] op_sel:[0,0,1] op_sel_hi:[1,1,0] neg_lo:[0,0,1] neg_hi:[0,0,1]
	v_pk_fma_f32 v[6:7], v[12:13], v[62:63], v[6:7] op_sel:[0,0,1] op_sel_hi:[1,0,0]
	v_mov_b32_e32 v9, v7
	v_pk_add_f32 v[4:5], v[4:5], v[8:9]
	v_pk_add_f32 v[2:3], v[2:3], v[4:5] neg_lo:[0,1] neg_hi:[0,1]
	buffer_store_dword v3, off, s[0:3], 0 offset:252
	buffer_store_dword v2, off, s[0:3], 0 offset:248
	s_and_saveexec_b64 s[4:5], vcc
	s_cbranch_execz .LBB120_295
; %bb.294:
	buffer_load_dword v2, off, s[0:3], 0 offset:240
	buffer_load_dword v3, off, s[0:3], 0 offset:244
	s_waitcnt vmcnt(0)
	ds_write_b64 v165, v[2:3]
	buffer_store_dword v1, off, s[0:3], 0 offset:240
	buffer_store_dword v1, off, s[0:3], 0 offset:244
.LBB120_295:
	s_or_b64 exec, exec, s[4:5]
	s_waitcnt lgkmcnt(0)
	; wave barrier
	s_waitcnt lgkmcnt(0)
	buffer_load_dword v54, off, s[0:3], 0 offset:252
	buffer_load_dword v56, off, s[0:3], 0 offset:260
	;; [unrolled: 1-line block ×38, first 2 shown]
	ds_read2_b64 v[2:5], v1 offset0:89 offset1:90
	ds_read2_b64 v[6:9], v1 offset0:91 offset1:92
	;; [unrolled: 1-line block ×8, first 2 shown]
	buffer_load_dword v45, off, s[0:3], 0 offset:396
	buffer_load_dword v44, off, s[0:3], 0 offset:392
	;; [unrolled: 1-line block ×4, first 2 shown]
	v_cmp_lt_u32_e32 vcc, 29, v0
	s_waitcnt vmcnt(41) lgkmcnt(7)
	v_mul_f32_e32 v34, v2, v54
	s_waitcnt vmcnt(40)
	v_mul_f32_e32 v35, v4, v56
	s_waitcnt vmcnt(39) lgkmcnt(6)
	v_mul_f32_e32 v36, v6, v58
	s_waitcnt vmcnt(38)
	v_mul_f32_e32 v37, v8, v66
	;; [unrolled: 4-line block ×7, first 2 shown]
	s_waitcnt vmcnt(27) lgkmcnt(0)
	v_mul_f32_e32 v55, v30, v77
	s_waitcnt vmcnt(26)
	v_fmac_f32_e32 v34, v3, v78
	s_waitcnt vmcnt(25)
	v_fmac_f32_e32 v35, v5, v79
	v_add_f32_e32 v34, 0, v34
	s_waitcnt vmcnt(24)
	v_fmac_f32_e32 v36, v7, v80
	v_add_f32_e32 v34, v34, v35
	s_waitcnt vmcnt(23)
	v_fmac_f32_e32 v37, v9, v81
	v_add_f32_e32 v34, v34, v36
	s_waitcnt vmcnt(22)
	v_fmac_f32_e32 v38, v11, v82
	v_add_f32_e32 v34, v34, v37
	s_waitcnt vmcnt(21)
	v_fmac_f32_e32 v39, v13, v83
	v_add_f32_e32 v34, v34, v38
	s_waitcnt vmcnt(20)
	v_fmac_f32_e32 v40, v15, v84
	v_add_f32_e32 v34, v34, v39
	s_waitcnt vmcnt(19)
	v_fmac_f32_e32 v41, v17, v85
	v_add_f32_e32 v34, v34, v40
	s_waitcnt vmcnt(18)
	v_fmac_f32_e32 v48, v19, v86
	v_add_f32_e32 v34, v34, v41
	s_waitcnt vmcnt(17)
	v_fmac_f32_e32 v49, v21, v87
	v_add_f32_e32 v34, v34, v48
	s_waitcnt vmcnt(16)
	v_fmac_f32_e32 v50, v23, v88
	v_add_f32_e32 v34, v34, v49
	s_waitcnt vmcnt(15)
	v_fmac_f32_e32 v51, v25, v89
	v_add_f32_e32 v34, v34, v50
	s_waitcnt vmcnt(14)
	v_fmac_f32_e32 v52, v27, v90
	v_add_f32_e32 v34, v34, v51
	s_waitcnt vmcnt(13)
	v_fmac_f32_e32 v53, v29, v91
	v_add_f32_e32 v34, v34, v52
	v_add_f32_e32 v34, v34, v53
	buffer_load_dword v49, off, s[0:3], 0 offset:420
	buffer_load_dword v48, off, s[0:3], 0 offset:416
	;; [unrolled: 1-line block ×6, first 2 shown]
	s_waitcnt vmcnt(18)
	v_fmac_f32_e32 v55, v31, v92
	s_waitcnt vmcnt(17)
	v_mul_f32_e32 v39, v32, v93
	v_add_f32_e32 v38, v34, v55
	s_waitcnt vmcnt(16)
	v_fmac_f32_e32 v39, v33, v94
	ds_read2_b64 v[34:37], v1 offset0:105 offset1:106
	v_add_f32_e32 v55, v38, v39
	ds_read2_b64 v[38:41], v1 offset0:107 offset1:108
	buffer_load_dword v61, off, s[0:3], 0 offset:452
	buffer_load_dword v60, off, s[0:3], 0 offset:448
	;; [unrolled: 1-line block ×6, first 2 shown]
	v_mul_f32_e32 v3, v3, v54
	v_fma_f32 v2, v2, v78, -v3
	v_mul_f32_e32 v3, v5, v56
	v_add_f32_e32 v2, 0, v2
	v_fma_f32 v3, v4, v79, -v3
	v_add_f32_e32 v2, v2, v3
	v_mul_f32_e32 v3, v7, v58
	v_fma_f32 v3, v6, v80, -v3
	v_add_f32_e32 v2, v2, v3
	v_mul_f32_e32 v3, v9, v66
	;; [unrolled: 3-line block ×14, first 2 shown]
	v_fma_f32 v3, v32, v94, -v3
	s_waitcnt vmcnt(15)
	v_mov_b32_e32 v16, v45
	s_waitcnt lgkmcnt(1)
	v_mul_f32_e32 v57, v34, v95
	v_add_f32_e32 v54, v2, v3
	v_mul_f32_e32 v2, v35, v95
	s_waitcnt lgkmcnt(0)
	v_pk_mul_f32 v[16:17], v[38:39], v[16:17] op_sel_hi:[1,0]
	v_fmac_f32_e32 v57, v35, v96
	v_mul_f32_e32 v59, v36, v97
	v_fma_f32 v56, v34, v96, -v2
	v_mul_f32_e32 v2, v37, v97
	s_waitcnt vmcnt(14)
	v_pk_fma_f32 v[18:19], v[38:39], v[44:45], v[16:17] op_sel:[0,0,1] op_sel_hi:[1,1,0] neg_lo:[0,0,1] neg_hi:[0,0,1]
	v_pk_fma_f32 v[16:17], v[38:39], v[44:45], v[16:17] op_sel:[0,0,1] op_sel_hi:[1,0,0]
	v_fmac_f32_e32 v59, v37, v98
	v_fma_f32 v58, v36, v98, -v2
	v_pk_add_f32 v[14:15], v[54:55], v[56:57]
	ds_read2_b64 v[2:5], v1 offset0:109 offset1:110
	ds_read2_b64 v[6:9], v1 offset0:111 offset1:112
	;; [unrolled: 1-line block ×3, first 2 shown]
	v_pk_add_f32 v[14:15], v[14:15], v[58:59]
	v_mov_b32_e32 v19, v17
	v_pk_add_f32 v[14:15], v[14:15], v[18:19]
	s_waitcnt vmcnt(7)
	v_mov_b32_e32 v16, v53
	v_pk_mul_f32 v[16:17], v[40:41], v[16:17] op_sel_hi:[1,0]
	s_waitcnt vmcnt(6)
	v_pk_fma_f32 v[18:19], v[40:41], v[52:53], v[16:17] op_sel:[0,0,1] op_sel_hi:[1,1,0] neg_lo:[0,0,1] neg_hi:[0,0,1]
	v_pk_fma_f32 v[16:17], v[40:41], v[52:53], v[16:17] op_sel:[0,0,1] op_sel_hi:[1,0,0]
	v_mov_b32_e32 v16, v51
	v_mov_b32_e32 v19, v17
	s_waitcnt lgkmcnt(2)
	v_pk_mul_f32 v[16:17], v[2:3], v[16:17] op_sel_hi:[1,0]
	v_pk_add_f32 v[14:15], v[14:15], v[18:19]
	v_pk_fma_f32 v[18:19], v[2:3], v[50:51], v[16:17] op_sel:[0,0,1] op_sel_hi:[1,1,0] neg_lo:[0,0,1] neg_hi:[0,0,1]
	v_pk_fma_f32 v[2:3], v[2:3], v[50:51], v[16:17] op_sel:[0,0,1] op_sel_hi:[1,0,0]
	v_mov_b32_e32 v19, v3
	v_pk_add_f32 v[2:3], v[14:15], v[18:19]
	v_mov_b32_e32 v14, v49
	v_pk_mul_f32 v[14:15], v[4:5], v[14:15] op_sel_hi:[1,0]
	v_pk_fma_f32 v[16:17], v[4:5], v[48:49], v[14:15] op_sel:[0,0,1] op_sel_hi:[1,1,0] neg_lo:[0,0,1] neg_hi:[0,0,1]
	v_pk_fma_f32 v[4:5], v[4:5], v[48:49], v[14:15] op_sel:[0,0,1] op_sel_hi:[1,0,0]
	v_mov_b32_e32 v4, v47
	v_mov_b32_e32 v17, v5
	s_waitcnt lgkmcnt(1)
	v_pk_mul_f32 v[4:5], v[6:7], v[4:5] op_sel_hi:[1,0]
	v_pk_fma_f32 v[14:15], v[6:7], v[46:47], v[4:5] op_sel:[0,0,1] op_sel_hi:[1,1,0] neg_lo:[0,0,1] neg_hi:[0,0,1]
	v_pk_fma_f32 v[4:5], v[6:7], v[46:47], v[4:5] op_sel:[0,0,1] op_sel_hi:[1,0,0]
	s_waitcnt vmcnt(1)
	v_mov_b32_e32 v4, v65
	v_mov_b32_e32 v15, v5
	v_pk_mul_f32 v[4:5], v[8:9], v[4:5] op_sel_hi:[1,0]
	s_waitcnt vmcnt(0)
	v_pk_fma_f32 v[6:7], v[8:9], v[64:65], v[4:5] op_sel:[0,0,1] op_sel_hi:[1,1,0] neg_lo:[0,0,1] neg_hi:[0,0,1]
	v_pk_fma_f32 v[4:5], v[8:9], v[64:65], v[4:5] op_sel:[0,0,1] op_sel_hi:[1,0,0]
	v_pk_add_f32 v[2:3], v[2:3], v[16:17]
	v_mov_b32_e32 v4, v63
	v_pk_add_f32 v[2:3], v[2:3], v[14:15]
	v_mov_b32_e32 v7, v5
	s_waitcnt lgkmcnt(0)
	v_pk_mul_f32 v[4:5], v[10:11], v[4:5] op_sel_hi:[1,0]
	v_pk_add_f32 v[2:3], v[2:3], v[6:7]
	v_pk_fma_f32 v[6:7], v[10:11], v[62:63], v[4:5] op_sel:[0,0,1] op_sel_hi:[1,1,0] neg_lo:[0,0,1] neg_hi:[0,0,1]
	v_pk_fma_f32 v[4:5], v[10:11], v[62:63], v[4:5] op_sel:[0,0,1] op_sel_hi:[1,0,0]
	v_mov_b32_e32 v4, v61
	v_mov_b32_e32 v7, v5
	v_pk_mul_f32 v[4:5], v[12:13], v[4:5] op_sel_hi:[1,0]
	v_pk_add_f32 v[2:3], v[2:3], v[6:7]
	v_pk_fma_f32 v[6:7], v[12:13], v[60:61], v[4:5] op_sel:[0,0,1] op_sel_hi:[1,1,0] neg_lo:[0,0,1] neg_hi:[0,0,1]
	v_pk_fma_f32 v[4:5], v[12:13], v[60:61], v[4:5] op_sel:[0,0,1] op_sel_hi:[1,0,0]
	v_mov_b32_e32 v7, v5
	v_pk_add_f32 v[2:3], v[2:3], v[6:7]
	v_pk_add_f32 v[2:3], v[42:43], v[2:3] neg_lo:[0,1] neg_hi:[0,1]
	buffer_store_dword v3, off, s[0:3], 0 offset:244
	buffer_store_dword v2, off, s[0:3], 0 offset:240
	s_and_saveexec_b64 s[4:5], vcc
	s_cbranch_execz .LBB120_297
; %bb.296:
	buffer_load_dword v2, off, s[0:3], 0 offset:232
	buffer_load_dword v3, off, s[0:3], 0 offset:236
	v_mov_b32_e32 v1, 0
	buffer_store_dword v1, off, s[0:3], 0 offset:232
	buffer_store_dword v1, off, s[0:3], 0 offset:236
	s_waitcnt vmcnt(2)
	ds_write_b64 v165, v[2:3]
.LBB120_297:
	s_or_b64 exec, exec, s[4:5]
	s_waitcnt lgkmcnt(0)
	; wave barrier
	s_waitcnt lgkmcnt(0)
	buffer_load_dword v52, off, s[0:3], 0 offset:244
	buffer_load_dword v54, off, s[0:3], 0 offset:252
	;; [unrolled: 1-line block ×40, first 2 shown]
	v_mov_b32_e32 v1, 0
	ds_read_b128 v[4:7], v1 offset:704
	ds_read_b128 v[8:11], v1 offset:720
	;; [unrolled: 1-line block ×8, first 2 shown]
	v_cmp_lt_u32_e32 vcc, 28, v0
	s_waitcnt vmcnt(39) lgkmcnt(7)
	v_mul_f32_e32 v36, v4, v52
	s_waitcnt vmcnt(38)
	v_mul_f32_e32 v37, v6, v54
	s_waitcnt vmcnt(37) lgkmcnt(6)
	v_mul_f32_e32 v38, v8, v56
	s_waitcnt vmcnt(36)
	v_mul_f32_e32 v39, v10, v66
	;; [unrolled: 4-line block ×8, first 2 shown]
	s_waitcnt vmcnt(23)
	v_fmac_f32_e32 v36, v5, v79
	s_waitcnt vmcnt(22)
	v_fmac_f32_e32 v37, v7, v80
	v_add_f32_e32 v36, 0, v36
	s_waitcnt vmcnt(21)
	v_fmac_f32_e32 v38, v9, v81
	v_add_f32_e32 v36, v36, v37
	;; [unrolled: 3-line block ×14, first 2 shown]
	v_add_f32_e32 v36, v36, v50
	s_waitcnt vmcnt(8)
	v_fmac_f32_e32 v51, v35, v94
	v_add_f32_e32 v53, v36, v51
	ds_read_b128 v[36:39], v1 offset:832
	buffer_load_dword v45, off, s[0:3], 0 offset:396
	buffer_load_dword v47, off, s[0:3], 0 offset:420
	;; [unrolled: 1-line block ×8, first 2 shown]
	ds_read_b128 v[40:43], v1 offset:848
	buffer_load_dword v59, off, s[0:3], 0 offset:452
	buffer_load_dword v58, off, s[0:3], 0 offset:448
	;; [unrolled: 1-line block ×8, first 2 shown]
	v_mul_f32_e32 v5, v5, v52
	v_fma_f32 v4, v4, v79, -v5
	v_mul_f32_e32 v5, v7, v54
	v_add_f32_e32 v4, 0, v4
	v_fma_f32 v5, v6, v80, -v5
	v_add_f32_e32 v4, v4, v5
	v_mul_f32_e32 v5, v9, v56
	v_fma_f32 v5, v8, v81, -v5
	v_add_f32_e32 v4, v4, v5
	v_mul_f32_e32 v5, v11, v66
	;; [unrolled: 3-line block ×14, first 2 shown]
	v_fma_f32 v5, v34, v94, -v5
	v_add_f32_e32 v4, v4, v5
	s_waitcnt vmcnt(23) lgkmcnt(1)
	v_mul_f32_e32 v5, v37, v95
	v_mul_f32_e32 v55, v36, v95
	s_waitcnt vmcnt(22)
	v_fma_f32 v5, v36, v96, -v5
	v_fmac_f32_e32 v55, v37, v96
	v_add_f32_e32 v52, v4, v5
	s_waitcnt vmcnt(21)
	v_mul_f32_e32 v4, v39, v97
	v_add_f32_e32 v53, v53, v55
	v_mul_f32_e32 v55, v38, v97
	s_waitcnt vmcnt(20)
	v_fma_f32 v54, v38, v98, -v4
	s_waitcnt vmcnt(19) lgkmcnt(0)
	v_mul_f32_e32 v4, v41, v99
	v_fmac_f32_e32 v55, v39, v98
	v_mul_f32_e32 v57, v40, v99
	s_waitcnt vmcnt(18)
	v_fma_f32 v56, v40, v100, -v4
	ds_read_b128 v[4:7], v1 offset:864
	ds_read_b128 v[8:11], v1 offset:880
	;; [unrolled: 1-line block ×3, first 2 shown]
	ds_read_b64 v[16:17], v1 offset:912
	v_fmac_f32_e32 v57, v41, v100
	v_pk_add_f32 v[18:19], v[52:53], v[54:55]
	v_pk_add_f32 v[18:19], v[18:19], v[56:57]
	s_waitcnt vmcnt(15)
	v_mov_b32_e32 v20, v45
	v_pk_mul_f32 v[20:21], v[42:43], v[20:21] op_sel_hi:[1,0]
	s_waitcnt vmcnt(8)
	v_pk_fma_f32 v[22:23], v[42:43], v[44:45], v[20:21] op_sel:[0,0,1] op_sel_hi:[1,1,0] neg_lo:[0,0,1] neg_hi:[0,0,1]
	v_pk_fma_f32 v[20:21], v[42:43], v[44:45], v[20:21] op_sel:[0,0,1] op_sel_hi:[1,0,0]
	v_mov_b32_e32 v20, v51
	v_mov_b32_e32 v23, v21
	s_waitcnt lgkmcnt(3)
	v_pk_mul_f32 v[20:21], v[4:5], v[20:21] op_sel_hi:[1,0]
	v_pk_add_f32 v[18:19], v[18:19], v[22:23]
	v_pk_fma_f32 v[22:23], v[4:5], v[50:51], v[20:21] op_sel:[0,0,1] op_sel_hi:[1,1,0] neg_lo:[0,0,1] neg_hi:[0,0,1]
	v_pk_fma_f32 v[4:5], v[4:5], v[50:51], v[20:21] op_sel:[0,0,1] op_sel_hi:[1,0,0]
	v_mov_b32_e32 v23, v5
	v_pk_add_f32 v[4:5], v[18:19], v[22:23]
	v_mov_b32_e32 v18, v49
	v_pk_mul_f32 v[18:19], v[6:7], v[18:19] op_sel_hi:[1,0]
	v_pk_fma_f32 v[20:21], v[6:7], v[48:49], v[18:19] op_sel:[0,0,1] op_sel_hi:[1,1,0] neg_lo:[0,0,1] neg_hi:[0,0,1]
	v_pk_fma_f32 v[6:7], v[6:7], v[48:49], v[18:19] op_sel:[0,0,1] op_sel_hi:[1,0,0]
	v_mov_b32_e32 v6, v47
	v_mov_b32_e32 v21, v7
	s_waitcnt lgkmcnt(2)
	v_pk_mul_f32 v[6:7], v[8:9], v[6:7] op_sel_hi:[1,0]
	v_pk_fma_f32 v[18:19], v[8:9], v[46:47], v[6:7] op_sel:[0,0,1] op_sel_hi:[1,1,0] neg_lo:[0,0,1] neg_hi:[0,0,1]
	v_pk_fma_f32 v[6:7], v[8:9], v[46:47], v[6:7] op_sel:[0,0,1] op_sel_hi:[1,0,0]
	s_waitcnt vmcnt(1)
	v_mov_b32_e32 v6, v65
	v_mov_b32_e32 v19, v7
	v_pk_mul_f32 v[6:7], v[10:11], v[6:7] op_sel_hi:[1,0]
	s_waitcnt vmcnt(0)
	v_pk_fma_f32 v[8:9], v[10:11], v[64:65], v[6:7] op_sel:[0,0,1] op_sel_hi:[1,1,0] neg_lo:[0,0,1] neg_hi:[0,0,1]
	v_pk_fma_f32 v[6:7], v[10:11], v[64:65], v[6:7] op_sel:[0,0,1] op_sel_hi:[1,0,0]
	v_pk_add_f32 v[4:5], v[4:5], v[20:21]
	v_mov_b32_e32 v6, v63
	v_pk_add_f32 v[4:5], v[4:5], v[18:19]
	v_mov_b32_e32 v9, v7
	s_waitcnt lgkmcnt(1)
	v_pk_mul_f32 v[6:7], v[12:13], v[6:7] op_sel_hi:[1,0]
	v_pk_add_f32 v[4:5], v[4:5], v[8:9]
	v_pk_fma_f32 v[8:9], v[12:13], v[62:63], v[6:7] op_sel:[0,0,1] op_sel_hi:[1,1,0] neg_lo:[0,0,1] neg_hi:[0,0,1]
	v_pk_fma_f32 v[6:7], v[12:13], v[62:63], v[6:7] op_sel:[0,0,1] op_sel_hi:[1,0,0]
	v_mov_b32_e32 v6, v61
	v_mov_b32_e32 v9, v7
	v_pk_mul_f32 v[6:7], v[14:15], v[6:7] op_sel_hi:[1,0]
	v_pk_add_f32 v[4:5], v[4:5], v[8:9]
	v_pk_fma_f32 v[8:9], v[14:15], v[60:61], v[6:7] op_sel:[0,0,1] op_sel_hi:[1,1,0] neg_lo:[0,0,1] neg_hi:[0,0,1]
	v_pk_fma_f32 v[6:7], v[14:15], v[60:61], v[6:7] op_sel:[0,0,1] op_sel_hi:[1,0,0]
	v_mov_b32_e32 v6, v59
	v_mov_b32_e32 v9, v7
	s_waitcnt lgkmcnt(0)
	v_pk_mul_f32 v[6:7], v[16:17], v[6:7] op_sel_hi:[1,0]
	v_pk_add_f32 v[4:5], v[4:5], v[8:9]
	v_pk_fma_f32 v[8:9], v[16:17], v[58:59], v[6:7] op_sel:[0,0,1] op_sel_hi:[1,1,0] neg_lo:[0,0,1] neg_hi:[0,0,1]
	v_pk_fma_f32 v[6:7], v[16:17], v[58:59], v[6:7] op_sel:[0,0,1] op_sel_hi:[1,0,0]
	v_mov_b32_e32 v9, v7
	v_pk_add_f32 v[4:5], v[4:5], v[8:9]
	v_pk_add_f32 v[2:3], v[2:3], v[4:5] neg_lo:[0,1] neg_hi:[0,1]
	buffer_store_dword v3, off, s[0:3], 0 offset:236
	buffer_store_dword v2, off, s[0:3], 0 offset:232
	s_and_saveexec_b64 s[4:5], vcc
	s_cbranch_execz .LBB120_299
; %bb.298:
	buffer_load_dword v2, off, s[0:3], 0 offset:224
	buffer_load_dword v3, off, s[0:3], 0 offset:228
	s_waitcnt vmcnt(0)
	ds_write_b64 v165, v[2:3]
	buffer_store_dword v1, off, s[0:3], 0 offset:224
	buffer_store_dword v1, off, s[0:3], 0 offset:228
.LBB120_299:
	s_or_b64 exec, exec, s[4:5]
	s_waitcnt lgkmcnt(0)
	; wave barrier
	s_waitcnt lgkmcnt(0)
	buffer_load_dword v44, off, s[0:3], 0 offset:236
	buffer_load_dword v46, off, s[0:3], 0 offset:244
	;; [unrolled: 1-line block ×42, first 2 shown]
	ds_read2_b64 v[4:7], v1 offset0:87 offset1:88
	ds_read2_b64 v[8:11], v1 offset0:89 offset1:90
	;; [unrolled: 1-line block ×8, first 2 shown]
	v_cmp_lt_u32_e32 vcc, 27, v0
	s_waitcnt vmcnt(41) lgkmcnt(7)
	v_mul_f32_e32 v36, v4, v44
	s_waitcnt vmcnt(40)
	v_mul_f32_e32 v37, v6, v46
	s_waitcnt vmcnt(39) lgkmcnt(6)
	v_mul_f32_e32 v38, v8, v54
	s_waitcnt vmcnt(38)
	v_mul_f32_e32 v39, v10, v66
	;; [unrolled: 4-line block ×7, first 2 shown]
	s_waitcnt vmcnt(27) lgkmcnt(0)
	v_mul_f32_e32 v52, v32, v77
	s_waitcnt vmcnt(26)
	v_fmac_f32_e32 v36, v5, v78
	s_waitcnt vmcnt(25)
	v_fmac_f32_e32 v37, v7, v79
	v_add_f32_e32 v36, 0, v36
	s_waitcnt vmcnt(24)
	v_fmac_f32_e32 v38, v9, v80
	v_add_f32_e32 v36, v36, v37
	;; [unrolled: 3-line block ×14, first 2 shown]
	s_waitcnt vmcnt(11)
	v_mul_f32_e32 v41, v34, v93
	v_add_f32_e32 v40, v36, v52
	s_waitcnt vmcnt(10)
	v_fmac_f32_e32 v41, v35, v94
	ds_read2_b64 v[36:39], v1 offset0:103 offset1:104
	v_add_f32_e32 v45, v40, v41
	ds_read2_b64 v[40:43], v1 offset0:105 offset1:106
	buffer_load_dword v49, off, s[0:3], 0 offset:396
	buffer_load_dword v51, off, s[0:3], 0 offset:412
	;; [unrolled: 1-line block ×16, first 2 shown]
	v_mul_f32_e32 v5, v5, v44
	v_fma_f32 v4, v4, v78, -v5
	v_mul_f32_e32 v5, v7, v46
	v_add_f32_e32 v4, 0, v4
	v_fma_f32 v5, v6, v79, -v5
	v_add_f32_e32 v4, v4, v5
	v_mul_f32_e32 v5, v9, v54
	v_fma_f32 v5, v8, v80, -v5
	v_add_f32_e32 v4, v4, v5
	v_mul_f32_e32 v5, v11, v66
	;; [unrolled: 3-line block ×14, first 2 shown]
	v_fma_f32 v5, v34, v94, -v5
	v_add_f32_e32 v4, v4, v5
	s_waitcnt vmcnt(25) lgkmcnt(1)
	v_mul_f32_e32 v5, v37, v95
	s_waitcnt vmcnt(24)
	v_fma_f32 v5, v36, v96, -v5
	v_add_f32_e32 v4, v4, v5
	s_waitcnt vmcnt(23)
	v_mul_f32_e32 v5, v39, v97
	v_mul_f32_e32 v47, v36, v95
	s_waitcnt vmcnt(22)
	v_fma_f32 v5, v38, v98, -v5
	v_fmac_f32_e32 v47, v37, v96
	v_add_f32_e32 v44, v4, v5
	s_waitcnt vmcnt(21) lgkmcnt(0)
	v_mul_f32_e32 v4, v41, v99
	v_add_f32_e32 v45, v45, v47
	v_mul_f32_e32 v47, v38, v97
	s_waitcnt vmcnt(20)
	v_fma_f32 v46, v40, v100, -v4
	s_waitcnt vmcnt(19)
	v_mul_f32_e32 v4, v43, v101
	v_fmac_f32_e32 v47, v39, v98
	s_waitcnt vmcnt(18)
	v_fma_f32 v54, v42, v102, -v4
	ds_read2_b64 v[4:7], v1 offset0:107 offset1:108
	ds_read2_b64 v[8:11], v1 offset0:109 offset1:110
	;; [unrolled: 1-line block ×4, first 2 shown]
	v_add_f32_e32 v45, v45, v47
	v_mul_f32_e32 v47, v40, v99
	v_fmac_f32_e32 v47, v41, v100
	v_mul_f32_e32 v55, v42, v101
	v_fmac_f32_e32 v55, v43, v102
	v_pk_add_f32 v[20:21], v[44:45], v[46:47]
	v_pk_add_f32 v[20:21], v[20:21], v[54:55]
	s_waitcnt vmcnt(15)
	v_mov_b32_e32 v22, v49
	s_waitcnt lgkmcnt(3)
	v_pk_mul_f32 v[22:23], v[4:5], v[22:23] op_sel_hi:[1,0]
	s_waitcnt vmcnt(10)
	v_pk_fma_f32 v[24:25], v[4:5], v[48:49], v[22:23] op_sel:[0,0,1] op_sel_hi:[1,1,0] neg_lo:[0,0,1] neg_hi:[0,0,1]
	v_pk_fma_f32 v[4:5], v[4:5], v[48:49], v[22:23] op_sel:[0,0,1] op_sel_hi:[1,0,0]
	v_mov_b32_e32 v25, v5
	v_pk_add_f32 v[4:5], v[20:21], v[24:25]
	v_mov_b32_e32 v20, v53
	v_pk_mul_f32 v[20:21], v[6:7], v[20:21] op_sel_hi:[1,0]
	v_pk_fma_f32 v[22:23], v[6:7], v[52:53], v[20:21] op_sel:[0,0,1] op_sel_hi:[1,1,0] neg_lo:[0,0,1] neg_hi:[0,0,1]
	v_pk_fma_f32 v[6:7], v[6:7], v[52:53], v[20:21] op_sel:[0,0,1] op_sel_hi:[1,0,0]
	v_mov_b32_e32 v6, v51
	v_mov_b32_e32 v23, v7
	s_waitcnt lgkmcnt(2)
	v_pk_mul_f32 v[6:7], v[8:9], v[6:7] op_sel_hi:[1,0]
	v_pk_fma_f32 v[20:21], v[8:9], v[50:51], v[6:7] op_sel:[0,0,1] op_sel_hi:[1,1,0] neg_lo:[0,0,1] neg_hi:[0,0,1]
	v_pk_fma_f32 v[6:7], v[8:9], v[50:51], v[6:7] op_sel:[0,0,1] op_sel_hi:[1,0,0]
	s_waitcnt vmcnt(3)
	v_mov_b32_e32 v6, v63
	v_mov_b32_e32 v21, v7
	v_pk_mul_f32 v[6:7], v[10:11], v[6:7] op_sel_hi:[1,0]
	s_waitcnt vmcnt(2)
	v_pk_fma_f32 v[8:9], v[10:11], v[62:63], v[6:7] op_sel:[0,0,1] op_sel_hi:[1,1,0] neg_lo:[0,0,1] neg_hi:[0,0,1]
	v_pk_fma_f32 v[6:7], v[10:11], v[62:63], v[6:7] op_sel:[0,0,1] op_sel_hi:[1,0,0]
	v_pk_add_f32 v[4:5], v[4:5], v[22:23]
	v_mov_b32_e32 v6, v61
	v_pk_add_f32 v[4:5], v[4:5], v[20:21]
	v_mov_b32_e32 v9, v7
	s_waitcnt lgkmcnt(1)
	v_pk_mul_f32 v[6:7], v[12:13], v[6:7] op_sel_hi:[1,0]
	v_pk_add_f32 v[4:5], v[4:5], v[8:9]
	v_pk_fma_f32 v[8:9], v[12:13], v[60:61], v[6:7] op_sel:[0,0,1] op_sel_hi:[1,1,0] neg_lo:[0,0,1] neg_hi:[0,0,1]
	v_pk_fma_f32 v[6:7], v[12:13], v[60:61], v[6:7] op_sel:[0,0,1] op_sel_hi:[1,0,0]
	v_mov_b32_e32 v6, v59
	v_mov_b32_e32 v9, v7
	v_pk_mul_f32 v[6:7], v[14:15], v[6:7] op_sel_hi:[1,0]
	v_pk_add_f32 v[4:5], v[4:5], v[8:9]
	v_pk_fma_f32 v[8:9], v[14:15], v[58:59], v[6:7] op_sel:[0,0,1] op_sel_hi:[1,1,0] neg_lo:[0,0,1] neg_hi:[0,0,1]
	v_pk_fma_f32 v[6:7], v[14:15], v[58:59], v[6:7] op_sel:[0,0,1] op_sel_hi:[1,0,0]
	v_mov_b32_e32 v6, v57
	v_mov_b32_e32 v9, v7
	s_waitcnt lgkmcnt(0)
	v_pk_mul_f32 v[6:7], v[16:17], v[6:7] op_sel_hi:[1,0]
	v_pk_add_f32 v[4:5], v[4:5], v[8:9]
	v_pk_fma_f32 v[8:9], v[16:17], v[56:57], v[6:7] op_sel:[0,0,1] op_sel_hi:[1,1,0] neg_lo:[0,0,1] neg_hi:[0,0,1]
	v_pk_fma_f32 v[6:7], v[16:17], v[56:57], v[6:7] op_sel:[0,0,1] op_sel_hi:[1,0,0]
	s_waitcnt vmcnt(1)
	v_mov_b32_e32 v6, v65
	v_mov_b32_e32 v9, v7
	v_pk_mul_f32 v[6:7], v[18:19], v[6:7] op_sel_hi:[1,0]
	v_pk_add_f32 v[4:5], v[4:5], v[8:9]
	s_waitcnt vmcnt(0)
	v_pk_fma_f32 v[8:9], v[18:19], v[64:65], v[6:7] op_sel:[0,0,1] op_sel_hi:[1,1,0] neg_lo:[0,0,1] neg_hi:[0,0,1]
	v_pk_fma_f32 v[6:7], v[18:19], v[64:65], v[6:7] op_sel:[0,0,1] op_sel_hi:[1,0,0]
	v_mov_b32_e32 v9, v7
	v_pk_add_f32 v[4:5], v[4:5], v[8:9]
	v_pk_add_f32 v[2:3], v[2:3], v[4:5] neg_lo:[0,1] neg_hi:[0,1]
	buffer_store_dword v3, off, s[0:3], 0 offset:228
	buffer_store_dword v2, off, s[0:3], 0 offset:224
	s_and_saveexec_b64 s[4:5], vcc
	s_cbranch_execz .LBB120_301
; %bb.300:
	buffer_load_dword v2, off, s[0:3], 0 offset:216
	buffer_load_dword v3, off, s[0:3], 0 offset:220
	v_mov_b32_e32 v1, 0
	buffer_store_dword v1, off, s[0:3], 0 offset:216
	buffer_store_dword v1, off, s[0:3], 0 offset:220
	s_waitcnt vmcnt(2)
	ds_write_b64 v165, v[2:3]
.LBB120_301:
	s_or_b64 exec, exec, s[4:5]
	s_waitcnt lgkmcnt(0)
	; wave barrier
	s_waitcnt lgkmcnt(0)
	buffer_load_dword v52, off, s[0:3], 0 offset:228
	buffer_load_dword v58, off, s[0:3], 0 offset:236
	;; [unrolled: 1-line block ×44, first 2 shown]
	v_mov_b32_e32 v1, 0
	ds_read_b128 v[4:7], v1 offset:688
	ds_read_b128 v[8:11], v1 offset:704
	;; [unrolled: 1-line block ×8, first 2 shown]
	v_cmp_lt_u32_e32 vcc, 26, v0
	s_waitcnt vmcnt(43) lgkmcnt(7)
	v_mul_f32_e32 v36, v4, v52
	s_waitcnt vmcnt(42)
	v_mul_f32_e32 v37, v6, v58
	s_waitcnt vmcnt(41) lgkmcnt(6)
	v_mul_f32_e32 v38, v8, v60
	s_waitcnt vmcnt(40)
	v_mul_f32_e32 v39, v10, v74
	;; [unrolled: 4-line block ×7, first 2 shown]
	s_waitcnt vmcnt(29)
	v_fmac_f32_e32 v36, v5, v85
	s_waitcnt vmcnt(28)
	v_fmac_f32_e32 v37, v7, v86
	v_add_f32_e32 v36, 0, v36
	s_waitcnt vmcnt(27)
	v_fmac_f32_e32 v38, v9, v87
	v_add_f32_e32 v36, v36, v37
	;; [unrolled: 3-line block ×12, first 2 shown]
	v_add_f32_e32 v36, v36, v48
	s_waitcnt vmcnt(16)
	v_fmac_f32_e32 v49, v31, v98
	s_waitcnt vmcnt(15) lgkmcnt(0)
	v_mul_f32_e32 v37, v32, v99
	v_add_f32_e32 v36, v36, v49
	s_waitcnt vmcnt(14)
	v_fmac_f32_e32 v37, v33, v100
	v_add_f32_e32 v40, v36, v37
	ds_read_b128 v[36:39], v1 offset:816
	s_waitcnt vmcnt(13)
	v_mul_f32_e32 v41, v34, v101
	s_waitcnt vmcnt(12)
	v_fmac_f32_e32 v41, v35, v102
	v_add_f32_e32 v44, v40, v41
	ds_read_b128 v[40:43], v1 offset:832
	s_waitcnt vmcnt(11) lgkmcnt(1)
	v_mul_f32_e32 v45, v36, v103
	s_waitcnt vmcnt(10)
	v_fmac_f32_e32 v45, v37, v104
	v_add_f32_e32 v44, v44, v45
	s_waitcnt vmcnt(9)
	v_mul_f32_e32 v45, v38, v105
	s_waitcnt vmcnt(8)
	v_fmac_f32_e32 v45, v39, v106
	v_add_f32_e32 v44, v44, v45
	s_waitcnt vmcnt(7) lgkmcnt(0)
	v_mul_f32_e32 v45, v40, v107
	s_waitcnt vmcnt(6)
	v_fmac_f32_e32 v45, v41, v108
	v_add_f32_e32 v53, v44, v45
	ds_read_b128 v[44:47], v1 offset:848
	buffer_load_dword v55, off, s[0:3], 0 offset:404
	buffer_load_dword v54, off, s[0:3], 0 offset:400
	;; [unrolled: 1-line block ×4, first 2 shown]
	ds_read_b128 v[48:51], v1 offset:864
	buffer_load_dword v63, off, s[0:3], 0 offset:436
	buffer_load_dword v62, off, s[0:3], 0 offset:432
	;; [unrolled: 1-line block ×12, first 2 shown]
	v_mul_f32_e32 v5, v5, v52
	v_fma_f32 v4, v4, v85, -v5
	v_mul_f32_e32 v5, v7, v58
	v_add_f32_e32 v4, 0, v4
	v_fma_f32 v5, v6, v86, -v5
	v_add_f32_e32 v4, v4, v5
	v_mul_f32_e32 v5, v9, v60
	v_fma_f32 v5, v8, v87, -v5
	v_add_f32_e32 v4, v4, v5
	v_mul_f32_e32 v5, v11, v74
	;; [unrolled: 3-line block ×17, first 2 shown]
	v_fma_f32 v5, v40, v108, -v5
	s_waitcnt vmcnt(21)
	v_mul_f32_e32 v59, v42, v109
	v_add_f32_e32 v52, v4, v5
	v_mul_f32_e32 v4, v43, v109
	s_waitcnt vmcnt(20)
	v_fmac_f32_e32 v59, v43, v110
	s_waitcnt vmcnt(19) lgkmcnt(1)
	v_mul_f32_e32 v61, v44, v111
	v_fma_f32 v58, v42, v110, -v4
	v_mul_f32_e32 v4, v45, v111
	s_waitcnt vmcnt(18)
	v_fmac_f32_e32 v61, v45, v112
	v_fma_f32 v60, v44, v112, -v4
	v_pk_add_f32 v[14:15], v[52:53], v[58:59]
	v_pk_add_f32 v[14:15], v[14:15], v[60:61]
	ds_read_b128 v[4:7], v1 offset:880
	ds_read_b128 v[8:11], v1 offset:896
	ds_read_b64 v[12:13], v1 offset:912
	s_waitcnt vmcnt(13)
	v_mov_b32_e32 v16, v57
	v_pk_mul_f32 v[16:17], v[46:47], v[16:17] op_sel_hi:[1,0]
	s_waitcnt vmcnt(12)
	v_pk_fma_f32 v[18:19], v[46:47], v[56:57], v[16:17] op_sel:[0,0,1] op_sel_hi:[1,1,0] neg_lo:[0,0,1] neg_hi:[0,0,1]
	v_pk_fma_f32 v[16:17], v[46:47], v[56:57], v[16:17] op_sel:[0,0,1] op_sel_hi:[1,0,0]
	v_mov_b32_e32 v16, v55
	v_mov_b32_e32 v19, v17
	s_waitcnt lgkmcnt(3)
	v_pk_mul_f32 v[16:17], v[48:49], v[16:17] op_sel_hi:[1,0]
	v_pk_add_f32 v[14:15], v[14:15], v[18:19]
	v_pk_fma_f32 v[18:19], v[48:49], v[54:55], v[16:17] op_sel:[0,0,1] op_sel_hi:[1,1,0] neg_lo:[0,0,1] neg_hi:[0,0,1]
	v_pk_fma_f32 v[16:17], v[48:49], v[54:55], v[16:17] op_sel:[0,0,1] op_sel_hi:[1,0,0]
	s_waitcnt vmcnt(5)
	v_mov_b32_e32 v16, v69
	v_mov_b32_e32 v19, v17
	v_pk_mul_f32 v[16:17], v[50:51], v[16:17] op_sel_hi:[1,0]
	v_pk_add_f32 v[14:15], v[14:15], v[18:19]
	s_waitcnt vmcnt(4)
	v_pk_fma_f32 v[18:19], v[50:51], v[68:69], v[16:17] op_sel:[0,0,1] op_sel_hi:[1,1,0] neg_lo:[0,0,1] neg_hi:[0,0,1]
	v_pk_fma_f32 v[16:17], v[50:51], v[68:69], v[16:17] op_sel:[0,0,1] op_sel_hi:[1,0,0]
	v_mov_b32_e32 v16, v67
	v_mov_b32_e32 v19, v17
	s_waitcnt lgkmcnt(2)
	v_pk_mul_f32 v[16:17], v[4:5], v[16:17] op_sel_hi:[1,0]
	v_pk_add_f32 v[14:15], v[14:15], v[18:19]
	v_pk_fma_f32 v[18:19], v[4:5], v[66:67], v[16:17] op_sel:[0,0,1] op_sel_hi:[1,1,0] neg_lo:[0,0,1] neg_hi:[0,0,1]
	v_pk_fma_f32 v[4:5], v[4:5], v[66:67], v[16:17] op_sel:[0,0,1] op_sel_hi:[1,0,0]
	v_mov_b32_e32 v19, v5
	v_pk_add_f32 v[4:5], v[14:15], v[18:19]
	v_mov_b32_e32 v14, v65
	v_pk_mul_f32 v[14:15], v[6:7], v[14:15] op_sel_hi:[1,0]
	v_pk_fma_f32 v[16:17], v[6:7], v[64:65], v[14:15] op_sel:[0,0,1] op_sel_hi:[1,1,0] neg_lo:[0,0,1] neg_hi:[0,0,1]
	v_pk_fma_f32 v[6:7], v[6:7], v[64:65], v[14:15] op_sel:[0,0,1] op_sel_hi:[1,0,0]
	v_mov_b32_e32 v6, v63
	v_mov_b32_e32 v17, v7
	s_waitcnt lgkmcnt(1)
	v_pk_mul_f32 v[6:7], v[8:9], v[6:7] op_sel_hi:[1,0]
	v_pk_fma_f32 v[14:15], v[8:9], v[62:63], v[6:7] op_sel:[0,0,1] op_sel_hi:[1,1,0] neg_lo:[0,0,1] neg_hi:[0,0,1]
	v_pk_fma_f32 v[6:7], v[8:9], v[62:63], v[6:7] op_sel:[0,0,1] op_sel_hi:[1,0,0]
	s_waitcnt vmcnt(1)
	v_mov_b32_e32 v6, v73
	v_mov_b32_e32 v15, v7
	v_pk_mul_f32 v[6:7], v[10:11], v[6:7] op_sel_hi:[1,0]
	s_waitcnt vmcnt(0)
	v_pk_fma_f32 v[8:9], v[10:11], v[72:73], v[6:7] op_sel:[0,0,1] op_sel_hi:[1,1,0] neg_lo:[0,0,1] neg_hi:[0,0,1]
	v_pk_fma_f32 v[6:7], v[10:11], v[72:73], v[6:7] op_sel:[0,0,1] op_sel_hi:[1,0,0]
	v_pk_add_f32 v[4:5], v[4:5], v[16:17]
	v_mov_b32_e32 v6, v71
	v_pk_add_f32 v[4:5], v[4:5], v[14:15]
	v_mov_b32_e32 v9, v7
	s_waitcnt lgkmcnt(0)
	v_pk_mul_f32 v[6:7], v[12:13], v[6:7] op_sel_hi:[1,0]
	v_pk_add_f32 v[4:5], v[4:5], v[8:9]
	v_pk_fma_f32 v[8:9], v[12:13], v[70:71], v[6:7] op_sel:[0,0,1] op_sel_hi:[1,1,0] neg_lo:[0,0,1] neg_hi:[0,0,1]
	v_pk_fma_f32 v[6:7], v[12:13], v[70:71], v[6:7] op_sel:[0,0,1] op_sel_hi:[1,0,0]
	v_mov_b32_e32 v9, v7
	v_pk_add_f32 v[4:5], v[4:5], v[8:9]
	v_pk_add_f32 v[2:3], v[2:3], v[4:5] neg_lo:[0,1] neg_hi:[0,1]
	buffer_store_dword v3, off, s[0:3], 0 offset:220
	buffer_store_dword v2, off, s[0:3], 0 offset:216
	s_and_saveexec_b64 s[4:5], vcc
	s_cbranch_execz .LBB120_303
; %bb.302:
	buffer_load_dword v2, off, s[0:3], 0 offset:208
	buffer_load_dword v3, off, s[0:3], 0 offset:212
	s_waitcnt vmcnt(0)
	ds_write_b64 v165, v[2:3]
	buffer_store_dword v1, off, s[0:3], 0 offset:208
	buffer_store_dword v1, off, s[0:3], 0 offset:212
.LBB120_303:
	s_or_b64 exec, exec, s[4:5]
	s_waitcnt lgkmcnt(0)
	; wave barrier
	s_waitcnt lgkmcnt(0)
	buffer_load_dword v54, off, s[0:3], 0 offset:220
	buffer_load_dword v56, off, s[0:3], 0 offset:228
	;; [unrolled: 1-line block ×46, first 2 shown]
	ds_read2_b64 v[4:7], v1 offset0:85 offset1:86
	ds_read2_b64 v[8:11], v1 offset0:87 offset1:88
	ds_read2_b64 v[12:15], v1 offset0:89 offset1:90
	ds_read2_b64 v[16:19], v1 offset0:91 offset1:92
	ds_read2_b64 v[20:23], v1 offset0:93 offset1:94
	ds_read2_b64 v[24:27], v1 offset0:95 offset1:96
	ds_read2_b64 v[28:31], v1 offset0:97 offset1:98
	ds_read2_b64 v[32:35], v1 offset0:99 offset1:100
	v_cmp_lt_u32_e32 vcc, 25, v0
	s_waitcnt vmcnt(45) lgkmcnt(7)
	v_mul_f32_e32 v36, v4, v54
	s_waitcnt vmcnt(44)
	v_mul_f32_e32 v37, v6, v56
	s_waitcnt vmcnt(43) lgkmcnt(6)
	v_mul_f32_e32 v38, v8, v58
	s_waitcnt vmcnt(42)
	v_mul_f32_e32 v39, v10, v74
	;; [unrolled: 4-line block ×6, first 2 shown]
	s_waitcnt vmcnt(33) lgkmcnt(1)
	v_mul_f32_e32 v48, v28, v83
	s_waitcnt vmcnt(32)
	v_fmac_f32_e32 v36, v5, v84
	s_waitcnt vmcnt(31)
	v_fmac_f32_e32 v37, v7, v85
	v_add_f32_e32 v36, 0, v36
	s_waitcnt vmcnt(30)
	v_fmac_f32_e32 v38, v9, v86
	v_add_f32_e32 v36, v36, v37
	;; [unrolled: 3-line block ×12, first 2 shown]
	s_waitcnt vmcnt(19)
	v_mul_f32_e32 v37, v30, v97
	v_add_f32_e32 v36, v36, v48
	s_waitcnt vmcnt(18)
	v_fmac_f32_e32 v37, v31, v98
	v_add_f32_e32 v36, v36, v37
	s_waitcnt vmcnt(17) lgkmcnt(0)
	v_mul_f32_e32 v37, v32, v99
	s_waitcnt vmcnt(16)
	v_fmac_f32_e32 v37, v33, v100
	v_add_f32_e32 v40, v36, v37
	ds_read2_b64 v[36:39], v1 offset0:101 offset1:102
	s_waitcnt vmcnt(15)
	v_mul_f32_e32 v41, v34, v101
	s_waitcnt vmcnt(14)
	v_fmac_f32_e32 v41, v35, v102
	v_add_f32_e32 v44, v40, v41
	ds_read2_b64 v[40:43], v1 offset0:103 offset1:104
	buffer_load_dword v53, off, s[0:3], 0 offset:396
	buffer_load_dword v52, off, s[0:3], 0 offset:392
	s_waitcnt vmcnt(15) lgkmcnt(1)
	v_mul_f32_e32 v45, v36, v103
	s_waitcnt vmcnt(14)
	v_fmac_f32_e32 v45, v37, v104
	v_add_f32_e32 v44, v44, v45
	s_waitcnt vmcnt(13)
	v_mul_f32_e32 v45, v38, v105
	s_waitcnt vmcnt(12)
	v_fmac_f32_e32 v45, v39, v106
	v_add_f32_e32 v44, v44, v45
	s_waitcnt vmcnt(11) lgkmcnt(0)
	v_mul_f32_e32 v45, v40, v107
	s_waitcnt vmcnt(10)
	v_fmac_f32_e32 v45, v41, v108
	s_waitcnt vmcnt(9)
	v_mul_f32_e32 v49, v42, v109
	v_add_f32_e32 v48, v44, v45
	s_waitcnt vmcnt(8)
	v_fmac_f32_e32 v49, v43, v110
	ds_read2_b64 v[44:47], v1 offset0:105 offset1:106
	v_add_f32_e32 v55, v48, v49
	ds_read2_b64 v[48:51], v1 offset0:107 offset1:108
	buffer_load_dword v61, off, s[0:3], 0 offset:428
	buffer_load_dword v60, off, s[0:3], 0 offset:424
	;; [unrolled: 1-line block ×14, first 2 shown]
	v_mul_f32_e32 v5, v5, v54
	v_fma_f32 v4, v4, v84, -v5
	v_mul_f32_e32 v5, v7, v56
	v_add_f32_e32 v4, 0, v4
	v_fma_f32 v5, v6, v85, -v5
	v_add_f32_e32 v4, v4, v5
	v_mul_f32_e32 v5, v9, v58
	v_fma_f32 v5, v8, v86, -v5
	v_add_f32_e32 v4, v4, v5
	v_mul_f32_e32 v5, v11, v74
	v_fma_f32 v5, v10, v87, -v5
	v_add_f32_e32 v4, v4, v5
	v_mul_f32_e32 v5, v13, v75
	v_fma_f32 v5, v12, v88, -v5
	v_add_f32_e32 v4, v4, v5
	v_mul_f32_e32 v5, v15, v76
	v_fma_f32 v5, v14, v89, -v5
	v_add_f32_e32 v4, v4, v5
	v_mul_f32_e32 v5, v17, v77
	v_fma_f32 v5, v16, v90, -v5
	v_add_f32_e32 v4, v4, v5
	v_mul_f32_e32 v5, v19, v78
	v_fma_f32 v5, v18, v91, -v5
	v_add_f32_e32 v4, v4, v5
	v_mul_f32_e32 v5, v21, v79
	v_fma_f32 v5, v20, v92, -v5
	v_add_f32_e32 v4, v4, v5
	v_mul_f32_e32 v5, v23, v80
	v_fma_f32 v5, v22, v93, -v5
	v_add_f32_e32 v4, v4, v5
	v_mul_f32_e32 v5, v25, v81
	v_fma_f32 v5, v24, v94, -v5
	v_add_f32_e32 v4, v4, v5
	v_mul_f32_e32 v5, v27, v82
	v_fma_f32 v5, v26, v95, -v5
	v_add_f32_e32 v4, v4, v5
	v_mul_f32_e32 v5, v29, v83
	v_fma_f32 v5, v28, v96, -v5
	v_add_f32_e32 v4, v4, v5
	v_mul_f32_e32 v5, v31, v97
	v_fma_f32 v5, v30, v98, -v5
	v_add_f32_e32 v4, v4, v5
	v_mul_f32_e32 v5, v33, v99
	v_fma_f32 v5, v32, v100, -v5
	v_add_f32_e32 v4, v4, v5
	v_mul_f32_e32 v5, v35, v101
	v_fma_f32 v5, v34, v102, -v5
	v_add_f32_e32 v4, v4, v5
	v_mul_f32_e32 v5, v37, v103
	v_fma_f32 v5, v36, v104, -v5
	v_add_f32_e32 v4, v4, v5
	v_mul_f32_e32 v5, v39, v105
	v_fma_f32 v5, v38, v106, -v5
	v_add_f32_e32 v4, v4, v5
	v_mul_f32_e32 v5, v41, v107
	v_fma_f32 v5, v40, v108, -v5
	v_add_f32_e32 v4, v4, v5
	v_mul_f32_e32 v5, v43, v109
	v_fma_f32 v5, v42, v110, -v5
	s_waitcnt vmcnt(21) lgkmcnt(1)
	v_mul_f32_e32 v57, v44, v111
	v_add_f32_e32 v54, v4, v5
	v_mul_f32_e32 v4, v45, v111
	s_waitcnt vmcnt(20)
	v_fmac_f32_e32 v57, v45, v112
	s_waitcnt vmcnt(15)
	v_mov_b32_e32 v18, v53
	s_waitcnt lgkmcnt(0)
	v_pk_mul_f32 v[18:19], v[48:49], v[18:19] op_sel_hi:[1,0]
	v_mul_f32_e32 v59, v46, v113
	v_fma_f32 v56, v44, v112, -v4
	v_mul_f32_e32 v4, v47, v113
	s_waitcnt vmcnt(14)
	v_pk_fma_f32 v[20:21], v[48:49], v[52:53], v[18:19] op_sel:[0,0,1] op_sel_hi:[1,1,0] neg_lo:[0,0,1] neg_hi:[0,0,1]
	v_pk_fma_f32 v[18:19], v[48:49], v[52:53], v[18:19] op_sel:[0,0,1] op_sel_hi:[1,0,0]
	v_fmac_f32_e32 v59, v47, v114
	v_fma_f32 v58, v46, v114, -v4
	v_pk_add_f32 v[16:17], v[54:55], v[56:57]
	s_waitcnt vmcnt(7)
	v_mov_b32_e32 v18, v67
	ds_read2_b64 v[4:7], v1 offset0:109 offset1:110
	ds_read2_b64 v[8:11], v1 offset0:111 offset1:112
	;; [unrolled: 1-line block ×3, first 2 shown]
	v_pk_add_f32 v[16:17], v[16:17], v[58:59]
	v_mov_b32_e32 v21, v19
	v_pk_mul_f32 v[18:19], v[50:51], v[18:19] op_sel_hi:[1,0]
	v_pk_add_f32 v[16:17], v[16:17], v[20:21]
	s_waitcnt vmcnt(6)
	v_pk_fma_f32 v[20:21], v[50:51], v[66:67], v[18:19] op_sel:[0,0,1] op_sel_hi:[1,1,0] neg_lo:[0,0,1] neg_hi:[0,0,1]
	v_pk_fma_f32 v[18:19], v[50:51], v[66:67], v[18:19] op_sel:[0,0,1] op_sel_hi:[1,0,0]
	v_mov_b32_e32 v18, v65
	v_mov_b32_e32 v21, v19
	s_waitcnt lgkmcnt(2)
	v_pk_mul_f32 v[18:19], v[4:5], v[18:19] op_sel_hi:[1,0]
	v_pk_add_f32 v[16:17], v[16:17], v[20:21]
	v_pk_fma_f32 v[20:21], v[4:5], v[64:65], v[18:19] op_sel:[0,0,1] op_sel_hi:[1,1,0] neg_lo:[0,0,1] neg_hi:[0,0,1]
	v_pk_fma_f32 v[4:5], v[4:5], v[64:65], v[18:19] op_sel:[0,0,1] op_sel_hi:[1,0,0]
	v_mov_b32_e32 v21, v5
	v_pk_add_f32 v[4:5], v[16:17], v[20:21]
	v_mov_b32_e32 v16, v63
	v_pk_mul_f32 v[16:17], v[6:7], v[16:17] op_sel_hi:[1,0]
	v_pk_fma_f32 v[18:19], v[6:7], v[62:63], v[16:17] op_sel:[0,0,1] op_sel_hi:[1,1,0] neg_lo:[0,0,1] neg_hi:[0,0,1]
	v_pk_fma_f32 v[6:7], v[6:7], v[62:63], v[16:17] op_sel:[0,0,1] op_sel_hi:[1,0,0]
	v_mov_b32_e32 v6, v61
	v_mov_b32_e32 v19, v7
	s_waitcnt lgkmcnt(1)
	v_pk_mul_f32 v[6:7], v[8:9], v[6:7] op_sel_hi:[1,0]
	v_pk_fma_f32 v[16:17], v[8:9], v[60:61], v[6:7] op_sel:[0,0,1] op_sel_hi:[1,1,0] neg_lo:[0,0,1] neg_hi:[0,0,1]
	v_pk_fma_f32 v[6:7], v[8:9], v[60:61], v[6:7] op_sel:[0,0,1] op_sel_hi:[1,0,0]
	s_waitcnt vmcnt(1)
	v_mov_b32_e32 v6, v73
	v_mov_b32_e32 v17, v7
	v_pk_mul_f32 v[6:7], v[10:11], v[6:7] op_sel_hi:[1,0]
	s_waitcnt vmcnt(0)
	v_pk_fma_f32 v[8:9], v[10:11], v[72:73], v[6:7] op_sel:[0,0,1] op_sel_hi:[1,1,0] neg_lo:[0,0,1] neg_hi:[0,0,1]
	v_pk_fma_f32 v[6:7], v[10:11], v[72:73], v[6:7] op_sel:[0,0,1] op_sel_hi:[1,0,0]
	v_pk_add_f32 v[4:5], v[4:5], v[18:19]
	v_mov_b32_e32 v6, v71
	v_pk_add_f32 v[4:5], v[4:5], v[16:17]
	v_mov_b32_e32 v9, v7
	s_waitcnt lgkmcnt(0)
	v_pk_mul_f32 v[6:7], v[12:13], v[6:7] op_sel_hi:[1,0]
	v_pk_add_f32 v[4:5], v[4:5], v[8:9]
	v_pk_fma_f32 v[8:9], v[12:13], v[70:71], v[6:7] op_sel:[0,0,1] op_sel_hi:[1,1,0] neg_lo:[0,0,1] neg_hi:[0,0,1]
	v_pk_fma_f32 v[6:7], v[12:13], v[70:71], v[6:7] op_sel:[0,0,1] op_sel_hi:[1,0,0]
	v_mov_b32_e32 v6, v69
	v_mov_b32_e32 v9, v7
	v_pk_mul_f32 v[6:7], v[14:15], v[6:7] op_sel_hi:[1,0]
	v_pk_add_f32 v[4:5], v[4:5], v[8:9]
	v_pk_fma_f32 v[8:9], v[14:15], v[68:69], v[6:7] op_sel:[0,0,1] op_sel_hi:[1,1,0] neg_lo:[0,0,1] neg_hi:[0,0,1]
	v_pk_fma_f32 v[6:7], v[14:15], v[68:69], v[6:7] op_sel:[0,0,1] op_sel_hi:[1,0,0]
	v_mov_b32_e32 v9, v7
	v_pk_add_f32 v[4:5], v[4:5], v[8:9]
	v_pk_add_f32 v[2:3], v[2:3], v[4:5] neg_lo:[0,1] neg_hi:[0,1]
	buffer_store_dword v3, off, s[0:3], 0 offset:212
	buffer_store_dword v2, off, s[0:3], 0 offset:208
	s_and_saveexec_b64 s[4:5], vcc
	s_cbranch_execz .LBB120_305
; %bb.304:
	buffer_load_dword v2, off, s[0:3], 0 offset:200
	buffer_load_dword v3, off, s[0:3], 0 offset:204
	v_mov_b32_e32 v1, 0
	buffer_store_dword v1, off, s[0:3], 0 offset:200
	buffer_store_dword v1, off, s[0:3], 0 offset:204
	s_waitcnt vmcnt(2)
	ds_write_b64 v165, v[2:3]
.LBB120_305:
	s_or_b64 exec, exec, s[4:5]
	s_waitcnt lgkmcnt(0)
	; wave barrier
	s_waitcnt lgkmcnt(0)
	buffer_load_dword v52, off, s[0:3], 0 offset:212
	buffer_load_dword v54, off, s[0:3], 0 offset:220
	;; [unrolled: 1-line block ×48, first 2 shown]
	v_mov_b32_e32 v1, 0
	ds_read_b128 v[4:7], v1 offset:672
	ds_read_b128 v[8:11], v1 offset:688
	;; [unrolled: 1-line block ×6, first 2 shown]
	v_cmp_lt_u32_e32 vcc, 24, v0
	s_waitcnt vmcnt(47) lgkmcnt(5)
	v_mul_f32_e32 v28, v4, v52
	s_waitcnt vmcnt(46)
	v_mul_f32_e32 v29, v6, v54
	s_waitcnt vmcnt(45) lgkmcnt(4)
	v_mul_f32_e32 v30, v8, v56
	s_waitcnt vmcnt(44)
	v_mul_f32_e32 v31, v10, v74
	;; [unrolled: 4-line block ×6, first 2 shown]
	s_waitcnt vmcnt(35)
	v_fmac_f32_e32 v28, v5, v83
	s_waitcnt vmcnt(34)
	v_fmac_f32_e32 v29, v7, v84
	v_add_f32_e32 v28, 0, v28
	s_waitcnt vmcnt(33)
	v_fmac_f32_e32 v30, v9, v85
	v_add_f32_e32 v28, v28, v29
	;; [unrolled: 3-line block ×8, first 2 shown]
	v_add_f32_e32 v32, v28, v36
	ds_read_b128 v[28:31], v1 offset:768
	s_waitcnt vmcnt(26)
	v_fmac_f32_e32 v37, v23, v92
	s_waitcnt vmcnt(25)
	v_fmac_f32_e32 v38, v25, v93
	v_add_f32_e32 v32, v32, v37
	s_waitcnt vmcnt(24)
	v_fmac_f32_e32 v39, v27, v94
	v_add_f32_e32 v32, v32, v38
	v_add_f32_e32 v36, v32, v39
	ds_read_b128 v[32:35], v1 offset:784
	s_waitcnt vmcnt(23) lgkmcnt(1)
	v_mul_f32_e32 v37, v28, v95
	s_waitcnt vmcnt(22)
	v_fmac_f32_e32 v37, v29, v96
	v_add_f32_e32 v36, v36, v37
	s_waitcnt vmcnt(21)
	v_mul_f32_e32 v37, v30, v97
	s_waitcnt vmcnt(20)
	v_fmac_f32_e32 v37, v31, v98
	v_add_f32_e32 v36, v36, v37
	s_waitcnt vmcnt(19) lgkmcnt(0)
	v_mul_f32_e32 v37, v32, v99
	s_waitcnt vmcnt(18)
	v_fmac_f32_e32 v37, v33, v100
	v_add_f32_e32 v40, v36, v37
	ds_read_b128 v[36:39], v1 offset:800
	s_waitcnt vmcnt(17)
	v_mul_f32_e32 v41, v34, v101
	s_waitcnt vmcnt(16)
	v_fmac_f32_e32 v41, v35, v102
	v_add_f32_e32 v44, v40, v41
	ds_read_b128 v[40:43], v1 offset:816
	s_waitcnt vmcnt(15) lgkmcnt(1)
	v_mul_f32_e32 v45, v36, v103
	s_waitcnt vmcnt(14)
	v_fmac_f32_e32 v45, v37, v104
	v_add_f32_e32 v44, v44, v45
	s_waitcnt vmcnt(13)
	v_mul_f32_e32 v45, v38, v105
	s_waitcnt vmcnt(12)
	v_fmac_f32_e32 v45, v39, v106
	v_add_f32_e32 v44, v44, v45
	s_waitcnt vmcnt(11) lgkmcnt(0)
	v_mul_f32_e32 v45, v40, v107
	s_waitcnt vmcnt(10)
	v_fmac_f32_e32 v45, v41, v108
	s_waitcnt vmcnt(9)
	v_mul_f32_e32 v49, v42, v109
	v_add_f32_e32 v48, v44, v45
	s_waitcnt vmcnt(8)
	v_fmac_f32_e32 v49, v43, v110
	ds_read_b128 v[44:47], v1 offset:832
	v_add_f32_e32 v53, v48, v49
	ds_read_b128 v[48:51], v1 offset:848
	buffer_load_dword v59, off, s[0:3], 0 offset:420
	buffer_load_dword v58, off, s[0:3], 0 offset:416
	buffer_load_dword v61, off, s[0:3], 0 offset:412
	buffer_load_dword v60, off, s[0:3], 0 offset:408
	buffer_load_dword v63, off, s[0:3], 0 offset:404
	buffer_load_dword v62, off, s[0:3], 0 offset:400
	buffer_load_dword v65, off, s[0:3], 0 offset:396
	buffer_load_dword v64, off, s[0:3], 0 offset:392
	buffer_load_dword v67, off, s[0:3], 0 offset:452
	buffer_load_dword v66, off, s[0:3], 0 offset:448
	buffer_load_dword v69, off, s[0:3], 0 offset:444
	buffer_load_dword v68, off, s[0:3], 0 offset:440
	buffer_load_dword v71, off, s[0:3], 0 offset:436
	buffer_load_dword v70, off, s[0:3], 0 offset:432
	buffer_load_dword v73, off, s[0:3], 0 offset:428
	buffer_load_dword v72, off, s[0:3], 0 offset:424
	v_mul_f32_e32 v5, v5, v52
	v_fma_f32 v4, v4, v83, -v5
	v_mul_f32_e32 v5, v7, v54
	v_add_f32_e32 v4, 0, v4
	v_fma_f32 v5, v6, v84, -v5
	v_add_f32_e32 v4, v4, v5
	v_mul_f32_e32 v5, v9, v56
	v_fma_f32 v5, v8, v85, -v5
	v_add_f32_e32 v4, v4, v5
	v_mul_f32_e32 v5, v11, v74
	;; [unrolled: 3-line block ×18, first 2 shown]
	v_fma_f32 v5, v42, v110, -v5
	v_add_f32_e32 v4, v4, v5
	s_waitcnt vmcnt(22) lgkmcnt(1)
	v_mul_f32_e32 v5, v45, v112
	v_mul_f32_e32 v55, v44, v112
	v_fma_f32 v5, v44, v111, -v5
	v_fmac_f32_e32 v55, v45, v111
	v_add_f32_e32 v52, v4, v5
	s_waitcnt vmcnt(19)
	v_mul_f32_e32 v4, v47, v113
	v_add_f32_e32 v53, v53, v55
	v_mul_f32_e32 v55, v46, v113
	s_waitcnt vmcnt(18)
	v_fma_f32 v54, v46, v114, -v4
	s_waitcnt vmcnt(17) lgkmcnt(0)
	v_mul_f32_e32 v4, v49, v115
	s_waitcnt vmcnt(9)
	v_mov_b32_e32 v20, v65
	v_pk_mul_f32 v[20:21], v[50:51], v[20:21] op_sel_hi:[1,0]
	v_fmac_f32_e32 v55, v47, v114
	v_mul_f32_e32 v57, v48, v115
	v_fma_f32 v56, v48, v116, -v4
	ds_read_b128 v[4:7], v1 offset:864
	ds_read_b128 v[8:11], v1 offset:880
	;; [unrolled: 1-line block ×3, first 2 shown]
	ds_read_b64 v[16:17], v1 offset:912
	s_waitcnt vmcnt(8)
	v_pk_fma_f32 v[22:23], v[50:51], v[64:65], v[20:21] op_sel:[0,0,1] op_sel_hi:[1,1,0] neg_lo:[0,0,1] neg_hi:[0,0,1]
	v_pk_fma_f32 v[20:21], v[50:51], v[64:65], v[20:21] op_sel:[0,0,1] op_sel_hi:[1,0,0]
	v_fmac_f32_e32 v57, v49, v116
	v_pk_add_f32 v[18:19], v[52:53], v[54:55]
	v_mov_b32_e32 v20, v63
	v_pk_add_f32 v[18:19], v[18:19], v[56:57]
	v_mov_b32_e32 v23, v21
	s_waitcnt lgkmcnt(3)
	v_pk_mul_f32 v[20:21], v[4:5], v[20:21] op_sel_hi:[1,0]
	v_pk_add_f32 v[18:19], v[18:19], v[22:23]
	v_pk_fma_f32 v[22:23], v[4:5], v[62:63], v[20:21] op_sel:[0,0,1] op_sel_hi:[1,1,0] neg_lo:[0,0,1] neg_hi:[0,0,1]
	v_pk_fma_f32 v[4:5], v[4:5], v[62:63], v[20:21] op_sel:[0,0,1] op_sel_hi:[1,0,0]
	v_mov_b32_e32 v23, v5
	v_pk_add_f32 v[4:5], v[18:19], v[22:23]
	v_mov_b32_e32 v18, v61
	v_pk_mul_f32 v[18:19], v[6:7], v[18:19] op_sel_hi:[1,0]
	v_pk_fma_f32 v[20:21], v[6:7], v[60:61], v[18:19] op_sel:[0,0,1] op_sel_hi:[1,1,0] neg_lo:[0,0,1] neg_hi:[0,0,1]
	v_pk_fma_f32 v[6:7], v[6:7], v[60:61], v[18:19] op_sel:[0,0,1] op_sel_hi:[1,0,0]
	v_mov_b32_e32 v6, v59
	v_mov_b32_e32 v21, v7
	s_waitcnt lgkmcnt(2)
	v_pk_mul_f32 v[6:7], v[8:9], v[6:7] op_sel_hi:[1,0]
	v_pk_fma_f32 v[18:19], v[8:9], v[58:59], v[6:7] op_sel:[0,0,1] op_sel_hi:[1,1,0] neg_lo:[0,0,1] neg_hi:[0,0,1]
	v_pk_fma_f32 v[6:7], v[8:9], v[58:59], v[6:7] op_sel:[0,0,1] op_sel_hi:[1,0,0]
	s_waitcnt vmcnt(1)
	v_mov_b32_e32 v6, v73
	v_mov_b32_e32 v19, v7
	v_pk_mul_f32 v[6:7], v[10:11], v[6:7] op_sel_hi:[1,0]
	s_waitcnt vmcnt(0)
	v_pk_fma_f32 v[8:9], v[10:11], v[72:73], v[6:7] op_sel:[0,0,1] op_sel_hi:[1,1,0] neg_lo:[0,0,1] neg_hi:[0,0,1]
	v_pk_fma_f32 v[6:7], v[10:11], v[72:73], v[6:7] op_sel:[0,0,1] op_sel_hi:[1,0,0]
	v_pk_add_f32 v[4:5], v[4:5], v[20:21]
	v_mov_b32_e32 v6, v71
	v_pk_add_f32 v[4:5], v[4:5], v[18:19]
	v_mov_b32_e32 v9, v7
	s_waitcnt lgkmcnt(1)
	v_pk_mul_f32 v[6:7], v[12:13], v[6:7] op_sel_hi:[1,0]
	v_pk_add_f32 v[4:5], v[4:5], v[8:9]
	v_pk_fma_f32 v[8:9], v[12:13], v[70:71], v[6:7] op_sel:[0,0,1] op_sel_hi:[1,1,0] neg_lo:[0,0,1] neg_hi:[0,0,1]
	v_pk_fma_f32 v[6:7], v[12:13], v[70:71], v[6:7] op_sel:[0,0,1] op_sel_hi:[1,0,0]
	v_mov_b32_e32 v6, v69
	v_mov_b32_e32 v9, v7
	v_pk_mul_f32 v[6:7], v[14:15], v[6:7] op_sel_hi:[1,0]
	v_pk_add_f32 v[4:5], v[4:5], v[8:9]
	v_pk_fma_f32 v[8:9], v[14:15], v[68:69], v[6:7] op_sel:[0,0,1] op_sel_hi:[1,1,0] neg_lo:[0,0,1] neg_hi:[0,0,1]
	v_pk_fma_f32 v[6:7], v[14:15], v[68:69], v[6:7] op_sel:[0,0,1] op_sel_hi:[1,0,0]
	v_mov_b32_e32 v6, v67
	v_mov_b32_e32 v9, v7
	s_waitcnt lgkmcnt(0)
	v_pk_mul_f32 v[6:7], v[16:17], v[6:7] op_sel_hi:[1,0]
	v_pk_add_f32 v[4:5], v[4:5], v[8:9]
	v_pk_fma_f32 v[8:9], v[16:17], v[66:67], v[6:7] op_sel:[0,0,1] op_sel_hi:[1,1,0] neg_lo:[0,0,1] neg_hi:[0,0,1]
	v_pk_fma_f32 v[6:7], v[16:17], v[66:67], v[6:7] op_sel:[0,0,1] op_sel_hi:[1,0,0]
	v_mov_b32_e32 v9, v7
	v_pk_add_f32 v[4:5], v[4:5], v[8:9]
	v_pk_add_f32 v[2:3], v[2:3], v[4:5] neg_lo:[0,1] neg_hi:[0,1]
	buffer_store_dword v3, off, s[0:3], 0 offset:204
	buffer_store_dword v2, off, s[0:3], 0 offset:200
	s_and_saveexec_b64 s[4:5], vcc
	s_cbranch_execz .LBB120_307
; %bb.306:
	buffer_load_dword v2, off, s[0:3], 0 offset:192
	buffer_load_dword v3, off, s[0:3], 0 offset:196
	s_waitcnt vmcnt(0)
	ds_write_b64 v165, v[2:3]
	buffer_store_dword v1, off, s[0:3], 0 offset:192
	buffer_store_dword v1, off, s[0:3], 0 offset:196
.LBB120_307:
	s_or_b64 exec, exec, s[4:5]
	s_waitcnt lgkmcnt(0)
	; wave barrier
	s_waitcnt lgkmcnt(0)
	buffer_load_dword v52, off, s[0:3], 0 offset:204
	buffer_load_dword v54, off, s[0:3], 0 offset:212
	;; [unrolled: 1-line block ×48, first 2 shown]
	ds_read2_b64 v[4:7], v1 offset0:83 offset1:84
	ds_read2_b64 v[8:11], v1 offset0:85 offset1:86
	;; [unrolled: 1-line block ×6, first 2 shown]
	buffer_load_dword v117, off, s[0:3], 0 offset:384
	buffer_load_dword v118, off, s[0:3], 0 offset:388
	v_cmp_lt_u32_e32 vcc, 23, v0
	s_waitcnt vmcnt(49) lgkmcnt(5)
	v_mul_f32_e32 v28, v4, v52
	s_waitcnt vmcnt(48)
	v_mul_f32_e32 v29, v6, v54
	s_waitcnt vmcnt(47) lgkmcnt(4)
	v_mul_f32_e32 v30, v8, v62
	s_waitcnt vmcnt(46)
	v_mul_f32_e32 v31, v10, v74
	;; [unrolled: 4-line block ×6, first 2 shown]
	s_waitcnt vmcnt(37)
	v_fmac_f32_e32 v28, v5, v83
	s_waitcnt vmcnt(36)
	v_fmac_f32_e32 v29, v7, v84
	v_add_f32_e32 v28, 0, v28
	s_waitcnt vmcnt(35)
	v_fmac_f32_e32 v30, v9, v85
	v_add_f32_e32 v28, v28, v29
	;; [unrolled: 3-line block ×9, first 2 shown]
	v_add_f32_e32 v32, v28, v37
	ds_read2_b64 v[28:31], v1 offset0:95 offset1:96
	s_waitcnt vmcnt(27)
	v_fmac_f32_e32 v38, v25, v93
	v_add_f32_e32 v32, v32, v38
	s_waitcnt vmcnt(26)
	v_fmac_f32_e32 v39, v27, v94
	v_add_f32_e32 v36, v32, v39
	ds_read2_b64 v[32:35], v1 offset0:97 offset1:98
	s_waitcnt vmcnt(25) lgkmcnt(1)
	v_mul_f32_e32 v37, v28, v95
	s_waitcnt vmcnt(24)
	v_fmac_f32_e32 v37, v29, v96
	v_add_f32_e32 v36, v36, v37
	s_waitcnt vmcnt(23)
	v_mul_f32_e32 v37, v30, v97
	s_waitcnt vmcnt(22)
	v_fmac_f32_e32 v37, v31, v98
	v_add_f32_e32 v36, v36, v37
	s_waitcnt vmcnt(21) lgkmcnt(0)
	v_mul_f32_e32 v37, v32, v99
	s_waitcnt vmcnt(20)
	v_fmac_f32_e32 v37, v33, v100
	v_add_f32_e32 v40, v36, v37
	ds_read2_b64 v[36:39], v1 offset0:99 offset1:100
	s_waitcnt vmcnt(19)
	v_mul_f32_e32 v41, v34, v101
	s_waitcnt vmcnt(18)
	v_fmac_f32_e32 v41, v35, v102
	v_add_f32_e32 v44, v40, v41
	ds_read2_b64 v[40:43], v1 offset0:101 offset1:102
	s_waitcnt vmcnt(17) lgkmcnt(1)
	v_mul_f32_e32 v45, v36, v103
	s_waitcnt vmcnt(16)
	v_fmac_f32_e32 v45, v37, v104
	v_add_f32_e32 v44, v44, v45
	s_waitcnt vmcnt(15)
	v_mul_f32_e32 v45, v38, v105
	s_waitcnt vmcnt(14)
	v_fmac_f32_e32 v45, v39, v106
	v_add_f32_e32 v44, v44, v45
	s_waitcnt vmcnt(13) lgkmcnt(0)
	v_mul_f32_e32 v45, v40, v107
	s_waitcnt vmcnt(12)
	v_fmac_f32_e32 v45, v41, v108
	s_waitcnt vmcnt(11)
	v_mul_f32_e32 v49, v42, v109
	v_add_f32_e32 v48, v44, v45
	s_waitcnt vmcnt(10)
	v_fmac_f32_e32 v49, v43, v110
	ds_read2_b64 v[44:47], v1 offset0:103 offset1:104
	v_add_f32_e32 v53, v48, v49
	ds_read2_b64 v[48:51], v1 offset0:105 offset1:106
	buffer_load_dword v57, off, s[0:3], 0 offset:412
	buffer_load_dword v56, off, s[0:3], 0 offset:408
	;; [unrolled: 1-line block ×16, first 2 shown]
	v_mul_f32_e32 v5, v5, v52
	v_fma_f32 v4, v4, v83, -v5
	v_mul_f32_e32 v5, v7, v54
	v_add_f32_e32 v4, 0, v4
	v_fma_f32 v5, v6, v84, -v5
	v_add_f32_e32 v4, v4, v5
	v_mul_f32_e32 v5, v9, v62
	v_fma_f32 v5, v8, v85, -v5
	v_add_f32_e32 v4, v4, v5
	v_mul_f32_e32 v5, v11, v74
	;; [unrolled: 3-line block ×18, first 2 shown]
	v_fma_f32 v5, v42, v110, -v5
	v_add_f32_e32 v4, v4, v5
	s_waitcnt vmcnt(23) lgkmcnt(1)
	v_mul_f32_e32 v5, v45, v111
	s_waitcnt vmcnt(22)
	v_fma_f32 v5, v44, v112, -v5
	v_add_f32_e32 v4, v4, v5
	s_waitcnt vmcnt(20)
	v_mul_f32_e32 v5, v47, v114
	v_mul_f32_e32 v55, v44, v111
	v_fma_f32 v5, v46, v113, -v5
	v_fmac_f32_e32 v55, v45, v112
	v_add_f32_e32 v52, v4, v5
	s_waitcnt vmcnt(18) lgkmcnt(0)
	v_mul_f32_e32 v4, v49, v116
	v_add_f32_e32 v53, v53, v55
	v_mul_f32_e32 v55, v46, v114
	v_fma_f32 v54, v48, v115, -v4
	s_waitcnt vmcnt(16)
	v_mul_f32_e32 v4, v51, v118
	v_fmac_f32_e32 v55, v47, v113
	v_fma_f32 v62, v50, v117, -v4
	ds_read2_b64 v[4:7], v1 offset0:107 offset1:108
	ds_read2_b64 v[8:11], v1 offset0:109 offset1:110
	ds_read2_b64 v[12:15], v1 offset0:111 offset1:112
	ds_read2_b64 v[16:19], v1 offset0:113 offset1:114
	v_add_f32_e32 v53, v53, v55
	v_mul_f32_e32 v55, v48, v116
	s_waitcnt vmcnt(11)
	v_mov_b32_e32 v22, v61
	v_fmac_f32_e32 v55, v49, v115
	v_mul_f32_e32 v63, v50, v118
	s_waitcnt lgkmcnt(3)
	v_pk_mul_f32 v[22:23], v[4:5], v[22:23] op_sel_hi:[1,0]
	v_fmac_f32_e32 v63, v51, v117
	v_pk_add_f32 v[20:21], v[52:53], v[54:55]
	s_waitcnt vmcnt(10)
	v_pk_fma_f32 v[24:25], v[4:5], v[60:61], v[22:23] op_sel:[0,0,1] op_sel_hi:[1,1,0] neg_lo:[0,0,1] neg_hi:[0,0,1]
	v_pk_fma_f32 v[4:5], v[4:5], v[60:61], v[22:23] op_sel:[0,0,1] op_sel_hi:[1,0,0]
	v_pk_add_f32 v[20:21], v[20:21], v[62:63]
	v_mov_b32_e32 v25, v5
	v_pk_add_f32 v[4:5], v[20:21], v[24:25]
	v_mov_b32_e32 v20, v59
	v_pk_mul_f32 v[20:21], v[6:7], v[20:21] op_sel_hi:[1,0]
	v_pk_fma_f32 v[22:23], v[6:7], v[58:59], v[20:21] op_sel:[0,0,1] op_sel_hi:[1,1,0] neg_lo:[0,0,1] neg_hi:[0,0,1]
	v_pk_fma_f32 v[6:7], v[6:7], v[58:59], v[20:21] op_sel:[0,0,1] op_sel_hi:[1,0,0]
	v_mov_b32_e32 v6, v57
	v_mov_b32_e32 v23, v7
	s_waitcnt lgkmcnt(2)
	v_pk_mul_f32 v[6:7], v[8:9], v[6:7] op_sel_hi:[1,0]
	v_pk_fma_f32 v[20:21], v[8:9], v[56:57], v[6:7] op_sel:[0,0,1] op_sel_hi:[1,1,0] neg_lo:[0,0,1] neg_hi:[0,0,1]
	v_pk_fma_f32 v[6:7], v[8:9], v[56:57], v[6:7] op_sel:[0,0,1] op_sel_hi:[1,0,0]
	s_waitcnt vmcnt(3)
	v_mov_b32_e32 v6, v71
	v_mov_b32_e32 v21, v7
	v_pk_mul_f32 v[6:7], v[10:11], v[6:7] op_sel_hi:[1,0]
	s_waitcnt vmcnt(2)
	v_pk_fma_f32 v[8:9], v[10:11], v[70:71], v[6:7] op_sel:[0,0,1] op_sel_hi:[1,1,0] neg_lo:[0,0,1] neg_hi:[0,0,1]
	v_pk_fma_f32 v[6:7], v[10:11], v[70:71], v[6:7] op_sel:[0,0,1] op_sel_hi:[1,0,0]
	v_pk_add_f32 v[4:5], v[4:5], v[22:23]
	v_mov_b32_e32 v6, v69
	v_pk_add_f32 v[4:5], v[4:5], v[20:21]
	v_mov_b32_e32 v9, v7
	s_waitcnt lgkmcnt(1)
	v_pk_mul_f32 v[6:7], v[12:13], v[6:7] op_sel_hi:[1,0]
	v_pk_add_f32 v[4:5], v[4:5], v[8:9]
	v_pk_fma_f32 v[8:9], v[12:13], v[68:69], v[6:7] op_sel:[0,0,1] op_sel_hi:[1,1,0] neg_lo:[0,0,1] neg_hi:[0,0,1]
	v_pk_fma_f32 v[6:7], v[12:13], v[68:69], v[6:7] op_sel:[0,0,1] op_sel_hi:[1,0,0]
	v_mov_b32_e32 v6, v67
	v_mov_b32_e32 v9, v7
	v_pk_mul_f32 v[6:7], v[14:15], v[6:7] op_sel_hi:[1,0]
	v_pk_add_f32 v[4:5], v[4:5], v[8:9]
	v_pk_fma_f32 v[8:9], v[14:15], v[66:67], v[6:7] op_sel:[0,0,1] op_sel_hi:[1,1,0] neg_lo:[0,0,1] neg_hi:[0,0,1]
	v_pk_fma_f32 v[6:7], v[14:15], v[66:67], v[6:7] op_sel:[0,0,1] op_sel_hi:[1,0,0]
	v_mov_b32_e32 v6, v65
	v_mov_b32_e32 v9, v7
	s_waitcnt lgkmcnt(0)
	v_pk_mul_f32 v[6:7], v[16:17], v[6:7] op_sel_hi:[1,0]
	v_pk_add_f32 v[4:5], v[4:5], v[8:9]
	v_pk_fma_f32 v[8:9], v[16:17], v[64:65], v[6:7] op_sel:[0,0,1] op_sel_hi:[1,1,0] neg_lo:[0,0,1] neg_hi:[0,0,1]
	v_pk_fma_f32 v[6:7], v[16:17], v[64:65], v[6:7] op_sel:[0,0,1] op_sel_hi:[1,0,0]
	s_waitcnt vmcnt(1)
	v_mov_b32_e32 v6, v73
	v_mov_b32_e32 v9, v7
	v_pk_mul_f32 v[6:7], v[18:19], v[6:7] op_sel_hi:[1,0]
	v_pk_add_f32 v[4:5], v[4:5], v[8:9]
	s_waitcnt vmcnt(0)
	v_pk_fma_f32 v[8:9], v[18:19], v[72:73], v[6:7] op_sel:[0,0,1] op_sel_hi:[1,1,0] neg_lo:[0,0,1] neg_hi:[0,0,1]
	v_pk_fma_f32 v[6:7], v[18:19], v[72:73], v[6:7] op_sel:[0,0,1] op_sel_hi:[1,0,0]
	v_mov_b32_e32 v9, v7
	v_pk_add_f32 v[4:5], v[4:5], v[8:9]
	v_pk_add_f32 v[2:3], v[2:3], v[4:5] neg_lo:[0,1] neg_hi:[0,1]
	buffer_store_dword v3, off, s[0:3], 0 offset:196
	buffer_store_dword v2, off, s[0:3], 0 offset:192
	s_and_saveexec_b64 s[4:5], vcc
	s_cbranch_execz .LBB120_309
; %bb.308:
	buffer_load_dword v2, off, s[0:3], 0 offset:184
	buffer_load_dword v3, off, s[0:3], 0 offset:188
	v_mov_b32_e32 v1, 0
	buffer_store_dword v1, off, s[0:3], 0 offset:184
	buffer_store_dword v1, off, s[0:3], 0 offset:188
	s_waitcnt vmcnt(2)
	ds_write_b64 v165, v[2:3]
.LBB120_309:
	s_or_b64 exec, exec, s[4:5]
	s_waitcnt lgkmcnt(0)
	; wave barrier
	s_waitcnt lgkmcnt(0)
	buffer_load_dword v60, off, s[0:3], 0 offset:196
	buffer_load_dword v66, off, s[0:3], 0 offset:204
	;; [unrolled: 1-line block ×52, first 2 shown]
	v_mov_b32_e32 v1, 0
	ds_read_b128 v[4:7], v1 offset:656
	ds_read_b128 v[8:11], v1 offset:672
	;; [unrolled: 1-line block ×6, first 2 shown]
	v_cmp_lt_u32_e32 vcc, 22, v0
	s_waitcnt vmcnt(51) lgkmcnt(5)
	v_mul_f32_e32 v28, v4, v60
	s_waitcnt vmcnt(50)
	v_mul_f32_e32 v29, v6, v66
	s_waitcnt vmcnt(49) lgkmcnt(4)
	v_mul_f32_e32 v30, v8, v68
	s_waitcnt vmcnt(48)
	v_mul_f32_e32 v31, v10, v82
	;; [unrolled: 4-line block ×5, first 2 shown]
	s_waitcnt vmcnt(41) lgkmcnt(0)
	v_mul_f32_e32 v38, v24, v89
	s_waitcnt vmcnt(40)
	v_fmac_f32_e32 v28, v5, v90
	s_waitcnt vmcnt(39)
	v_fmac_f32_e32 v29, v7, v91
	v_add_f32_e32 v28, 0, v28
	s_waitcnt vmcnt(38)
	v_fmac_f32_e32 v30, v9, v92
	v_add_f32_e32 v28, v28, v29
	;; [unrolled: 3-line block ×9, first 2 shown]
	v_add_f32_e32 v28, v28, v37
	s_waitcnt vmcnt(30)
	v_fmac_f32_e32 v38, v25, v100
	v_add_f32_e32 v32, v28, v38
	ds_read_b128 v[28:31], v1 offset:752
	s_waitcnt vmcnt(29)
	v_mul_f32_e32 v33, v26, v101
	s_waitcnt vmcnt(28)
	v_fmac_f32_e32 v33, v27, v102
	v_add_f32_e32 v36, v32, v33
	ds_read_b128 v[32:35], v1 offset:768
	s_waitcnt vmcnt(27) lgkmcnt(1)
	v_mul_f32_e32 v37, v28, v103
	s_waitcnt vmcnt(26)
	v_fmac_f32_e32 v37, v29, v104
	v_add_f32_e32 v36, v36, v37
	s_waitcnt vmcnt(25)
	v_mul_f32_e32 v37, v30, v105
	s_waitcnt vmcnt(24)
	v_fmac_f32_e32 v37, v31, v106
	v_add_f32_e32 v36, v36, v37
	s_waitcnt vmcnt(23) lgkmcnt(0)
	v_mul_f32_e32 v37, v32, v107
	s_waitcnt vmcnt(22)
	v_fmac_f32_e32 v37, v33, v108
	v_add_f32_e32 v40, v36, v37
	ds_read_b128 v[36:39], v1 offset:784
	s_waitcnt vmcnt(21)
	v_mul_f32_e32 v41, v34, v109
	s_waitcnt vmcnt(20)
	v_fmac_f32_e32 v41, v35, v110
	v_add_f32_e32 v44, v40, v41
	ds_read_b128 v[40:43], v1 offset:800
	s_waitcnt vmcnt(19) lgkmcnt(1)
	v_mul_f32_e32 v45, v36, v111
	s_waitcnt vmcnt(18)
	v_fmac_f32_e32 v45, v37, v112
	v_add_f32_e32 v44, v44, v45
	s_waitcnt vmcnt(17)
	v_mul_f32_e32 v45, v38, v113
	s_waitcnt vmcnt(16)
	v_fmac_f32_e32 v45, v39, v114
	v_add_f32_e32 v44, v44, v45
	s_waitcnt vmcnt(14) lgkmcnt(0)
	v_mul_f32_e32 v45, v40, v116
	v_fmac_f32_e32 v45, v41, v115
	v_add_f32_e32 v48, v44, v45
	ds_read_b128 v[44:47], v1 offset:816
	s_waitcnt vmcnt(10)
	v_mul_f32_e32 v49, v42, v118
	v_fmac_f32_e32 v49, v43, v117
	v_add_f32_e32 v52, v48, v49
	ds_read_b128 v[48:51], v1 offset:832
	s_waitcnt vmcnt(8) lgkmcnt(1)
	v_mul_f32_e32 v53, v44, v120
	v_fmac_f32_e32 v53, v45, v119
	v_add_f32_e32 v52, v52, v53
	s_waitcnt vmcnt(6)
	v_mul_f32_e32 v53, v46, v122
	v_fmac_f32_e32 v53, v47, v121
	v_add_f32_e32 v52, v52, v53
	s_waitcnt vmcnt(4) lgkmcnt(0)
	v_mul_f32_e32 v53, v48, v124
	v_fmac_f32_e32 v53, v49, v123
	v_add_f32_e32 v61, v52, v53
	ds_read_b128 v[52:55], v1 offset:848
	buffer_load_dword v63, off, s[0:3], 0 offset:404
	buffer_load_dword v62, off, s[0:3], 0 offset:400
	;; [unrolled: 1-line block ×4, first 2 shown]
	ds_read_b128 v[56:59], v1 offset:864
	buffer_load_dword v71, off, s[0:3], 0 offset:436
	buffer_load_dword v70, off, s[0:3], 0 offset:432
	buffer_load_dword v73, off, s[0:3], 0 offset:428
	buffer_load_dword v72, off, s[0:3], 0 offset:424
	buffer_load_dword v75, off, s[0:3], 0 offset:420
	buffer_load_dword v74, off, s[0:3], 0 offset:416
	buffer_load_dword v77, off, s[0:3], 0 offset:412
	buffer_load_dword v76, off, s[0:3], 0 offset:408
	buffer_load_dword v79, off, s[0:3], 0 offset:452
	buffer_load_dword v78, off, s[0:3], 0 offset:448
	buffer_load_dword v81, off, s[0:3], 0 offset:444
	buffer_load_dword v80, off, s[0:3], 0 offset:440
	v_mul_f32_e32 v5, v5, v60
	v_fma_f32 v4, v4, v90, -v5
	v_mul_f32_e32 v5, v7, v66
	v_add_f32_e32 v4, 0, v4
	v_fma_f32 v5, v6, v91, -v5
	v_add_f32_e32 v4, v4, v5
	v_mul_f32_e32 v5, v9, v68
	v_fma_f32 v5, v8, v92, -v5
	v_add_f32_e32 v4, v4, v5
	v_mul_f32_e32 v5, v11, v82
	;; [unrolled: 3-line block ×21, first 2 shown]
	v_fma_f32 v5, v48, v123, -v5
	s_waitcnt vmcnt(18)
	v_mul_f32_e32 v67, v50, v126
	v_add_f32_e32 v60, v4, v5
	v_mul_f32_e32 v4, v51, v126
	v_fmac_f32_e32 v67, v51, v125
	s_waitcnt vmcnt(16) lgkmcnt(1)
	v_mul_f32_e32 v69, v52, v128
	v_fma_f32 v66, v50, v125, -v4
	v_mul_f32_e32 v4, v53, v128
	v_fmac_f32_e32 v69, v53, v127
	s_waitcnt vmcnt(13)
	v_mov_b32_e32 v16, v65
	v_pk_mul_f32 v[16:17], v[54:55], v[16:17] op_sel_hi:[1,0]
	s_waitcnt vmcnt(12)
	v_pk_fma_f32 v[18:19], v[54:55], v[64:65], v[16:17] op_sel:[0,0,1] op_sel_hi:[1,1,0] neg_lo:[0,0,1] neg_hi:[0,0,1]
	v_pk_fma_f32 v[16:17], v[54:55], v[64:65], v[16:17] op_sel:[0,0,1] op_sel_hi:[1,0,0]
	v_fma_f32 v68, v52, v127, -v4
	v_pk_add_f32 v[14:15], v[60:61], v[66:67]
	v_mov_b32_e32 v16, v63
	v_pk_add_f32 v[14:15], v[14:15], v[68:69]
	v_mov_b32_e32 v19, v17
	s_waitcnt lgkmcnt(0)
	v_pk_mul_f32 v[16:17], v[56:57], v[16:17] op_sel_hi:[1,0]
	v_pk_add_f32 v[14:15], v[14:15], v[18:19]
	v_pk_fma_f32 v[18:19], v[56:57], v[62:63], v[16:17] op_sel:[0,0,1] op_sel_hi:[1,1,0] neg_lo:[0,0,1] neg_hi:[0,0,1]
	v_pk_fma_f32 v[16:17], v[56:57], v[62:63], v[16:17] op_sel:[0,0,1] op_sel_hi:[1,0,0]
	s_waitcnt vmcnt(5)
	v_mov_b32_e32 v16, v77
	ds_read_b128 v[4:7], v1 offset:880
	ds_read_b128 v[8:11], v1 offset:896
	ds_read_b64 v[12:13], v1 offset:912
	v_mov_b32_e32 v19, v17
	v_pk_mul_f32 v[16:17], v[58:59], v[16:17] op_sel_hi:[1,0]
	v_pk_add_f32 v[14:15], v[14:15], v[18:19]
	s_waitcnt vmcnt(4)
	v_pk_fma_f32 v[18:19], v[58:59], v[76:77], v[16:17] op_sel:[0,0,1] op_sel_hi:[1,1,0] neg_lo:[0,0,1] neg_hi:[0,0,1]
	v_pk_fma_f32 v[16:17], v[58:59], v[76:77], v[16:17] op_sel:[0,0,1] op_sel_hi:[1,0,0]
	v_mov_b32_e32 v16, v75
	v_mov_b32_e32 v19, v17
	s_waitcnt lgkmcnt(2)
	v_pk_mul_f32 v[16:17], v[4:5], v[16:17] op_sel_hi:[1,0]
	v_pk_add_f32 v[14:15], v[14:15], v[18:19]
	v_pk_fma_f32 v[18:19], v[4:5], v[74:75], v[16:17] op_sel:[0,0,1] op_sel_hi:[1,1,0] neg_lo:[0,0,1] neg_hi:[0,0,1]
	v_pk_fma_f32 v[4:5], v[4:5], v[74:75], v[16:17] op_sel:[0,0,1] op_sel_hi:[1,0,0]
	v_mov_b32_e32 v19, v5
	v_pk_add_f32 v[4:5], v[14:15], v[18:19]
	v_mov_b32_e32 v14, v73
	v_pk_mul_f32 v[14:15], v[6:7], v[14:15] op_sel_hi:[1,0]
	v_pk_fma_f32 v[16:17], v[6:7], v[72:73], v[14:15] op_sel:[0,0,1] op_sel_hi:[1,1,0] neg_lo:[0,0,1] neg_hi:[0,0,1]
	v_pk_fma_f32 v[6:7], v[6:7], v[72:73], v[14:15] op_sel:[0,0,1] op_sel_hi:[1,0,0]
	v_mov_b32_e32 v6, v71
	v_mov_b32_e32 v17, v7
	s_waitcnt lgkmcnt(1)
	v_pk_mul_f32 v[6:7], v[8:9], v[6:7] op_sel_hi:[1,0]
	v_pk_fma_f32 v[14:15], v[8:9], v[70:71], v[6:7] op_sel:[0,0,1] op_sel_hi:[1,1,0] neg_lo:[0,0,1] neg_hi:[0,0,1]
	v_pk_fma_f32 v[6:7], v[8:9], v[70:71], v[6:7] op_sel:[0,0,1] op_sel_hi:[1,0,0]
	s_waitcnt vmcnt(1)
	v_mov_b32_e32 v6, v81
	v_mov_b32_e32 v15, v7
	v_pk_mul_f32 v[6:7], v[10:11], v[6:7] op_sel_hi:[1,0]
	s_waitcnt vmcnt(0)
	v_pk_fma_f32 v[8:9], v[10:11], v[80:81], v[6:7] op_sel:[0,0,1] op_sel_hi:[1,1,0] neg_lo:[0,0,1] neg_hi:[0,0,1]
	v_pk_fma_f32 v[6:7], v[10:11], v[80:81], v[6:7] op_sel:[0,0,1] op_sel_hi:[1,0,0]
	v_pk_add_f32 v[4:5], v[4:5], v[16:17]
	v_mov_b32_e32 v6, v79
	v_pk_add_f32 v[4:5], v[4:5], v[14:15]
	v_mov_b32_e32 v9, v7
	s_waitcnt lgkmcnt(0)
	v_pk_mul_f32 v[6:7], v[12:13], v[6:7] op_sel_hi:[1,0]
	v_pk_add_f32 v[4:5], v[4:5], v[8:9]
	v_pk_fma_f32 v[8:9], v[12:13], v[78:79], v[6:7] op_sel:[0,0,1] op_sel_hi:[1,1,0] neg_lo:[0,0,1] neg_hi:[0,0,1]
	v_pk_fma_f32 v[6:7], v[12:13], v[78:79], v[6:7] op_sel:[0,0,1] op_sel_hi:[1,0,0]
	v_mov_b32_e32 v9, v7
	v_pk_add_f32 v[4:5], v[4:5], v[8:9]
	v_pk_add_f32 v[2:3], v[2:3], v[4:5] neg_lo:[0,1] neg_hi:[0,1]
	buffer_store_dword v3, off, s[0:3], 0 offset:188
	buffer_store_dword v2, off, s[0:3], 0 offset:184
	s_and_saveexec_b64 s[4:5], vcc
	s_cbranch_execz .LBB120_311
; %bb.310:
	buffer_load_dword v2, off, s[0:3], 0 offset:176
	buffer_load_dword v3, off, s[0:3], 0 offset:180
	s_waitcnt vmcnt(0)
	ds_write_b64 v165, v[2:3]
	buffer_store_dword v1, off, s[0:3], 0 offset:176
	buffer_store_dword v1, off, s[0:3], 0 offset:180
.LBB120_311:
	s_or_b64 exec, exec, s[4:5]
	s_waitcnt lgkmcnt(0)
	; wave barrier
	s_waitcnt lgkmcnt(0)
	buffer_load_dword v62, off, s[0:3], 0 offset:188
	buffer_load_dword v64, off, s[0:3], 0 offset:196
	;; [unrolled: 1-line block ×42, first 2 shown]
	ds_read2_b64 v[4:7], v1 offset0:81 offset1:82
	ds_read2_b64 v[8:11], v1 offset0:83 offset1:84
	buffer_load_dword v119, off, s[0:3], 0 offset:344
	buffer_load_dword v120, off, s[0:3], 0 offset:348
	ds_read2_b64 v[12:15], v1 offset0:85 offset1:86
	ds_read2_b64 v[16:19], v1 offset0:87 offset1:88
	buffer_load_dword v121, off, s[0:3], 0 offset:352
	buffer_load_dword v122, off, s[0:3], 0 offset:356
	;; [unrolled: 1-line block ×4, first 2 shown]
	ds_read2_b64 v[20:23], v1 offset0:89 offset1:90
	ds_read2_b64 v[24:27], v1 offset0:91 offset1:92
	buffer_load_dword v125, off, s[0:3], 0 offset:368
	buffer_load_dword v126, off, s[0:3], 0 offset:372
	;; [unrolled: 1-line block ×6, first 2 shown]
	v_cmp_lt_u32_e32 vcc, 21, v0
	s_waitcnt vmcnt(53) lgkmcnt(5)
	v_mul_f32_e32 v28, v4, v62
	s_waitcnt vmcnt(52)
	v_mul_f32_e32 v29, v6, v64
	s_waitcnt vmcnt(51) lgkmcnt(4)
	v_mul_f32_e32 v30, v8, v66
	s_waitcnt vmcnt(50)
	v_mul_f32_e32 v31, v10, v82
	;; [unrolled: 4-line block ×5, first 2 shown]
	s_waitcnt vmcnt(43)
	v_fmac_f32_e32 v28, v5, v89
	s_waitcnt vmcnt(42)
	v_fmac_f32_e32 v29, v7, v90
	v_add_f32_e32 v28, 0, v28
	s_waitcnt vmcnt(41)
	v_fmac_f32_e32 v30, v9, v91
	v_add_f32_e32 v28, v28, v29
	;; [unrolled: 3-line block ×9, first 2 shown]
	s_waitcnt vmcnt(33) lgkmcnt(0)
	v_mul_f32_e32 v29, v24, v99
	v_add_f32_e32 v28, v28, v37
	s_waitcnt vmcnt(32)
	v_fmac_f32_e32 v29, v25, v100
	v_add_f32_e32 v32, v28, v29
	ds_read2_b64 v[28:31], v1 offset0:93 offset1:94
	s_waitcnt vmcnt(31)
	v_mul_f32_e32 v33, v26, v101
	s_waitcnt vmcnt(30)
	v_fmac_f32_e32 v33, v27, v102
	v_add_f32_e32 v36, v32, v33
	ds_read2_b64 v[32:35], v1 offset0:95 offset1:96
	s_waitcnt vmcnt(29) lgkmcnt(1)
	v_mul_f32_e32 v37, v28, v103
	s_waitcnt vmcnt(28)
	v_fmac_f32_e32 v37, v29, v104
	v_add_f32_e32 v36, v36, v37
	s_waitcnt vmcnt(27)
	v_mul_f32_e32 v37, v30, v105
	s_waitcnt vmcnt(26)
	v_fmac_f32_e32 v37, v31, v106
	v_add_f32_e32 v36, v36, v37
	s_waitcnt vmcnt(25) lgkmcnt(0)
	v_mul_f32_e32 v37, v32, v107
	s_waitcnt vmcnt(24)
	v_fmac_f32_e32 v37, v33, v108
	v_add_f32_e32 v40, v36, v37
	ds_read2_b64 v[36:39], v1 offset0:97 offset1:98
	s_waitcnt vmcnt(23)
	v_mul_f32_e32 v41, v34, v109
	s_waitcnt vmcnt(22)
	v_fmac_f32_e32 v41, v35, v110
	v_add_f32_e32 v44, v40, v41
	ds_read2_b64 v[40:43], v1 offset0:99 offset1:100
	s_waitcnt vmcnt(21) lgkmcnt(1)
	v_mul_f32_e32 v45, v36, v111
	s_waitcnt vmcnt(20)
	v_fmac_f32_e32 v45, v37, v112
	v_add_f32_e32 v44, v44, v45
	s_waitcnt vmcnt(18)
	v_mul_f32_e32 v45, v38, v114
	v_fmac_f32_e32 v45, v39, v113
	v_add_f32_e32 v44, v44, v45
	s_waitcnt vmcnt(15) lgkmcnt(0)
	v_mul_f32_e32 v45, v40, v115
	s_waitcnt vmcnt(14)
	v_fmac_f32_e32 v45, v41, v116
	v_add_f32_e32 v48, v44, v45
	ds_read2_b64 v[44:47], v1 offset0:101 offset1:102
	s_waitcnt vmcnt(12)
	v_mul_f32_e32 v49, v42, v118
	v_fmac_f32_e32 v49, v43, v117
	v_add_f32_e32 v52, v48, v49
	ds_read2_b64 v[48:51], v1 offset0:103 offset1:104
	buffer_load_dword v61, off, s[0:3], 0 offset:396
	buffer_load_dword v60, off, s[0:3], 0 offset:392
	s_waitcnt vmcnt(12) lgkmcnt(1)
	v_mul_f32_e32 v53, v44, v120
	v_fmac_f32_e32 v53, v45, v119
	v_add_f32_e32 v52, v52, v53
	s_waitcnt vmcnt(10)
	v_mul_f32_e32 v53, v46, v122
	v_fmac_f32_e32 v53, v47, v121
	v_add_f32_e32 v52, v52, v53
	s_waitcnt vmcnt(8) lgkmcnt(0)
	v_mul_f32_e32 v53, v48, v124
	v_fmac_f32_e32 v53, v49, v123
	s_waitcnt vmcnt(6)
	v_mul_f32_e32 v57, v50, v126
	v_add_f32_e32 v56, v52, v53
	v_fmac_f32_e32 v57, v51, v125
	ds_read2_b64 v[52:55], v1 offset0:105 offset1:106
	v_add_f32_e32 v63, v56, v57
	ds_read2_b64 v[56:59], v1 offset0:107 offset1:108
	buffer_load_dword v69, off, s[0:3], 0 offset:428
	buffer_load_dword v68, off, s[0:3], 0 offset:424
	;; [unrolled: 1-line block ×14, first 2 shown]
	v_mul_f32_e32 v5, v5, v62
	v_fma_f32 v4, v4, v89, -v5
	v_mul_f32_e32 v5, v7, v64
	v_add_f32_e32 v4, 0, v4
	v_fma_f32 v5, v6, v90, -v5
	v_add_f32_e32 v4, v4, v5
	v_mul_f32_e32 v5, v9, v66
	v_fma_f32 v5, v8, v91, -v5
	v_add_f32_e32 v4, v4, v5
	v_mul_f32_e32 v5, v11, v82
	;; [unrolled: 3-line block ×22, first 2 shown]
	v_fma_f32 v5, v50, v125, -v5
	s_waitcnt vmcnt(15)
	v_mov_b32_e32 v18, v61
	s_waitcnt lgkmcnt(1)
	v_mul_f32_e32 v65, v52, v128
	v_add_f32_e32 v62, v4, v5
	v_mul_f32_e32 v4, v53, v128
	s_waitcnt lgkmcnt(0)
	v_pk_mul_f32 v[18:19], v[56:57], v[18:19] op_sel_hi:[1,0]
	v_fmac_f32_e32 v65, v53, v127
	v_mul_f32_e32 v67, v54, v130
	v_fma_f32 v64, v52, v127, -v4
	v_mul_f32_e32 v4, v55, v130
	s_waitcnt vmcnt(14)
	v_pk_fma_f32 v[20:21], v[56:57], v[60:61], v[18:19] op_sel:[0,0,1] op_sel_hi:[1,1,0] neg_lo:[0,0,1] neg_hi:[0,0,1]
	v_pk_fma_f32 v[18:19], v[56:57], v[60:61], v[18:19] op_sel:[0,0,1] op_sel_hi:[1,0,0]
	v_fmac_f32_e32 v67, v55, v129
	v_fma_f32 v66, v54, v129, -v4
	v_pk_add_f32 v[16:17], v[62:63], v[64:65]
	s_waitcnt vmcnt(7)
	v_mov_b32_e32 v18, v75
	ds_read2_b64 v[4:7], v1 offset0:109 offset1:110
	ds_read2_b64 v[8:11], v1 offset0:111 offset1:112
	;; [unrolled: 1-line block ×3, first 2 shown]
	v_pk_add_f32 v[16:17], v[16:17], v[66:67]
	v_mov_b32_e32 v21, v19
	v_pk_mul_f32 v[18:19], v[58:59], v[18:19] op_sel_hi:[1,0]
	v_pk_add_f32 v[16:17], v[16:17], v[20:21]
	s_waitcnt vmcnt(6)
	v_pk_fma_f32 v[20:21], v[58:59], v[74:75], v[18:19] op_sel:[0,0,1] op_sel_hi:[1,1,0] neg_lo:[0,0,1] neg_hi:[0,0,1]
	v_pk_fma_f32 v[18:19], v[58:59], v[74:75], v[18:19] op_sel:[0,0,1] op_sel_hi:[1,0,0]
	v_mov_b32_e32 v18, v73
	v_mov_b32_e32 v21, v19
	s_waitcnt lgkmcnt(2)
	v_pk_mul_f32 v[18:19], v[4:5], v[18:19] op_sel_hi:[1,0]
	v_pk_add_f32 v[16:17], v[16:17], v[20:21]
	v_pk_fma_f32 v[20:21], v[4:5], v[72:73], v[18:19] op_sel:[0,0,1] op_sel_hi:[1,1,0] neg_lo:[0,0,1] neg_hi:[0,0,1]
	v_pk_fma_f32 v[4:5], v[4:5], v[72:73], v[18:19] op_sel:[0,0,1] op_sel_hi:[1,0,0]
	v_mov_b32_e32 v21, v5
	v_pk_add_f32 v[4:5], v[16:17], v[20:21]
	v_mov_b32_e32 v16, v71
	v_pk_mul_f32 v[16:17], v[6:7], v[16:17] op_sel_hi:[1,0]
	v_pk_fma_f32 v[18:19], v[6:7], v[70:71], v[16:17] op_sel:[0,0,1] op_sel_hi:[1,1,0] neg_lo:[0,0,1] neg_hi:[0,0,1]
	v_pk_fma_f32 v[6:7], v[6:7], v[70:71], v[16:17] op_sel:[0,0,1] op_sel_hi:[1,0,0]
	v_mov_b32_e32 v6, v69
	v_mov_b32_e32 v19, v7
	s_waitcnt lgkmcnt(1)
	v_pk_mul_f32 v[6:7], v[8:9], v[6:7] op_sel_hi:[1,0]
	v_pk_fma_f32 v[16:17], v[8:9], v[68:69], v[6:7] op_sel:[0,0,1] op_sel_hi:[1,1,0] neg_lo:[0,0,1] neg_hi:[0,0,1]
	v_pk_fma_f32 v[6:7], v[8:9], v[68:69], v[6:7] op_sel:[0,0,1] op_sel_hi:[1,0,0]
	s_waitcnt vmcnt(1)
	v_mov_b32_e32 v6, v81
	v_mov_b32_e32 v17, v7
	v_pk_mul_f32 v[6:7], v[10:11], v[6:7] op_sel_hi:[1,0]
	s_waitcnt vmcnt(0)
	v_pk_fma_f32 v[8:9], v[10:11], v[80:81], v[6:7] op_sel:[0,0,1] op_sel_hi:[1,1,0] neg_lo:[0,0,1] neg_hi:[0,0,1]
	v_pk_fma_f32 v[6:7], v[10:11], v[80:81], v[6:7] op_sel:[0,0,1] op_sel_hi:[1,0,0]
	v_pk_add_f32 v[4:5], v[4:5], v[18:19]
	v_mov_b32_e32 v6, v79
	v_pk_add_f32 v[4:5], v[4:5], v[16:17]
	v_mov_b32_e32 v9, v7
	s_waitcnt lgkmcnt(0)
	v_pk_mul_f32 v[6:7], v[12:13], v[6:7] op_sel_hi:[1,0]
	v_pk_add_f32 v[4:5], v[4:5], v[8:9]
	v_pk_fma_f32 v[8:9], v[12:13], v[78:79], v[6:7] op_sel:[0,0,1] op_sel_hi:[1,1,0] neg_lo:[0,0,1] neg_hi:[0,0,1]
	v_pk_fma_f32 v[6:7], v[12:13], v[78:79], v[6:7] op_sel:[0,0,1] op_sel_hi:[1,0,0]
	v_mov_b32_e32 v6, v77
	v_mov_b32_e32 v9, v7
	v_pk_mul_f32 v[6:7], v[14:15], v[6:7] op_sel_hi:[1,0]
	v_pk_add_f32 v[4:5], v[4:5], v[8:9]
	v_pk_fma_f32 v[8:9], v[14:15], v[76:77], v[6:7] op_sel:[0,0,1] op_sel_hi:[1,1,0] neg_lo:[0,0,1] neg_hi:[0,0,1]
	v_pk_fma_f32 v[6:7], v[14:15], v[76:77], v[6:7] op_sel:[0,0,1] op_sel_hi:[1,0,0]
	v_mov_b32_e32 v9, v7
	v_pk_add_f32 v[4:5], v[4:5], v[8:9]
	v_pk_add_f32 v[2:3], v[2:3], v[4:5] neg_lo:[0,1] neg_hi:[0,1]
	buffer_store_dword v3, off, s[0:3], 0 offset:180
	buffer_store_dword v2, off, s[0:3], 0 offset:176
	s_and_saveexec_b64 s[4:5], vcc
	s_cbranch_execz .LBB120_313
; %bb.312:
	buffer_load_dword v2, off, s[0:3], 0 offset:168
	buffer_load_dword v3, off, s[0:3], 0 offset:172
	v_mov_b32_e32 v1, 0
	buffer_store_dword v1, off, s[0:3], 0 offset:168
	buffer_store_dword v1, off, s[0:3], 0 offset:172
	s_waitcnt vmcnt(2)
	ds_write_b64 v165, v[2:3]
.LBB120_313:
	s_or_b64 exec, exec, s[4:5]
	s_waitcnt lgkmcnt(0)
	; wave barrier
	s_waitcnt lgkmcnt(0)
	buffer_load_dword v60, off, s[0:3], 0 offset:180
	buffer_load_dword v62, off, s[0:3], 0 offset:188
	;; [unrolled: 1-line block ×56, first 2 shown]
	v_mov_b32_e32 v1, 0
	ds_read_b128 v[4:7], v1 offset:640
	ds_read_b128 v[8:11], v1 offset:656
	;; [unrolled: 1-line block ×6, first 2 shown]
	v_cmp_lt_u32_e32 vcc, 20, v0
	s_waitcnt vmcnt(55) lgkmcnt(5)
	v_mul_f32_e32 v28, v4, v60
	s_waitcnt vmcnt(54)
	v_mul_f32_e32 v29, v6, v62
	s_waitcnt vmcnt(53) lgkmcnt(4)
	v_mul_f32_e32 v30, v8, v64
	s_waitcnt vmcnt(52)
	v_mul_f32_e32 v31, v10, v82
	;; [unrolled: 4-line block ×4, first 2 shown]
	s_waitcnt vmcnt(47) lgkmcnt(1)
	v_mul_f32_e32 v36, v20, v87
	s_waitcnt vmcnt(46)
	v_fmac_f32_e32 v28, v5, v88
	s_waitcnt vmcnt(45)
	v_fmac_f32_e32 v29, v7, v89
	v_add_f32_e32 v28, 0, v28
	s_waitcnt vmcnt(44)
	v_fmac_f32_e32 v30, v9, v90
	v_add_f32_e32 v28, v28, v29
	s_waitcnt vmcnt(43)
	v_fmac_f32_e32 v31, v11, v91
	v_add_f32_e32 v28, v28, v30
	s_waitcnt vmcnt(42)
	v_fmac_f32_e32 v32, v13, v92
	v_add_f32_e32 v28, v28, v31
	s_waitcnt vmcnt(41)
	v_fmac_f32_e32 v33, v15, v93
	v_add_f32_e32 v28, v28, v32
	s_waitcnt vmcnt(40)
	v_fmac_f32_e32 v34, v17, v94
	v_add_f32_e32 v28, v28, v33
	s_waitcnt vmcnt(39)
	v_fmac_f32_e32 v35, v19, v95
	v_add_f32_e32 v28, v28, v34
	v_add_f32_e32 v28, v28, v35
	s_waitcnt vmcnt(38)
	v_fmac_f32_e32 v36, v21, v96
	s_waitcnt vmcnt(37)
	v_mul_f32_e32 v29, v22, v97
	v_add_f32_e32 v28, v28, v36
	s_waitcnt vmcnt(36)
	v_fmac_f32_e32 v29, v23, v98
	v_add_f32_e32 v28, v28, v29
	s_waitcnt vmcnt(35) lgkmcnt(0)
	v_mul_f32_e32 v29, v24, v99
	s_waitcnt vmcnt(34)
	v_fmac_f32_e32 v29, v25, v100
	v_add_f32_e32 v32, v28, v29
	ds_read_b128 v[28:31], v1 offset:736
	s_waitcnt vmcnt(33)
	v_mul_f32_e32 v33, v26, v101
	s_waitcnt vmcnt(32)
	v_fmac_f32_e32 v33, v27, v102
	v_add_f32_e32 v36, v32, v33
	ds_read_b128 v[32:35], v1 offset:752
	s_waitcnt vmcnt(31) lgkmcnt(1)
	v_mul_f32_e32 v37, v28, v103
	s_waitcnt vmcnt(30)
	v_fmac_f32_e32 v37, v29, v104
	v_add_f32_e32 v36, v36, v37
	s_waitcnt vmcnt(29)
	v_mul_f32_e32 v37, v30, v105
	s_waitcnt vmcnt(28)
	v_fmac_f32_e32 v37, v31, v106
	v_add_f32_e32 v36, v36, v37
	s_waitcnt vmcnt(27) lgkmcnt(0)
	v_mul_f32_e32 v37, v32, v107
	s_waitcnt vmcnt(26)
	v_fmac_f32_e32 v37, v33, v108
	v_add_f32_e32 v40, v36, v37
	ds_read_b128 v[36:39], v1 offset:768
	s_waitcnt vmcnt(24)
	v_mul_f32_e32 v41, v34, v110
	v_fmac_f32_e32 v41, v35, v109
	v_add_f32_e32 v44, v40, v41
	ds_read_b128 v[40:43], v1 offset:784
	s_waitcnt vmcnt(20) lgkmcnt(1)
	v_mul_f32_e32 v45, v36, v112
	v_fmac_f32_e32 v45, v37, v111
	v_add_f32_e32 v44, v44, v45
	s_waitcnt vmcnt(18)
	v_mul_f32_e32 v45, v38, v114
	v_fmac_f32_e32 v45, v39, v113
	v_add_f32_e32 v44, v44, v45
	s_waitcnt vmcnt(16) lgkmcnt(0)
	v_mul_f32_e32 v45, v40, v116
	v_fmac_f32_e32 v45, v41, v115
	v_add_f32_e32 v48, v44, v45
	ds_read_b128 v[44:47], v1 offset:800
	s_waitcnt vmcnt(14)
	v_mul_f32_e32 v49, v42, v118
	v_fmac_f32_e32 v49, v43, v117
	v_add_f32_e32 v52, v48, v49
	ds_read_b128 v[48:51], v1 offset:816
	s_waitcnt vmcnt(12) lgkmcnt(1)
	v_mul_f32_e32 v53, v44, v120
	v_fmac_f32_e32 v53, v45, v119
	v_add_f32_e32 v52, v52, v53
	s_waitcnt vmcnt(10)
	v_mul_f32_e32 v53, v46, v122
	v_fmac_f32_e32 v53, v47, v121
	v_add_f32_e32 v52, v52, v53
	s_waitcnt vmcnt(8) lgkmcnt(0)
	v_mul_f32_e32 v53, v48, v124
	v_fmac_f32_e32 v53, v49, v123
	s_waitcnt vmcnt(6)
	v_mul_f32_e32 v57, v50, v126
	v_add_f32_e32 v56, v52, v53
	v_fmac_f32_e32 v57, v51, v125
	ds_read_b128 v[52:55], v1 offset:832
	v_add_f32_e32 v61, v56, v57
	ds_read_b128 v[56:59], v1 offset:848
	buffer_load_dword v67, off, s[0:3], 0 offset:420
	buffer_load_dword v66, off, s[0:3], 0 offset:416
	;; [unrolled: 1-line block ×16, first 2 shown]
	v_mul_f32_e32 v5, v5, v60
	v_fma_f32 v4, v4, v88, -v5
	v_mul_f32_e32 v5, v7, v62
	v_add_f32_e32 v4, 0, v4
	v_fma_f32 v5, v6, v89, -v5
	v_add_f32_e32 v4, v4, v5
	v_mul_f32_e32 v5, v9, v64
	v_fma_f32 v5, v8, v90, -v5
	v_add_f32_e32 v4, v4, v5
	v_mul_f32_e32 v5, v11, v82
	;; [unrolled: 3-line block ×22, first 2 shown]
	v_fma_f32 v5, v50, v125, -v5
	v_add_f32_e32 v4, v4, v5
	s_waitcnt vmcnt(20) lgkmcnt(1)
	v_mul_f32_e32 v5, v53, v128
	v_mul_f32_e32 v63, v52, v128
	v_fma_f32 v5, v52, v127, -v5
	v_fmac_f32_e32 v63, v53, v127
	v_add_f32_e32 v60, v4, v5
	s_waitcnt vmcnt(18)
	v_mul_f32_e32 v4, v55, v130
	s_waitcnt vmcnt(9)
	v_mov_b32_e32 v20, v73
	v_add_f32_e32 v61, v61, v63
	v_mul_f32_e32 v63, v54, v130
	v_fma_f32 v62, v54, v129, -v4
	s_waitcnt lgkmcnt(0)
	v_mul_f32_e32 v4, v57, v132
	v_pk_mul_f32 v[20:21], v[58:59], v[20:21] op_sel_hi:[1,0]
	v_fmac_f32_e32 v63, v55, v129
	v_mul_f32_e32 v65, v56, v132
	v_fma_f32 v64, v56, v131, -v4
	ds_read_b128 v[4:7], v1 offset:864
	ds_read_b128 v[8:11], v1 offset:880
	;; [unrolled: 1-line block ×3, first 2 shown]
	ds_read_b64 v[16:17], v1 offset:912
	s_waitcnt vmcnt(8)
	v_pk_fma_f32 v[22:23], v[58:59], v[72:73], v[20:21] op_sel:[0,0,1] op_sel_hi:[1,1,0] neg_lo:[0,0,1] neg_hi:[0,0,1]
	v_pk_fma_f32 v[20:21], v[58:59], v[72:73], v[20:21] op_sel:[0,0,1] op_sel_hi:[1,0,0]
	v_fmac_f32_e32 v65, v57, v131
	v_pk_add_f32 v[18:19], v[60:61], v[62:63]
	v_mov_b32_e32 v20, v71
	v_pk_add_f32 v[18:19], v[18:19], v[64:65]
	v_mov_b32_e32 v23, v21
	s_waitcnt lgkmcnt(3)
	v_pk_mul_f32 v[20:21], v[4:5], v[20:21] op_sel_hi:[1,0]
	v_pk_add_f32 v[18:19], v[18:19], v[22:23]
	v_pk_fma_f32 v[22:23], v[4:5], v[70:71], v[20:21] op_sel:[0,0,1] op_sel_hi:[1,1,0] neg_lo:[0,0,1] neg_hi:[0,0,1]
	v_pk_fma_f32 v[4:5], v[4:5], v[70:71], v[20:21] op_sel:[0,0,1] op_sel_hi:[1,0,0]
	v_mov_b32_e32 v23, v5
	v_pk_add_f32 v[4:5], v[18:19], v[22:23]
	v_mov_b32_e32 v18, v69
	v_pk_mul_f32 v[18:19], v[6:7], v[18:19] op_sel_hi:[1,0]
	v_pk_fma_f32 v[20:21], v[6:7], v[68:69], v[18:19] op_sel:[0,0,1] op_sel_hi:[1,1,0] neg_lo:[0,0,1] neg_hi:[0,0,1]
	v_pk_fma_f32 v[6:7], v[6:7], v[68:69], v[18:19] op_sel:[0,0,1] op_sel_hi:[1,0,0]
	v_mov_b32_e32 v6, v67
	v_mov_b32_e32 v21, v7
	s_waitcnt lgkmcnt(2)
	v_pk_mul_f32 v[6:7], v[8:9], v[6:7] op_sel_hi:[1,0]
	v_pk_fma_f32 v[18:19], v[8:9], v[66:67], v[6:7] op_sel:[0,0,1] op_sel_hi:[1,1,0] neg_lo:[0,0,1] neg_hi:[0,0,1]
	v_pk_fma_f32 v[6:7], v[8:9], v[66:67], v[6:7] op_sel:[0,0,1] op_sel_hi:[1,0,0]
	s_waitcnt vmcnt(1)
	v_mov_b32_e32 v6, v81
	v_mov_b32_e32 v19, v7
	v_pk_mul_f32 v[6:7], v[10:11], v[6:7] op_sel_hi:[1,0]
	s_waitcnt vmcnt(0)
	v_pk_fma_f32 v[8:9], v[10:11], v[80:81], v[6:7] op_sel:[0,0,1] op_sel_hi:[1,1,0] neg_lo:[0,0,1] neg_hi:[0,0,1]
	v_pk_fma_f32 v[6:7], v[10:11], v[80:81], v[6:7] op_sel:[0,0,1] op_sel_hi:[1,0,0]
	v_pk_add_f32 v[4:5], v[4:5], v[20:21]
	v_mov_b32_e32 v6, v79
	v_pk_add_f32 v[4:5], v[4:5], v[18:19]
	v_mov_b32_e32 v9, v7
	s_waitcnt lgkmcnt(1)
	v_pk_mul_f32 v[6:7], v[12:13], v[6:7] op_sel_hi:[1,0]
	v_pk_add_f32 v[4:5], v[4:5], v[8:9]
	v_pk_fma_f32 v[8:9], v[12:13], v[78:79], v[6:7] op_sel:[0,0,1] op_sel_hi:[1,1,0] neg_lo:[0,0,1] neg_hi:[0,0,1]
	v_pk_fma_f32 v[6:7], v[12:13], v[78:79], v[6:7] op_sel:[0,0,1] op_sel_hi:[1,0,0]
	v_mov_b32_e32 v6, v77
	v_mov_b32_e32 v9, v7
	v_pk_mul_f32 v[6:7], v[14:15], v[6:7] op_sel_hi:[1,0]
	v_pk_add_f32 v[4:5], v[4:5], v[8:9]
	v_pk_fma_f32 v[8:9], v[14:15], v[76:77], v[6:7] op_sel:[0,0,1] op_sel_hi:[1,1,0] neg_lo:[0,0,1] neg_hi:[0,0,1]
	v_pk_fma_f32 v[6:7], v[14:15], v[76:77], v[6:7] op_sel:[0,0,1] op_sel_hi:[1,0,0]
	v_mov_b32_e32 v6, v75
	v_mov_b32_e32 v9, v7
	s_waitcnt lgkmcnt(0)
	v_pk_mul_f32 v[6:7], v[16:17], v[6:7] op_sel_hi:[1,0]
	v_pk_add_f32 v[4:5], v[4:5], v[8:9]
	v_pk_fma_f32 v[8:9], v[16:17], v[74:75], v[6:7] op_sel:[0,0,1] op_sel_hi:[1,1,0] neg_lo:[0,0,1] neg_hi:[0,0,1]
	v_pk_fma_f32 v[6:7], v[16:17], v[74:75], v[6:7] op_sel:[0,0,1] op_sel_hi:[1,0,0]
	v_mov_b32_e32 v9, v7
	v_pk_add_f32 v[4:5], v[4:5], v[8:9]
	v_pk_add_f32 v[2:3], v[2:3], v[4:5] neg_lo:[0,1] neg_hi:[0,1]
	buffer_store_dword v3, off, s[0:3], 0 offset:172
	buffer_store_dword v2, off, s[0:3], 0 offset:168
	s_and_saveexec_b64 s[4:5], vcc
	s_cbranch_execz .LBB120_315
; %bb.314:
	buffer_load_dword v2, off, s[0:3], 0 offset:160
	buffer_load_dword v3, off, s[0:3], 0 offset:164
	s_waitcnt vmcnt(0)
	ds_write_b64 v165, v[2:3]
	buffer_store_dword v1, off, s[0:3], 0 offset:160
	buffer_store_dword v1, off, s[0:3], 0 offset:164
.LBB120_315:
	s_or_b64 exec, exec, s[4:5]
	s_waitcnt lgkmcnt(0)
	; wave barrier
	s_waitcnt lgkmcnt(0)
	buffer_load_dword v60, off, s[0:3], 0 offset:172
	buffer_load_dword v62, off, s[0:3], 0 offset:180
	buffer_load_dword v70, off, s[0:3], 0 offset:188
	buffer_load_dword v82, off, s[0:3], 0 offset:196
	buffer_load_dword v83, off, s[0:3], 0 offset:204
	buffer_load_dword v84, off, s[0:3], 0 offset:212
	buffer_load_dword v85, off, s[0:3], 0 offset:220
	buffer_load_dword v86, off, s[0:3], 0 offset:228
	buffer_load_dword v87, off, s[0:3], 0 offset:168
	buffer_load_dword v88, off, s[0:3], 0 offset:176
	buffer_load_dword v89, off, s[0:3], 0 offset:184
	buffer_load_dword v90, off, s[0:3], 0 offset:192
	buffer_load_dword v91, off, s[0:3], 0 offset:200
	buffer_load_dword v92, off, s[0:3], 0 offset:208
	buffer_load_dword v93, off, s[0:3], 0 offset:216
	buffer_load_dword v94, off, s[0:3], 0 offset:224
	buffer_load_dword v95, off, s[0:3], 0 offset:236
	buffer_load_dword v96, off, s[0:3], 0 offset:232
	buffer_load_dword v97, off, s[0:3], 0 offset:244
	buffer_load_dword v98, off, s[0:3], 0 offset:240
	buffer_load_dword v99, off, s[0:3], 0 offset:252
	buffer_load_dword v100, off, s[0:3], 0 offset:248
	buffer_load_dword v101, off, s[0:3], 0 offset:260
	buffer_load_dword v102, off, s[0:3], 0 offset:256
	buffer_load_dword v103, off, s[0:3], 0 offset:268
	buffer_load_dword v104, off, s[0:3], 0 offset:264
	buffer_load_dword v105, off, s[0:3], 0 offset:276
	buffer_load_dword v106, off, s[0:3], 0 offset:272
	buffer_load_dword v107, off, s[0:3], 0 offset:284
	buffer_load_dword v108, off, s[0:3], 0 offset:280
	buffer_load_dword v2, off, s[0:3], 0 offset:160
	buffer_load_dword v3, off, s[0:3], 0 offset:164
	buffer_load_dword v109, off, s[0:3], 0 offset:292
	buffer_load_dword v110, off, s[0:3], 0 offset:288
	buffer_load_dword v111, off, s[0:3], 0 offset:296
	buffer_load_dword v112, off, s[0:3], 0 offset:300
	ds_read2_b64 v[4:7], v1 offset0:79 offset1:80
	ds_read2_b64 v[8:11], v1 offset0:81 offset1:82
	buffer_load_dword v113, off, s[0:3], 0 offset:304
	buffer_load_dword v114, off, s[0:3], 0 offset:308
	;; [unrolled: 1-line block ×4, first 2 shown]
	ds_read2_b64 v[12:15], v1 offset0:83 offset1:84
	ds_read2_b64 v[16:19], v1 offset0:85 offset1:86
	buffer_load_dword v117, off, s[0:3], 0 offset:320
	buffer_load_dword v118, off, s[0:3], 0 offset:324
	ds_read2_b64 v[20:23], v1 offset0:87 offset1:88
	ds_read2_b64 v[24:27], v1 offset0:89 offset1:90
	buffer_load_dword v119, off, s[0:3], 0 offset:328
	buffer_load_dword v120, off, s[0:3], 0 offset:332
	;; [unrolled: 1-line block ×16, first 2 shown]
	v_cmp_lt_u32_e32 vcc, 19, v0
	s_waitcnt vmcnt(57) lgkmcnt(5)
	v_mul_f32_e32 v28, v4, v60
	s_waitcnt vmcnt(56)
	v_mul_f32_e32 v29, v6, v62
	s_waitcnt vmcnt(55) lgkmcnt(4)
	v_mul_f32_e32 v30, v8, v70
	s_waitcnt vmcnt(54)
	v_mul_f32_e32 v31, v10, v82
	s_waitcnt vmcnt(53) lgkmcnt(3)
	v_mul_f32_e32 v32, v12, v83
	s_waitcnt vmcnt(52)
	v_mul_f32_e32 v33, v14, v84
	s_waitcnt vmcnt(51) lgkmcnt(2)
	v_mul_f32_e32 v34, v16, v85
	s_waitcnt vmcnt(50)
	v_mul_f32_e32 v35, v18, v86
	s_waitcnt vmcnt(49)
	v_fmac_f32_e32 v28, v5, v87
	s_waitcnt vmcnt(48)
	v_fmac_f32_e32 v29, v7, v88
	v_add_f32_e32 v28, 0, v28
	s_waitcnt vmcnt(47)
	v_fmac_f32_e32 v30, v9, v89
	v_add_f32_e32 v28, v28, v29
	;; [unrolled: 3-line block ×7, first 2 shown]
	s_waitcnt vmcnt(41) lgkmcnt(1)
	v_mul_f32_e32 v29, v20, v95
	v_add_f32_e32 v28, v28, v35
	s_waitcnt vmcnt(40)
	v_fmac_f32_e32 v29, v21, v96
	v_add_f32_e32 v28, v28, v29
	s_waitcnt vmcnt(39)
	v_mul_f32_e32 v29, v22, v97
	s_waitcnt vmcnt(38)
	v_fmac_f32_e32 v29, v23, v98
	v_add_f32_e32 v28, v28, v29
	s_waitcnt vmcnt(37) lgkmcnt(0)
	v_mul_f32_e32 v29, v24, v99
	s_waitcnt vmcnt(36)
	v_fmac_f32_e32 v29, v25, v100
	v_add_f32_e32 v32, v28, v29
	ds_read2_b64 v[28:31], v1 offset0:91 offset1:92
	s_waitcnt vmcnt(35)
	v_mul_f32_e32 v33, v26, v101
	s_waitcnt vmcnt(34)
	v_fmac_f32_e32 v33, v27, v102
	v_add_f32_e32 v36, v32, v33
	ds_read2_b64 v[32:35], v1 offset0:93 offset1:94
	s_waitcnt vmcnt(33) lgkmcnt(1)
	v_mul_f32_e32 v37, v28, v103
	s_waitcnt vmcnt(32)
	v_fmac_f32_e32 v37, v29, v104
	v_add_f32_e32 v36, v36, v37
	s_waitcnt vmcnt(31)
	v_mul_f32_e32 v37, v30, v105
	s_waitcnt vmcnt(30)
	v_fmac_f32_e32 v37, v31, v106
	v_add_f32_e32 v36, v36, v37
	s_waitcnt vmcnt(29) lgkmcnt(0)
	v_mul_f32_e32 v37, v32, v107
	s_waitcnt vmcnt(28)
	v_fmac_f32_e32 v37, v33, v108
	v_add_f32_e32 v40, v36, v37
	ds_read2_b64 v[36:39], v1 offset0:95 offset1:96
	s_waitcnt vmcnt(25)
	v_mul_f32_e32 v41, v34, v109
	s_waitcnt vmcnt(24)
	v_fmac_f32_e32 v41, v35, v110
	v_add_f32_e32 v44, v40, v41
	ds_read2_b64 v[40:43], v1 offset0:97 offset1:98
	s_waitcnt vmcnt(22) lgkmcnt(1)
	v_mul_f32_e32 v45, v36, v112
	v_fmac_f32_e32 v45, v37, v111
	v_add_f32_e32 v44, v44, v45
	s_waitcnt vmcnt(20)
	v_mul_f32_e32 v45, v38, v114
	v_fmac_f32_e32 v45, v39, v113
	v_add_f32_e32 v44, v44, v45
	s_waitcnt vmcnt(18) lgkmcnt(0)
	v_mul_f32_e32 v45, v40, v116
	v_fmac_f32_e32 v45, v41, v115
	v_add_f32_e32 v48, v44, v45
	ds_read2_b64 v[44:47], v1 offset0:99 offset1:100
	s_waitcnt vmcnt(16)
	v_mul_f32_e32 v49, v42, v118
	v_fmac_f32_e32 v49, v43, v117
	v_add_f32_e32 v52, v48, v49
	ds_read2_b64 v[48:51], v1 offset0:101 offset1:102
	s_waitcnt vmcnt(14) lgkmcnt(1)
	v_mul_f32_e32 v53, v44, v120
	v_fmac_f32_e32 v53, v45, v119
	v_add_f32_e32 v52, v52, v53
	s_waitcnt vmcnt(12)
	v_mul_f32_e32 v53, v46, v122
	v_fmac_f32_e32 v53, v47, v121
	v_add_f32_e32 v52, v52, v53
	s_waitcnt vmcnt(10) lgkmcnt(0)
	v_mul_f32_e32 v53, v48, v124
	v_fmac_f32_e32 v53, v49, v123
	s_waitcnt vmcnt(8)
	v_mul_f32_e32 v57, v50, v126
	v_add_f32_e32 v56, v52, v53
	v_fmac_f32_e32 v57, v51, v125
	ds_read2_b64 v[52:55], v1 offset0:103 offset1:104
	v_add_f32_e32 v61, v56, v57
	ds_read2_b64 v[56:59], v1 offset0:105 offset1:106
	buffer_load_dword v65, off, s[0:3], 0 offset:412
	buffer_load_dword v64, off, s[0:3], 0 offset:408
	;; [unrolled: 1-line block ×16, first 2 shown]
	v_mul_f32_e32 v5, v5, v60
	v_fma_f32 v4, v4, v87, -v5
	v_mul_f32_e32 v5, v7, v62
	v_add_f32_e32 v4, 0, v4
	v_fma_f32 v5, v6, v88, -v5
	v_add_f32_e32 v4, v4, v5
	v_mul_f32_e32 v5, v9, v70
	v_fma_f32 v5, v8, v89, -v5
	v_add_f32_e32 v4, v4, v5
	v_mul_f32_e32 v5, v11, v82
	;; [unrolled: 3-line block ×22, first 2 shown]
	v_fma_f32 v5, v50, v125, -v5
	v_add_f32_e32 v4, v4, v5
	s_waitcnt vmcnt(22) lgkmcnt(1)
	v_mul_f32_e32 v5, v53, v128
	v_fma_f32 v5, v52, v127, -v5
	v_add_f32_e32 v4, v4, v5
	s_waitcnt vmcnt(20)
	v_mul_f32_e32 v5, v55, v130
	v_mul_f32_e32 v63, v52, v128
	v_fma_f32 v5, v54, v129, -v5
	v_fmac_f32_e32 v63, v53, v127
	v_add_f32_e32 v60, v4, v5
	s_waitcnt vmcnt(18) lgkmcnt(0)
	v_mul_f32_e32 v4, v57, v132
	v_add_f32_e32 v61, v61, v63
	v_mul_f32_e32 v63, v54, v130
	v_fma_f32 v62, v56, v131, -v4
	s_waitcnt vmcnt(16)
	v_mul_f32_e32 v4, v59, v134
	v_fmac_f32_e32 v63, v55, v129
	v_fma_f32 v70, v58, v133, -v4
	ds_read2_b64 v[4:7], v1 offset0:107 offset1:108
	ds_read2_b64 v[8:11], v1 offset0:109 offset1:110
	ds_read2_b64 v[12:15], v1 offset0:111 offset1:112
	ds_read2_b64 v[16:19], v1 offset0:113 offset1:114
	v_add_f32_e32 v61, v61, v63
	v_mul_f32_e32 v63, v56, v132
	s_waitcnt vmcnt(11)
	v_mov_b32_e32 v22, v69
	v_fmac_f32_e32 v63, v57, v131
	v_mul_f32_e32 v71, v58, v134
	s_waitcnt lgkmcnt(3)
	v_pk_mul_f32 v[22:23], v[4:5], v[22:23] op_sel_hi:[1,0]
	v_fmac_f32_e32 v71, v59, v133
	v_pk_add_f32 v[20:21], v[60:61], v[62:63]
	s_waitcnt vmcnt(10)
	v_pk_fma_f32 v[24:25], v[4:5], v[68:69], v[22:23] op_sel:[0,0,1] op_sel_hi:[1,1,0] neg_lo:[0,0,1] neg_hi:[0,0,1]
	v_pk_fma_f32 v[4:5], v[4:5], v[68:69], v[22:23] op_sel:[0,0,1] op_sel_hi:[1,0,0]
	v_pk_add_f32 v[20:21], v[20:21], v[70:71]
	v_mov_b32_e32 v25, v5
	v_pk_add_f32 v[4:5], v[20:21], v[24:25]
	v_mov_b32_e32 v20, v67
	v_pk_mul_f32 v[20:21], v[6:7], v[20:21] op_sel_hi:[1,0]
	v_pk_fma_f32 v[22:23], v[6:7], v[66:67], v[20:21] op_sel:[0,0,1] op_sel_hi:[1,1,0] neg_lo:[0,0,1] neg_hi:[0,0,1]
	v_pk_fma_f32 v[6:7], v[6:7], v[66:67], v[20:21] op_sel:[0,0,1] op_sel_hi:[1,0,0]
	v_mov_b32_e32 v6, v65
	v_mov_b32_e32 v23, v7
	s_waitcnt lgkmcnt(2)
	v_pk_mul_f32 v[6:7], v[8:9], v[6:7] op_sel_hi:[1,0]
	v_pk_fma_f32 v[20:21], v[8:9], v[64:65], v[6:7] op_sel:[0,0,1] op_sel_hi:[1,1,0] neg_lo:[0,0,1] neg_hi:[0,0,1]
	v_pk_fma_f32 v[6:7], v[8:9], v[64:65], v[6:7] op_sel:[0,0,1] op_sel_hi:[1,0,0]
	s_waitcnt vmcnt(3)
	v_mov_b32_e32 v6, v79
	v_mov_b32_e32 v21, v7
	v_pk_mul_f32 v[6:7], v[10:11], v[6:7] op_sel_hi:[1,0]
	s_waitcnt vmcnt(2)
	v_pk_fma_f32 v[8:9], v[10:11], v[78:79], v[6:7] op_sel:[0,0,1] op_sel_hi:[1,1,0] neg_lo:[0,0,1] neg_hi:[0,0,1]
	v_pk_fma_f32 v[6:7], v[10:11], v[78:79], v[6:7] op_sel:[0,0,1] op_sel_hi:[1,0,0]
	v_pk_add_f32 v[4:5], v[4:5], v[22:23]
	v_mov_b32_e32 v6, v77
	v_pk_add_f32 v[4:5], v[4:5], v[20:21]
	v_mov_b32_e32 v9, v7
	s_waitcnt lgkmcnt(1)
	v_pk_mul_f32 v[6:7], v[12:13], v[6:7] op_sel_hi:[1,0]
	v_pk_add_f32 v[4:5], v[4:5], v[8:9]
	v_pk_fma_f32 v[8:9], v[12:13], v[76:77], v[6:7] op_sel:[0,0,1] op_sel_hi:[1,1,0] neg_lo:[0,0,1] neg_hi:[0,0,1]
	v_pk_fma_f32 v[6:7], v[12:13], v[76:77], v[6:7] op_sel:[0,0,1] op_sel_hi:[1,0,0]
	v_mov_b32_e32 v6, v75
	v_mov_b32_e32 v9, v7
	v_pk_mul_f32 v[6:7], v[14:15], v[6:7] op_sel_hi:[1,0]
	v_pk_add_f32 v[4:5], v[4:5], v[8:9]
	v_pk_fma_f32 v[8:9], v[14:15], v[74:75], v[6:7] op_sel:[0,0,1] op_sel_hi:[1,1,0] neg_lo:[0,0,1] neg_hi:[0,0,1]
	v_pk_fma_f32 v[6:7], v[14:15], v[74:75], v[6:7] op_sel:[0,0,1] op_sel_hi:[1,0,0]
	v_mov_b32_e32 v6, v73
	v_mov_b32_e32 v9, v7
	s_waitcnt lgkmcnt(0)
	v_pk_mul_f32 v[6:7], v[16:17], v[6:7] op_sel_hi:[1,0]
	v_pk_add_f32 v[4:5], v[4:5], v[8:9]
	v_pk_fma_f32 v[8:9], v[16:17], v[72:73], v[6:7] op_sel:[0,0,1] op_sel_hi:[1,1,0] neg_lo:[0,0,1] neg_hi:[0,0,1]
	v_pk_fma_f32 v[6:7], v[16:17], v[72:73], v[6:7] op_sel:[0,0,1] op_sel_hi:[1,0,0]
	s_waitcnt vmcnt(1)
	v_mov_b32_e32 v6, v81
	v_mov_b32_e32 v9, v7
	v_pk_mul_f32 v[6:7], v[18:19], v[6:7] op_sel_hi:[1,0]
	v_pk_add_f32 v[4:5], v[4:5], v[8:9]
	s_waitcnt vmcnt(0)
	v_pk_fma_f32 v[8:9], v[18:19], v[80:81], v[6:7] op_sel:[0,0,1] op_sel_hi:[1,1,0] neg_lo:[0,0,1] neg_hi:[0,0,1]
	v_pk_fma_f32 v[6:7], v[18:19], v[80:81], v[6:7] op_sel:[0,0,1] op_sel_hi:[1,0,0]
	v_mov_b32_e32 v9, v7
	v_pk_add_f32 v[4:5], v[4:5], v[8:9]
	v_pk_add_f32 v[2:3], v[2:3], v[4:5] neg_lo:[0,1] neg_hi:[0,1]
	buffer_store_dword v3, off, s[0:3], 0 offset:164
	buffer_store_dword v2, off, s[0:3], 0 offset:160
	s_and_saveexec_b64 s[4:5], vcc
	s_cbranch_execz .LBB120_317
; %bb.316:
	buffer_load_dword v2, off, s[0:3], 0 offset:152
	buffer_load_dword v3, off, s[0:3], 0 offset:156
	v_mov_b32_e32 v1, 0
	buffer_store_dword v1, off, s[0:3], 0 offset:152
	buffer_store_dword v1, off, s[0:3], 0 offset:156
	s_waitcnt vmcnt(2)
	ds_write_b64 v165, v[2:3]
.LBB120_317:
	s_or_b64 exec, exec, s[4:5]
	v_mov_b32_e32 v86, 0
	s_waitcnt lgkmcnt(0)
	; wave barrier
	s_waitcnt lgkmcnt(0)
	ds_read_b128 v[14:17], v86 offset:624
	ds_read_b128 v[10:13], v86 offset:640
	;; [unrolled: 1-line block ×4, first 2 shown]
	buffer_load_dword v62, off, s[0:3], 0 offset:152
	buffer_load_dword v63, off, s[0:3], 0 offset:156
	;; [unrolled: 1-line block ×18, first 2 shown]
	ds_read_b128 v[22:25], v86 offset:688
	buffer_load_dword v99, off, s[0:3], 0 offset:224
	buffer_load_dword v100, off, s[0:3], 0 offset:228
	buffer_load_dword v101, off, s[0:3], 0 offset:232
	buffer_load_dword v102, off, s[0:3], 0 offset:236
	ds_read_b128 v[26:29], v86 offset:704
	buffer_load_dword v103, off, s[0:3], 0 offset:240
	buffer_load_dword v104, off, s[0:3], 0 offset:244
	buffer_load_dword v105, off, s[0:3], 0 offset:248
	buffer_load_dword v106, off, s[0:3], 0 offset:252
	;; [unrolled: 5-line block ×10, first 2 shown]
	v_cmp_lt_u32_e32 vcc, 18, v0
	s_waitcnt vmcnt(54) lgkmcnt(13)
	v_mul_f32_e32 v18, v14, v70
	v_fmac_f32_e32 v18, v15, v1
	s_waitcnt vmcnt(52)
	v_mul_f32_e32 v19, v16, v88
	v_add_f32_e32 v18, 0, v18
	v_fmac_f32_e32 v19, v17, v64
	v_add_f32_e32 v18, v18, v19
	s_waitcnt vmcnt(50) lgkmcnt(12)
	v_mul_f32_e32 v19, v10, v90
	v_fmac_f32_e32 v19, v11, v66
	v_add_f32_e32 v18, v18, v19
	s_waitcnt vmcnt(48)
	v_mul_f32_e32 v19, v12, v92
	v_fmac_f32_e32 v19, v13, v87
	v_add_f32_e32 v18, v18, v19
	s_waitcnt vmcnt(46) lgkmcnt(11)
	v_mul_f32_e32 v19, v6, v94
	v_fmac_f32_e32 v19, v7, v89
	v_add_f32_e32 v18, v18, v19
	s_waitcnt vmcnt(44)
	v_mul_f32_e32 v19, v8, v95
	;; [unrolled: 8-line block ×12, first 2 shown]
	v_fmac_f32_e32 v19, v57, v133
	v_add_f32_e32 v18, v18, v19
	s_waitcnt vmcnt(2) lgkmcnt(0)
	v_mul_f32_e32 v19, v58, v136
	v_fmac_f32_e32 v19, v59, v135
	v_add_f32_e32 v65, v18, v19
	ds_read_b128 v[18:21], v86 offset:848
	buffer_load_dword v139, off, s[0:3], 0 offset:384
	buffer_load_dword v140, off, s[0:3], 0 offset:388
	;; [unrolled: 1-line block ×18, first 2 shown]
	v_mul_f32_e32 v15, v15, v70
	v_fma_f32 v1, v14, v1, -v15
	v_mul_f32_e32 v14, v17, v88
	v_add_f32_e32 v1, 0, v1
	v_fma_f32 v14, v16, v64, -v14
	v_mul_f32_e32 v11, v11, v90
	v_add_f32_e32 v1, v1, v14
	v_fma_f32 v10, v10, v66, -v11
	v_add_f32_e32 v1, v1, v10
	v_mul_f32_e32 v10, v13, v92
	v_fma_f32 v10, v12, v87, -v10
	v_mul_f32_e32 v7, v7, v94
	v_add_f32_e32 v1, v1, v10
	v_fma_f32 v6, v6, v89, -v7
	v_add_f32_e32 v1, v1, v6
	v_mul_f32_e32 v6, v9, v95
	v_fma_f32 v6, v8, v91, -v6
	v_mul_f32_e32 v3, v3, v96
	v_add_f32_e32 v1, v1, v6
	v_fma_f32 v2, v2, v93, -v3
	v_add_f32_e32 v1, v1, v2
	v_mul_f32_e32 v2, v5, v98
	v_fma_f32 v2, v4, v97, -v2
	v_add_f32_e32 v1, v1, v2
	v_mul_f32_e32 v2, v23, v100
	v_fma_f32 v2, v22, v99, -v2
	v_add_f32_e32 v1, v1, v2
	v_mul_f32_e32 v2, v25, v102
	;; [unrolled: 3-line block ×19, first 2 shown]
	v_fma_f32 v2, v58, v135, -v2
	v_add_f32_e32 v64, v1, v2
	s_waitcnt vmcnt(18)
	v_mul_f32_e32 v1, v61, v138
	v_fma_f32 v66, v60, v137, -v1
	s_waitcnt vmcnt(16) lgkmcnt(0)
	v_mul_f32_e32 v1, v19, v140
	v_mul_f32_e32 v71, v18, v140
	v_fma_f32 v70, v18, v139, -v1
	s_waitcnt vmcnt(15)
	v_mov_b32_e32 v18, v69
	v_fmac_f32_e32 v71, v19, v139
	v_pk_mul_f32 v[18:19], v[20:21], v[18:19] op_sel_hi:[1,0]
	v_mul_f32_e32 v67, v60, v138
	ds_read_b128 v[2:5], v86 offset:864
	ds_read_b128 v[6:9], v86 offset:880
	;; [unrolled: 1-line block ×3, first 2 shown]
	ds_read_b64 v[14:15], v86 offset:912
	s_waitcnt vmcnt(14)
	v_pk_fma_f32 v[22:23], v[20:21], v[68:69], v[18:19] op_sel:[0,0,1] op_sel_hi:[1,1,0] neg_lo:[0,0,1] neg_hi:[0,0,1]
	v_pk_fma_f32 v[18:19], v[20:21], v[68:69], v[18:19] op_sel:[0,0,1] op_sel_hi:[1,0,0]
	v_fmac_f32_e32 v67, v61, v137
	s_waitcnt vmcnt(13)
	v_mov_b32_e32 v18, v85
	v_pk_add_f32 v[16:17], v[64:65], v[66:67]
	v_mov_b32_e32 v23, v19
	s_waitcnt lgkmcnt(3)
	v_pk_mul_f32 v[18:19], v[2:3], v[18:19] op_sel_hi:[1,0]
	v_pk_add_f32 v[16:17], v[16:17], v[70:71]
	s_waitcnt vmcnt(12)
	v_pk_fma_f32 v[20:21], v[2:3], v[84:85], v[18:19] op_sel:[0,0,1] op_sel_hi:[1,1,0] neg_lo:[0,0,1] neg_hi:[0,0,1]
	v_pk_fma_f32 v[2:3], v[2:3], v[84:85], v[18:19] op_sel:[0,0,1] op_sel_hi:[1,0,0]
	v_pk_add_f32 v[16:17], v[16:17], v[22:23]
	v_mov_b32_e32 v21, v3
	v_pk_add_f32 v[2:3], v[16:17], v[20:21]
	s_waitcnt vmcnt(11)
	v_mov_b32_e32 v16, v83
	v_pk_mul_f32 v[16:17], v[4:5], v[16:17] op_sel_hi:[1,0]
	s_waitcnt vmcnt(10)
	v_pk_fma_f32 v[18:19], v[4:5], v[82:83], v[16:17] op_sel:[0,0,1] op_sel_hi:[1,1,0] neg_lo:[0,0,1] neg_hi:[0,0,1]
	v_pk_fma_f32 v[4:5], v[4:5], v[82:83], v[16:17] op_sel:[0,0,1] op_sel_hi:[1,0,0]
	s_waitcnt vmcnt(9)
	v_mov_b32_e32 v4, v81
	v_mov_b32_e32 v19, v5
	s_waitcnt lgkmcnt(2)
	v_pk_mul_f32 v[4:5], v[6:7], v[4:5] op_sel_hi:[1,0]
	s_waitcnt vmcnt(8)
	v_pk_fma_f32 v[16:17], v[6:7], v[80:81], v[4:5] op_sel:[0,0,1] op_sel_hi:[1,1,0] neg_lo:[0,0,1] neg_hi:[0,0,1]
	v_pk_fma_f32 v[4:5], v[6:7], v[80:81], v[4:5] op_sel:[0,0,1] op_sel_hi:[1,0,0]
	s_waitcnt vmcnt(7)
	v_mov_b32_e32 v4, v79
	v_mov_b32_e32 v17, v5
	v_pk_mul_f32 v[4:5], v[8:9], v[4:5] op_sel_hi:[1,0]
	s_waitcnt vmcnt(6)
	v_pk_fma_f32 v[6:7], v[8:9], v[78:79], v[4:5] op_sel:[0,0,1] op_sel_hi:[1,1,0] neg_lo:[0,0,1] neg_hi:[0,0,1]
	v_pk_fma_f32 v[4:5], v[8:9], v[78:79], v[4:5] op_sel:[0,0,1] op_sel_hi:[1,0,0]
	v_pk_add_f32 v[2:3], v[2:3], v[18:19]
	s_waitcnt vmcnt(5)
	v_mov_b32_e32 v4, v77
	v_pk_add_f32 v[2:3], v[2:3], v[16:17]
	v_mov_b32_e32 v7, v5
	s_waitcnt lgkmcnt(1)
	v_pk_mul_f32 v[4:5], v[10:11], v[4:5] op_sel_hi:[1,0]
	v_pk_add_f32 v[2:3], v[2:3], v[6:7]
	s_waitcnt vmcnt(4)
	v_pk_fma_f32 v[6:7], v[10:11], v[76:77], v[4:5] op_sel:[0,0,1] op_sel_hi:[1,1,0] neg_lo:[0,0,1] neg_hi:[0,0,1]
	v_pk_fma_f32 v[4:5], v[10:11], v[76:77], v[4:5] op_sel:[0,0,1] op_sel_hi:[1,0,0]
	s_waitcnt vmcnt(3)
	v_mov_b32_e32 v4, v75
	v_mov_b32_e32 v7, v5
	v_pk_mul_f32 v[4:5], v[12:13], v[4:5] op_sel_hi:[1,0]
	v_pk_add_f32 v[2:3], v[2:3], v[6:7]
	s_waitcnt vmcnt(2)
	v_pk_fma_f32 v[6:7], v[12:13], v[74:75], v[4:5] op_sel:[0,0,1] op_sel_hi:[1,1,0] neg_lo:[0,0,1] neg_hi:[0,0,1]
	v_pk_fma_f32 v[4:5], v[12:13], v[74:75], v[4:5] op_sel:[0,0,1] op_sel_hi:[1,0,0]
	s_waitcnt vmcnt(1)
	v_mov_b32_e32 v4, v73
	v_mov_b32_e32 v7, v5
	s_waitcnt lgkmcnt(0)
	v_pk_mul_f32 v[4:5], v[14:15], v[4:5] op_sel_hi:[1,0]
	v_pk_add_f32 v[2:3], v[2:3], v[6:7]
	s_waitcnt vmcnt(0)
	v_pk_fma_f32 v[6:7], v[14:15], v[72:73], v[4:5] op_sel:[0,0,1] op_sel_hi:[1,1,0] neg_lo:[0,0,1] neg_hi:[0,0,1]
	v_pk_fma_f32 v[4:5], v[14:15], v[72:73], v[4:5] op_sel:[0,0,1] op_sel_hi:[1,0,0]
	v_mov_b32_e32 v7, v5
	v_pk_add_f32 v[2:3], v[2:3], v[6:7]
	v_pk_add_f32 v[2:3], v[62:63], v[2:3] neg_lo:[0,1] neg_hi:[0,1]
	buffer_store_dword v3, off, s[0:3], 0 offset:156
	buffer_store_dword v2, off, s[0:3], 0 offset:152
	s_and_saveexec_b64 s[4:5], vcc
	s_cbranch_execz .LBB120_319
; %bb.318:
	buffer_load_dword v2, off, s[0:3], 0 offset:144
	buffer_load_dword v3, off, s[0:3], 0 offset:148
	s_waitcnt vmcnt(0)
	ds_write_b64 v165, v[2:3]
	buffer_store_dword v86, off, s[0:3], 0 offset:144
	buffer_store_dword v86, off, s[0:3], 0 offset:148
.LBB120_319:
	s_or_b64 exec, exec, s[4:5]
	s_waitcnt lgkmcnt(0)
	; wave barrier
	s_waitcnt lgkmcnt(0)
	buffer_load_dword v1, off, s[0:3], 0 offset:156
	buffer_load_dword v70, off, s[0:3], 0 offset:164
	;; [unrolled: 1-line block ×32, first 2 shown]
	ds_read2_b64 v[16:19], v86 offset0:77 offset1:78
	ds_read2_b64 v[6:9], v86 offset0:79 offset1:80
	buffer_load_dword v117, off, s[0:3], 0 offset:272
	buffer_load_dword v118, off, s[0:3], 0 offset:276
	ds_read2_b64 v[10:13], v86 offset0:81 offset1:82
	ds_read2_b64 v[2:5], v86 offset0:83 offset1:84
	buffer_load_dword v119, off, s[0:3], 0 offset:280
	buffer_load_dword v120, off, s[0:3], 0 offset:284
	;; [unrolled: 1-line block ×28, first 2 shown]
	v_cmp_lt_u32_e32 vcc, 17, v0
	s_waitcnt vmcnt(61) lgkmcnt(3)
	v_mul_f32_e32 v20, v16, v1
	s_waitcnt vmcnt(60)
	v_mul_f32_e32 v21, v18, v70
	s_waitcnt vmcnt(59) lgkmcnt(2)
	v_mul_f32_e32 v23, v8, v72
	s_waitcnt vmcnt(58) lgkmcnt(1)
	v_mul_f32_e32 v24, v10, v74
	s_waitcnt vmcnt(57)
	v_mul_f32_e32 v25, v12, v87
	s_waitcnt vmcnt(56)
	;; [unrolled: 2-line block ×3, first 2 shown]
	v_fmac_f32_e32 v22, v7, v93
	s_waitcnt vmcnt(54)
	v_fmac_f32_e32 v21, v19, v94
	s_waitcnt vmcnt(53)
	v_fmac_f32_e32 v20, v17, v95
	v_add_f32_e32 v20, 0, v20
	v_add_f32_e32 v20, v20, v21
	;; [unrolled: 1-line block ×3, first 2 shown]
	s_waitcnt vmcnt(49)
	v_fmac_f32_e32 v24, v11, v99
	s_waitcnt vmcnt(48)
	v_fmac_f32_e32 v23, v9, v100
	v_add_f32_e32 v20, v20, v23
	s_waitcnt lgkmcnt(0)
	v_mul_f32_e32 v26, v2, v96
	v_fmac_f32_e32 v25, v13, v98
	v_add_f32_e32 v20, v20, v24
	v_fmac_f32_e32 v26, v3, v97
	v_add_f32_e32 v20, v20, v25
	v_add_f32_e32 v24, v20, v26
	ds_read2_b64 v[20:23], v86 offset0:85 offset1:86
	s_waitcnt vmcnt(44)
	v_mul_f32_e32 v25, v4, v104
	s_waitcnt vmcnt(43)
	v_fmac_f32_e32 v25, v5, v105
	v_add_f32_e32 v28, v24, v25
	ds_read2_b64 v[24:27], v86 offset0:87 offset1:88
	s_waitcnt vmcnt(42) lgkmcnt(1)
	v_mul_f32_e32 v29, v20, v106
	v_fmac_f32_e32 v29, v21, v103
	v_add_f32_e32 v28, v28, v29
	s_waitcnt vmcnt(41)
	v_mul_f32_e32 v29, v22, v107
	v_fmac_f32_e32 v29, v23, v102
	v_add_f32_e32 v28, v28, v29
	s_waitcnt vmcnt(40) lgkmcnt(0)
	v_mul_f32_e32 v29, v24, v108
	v_fmac_f32_e32 v29, v25, v101
	v_add_f32_e32 v32, v28, v29
	ds_read2_b64 v[28:31], v86 offset0:89 offset1:90
	s_waitcnt vmcnt(34)
	v_mul_f32_e32 v33, v26, v114
	s_waitcnt vmcnt(33)
	v_fmac_f32_e32 v33, v27, v115
	v_add_f32_e32 v36, v32, v33
	ds_read2_b64 v[32:35], v86 offset0:91 offset1:92
	s_waitcnt vmcnt(32) lgkmcnt(1)
	v_mul_f32_e32 v37, v28, v116
	v_fmac_f32_e32 v37, v29, v113
	v_add_f32_e32 v36, v36, v37
	v_mul_f32_e32 v37, v30, v110
	v_fmac_f32_e32 v37, v31, v109
	v_add_f32_e32 v36, v36, v37
	s_waitcnt lgkmcnt(0)
	v_mul_f32_e32 v37, v32, v112
	v_fmac_f32_e32 v37, v33, v111
	v_add_f32_e32 v40, v36, v37
	ds_read2_b64 v[36:39], v86 offset0:93 offset1:94
	s_waitcnt vmcnt(28)
	v_mul_f32_e32 v41, v34, v118
	v_fmac_f32_e32 v41, v35, v117
	v_add_f32_e32 v44, v40, v41
	ds_read2_b64 v[40:43], v86 offset0:95 offset1:96
	s_waitcnt vmcnt(26) lgkmcnt(1)
	v_mul_f32_e32 v45, v36, v120
	v_fmac_f32_e32 v45, v37, v119
	v_add_f32_e32 v44, v44, v45
	s_waitcnt vmcnt(24)
	v_mul_f32_e32 v45, v38, v122
	v_fmac_f32_e32 v45, v39, v121
	v_add_f32_e32 v44, v44, v45
	s_waitcnt vmcnt(22) lgkmcnt(0)
	v_mul_f32_e32 v45, v40, v124
	v_fmac_f32_e32 v45, v41, v123
	v_add_f32_e32 v48, v44, v45
	ds_read2_b64 v[44:47], v86 offset0:97 offset1:98
	s_waitcnt vmcnt(20)
	v_mul_f32_e32 v49, v42, v126
	v_fmac_f32_e32 v49, v43, v125
	v_add_f32_e32 v52, v48, v49
	ds_read2_b64 v[48:51], v86 offset0:99 offset1:100
	s_waitcnt vmcnt(18) lgkmcnt(1)
	v_mul_f32_e32 v53, v44, v128
	v_fmac_f32_e32 v53, v45, v127
	v_add_f32_e32 v52, v52, v53
	s_waitcnt vmcnt(16)
	v_mul_f32_e32 v53, v46, v130
	v_fmac_f32_e32 v53, v47, v129
	v_add_f32_e32 v52, v52, v53
	s_waitcnt vmcnt(14) lgkmcnt(0)
	v_mul_f32_e32 v53, v48, v132
	v_fmac_f32_e32 v53, v49, v131
	v_add_f32_e32 v56, v52, v53
	ds_read2_b64 v[52:55], v86 offset0:101 offset1:102
	s_waitcnt vmcnt(12)
	v_mul_f32_e32 v57, v50, v134
	v_fmac_f32_e32 v57, v51, v133
	v_add_f32_e32 v60, v56, v57
	ds_read2_b64 v[56:59], v86 offset0:103 offset1:104
	buffer_load_dword v69, off, s[0:3], 0 offset:396
	buffer_load_dword v68, off, s[0:3], 0 offset:392
	s_waitcnt vmcnt(12) lgkmcnt(1)
	v_mul_f32_e32 v61, v52, v136
	v_fmac_f32_e32 v61, v53, v135
	v_add_f32_e32 v60, v60, v61
	s_waitcnt vmcnt(10)
	v_mul_f32_e32 v61, v54, v138
	v_fmac_f32_e32 v61, v55, v137
	v_add_f32_e32 v60, v60, v61
	s_waitcnt vmcnt(8) lgkmcnt(0)
	v_mul_f32_e32 v61, v56, v140
	v_fmac_f32_e32 v61, v57, v139
	s_waitcnt vmcnt(6)
	v_mul_f32_e32 v65, v58, v142
	v_add_f32_e32 v64, v60, v61
	v_fmac_f32_e32 v65, v59, v141
	ds_read2_b64 v[60:63], v86 offset0:105 offset1:106
	v_add_f32_e32 v71, v64, v65
	ds_read2_b64 v[64:67], v86 offset0:107 offset1:108
	buffer_load_dword v77, off, s[0:3], 0 offset:428
	buffer_load_dword v76, off, s[0:3], 0 offset:424
	;; [unrolled: 1-line block ×14, first 2 shown]
	v_mul_f32_e32 v1, v17, v1
	v_fma_f32 v1, v16, v95, -v1
	v_mul_f32_e32 v16, v19, v70
	v_add_f32_e32 v1, 0, v1
	v_fma_f32 v16, v18, v94, -v16
	v_mul_f32_e32 v7, v7, v92
	v_add_f32_e32 v1, v1, v16
	v_fma_f32 v6, v6, v93, -v7
	v_add_f32_e32 v1, v1, v6
	v_mul_f32_e32 v6, v9, v72
	v_fma_f32 v6, v8, v100, -v6
	v_add_f32_e32 v1, v1, v6
	v_mul_f32_e32 v6, v11, v74
	;; [unrolled: 3-line block ×3, first 2 shown]
	v_fma_f32 v6, v12, v98, -v6
	v_mul_f32_e32 v3, v3, v96
	v_add_f32_e32 v1, v1, v6
	v_fma_f32 v2, v2, v97, -v3
	v_add_f32_e32 v1, v1, v2
	v_mul_f32_e32 v2, v5, v104
	v_fma_f32 v2, v4, v105, -v2
	v_add_f32_e32 v1, v1, v2
	v_mul_f32_e32 v2, v21, v106
	v_fma_f32 v2, v20, v103, -v2
	v_add_f32_e32 v1, v1, v2
	v_mul_f32_e32 v2, v23, v107
	v_fma_f32 v2, v22, v102, -v2
	v_add_f32_e32 v1, v1, v2
	v_mul_f32_e32 v2, v25, v108
	v_fma_f32 v2, v24, v101, -v2
	v_add_f32_e32 v1, v1, v2
	v_mul_f32_e32 v2, v27, v114
	v_fma_f32 v2, v26, v115, -v2
	v_add_f32_e32 v1, v1, v2
	v_mul_f32_e32 v2, v29, v116
	v_fma_f32 v2, v28, v113, -v2
	v_add_f32_e32 v1, v1, v2
	v_mul_f32_e32 v2, v31, v110
	v_fma_f32 v2, v30, v109, -v2
	v_add_f32_e32 v1, v1, v2
	v_mul_f32_e32 v2, v33, v112
	v_fma_f32 v2, v32, v111, -v2
	v_add_f32_e32 v1, v1, v2
	v_mul_f32_e32 v2, v35, v118
	v_fma_f32 v2, v34, v117, -v2
	v_add_f32_e32 v1, v1, v2
	v_mul_f32_e32 v2, v37, v120
	v_fma_f32 v2, v36, v119, -v2
	v_add_f32_e32 v1, v1, v2
	v_mul_f32_e32 v2, v39, v122
	v_fma_f32 v2, v38, v121, -v2
	v_add_f32_e32 v1, v1, v2
	v_mul_f32_e32 v2, v41, v124
	v_fma_f32 v2, v40, v123, -v2
	v_add_f32_e32 v1, v1, v2
	v_mul_f32_e32 v2, v43, v126
	v_fma_f32 v2, v42, v125, -v2
	v_add_f32_e32 v1, v1, v2
	v_mul_f32_e32 v2, v45, v128
	v_fma_f32 v2, v44, v127, -v2
	v_add_f32_e32 v1, v1, v2
	v_mul_f32_e32 v2, v47, v130
	v_fma_f32 v2, v46, v129, -v2
	v_add_f32_e32 v1, v1, v2
	v_mul_f32_e32 v2, v49, v132
	v_fma_f32 v2, v48, v131, -v2
	v_add_f32_e32 v1, v1, v2
	v_mul_f32_e32 v2, v51, v134
	v_fma_f32 v2, v50, v133, -v2
	v_add_f32_e32 v1, v1, v2
	v_mul_f32_e32 v2, v53, v136
	v_fma_f32 v2, v52, v135, -v2
	v_add_f32_e32 v1, v1, v2
	v_mul_f32_e32 v2, v55, v138
	v_fma_f32 v2, v54, v137, -v2
	v_add_f32_e32 v1, v1, v2
	v_mul_f32_e32 v2, v57, v140
	v_fma_f32 v2, v56, v139, -v2
	v_add_f32_e32 v1, v1, v2
	v_mul_f32_e32 v2, v59, v142
	v_fma_f32 v2, v58, v141, -v2
	s_waitcnt vmcnt(15)
	v_mov_b32_e32 v18, v69
	s_waitcnt lgkmcnt(1)
	v_mul_f32_e32 v73, v60, v144
	v_add_f32_e32 v70, v1, v2
	v_mul_f32_e32 v1, v61, v144
	s_waitcnt lgkmcnt(0)
	v_pk_mul_f32 v[18:19], v[64:65], v[18:19] op_sel_hi:[1,0]
	v_fmac_f32_e32 v73, v61, v143
	v_mul_f32_e32 v75, v62, v208
	v_fma_f32 v72, v60, v143, -v1
	v_mul_f32_e32 v1, v63, v208
	s_waitcnt vmcnt(14)
	v_pk_fma_f32 v[20:21], v[64:65], v[68:69], v[18:19] op_sel:[0,0,1] op_sel_hi:[1,1,0] neg_lo:[0,0,1] neg_hi:[0,0,1]
	v_pk_fma_f32 v[18:19], v[64:65], v[68:69], v[18:19] op_sel:[0,0,1] op_sel_hi:[1,0,0]
	v_fmac_f32_e32 v75, v63, v145
	v_fma_f32 v74, v62, v145, -v1
	v_pk_add_f32 v[16:17], v[70:71], v[72:73]
	s_waitcnt vmcnt(7)
	v_mov_b32_e32 v18, v83
	ds_read2_b64 v[2:5], v86 offset0:109 offset1:110
	ds_read2_b64 v[6:9], v86 offset0:111 offset1:112
	;; [unrolled: 1-line block ×3, first 2 shown]
	v_pk_add_f32 v[16:17], v[16:17], v[74:75]
	v_mov_b32_e32 v21, v19
	v_pk_mul_f32 v[18:19], v[66:67], v[18:19] op_sel_hi:[1,0]
	v_pk_add_f32 v[16:17], v[16:17], v[20:21]
	s_waitcnt vmcnt(6)
	v_pk_fma_f32 v[20:21], v[66:67], v[82:83], v[18:19] op_sel:[0,0,1] op_sel_hi:[1,1,0] neg_lo:[0,0,1] neg_hi:[0,0,1]
	v_pk_fma_f32 v[18:19], v[66:67], v[82:83], v[18:19] op_sel:[0,0,1] op_sel_hi:[1,0,0]
	v_mov_b32_e32 v18, v81
	v_mov_b32_e32 v21, v19
	s_waitcnt lgkmcnt(2)
	v_pk_mul_f32 v[18:19], v[2:3], v[18:19] op_sel_hi:[1,0]
	v_pk_add_f32 v[16:17], v[16:17], v[20:21]
	v_pk_fma_f32 v[20:21], v[2:3], v[80:81], v[18:19] op_sel:[0,0,1] op_sel_hi:[1,1,0] neg_lo:[0,0,1] neg_hi:[0,0,1]
	v_pk_fma_f32 v[2:3], v[2:3], v[80:81], v[18:19] op_sel:[0,0,1] op_sel_hi:[1,0,0]
	v_mov_b32_e32 v21, v3
	v_pk_add_f32 v[2:3], v[16:17], v[20:21]
	v_mov_b32_e32 v16, v79
	v_pk_mul_f32 v[16:17], v[4:5], v[16:17] op_sel_hi:[1,0]
	v_pk_fma_f32 v[18:19], v[4:5], v[78:79], v[16:17] op_sel:[0,0,1] op_sel_hi:[1,1,0] neg_lo:[0,0,1] neg_hi:[0,0,1]
	v_pk_fma_f32 v[4:5], v[4:5], v[78:79], v[16:17] op_sel:[0,0,1] op_sel_hi:[1,0,0]
	v_mov_b32_e32 v4, v77
	v_mov_b32_e32 v19, v5
	s_waitcnt lgkmcnt(1)
	v_pk_mul_f32 v[4:5], v[6:7], v[4:5] op_sel_hi:[1,0]
	v_pk_fma_f32 v[16:17], v[6:7], v[76:77], v[4:5] op_sel:[0,0,1] op_sel_hi:[1,1,0] neg_lo:[0,0,1] neg_hi:[0,0,1]
	v_pk_fma_f32 v[4:5], v[6:7], v[76:77], v[4:5] op_sel:[0,0,1] op_sel_hi:[1,0,0]
	s_waitcnt vmcnt(1)
	v_mov_b32_e32 v4, v91
	v_mov_b32_e32 v17, v5
	v_pk_mul_f32 v[4:5], v[8:9], v[4:5] op_sel_hi:[1,0]
	s_waitcnt vmcnt(0)
	v_pk_fma_f32 v[6:7], v[8:9], v[90:91], v[4:5] op_sel:[0,0,1] op_sel_hi:[1,1,0] neg_lo:[0,0,1] neg_hi:[0,0,1]
	v_pk_fma_f32 v[4:5], v[8:9], v[90:91], v[4:5] op_sel:[0,0,1] op_sel_hi:[1,0,0]
	v_pk_add_f32 v[2:3], v[2:3], v[18:19]
	v_mov_b32_e32 v4, v89
	v_pk_add_f32 v[2:3], v[2:3], v[16:17]
	v_mov_b32_e32 v7, v5
	s_waitcnt lgkmcnt(0)
	v_pk_mul_f32 v[4:5], v[10:11], v[4:5] op_sel_hi:[1,0]
	v_pk_add_f32 v[2:3], v[2:3], v[6:7]
	v_pk_fma_f32 v[6:7], v[10:11], v[88:89], v[4:5] op_sel:[0,0,1] op_sel_hi:[1,1,0] neg_lo:[0,0,1] neg_hi:[0,0,1]
	v_pk_fma_f32 v[4:5], v[10:11], v[88:89], v[4:5] op_sel:[0,0,1] op_sel_hi:[1,0,0]
	v_mov_b32_e32 v4, v85
	v_mov_b32_e32 v7, v5
	v_pk_mul_f32 v[4:5], v[12:13], v[4:5] op_sel_hi:[1,0]
	v_pk_add_f32 v[2:3], v[2:3], v[6:7]
	v_pk_fma_f32 v[6:7], v[12:13], v[84:85], v[4:5] op_sel:[0,0,1] op_sel_hi:[1,1,0] neg_lo:[0,0,1] neg_hi:[0,0,1]
	v_pk_fma_f32 v[4:5], v[12:13], v[84:85], v[4:5] op_sel:[0,0,1] op_sel_hi:[1,0,0]
	v_mov_b32_e32 v7, v5
	v_pk_add_f32 v[2:3], v[2:3], v[6:7]
	v_pk_add_f32 v[2:3], v[14:15], v[2:3] neg_lo:[0,1] neg_hi:[0,1]
	buffer_store_dword v3, off, s[0:3], 0 offset:148
	buffer_store_dword v2, off, s[0:3], 0 offset:144
	s_and_saveexec_b64 s[4:5], vcc
	s_cbranch_execz .LBB120_321
; %bb.320:
	buffer_load_dword v2, off, s[0:3], 0 offset:136
	buffer_load_dword v3, off, s[0:3], 0 offset:140
	v_mov_b32_e32 v1, 0
	buffer_store_dword v1, off, s[0:3], 0 offset:136
	buffer_store_dword v1, off, s[0:3], 0 offset:140
	s_waitcnt vmcnt(2)
	ds_write_b64 v165, v[2:3]
.LBB120_321:
	s_or_b64 exec, exec, s[4:5]
	s_waitcnt lgkmcnt(0)
	; wave barrier
	s_waitcnt lgkmcnt(0)
	buffer_load_dword v68, off, s[0:3], 0 offset:148
	buffer_load_dword v70, off, s[0:3], 0 offset:156
	;; [unrolled: 1-line block ×48, first 2 shown]
	v_mov_b32_e32 v1, 0
	ds_read_b128 v[2:5], v1 offset:608
	buffer_load_dword v133, off, s[0:3], 0 offset:328
	buffer_load_dword v134, off, s[0:3], 0 offset:332
	;; [unrolled: 1-line block ×8, first 2 shown]
	ds_read_b128 v[8:11], v1 offset:624
	ds_read_b128 v[12:15], v1 offset:640
	;; [unrolled: 1-line block ×3, first 2 shown]
	buffer_load_dword v141, off, s[0:3], 0 offset:360
	buffer_load_dword v142, off, s[0:3], 0 offset:364
	;; [unrolled: 1-line block ×8, first 2 shown]
	v_cmp_lt_u32_e32 vcc, 16, v0
	s_waitcnt vmcnt(62) lgkmcnt(3)
	v_mul_f32_e32 v20, v2, v68
	v_mul_f32_e32 v21, v4, v70
	s_waitcnt vmcnt(61) lgkmcnt(2)
	v_mul_f32_e32 v23, v10, v72
	s_waitcnt vmcnt(60) lgkmcnt(1)
	v_mul_f32_e32 v24, v12, v90
	s_waitcnt vmcnt(59)
	v_mul_f32_e32 v25, v14, v91
	s_waitcnt vmcnt(58)
	;; [unrolled: 2-line block ×3, first 2 shown]
	v_fmac_f32_e32 v22, v9, v93
	s_waitcnt vmcnt(56)
	v_fmac_f32_e32 v21, v5, v94
	s_waitcnt vmcnt(55)
	v_fmac_f32_e32 v20, v3, v95
	v_add_f32_e32 v20, 0, v20
	v_add_f32_e32 v20, v20, v21
	;; [unrolled: 1-line block ×3, first 2 shown]
	s_waitcnt vmcnt(51)
	v_fmac_f32_e32 v24, v13, v99
	s_waitcnt vmcnt(50)
	v_fmac_f32_e32 v23, v11, v100
	v_add_f32_e32 v20, v20, v23
	s_waitcnt lgkmcnt(0)
	v_mul_f32_e32 v26, v16, v96
	v_fmac_f32_e32 v25, v15, v98
	v_add_f32_e32 v20, v20, v24
	v_fmac_f32_e32 v26, v17, v97
	v_add_f32_e32 v20, v20, v25
	v_add_f32_e32 v24, v20, v26
	ds_read_b128 v[20:23], v1 offset:672
	s_waitcnt vmcnt(45)
	v_mul_f32_e32 v25, v18, v105
	s_waitcnt vmcnt(44)
	v_fmac_f32_e32 v25, v19, v106
	v_add_f32_e32 v28, v24, v25
	ds_read_b128 v[24:27], v1 offset:688
	s_waitcnt vmcnt(43) lgkmcnt(1)
	v_mul_f32_e32 v29, v20, v107
	v_fmac_f32_e32 v29, v21, v104
	v_add_f32_e32 v28, v28, v29
	s_waitcnt vmcnt(42)
	v_mul_f32_e32 v29, v22, v108
	v_fmac_f32_e32 v29, v23, v103
	v_add_f32_e32 v28, v28, v29
	s_waitcnt lgkmcnt(0)
	v_mul_f32_e32 v29, v24, v102
	v_fmac_f32_e32 v29, v25, v101
	v_add_f32_e32 v32, v28, v29
	ds_read_b128 v[28:31], v1 offset:704
	s_waitcnt vmcnt(38)
	v_mul_f32_e32 v33, v26, v110
	v_fmac_f32_e32 v33, v27, v109
	v_add_f32_e32 v36, v32, v33
	ds_read_b128 v[32:35], v1 offset:720
	s_waitcnt vmcnt(36) lgkmcnt(1)
	v_mul_f32_e32 v37, v28, v112
	v_fmac_f32_e32 v37, v29, v111
	v_add_f32_e32 v36, v36, v37
	s_waitcnt vmcnt(34)
	v_mul_f32_e32 v37, v30, v114
	v_fmac_f32_e32 v37, v31, v113
	v_add_f32_e32 v36, v36, v37
	s_waitcnt vmcnt(32) lgkmcnt(0)
	v_mul_f32_e32 v37, v32, v116
	v_fmac_f32_e32 v37, v33, v115
	v_add_f32_e32 v40, v36, v37
	ds_read_b128 v[36:39], v1 offset:736
	s_waitcnt vmcnt(30)
	v_mul_f32_e32 v41, v34, v118
	v_fmac_f32_e32 v41, v35, v117
	v_add_f32_e32 v44, v40, v41
	ds_read_b128 v[40:43], v1 offset:752
	s_waitcnt vmcnt(28) lgkmcnt(1)
	v_mul_f32_e32 v45, v36, v120
	v_fmac_f32_e32 v45, v37, v119
	v_add_f32_e32 v44, v44, v45
	s_waitcnt vmcnt(26)
	v_mul_f32_e32 v45, v38, v122
	v_fmac_f32_e32 v45, v39, v121
	v_add_f32_e32 v44, v44, v45
	s_waitcnt vmcnt(24) lgkmcnt(0)
	;; [unrolled: 18-line block ×4, first 2 shown]
	v_mul_f32_e32 v61, v56, v140
	v_fmac_f32_e32 v61, v57, v139
	s_waitcnt vmcnt(6)
	v_mul_f32_e32 v65, v58, v142
	v_add_f32_e32 v64, v60, v61
	v_fmac_f32_e32 v65, v59, v141
	ds_read_b128 v[60:63], v1 offset:832
	v_add_f32_e32 v69, v64, v65
	ds_read_b128 v[64:67], v1 offset:848
	buffer_load_dword v75, off, s[0:3], 0 offset:420
	buffer_load_dword v74, off, s[0:3], 0 offset:416
	;; [unrolled: 1-line block ×16, first 2 shown]
	v_mul_f32_e32 v3, v3, v68
	v_fma_f32 v2, v2, v95, -v3
	v_mul_f32_e32 v3, v5, v70
	v_add_f32_e32 v2, 0, v2
	v_fma_f32 v3, v4, v94, -v3
	v_add_f32_e32 v2, v2, v3
	v_mul_f32_e32 v3, v9, v92
	v_fma_f32 v3, v8, v93, -v3
	v_add_f32_e32 v2, v2, v3
	v_mul_f32_e32 v3, v11, v72
	;; [unrolled: 3-line block ×26, first 2 shown]
	v_fma_f32 v3, v58, v141, -v3
	v_add_f32_e32 v2, v2, v3
	s_waitcnt vmcnt(20) lgkmcnt(1)
	v_mul_f32_e32 v3, v61, v144
	v_mul_f32_e32 v71, v60, v144
	v_fma_f32 v3, v60, v143, -v3
	v_fmac_f32_e32 v71, v61, v143
	v_add_f32_e32 v68, v2, v3
	s_waitcnt vmcnt(18)
	v_mul_f32_e32 v2, v63, v208
	s_waitcnt vmcnt(9)
	v_mov_b32_e32 v20, v81
	v_add_f32_e32 v69, v69, v71
	v_mul_f32_e32 v71, v62, v208
	v_fma_f32 v70, v62, v145, -v2
	s_waitcnt lgkmcnt(0)
	v_mul_f32_e32 v2, v65, v210
	v_pk_mul_f32 v[20:21], v[66:67], v[20:21] op_sel_hi:[1,0]
	v_fmac_f32_e32 v71, v63, v145
	v_mul_f32_e32 v73, v64, v210
	v_fma_f32 v72, v64, v209, -v2
	ds_read_b128 v[2:5], v1 offset:864
	ds_read_b128 v[8:11], v1 offset:880
	;; [unrolled: 1-line block ×3, first 2 shown]
	ds_read_b64 v[16:17], v1 offset:912
	s_waitcnt vmcnt(8)
	v_pk_fma_f32 v[22:23], v[66:67], v[80:81], v[20:21] op_sel:[0,0,1] op_sel_hi:[1,1,0] neg_lo:[0,0,1] neg_hi:[0,0,1]
	v_pk_fma_f32 v[20:21], v[66:67], v[80:81], v[20:21] op_sel:[0,0,1] op_sel_hi:[1,0,0]
	v_fmac_f32_e32 v73, v65, v209
	v_pk_add_f32 v[18:19], v[68:69], v[70:71]
	v_mov_b32_e32 v20, v79
	v_pk_add_f32 v[18:19], v[18:19], v[72:73]
	v_mov_b32_e32 v23, v21
	s_waitcnt lgkmcnt(3)
	v_pk_mul_f32 v[20:21], v[2:3], v[20:21] op_sel_hi:[1,0]
	v_pk_add_f32 v[18:19], v[18:19], v[22:23]
	v_pk_fma_f32 v[22:23], v[2:3], v[78:79], v[20:21] op_sel:[0,0,1] op_sel_hi:[1,1,0] neg_lo:[0,0,1] neg_hi:[0,0,1]
	v_pk_fma_f32 v[2:3], v[2:3], v[78:79], v[20:21] op_sel:[0,0,1] op_sel_hi:[1,0,0]
	v_mov_b32_e32 v23, v3
	v_pk_add_f32 v[2:3], v[18:19], v[22:23]
	v_mov_b32_e32 v18, v77
	v_pk_mul_f32 v[18:19], v[4:5], v[18:19] op_sel_hi:[1,0]
	v_pk_fma_f32 v[20:21], v[4:5], v[76:77], v[18:19] op_sel:[0,0,1] op_sel_hi:[1,1,0] neg_lo:[0,0,1] neg_hi:[0,0,1]
	v_pk_fma_f32 v[4:5], v[4:5], v[76:77], v[18:19] op_sel:[0,0,1] op_sel_hi:[1,0,0]
	v_mov_b32_e32 v4, v75
	v_mov_b32_e32 v21, v5
	s_waitcnt lgkmcnt(2)
	v_pk_mul_f32 v[4:5], v[8:9], v[4:5] op_sel_hi:[1,0]
	v_pk_fma_f32 v[18:19], v[8:9], v[74:75], v[4:5] op_sel:[0,0,1] op_sel_hi:[1,1,0] neg_lo:[0,0,1] neg_hi:[0,0,1]
	v_pk_fma_f32 v[4:5], v[8:9], v[74:75], v[4:5] op_sel:[0,0,1] op_sel_hi:[1,0,0]
	s_waitcnt vmcnt(1)
	v_mov_b32_e32 v4, v89
	v_mov_b32_e32 v19, v5
	v_pk_mul_f32 v[4:5], v[10:11], v[4:5] op_sel_hi:[1,0]
	s_waitcnt vmcnt(0)
	v_pk_fma_f32 v[8:9], v[10:11], v[88:89], v[4:5] op_sel:[0,0,1] op_sel_hi:[1,1,0] neg_lo:[0,0,1] neg_hi:[0,0,1]
	v_pk_fma_f32 v[4:5], v[10:11], v[88:89], v[4:5] op_sel:[0,0,1] op_sel_hi:[1,0,0]
	v_pk_add_f32 v[2:3], v[2:3], v[20:21]
	v_mov_b32_e32 v4, v87
	v_pk_add_f32 v[2:3], v[2:3], v[18:19]
	v_mov_b32_e32 v9, v5
	s_waitcnt lgkmcnt(1)
	v_pk_mul_f32 v[4:5], v[12:13], v[4:5] op_sel_hi:[1,0]
	v_pk_add_f32 v[2:3], v[2:3], v[8:9]
	v_pk_fma_f32 v[8:9], v[12:13], v[86:87], v[4:5] op_sel:[0,0,1] op_sel_hi:[1,1,0] neg_lo:[0,0,1] neg_hi:[0,0,1]
	v_pk_fma_f32 v[4:5], v[12:13], v[86:87], v[4:5] op_sel:[0,0,1] op_sel_hi:[1,0,0]
	v_mov_b32_e32 v4, v85
	v_mov_b32_e32 v9, v5
	v_pk_mul_f32 v[4:5], v[14:15], v[4:5] op_sel_hi:[1,0]
	v_pk_add_f32 v[2:3], v[2:3], v[8:9]
	v_pk_fma_f32 v[8:9], v[14:15], v[84:85], v[4:5] op_sel:[0,0,1] op_sel_hi:[1,1,0] neg_lo:[0,0,1] neg_hi:[0,0,1]
	v_pk_fma_f32 v[4:5], v[14:15], v[84:85], v[4:5] op_sel:[0,0,1] op_sel_hi:[1,0,0]
	v_mov_b32_e32 v4, v83
	v_mov_b32_e32 v9, v5
	s_waitcnt lgkmcnt(0)
	v_pk_mul_f32 v[4:5], v[16:17], v[4:5] op_sel_hi:[1,0]
	v_pk_add_f32 v[2:3], v[2:3], v[8:9]
	v_pk_fma_f32 v[8:9], v[16:17], v[82:83], v[4:5] op_sel:[0,0,1] op_sel_hi:[1,1,0] neg_lo:[0,0,1] neg_hi:[0,0,1]
	v_pk_fma_f32 v[4:5], v[16:17], v[82:83], v[4:5] op_sel:[0,0,1] op_sel_hi:[1,0,0]
	v_mov_b32_e32 v9, v5
	v_pk_add_f32 v[2:3], v[2:3], v[8:9]
	v_pk_add_f32 v[2:3], v[6:7], v[2:3] neg_lo:[0,1] neg_hi:[0,1]
	buffer_store_dword v3, off, s[0:3], 0 offset:140
	buffer_store_dword v2, off, s[0:3], 0 offset:136
	s_and_saveexec_b64 s[4:5], vcc
	s_cbranch_execz .LBB120_323
; %bb.322:
	buffer_load_dword v2, off, s[0:3], 0 offset:128
	buffer_load_dword v3, off, s[0:3], 0 offset:132
	s_waitcnt vmcnt(0)
	ds_write_b64 v165, v[2:3]
	buffer_store_dword v1, off, s[0:3], 0 offset:128
	buffer_store_dword v1, off, s[0:3], 0 offset:132
.LBB120_323:
	s_or_b64 exec, exec, s[4:5]
	s_waitcnt lgkmcnt(0)
	; wave barrier
	s_waitcnt lgkmcnt(0)
	buffer_load_dword v68, off, s[0:3], 0 offset:140
	buffer_load_dword v70, off, s[0:3], 0 offset:148
	;; [unrolled: 1-line block ×26, first 2 shown]
	ds_read2_b64 v[14:17], v1 offset0:75 offset1:76
	ds_read2_b64 v[6:9], v1 offset0:77 offset1:78
	buffer_load_dword v111, off, s[0:3], 0 offset:232
	buffer_load_dword v112, off, s[0:3], 0 offset:236
	ds_read2_b64 v[10:13], v1 offset0:79 offset1:80
	ds_read2_b64 v[2:5], v1 offset0:81 offset1:82
	buffer_load_dword v113, off, s[0:3], 0 offset:240
	buffer_load_dword v114, off, s[0:3], 0 offset:244
	;; [unrolled: 1-line block ×32, first 2 shown]
	v_cmp_lt_u32_e32 vcc, 15, v0
	s_waitcnt vmcnt(59) lgkmcnt(3)
	v_mul_f32_e32 v20, v14, v68
	s_waitcnt vmcnt(58)
	v_mul_f32_e32 v21, v16, v70
	s_waitcnt vmcnt(57) lgkmcnt(2)
	v_mul_f32_e32 v23, v8, v78
	s_waitcnt vmcnt(56) lgkmcnt(1)
	v_mul_f32_e32 v24, v10, v90
	s_waitcnt vmcnt(55)
	v_mul_f32_e32 v25, v12, v91
	s_waitcnt vmcnt(54)
	v_mul_f32_e32 v22, v6, v92
	s_waitcnt vmcnt(53) lgkmcnt(0)
	v_mul_f32_e32 v26, v2, v93
	s_waitcnt vmcnt(52)
	v_mul_f32_e32 v27, v4, v94
	s_waitcnt vmcnt(51)
	v_fmac_f32_e32 v22, v7, v95
	s_waitcnt vmcnt(50)
	v_fmac_f32_e32 v21, v17, v96
	s_waitcnt vmcnt(49)
	v_fmac_f32_e32 v20, v15, v97
	v_add_f32_e32 v20, 0, v20
	v_add_f32_e32 v20, v20, v21
	;; [unrolled: 1-line block ×3, first 2 shown]
	s_waitcnt vmcnt(45)
	v_fmac_f32_e32 v23, v9, v101
	v_fmac_f32_e32 v24, v11, v100
	v_add_f32_e32 v20, v20, v23
	v_fmac_f32_e32 v25, v13, v99
	v_add_f32_e32 v20, v20, v24
	;; [unrolled: 2-line block ×3, first 2 shown]
	v_add_f32_e32 v24, v20, v26
	ds_read2_b64 v[20:23], v1 offset0:83 offset1:84
	s_waitcnt vmcnt(41)
	v_fmac_f32_e32 v27, v5, v105
	buffer_load_dword v145, off, s[0:3], 0 offset:368
	buffer_load_dword v208, off, s[0:3], 0 offset:372
	v_add_f32_e32 v28, v24, v27
	buffer_load_dword v209, off, s[0:3], 0 offset:376
	buffer_load_dword v210, off, s[0:3], 0 offset:380
	ds_read2_b64 v[24:27], v1 offset0:85 offset1:86
	s_waitcnt vmcnt(44) lgkmcnt(1)
	v_mul_f32_e32 v29, v20, v106
	v_fmac_f32_e32 v29, v21, v104
	v_add_f32_e32 v28, v28, v29
	s_waitcnt vmcnt(43)
	v_mul_f32_e32 v29, v22, v107
	v_fmac_f32_e32 v29, v23, v103
	v_add_f32_e32 v28, v28, v29
	s_waitcnt vmcnt(42) lgkmcnt(0)
	v_mul_f32_e32 v29, v24, v108
	v_fmac_f32_e32 v29, v25, v102
	buffer_load_dword v211, off, s[0:3], 0 offset:384
	buffer_load_dword v212, off, s[0:3], 0 offset:388
	v_add_f32_e32 v32, v28, v29
	ds_read2_b64 v[28:31], v1 offset0:87 offset1:88
	s_waitcnt vmcnt(40)
	v_mul_f32_e32 v33, v26, v110
	v_fmac_f32_e32 v33, v27, v109
	v_add_f32_e32 v36, v32, v33
	ds_read2_b64 v[32:35], v1 offset0:89 offset1:90
	s_waitcnt vmcnt(38) lgkmcnt(1)
	v_mul_f32_e32 v37, v28, v112
	v_fmac_f32_e32 v37, v29, v111
	v_add_f32_e32 v36, v36, v37
	s_waitcnt vmcnt(36)
	v_mul_f32_e32 v37, v30, v114
	v_fmac_f32_e32 v37, v31, v113
	v_add_f32_e32 v36, v36, v37
	s_waitcnt vmcnt(34) lgkmcnt(0)
	v_mul_f32_e32 v37, v32, v116
	v_fmac_f32_e32 v37, v33, v115
	v_add_f32_e32 v40, v36, v37
	ds_read2_b64 v[36:39], v1 offset0:91 offset1:92
	s_waitcnt vmcnt(32)
	v_mul_f32_e32 v41, v34, v118
	v_fmac_f32_e32 v41, v35, v117
	v_add_f32_e32 v44, v40, v41
	ds_read2_b64 v[40:43], v1 offset0:93 offset1:94
	s_waitcnt vmcnt(30) lgkmcnt(1)
	v_mul_f32_e32 v45, v36, v120
	v_fmac_f32_e32 v45, v37, v119
	v_add_f32_e32 v44, v44, v45
	s_waitcnt vmcnt(28)
	v_mul_f32_e32 v45, v38, v122
	v_fmac_f32_e32 v45, v39, v121
	v_add_f32_e32 v44, v44, v45
	s_waitcnt vmcnt(26) lgkmcnt(0)
	v_mul_f32_e32 v45, v40, v124
	v_fmac_f32_e32 v45, v41, v123
	;; [unrolled: 18-line block ×4, first 2 shown]
	s_waitcnt vmcnt(8)
	v_mul_f32_e32 v65, v58, v142
	v_add_f32_e32 v64, v60, v61
	v_fmac_f32_e32 v65, v59, v141
	ds_read2_b64 v[60:63], v1 offset0:103 offset1:104
	v_add_f32_e32 v69, v64, v65
	ds_read2_b64 v[64:67], v1 offset0:105 offset1:106
	buffer_load_dword v73, off, s[0:3], 0 offset:412
	buffer_load_dword v72, off, s[0:3], 0 offset:408
	;; [unrolled: 1-line block ×16, first 2 shown]
	v_mul_f32_e32 v15, v15, v68
	v_fma_f32 v14, v14, v97, -v15
	v_mul_f32_e32 v15, v17, v70
	v_add_f32_e32 v14, 0, v14
	v_fma_f32 v15, v16, v96, -v15
	v_mul_f32_e32 v7, v7, v92
	v_add_f32_e32 v14, v14, v15
	;; [unrolled: 3-line block ×3, first 2 shown]
	v_fma_f32 v7, v8, v101, -v7
	v_add_f32_e32 v6, v6, v7
	v_mul_f32_e32 v7, v11, v90
	v_fma_f32 v7, v10, v100, -v7
	v_add_f32_e32 v6, v6, v7
	v_mul_f32_e32 v7, v13, v91
	v_fma_f32 v7, v12, v99, -v7
	v_mul_f32_e32 v3, v3, v93
	v_add_f32_e32 v6, v6, v7
	v_fma_f32 v2, v2, v98, -v3
	v_mul_f32_e32 v3, v5, v94
	v_add_f32_e32 v2, v6, v2
	v_fma_f32 v3, v4, v105, -v3
	v_add_f32_e32 v2, v2, v3
	v_mul_f32_e32 v3, v21, v106
	v_fma_f32 v3, v20, v104, -v3
	v_add_f32_e32 v2, v2, v3
	v_mul_f32_e32 v3, v23, v107
	;; [unrolled: 3-line block ×20, first 2 shown]
	v_fma_f32 v3, v58, v141, -v3
	v_add_f32_e32 v2, v2, v3
	s_waitcnt vmcnt(22) lgkmcnt(1)
	v_mul_f32_e32 v3, v61, v144
	v_fma_f32 v3, v60, v143, -v3
	v_add_f32_e32 v2, v2, v3
	s_waitcnt vmcnt(20)
	v_mul_f32_e32 v3, v63, v208
	v_mul_f32_e32 v71, v60, v144
	v_fma_f32 v3, v62, v145, -v3
	v_fmac_f32_e32 v71, v61, v143
	v_add_f32_e32 v68, v2, v3
	s_waitcnt vmcnt(18) lgkmcnt(0)
	v_mul_f32_e32 v2, v65, v210
	v_add_f32_e32 v69, v69, v71
	v_mul_f32_e32 v71, v62, v208
	v_fma_f32 v70, v64, v209, -v2
	s_waitcnt vmcnt(16)
	v_mul_f32_e32 v2, v67, v212
	v_fmac_f32_e32 v71, v63, v145
	v_fma_f32 v78, v66, v211, -v2
	ds_read2_b64 v[2:5], v1 offset0:107 offset1:108
	ds_read2_b64 v[6:9], v1 offset0:109 offset1:110
	ds_read2_b64 v[10:13], v1 offset0:111 offset1:112
	ds_read2_b64 v[14:17], v1 offset0:113 offset1:114
	v_add_f32_e32 v69, v69, v71
	v_mul_f32_e32 v71, v64, v210
	s_waitcnt vmcnt(11)
	v_mov_b32_e32 v22, v77
	v_fmac_f32_e32 v71, v65, v209
	v_mul_f32_e32 v79, v66, v212
	s_waitcnt lgkmcnt(3)
	v_pk_mul_f32 v[22:23], v[2:3], v[22:23] op_sel_hi:[1,0]
	v_fmac_f32_e32 v79, v67, v211
	v_pk_add_f32 v[20:21], v[68:69], v[70:71]
	s_waitcnt vmcnt(10)
	v_pk_fma_f32 v[24:25], v[2:3], v[76:77], v[22:23] op_sel:[0,0,1] op_sel_hi:[1,1,0] neg_lo:[0,0,1] neg_hi:[0,0,1]
	v_pk_fma_f32 v[2:3], v[2:3], v[76:77], v[22:23] op_sel:[0,0,1] op_sel_hi:[1,0,0]
	v_pk_add_f32 v[20:21], v[20:21], v[78:79]
	v_mov_b32_e32 v25, v3
	v_pk_add_f32 v[2:3], v[20:21], v[24:25]
	v_mov_b32_e32 v20, v75
	v_pk_mul_f32 v[20:21], v[4:5], v[20:21] op_sel_hi:[1,0]
	v_pk_fma_f32 v[22:23], v[4:5], v[74:75], v[20:21] op_sel:[0,0,1] op_sel_hi:[1,1,0] neg_lo:[0,0,1] neg_hi:[0,0,1]
	v_pk_fma_f32 v[4:5], v[4:5], v[74:75], v[20:21] op_sel:[0,0,1] op_sel_hi:[1,0,0]
	v_mov_b32_e32 v4, v73
	v_mov_b32_e32 v23, v5
	s_waitcnt lgkmcnt(2)
	v_pk_mul_f32 v[4:5], v[6:7], v[4:5] op_sel_hi:[1,0]
	v_pk_fma_f32 v[20:21], v[6:7], v[72:73], v[4:5] op_sel:[0,0,1] op_sel_hi:[1,1,0] neg_lo:[0,0,1] neg_hi:[0,0,1]
	v_pk_fma_f32 v[4:5], v[6:7], v[72:73], v[4:5] op_sel:[0,0,1] op_sel_hi:[1,0,0]
	s_waitcnt vmcnt(3)
	v_mov_b32_e32 v4, v87
	v_mov_b32_e32 v21, v5
	v_pk_mul_f32 v[4:5], v[8:9], v[4:5] op_sel_hi:[1,0]
	s_waitcnt vmcnt(2)
	v_pk_fma_f32 v[6:7], v[8:9], v[86:87], v[4:5] op_sel:[0,0,1] op_sel_hi:[1,1,0] neg_lo:[0,0,1] neg_hi:[0,0,1]
	v_pk_fma_f32 v[4:5], v[8:9], v[86:87], v[4:5] op_sel:[0,0,1] op_sel_hi:[1,0,0]
	v_pk_add_f32 v[2:3], v[2:3], v[22:23]
	v_mov_b32_e32 v4, v85
	v_pk_add_f32 v[2:3], v[2:3], v[20:21]
	v_mov_b32_e32 v7, v5
	s_waitcnt lgkmcnt(1)
	v_pk_mul_f32 v[4:5], v[10:11], v[4:5] op_sel_hi:[1,0]
	v_pk_add_f32 v[2:3], v[2:3], v[6:7]
	v_pk_fma_f32 v[6:7], v[10:11], v[84:85], v[4:5] op_sel:[0,0,1] op_sel_hi:[1,1,0] neg_lo:[0,0,1] neg_hi:[0,0,1]
	v_pk_fma_f32 v[4:5], v[10:11], v[84:85], v[4:5] op_sel:[0,0,1] op_sel_hi:[1,0,0]
	v_mov_b32_e32 v4, v83
	v_mov_b32_e32 v7, v5
	v_pk_mul_f32 v[4:5], v[12:13], v[4:5] op_sel_hi:[1,0]
	v_pk_add_f32 v[2:3], v[2:3], v[6:7]
	v_pk_fma_f32 v[6:7], v[12:13], v[82:83], v[4:5] op_sel:[0,0,1] op_sel_hi:[1,1,0] neg_lo:[0,0,1] neg_hi:[0,0,1]
	v_pk_fma_f32 v[4:5], v[12:13], v[82:83], v[4:5] op_sel:[0,0,1] op_sel_hi:[1,0,0]
	v_mov_b32_e32 v4, v81
	v_mov_b32_e32 v7, v5
	s_waitcnt lgkmcnt(0)
	v_pk_mul_f32 v[4:5], v[14:15], v[4:5] op_sel_hi:[1,0]
	v_pk_add_f32 v[2:3], v[2:3], v[6:7]
	v_pk_fma_f32 v[6:7], v[14:15], v[80:81], v[4:5] op_sel:[0,0,1] op_sel_hi:[1,1,0] neg_lo:[0,0,1] neg_hi:[0,0,1]
	v_pk_fma_f32 v[4:5], v[14:15], v[80:81], v[4:5] op_sel:[0,0,1] op_sel_hi:[1,0,0]
	s_waitcnt vmcnt(1)
	v_mov_b32_e32 v4, v89
	v_mov_b32_e32 v7, v5
	v_pk_mul_f32 v[4:5], v[16:17], v[4:5] op_sel_hi:[1,0]
	v_pk_add_f32 v[2:3], v[2:3], v[6:7]
	s_waitcnt vmcnt(0)
	v_pk_fma_f32 v[6:7], v[16:17], v[88:89], v[4:5] op_sel:[0,0,1] op_sel_hi:[1,1,0] neg_lo:[0,0,1] neg_hi:[0,0,1]
	v_pk_fma_f32 v[4:5], v[16:17], v[88:89], v[4:5] op_sel:[0,0,1] op_sel_hi:[1,0,0]
	v_mov_b32_e32 v7, v5
	v_pk_add_f32 v[2:3], v[2:3], v[6:7]
	v_pk_add_f32 v[2:3], v[18:19], v[2:3] neg_lo:[0,1] neg_hi:[0,1]
	buffer_store_dword v3, off, s[0:3], 0 offset:132
	buffer_store_dword v2, off, s[0:3], 0 offset:128
	s_and_saveexec_b64 s[4:5], vcc
	s_cbranch_execz .LBB120_325
; %bb.324:
	buffer_load_dword v2, off, s[0:3], 0 offset:120
	buffer_load_dword v3, off, s[0:3], 0 offset:124
	v_mov_b32_e32 v1, 0
	buffer_store_dword v1, off, s[0:3], 0 offset:120
	buffer_store_dword v1, off, s[0:3], 0 offset:124
	s_waitcnt vmcnt(2)
	ds_write_b64 v165, v[2:3]
.LBB120_325:
	s_or_b64 exec, exec, s[4:5]
	v_mov_b32_e32 v208, 0
	s_waitcnt lgkmcnt(0)
	; wave barrier
	s_waitcnt lgkmcnt(0)
	ds_read_b128 v[14:17], v208 offset:592
	ds_read_b128 v[10:13], v208 offset:608
	;; [unrolled: 1-line block ×4, first 2 shown]
	buffer_load_dword v70, off, s[0:3], 0 offset:120
	buffer_load_dword v71, off, s[0:3], 0 offset:124
	;; [unrolled: 1-line block ×18, first 2 shown]
	v_cmp_lt_u32_e32 vcc, 14, v0
	s_waitcnt vmcnt(14) lgkmcnt(3)
	v_mul_f32_e32 v18, v14, v78
	v_fmac_f32_e32 v18, v15, v1
	s_waitcnt vmcnt(12)
	v_mul_f32_e32 v19, v16, v95
	v_add_f32_e32 v18, 0, v18
	v_fmac_f32_e32 v19, v17, v72
	v_add_f32_e32 v18, v18, v19
	s_waitcnt vmcnt(10) lgkmcnt(2)
	v_mul_f32_e32 v19, v10, v97
	v_fmac_f32_e32 v19, v11, v74
	v_add_f32_e32 v18, v18, v19
	s_waitcnt vmcnt(8)
	v_mul_f32_e32 v19, v12, v99
	v_fmac_f32_e32 v19, v13, v94
	v_add_f32_e32 v18, v18, v19
	s_waitcnt vmcnt(6) lgkmcnt(1)
	v_mul_f32_e32 v19, v6, v101
	v_fmac_f32_e32 v19, v7, v96
	v_add_f32_e32 v18, v18, v19
	s_waitcnt vmcnt(4)
	v_mul_f32_e32 v19, v8, v102
	;; [unrolled: 8-line block ×3, first 2 shown]
	v_fmac_f32_e32 v19, v5, v104
	v_add_f32_e32 v22, v18, v19
	ds_read_b128 v[18:21], v208 offset:656
	buffer_load_dword v106, off, s[0:3], 0 offset:192
	buffer_load_dword v107, off, s[0:3], 0 offset:196
	buffer_load_dword v108, off, s[0:3], 0 offset:200
	buffer_load_dword v109, off, s[0:3], 0 offset:204
	ds_read_b128 v[26:29], v208 offset:672
	buffer_load_dword v110, off, s[0:3], 0 offset:208
	buffer_load_dword v111, off, s[0:3], 0 offset:212
	buffer_load_dword v112, off, s[0:3], 0 offset:216
	buffer_load_dword v113, off, s[0:3], 0 offset:220
	;; [unrolled: 5-line block ×12, first 2 shown]
	v_mul_f32_e32 v15, v15, v78
	v_fma_f32 v1, v14, v1, -v15
	v_mul_f32_e32 v14, v17, v95
	v_add_f32_e32 v1, 0, v1
	v_fma_f32 v14, v16, v72, -v14
	v_mul_f32_e32 v11, v11, v97
	v_add_f32_e32 v1, v1, v14
	v_fma_f32 v10, v10, v74, -v11
	v_add_f32_e32 v1, v1, v10
	v_mul_f32_e32 v10, v13, v99
	v_fma_f32 v10, v12, v94, -v10
	v_mul_f32_e32 v7, v7, v101
	v_add_f32_e32 v1, v1, v10
	v_fma_f32 v6, v6, v96, -v7
	v_add_f32_e32 v1, v1, v6
	v_mul_f32_e32 v6, v9, v102
	;; [unrolled: 6-line block ×3, first 2 shown]
	v_fma_f32 v2, v4, v104, -v2
	v_add_f32_e32 v1, v1, v2
	s_waitcnt vmcnt(46) lgkmcnt(11)
	v_mul_f32_e32 v23, v18, v107
	v_fmac_f32_e32 v23, v19, v106
	v_add_f32_e32 v22, v22, v23
	s_waitcnt vmcnt(44)
	v_mul_f32_e32 v23, v20, v109
	v_fmac_f32_e32 v23, v21, v108
	v_add_f32_e32 v22, v22, v23
	s_waitcnt vmcnt(42) lgkmcnt(10)
	v_mul_f32_e32 v23, v26, v111
	v_fmac_f32_e32 v23, v27, v110
	v_add_f32_e32 v22, v22, v23
	s_waitcnt vmcnt(40)
	v_mul_f32_e32 v23, v28, v113
	v_fmac_f32_e32 v23, v29, v112
	;; [unrolled: 8-line block ×11, first 2 shown]
	v_add_f32_e32 v22, v22, v23
	s_waitcnt vmcnt(2) lgkmcnt(0)
	v_mul_f32_e32 v23, v66, v214
	v_fmac_f32_e32 v23, v67, v213
	v_add_f32_e32 v73, v22, v23
	ds_read_b128 v[22:25], v208 offset:848
	buffer_load_dword v217, off, s[0:3], 0 offset:384
	buffer_load_dword v218, off, s[0:3], 0 offset:388
	;; [unrolled: 1-line block ×18, first 2 shown]
	v_mul_f32_e32 v2, v19, v107
	v_fma_f32 v2, v18, v106, -v2
	v_add_f32_e32 v1, v1, v2
	v_mul_f32_e32 v2, v21, v109
	v_fma_f32 v2, v20, v108, -v2
	v_add_f32_e32 v1, v1, v2
	;; [unrolled: 3-line block ×22, first 2 shown]
	v_mul_f32_e32 v2, v67, v214
	v_fma_f32 v2, v66, v213, -v2
	s_waitcnt vmcnt(15)
	v_mov_b32_e32 v18, v77
	v_mul_f32_e32 v75, v68, v216
	v_add_f32_e32 v72, v1, v2
	v_mul_f32_e32 v1, v69, v216
	s_waitcnt lgkmcnt(0)
	v_pk_mul_f32 v[18:19], v[24:25], v[18:19] op_sel_hi:[1,0]
	v_fmac_f32_e32 v75, v69, v215
	v_fma_f32 v74, v68, v215, -v1
	ds_read_b128 v[2:5], v208 offset:864
	ds_read_b128 v[6:9], v208 offset:880
	;; [unrolled: 1-line block ×3, first 2 shown]
	ds_read_b64 v[14:15], v208 offset:912
	s_waitcnt vmcnt(14)
	v_pk_fma_f32 v[20:21], v[24:25], v[76:77], v[18:19] op_sel:[0,0,1] op_sel_hi:[1,1,0] neg_lo:[0,0,1] neg_hi:[0,0,1]
	v_pk_fma_f32 v[18:19], v[24:25], v[76:77], v[18:19] op_sel:[0,0,1] op_sel_hi:[1,0,0]
	v_mul_f32_e32 v79, v22, v218
	v_mul_f32_e32 v1, v23, v218
	v_fmac_f32_e32 v79, v23, v217
	v_fma_f32 v78, v22, v217, -v1
	v_pk_add_f32 v[16:17], v[72:73], v[74:75]
	s_waitcnt vmcnt(13)
	v_mov_b32_e32 v18, v93
	v_pk_add_f32 v[16:17], v[16:17], v[78:79]
	v_mov_b32_e32 v21, v19
	s_waitcnt lgkmcnt(3)
	v_pk_mul_f32 v[18:19], v[2:3], v[18:19] op_sel_hi:[1,0]
	v_pk_add_f32 v[16:17], v[16:17], v[20:21]
	s_waitcnt vmcnt(12)
	v_pk_fma_f32 v[20:21], v[2:3], v[92:93], v[18:19] op_sel:[0,0,1] op_sel_hi:[1,1,0] neg_lo:[0,0,1] neg_hi:[0,0,1]
	v_pk_fma_f32 v[2:3], v[2:3], v[92:93], v[18:19] op_sel:[0,0,1] op_sel_hi:[1,0,0]
	v_mov_b32_e32 v21, v3
	v_pk_add_f32 v[2:3], v[16:17], v[20:21]
	s_waitcnt vmcnt(11)
	v_mov_b32_e32 v16, v91
	v_pk_mul_f32 v[16:17], v[4:5], v[16:17] op_sel_hi:[1,0]
	s_waitcnt vmcnt(10)
	v_pk_fma_f32 v[18:19], v[4:5], v[90:91], v[16:17] op_sel:[0,0,1] op_sel_hi:[1,1,0] neg_lo:[0,0,1] neg_hi:[0,0,1]
	v_pk_fma_f32 v[4:5], v[4:5], v[90:91], v[16:17] op_sel:[0,0,1] op_sel_hi:[1,0,0]
	s_waitcnt vmcnt(9)
	v_mov_b32_e32 v4, v89
	v_mov_b32_e32 v19, v5
	s_waitcnt lgkmcnt(2)
	v_pk_mul_f32 v[4:5], v[6:7], v[4:5] op_sel_hi:[1,0]
	s_waitcnt vmcnt(8)
	v_pk_fma_f32 v[16:17], v[6:7], v[88:89], v[4:5] op_sel:[0,0,1] op_sel_hi:[1,1,0] neg_lo:[0,0,1] neg_hi:[0,0,1]
	v_pk_fma_f32 v[4:5], v[6:7], v[88:89], v[4:5] op_sel:[0,0,1] op_sel_hi:[1,0,0]
	s_waitcnt vmcnt(7)
	v_mov_b32_e32 v4, v87
	v_mov_b32_e32 v17, v5
	v_pk_mul_f32 v[4:5], v[8:9], v[4:5] op_sel_hi:[1,0]
	s_waitcnt vmcnt(6)
	v_pk_fma_f32 v[6:7], v[8:9], v[86:87], v[4:5] op_sel:[0,0,1] op_sel_hi:[1,1,0] neg_lo:[0,0,1] neg_hi:[0,0,1]
	v_pk_fma_f32 v[4:5], v[8:9], v[86:87], v[4:5] op_sel:[0,0,1] op_sel_hi:[1,0,0]
	v_pk_add_f32 v[2:3], v[2:3], v[18:19]
	s_waitcnt vmcnt(5)
	v_mov_b32_e32 v4, v85
	v_pk_add_f32 v[2:3], v[2:3], v[16:17]
	v_mov_b32_e32 v7, v5
	s_waitcnt lgkmcnt(1)
	v_pk_mul_f32 v[4:5], v[10:11], v[4:5] op_sel_hi:[1,0]
	v_pk_add_f32 v[2:3], v[2:3], v[6:7]
	s_waitcnt vmcnt(4)
	v_pk_fma_f32 v[6:7], v[10:11], v[84:85], v[4:5] op_sel:[0,0,1] op_sel_hi:[1,1,0] neg_lo:[0,0,1] neg_hi:[0,0,1]
	v_pk_fma_f32 v[4:5], v[10:11], v[84:85], v[4:5] op_sel:[0,0,1] op_sel_hi:[1,0,0]
	s_waitcnt vmcnt(3)
	v_mov_b32_e32 v4, v83
	v_mov_b32_e32 v7, v5
	v_pk_mul_f32 v[4:5], v[12:13], v[4:5] op_sel_hi:[1,0]
	v_pk_add_f32 v[2:3], v[2:3], v[6:7]
	s_waitcnt vmcnt(2)
	v_pk_fma_f32 v[6:7], v[12:13], v[82:83], v[4:5] op_sel:[0,0,1] op_sel_hi:[1,1,0] neg_lo:[0,0,1] neg_hi:[0,0,1]
	v_pk_fma_f32 v[4:5], v[12:13], v[82:83], v[4:5] op_sel:[0,0,1] op_sel_hi:[1,0,0]
	s_waitcnt vmcnt(1)
	v_mov_b32_e32 v4, v81
	v_mov_b32_e32 v7, v5
	s_waitcnt lgkmcnt(0)
	v_pk_mul_f32 v[4:5], v[14:15], v[4:5] op_sel_hi:[1,0]
	v_pk_add_f32 v[2:3], v[2:3], v[6:7]
	s_waitcnt vmcnt(0)
	v_pk_fma_f32 v[6:7], v[14:15], v[80:81], v[4:5] op_sel:[0,0,1] op_sel_hi:[1,1,0] neg_lo:[0,0,1] neg_hi:[0,0,1]
	v_pk_fma_f32 v[4:5], v[14:15], v[80:81], v[4:5] op_sel:[0,0,1] op_sel_hi:[1,0,0]
	v_mov_b32_e32 v7, v5
	v_pk_add_f32 v[2:3], v[2:3], v[6:7]
	v_pk_add_f32 v[2:3], v[70:71], v[2:3] neg_lo:[0,1] neg_hi:[0,1]
	buffer_store_dword v3, off, s[0:3], 0 offset:124
	buffer_store_dword v2, off, s[0:3], 0 offset:120
	s_and_saveexec_b64 s[4:5], vcc
	s_cbranch_execz .LBB120_327
; %bb.326:
	buffer_load_dword v2, off, s[0:3], 0 offset:112
	buffer_load_dword v3, off, s[0:3], 0 offset:116
	s_waitcnt vmcnt(0)
	ds_write_b64 v165, v[2:3]
	buffer_store_dword v208, off, s[0:3], 0 offset:112
	buffer_store_dword v208, off, s[0:3], 0 offset:116
.LBB120_327:
	s_or_b64 exec, exec, s[4:5]
	s_waitcnt lgkmcnt(0)
	; wave barrier
	s_waitcnt lgkmcnt(0)
	buffer_load_dword v1, off, s[0:3], 0 offset:124
	buffer_load_dword v78, off, s[0:3], 0 offset:132
	;; [unrolled: 1-line block ×24, first 2 shown]
	ds_read2_b64 v[22:25], v208 offset0:73 offset1:74
	ds_read2_b64 v[18:21], v208 offset0:75 offset1:76
	ds_read2_b64 v[14:17], v208 offset0:77 offset1:78
	ds_read2_b64 v[6:9], v208 offset0:79 offset1:80
	buffer_load_dword v116, off, s[0:3], 0 offset:208
	buffer_load_dword v117, off, s[0:3], 0 offset:212
	ds_read2_b64 v[10:13], v208 offset0:81 offset1:82
	ds_read2_b64 v[2:5], v208 offset0:83 offset1:84
	buffer_load_dword v118, off, s[0:3], 0 offset:216
	buffer_load_dword v119, off, s[0:3], 0 offset:220
	;; [unrolled: 1-line block ×44, first 2 shown]
	v_cmp_lt_u32_e32 vcc, 13, v0
	s_waitcnt vmcnt(62) lgkmcnt(5)
	v_mul_f32_e32 v28, v22, v1
	v_mul_f32_e32 v29, v24, v78
	s_waitcnt lgkmcnt(4)
	v_mul_f32_e32 v31, v20, v80
	s_waitcnt lgkmcnt(3)
	v_mul_f32_e32 v32, v14, v82
	v_mul_f32_e32 v33, v16, v98
	;; [unrolled: 1-line block ×3, first 2 shown]
	s_waitcnt lgkmcnt(2)
	v_mul_f32_e32 v34, v6, v100
	v_mul_f32_e32 v35, v8, v101
	s_waitcnt vmcnt(61)
	v_fmac_f32_e32 v30, v19, v102
	s_waitcnt vmcnt(60)
	v_fmac_f32_e32 v29, v25, v103
	;; [unrolled: 2-line block ×3, first 2 shown]
	v_add_f32_e32 v28, 0, v28
	v_add_f32_e32 v28, v28, v29
	;; [unrolled: 1-line block ×3, first 2 shown]
	s_waitcnt vmcnt(55)
	v_fmac_f32_e32 v31, v21, v108
	v_fmac_f32_e32 v32, v15, v107
	v_add_f32_e32 v28, v28, v31
	v_fmac_f32_e32 v33, v17, v106
	v_add_f32_e32 v28, v28, v32
	;; [unrolled: 2-line block ×3, first 2 shown]
	s_waitcnt vmcnt(51)
	v_fmac_f32_e32 v35, v9, v112
	v_add_f32_e32 v28, v28, v34
	s_waitcnt vmcnt(50) lgkmcnt(1)
	v_mul_f32_e32 v29, v10, v113
	v_add_f32_e32 v28, v28, v35
	v_fmac_f32_e32 v29, v11, v111
	v_add_f32_e32 v28, v28, v29
	s_waitcnt vmcnt(49)
	v_mul_f32_e32 v29, v12, v114
	v_fmac_f32_e32 v29, v13, v110
	v_add_f32_e32 v28, v28, v29
	s_waitcnt vmcnt(48) lgkmcnt(0)
	v_mul_f32_e32 v29, v2, v115
	v_fmac_f32_e32 v29, v3, v109
	v_add_f32_e32 v32, v28, v29
	ds_read2_b64 v[28:31], v208 offset0:85 offset1:86
	s_waitcnt vmcnt(44)
	v_mul_f32_e32 v33, v4, v117
	v_fmac_f32_e32 v33, v5, v116
	v_add_f32_e32 v36, v32, v33
	ds_read2_b64 v[32:35], v208 offset0:87 offset1:88
	s_waitcnt vmcnt(42) lgkmcnt(1)
	v_mul_f32_e32 v37, v28, v119
	v_fmac_f32_e32 v37, v29, v118
	v_add_f32_e32 v36, v36, v37
	s_waitcnt vmcnt(40)
	v_mul_f32_e32 v37, v30, v121
	v_fmac_f32_e32 v37, v31, v120
	v_add_f32_e32 v36, v36, v37
	s_waitcnt vmcnt(38) lgkmcnt(0)
	v_mul_f32_e32 v37, v32, v123
	v_fmac_f32_e32 v37, v33, v122
	v_add_f32_e32 v40, v36, v37
	ds_read2_b64 v[36:39], v208 offset0:89 offset1:90
	s_waitcnt vmcnt(36)
	v_mul_f32_e32 v41, v34, v125
	v_fmac_f32_e32 v41, v35, v124
	v_add_f32_e32 v44, v40, v41
	ds_read2_b64 v[40:43], v208 offset0:91 offset1:92
	s_waitcnt vmcnt(34) lgkmcnt(1)
	v_mul_f32_e32 v45, v36, v127
	;; [unrolled: 18-line block ×4, first 2 shown]
	v_fmac_f32_e32 v61, v53, v142
	v_add_f32_e32 v60, v60, v61
	s_waitcnt vmcnt(16)
	v_mul_f32_e32 v61, v54, v145
	v_fmac_f32_e32 v61, v55, v144
	v_add_f32_e32 v60, v60, v61
	s_waitcnt vmcnt(14) lgkmcnt(0)
	v_mul_f32_e32 v61, v56, v210
	v_fmac_f32_e32 v61, v57, v209
	v_add_f32_e32 v64, v60, v61
	ds_read2_b64 v[60:63], v208 offset0:101 offset1:102
	s_waitcnt vmcnt(12)
	v_mul_f32_e32 v65, v58, v212
	v_fmac_f32_e32 v65, v59, v211
	v_add_f32_e32 v68, v64, v65
	ds_read2_b64 v[64:67], v208 offset0:103 offset1:104
	buffer_load_dword v77, off, s[0:3], 0 offset:396
	buffer_load_dword v76, off, s[0:3], 0 offset:392
	s_waitcnt vmcnt(12) lgkmcnt(1)
	v_mul_f32_e32 v69, v60, v214
	v_fmac_f32_e32 v69, v61, v213
	v_add_f32_e32 v68, v68, v69
	s_waitcnt vmcnt(10)
	v_mul_f32_e32 v69, v62, v216
	v_fmac_f32_e32 v69, v63, v215
	v_add_f32_e32 v68, v68, v69
	s_waitcnt vmcnt(8) lgkmcnt(0)
	v_mul_f32_e32 v69, v64, v218
	v_fmac_f32_e32 v69, v65, v217
	s_waitcnt vmcnt(6)
	v_mul_f32_e32 v73, v66, v220
	v_add_f32_e32 v72, v68, v69
	v_fmac_f32_e32 v73, v67, v219
	ds_read2_b64 v[68:71], v208 offset0:105 offset1:106
	v_add_f32_e32 v79, v72, v73
	ds_read2_b64 v[72:75], v208 offset0:107 offset1:108
	buffer_load_dword v85, off, s[0:3], 0 offset:428
	buffer_load_dword v84, off, s[0:3], 0 offset:424
	;; [unrolled: 1-line block ×14, first 2 shown]
	v_mul_f32_e32 v1, v23, v1
	v_fma_f32 v1, v22, v104, -v1
	v_mul_f32_e32 v22, v25, v78
	v_add_f32_e32 v1, 0, v1
	v_fma_f32 v22, v24, v103, -v22
	v_mul_f32_e32 v19, v19, v99
	v_add_f32_e32 v1, v1, v22
	v_fma_f32 v18, v18, v102, -v19
	v_add_f32_e32 v1, v1, v18
	v_mul_f32_e32 v18, v21, v80
	v_fma_f32 v18, v20, v108, -v18
	v_mul_f32_e32 v15, v15, v82
	v_add_f32_e32 v1, v1, v18
	v_fma_f32 v14, v14, v107, -v15
	v_add_f32_e32 v1, v1, v14
	v_mul_f32_e32 v14, v17, v98
	;; [unrolled: 6-line block ×3, first 2 shown]
	v_fma_f32 v6, v8, v112, -v6
	v_add_f32_e32 v1, v1, v6
	v_mul_f32_e32 v6, v11, v113
	v_fma_f32 v6, v10, v111, -v6
	v_add_f32_e32 v1, v1, v6
	v_mul_f32_e32 v6, v13, v114
	v_fma_f32 v6, v12, v110, -v6
	v_mul_f32_e32 v3, v3, v115
	v_add_f32_e32 v1, v1, v6
	v_fma_f32 v2, v2, v109, -v3
	v_add_f32_e32 v1, v1, v2
	v_mul_f32_e32 v2, v5, v117
	v_fma_f32 v2, v4, v116, -v2
	v_add_f32_e32 v1, v1, v2
	v_mul_f32_e32 v2, v29, v119
	;; [unrolled: 3-line block ×21, first 2 shown]
	v_fma_f32 v2, v66, v219, -v2
	s_waitcnt vmcnt(15)
	v_mov_b32_e32 v16, v77
	s_waitcnt lgkmcnt(1)
	v_mul_f32_e32 v81, v68, v222
	v_add_f32_e32 v78, v1, v2
	v_mul_f32_e32 v1, v69, v222
	s_waitcnt lgkmcnt(0)
	v_pk_mul_f32 v[16:17], v[72:73], v[16:17] op_sel_hi:[1,0]
	v_fmac_f32_e32 v81, v69, v221
	v_mul_f32_e32 v83, v70, v224
	v_fma_f32 v80, v68, v221, -v1
	v_mul_f32_e32 v1, v71, v224
	s_waitcnt vmcnt(14)
	v_pk_fma_f32 v[18:19], v[72:73], v[76:77], v[16:17] op_sel:[0,0,1] op_sel_hi:[1,1,0] neg_lo:[0,0,1] neg_hi:[0,0,1]
	v_pk_fma_f32 v[16:17], v[72:73], v[76:77], v[16:17] op_sel:[0,0,1] op_sel_hi:[1,0,0]
	v_fmac_f32_e32 v83, v71, v223
	v_fma_f32 v82, v70, v223, -v1
	v_pk_add_f32 v[14:15], v[78:79], v[80:81]
	s_waitcnt vmcnt(7)
	v_mov_b32_e32 v16, v91
	ds_read2_b64 v[2:5], v208 offset0:109 offset1:110
	ds_read2_b64 v[6:9], v208 offset0:111 offset1:112
	;; [unrolled: 1-line block ×3, first 2 shown]
	v_pk_add_f32 v[14:15], v[14:15], v[82:83]
	v_mov_b32_e32 v19, v17
	v_pk_mul_f32 v[16:17], v[74:75], v[16:17] op_sel_hi:[1,0]
	v_pk_add_f32 v[14:15], v[14:15], v[18:19]
	s_waitcnt vmcnt(6)
	v_pk_fma_f32 v[18:19], v[74:75], v[90:91], v[16:17] op_sel:[0,0,1] op_sel_hi:[1,1,0] neg_lo:[0,0,1] neg_hi:[0,0,1]
	v_pk_fma_f32 v[16:17], v[74:75], v[90:91], v[16:17] op_sel:[0,0,1] op_sel_hi:[1,0,0]
	v_mov_b32_e32 v16, v89
	v_mov_b32_e32 v19, v17
	s_waitcnt lgkmcnt(2)
	v_pk_mul_f32 v[16:17], v[2:3], v[16:17] op_sel_hi:[1,0]
	v_pk_add_f32 v[14:15], v[14:15], v[18:19]
	v_pk_fma_f32 v[18:19], v[2:3], v[88:89], v[16:17] op_sel:[0,0,1] op_sel_hi:[1,1,0] neg_lo:[0,0,1] neg_hi:[0,0,1]
	v_pk_fma_f32 v[2:3], v[2:3], v[88:89], v[16:17] op_sel:[0,0,1] op_sel_hi:[1,0,0]
	v_mov_b32_e32 v19, v3
	v_pk_add_f32 v[2:3], v[14:15], v[18:19]
	v_mov_b32_e32 v14, v87
	v_pk_mul_f32 v[14:15], v[4:5], v[14:15] op_sel_hi:[1,0]
	v_pk_fma_f32 v[16:17], v[4:5], v[86:87], v[14:15] op_sel:[0,0,1] op_sel_hi:[1,1,0] neg_lo:[0,0,1] neg_hi:[0,0,1]
	v_pk_fma_f32 v[4:5], v[4:5], v[86:87], v[14:15] op_sel:[0,0,1] op_sel_hi:[1,0,0]
	v_mov_b32_e32 v4, v85
	v_mov_b32_e32 v17, v5
	s_waitcnt lgkmcnt(1)
	v_pk_mul_f32 v[4:5], v[6:7], v[4:5] op_sel_hi:[1,0]
	v_pk_fma_f32 v[14:15], v[6:7], v[84:85], v[4:5] op_sel:[0,0,1] op_sel_hi:[1,1,0] neg_lo:[0,0,1] neg_hi:[0,0,1]
	v_pk_fma_f32 v[4:5], v[6:7], v[84:85], v[4:5] op_sel:[0,0,1] op_sel_hi:[1,0,0]
	s_waitcnt vmcnt(1)
	v_mov_b32_e32 v4, v97
	v_mov_b32_e32 v15, v5
	v_pk_mul_f32 v[4:5], v[8:9], v[4:5] op_sel_hi:[1,0]
	s_waitcnt vmcnt(0)
	v_pk_fma_f32 v[6:7], v[8:9], v[96:97], v[4:5] op_sel:[0,0,1] op_sel_hi:[1,1,0] neg_lo:[0,0,1] neg_hi:[0,0,1]
	v_pk_fma_f32 v[4:5], v[8:9], v[96:97], v[4:5] op_sel:[0,0,1] op_sel_hi:[1,0,0]
	v_pk_add_f32 v[2:3], v[2:3], v[16:17]
	v_mov_b32_e32 v4, v95
	v_pk_add_f32 v[2:3], v[2:3], v[14:15]
	v_mov_b32_e32 v7, v5
	s_waitcnt lgkmcnt(0)
	v_pk_mul_f32 v[4:5], v[10:11], v[4:5] op_sel_hi:[1,0]
	v_pk_add_f32 v[2:3], v[2:3], v[6:7]
	v_pk_fma_f32 v[6:7], v[10:11], v[94:95], v[4:5] op_sel:[0,0,1] op_sel_hi:[1,1,0] neg_lo:[0,0,1] neg_hi:[0,0,1]
	v_pk_fma_f32 v[4:5], v[10:11], v[94:95], v[4:5] op_sel:[0,0,1] op_sel_hi:[1,0,0]
	v_mov_b32_e32 v4, v93
	v_mov_b32_e32 v7, v5
	v_pk_mul_f32 v[4:5], v[12:13], v[4:5] op_sel_hi:[1,0]
	v_pk_add_f32 v[2:3], v[2:3], v[6:7]
	v_pk_fma_f32 v[6:7], v[12:13], v[92:93], v[4:5] op_sel:[0,0,1] op_sel_hi:[1,1,0] neg_lo:[0,0,1] neg_hi:[0,0,1]
	v_pk_fma_f32 v[4:5], v[12:13], v[92:93], v[4:5] op_sel:[0,0,1] op_sel_hi:[1,0,0]
	v_mov_b32_e32 v7, v5
	v_pk_add_f32 v[2:3], v[2:3], v[6:7]
	v_pk_add_f32 v[2:3], v[26:27], v[2:3] neg_lo:[0,1] neg_hi:[0,1]
	buffer_store_dword v3, off, s[0:3], 0 offset:116
	buffer_store_dword v2, off, s[0:3], 0 offset:112
	s_and_saveexec_b64 s[4:5], vcc
	s_cbranch_execz .LBB120_329
; %bb.328:
	buffer_load_dword v2, off, s[0:3], 0 offset:104
	buffer_load_dword v3, off, s[0:3], 0 offset:108
	v_mov_b32_e32 v1, 0
	buffer_store_dword v1, off, s[0:3], 0 offset:104
	buffer_store_dword v1, off, s[0:3], 0 offset:108
	s_waitcnt vmcnt(2)
	ds_write_b64 v165, v[2:3]
.LBB120_329:
	s_or_b64 exec, exec, s[4:5]
	s_waitcnt lgkmcnt(0)
	; wave barrier
	s_waitcnt lgkmcnt(0)
	buffer_load_dword v76, off, s[0:3], 0 offset:116
	buffer_load_dword v78, off, s[0:3], 0 offset:124
	;; [unrolled: 1-line block ×56, first 2 shown]
	v_mov_b32_e32 v1, 0
	ds_read_b128 v[4:7], v1 offset:576
	ds_read_b128 v[8:11], v1 offset:592
	;; [unrolled: 1-line block ×6, first 2 shown]
	buffer_load_dword v211, off, s[0:3], 0 offset:328
	buffer_load_dword v212, off, s[0:3], 0 offset:332
	;; [unrolled: 1-line block ×16, first 2 shown]
	v_cmp_lt_u32_e32 vcc, 12, v0
	s_waitcnt vmcnt(62) lgkmcnt(5)
	v_mul_f32_e32 v28, v4, v76
	v_mul_f32_e32 v29, v6, v78
	s_waitcnt lgkmcnt(4)
	v_mul_f32_e32 v31, v10, v80
	s_waitcnt lgkmcnt(3)
	v_mul_f32_e32 v32, v12, v98
	v_mul_f32_e32 v33, v14, v99
	;; [unrolled: 1-line block ×3, first 2 shown]
	s_waitcnt lgkmcnt(2)
	v_mul_f32_e32 v34, v16, v101
	v_mul_f32_e32 v35, v18, v102
	s_waitcnt lgkmcnt(1)
	v_mul_f32_e32 v36, v20, v103
	v_fmac_f32_e32 v30, v9, v104
	s_waitcnt vmcnt(61)
	v_fmac_f32_e32 v29, v7, v105
	s_waitcnt vmcnt(60)
	v_fmac_f32_e32 v28, v5, v106
	v_add_f32_e32 v28, 0, v28
	v_add_f32_e32 v28, v28, v29
	;; [unrolled: 1-line block ×3, first 2 shown]
	s_waitcnt vmcnt(56)
	v_fmac_f32_e32 v31, v11, v110
	v_fmac_f32_e32 v32, v13, v109
	v_add_f32_e32 v28, v28, v31
	v_fmac_f32_e32 v33, v15, v108
	v_add_f32_e32 v28, v28, v32
	;; [unrolled: 2-line block ×3, first 2 shown]
	s_waitcnt vmcnt(52)
	v_fmac_f32_e32 v35, v19, v114
	v_add_f32_e32 v28, v28, v34
	v_add_f32_e32 v28, v28, v35
	v_fmac_f32_e32 v36, v21, v113
	s_waitcnt vmcnt(51)
	v_mul_f32_e32 v29, v22, v115
	v_add_f32_e32 v28, v28, v36
	v_fmac_f32_e32 v29, v23, v112
	v_add_f32_e32 v28, v28, v29
	s_waitcnt vmcnt(50) lgkmcnt(0)
	v_mul_f32_e32 v29, v24, v116
	v_fmac_f32_e32 v29, v25, v111
	v_add_f32_e32 v32, v28, v29
	ds_read_b128 v[28:31], v1 offset:672
	s_waitcnt vmcnt(46)
	v_mul_f32_e32 v33, v26, v118
	v_fmac_f32_e32 v33, v27, v117
	v_add_f32_e32 v36, v32, v33
	ds_read_b128 v[32:35], v1 offset:688
	s_waitcnt vmcnt(44) lgkmcnt(1)
	v_mul_f32_e32 v37, v28, v120
	v_fmac_f32_e32 v37, v29, v119
	v_add_f32_e32 v36, v36, v37
	s_waitcnt vmcnt(42)
	v_mul_f32_e32 v37, v30, v122
	v_fmac_f32_e32 v37, v31, v121
	v_add_f32_e32 v36, v36, v37
	s_waitcnt vmcnt(40) lgkmcnt(0)
	v_mul_f32_e32 v37, v32, v124
	v_fmac_f32_e32 v37, v33, v123
	v_add_f32_e32 v40, v36, v37
	ds_read_b128 v[36:39], v1 offset:704
	s_waitcnt vmcnt(38)
	v_mul_f32_e32 v41, v34, v126
	v_fmac_f32_e32 v41, v35, v125
	v_add_f32_e32 v44, v40, v41
	ds_read_b128 v[40:43], v1 offset:720
	s_waitcnt vmcnt(36) lgkmcnt(1)
	v_mul_f32_e32 v45, v36, v128
	v_fmac_f32_e32 v45, v37, v127
	v_add_f32_e32 v44, v44, v45
	s_waitcnt vmcnt(34)
	v_mul_f32_e32 v45, v38, v130
	;; [unrolled: 18-line block ×5, first 2 shown]
	v_fmac_f32_e32 v69, v63, v215
	v_add_f32_e32 v68, v68, v69
	s_waitcnt vmcnt(8) lgkmcnt(0)
	v_mul_f32_e32 v69, v64, v218
	v_fmac_f32_e32 v69, v65, v217
	s_waitcnt vmcnt(6)
	v_mul_f32_e32 v73, v66, v220
	v_add_f32_e32 v72, v68, v69
	v_fmac_f32_e32 v73, v67, v219
	ds_read_b128 v[68:71], v1 offset:832
	v_add_f32_e32 v77, v72, v73
	ds_read_b128 v[72:75], v1 offset:848
	buffer_load_dword v83, off, s[0:3], 0 offset:420
	buffer_load_dword v82, off, s[0:3], 0 offset:416
	;; [unrolled: 1-line block ×16, first 2 shown]
	v_mul_f32_e32 v5, v5, v76
	v_fma_f32 v4, v4, v106, -v5
	v_mul_f32_e32 v5, v7, v78
	v_add_f32_e32 v4, 0, v4
	v_fma_f32 v5, v6, v105, -v5
	v_add_f32_e32 v4, v4, v5
	v_mul_f32_e32 v5, v9, v100
	v_fma_f32 v5, v8, v104, -v5
	v_add_f32_e32 v4, v4, v5
	v_mul_f32_e32 v5, v11, v80
	v_fma_f32 v5, v10, v110, -v5
	v_add_f32_e32 v4, v4, v5
	v_mul_f32_e32 v5, v13, v98
	v_fma_f32 v5, v12, v109, -v5
	v_add_f32_e32 v4, v4, v5
	v_mul_f32_e32 v5, v15, v99
	v_fma_f32 v5, v14, v108, -v5
	v_add_f32_e32 v4, v4, v5
	v_mul_f32_e32 v5, v17, v101
	v_fma_f32 v5, v16, v107, -v5
	v_add_f32_e32 v4, v4, v5
	v_mul_f32_e32 v5, v19, v102
	v_fma_f32 v5, v18, v114, -v5
	v_add_f32_e32 v4, v4, v5
	v_mul_f32_e32 v5, v21, v103
	v_fma_f32 v5, v20, v113, -v5
	v_add_f32_e32 v4, v4, v5
	v_mul_f32_e32 v5, v23, v115
	v_fma_f32 v5, v22, v112, -v5
	v_add_f32_e32 v4, v4, v5
	v_mul_f32_e32 v5, v25, v116
	v_fma_f32 v5, v24, v111, -v5
	v_add_f32_e32 v4, v4, v5
	v_mul_f32_e32 v5, v27, v118
	v_fma_f32 v5, v26, v117, -v5
	v_add_f32_e32 v4, v4, v5
	v_mul_f32_e32 v5, v29, v120
	v_fma_f32 v5, v28, v119, -v5
	v_add_f32_e32 v4, v4, v5
	v_mul_f32_e32 v5, v31, v122
	v_fma_f32 v5, v30, v121, -v5
	v_add_f32_e32 v4, v4, v5
	v_mul_f32_e32 v5, v33, v124
	v_fma_f32 v5, v32, v123, -v5
	v_add_f32_e32 v4, v4, v5
	v_mul_f32_e32 v5, v35, v126
	v_fma_f32 v5, v34, v125, -v5
	v_add_f32_e32 v4, v4, v5
	v_mul_f32_e32 v5, v37, v128
	v_fma_f32 v5, v36, v127, -v5
	v_add_f32_e32 v4, v4, v5
	v_mul_f32_e32 v5, v39, v130
	v_fma_f32 v5, v38, v129, -v5
	v_add_f32_e32 v4, v4, v5
	v_mul_f32_e32 v5, v41, v132
	v_fma_f32 v5, v40, v131, -v5
	v_add_f32_e32 v4, v4, v5
	v_mul_f32_e32 v5, v43, v134
	v_fma_f32 v5, v42, v133, -v5
	v_add_f32_e32 v4, v4, v5
	v_mul_f32_e32 v5, v45, v136
	v_fma_f32 v5, v44, v135, -v5
	v_add_f32_e32 v4, v4, v5
	v_mul_f32_e32 v5, v47, v138
	v_fma_f32 v5, v46, v137, -v5
	v_add_f32_e32 v4, v4, v5
	v_mul_f32_e32 v5, v49, v140
	v_fma_f32 v5, v48, v139, -v5
	v_add_f32_e32 v4, v4, v5
	v_mul_f32_e32 v5, v51, v142
	v_fma_f32 v5, v50, v141, -v5
	v_add_f32_e32 v4, v4, v5
	v_mul_f32_e32 v5, v53, v144
	v_fma_f32 v5, v52, v143, -v5
	v_add_f32_e32 v4, v4, v5
	v_mul_f32_e32 v5, v55, v208
	v_fma_f32 v5, v54, v145, -v5
	v_add_f32_e32 v4, v4, v5
	v_mul_f32_e32 v5, v57, v210
	v_fma_f32 v5, v56, v209, -v5
	v_add_f32_e32 v4, v4, v5
	v_mul_f32_e32 v5, v59, v212
	v_fma_f32 v5, v58, v211, -v5
	v_add_f32_e32 v4, v4, v5
	v_mul_f32_e32 v5, v61, v214
	v_fma_f32 v5, v60, v213, -v5
	v_add_f32_e32 v4, v4, v5
	v_mul_f32_e32 v5, v63, v216
	v_fma_f32 v5, v62, v215, -v5
	v_add_f32_e32 v4, v4, v5
	v_mul_f32_e32 v5, v65, v218
	v_fma_f32 v5, v64, v217, -v5
	v_add_f32_e32 v4, v4, v5
	v_mul_f32_e32 v5, v67, v220
	v_fma_f32 v5, v66, v219, -v5
	v_add_f32_e32 v4, v4, v5
	s_waitcnt vmcnt(20) lgkmcnt(1)
	v_mul_f32_e32 v5, v69, v222
	v_mul_f32_e32 v79, v68, v222
	v_fma_f32 v5, v68, v221, -v5
	v_fmac_f32_e32 v79, v69, v221
	v_add_f32_e32 v76, v4, v5
	s_waitcnt vmcnt(18)
	v_mul_f32_e32 v4, v71, v224
	s_waitcnt vmcnt(9)
	v_mov_b32_e32 v20, v89
	v_add_f32_e32 v77, v77, v79
	v_mul_f32_e32 v79, v70, v224
	v_fma_f32 v78, v70, v223, -v4
	s_waitcnt lgkmcnt(0)
	v_mul_f32_e32 v4, v73, v226
	v_pk_mul_f32 v[20:21], v[74:75], v[20:21] op_sel_hi:[1,0]
	v_fmac_f32_e32 v79, v71, v223
	v_mul_f32_e32 v81, v72, v226
	v_fma_f32 v80, v72, v225, -v4
	ds_read_b128 v[4:7], v1 offset:864
	ds_read_b128 v[8:11], v1 offset:880
	;; [unrolled: 1-line block ×3, first 2 shown]
	ds_read_b64 v[16:17], v1 offset:912
	s_waitcnt vmcnt(8)
	v_pk_fma_f32 v[22:23], v[74:75], v[88:89], v[20:21] op_sel:[0,0,1] op_sel_hi:[1,1,0] neg_lo:[0,0,1] neg_hi:[0,0,1]
	v_pk_fma_f32 v[20:21], v[74:75], v[88:89], v[20:21] op_sel:[0,0,1] op_sel_hi:[1,0,0]
	v_fmac_f32_e32 v81, v73, v225
	v_pk_add_f32 v[18:19], v[76:77], v[78:79]
	v_mov_b32_e32 v20, v87
	v_pk_add_f32 v[18:19], v[18:19], v[80:81]
	v_mov_b32_e32 v23, v21
	s_waitcnt lgkmcnt(3)
	v_pk_mul_f32 v[20:21], v[4:5], v[20:21] op_sel_hi:[1,0]
	v_pk_add_f32 v[18:19], v[18:19], v[22:23]
	v_pk_fma_f32 v[22:23], v[4:5], v[86:87], v[20:21] op_sel:[0,0,1] op_sel_hi:[1,1,0] neg_lo:[0,0,1] neg_hi:[0,0,1]
	v_pk_fma_f32 v[4:5], v[4:5], v[86:87], v[20:21] op_sel:[0,0,1] op_sel_hi:[1,0,0]
	v_mov_b32_e32 v23, v5
	v_pk_add_f32 v[4:5], v[18:19], v[22:23]
	v_mov_b32_e32 v18, v85
	v_pk_mul_f32 v[18:19], v[6:7], v[18:19] op_sel_hi:[1,0]
	v_pk_fma_f32 v[20:21], v[6:7], v[84:85], v[18:19] op_sel:[0,0,1] op_sel_hi:[1,1,0] neg_lo:[0,0,1] neg_hi:[0,0,1]
	v_pk_fma_f32 v[6:7], v[6:7], v[84:85], v[18:19] op_sel:[0,0,1] op_sel_hi:[1,0,0]
	v_mov_b32_e32 v6, v83
	v_mov_b32_e32 v21, v7
	s_waitcnt lgkmcnt(2)
	v_pk_mul_f32 v[6:7], v[8:9], v[6:7] op_sel_hi:[1,0]
	v_pk_fma_f32 v[18:19], v[8:9], v[82:83], v[6:7] op_sel:[0,0,1] op_sel_hi:[1,1,0] neg_lo:[0,0,1] neg_hi:[0,0,1]
	v_pk_fma_f32 v[6:7], v[8:9], v[82:83], v[6:7] op_sel:[0,0,1] op_sel_hi:[1,0,0]
	s_waitcnt vmcnt(1)
	v_mov_b32_e32 v6, v97
	v_mov_b32_e32 v19, v7
	v_pk_mul_f32 v[6:7], v[10:11], v[6:7] op_sel_hi:[1,0]
	s_waitcnt vmcnt(0)
	v_pk_fma_f32 v[8:9], v[10:11], v[96:97], v[6:7] op_sel:[0,0,1] op_sel_hi:[1,1,0] neg_lo:[0,0,1] neg_hi:[0,0,1]
	v_pk_fma_f32 v[6:7], v[10:11], v[96:97], v[6:7] op_sel:[0,0,1] op_sel_hi:[1,0,0]
	v_pk_add_f32 v[4:5], v[4:5], v[20:21]
	v_mov_b32_e32 v6, v95
	v_pk_add_f32 v[4:5], v[4:5], v[18:19]
	v_mov_b32_e32 v9, v7
	s_waitcnt lgkmcnt(1)
	v_pk_mul_f32 v[6:7], v[12:13], v[6:7] op_sel_hi:[1,0]
	v_pk_add_f32 v[4:5], v[4:5], v[8:9]
	v_pk_fma_f32 v[8:9], v[12:13], v[94:95], v[6:7] op_sel:[0,0,1] op_sel_hi:[1,1,0] neg_lo:[0,0,1] neg_hi:[0,0,1]
	v_pk_fma_f32 v[6:7], v[12:13], v[94:95], v[6:7] op_sel:[0,0,1] op_sel_hi:[1,0,0]
	v_mov_b32_e32 v6, v93
	v_mov_b32_e32 v9, v7
	v_pk_mul_f32 v[6:7], v[14:15], v[6:7] op_sel_hi:[1,0]
	v_pk_add_f32 v[4:5], v[4:5], v[8:9]
	v_pk_fma_f32 v[8:9], v[14:15], v[92:93], v[6:7] op_sel:[0,0,1] op_sel_hi:[1,1,0] neg_lo:[0,0,1] neg_hi:[0,0,1]
	v_pk_fma_f32 v[6:7], v[14:15], v[92:93], v[6:7] op_sel:[0,0,1] op_sel_hi:[1,0,0]
	v_mov_b32_e32 v6, v91
	v_mov_b32_e32 v9, v7
	s_waitcnt lgkmcnt(0)
	v_pk_mul_f32 v[6:7], v[16:17], v[6:7] op_sel_hi:[1,0]
	v_pk_add_f32 v[4:5], v[4:5], v[8:9]
	v_pk_fma_f32 v[8:9], v[16:17], v[90:91], v[6:7] op_sel:[0,0,1] op_sel_hi:[1,1,0] neg_lo:[0,0,1] neg_hi:[0,0,1]
	v_pk_fma_f32 v[6:7], v[16:17], v[90:91], v[6:7] op_sel:[0,0,1] op_sel_hi:[1,0,0]
	v_mov_b32_e32 v9, v7
	v_pk_add_f32 v[4:5], v[4:5], v[8:9]
	v_pk_add_f32 v[2:3], v[2:3], v[4:5] neg_lo:[0,1] neg_hi:[0,1]
	buffer_store_dword v3, off, s[0:3], 0 offset:108
	buffer_store_dword v2, off, s[0:3], 0 offset:104
	s_and_saveexec_b64 s[4:5], vcc
	s_cbranch_execz .LBB120_331
; %bb.330:
	buffer_load_dword v2, off, s[0:3], 0 offset:96
	buffer_load_dword v3, off, s[0:3], 0 offset:100
	s_waitcnt vmcnt(0)
	ds_write_b64 v165, v[2:3]
	buffer_store_dword v1, off, s[0:3], 0 offset:96
	buffer_store_dword v1, off, s[0:3], 0 offset:100
.LBB120_331:
	s_or_b64 exec, exec, s[4:5]
	s_waitcnt lgkmcnt(0)
	; wave barrier
	s_waitcnt lgkmcnt(0)
	buffer_load_dword v76, off, s[0:3], 0 offset:108
	buffer_load_dword v78, off, s[0:3], 0 offset:116
	;; [unrolled: 1-line block ×26, first 2 shown]
	ds_read2_b64 v[22:25], v1 offset0:71 offset1:72
	ds_read2_b64 v[18:21], v1 offset0:73 offset1:74
	;; [unrolled: 1-line block ×6, first 2 shown]
	buffer_load_dword v119, off, s[0:3], 0 offset:200
	buffer_load_dword v120, off, s[0:3], 0 offset:204
	;; [unrolled: 1-line block ×42, first 2 shown]
	v_cmp_lt_u32_e32 vcc, 11, v0
	s_waitcnt vmcnt(62) lgkmcnt(5)
	v_mul_f32_e32 v28, v22, v76
	v_mul_f32_e32 v29, v24, v78
	s_waitcnt lgkmcnt(4)
	v_mul_f32_e32 v31, v20, v86
	s_waitcnt lgkmcnt(3)
	v_mul_f32_e32 v32, v14, v98
	v_mul_f32_e32 v33, v16, v99
	;; [unrolled: 1-line block ×3, first 2 shown]
	s_waitcnt vmcnt(61) lgkmcnt(2)
	v_mul_f32_e32 v34, v10, v101
	s_waitcnt vmcnt(60)
	v_mul_f32_e32 v35, v12, v102
	s_waitcnt vmcnt(59) lgkmcnt(1)
	v_mul_f32_e32 v36, v6, v103
	s_waitcnt vmcnt(58)
	v_fmac_f32_e32 v30, v19, v104
	s_waitcnt vmcnt(57)
	v_fmac_f32_e32 v29, v25, v105
	;; [unrolled: 2-line block ×3, first 2 shown]
	v_add_f32_e32 v28, 0, v28
	v_add_f32_e32 v28, v28, v29
	;; [unrolled: 1-line block ×3, first 2 shown]
	s_waitcnt vmcnt(52)
	v_fmac_f32_e32 v31, v21, v110
	v_fmac_f32_e32 v32, v15, v109
	v_add_f32_e32 v28, v28, v31
	v_fmac_f32_e32 v33, v17, v108
	v_add_f32_e32 v28, v28, v32
	v_fmac_f32_e32 v34, v11, v107
	v_add_f32_e32 v28, v28, v33
	s_waitcnt vmcnt(48)
	v_fmac_f32_e32 v35, v13, v114
	v_add_f32_e32 v28, v28, v34
	v_fmac_f32_e32 v36, v7, v113
	v_add_f32_e32 v28, v28, v35
	s_waitcnt vmcnt(47)
	v_mul_f32_e32 v29, v8, v115
	v_add_f32_e32 v28, v28, v36
	v_fmac_f32_e32 v29, v9, v112
	v_add_f32_e32 v28, v28, v29
	s_waitcnt vmcnt(46) lgkmcnt(0)
	v_mul_f32_e32 v29, v2, v116
	v_fmac_f32_e32 v29, v3, v111
	v_add_f32_e32 v32, v28, v29
	ds_read2_b64 v[28:31], v1 offset0:83 offset1:84
	s_waitcnt vmcnt(42)
	v_mul_f32_e32 v33, v4, v118
	v_fmac_f32_e32 v33, v5, v117
	buffer_load_dword v223, off, s[0:3], 0 offset:368
	buffer_load_dword v224, off, s[0:3], 0 offset:372
	v_add_f32_e32 v36, v32, v33
	buffer_load_dword v225, off, s[0:3], 0 offset:376
	buffer_load_dword v226, off, s[0:3], 0 offset:380
	ds_read2_b64 v[32:35], v1 offset0:85 offset1:86
	s_waitcnt vmcnt(44) lgkmcnt(1)
	v_mul_f32_e32 v37, v28, v120
	v_fmac_f32_e32 v37, v29, v119
	v_add_f32_e32 v36, v36, v37
	s_waitcnt vmcnt(42)
	v_mul_f32_e32 v37, v30, v122
	v_fmac_f32_e32 v37, v31, v121
	v_add_f32_e32 v36, v36, v37
	s_waitcnt vmcnt(40) lgkmcnt(0)
	v_mul_f32_e32 v37, v32, v124
	v_fmac_f32_e32 v37, v33, v123
	buffer_load_dword v227, off, s[0:3], 0 offset:384
	buffer_load_dword v228, off, s[0:3], 0 offset:388
	v_add_f32_e32 v40, v36, v37
	ds_read2_b64 v[36:39], v1 offset0:87 offset1:88
	s_waitcnt vmcnt(40)
	v_mul_f32_e32 v41, v34, v126
	v_fmac_f32_e32 v41, v35, v125
	v_add_f32_e32 v44, v40, v41
	ds_read2_b64 v[40:43], v1 offset0:89 offset1:90
	s_waitcnt vmcnt(38) lgkmcnt(1)
	v_mul_f32_e32 v45, v36, v128
	v_fmac_f32_e32 v45, v37, v127
	v_add_f32_e32 v44, v44, v45
	s_waitcnt vmcnt(36)
	v_mul_f32_e32 v45, v38, v130
	v_fmac_f32_e32 v45, v39, v129
	v_add_f32_e32 v44, v44, v45
	s_waitcnt vmcnt(34) lgkmcnt(0)
	v_mul_f32_e32 v45, v40, v132
	v_fmac_f32_e32 v45, v41, v131
	v_add_f32_e32 v48, v44, v45
	ds_read2_b64 v[44:47], v1 offset0:91 offset1:92
	s_waitcnt vmcnt(32)
	v_mul_f32_e32 v49, v42, v134
	v_fmac_f32_e32 v49, v43, v133
	v_add_f32_e32 v52, v48, v49
	ds_read2_b64 v[48:51], v1 offset0:93 offset1:94
	s_waitcnt vmcnt(30) lgkmcnt(1)
	v_mul_f32_e32 v53, v44, v136
	v_fmac_f32_e32 v53, v45, v135
	v_add_f32_e32 v52, v52, v53
	s_waitcnt vmcnt(28)
	v_mul_f32_e32 v53, v46, v138
	v_fmac_f32_e32 v53, v47, v137
	v_add_f32_e32 v52, v52, v53
	s_waitcnt vmcnt(26) lgkmcnt(0)
	v_mul_f32_e32 v53, v48, v140
	v_fmac_f32_e32 v53, v49, v139
	;; [unrolled: 18-line block ×4, first 2 shown]
	s_waitcnt vmcnt(8)
	v_mul_f32_e32 v73, v66, v220
	v_add_f32_e32 v72, v68, v69
	v_fmac_f32_e32 v73, v67, v219
	ds_read2_b64 v[68:71], v1 offset0:103 offset1:104
	v_add_f32_e32 v77, v72, v73
	ds_read2_b64 v[72:75], v1 offset0:105 offset1:106
	buffer_load_dword v81, off, s[0:3], 0 offset:412
	buffer_load_dword v80, off, s[0:3], 0 offset:408
	;; [unrolled: 1-line block ×16, first 2 shown]
	v_mul_f32_e32 v23, v23, v76
	v_fma_f32 v22, v22, v106, -v23
	v_mul_f32_e32 v23, v25, v78
	v_add_f32_e32 v22, 0, v22
	v_fma_f32 v23, v24, v105, -v23
	v_mul_f32_e32 v19, v19, v100
	v_add_f32_e32 v22, v22, v23
	;; [unrolled: 3-line block ×11, first 2 shown]
	v_fma_f32 v3, v4, v117, -v3
	v_add_f32_e32 v2, v2, v3
	v_mul_f32_e32 v3, v29, v120
	v_fma_f32 v3, v28, v119, -v3
	v_add_f32_e32 v2, v2, v3
	v_mul_f32_e32 v3, v31, v122
	;; [unrolled: 3-line block ×20, first 2 shown]
	v_fma_f32 v3, v66, v219, -v3
	v_add_f32_e32 v2, v2, v3
	s_waitcnt vmcnt(22) lgkmcnt(1)
	v_mul_f32_e32 v3, v69, v222
	v_fma_f32 v3, v68, v221, -v3
	v_add_f32_e32 v2, v2, v3
	s_waitcnt vmcnt(20)
	v_mul_f32_e32 v3, v71, v224
	v_mul_f32_e32 v79, v68, v222
	v_fma_f32 v3, v70, v223, -v3
	v_fmac_f32_e32 v79, v69, v221
	v_add_f32_e32 v76, v2, v3
	s_waitcnt vmcnt(18) lgkmcnt(0)
	v_mul_f32_e32 v2, v73, v226
	v_add_f32_e32 v77, v77, v79
	v_mul_f32_e32 v79, v70, v224
	v_fma_f32 v78, v72, v225, -v2
	s_waitcnt vmcnt(16)
	v_mul_f32_e32 v2, v75, v228
	v_fmac_f32_e32 v79, v71, v223
	v_fma_f32 v86, v74, v227, -v2
	ds_read2_b64 v[2:5], v1 offset0:107 offset1:108
	ds_read2_b64 v[6:9], v1 offset0:109 offset1:110
	;; [unrolled: 1-line block ×4, first 2 shown]
	v_add_f32_e32 v77, v77, v79
	v_mul_f32_e32 v79, v72, v226
	s_waitcnt vmcnt(11)
	v_mov_b32_e32 v20, v85
	v_fmac_f32_e32 v79, v73, v225
	v_mul_f32_e32 v87, v74, v228
	s_waitcnt lgkmcnt(3)
	v_pk_mul_f32 v[20:21], v[2:3], v[20:21] op_sel_hi:[1,0]
	v_fmac_f32_e32 v87, v75, v227
	v_pk_add_f32 v[18:19], v[76:77], v[78:79]
	s_waitcnt vmcnt(10)
	v_pk_fma_f32 v[22:23], v[2:3], v[84:85], v[20:21] op_sel:[0,0,1] op_sel_hi:[1,1,0] neg_lo:[0,0,1] neg_hi:[0,0,1]
	v_pk_fma_f32 v[2:3], v[2:3], v[84:85], v[20:21] op_sel:[0,0,1] op_sel_hi:[1,0,0]
	v_pk_add_f32 v[18:19], v[18:19], v[86:87]
	v_mov_b32_e32 v23, v3
	v_pk_add_f32 v[2:3], v[18:19], v[22:23]
	v_mov_b32_e32 v18, v83
	v_pk_mul_f32 v[18:19], v[4:5], v[18:19] op_sel_hi:[1,0]
	v_pk_fma_f32 v[20:21], v[4:5], v[82:83], v[18:19] op_sel:[0,0,1] op_sel_hi:[1,1,0] neg_lo:[0,0,1] neg_hi:[0,0,1]
	v_pk_fma_f32 v[4:5], v[4:5], v[82:83], v[18:19] op_sel:[0,0,1] op_sel_hi:[1,0,0]
	v_mov_b32_e32 v4, v81
	v_mov_b32_e32 v21, v5
	s_waitcnt lgkmcnt(2)
	v_pk_mul_f32 v[4:5], v[6:7], v[4:5] op_sel_hi:[1,0]
	v_pk_fma_f32 v[18:19], v[6:7], v[80:81], v[4:5] op_sel:[0,0,1] op_sel_hi:[1,1,0] neg_lo:[0,0,1] neg_hi:[0,0,1]
	v_pk_fma_f32 v[4:5], v[6:7], v[80:81], v[4:5] op_sel:[0,0,1] op_sel_hi:[1,0,0]
	s_waitcnt vmcnt(3)
	v_mov_b32_e32 v4, v95
	v_mov_b32_e32 v19, v5
	v_pk_mul_f32 v[4:5], v[8:9], v[4:5] op_sel_hi:[1,0]
	s_waitcnt vmcnt(2)
	v_pk_fma_f32 v[6:7], v[8:9], v[94:95], v[4:5] op_sel:[0,0,1] op_sel_hi:[1,1,0] neg_lo:[0,0,1] neg_hi:[0,0,1]
	v_pk_fma_f32 v[4:5], v[8:9], v[94:95], v[4:5] op_sel:[0,0,1] op_sel_hi:[1,0,0]
	v_pk_add_f32 v[2:3], v[2:3], v[20:21]
	v_mov_b32_e32 v4, v93
	v_pk_add_f32 v[2:3], v[2:3], v[18:19]
	v_mov_b32_e32 v7, v5
	s_waitcnt lgkmcnt(1)
	v_pk_mul_f32 v[4:5], v[10:11], v[4:5] op_sel_hi:[1,0]
	v_pk_add_f32 v[2:3], v[2:3], v[6:7]
	v_pk_fma_f32 v[6:7], v[10:11], v[92:93], v[4:5] op_sel:[0,0,1] op_sel_hi:[1,1,0] neg_lo:[0,0,1] neg_hi:[0,0,1]
	v_pk_fma_f32 v[4:5], v[10:11], v[92:93], v[4:5] op_sel:[0,0,1] op_sel_hi:[1,0,0]
	v_mov_b32_e32 v4, v91
	v_mov_b32_e32 v7, v5
	v_pk_mul_f32 v[4:5], v[12:13], v[4:5] op_sel_hi:[1,0]
	v_pk_add_f32 v[2:3], v[2:3], v[6:7]
	v_pk_fma_f32 v[6:7], v[12:13], v[90:91], v[4:5] op_sel:[0,0,1] op_sel_hi:[1,1,0] neg_lo:[0,0,1] neg_hi:[0,0,1]
	v_pk_fma_f32 v[4:5], v[12:13], v[90:91], v[4:5] op_sel:[0,0,1] op_sel_hi:[1,0,0]
	v_mov_b32_e32 v4, v89
	v_mov_b32_e32 v7, v5
	s_waitcnt lgkmcnt(0)
	v_pk_mul_f32 v[4:5], v[14:15], v[4:5] op_sel_hi:[1,0]
	v_pk_add_f32 v[2:3], v[2:3], v[6:7]
	v_pk_fma_f32 v[6:7], v[14:15], v[88:89], v[4:5] op_sel:[0,0,1] op_sel_hi:[1,1,0] neg_lo:[0,0,1] neg_hi:[0,0,1]
	v_pk_fma_f32 v[4:5], v[14:15], v[88:89], v[4:5] op_sel:[0,0,1] op_sel_hi:[1,0,0]
	s_waitcnt vmcnt(1)
	v_mov_b32_e32 v4, v97
	v_mov_b32_e32 v7, v5
	v_pk_mul_f32 v[4:5], v[16:17], v[4:5] op_sel_hi:[1,0]
	v_pk_add_f32 v[2:3], v[2:3], v[6:7]
	s_waitcnt vmcnt(0)
	v_pk_fma_f32 v[6:7], v[16:17], v[96:97], v[4:5] op_sel:[0,0,1] op_sel_hi:[1,1,0] neg_lo:[0,0,1] neg_hi:[0,0,1]
	v_pk_fma_f32 v[4:5], v[16:17], v[96:97], v[4:5] op_sel:[0,0,1] op_sel_hi:[1,0,0]
	v_mov_b32_e32 v7, v5
	v_pk_add_f32 v[2:3], v[2:3], v[6:7]
	v_pk_add_f32 v[2:3], v[26:27], v[2:3] neg_lo:[0,1] neg_hi:[0,1]
	buffer_store_dword v3, off, s[0:3], 0 offset:100
	buffer_store_dword v2, off, s[0:3], 0 offset:96
	s_and_saveexec_b64 s[4:5], vcc
	s_cbranch_execz .LBB120_333
; %bb.332:
	buffer_load_dword v2, off, s[0:3], 0 offset:88
	buffer_load_dword v3, off, s[0:3], 0 offset:92
	v_mov_b32_e32 v1, 0
	buffer_store_dword v1, off, s[0:3], 0 offset:88
	buffer_store_dword v1, off, s[0:3], 0 offset:92
	s_waitcnt vmcnt(2)
	ds_write_b64 v165, v[2:3]
.LBB120_333:
	s_or_b64 exec, exec, s[4:5]
	v_mov_b32_e32 v216, 0
	s_waitcnt lgkmcnt(0)
	; wave barrier
	s_waitcnt lgkmcnt(0)
	ds_read_b128 v[14:17], v216 offset:560
	ds_read_b128 v[10:13], v216 offset:576
	;; [unrolled: 1-line block ×4, first 2 shown]
	buffer_load_dword v78, off, s[0:3], 0 offset:88
	buffer_load_dword v79, off, s[0:3], 0 offset:92
	;; [unrolled: 1-line block ×18, first 2 shown]
	v_cmp_lt_u32_e32 vcc, 10, v0
	s_waitcnt vmcnt(14) lgkmcnt(3)
	v_mul_f32_e32 v18, v14, v86
	v_fmac_f32_e32 v18, v15, v1
	s_waitcnt vmcnt(12)
	v_mul_f32_e32 v19, v16, v95
	v_add_f32_e32 v18, 0, v18
	v_fmac_f32_e32 v19, v17, v80
	v_add_f32_e32 v18, v18, v19
	s_waitcnt vmcnt(10) lgkmcnt(2)
	v_mul_f32_e32 v19, v10, v218
	v_fmac_f32_e32 v19, v11, v82
	v_add_f32_e32 v18, v18, v19
	s_waitcnt vmcnt(8)
	v_mul_f32_e32 v19, v12, v220
	v_fmac_f32_e32 v19, v13, v94
	v_add_f32_e32 v18, v18, v19
	s_waitcnt vmcnt(6) lgkmcnt(1)
	v_mul_f32_e32 v19, v6, v97
	v_fmac_f32_e32 v19, v7, v217
	v_add_f32_e32 v18, v18, v19
	s_waitcnt vmcnt(4)
	v_mul_f32_e32 v19, v8, v221
	;; [unrolled: 8-line block ×3, first 2 shown]
	v_fmac_f32_e32 v19, v5, v223
	v_add_f32_e32 v22, v18, v19
	ds_read_b128 v[18:21], v216 offset:624
	buffer_load_dword v99, off, s[0:3], 0 offset:160
	buffer_load_dword v100, off, s[0:3], 0 offset:164
	;; [unrolled: 1-line block ×4, first 2 shown]
	v_mul_f32_e32 v15, v15, v86
	v_fma_f32 v1, v14, v1, -v15
	v_mul_f32_e32 v14, v17, v95
	v_add_f32_e32 v1, 0, v1
	v_fma_f32 v14, v16, v80, -v14
	v_mul_f32_e32 v11, v11, v218
	v_add_f32_e32 v1, v1, v14
	v_fma_f32 v10, v10, v82, -v11
	v_add_f32_e32 v1, v1, v10
	v_mul_f32_e32 v10, v13, v220
	v_fma_f32 v10, v12, v94, -v10
	v_mul_f32_e32 v7, v7, v97
	v_add_f32_e32 v1, v1, v10
	v_fma_f32 v6, v6, v217, -v7
	v_add_f32_e32 v1, v1, v6
	v_mul_f32_e32 v6, v9, v221
	;; [unrolled: 6-line block ×3, first 2 shown]
	v_fma_f32 v2, v4, v223, -v2
	v_add_f32_e32 v1, v1, v2
	s_waitcnt vmcnt(2) lgkmcnt(0)
	v_mul_f32_e32 v23, v18, v100
	v_fmac_f32_e32 v23, v19, v99
	v_add_f32_e32 v22, v22, v23
	s_waitcnt vmcnt(0)
	v_mul_f32_e32 v23, v20, v102
	v_fmac_f32_e32 v23, v21, v101
	v_add_f32_e32 v26, v22, v23
	ds_read_b128 v[22:25], v216 offset:640
	buffer_load_dword v103, off, s[0:3], 0 offset:176
	buffer_load_dword v104, off, s[0:3], 0 offset:180
	buffer_load_dword v105, off, s[0:3], 0 offset:184
	buffer_load_dword v106, off, s[0:3], 0 offset:188
	ds_read_b128 v[30:33], v216 offset:656
	buffer_load_dword v107, off, s[0:3], 0 offset:192
	buffer_load_dword v108, off, s[0:3], 0 offset:196
	buffer_load_dword v109, off, s[0:3], 0 offset:200
	buffer_load_dword v110, off, s[0:3], 0 offset:204
	;; [unrolled: 5-line block ×13, first 2 shown]
	v_mul_f32_e32 v2, v19, v100
	v_fma_f32 v2, v18, v99, -v2
	v_add_f32_e32 v1, v1, v2
	v_mul_f32_e32 v2, v21, v102
	v_fma_f32 v2, v20, v101, -v2
	v_add_f32_e32 v1, v1, v2
	s_waitcnt vmcnt(50) lgkmcnt(12)
	v_mul_f32_e32 v27, v22, v104
	v_fmac_f32_e32 v27, v23, v103
	v_add_f32_e32 v26, v26, v27
	s_waitcnt vmcnt(48)
	v_mul_f32_e32 v27, v24, v106
	v_fmac_f32_e32 v27, v25, v105
	v_add_f32_e32 v26, v26, v27
	s_waitcnt vmcnt(46) lgkmcnt(11)
	v_mul_f32_e32 v27, v30, v108
	v_fmac_f32_e32 v27, v31, v107
	v_add_f32_e32 v26, v26, v27
	s_waitcnt vmcnt(44)
	v_mul_f32_e32 v27, v32, v110
	v_fmac_f32_e32 v27, v33, v109
	;; [unrolled: 8-line block ×12, first 2 shown]
	v_add_f32_e32 v26, v26, v27
	s_waitcnt vmcnt(2) lgkmcnt(0)
	v_mul_f32_e32 v27, v74, v230
	v_fmac_f32_e32 v27, v75, v229
	v_add_f32_e32 v81, v26, v27
	ds_read_b128 v[26:29], v216 offset:848
	buffer_load_dword v233, off, s[0:3], 0 offset:384
	buffer_load_dword v234, off, s[0:3], 0 offset:388
	;; [unrolled: 1-line block ×18, first 2 shown]
	v_mul_f32_e32 v2, v23, v104
	v_fma_f32 v2, v22, v103, -v2
	v_add_f32_e32 v1, v1, v2
	v_mul_f32_e32 v2, v25, v106
	v_fma_f32 v2, v24, v105, -v2
	v_add_f32_e32 v1, v1, v2
	;; [unrolled: 3-line block ×24, first 2 shown]
	v_mul_f32_e32 v2, v75, v230
	v_fma_f32 v2, v74, v229, -v2
	s_waitcnt vmcnt(15)
	v_mov_b32_e32 v18, v85
	v_mul_f32_e32 v83, v76, v232
	v_add_f32_e32 v80, v1, v2
	v_mul_f32_e32 v1, v77, v232
	s_waitcnt lgkmcnt(0)
	v_pk_mul_f32 v[18:19], v[28:29], v[18:19] op_sel_hi:[1,0]
	v_fmac_f32_e32 v83, v77, v231
	v_mul_f32_e32 v87, v26, v234
	v_fma_f32 v82, v76, v231, -v1
	v_mul_f32_e32 v1, v27, v234
	ds_read_b128 v[2:5], v216 offset:864
	ds_read_b128 v[6:9], v216 offset:880
	;; [unrolled: 1-line block ×3, first 2 shown]
	ds_read_b64 v[14:15], v216 offset:912
	s_waitcnt vmcnt(14)
	v_pk_fma_f32 v[20:21], v[28:29], v[84:85], v[18:19] op_sel:[0,0,1] op_sel_hi:[1,1,0] neg_lo:[0,0,1] neg_hi:[0,0,1]
	v_pk_fma_f32 v[18:19], v[28:29], v[84:85], v[18:19] op_sel:[0,0,1] op_sel_hi:[1,0,0]
	v_fmac_f32_e32 v87, v27, v233
	v_fma_f32 v86, v26, v233, -v1
	v_pk_add_f32 v[16:17], v[80:81], v[82:83]
	s_waitcnt vmcnt(13)
	v_mov_b32_e32 v18, v215
	v_pk_add_f32 v[16:17], v[16:17], v[86:87]
	v_mov_b32_e32 v21, v19
	s_waitcnt lgkmcnt(3)
	v_pk_mul_f32 v[18:19], v[2:3], v[18:19] op_sel_hi:[1,0]
	v_pk_add_f32 v[16:17], v[16:17], v[20:21]
	s_waitcnt vmcnt(12)
	v_pk_fma_f32 v[20:21], v[2:3], v[214:215], v[18:19] op_sel:[0,0,1] op_sel_hi:[1,1,0] neg_lo:[0,0,1] neg_hi:[0,0,1]
	v_pk_fma_f32 v[2:3], v[2:3], v[214:215], v[18:19] op_sel:[0,0,1] op_sel_hi:[1,0,0]
	v_mov_b32_e32 v21, v3
	v_pk_add_f32 v[2:3], v[16:17], v[20:21]
	s_waitcnt vmcnt(11)
	v_mov_b32_e32 v16, v213
	v_pk_mul_f32 v[16:17], v[4:5], v[16:17] op_sel_hi:[1,0]
	s_waitcnt vmcnt(10)
	v_pk_fma_f32 v[18:19], v[4:5], v[212:213], v[16:17] op_sel:[0,0,1] op_sel_hi:[1,1,0] neg_lo:[0,0,1] neg_hi:[0,0,1]
	v_pk_fma_f32 v[4:5], v[4:5], v[212:213], v[16:17] op_sel:[0,0,1] op_sel_hi:[1,0,0]
	s_waitcnt vmcnt(9)
	v_mov_b32_e32 v4, v211
	v_mov_b32_e32 v19, v5
	s_waitcnt lgkmcnt(2)
	v_pk_mul_f32 v[4:5], v[6:7], v[4:5] op_sel_hi:[1,0]
	s_waitcnt vmcnt(8)
	v_pk_fma_f32 v[16:17], v[6:7], v[210:211], v[4:5] op_sel:[0,0,1] op_sel_hi:[1,1,0] neg_lo:[0,0,1] neg_hi:[0,0,1]
	v_pk_fma_f32 v[4:5], v[6:7], v[210:211], v[4:5] op_sel:[0,0,1] op_sel_hi:[1,0,0]
	s_waitcnt vmcnt(7)
	v_mov_b32_e32 v4, v209
	v_mov_b32_e32 v17, v5
	v_pk_mul_f32 v[4:5], v[8:9], v[4:5] op_sel_hi:[1,0]
	s_waitcnt vmcnt(6)
	v_pk_fma_f32 v[6:7], v[8:9], v[208:209], v[4:5] op_sel:[0,0,1] op_sel_hi:[1,1,0] neg_lo:[0,0,1] neg_hi:[0,0,1]
	v_pk_fma_f32 v[4:5], v[8:9], v[208:209], v[4:5] op_sel:[0,0,1] op_sel_hi:[1,0,0]
	v_pk_add_f32 v[2:3], v[2:3], v[18:19]
	s_waitcnt vmcnt(5)
	v_mov_b32_e32 v4, v93
	v_pk_add_f32 v[2:3], v[2:3], v[16:17]
	v_mov_b32_e32 v7, v5
	s_waitcnt lgkmcnt(1)
	v_pk_mul_f32 v[4:5], v[10:11], v[4:5] op_sel_hi:[1,0]
	v_pk_add_f32 v[2:3], v[2:3], v[6:7]
	s_waitcnt vmcnt(4)
	v_pk_fma_f32 v[6:7], v[10:11], v[92:93], v[4:5] op_sel:[0,0,1] op_sel_hi:[1,1,0] neg_lo:[0,0,1] neg_hi:[0,0,1]
	v_pk_fma_f32 v[4:5], v[10:11], v[92:93], v[4:5] op_sel:[0,0,1] op_sel_hi:[1,0,0]
	s_waitcnt vmcnt(3)
	v_mov_b32_e32 v4, v91
	v_mov_b32_e32 v7, v5
	v_pk_mul_f32 v[4:5], v[12:13], v[4:5] op_sel_hi:[1,0]
	v_pk_add_f32 v[2:3], v[2:3], v[6:7]
	s_waitcnt vmcnt(2)
	v_pk_fma_f32 v[6:7], v[12:13], v[90:91], v[4:5] op_sel:[0,0,1] op_sel_hi:[1,1,0] neg_lo:[0,0,1] neg_hi:[0,0,1]
	v_pk_fma_f32 v[4:5], v[12:13], v[90:91], v[4:5] op_sel:[0,0,1] op_sel_hi:[1,0,0]
	s_waitcnt vmcnt(1)
	v_mov_b32_e32 v4, v89
	v_mov_b32_e32 v7, v5
	s_waitcnt lgkmcnt(0)
	v_pk_mul_f32 v[4:5], v[14:15], v[4:5] op_sel_hi:[1,0]
	v_pk_add_f32 v[2:3], v[2:3], v[6:7]
	s_waitcnt vmcnt(0)
	v_pk_fma_f32 v[6:7], v[14:15], v[88:89], v[4:5] op_sel:[0,0,1] op_sel_hi:[1,1,0] neg_lo:[0,0,1] neg_hi:[0,0,1]
	v_pk_fma_f32 v[4:5], v[14:15], v[88:89], v[4:5] op_sel:[0,0,1] op_sel_hi:[1,0,0]
	v_mov_b32_e32 v7, v5
	v_pk_add_f32 v[2:3], v[2:3], v[6:7]
	v_pk_add_f32 v[2:3], v[78:79], v[2:3] neg_lo:[0,1] neg_hi:[0,1]
	buffer_store_dword v3, off, s[0:3], 0 offset:92
	buffer_store_dword v2, off, s[0:3], 0 offset:88
	s_and_saveexec_b64 s[4:5], vcc
	s_cbranch_execz .LBB120_335
; %bb.334:
	buffer_load_dword v2, off, s[0:3], 0 offset:80
	buffer_load_dword v3, off, s[0:3], 0 offset:84
	s_waitcnt vmcnt(0)
	ds_write_b64 v165, v[2:3]
	buffer_store_dword v216, off, s[0:3], 0 offset:80
	buffer_store_dword v216, off, s[0:3], 0 offset:84
.LBB120_335:
	s_or_b64 exec, exec, s[4:5]
	s_waitcnt lgkmcnt(0)
	; wave barrier
	s_waitcnt lgkmcnt(0)
	buffer_load_dword v90, off, s[0:3], 0 offset:92
	buffer_load_dword v92, off, s[0:3], 0 offset:100
	;; [unrolled: 1-line block ×32, first 2 shown]
	ds_read2_b64 v[22:25], v216 offset0:69 offset1:70
	ds_read2_b64 v[18:21], v216 offset0:71 offset1:72
	ds_read2_b64 v[14:17], v216 offset0:73 offset1:74
	ds_read2_b64 v[10:13], v216 offset0:75 offset1:76
	ds_read2_b64 v[6:9], v216 offset0:77 offset1:78
	ds_read2_b64 v[2:5], v216 offset0:79 offset1:80
	buffer_load_dword v132, off, s[0:3], 0 offset:208
	buffer_load_dword v133, off, s[0:3], 0 offset:212
	;; [unrolled: 1-line block ×32, first 2 shown]
	v_cmp_lt_u32_e32 vcc, 9, v0
	s_waitcnt vmcnt(62) lgkmcnt(5)
	v_mul_f32_e32 v31, v22, v90
	v_mul_f32_e32 v32, v24, v92
	s_waitcnt vmcnt(61) lgkmcnt(4)
	v_mul_f32_e32 v34, v20, v30
	s_waitcnt vmcnt(60) lgkmcnt(3)
	v_mul_f32_e32 v35, v14, v29
	s_waitcnt vmcnt(59)
	v_mul_f32_e32 v36, v16, v1
	s_waitcnt vmcnt(58)
	v_mul_f32_e32 v33, v18, v108
	s_waitcnt vmcnt(57) lgkmcnt(2)
	v_mul_f32_e32 v37, v10, v28
	s_waitcnt vmcnt(56)
	v_mul_f32_e32 v38, v12, v109
	s_waitcnt vmcnt(55) lgkmcnt(1)
	v_mul_f32_e32 v39, v6, v110
	s_waitcnt vmcnt(54)
	v_mul_f32_e32 v40, v8, v111
	s_waitcnt vmcnt(53)
	v_fmac_f32_e32 v33, v19, v112
	s_waitcnt vmcnt(52)
	v_fmac_f32_e32 v32, v25, v113
	s_waitcnt vmcnt(51)
	v_fmac_f32_e32 v31, v23, v114
	v_add_f32_e32 v31, 0, v31
	v_add_f32_e32 v31, v31, v32
	;; [unrolled: 1-line block ×3, first 2 shown]
	s_waitcnt vmcnt(47)
	v_fmac_f32_e32 v34, v21, v118
	v_fmac_f32_e32 v35, v15, v117
	v_add_f32_e32 v31, v31, v34
	v_fmac_f32_e32 v36, v17, v116
	v_add_f32_e32 v31, v31, v35
	;; [unrolled: 2-line block ×3, first 2 shown]
	s_waitcnt vmcnt(43)
	v_fmac_f32_e32 v38, v13, v122
	v_add_f32_e32 v31, v31, v37
	v_fmac_f32_e32 v39, v7, v121
	v_add_f32_e32 v31, v31, v38
	;; [unrolled: 2-line block ×3, first 2 shown]
	s_waitcnt vmcnt(42) lgkmcnt(0)
	v_mul_f32_e32 v32, v2, v123
	v_add_f32_e32 v31, v31, v40
	v_fmac_f32_e32 v32, v3, v119
	v_add_f32_e32 v31, v31, v32
	ds_read2_b64 v[32:35], v216 offset0:81 offset1:82
	buffer_load_dword v227, off, s[0:3], 0 offset:336
	buffer_load_dword v228, off, s[0:3], 0 offset:340
	s_waitcnt vmcnt(43)
	v_mul_f32_e32 v36, v4, v124
	s_waitcnt vmcnt(36)
	v_fmac_f32_e32 v36, v5, v131
	v_add_f32_e32 v31, v31, v36
	ds_read2_b64 v[36:39], v216 offset0:83 offset1:84
	buffer_load_dword v229, off, s[0:3], 0 offset:344
	buffer_load_dword v230, off, s[0:3], 0 offset:348
	;; [unrolled: 1-line block ×8, first 2 shown]
	s_waitcnt lgkmcnt(1)
	v_mul_f32_e32 v40, v32, v126
	v_fmac_f32_e32 v40, v33, v125
	v_add_f32_e32 v31, v31, v40
	v_mul_f32_e32 v40, v34, v128
	v_fmac_f32_e32 v40, v35, v127
	v_add_f32_e32 v31, v31, v40
	s_waitcnt lgkmcnt(0)
	v_mul_f32_e32 v40, v36, v130
	v_fmac_f32_e32 v40, v37, v129
	v_add_f32_e32 v31, v31, v40
	buffer_load_dword v237, off, s[0:3], 0 offset:376
	buffer_load_dword v238, off, s[0:3], 0 offset:380
	;; [unrolled: 1-line block ×4, first 2 shown]
	ds_read2_b64 v[40:43], v216 offset0:85 offset1:86
	s_waitcnt vmcnt(44)
	v_mul_f32_e32 v44, v38, v133
	v_fmac_f32_e32 v44, v39, v132
	v_add_f32_e32 v31, v31, v44
	ds_read2_b64 v[44:47], v216 offset0:87 offset1:88
	s_waitcnt vmcnt(42) lgkmcnt(1)
	v_mul_f32_e32 v48, v40, v135
	v_fmac_f32_e32 v48, v41, v134
	v_add_f32_e32 v31, v31, v48
	s_waitcnt vmcnt(40)
	v_mul_f32_e32 v48, v42, v137
	v_fmac_f32_e32 v48, v43, v136
	v_add_f32_e32 v31, v31, v48
	s_waitcnt vmcnt(38) lgkmcnt(0)
	v_mul_f32_e32 v48, v44, v139
	v_fmac_f32_e32 v48, v45, v138
	v_add_f32_e32 v31, v31, v48
	ds_read2_b64 v[48:51], v216 offset0:89 offset1:90
	s_waitcnt vmcnt(36)
	v_mul_f32_e32 v52, v46, v141
	v_fmac_f32_e32 v52, v47, v140
	v_add_f32_e32 v31, v31, v52
	ds_read2_b64 v[52:55], v216 offset0:91 offset1:92
	s_waitcnt vmcnt(34) lgkmcnt(1)
	v_mul_f32_e32 v56, v48, v143
	v_fmac_f32_e32 v56, v49, v142
	v_add_f32_e32 v31, v31, v56
	s_waitcnt vmcnt(32)
	v_mul_f32_e32 v56, v50, v145
	v_fmac_f32_e32 v56, v51, v144
	v_add_f32_e32 v31, v31, v56
	s_waitcnt vmcnt(30) lgkmcnt(0)
	v_mul_f32_e32 v56, v52, v209
	v_fmac_f32_e32 v56, v53, v208
	v_add_f32_e32 v31, v31, v56
	;; [unrolled: 18-line block ×4, first 2 shown]
	ds_read2_b64 v[72:75], v216 offset0:101 offset1:102
	v_mul_f32_e32 v23, v23, v90
	v_fma_f32 v22, v22, v114, -v23
	v_mul_f32_e32 v23, v25, v92
	v_add_f32_e32 v22, 0, v22
	s_waitcnt vmcnt(12)
	v_mul_f32_e32 v76, v70, v228
	v_fmac_f32_e32 v76, v71, v227
	v_add_f32_e32 v31, v31, v76
	ds_read2_b64 v[76:79], v216 offset0:103 offset1:104
	buffer_load_dword v89, off, s[0:3], 0 offset:396
	buffer_load_dword v88, off, s[0:3], 0 offset:392
	s_waitcnt vmcnt(12) lgkmcnt(1)
	v_mul_f32_e32 v80, v72, v230
	v_fmac_f32_e32 v80, v73, v229
	v_add_f32_e32 v31, v31, v80
	s_waitcnt vmcnt(10)
	v_mul_f32_e32 v80, v74, v232
	v_fmac_f32_e32 v80, v75, v231
	v_add_f32_e32 v31, v31, v80
	s_waitcnt vmcnt(8) lgkmcnt(0)
	v_mul_f32_e32 v80, v76, v234
	v_fmac_f32_e32 v80, v77, v233
	s_waitcnt vmcnt(6)
	v_mul_f32_e32 v84, v78, v236
	v_add_f32_e32 v31, v31, v80
	v_fmac_f32_e32 v84, v79, v235
	ds_read2_b64 v[80:83], v216 offset0:105 offset1:106
	v_add_f32_e32 v31, v31, v84
	ds_read2_b64 v[84:87], v216 offset0:107 offset1:108
	buffer_load_dword v95, off, s[0:3], 0 offset:428
	buffer_load_dword v94, off, s[0:3], 0 offset:424
	;; [unrolled: 1-line block ×14, first 2 shown]
	v_fma_f32 v23, v24, v113, -v23
	v_mul_f32_e32 v19, v19, v108
	v_add_f32_e32 v22, v22, v23
	v_fma_f32 v18, v18, v112, -v19
	v_mul_f32_e32 v19, v21, v30
	v_add_f32_e32 v18, v22, v18
	;; [unrolled: 3-line block ×5, first 2 shown]
	v_fma_f32 v10, v10, v115, -v11
	v_add_f32_e32 v1, v1, v10
	v_mul_f32_e32 v10, v13, v109
	v_fma_f32 v10, v12, v122, -v10
	v_mul_f32_e32 v7, v7, v110
	v_add_f32_e32 v1, v1, v10
	v_fma_f32 v6, v6, v121, -v7
	v_add_f32_e32 v1, v1, v6
	v_mul_f32_e32 v6, v9, v111
	v_fma_f32 v6, v8, v120, -v6
	v_mul_f32_e32 v3, v3, v123
	v_add_f32_e32 v1, v1, v6
	v_fma_f32 v2, v2, v119, -v3
	v_add_f32_e32 v1, v1, v2
	v_mul_f32_e32 v2, v5, v124
	v_fma_f32 v2, v4, v131, -v2
	v_add_f32_e32 v1, v1, v2
	v_mul_f32_e32 v2, v33, v126
	;; [unrolled: 3-line block ×25, first 2 shown]
	v_fma_f32 v2, v78, v235, -v2
	s_waitcnt vmcnt(15)
	v_mov_b32_e32 v16, v89
	s_waitcnt lgkmcnt(1)
	v_mul_f32_e32 v91, v80, v238
	v_add_f32_e32 v30, v1, v2
	v_mul_f32_e32 v1, v81, v238
	s_waitcnt lgkmcnt(0)
	v_pk_mul_f32 v[16:17], v[84:85], v[16:17] op_sel_hi:[1,0]
	v_fmac_f32_e32 v91, v81, v237
	v_mul_f32_e32 v93, v82, v240
	v_fma_f32 v90, v80, v237, -v1
	v_mul_f32_e32 v1, v83, v240
	s_waitcnt vmcnt(14)
	v_pk_fma_f32 v[18:19], v[84:85], v[88:89], v[16:17] op_sel:[0,0,1] op_sel_hi:[1,1,0] neg_lo:[0,0,1] neg_hi:[0,0,1]
	v_pk_fma_f32 v[16:17], v[84:85], v[88:89], v[16:17] op_sel:[0,0,1] op_sel_hi:[1,0,0]
	v_fmac_f32_e32 v93, v83, v239
	v_fma_f32 v92, v82, v239, -v1
	v_pk_add_f32 v[14:15], v[30:31], v[90:91]
	s_waitcnt vmcnt(7)
	v_mov_b32_e32 v16, v101
	ds_read2_b64 v[2:5], v216 offset0:109 offset1:110
	ds_read2_b64 v[6:9], v216 offset0:111 offset1:112
	;; [unrolled: 1-line block ×3, first 2 shown]
	v_pk_add_f32 v[14:15], v[14:15], v[92:93]
	v_mov_b32_e32 v19, v17
	v_pk_mul_f32 v[16:17], v[86:87], v[16:17] op_sel_hi:[1,0]
	v_pk_add_f32 v[14:15], v[14:15], v[18:19]
	s_waitcnt vmcnt(6)
	v_pk_fma_f32 v[18:19], v[86:87], v[100:101], v[16:17] op_sel:[0,0,1] op_sel_hi:[1,1,0] neg_lo:[0,0,1] neg_hi:[0,0,1]
	v_pk_fma_f32 v[16:17], v[86:87], v[100:101], v[16:17] op_sel:[0,0,1] op_sel_hi:[1,0,0]
	v_mov_b32_e32 v16, v99
	v_mov_b32_e32 v19, v17
	s_waitcnt lgkmcnt(2)
	v_pk_mul_f32 v[16:17], v[2:3], v[16:17] op_sel_hi:[1,0]
	v_pk_add_f32 v[14:15], v[14:15], v[18:19]
	v_pk_fma_f32 v[18:19], v[2:3], v[98:99], v[16:17] op_sel:[0,0,1] op_sel_hi:[1,1,0] neg_lo:[0,0,1] neg_hi:[0,0,1]
	v_pk_fma_f32 v[2:3], v[2:3], v[98:99], v[16:17] op_sel:[0,0,1] op_sel_hi:[1,0,0]
	v_mov_b32_e32 v19, v3
	v_pk_add_f32 v[2:3], v[14:15], v[18:19]
	v_mov_b32_e32 v14, v97
	v_pk_mul_f32 v[14:15], v[4:5], v[14:15] op_sel_hi:[1,0]
	v_pk_fma_f32 v[16:17], v[4:5], v[96:97], v[14:15] op_sel:[0,0,1] op_sel_hi:[1,1,0] neg_lo:[0,0,1] neg_hi:[0,0,1]
	v_pk_fma_f32 v[4:5], v[4:5], v[96:97], v[14:15] op_sel:[0,0,1] op_sel_hi:[1,0,0]
	v_mov_b32_e32 v4, v95
	v_mov_b32_e32 v17, v5
	s_waitcnt lgkmcnt(1)
	v_pk_mul_f32 v[4:5], v[6:7], v[4:5] op_sel_hi:[1,0]
	v_pk_fma_f32 v[14:15], v[6:7], v[94:95], v[4:5] op_sel:[0,0,1] op_sel_hi:[1,1,0] neg_lo:[0,0,1] neg_hi:[0,0,1]
	v_pk_fma_f32 v[4:5], v[6:7], v[94:95], v[4:5] op_sel:[0,0,1] op_sel_hi:[1,0,0]
	s_waitcnt vmcnt(1)
	v_mov_b32_e32 v4, v107
	v_mov_b32_e32 v15, v5
	v_pk_mul_f32 v[4:5], v[8:9], v[4:5] op_sel_hi:[1,0]
	s_waitcnt vmcnt(0)
	v_pk_fma_f32 v[6:7], v[8:9], v[106:107], v[4:5] op_sel:[0,0,1] op_sel_hi:[1,1,0] neg_lo:[0,0,1] neg_hi:[0,0,1]
	v_pk_fma_f32 v[4:5], v[8:9], v[106:107], v[4:5] op_sel:[0,0,1] op_sel_hi:[1,0,0]
	v_pk_add_f32 v[2:3], v[2:3], v[16:17]
	v_mov_b32_e32 v4, v105
	v_pk_add_f32 v[2:3], v[2:3], v[14:15]
	v_mov_b32_e32 v7, v5
	s_waitcnt lgkmcnt(0)
	v_pk_mul_f32 v[4:5], v[10:11], v[4:5] op_sel_hi:[1,0]
	v_pk_add_f32 v[2:3], v[2:3], v[6:7]
	v_pk_fma_f32 v[6:7], v[10:11], v[104:105], v[4:5] op_sel:[0,0,1] op_sel_hi:[1,1,0] neg_lo:[0,0,1] neg_hi:[0,0,1]
	v_pk_fma_f32 v[4:5], v[10:11], v[104:105], v[4:5] op_sel:[0,0,1] op_sel_hi:[1,0,0]
	v_mov_b32_e32 v4, v103
	v_mov_b32_e32 v7, v5
	v_pk_mul_f32 v[4:5], v[12:13], v[4:5] op_sel_hi:[1,0]
	v_pk_add_f32 v[2:3], v[2:3], v[6:7]
	v_pk_fma_f32 v[6:7], v[12:13], v[102:103], v[4:5] op_sel:[0,0,1] op_sel_hi:[1,1,0] neg_lo:[0,0,1] neg_hi:[0,0,1]
	v_pk_fma_f32 v[4:5], v[12:13], v[102:103], v[4:5] op_sel:[0,0,1] op_sel_hi:[1,0,0]
	v_mov_b32_e32 v7, v5
	v_pk_add_f32 v[2:3], v[2:3], v[6:7]
	v_pk_add_f32 v[2:3], v[26:27], v[2:3] neg_lo:[0,1] neg_hi:[0,1]
	buffer_store_dword v3, off, s[0:3], 0 offset:84
	buffer_store_dword v2, off, s[0:3], 0 offset:80
	s_and_saveexec_b64 s[4:5], vcc
	s_cbranch_execz .LBB120_337
; %bb.336:
	buffer_load_dword v2, off, s[0:3], 0 offset:72
	buffer_load_dword v3, off, s[0:3], 0 offset:76
	v_mov_b32_e32 v1, 0
	buffer_store_dword v1, off, s[0:3], 0 offset:72
	buffer_store_dword v1, off, s[0:3], 0 offset:76
	s_waitcnt vmcnt(2)
	ds_write_b64 v165, v[2:3]
.LBB120_337:
	s_or_b64 exec, exec, s[4:5]
	s_waitcnt lgkmcnt(0)
	; wave barrier
	s_waitcnt lgkmcnt(0)
	buffer_load_dword v32, off, s[0:3], 0 offset:84
	buffer_load_dword v31, off, s[0:3], 0 offset:92
	buffer_load_dword v30, off, s[0:3], 0 offset:108
	buffer_load_dword v29, off, s[0:3], 0 offset:116
	buffer_load_dword v1, off, s[0:3], 0 offset:124
	buffer_load_dword v33, off, s[0:3], 0 offset:100
	buffer_load_dword v28, off, s[0:3], 0 offset:132
	buffer_load_dword v34, off, s[0:3], 0 offset:140
	buffer_load_dword v37, off, s[0:3], 0 offset:148
	buffer_load_dword v94, off, s[0:3], 0 offset:156
	buffer_load_dword v96, off, s[0:3], 0 offset:96
	buffer_load_dword v114, off, s[0:3], 0 offset:88
	buffer_load_dword v115, off, s[0:3], 0 offset:80
	buffer_load_dword v116, off, s[0:3], 0 offset:128
	buffer_load_dword v117, off, s[0:3], 0 offset:120
	buffer_load_dword v118, off, s[0:3], 0 offset:112
	buffer_load_dword v119, off, s[0:3], 0 offset:104
	buffer_load_dword v120, off, s[0:3], 0 offset:160
	buffer_load_dword v121, off, s[0:3], 0 offset:152
	buffer_load_dword v122, off, s[0:3], 0 offset:144
	buffer_load_dword v123, off, s[0:3], 0 offset:136
	buffer_load_dword v124, off, s[0:3], 0 offset:164
	buffer_load_dword v125, off, s[0:3], 0 offset:176
	buffer_load_dword v126, off, s[0:3], 0 offset:180
	buffer_load_dword v127, off, s[0:3], 0 offset:184
	buffer_load_dword v128, off, s[0:3], 0 offset:188
	buffer_load_dword v129, off, s[0:3], 0 offset:192
	buffer_load_dword v130, off, s[0:3], 0 offset:196
	buffer_load_dword v131, off, s[0:3], 0 offset:172
	buffer_load_dword v132, off, s[0:3], 0 offset:168
	buffer_load_dword v26, off, s[0:3], 0 offset:72
	buffer_load_dword v27, off, s[0:3], 0 offset:76
	buffer_load_dword v133, off, s[0:3], 0 offset:200
	buffer_load_dword v134, off, s[0:3], 0 offset:204
	buffer_load_dword v135, off, s[0:3], 0 offset:208
	buffer_load_dword v136, off, s[0:3], 0 offset:212
	buffer_load_dword v137, off, s[0:3], 0 offset:216
	buffer_load_dword v138, off, s[0:3], 0 offset:220
	buffer_load_dword v139, off, s[0:3], 0 offset:224
	buffer_load_dword v140, off, s[0:3], 0 offset:228
	buffer_load_dword v141, off, s[0:3], 0 offset:232
	buffer_load_dword v142, off, s[0:3], 0 offset:236
	buffer_load_dword v143, off, s[0:3], 0 offset:240
	buffer_load_dword v144, off, s[0:3], 0 offset:244
	buffer_load_dword v145, off, s[0:3], 0 offset:248
	buffer_load_dword v208, off, s[0:3], 0 offset:252
	buffer_load_dword v209, off, s[0:3], 0 offset:256
	buffer_load_dword v210, off, s[0:3], 0 offset:260
	v_mov_b32_e32 v36, 0
	ds_read_b128 v[22:25], v36 offset:544
	ds_read_b128 v[18:21], v36 offset:560
	;; [unrolled: 1-line block ×6, first 2 shown]
	buffer_load_dword v211, off, s[0:3], 0 offset:264
	buffer_load_dword v212, off, s[0:3], 0 offset:268
	;; [unrolled: 1-line block ×12, first 2 shown]
	v_cmp_lt_u32_e32 vcc, 8, v0
	s_waitcnt vmcnt(59) lgkmcnt(5)
	v_mul_f32_e32 v35, v22, v32
	s_waitcnt vmcnt(58)
	v_mul_f32_e32 v38, v24, v31
	s_waitcnt vmcnt(57) lgkmcnt(4)
	v_mul_f32_e32 v40, v20, v30
	s_waitcnt vmcnt(56) lgkmcnt(3)
	v_mul_f32_e32 v41, v14, v29
	s_waitcnt vmcnt(55)
	v_mul_f32_e32 v42, v16, v1
	s_waitcnt vmcnt(54)
	v_mul_f32_e32 v39, v18, v33
	s_waitcnt vmcnt(53) lgkmcnt(2)
	v_mul_f32_e32 v43, v10, v28
	s_waitcnt vmcnt(52)
	v_mul_f32_e32 v44, v12, v34
	s_waitcnt vmcnt(51) lgkmcnt(1)
	v_mul_f32_e32 v45, v6, v37
	s_waitcnt vmcnt(50)
	v_mul_f32_e32 v46, v8, v94
	s_waitcnt vmcnt(49)
	v_fmac_f32_e32 v39, v19, v96
	s_waitcnt vmcnt(48)
	v_fmac_f32_e32 v38, v25, v114
	;; [unrolled: 2-line block ×3, first 2 shown]
	v_add_f32_e32 v35, 0, v35
	v_add_f32_e32 v35, v35, v38
	;; [unrolled: 1-line block ×3, first 2 shown]
	s_waitcnt vmcnt(43)
	v_fmac_f32_e32 v40, v21, v119
	v_fmac_f32_e32 v41, v15, v118
	v_add_f32_e32 v35, v35, v40
	v_fmac_f32_e32 v42, v17, v117
	v_add_f32_e32 v35, v35, v41
	;; [unrolled: 2-line block ×3, first 2 shown]
	s_waitcnt vmcnt(39)
	v_fmac_f32_e32 v44, v13, v123
	v_add_f32_e32 v35, v35, v43
	v_fmac_f32_e32 v45, v7, v122
	v_add_f32_e32 v35, v35, v44
	;; [unrolled: 2-line block ×3, first 2 shown]
	s_waitcnt vmcnt(38) lgkmcnt(0)
	v_mul_f32_e32 v38, v2, v124
	v_add_f32_e32 v35, v35, v46
	v_fmac_f32_e32 v38, v3, v120
	v_add_f32_e32 v35, v35, v38
	ds_read_b128 v[38:41], v36 offset:640
	buffer_load_dword v223, off, s[0:3], 0 offset:312
	buffer_load_dword v224, off, s[0:3], 0 offset:316
	;; [unrolled: 1-line block ×4, first 2 shown]
	s_waitcnt vmcnt(35)
	v_mul_f32_e32 v42, v4, v131
	s_waitcnt vmcnt(34)
	v_fmac_f32_e32 v42, v5, v132
	v_add_f32_e32 v35, v35, v42
	ds_read_b128 v[42:45], v36 offset:656
	buffer_load_dword v227, off, s[0:3], 0 offset:328
	buffer_load_dword v228, off, s[0:3], 0 offset:332
	buffer_load_dword v229, off, s[0:3], 0 offset:336
	buffer_load_dword v230, off, s[0:3], 0 offset:340
	buffer_load_dword v231, off, s[0:3], 0 offset:344
	buffer_load_dword v232, off, s[0:3], 0 offset:348
	buffer_load_dword v233, off, s[0:3], 0 offset:352
	buffer_load_dword v234, off, s[0:3], 0 offset:356
	buffer_load_dword v235, off, s[0:3], 0 offset:360
	buffer_load_dword v236, off, s[0:3], 0 offset:364
	s_waitcnt lgkmcnt(1)
	v_mul_f32_e32 v46, v38, v126
	v_fmac_f32_e32 v46, v39, v125
	v_add_f32_e32 v35, v35, v46
	v_mul_f32_e32 v46, v40, v128
	v_fmac_f32_e32 v46, v41, v127
	v_add_f32_e32 v35, v35, v46
	s_waitcnt lgkmcnt(0)
	v_mul_f32_e32 v46, v42, v130
	v_fmac_f32_e32 v46, v43, v129
	v_add_f32_e32 v35, v35, v46
	buffer_load_dword v237, off, s[0:3], 0 offset:368
	buffer_load_dword v238, off, s[0:3], 0 offset:372
	;; [unrolled: 1-line block ×6, first 2 shown]
	ds_read_b128 v[46:49], v36 offset:672
	s_waitcnt vmcnt(46)
	v_mul_f32_e32 v50, v44, v134
	v_fmac_f32_e32 v50, v45, v133
	v_add_f32_e32 v35, v35, v50
	ds_read_b128 v[50:53], v36 offset:688
	s_waitcnt vmcnt(44) lgkmcnt(1)
	v_mul_f32_e32 v54, v46, v136
	v_fmac_f32_e32 v54, v47, v135
	v_add_f32_e32 v35, v35, v54
	s_waitcnt vmcnt(42)
	v_mul_f32_e32 v54, v48, v138
	v_fmac_f32_e32 v54, v49, v137
	v_add_f32_e32 v35, v35, v54
	s_waitcnt vmcnt(40) lgkmcnt(0)
	v_mul_f32_e32 v54, v50, v140
	v_fmac_f32_e32 v54, v51, v139
	v_add_f32_e32 v35, v35, v54
	ds_read_b128 v[54:57], v36 offset:704
	s_waitcnt vmcnt(38)
	v_mul_f32_e32 v58, v52, v142
	v_fmac_f32_e32 v58, v53, v141
	v_add_f32_e32 v35, v35, v58
	ds_read_b128 v[58:61], v36 offset:720
	s_waitcnt vmcnt(36) lgkmcnt(1)
	v_mul_f32_e32 v62, v54, v144
	v_fmac_f32_e32 v62, v55, v143
	v_add_f32_e32 v35, v35, v62
	s_waitcnt vmcnt(34)
	v_mul_f32_e32 v62, v56, v208
	v_fmac_f32_e32 v62, v57, v145
	v_add_f32_e32 v35, v35, v62
	s_waitcnt vmcnt(32) lgkmcnt(0)
	v_mul_f32_e32 v62, v58, v210
	v_fmac_f32_e32 v62, v59, v209
	v_add_f32_e32 v35, v35, v62
	;; [unrolled: 18-line block ×3, first 2 shown]
	ds_read_b128 v[70:73], v36 offset:768
	s_waitcnt vmcnt(22)
	v_mul_f32_e32 v74, v68, v220
	v_fmac_f32_e32 v74, v69, v219
	v_add_f32_e32 v35, v35, v74
	ds_read_b128 v[74:77], v36 offset:784
	s_waitcnt vmcnt(20) lgkmcnt(1)
	v_mul_f32_e32 v78, v70, v222
	v_fmac_f32_e32 v78, v71, v221
	v_add_f32_e32 v35, v35, v78
	v_mul_f32_e32 v23, v23, v32
	v_fma_f32 v22, v22, v115, -v23
	v_mul_f32_e32 v23, v25, v31
	v_add_f32_e32 v22, 0, v22
	v_fma_f32 v23, v24, v114, -v23
	v_mul_f32_e32 v19, v19, v33
	v_add_f32_e32 v22, v22, v23
	v_fma_f32 v18, v18, v96, -v19
	v_mul_f32_e32 v19, v21, v30
	s_waitcnt vmcnt(18)
	v_mul_f32_e32 v78, v72, v224
	v_fmac_f32_e32 v78, v73, v223
	v_add_f32_e32 v35, v35, v78
	s_waitcnt vmcnt(16) lgkmcnt(0)
	v_mul_f32_e32 v78, v74, v226
	v_fmac_f32_e32 v78, v75, v225
	v_add_f32_e32 v35, v35, v78
	ds_read_b128 v[78:81], v36 offset:800
	s_waitcnt vmcnt(14)
	v_mul_f32_e32 v82, v76, v228
	v_fmac_f32_e32 v82, v77, v227
	v_add_f32_e32 v35, v35, v82
	ds_read_b128 v[82:85], v36 offset:816
	s_waitcnt vmcnt(12) lgkmcnt(1)
	v_mul_f32_e32 v86, v78, v230
	v_fmac_f32_e32 v86, v79, v229
	v_add_f32_e32 v35, v35, v86
	s_waitcnt vmcnt(10)
	v_mul_f32_e32 v86, v80, v232
	v_fmac_f32_e32 v86, v81, v231
	v_add_f32_e32 v35, v35, v86
	s_waitcnt vmcnt(8) lgkmcnt(0)
	v_mul_f32_e32 v86, v82, v234
	v_fmac_f32_e32 v86, v83, v233
	s_waitcnt vmcnt(6)
	v_mul_f32_e32 v90, v84, v236
	v_add_f32_e32 v35, v35, v86
	v_fmac_f32_e32 v90, v85, v235
	ds_read_b128 v[86:89], v36 offset:832
	v_add_f32_e32 v35, v35, v90
	ds_read_b128 v[90:93], v36 offset:848
	buffer_load_dword v99, off, s[0:3], 0 offset:420
	buffer_load_dword v98, off, s[0:3], 0 offset:416
	;; [unrolled: 1-line block ×16, first 2 shown]
	v_add_f32_e32 v18, v22, v18
	v_fma_f32 v19, v20, v119, -v19
	v_mul_f32_e32 v15, v15, v29
	v_add_f32_e32 v18, v18, v19
	v_fma_f32 v14, v14, v118, -v15
	v_mul_f32_e32 v1, v17, v1
	;; [unrolled: 3-line block ×3, first 2 shown]
	v_add_f32_e32 v1, v14, v1
	v_fma_f32 v10, v10, v116, -v11
	v_add_f32_e32 v1, v1, v10
	v_mul_f32_e32 v10, v13, v34
	v_fma_f32 v10, v12, v123, -v10
	v_mul_f32_e32 v7, v7, v37
	v_add_f32_e32 v1, v1, v10
	v_fma_f32 v6, v6, v122, -v7
	v_add_f32_e32 v1, v1, v6
	v_mul_f32_e32 v6, v9, v94
	v_fma_f32 v6, v8, v121, -v6
	v_mul_f32_e32 v3, v3, v124
	v_add_f32_e32 v1, v1, v6
	v_fma_f32 v2, v2, v120, -v3
	v_add_f32_e32 v1, v1, v2
	v_mul_f32_e32 v2, v5, v131
	v_fma_f32 v2, v4, v132, -v2
	v_add_f32_e32 v1, v1, v2
	v_mul_f32_e32 v2, v39, v126
	;; [unrolled: 3-line block ×25, first 2 shown]
	v_fma_f32 v2, v84, v235, -v2
	s_waitcnt vmcnt(20) lgkmcnt(1)
	v_mul_f32_e32 v95, v86, v238
	v_add_f32_e32 v1, v1, v2
	v_mul_f32_e32 v2, v87, v238
	v_fmac_f32_e32 v95, v87, v237
	v_fma_f32 v2, v86, v237, -v2
	s_waitcnt vmcnt(9)
	v_mov_b32_e32 v18, v105
	v_add_f32_e32 v35, v35, v95
	v_mul_f32_e32 v95, v88, v240
	v_add_f32_e32 v34, v1, v2
	v_mul_f32_e32 v1, v89, v240
	s_waitcnt lgkmcnt(0)
	v_pk_mul_f32 v[18:19], v[92:93], v[18:19] op_sel_hi:[1,0]
	v_fmac_f32_e32 v95, v89, v239
	v_mul_f32_e32 v97, v90, v242
	v_fma_f32 v94, v88, v239, -v1
	v_mul_f32_e32 v1, v91, v242
	ds_read_b128 v[2:5], v36 offset:864
	ds_read_b128 v[6:9], v36 offset:880
	;; [unrolled: 1-line block ×3, first 2 shown]
	ds_read_b64 v[14:15], v36 offset:912
	s_waitcnt vmcnt(8)
	v_pk_fma_f32 v[20:21], v[92:93], v[104:105], v[18:19] op_sel:[0,0,1] op_sel_hi:[1,1,0] neg_lo:[0,0,1] neg_hi:[0,0,1]
	v_pk_fma_f32 v[18:19], v[92:93], v[104:105], v[18:19] op_sel:[0,0,1] op_sel_hi:[1,0,0]
	v_fmac_f32_e32 v97, v91, v241
	v_fma_f32 v96, v90, v241, -v1
	v_pk_add_f32 v[16:17], v[34:35], v[94:95]
	v_mov_b32_e32 v18, v103
	v_pk_add_f32 v[16:17], v[16:17], v[96:97]
	v_mov_b32_e32 v21, v19
	s_waitcnt lgkmcnt(3)
	v_pk_mul_f32 v[18:19], v[2:3], v[18:19] op_sel_hi:[1,0]
	v_pk_add_f32 v[16:17], v[16:17], v[20:21]
	v_pk_fma_f32 v[20:21], v[2:3], v[102:103], v[18:19] op_sel:[0,0,1] op_sel_hi:[1,1,0] neg_lo:[0,0,1] neg_hi:[0,0,1]
	v_pk_fma_f32 v[2:3], v[2:3], v[102:103], v[18:19] op_sel:[0,0,1] op_sel_hi:[1,0,0]
	v_mov_b32_e32 v21, v3
	v_pk_add_f32 v[2:3], v[16:17], v[20:21]
	v_mov_b32_e32 v16, v101
	v_pk_mul_f32 v[16:17], v[4:5], v[16:17] op_sel_hi:[1,0]
	v_pk_fma_f32 v[18:19], v[4:5], v[100:101], v[16:17] op_sel:[0,0,1] op_sel_hi:[1,1,0] neg_lo:[0,0,1] neg_hi:[0,0,1]
	v_pk_fma_f32 v[4:5], v[4:5], v[100:101], v[16:17] op_sel:[0,0,1] op_sel_hi:[1,0,0]
	v_mov_b32_e32 v4, v99
	v_mov_b32_e32 v19, v5
	s_waitcnt lgkmcnt(2)
	v_pk_mul_f32 v[4:5], v[6:7], v[4:5] op_sel_hi:[1,0]
	v_pk_fma_f32 v[16:17], v[6:7], v[98:99], v[4:5] op_sel:[0,0,1] op_sel_hi:[1,1,0] neg_lo:[0,0,1] neg_hi:[0,0,1]
	v_pk_fma_f32 v[4:5], v[6:7], v[98:99], v[4:5] op_sel:[0,0,1] op_sel_hi:[1,0,0]
	s_waitcnt vmcnt(1)
	v_mov_b32_e32 v4, v113
	v_mov_b32_e32 v17, v5
	v_pk_mul_f32 v[4:5], v[8:9], v[4:5] op_sel_hi:[1,0]
	s_waitcnt vmcnt(0)
	v_pk_fma_f32 v[6:7], v[8:9], v[112:113], v[4:5] op_sel:[0,0,1] op_sel_hi:[1,1,0] neg_lo:[0,0,1] neg_hi:[0,0,1]
	v_pk_fma_f32 v[4:5], v[8:9], v[112:113], v[4:5] op_sel:[0,0,1] op_sel_hi:[1,0,0]
	v_pk_add_f32 v[2:3], v[2:3], v[18:19]
	v_mov_b32_e32 v4, v111
	v_pk_add_f32 v[2:3], v[2:3], v[16:17]
	v_mov_b32_e32 v7, v5
	s_waitcnt lgkmcnt(1)
	v_pk_mul_f32 v[4:5], v[10:11], v[4:5] op_sel_hi:[1,0]
	v_pk_add_f32 v[2:3], v[2:3], v[6:7]
	v_pk_fma_f32 v[6:7], v[10:11], v[110:111], v[4:5] op_sel:[0,0,1] op_sel_hi:[1,1,0] neg_lo:[0,0,1] neg_hi:[0,0,1]
	v_pk_fma_f32 v[4:5], v[10:11], v[110:111], v[4:5] op_sel:[0,0,1] op_sel_hi:[1,0,0]
	v_mov_b32_e32 v4, v109
	v_mov_b32_e32 v7, v5
	v_pk_mul_f32 v[4:5], v[12:13], v[4:5] op_sel_hi:[1,0]
	v_pk_add_f32 v[2:3], v[2:3], v[6:7]
	v_pk_fma_f32 v[6:7], v[12:13], v[108:109], v[4:5] op_sel:[0,0,1] op_sel_hi:[1,1,0] neg_lo:[0,0,1] neg_hi:[0,0,1]
	v_pk_fma_f32 v[4:5], v[12:13], v[108:109], v[4:5] op_sel:[0,0,1] op_sel_hi:[1,0,0]
	v_mov_b32_e32 v4, v107
	v_mov_b32_e32 v7, v5
	s_waitcnt lgkmcnt(0)
	v_pk_mul_f32 v[4:5], v[14:15], v[4:5] op_sel_hi:[1,0]
	v_pk_add_f32 v[2:3], v[2:3], v[6:7]
	v_pk_fma_f32 v[6:7], v[14:15], v[106:107], v[4:5] op_sel:[0,0,1] op_sel_hi:[1,1,0] neg_lo:[0,0,1] neg_hi:[0,0,1]
	v_pk_fma_f32 v[4:5], v[14:15], v[106:107], v[4:5] op_sel:[0,0,1] op_sel_hi:[1,0,0]
	v_mov_b32_e32 v7, v5
	v_pk_add_f32 v[2:3], v[2:3], v[6:7]
	v_pk_add_f32 v[2:3], v[26:27], v[2:3] neg_lo:[0,1] neg_hi:[0,1]
	buffer_store_dword v3, off, s[0:3], 0 offset:76
	buffer_store_dword v2, off, s[0:3], 0 offset:72
	s_and_saveexec_b64 s[4:5], vcc
	s_cbranch_execz .LBB120_339
; %bb.338:
	buffer_load_dword v2, off, s[0:3], 0 offset:64
	buffer_load_dword v3, off, s[0:3], 0 offset:68
	s_waitcnt vmcnt(0)
	ds_write_b64 v165, v[2:3]
	buffer_store_dword v36, off, s[0:3], 0 offset:64
	buffer_store_dword v36, off, s[0:3], 0 offset:68
.LBB120_339:
	s_or_b64 exec, exec, s[4:5]
	s_waitcnt lgkmcnt(0)
	; wave barrier
	s_waitcnt lgkmcnt(0)
	buffer_load_dword v41, off, s[0:3], 0 offset:76
	buffer_load_dword v40, off, s[0:3], 0 offset:84
	buffer_load_dword v39, off, s[0:3], 0 offset:100
	buffer_load_dword v38, off, s[0:3], 0 offset:108
	buffer_load_dword v1, off, s[0:3], 0 offset:116
	buffer_load_dword v42, off, s[0:3], 0 offset:92
	buffer_load_dword v37, off, s[0:3], 0 offset:124
	buffer_load_dword v43, off, s[0:3], 0 offset:132
	buffer_load_dword v92, off, s[0:3], 0 offset:140
	buffer_load_dword v94, off, s[0:3], 0 offset:148
	buffer_load_dword v102, off, s[0:3], 0 offset:156
	buffer_load_dword v114, off, s[0:3], 0 offset:88
	buffer_load_dword v115, off, s[0:3], 0 offset:80
	buffer_load_dword v116, off, s[0:3], 0 offset:72
	buffer_load_dword v117, off, s[0:3], 0 offset:120
	buffer_load_dword v118, off, s[0:3], 0 offset:112
	buffer_load_dword v119, off, s[0:3], 0 offset:104
	buffer_load_dword v120, off, s[0:3], 0 offset:96
	buffer_load_dword v121, off, s[0:3], 0 offset:152
	buffer_load_dword v122, off, s[0:3], 0 offset:144
	buffer_load_dword v123, off, s[0:3], 0 offset:136
	buffer_load_dword v124, off, s[0:3], 0 offset:128
	buffer_load_dword v125, off, s[0:3], 0 offset:176
	buffer_load_dword v126, off, s[0:3], 0 offset:180
	buffer_load_dword v127, off, s[0:3], 0 offset:184
	buffer_load_dword v128, off, s[0:3], 0 offset:188
	buffer_load_dword v129, off, s[0:3], 0 offset:168
	buffer_load_dword v130, off, s[0:3], 0 offset:164
	buffer_load_dword v131, off, s[0:3], 0 offset:160
	buffer_load_dword v132, off, s[0:3], 0 offset:172
	buffer_load_dword v34, off, s[0:3], 0 offset:64
	buffer_load_dword v35, off, s[0:3], 0 offset:68
	ds_read2_b64 v[22:25], v36 offset0:67 offset1:68
	ds_read2_b64 v[18:21], v36 offset0:69 offset1:70
	;; [unrolled: 1-line block ×6, first 2 shown]
	buffer_load_dword v133, off, s[0:3], 0 offset:192
	buffer_load_dword v134, off, s[0:3], 0 offset:196
	;; [unrolled: 1-line block ×26, first 2 shown]
	v_cmp_lt_u32_e32 vcc, 7, v0
	s_waitcnt vmcnt(57) lgkmcnt(5)
	v_mul_f32_e32 v26, v22, v41
	s_waitcnt vmcnt(56)
	v_mul_f32_e32 v27, v24, v40
	s_waitcnt vmcnt(55) lgkmcnt(4)
	v_mul_f32_e32 v29, v20, v39
	s_waitcnt vmcnt(54) lgkmcnt(3)
	v_mul_f32_e32 v30, v14, v38
	s_waitcnt vmcnt(53)
	v_mul_f32_e32 v31, v16, v1
	s_waitcnt vmcnt(52)
	v_mul_f32_e32 v28, v18, v42
	s_waitcnt vmcnt(51) lgkmcnt(2)
	v_mul_f32_e32 v32, v10, v37
	s_waitcnt vmcnt(50)
	v_mul_f32_e32 v33, v12, v43
	s_waitcnt vmcnt(49) lgkmcnt(1)
	;; [unrolled: 4-line block ×3, first 2 shown]
	v_mul_f32_e32 v46, v2, v102
	s_waitcnt vmcnt(46)
	v_fmac_f32_e32 v28, v19, v114
	s_waitcnt vmcnt(45)
	v_fmac_f32_e32 v27, v25, v115
	;; [unrolled: 2-line block ×3, first 2 shown]
	v_add_f32_e32 v26, 0, v26
	v_add_f32_e32 v26, v26, v27
	;; [unrolled: 1-line block ×3, first 2 shown]
	s_waitcnt vmcnt(40)
	v_fmac_f32_e32 v29, v21, v120
	v_fmac_f32_e32 v30, v15, v119
	v_add_f32_e32 v26, v26, v29
	v_fmac_f32_e32 v31, v17, v118
	v_add_f32_e32 v26, v26, v30
	v_fmac_f32_e32 v32, v11, v117
	v_add_f32_e32 v26, v26, v31
	s_waitcnt vmcnt(36)
	v_fmac_f32_e32 v33, v13, v124
	v_add_f32_e32 v26, v26, v32
	v_fmac_f32_e32 v44, v7, v123
	v_add_f32_e32 v26, v26, v33
	;; [unrolled: 2-line block ×4, first 2 shown]
	s_waitcnt vmcnt(30)
	v_mul_f32_e32 v27, v4, v130
	v_add_f32_e32 v26, v26, v46
	s_waitcnt vmcnt(29)
	v_fmac_f32_e32 v27, v5, v131
	v_add_f32_e32 v44, v26, v27
	ds_read2_b64 v[26:29], v36 offset0:79 offset1:80
	buffer_load_dword v221, off, s[0:3], 0 offset:296
	buffer_load_dword v222, off, s[0:3], 0 offset:300
	ds_read2_b64 v[30:33], v36 offset0:81 offset1:82
	buffer_load_dword v223, off, s[0:3], 0 offset:304
	buffer_load_dword v224, off, s[0:3], 0 offset:308
	;; [unrolled: 1-line block ×14, first 2 shown]
	s_waitcnt vmcnt(44) lgkmcnt(1)
	v_mul_f32_e32 v45, v26, v132
	v_fmac_f32_e32 v45, v27, v129
	v_add_f32_e32 v44, v44, v45
	v_mul_f32_e32 v45, v28, v126
	v_fmac_f32_e32 v45, v29, v125
	v_add_f32_e32 v44, v44, v45
	s_waitcnt lgkmcnt(0)
	v_mul_f32_e32 v45, v30, v128
	v_fmac_f32_e32 v45, v31, v127
	v_add_f32_e32 v48, v44, v45
	buffer_load_dword v237, off, s[0:3], 0 offset:360
	buffer_load_dword v238, off, s[0:3], 0 offset:364
	ds_read2_b64 v[44:47], v36 offset0:83 offset1:84
	s_waitcnt vmcnt(42)
	v_mul_f32_e32 v49, v32, v134
	v_fmac_f32_e32 v49, v33, v133
	buffer_load_dword v239, off, s[0:3], 0 offset:368
	buffer_load_dword v240, off, s[0:3], 0 offset:372
	v_add_f32_e32 v52, v48, v49
	buffer_load_dword v241, off, s[0:3], 0 offset:376
	buffer_load_dword v242, off, s[0:3], 0 offset:380
	ds_read2_b64 v[48:51], v36 offset0:85 offset1:86
	s_waitcnt vmcnt(44) lgkmcnt(1)
	v_mul_f32_e32 v53, v44, v136
	v_fmac_f32_e32 v53, v45, v135
	v_add_f32_e32 v52, v52, v53
	s_waitcnt vmcnt(42)
	v_mul_f32_e32 v53, v46, v138
	v_fmac_f32_e32 v53, v47, v137
	v_add_f32_e32 v52, v52, v53
	s_waitcnt vmcnt(40) lgkmcnt(0)
	v_mul_f32_e32 v53, v48, v140
	v_fmac_f32_e32 v53, v49, v139
	buffer_load_dword v243, off, s[0:3], 0 offset:384
	buffer_load_dword v244, off, s[0:3], 0 offset:388
	v_add_f32_e32 v56, v52, v53
	ds_read2_b64 v[52:55], v36 offset0:87 offset1:88
	s_waitcnt vmcnt(40)
	v_mul_f32_e32 v57, v50, v142
	v_fmac_f32_e32 v57, v51, v141
	v_add_f32_e32 v60, v56, v57
	ds_read2_b64 v[56:59], v36 offset0:89 offset1:90
	s_waitcnt vmcnt(38) lgkmcnt(1)
	v_mul_f32_e32 v61, v52, v144
	v_fmac_f32_e32 v61, v53, v143
	v_add_f32_e32 v60, v60, v61
	s_waitcnt vmcnt(36)
	v_mul_f32_e32 v61, v54, v208
	v_fmac_f32_e32 v61, v55, v145
	v_add_f32_e32 v60, v60, v61
	s_waitcnt vmcnt(34) lgkmcnt(0)
	v_mul_f32_e32 v61, v56, v210
	v_fmac_f32_e32 v61, v57, v209
	v_add_f32_e32 v64, v60, v61
	ds_read2_b64 v[60:63], v36 offset0:91 offset1:92
	s_waitcnt vmcnt(32)
	v_mul_f32_e32 v65, v58, v212
	v_fmac_f32_e32 v65, v59, v211
	v_add_f32_e32 v68, v64, v65
	ds_read2_b64 v[64:67], v36 offset0:93 offset1:94
	s_waitcnt vmcnt(30) lgkmcnt(1)
	v_mul_f32_e32 v69, v60, v214
	v_fmac_f32_e32 v69, v61, v213
	v_add_f32_e32 v68, v68, v69
	s_waitcnt vmcnt(28)
	v_mul_f32_e32 v69, v62, v216
	v_fmac_f32_e32 v69, v63, v215
	v_add_f32_e32 v68, v68, v69
	s_waitcnt vmcnt(26) lgkmcnt(0)
	v_mul_f32_e32 v69, v64, v218
	v_fmac_f32_e32 v69, v65, v217
	v_add_f32_e32 v72, v68, v69
	ds_read2_b64 v[68:71], v36 offset0:95 offset1:96
	s_waitcnt vmcnt(24)
	v_mul_f32_e32 v73, v66, v220
	v_fmac_f32_e32 v73, v67, v219
	v_add_f32_e32 v76, v72, v73
	ds_read2_b64 v[72:75], v36 offset0:97 offset1:98
	v_mul_f32_e32 v23, v23, v41
	v_fma_f32 v22, v22, v116, -v23
	v_mul_f32_e32 v23, v25, v40
	v_add_f32_e32 v22, 0, v22
	v_fma_f32 v23, v24, v115, -v23
	v_mul_f32_e32 v19, v19, v42
	v_add_f32_e32 v22, v22, v23
	v_fma_f32 v18, v18, v114, -v19
	v_mul_f32_e32 v19, v21, v39
	v_add_f32_e32 v18, v22, v18
	v_fma_f32 v19, v20, v120, -v19
	s_waitcnt vmcnt(22) lgkmcnt(1)
	v_mul_f32_e32 v77, v68, v222
	v_fmac_f32_e32 v77, v69, v221
	v_add_f32_e32 v76, v76, v77
	s_waitcnt vmcnt(20)
	v_mul_f32_e32 v77, v70, v224
	v_fmac_f32_e32 v77, v71, v223
	v_add_f32_e32 v76, v76, v77
	s_waitcnt vmcnt(18) lgkmcnt(0)
	v_mul_f32_e32 v77, v72, v226
	v_fmac_f32_e32 v77, v73, v225
	v_add_f32_e32 v80, v76, v77
	ds_read2_b64 v[76:79], v36 offset0:99 offset1:100
	s_waitcnt vmcnt(16)
	v_mul_f32_e32 v81, v74, v228
	v_fmac_f32_e32 v81, v75, v227
	v_add_f32_e32 v84, v80, v81
	ds_read2_b64 v[80:83], v36 offset0:101 offset1:102
	s_waitcnt vmcnt(14) lgkmcnt(1)
	v_mul_f32_e32 v85, v76, v230
	v_fmac_f32_e32 v85, v77, v229
	v_add_f32_e32 v84, v84, v85
	s_waitcnt vmcnt(12)
	v_mul_f32_e32 v85, v78, v232
	v_fmac_f32_e32 v85, v79, v231
	v_add_f32_e32 v84, v84, v85
	s_waitcnt vmcnt(10) lgkmcnt(0)
	v_mul_f32_e32 v85, v80, v234
	v_fmac_f32_e32 v85, v81, v233
	s_waitcnt vmcnt(8)
	v_mul_f32_e32 v89, v82, v236
	v_add_f32_e32 v88, v84, v85
	v_fmac_f32_e32 v89, v83, v235
	ds_read2_b64 v[84:87], v36 offset0:103 offset1:104
	v_add_f32_e32 v93, v88, v89
	ds_read2_b64 v[88:91], v36 offset0:105 offset1:106
	buffer_load_dword v97, off, s[0:3], 0 offset:412
	buffer_load_dword v96, off, s[0:3], 0 offset:408
	buffer_load_dword v99, off, s[0:3], 0 offset:404
	buffer_load_dword v98, off, s[0:3], 0 offset:400
	buffer_load_dword v101, off, s[0:3], 0 offset:396
	buffer_load_dword v100, off, s[0:3], 0 offset:392
	buffer_load_dword v105, off, s[0:3], 0 offset:444
	buffer_load_dword v104, off, s[0:3], 0 offset:440
	buffer_load_dword v107, off, s[0:3], 0 offset:436
	buffer_load_dword v106, off, s[0:3], 0 offset:432
	buffer_load_dword v109, off, s[0:3], 0 offset:428
	buffer_load_dword v108, off, s[0:3], 0 offset:424
	buffer_load_dword v111, off, s[0:3], 0 offset:420
	buffer_load_dword v110, off, s[0:3], 0 offset:416
	buffer_load_dword v113, off, s[0:3], 0 offset:452
	buffer_load_dword v112, off, s[0:3], 0 offset:448
	v_mul_f32_e32 v15, v15, v38
	v_add_f32_e32 v18, v18, v19
	v_fma_f32 v14, v14, v119, -v15
	v_mul_f32_e32 v1, v17, v1
	v_add_f32_e32 v14, v18, v14
	v_fma_f32 v1, v16, v118, -v1
	v_mul_f32_e32 v11, v11, v37
	v_add_f32_e32 v1, v14, v1
	v_fma_f32 v10, v10, v117, -v11
	v_add_f32_e32 v1, v1, v10
	v_mul_f32_e32 v10, v13, v43
	v_fma_f32 v10, v12, v124, -v10
	v_mul_f32_e32 v7, v7, v92
	v_add_f32_e32 v1, v1, v10
	v_fma_f32 v6, v6, v123, -v7
	v_add_f32_e32 v1, v1, v6
	v_mul_f32_e32 v6, v9, v94
	v_fma_f32 v6, v8, v122, -v6
	v_mul_f32_e32 v3, v3, v102
	v_add_f32_e32 v1, v1, v6
	v_fma_f32 v2, v2, v121, -v3
	v_add_f32_e32 v1, v1, v2
	v_mul_f32_e32 v2, v5, v130
	v_fma_f32 v2, v4, v131, -v2
	v_add_f32_e32 v1, v1, v2
	v_mul_f32_e32 v2, v27, v132
	;; [unrolled: 3-line block ×25, first 2 shown]
	v_fma_f32 v2, v82, v235, -v2
	v_add_f32_e32 v1, v1, v2
	s_waitcnt vmcnt(22) lgkmcnt(1)
	v_mul_f32_e32 v2, v85, v238
	v_mul_f32_e32 v95, v84, v238
	v_fma_f32 v2, v84, v237, -v2
	v_fmac_f32_e32 v95, v85, v237
	v_add_f32_e32 v1, v1, v2
	s_waitcnt vmcnt(20)
	v_mul_f32_e32 v2, v87, v240
	v_add_f32_e32 v93, v93, v95
	v_mul_f32_e32 v95, v86, v240
	v_fma_f32 v2, v86, v239, -v2
	v_fmac_f32_e32 v95, v87, v239
	v_add_f32_e32 v92, v1, v2
	ds_read2_b64 v[2:5], v36 offset0:107 offset1:108
	ds_read2_b64 v[6:9], v36 offset0:109 offset1:110
	ds_read2_b64 v[10:13], v36 offset0:111 offset1:112
	ds_read2_b64 v[14:17], v36 offset0:113 offset1:114
	v_add_f32_e32 v93, v93, v95
	s_waitcnt vmcnt(18) lgkmcnt(4)
	v_mul_f32_e32 v95, v88, v242
	v_mul_f32_e32 v1, v89, v242
	s_waitcnt vmcnt(11)
	v_mov_b32_e32 v20, v101
	v_fmac_f32_e32 v95, v89, v241
	v_mul_f32_e32 v103, v90, v244
	v_fma_f32 v94, v88, v241, -v1
	v_mul_f32_e32 v1, v91, v244
	s_waitcnt lgkmcnt(3)
	v_pk_mul_f32 v[20:21], v[2:3], v[20:21] op_sel_hi:[1,0]
	v_fmac_f32_e32 v103, v91, v243
	v_fma_f32 v102, v90, v243, -v1
	v_pk_add_f32 v[18:19], v[92:93], v[94:95]
	s_waitcnt vmcnt(10)
	v_pk_fma_f32 v[22:23], v[2:3], v[100:101], v[20:21] op_sel:[0,0,1] op_sel_hi:[1,1,0] neg_lo:[0,0,1] neg_hi:[0,0,1]
	v_pk_fma_f32 v[2:3], v[2:3], v[100:101], v[20:21] op_sel:[0,0,1] op_sel_hi:[1,0,0]
	v_pk_add_f32 v[18:19], v[18:19], v[102:103]
	v_mov_b32_e32 v23, v3
	v_pk_add_f32 v[2:3], v[18:19], v[22:23]
	v_mov_b32_e32 v18, v99
	v_pk_mul_f32 v[18:19], v[4:5], v[18:19] op_sel_hi:[1,0]
	v_pk_fma_f32 v[20:21], v[4:5], v[98:99], v[18:19] op_sel:[0,0,1] op_sel_hi:[1,1,0] neg_lo:[0,0,1] neg_hi:[0,0,1]
	v_pk_fma_f32 v[4:5], v[4:5], v[98:99], v[18:19] op_sel:[0,0,1] op_sel_hi:[1,0,0]
	v_mov_b32_e32 v4, v97
	v_mov_b32_e32 v21, v5
	s_waitcnt lgkmcnt(2)
	v_pk_mul_f32 v[4:5], v[6:7], v[4:5] op_sel_hi:[1,0]
	v_pk_fma_f32 v[18:19], v[6:7], v[96:97], v[4:5] op_sel:[0,0,1] op_sel_hi:[1,1,0] neg_lo:[0,0,1] neg_hi:[0,0,1]
	v_pk_fma_f32 v[4:5], v[6:7], v[96:97], v[4:5] op_sel:[0,0,1] op_sel_hi:[1,0,0]
	s_waitcnt vmcnt(3)
	v_mov_b32_e32 v4, v111
	v_mov_b32_e32 v19, v5
	v_pk_mul_f32 v[4:5], v[8:9], v[4:5] op_sel_hi:[1,0]
	s_waitcnt vmcnt(2)
	v_pk_fma_f32 v[6:7], v[8:9], v[110:111], v[4:5] op_sel:[0,0,1] op_sel_hi:[1,1,0] neg_lo:[0,0,1] neg_hi:[0,0,1]
	v_pk_fma_f32 v[4:5], v[8:9], v[110:111], v[4:5] op_sel:[0,0,1] op_sel_hi:[1,0,0]
	v_pk_add_f32 v[2:3], v[2:3], v[20:21]
	v_mov_b32_e32 v4, v109
	v_pk_add_f32 v[2:3], v[2:3], v[18:19]
	v_mov_b32_e32 v7, v5
	s_waitcnt lgkmcnt(1)
	v_pk_mul_f32 v[4:5], v[10:11], v[4:5] op_sel_hi:[1,0]
	v_pk_add_f32 v[2:3], v[2:3], v[6:7]
	v_pk_fma_f32 v[6:7], v[10:11], v[108:109], v[4:5] op_sel:[0,0,1] op_sel_hi:[1,1,0] neg_lo:[0,0,1] neg_hi:[0,0,1]
	v_pk_fma_f32 v[4:5], v[10:11], v[108:109], v[4:5] op_sel:[0,0,1] op_sel_hi:[1,0,0]
	v_mov_b32_e32 v4, v107
	v_mov_b32_e32 v7, v5
	v_pk_mul_f32 v[4:5], v[12:13], v[4:5] op_sel_hi:[1,0]
	v_pk_add_f32 v[2:3], v[2:3], v[6:7]
	v_pk_fma_f32 v[6:7], v[12:13], v[106:107], v[4:5] op_sel:[0,0,1] op_sel_hi:[1,1,0] neg_lo:[0,0,1] neg_hi:[0,0,1]
	v_pk_fma_f32 v[4:5], v[12:13], v[106:107], v[4:5] op_sel:[0,0,1] op_sel_hi:[1,0,0]
	v_mov_b32_e32 v4, v105
	v_mov_b32_e32 v7, v5
	s_waitcnt lgkmcnt(0)
	v_pk_mul_f32 v[4:5], v[14:15], v[4:5] op_sel_hi:[1,0]
	v_pk_add_f32 v[2:3], v[2:3], v[6:7]
	v_pk_fma_f32 v[6:7], v[14:15], v[104:105], v[4:5] op_sel:[0,0,1] op_sel_hi:[1,1,0] neg_lo:[0,0,1] neg_hi:[0,0,1]
	v_pk_fma_f32 v[4:5], v[14:15], v[104:105], v[4:5] op_sel:[0,0,1] op_sel_hi:[1,0,0]
	s_waitcnt vmcnt(1)
	v_mov_b32_e32 v4, v113
	v_mov_b32_e32 v7, v5
	v_pk_mul_f32 v[4:5], v[16:17], v[4:5] op_sel_hi:[1,0]
	v_pk_add_f32 v[2:3], v[2:3], v[6:7]
	s_waitcnt vmcnt(0)
	v_pk_fma_f32 v[6:7], v[16:17], v[112:113], v[4:5] op_sel:[0,0,1] op_sel_hi:[1,1,0] neg_lo:[0,0,1] neg_hi:[0,0,1]
	v_pk_fma_f32 v[4:5], v[16:17], v[112:113], v[4:5] op_sel:[0,0,1] op_sel_hi:[1,0,0]
	v_mov_b32_e32 v7, v5
	v_pk_add_f32 v[2:3], v[2:3], v[6:7]
	v_pk_add_f32 v[2:3], v[34:35], v[2:3] neg_lo:[0,1] neg_hi:[0,1]
	buffer_store_dword v3, off, s[0:3], 0 offset:68
	buffer_store_dword v2, off, s[0:3], 0 offset:64
	s_and_saveexec_b64 s[4:5], vcc
	s_cbranch_execz .LBB120_341
; %bb.340:
	buffer_load_dword v2, off, s[0:3], 0 offset:56
	buffer_load_dword v3, off, s[0:3], 0 offset:60
	v_mov_b32_e32 v1, 0
	buffer_store_dword v1, off, s[0:3], 0 offset:56
	buffer_store_dword v1, off, s[0:3], 0 offset:60
	s_waitcnt vmcnt(2)
	ds_write_b64 v165, v[2:3]
.LBB120_341:
	s_or_b64 exec, exec, s[4:5]
	v_mov_b32_e32 v224, 0
	s_waitcnt lgkmcnt(0)
	; wave barrier
	s_waitcnt lgkmcnt(0)
	ds_read_b128 v[2:5], v224 offset:528
	buffer_load_dword v86, off, s[0:3], 0 offset:56
	buffer_load_dword v87, off, s[0:3], 0 offset:60
	buffer_load_dword v88, off, s[0:3], 0 offset:64
	buffer_load_dword v225, off, s[0:3], 0 offset:68
	buffer_load_dword v90, off, s[0:3], 0 offset:72
	buffer_load_dword v227, off, s[0:3], 0 offset:76
	buffer_load_dword v208, off, s[0:3], 0 offset:80
	buffer_load_dword v229, off, s[0:3], 0 offset:84
	buffer_load_dword v226, off, s[0:3], 0 offset:88
	buffer_load_dword v231, off, s[0:3], 0 offset:92
	buffer_load_dword v228, off, s[0:3], 0 offset:96
	buffer_load_dword v233, off, s[0:3], 0 offset:100
	buffer_load_dword v230, off, s[0:3], 0 offset:104
	buffer_load_dword v234, off, s[0:3], 0 offset:108
	buffer_load_dword v232, off, s[0:3], 0 offset:112
	buffer_load_dword v235, off, s[0:3], 0 offset:116
	v_cmp_lt_u32_e32 vcc, 6, v0
	s_waitcnt vmcnt(12) lgkmcnt(0)
	v_mul_f32_e32 v1, v2, v225
	v_fmac_f32_e32 v1, v3, v88
	s_waitcnt vmcnt(10)
	v_mul_f32_e32 v6, v4, v227
	v_add_f32_e32 v1, 0, v1
	v_fmac_f32_e32 v6, v5, v90
	v_add_f32_e32 v1, v1, v6
	ds_read_b128 v[6:9], v224 offset:544
	v_mul_f32_e32 v3, v3, v225
	v_fma_f32 v2, v2, v88, -v3
	v_mul_f32_e32 v3, v5, v227
	v_add_f32_e32 v2, 0, v2
	s_waitcnt vmcnt(8) lgkmcnt(0)
	v_mul_f32_e32 v10, v6, v229
	v_fmac_f32_e32 v10, v7, v208
	v_add_f32_e32 v1, v1, v10
	s_waitcnt vmcnt(6)
	v_mul_f32_e32 v10, v8, v231
	v_fmac_f32_e32 v10, v9, v226
	v_add_f32_e32 v1, v1, v10
	ds_read_b128 v[10:13], v224 offset:560
	v_fma_f32 v3, v4, v90, -v3
	v_add_f32_e32 v2, v2, v3
	v_mul_f32_e32 v3, v7, v229
	v_fma_f32 v3, v6, v208, -v3
	s_waitcnt vmcnt(4) lgkmcnt(0)
	v_mul_f32_e32 v14, v10, v233
	v_fmac_f32_e32 v14, v11, v228
	v_add_f32_e32 v1, v1, v14
	s_waitcnt vmcnt(2)
	v_mul_f32_e32 v14, v12, v234
	v_fmac_f32_e32 v14, v13, v230
	v_add_f32_e32 v1, v1, v14
	ds_read_b128 v[14:17], v224 offset:576
	v_add_f32_e32 v2, v2, v3
	v_mul_f32_e32 v3, v9, v231
	v_fma_f32 v3, v8, v226, -v3
	v_add_f32_e32 v2, v2, v3
	s_waitcnt vmcnt(0) lgkmcnt(0)
	v_mul_f32_e32 v18, v14, v235
	v_fmac_f32_e32 v18, v15, v232
	v_add_f32_e32 v18, v1, v18
	buffer_load_dword v236, off, s[0:3], 0 offset:120
	buffer_load_dword v1, off, s[0:3], 0 offset:124
	v_mul_f32_e32 v3, v11, v233
	v_fma_f32 v3, v10, v228, -v3
	v_add_f32_e32 v2, v2, v3
	v_mul_f32_e32 v3, v13, v234
	v_fma_f32 v3, v12, v230, -v3
	v_add_f32_e32 v2, v2, v3
	;; [unrolled: 3-line block ×3, first 2 shown]
	s_waitcnt vmcnt(0)
	v_mul_f32_e32 v19, v16, v1
	v_fmac_f32_e32 v19, v17, v236
	v_add_f32_e32 v22, v18, v19
	ds_read_b128 v[18:21], v224 offset:592
	buffer_load_dword v237, off, s[0:3], 0 offset:128
	buffer_load_dword v94, off, s[0:3], 0 offset:132
	;; [unrolled: 1-line block ×4, first 2 shown]
	v_mul_f32_e32 v1, v17, v1
	v_fma_f32 v1, v16, v236, -v1
	v_add_f32_e32 v1, v2, v1
	s_waitcnt vmcnt(2) lgkmcnt(0)
	v_mul_f32_e32 v23, v18, v94
	v_fmac_f32_e32 v23, v19, v237
	v_add_f32_e32 v22, v22, v23
	s_waitcnt vmcnt(0)
	v_mul_f32_e32 v23, v20, v96
	v_fmac_f32_e32 v23, v21, v95
	v_add_f32_e32 v26, v22, v23
	ds_read_b128 v[22:25], v224 offset:608
	buffer_load_dword v97, off, s[0:3], 0 offset:144
	buffer_load_dword v238, off, s[0:3], 0 offset:148
	;; [unrolled: 1-line block ×4, first 2 shown]
	v_mul_f32_e32 v2, v19, v94
	v_fma_f32 v2, v18, v237, -v2
	v_add_f32_e32 v1, v1, v2
	v_mul_f32_e32 v2, v21, v96
	v_fma_f32 v2, v20, v95, -v2
	v_add_f32_e32 v1, v1, v2
	s_waitcnt vmcnt(2) lgkmcnt(0)
	v_mul_f32_e32 v27, v22, v238
	v_fmac_f32_e32 v27, v23, v97
	v_add_f32_e32 v26, v26, v27
	s_waitcnt vmcnt(0)
	v_mul_f32_e32 v27, v24, v98
	v_fmac_f32_e32 v27, v25, v239
	v_add_f32_e32 v30, v26, v27
	ds_read_b128 v[26:29], v224 offset:624
	buffer_load_dword v99, off, s[0:3], 0 offset:160
	buffer_load_dword v100, off, s[0:3], 0 offset:164
	;; [unrolled: 1-line block ×4, first 2 shown]
	v_mul_f32_e32 v2, v23, v238
	v_fma_f32 v2, v22, v97, -v2
	v_add_f32_e32 v1, v1, v2
	v_mul_f32_e32 v2, v25, v98
	v_fma_f32 v2, v24, v239, -v2
	v_add_f32_e32 v1, v1, v2
	s_waitcnt vmcnt(2) lgkmcnt(0)
	v_mul_f32_e32 v31, v26, v100
	v_fmac_f32_e32 v31, v27, v99
	v_add_f32_e32 v30, v30, v31
	s_waitcnt vmcnt(0)
	v_mul_f32_e32 v31, v28, v102
	v_fmac_f32_e32 v31, v29, v101
	v_add_f32_e32 v34, v30, v31
	ds_read_b128 v[30:33], v224 offset:640
	buffer_load_dword v103, off, s[0:3], 0 offset:176
	buffer_load_dword v104, off, s[0:3], 0 offset:180
	buffer_load_dword v105, off, s[0:3], 0 offset:184
	buffer_load_dword v106, off, s[0:3], 0 offset:188
	ds_read_b128 v[38:41], v224 offset:656
	buffer_load_dword v107, off, s[0:3], 0 offset:192
	buffer_load_dword v108, off, s[0:3], 0 offset:196
	buffer_load_dword v109, off, s[0:3], 0 offset:200
	buffer_load_dword v110, off, s[0:3], 0 offset:204
	;; [unrolled: 5-line block ×13, first 2 shown]
	v_mul_f32_e32 v2, v27, v100
	v_fma_f32 v2, v26, v99, -v2
	v_add_f32_e32 v1, v1, v2
	v_mul_f32_e32 v2, v29, v102
	v_fma_f32 v2, v28, v101, -v2
	v_add_f32_e32 v1, v1, v2
	s_waitcnt vmcnt(50) lgkmcnt(12)
	v_mul_f32_e32 v35, v30, v104
	v_fmac_f32_e32 v35, v31, v103
	v_add_f32_e32 v34, v34, v35
	s_waitcnt vmcnt(48)
	v_mul_f32_e32 v35, v32, v106
	v_fmac_f32_e32 v35, v33, v105
	v_add_f32_e32 v34, v34, v35
	s_waitcnt vmcnt(46) lgkmcnt(11)
	v_mul_f32_e32 v35, v38, v108
	v_fmac_f32_e32 v35, v39, v107
	v_add_f32_e32 v34, v34, v35
	s_waitcnt vmcnt(44)
	v_mul_f32_e32 v35, v40, v110
	v_fmac_f32_e32 v35, v41, v109
	;; [unrolled: 8-line block ×12, first 2 shown]
	v_add_f32_e32 v34, v34, v35
	s_waitcnt vmcnt(2) lgkmcnt(0)
	v_mul_f32_e32 v35, v82, v145
	v_fmac_f32_e32 v35, v83, v144
	v_add_f32_e32 v89, v34, v35
	ds_read_b128 v[34:37], v224 offset:848
	buffer_load_dword v249, off, s[0:3], 0 offset:384
	buffer_load_dword v250, off, s[0:3], 0 offset:388
	;; [unrolled: 1-line block ×18, first 2 shown]
	v_mul_f32_e32 v2, v31, v104
	v_fma_f32 v2, v30, v103, -v2
	v_add_f32_e32 v1, v1, v2
	v_mul_f32_e32 v2, v33, v106
	v_fma_f32 v2, v32, v105, -v2
	v_add_f32_e32 v1, v1, v2
	;; [unrolled: 3-line block ×24, first 2 shown]
	v_mul_f32_e32 v2, v83, v145
	v_fma_f32 v2, v82, v144, -v2
	s_waitcnt vmcnt(15)
	v_mov_b32_e32 v18, v93
	v_mul_f32_e32 v91, v84, v248
	v_add_f32_e32 v88, v1, v2
	v_mul_f32_e32 v1, v85, v248
	s_waitcnt lgkmcnt(0)
	v_pk_mul_f32 v[18:19], v[36:37], v[18:19] op_sel_hi:[1,0]
	v_fmac_f32_e32 v91, v85, v247
	v_mul_f32_e32 v209, v34, v250
	v_fma_f32 v90, v84, v247, -v1
	v_mul_f32_e32 v1, v35, v250
	ds_read_b128 v[2:5], v224 offset:864
	ds_read_b128 v[6:9], v224 offset:880
	;; [unrolled: 1-line block ×3, first 2 shown]
	ds_read_b64 v[14:15], v224 offset:912
	s_waitcnt vmcnt(14)
	v_pk_fma_f32 v[20:21], v[36:37], v[92:93], v[18:19] op_sel:[0,0,1] op_sel_hi:[1,1,0] neg_lo:[0,0,1] neg_hi:[0,0,1]
	v_pk_fma_f32 v[18:19], v[36:37], v[92:93], v[18:19] op_sel:[0,0,1] op_sel_hi:[1,0,0]
	v_fmac_f32_e32 v209, v35, v249
	v_fma_f32 v208, v34, v249, -v1
	v_pk_add_f32 v[16:17], v[88:89], v[90:91]
	s_waitcnt vmcnt(13)
	v_mov_b32_e32 v18, v223
	v_pk_add_f32 v[16:17], v[16:17], v[208:209]
	v_mov_b32_e32 v21, v19
	s_waitcnt lgkmcnt(3)
	v_pk_mul_f32 v[18:19], v[2:3], v[18:19] op_sel_hi:[1,0]
	v_pk_add_f32 v[16:17], v[16:17], v[20:21]
	s_waitcnt vmcnt(12)
	v_pk_fma_f32 v[20:21], v[2:3], v[222:223], v[18:19] op_sel:[0,0,1] op_sel_hi:[1,1,0] neg_lo:[0,0,1] neg_hi:[0,0,1]
	v_pk_fma_f32 v[2:3], v[2:3], v[222:223], v[18:19] op_sel:[0,0,1] op_sel_hi:[1,0,0]
	v_mov_b32_e32 v21, v3
	v_pk_add_f32 v[2:3], v[16:17], v[20:21]
	s_waitcnt vmcnt(11)
	v_mov_b32_e32 v16, v221
	v_pk_mul_f32 v[16:17], v[4:5], v[16:17] op_sel_hi:[1,0]
	s_waitcnt vmcnt(10)
	v_pk_fma_f32 v[18:19], v[4:5], v[220:221], v[16:17] op_sel:[0,0,1] op_sel_hi:[1,1,0] neg_lo:[0,0,1] neg_hi:[0,0,1]
	v_pk_fma_f32 v[4:5], v[4:5], v[220:221], v[16:17] op_sel:[0,0,1] op_sel_hi:[1,0,0]
	s_waitcnt vmcnt(9)
	v_mov_b32_e32 v4, v219
	v_mov_b32_e32 v19, v5
	s_waitcnt lgkmcnt(2)
	v_pk_mul_f32 v[4:5], v[6:7], v[4:5] op_sel_hi:[1,0]
	s_waitcnt vmcnt(8)
	v_pk_fma_f32 v[16:17], v[6:7], v[218:219], v[4:5] op_sel:[0,0,1] op_sel_hi:[1,1,0] neg_lo:[0,0,1] neg_hi:[0,0,1]
	v_pk_fma_f32 v[4:5], v[6:7], v[218:219], v[4:5] op_sel:[0,0,1] op_sel_hi:[1,0,0]
	s_waitcnt vmcnt(7)
	v_mov_b32_e32 v4, v217
	v_mov_b32_e32 v17, v5
	v_pk_mul_f32 v[4:5], v[8:9], v[4:5] op_sel_hi:[1,0]
	s_waitcnt vmcnt(6)
	v_pk_fma_f32 v[6:7], v[8:9], v[216:217], v[4:5] op_sel:[0,0,1] op_sel_hi:[1,1,0] neg_lo:[0,0,1] neg_hi:[0,0,1]
	v_pk_fma_f32 v[4:5], v[8:9], v[216:217], v[4:5] op_sel:[0,0,1] op_sel_hi:[1,0,0]
	v_pk_add_f32 v[2:3], v[2:3], v[18:19]
	s_waitcnt vmcnt(5)
	v_mov_b32_e32 v4, v215
	v_pk_add_f32 v[2:3], v[2:3], v[16:17]
	v_mov_b32_e32 v7, v5
	s_waitcnt lgkmcnt(1)
	v_pk_mul_f32 v[4:5], v[10:11], v[4:5] op_sel_hi:[1,0]
	v_pk_add_f32 v[2:3], v[2:3], v[6:7]
	s_waitcnt vmcnt(4)
	v_pk_fma_f32 v[6:7], v[10:11], v[214:215], v[4:5] op_sel:[0,0,1] op_sel_hi:[1,1,0] neg_lo:[0,0,1] neg_hi:[0,0,1]
	v_pk_fma_f32 v[4:5], v[10:11], v[214:215], v[4:5] op_sel:[0,0,1] op_sel_hi:[1,0,0]
	s_waitcnt vmcnt(3)
	v_mov_b32_e32 v4, v213
	v_mov_b32_e32 v7, v5
	v_pk_mul_f32 v[4:5], v[12:13], v[4:5] op_sel_hi:[1,0]
	v_pk_add_f32 v[2:3], v[2:3], v[6:7]
	s_waitcnt vmcnt(2)
	v_pk_fma_f32 v[6:7], v[12:13], v[212:213], v[4:5] op_sel:[0,0,1] op_sel_hi:[1,1,0] neg_lo:[0,0,1] neg_hi:[0,0,1]
	v_pk_fma_f32 v[4:5], v[12:13], v[212:213], v[4:5] op_sel:[0,0,1] op_sel_hi:[1,0,0]
	s_waitcnt vmcnt(1)
	v_mov_b32_e32 v4, v211
	v_mov_b32_e32 v7, v5
	s_waitcnt lgkmcnt(0)
	v_pk_mul_f32 v[4:5], v[14:15], v[4:5] op_sel_hi:[1,0]
	v_pk_add_f32 v[2:3], v[2:3], v[6:7]
	s_waitcnt vmcnt(0)
	v_pk_fma_f32 v[6:7], v[14:15], v[210:211], v[4:5] op_sel:[0,0,1] op_sel_hi:[1,1,0] neg_lo:[0,0,1] neg_hi:[0,0,1]
	v_pk_fma_f32 v[4:5], v[14:15], v[210:211], v[4:5] op_sel:[0,0,1] op_sel_hi:[1,0,0]
	v_mov_b32_e32 v7, v5
	v_pk_add_f32 v[2:3], v[2:3], v[6:7]
	v_pk_add_f32 v[2:3], v[86:87], v[2:3] neg_lo:[0,1] neg_hi:[0,1]
	buffer_store_dword v3, off, s[0:3], 0 offset:60
	buffer_store_dword v2, off, s[0:3], 0 offset:56
	s_and_saveexec_b64 s[4:5], vcc
	s_cbranch_execz .LBB120_343
; %bb.342:
	buffer_load_dword v2, off, s[0:3], 0 offset:48
	buffer_load_dword v3, off, s[0:3], 0 offset:52
	s_waitcnt vmcnt(0)
	ds_write_b64 v165, v[2:3]
	buffer_store_dword v224, off, s[0:3], 0 offset:48
	buffer_store_dword v224, off, s[0:3], 0 offset:52
.LBB120_343:
	s_or_b64 exec, exec, s[4:5]
	s_waitcnt lgkmcnt(0)
	; wave barrier
	s_waitcnt lgkmcnt(0)
	buffer_load_dword v40, off, s[0:3], 0 offset:60
	buffer_load_dword v39, off, s[0:3], 0 offset:68
	;; [unrolled: 1-line block ×32, first 2 shown]
	ds_read2_b64 v[22:25], v224 offset0:65 offset1:66
	ds_read2_b64 v[18:21], v224 offset0:67 offset1:68
	ds_read2_b64 v[14:17], v224 offset0:69 offset1:70
	ds_read2_b64 v[10:13], v224 offset0:71 offset1:72
	ds_read2_b64 v[6:9], v224 offset0:73 offset1:74
	ds_read2_b64 v[2:5], v224 offset0:75 offset1:76
	buffer_load_dword v140, off, s[0:3], 0 offset:176
	buffer_load_dword v141, off, s[0:3], 0 offset:180
	;; [unrolled: 1-line block ×20, first 2 shown]
	v_cmp_lt_u32_e32 vcc, 5, v0
	s_waitcnt vmcnt(51) lgkmcnt(5)
	v_mul_f32_e32 v26, v22, v40
	s_waitcnt vmcnt(50)
	v_mul_f32_e32 v27, v24, v39
	s_waitcnt vmcnt(49) lgkmcnt(4)
	v_mul_f32_e32 v29, v20, v38
	s_waitcnt vmcnt(48) lgkmcnt(3)
	v_mul_f32_e32 v30, v14, v37
	s_waitcnt vmcnt(47)
	v_mul_f32_e32 v31, v16, v36
	s_waitcnt vmcnt(46) lgkmcnt(2)
	v_mul_f32_e32 v32, v10, v1
	s_waitcnt vmcnt(45)
	v_mul_f32_e32 v28, v18, v41
	s_waitcnt vmcnt(44)
	v_mul_f32_e32 v33, v12, v42
	s_waitcnt vmcnt(43) lgkmcnt(1)
	v_mul_f32_e32 v47, v6, v43
	s_waitcnt vmcnt(42)
	v_mul_f32_e32 v48, v8, v44
	s_waitcnt vmcnt(41) lgkmcnt(0)
	v_mul_f32_e32 v49, v2, v45
	s_waitcnt vmcnt(40)
	v_mul_f32_e32 v50, v4, v46
	s_waitcnt vmcnt(39)
	v_fmac_f32_e32 v28, v19, v106
	s_waitcnt vmcnt(38)
	v_fmac_f32_e32 v27, v25, v108
	;; [unrolled: 2-line block ×3, first 2 shown]
	v_add_f32_e32 v26, 0, v26
	v_add_f32_e32 v26, v26, v27
	;; [unrolled: 1-line block ×3, first 2 shown]
	s_waitcnt vmcnt(33)
	v_fmac_f32_e32 v29, v21, v128
	v_fmac_f32_e32 v30, v15, v127
	v_add_f32_e32 v26, v26, v29
	v_fmac_f32_e32 v31, v17, v126
	v_add_f32_e32 v26, v26, v30
	;; [unrolled: 2-line block ×3, first 2 shown]
	s_waitcnt vmcnt(29)
	v_fmac_f32_e32 v33, v13, v132
	v_add_f32_e32 v26, v26, v32
	v_fmac_f32_e32 v47, v7, v131
	v_add_f32_e32 v26, v26, v33
	v_fmac_f32_e32 v48, v9, v130
	v_add_f32_e32 v26, v26, v47
	v_fmac_f32_e32 v49, v3, v129
	v_add_f32_e32 v26, v26, v48
	v_add_f32_e32 v30, v26, v49
	ds_read2_b64 v[26:29], v224 offset0:77 offset1:78
	buffer_load_dword v222, off, s[0:3], 0 offset:256
	buffer_load_dword v223, off, s[0:3], 0 offset:260
	;; [unrolled: 1-line block ×4, first 2 shown]
	s_waitcnt vmcnt(28)
	v_fmac_f32_e32 v50, v5, v137
	v_add_f32_e32 v47, v30, v50
	ds_read2_b64 v[30:33], v224 offset0:79 offset1:80
	buffer_load_dword v227, off, s[0:3], 0 offset:272
	buffer_load_dword v228, off, s[0:3], 0 offset:276
	;; [unrolled: 1-line block ×12, first 2 shown]
	s_waitcnt vmcnt(39) lgkmcnt(1)
	v_mul_f32_e32 v48, v26, v138
	v_fmac_f32_e32 v48, v27, v136
	buffer_load_dword v239, off, s[0:3], 0 offset:320
	buffer_load_dword v240, off, s[0:3], 0 offset:324
	v_add_f32_e32 v47, v47, v48
	s_waitcnt vmcnt(40)
	v_mul_f32_e32 v48, v28, v139
	v_fmac_f32_e32 v48, v29, v135
	buffer_load_dword v241, off, s[0:3], 0 offset:328
	buffer_load_dword v242, off, s[0:3], 0 offset:332
	v_add_f32_e32 v47, v47, v48
	s_waitcnt lgkmcnt(0)
	v_mul_f32_e32 v48, v30, v134
	v_fmac_f32_e32 v48, v31, v133
	v_add_f32_e32 v47, v47, v48
	ds_read2_b64 v[48:51], v224 offset0:81 offset1:82
	buffer_load_dword v243, off, s[0:3], 0 offset:336
	buffer_load_dword v244, off, s[0:3], 0 offset:340
	s_waitcnt vmcnt(40)
	v_mul_f32_e32 v52, v32, v141
	v_fmac_f32_e32 v52, v33, v140
	v_add_f32_e32 v47, v47, v52
	ds_read2_b64 v[52:55], v224 offset0:83 offset1:84
	buffer_load_dword v245, off, s[0:3], 0 offset:344
	buffer_load_dword v246, off, s[0:3], 0 offset:348
	;; [unrolled: 1-line block ×8, first 2 shown]
	s_waitcnt vmcnt(46) lgkmcnt(1)
	v_mul_f32_e32 v56, v48, v143
	v_fmac_f32_e32 v56, v49, v142
	v_add_f32_e32 v47, v47, v56
	s_waitcnt vmcnt(44)
	v_mul_f32_e32 v56, v50, v145
	v_fmac_f32_e32 v56, v51, v144
	v_add_f32_e32 v47, v47, v56
	s_waitcnt vmcnt(42) lgkmcnt(0)
	v_mul_f32_e32 v56, v52, v209
	v_fmac_f32_e32 v56, v53, v208
	v_add_f32_e32 v47, v47, v56
	buffer_load_dword v253, off, s[0:3], 0 offset:376
	buffer_load_dword v254, off, s[0:3], 0 offset:380
	;; [unrolled: 1-line block ×4, first 2 shown]
	ds_read2_b64 v[56:59], v224 offset0:85 offset1:86
	s_waitcnt vmcnt(44)
	v_mul_f32_e32 v60, v54, v211
	v_fmac_f32_e32 v60, v55, v210
	v_add_f32_e32 v47, v47, v60
	ds_read2_b64 v[60:63], v224 offset0:87 offset1:88
	s_waitcnt vmcnt(42) lgkmcnt(1)
	v_mul_f32_e32 v64, v56, v213
	v_fmac_f32_e32 v64, v57, v212
	v_add_f32_e32 v47, v47, v64
	s_waitcnt vmcnt(40)
	v_mul_f32_e32 v64, v58, v215
	v_fmac_f32_e32 v64, v59, v214
	v_add_f32_e32 v47, v47, v64
	s_waitcnt vmcnt(38) lgkmcnt(0)
	v_mul_f32_e32 v64, v60, v217
	v_fmac_f32_e32 v64, v61, v216
	v_add_f32_e32 v47, v47, v64
	ds_read2_b64 v[64:67], v224 offset0:89 offset1:90
	s_waitcnt vmcnt(36)
	v_mul_f32_e32 v68, v62, v219
	v_fmac_f32_e32 v68, v63, v218
	v_add_f32_e32 v47, v47, v68
	ds_read2_b64 v[68:71], v224 offset0:91 offset1:92
	s_waitcnt vmcnt(34) lgkmcnt(1)
	v_mul_f32_e32 v72, v64, v221
	v_fmac_f32_e32 v72, v65, v220
	v_add_f32_e32 v47, v47, v72
	v_mul_f32_e32 v23, v23, v40
	v_fma_f32 v22, v22, v124, -v23
	v_mul_f32_e32 v23, v25, v39
	v_add_f32_e32 v22, 0, v22
	v_fma_f32 v23, v24, v108, -v23
	v_mul_f32_e32 v19, v19, v41
	v_add_f32_e32 v22, v22, v23
	;; [unrolled: 3-line block ×5, first 2 shown]
	s_waitcnt vmcnt(32)
	v_mul_f32_e32 v72, v66, v223
	v_fmac_f32_e32 v72, v67, v222
	v_add_f32_e32 v47, v47, v72
	s_waitcnt vmcnt(30) lgkmcnt(0)
	v_mul_f32_e32 v72, v68, v226
	v_fmac_f32_e32 v72, v69, v225
	v_add_f32_e32 v47, v47, v72
	ds_read2_b64 v[72:75], v224 offset0:93 offset1:94
	s_waitcnt vmcnt(28)
	v_mul_f32_e32 v76, v70, v228
	v_fmac_f32_e32 v76, v71, v227
	v_add_f32_e32 v47, v47, v76
	ds_read2_b64 v[76:79], v224 offset0:95 offset1:96
	s_waitcnt vmcnt(26) lgkmcnt(1)
	v_mul_f32_e32 v80, v72, v230
	v_fmac_f32_e32 v80, v73, v229
	v_add_f32_e32 v47, v47, v80
	s_waitcnt vmcnt(24)
	v_mul_f32_e32 v80, v74, v232
	v_fmac_f32_e32 v80, v75, v231
	v_add_f32_e32 v47, v47, v80
	s_waitcnt vmcnt(22) lgkmcnt(0)
	v_mul_f32_e32 v80, v76, v234
	v_fmac_f32_e32 v80, v77, v233
	v_add_f32_e32 v47, v47, v80
	ds_read2_b64 v[80:83], v224 offset0:97 offset1:98
	s_waitcnt vmcnt(20)
	v_mul_f32_e32 v84, v78, v236
	v_fmac_f32_e32 v84, v79, v235
	v_add_f32_e32 v47, v47, v84
	ds_read2_b64 v[84:87], v224 offset0:99 offset1:100
	s_waitcnt vmcnt(18) lgkmcnt(1)
	v_mul_f32_e32 v88, v80, v238
	v_fmac_f32_e32 v88, v81, v237
	v_add_f32_e32 v47, v47, v88
	s_waitcnt vmcnt(16)
	v_mul_f32_e32 v88, v82, v240
	v_fmac_f32_e32 v88, v83, v239
	v_add_f32_e32 v47, v47, v88
	s_waitcnt vmcnt(14) lgkmcnt(0)
	v_mul_f32_e32 v88, v84, v242
	v_fmac_f32_e32 v88, v85, v241
	v_add_f32_e32 v47, v47, v88
	ds_read2_b64 v[88:91], v224 offset0:101 offset1:102
	s_waitcnt vmcnt(12)
	v_mul_f32_e32 v92, v86, v244
	v_fmac_f32_e32 v92, v87, v243
	v_add_f32_e32 v47, v47, v92
	ds_read2_b64 v[92:95], v224 offset0:103 offset1:104
	buffer_load_dword v105, off, s[0:3], 0 offset:396
	buffer_load_dword v104, off, s[0:3], 0 offset:392
	s_waitcnt vmcnt(12) lgkmcnt(1)
	v_mul_f32_e32 v96, v88, v246
	v_fmac_f32_e32 v96, v89, v245
	v_add_f32_e32 v47, v47, v96
	s_waitcnt vmcnt(10)
	v_mul_f32_e32 v96, v90, v248
	v_fmac_f32_e32 v96, v91, v247
	v_add_f32_e32 v47, v47, v96
	s_waitcnt vmcnt(8) lgkmcnt(0)
	v_mul_f32_e32 v96, v92, v250
	v_fmac_f32_e32 v96, v93, v249
	s_waitcnt vmcnt(6)
	v_mul_f32_e32 v100, v94, v252
	v_add_f32_e32 v47, v47, v96
	v_fmac_f32_e32 v100, v95, v251
	ds_read2_b64 v[96:99], v224 offset0:105 offset1:106
	v_add_f32_e32 v47, v47, v100
	ds_read2_b64 v[100:103], v224 offset0:107 offset1:108
	buffer_load_dword v111, off, s[0:3], 0 offset:428
	buffer_load_dword v110, off, s[0:3], 0 offset:424
	;; [unrolled: 1-line block ×14, first 2 shown]
	v_fma_f32 v15, v16, v126, -v15
	v_mul_f32_e32 v1, v11, v1
	v_add_f32_e32 v14, v14, v15
	v_fma_f32 v1, v10, v125, -v1
	v_mul_f32_e32 v10, v13, v42
	v_add_f32_e32 v1, v14, v1
	;; [unrolled: 3-line block ×3, first 2 shown]
	v_fma_f32 v6, v6, v131, -v7
	v_add_f32_e32 v1, v1, v6
	v_mul_f32_e32 v6, v9, v44
	v_fma_f32 v6, v8, v130, -v6
	v_mul_f32_e32 v3, v3, v45
	v_add_f32_e32 v1, v1, v6
	v_fma_f32 v2, v2, v129, -v3
	v_add_f32_e32 v1, v1, v2
	v_mul_f32_e32 v2, v5, v46
	v_fma_f32 v2, v4, v137, -v2
	v_add_f32_e32 v1, v1, v2
	v_mul_f32_e32 v2, v27, v138
	;; [unrolled: 3-line block ×29, first 2 shown]
	v_fma_f32 v2, v94, v251, -v2
	s_waitcnt vmcnt(15)
	v_mov_b32_e32 v16, v105
	s_waitcnt lgkmcnt(1)
	v_mul_f32_e32 v107, v96, v254
	v_add_f32_e32 v46, v1, v2
	v_mul_f32_e32 v1, v97, v254
	s_waitcnt lgkmcnt(0)
	v_pk_mul_f32 v[16:17], v[100:101], v[16:17] op_sel_hi:[1,0]
	v_fmac_f32_e32 v107, v97, v253
	v_mul_f32_e32 v109, v98, v146
	v_fma_f32 v106, v96, v253, -v1
	v_mul_f32_e32 v1, v99, v146
	s_waitcnt vmcnt(14)
	v_pk_fma_f32 v[18:19], v[100:101], v[104:105], v[16:17] op_sel:[0,0,1] op_sel_hi:[1,1,0] neg_lo:[0,0,1] neg_hi:[0,0,1]
	v_pk_fma_f32 v[16:17], v[100:101], v[104:105], v[16:17] op_sel:[0,0,1] op_sel_hi:[1,0,0]
	v_fmac_f32_e32 v109, v99, v255
	v_fma_f32 v108, v98, v255, -v1
	v_pk_add_f32 v[14:15], v[46:47], v[106:107]
	s_waitcnt vmcnt(7)
	v_mov_b32_e32 v16, v117
	ds_read2_b64 v[2:5], v224 offset0:109 offset1:110
	ds_read2_b64 v[6:9], v224 offset0:111 offset1:112
	;; [unrolled: 1-line block ×3, first 2 shown]
	v_pk_add_f32 v[14:15], v[14:15], v[108:109]
	v_mov_b32_e32 v19, v17
	v_pk_mul_f32 v[16:17], v[102:103], v[16:17] op_sel_hi:[1,0]
	v_pk_add_f32 v[14:15], v[14:15], v[18:19]
	s_waitcnt vmcnt(6)
	v_pk_fma_f32 v[18:19], v[102:103], v[116:117], v[16:17] op_sel:[0,0,1] op_sel_hi:[1,1,0] neg_lo:[0,0,1] neg_hi:[0,0,1]
	v_pk_fma_f32 v[16:17], v[102:103], v[116:117], v[16:17] op_sel:[0,0,1] op_sel_hi:[1,0,0]
	v_mov_b32_e32 v16, v115
	v_mov_b32_e32 v19, v17
	s_waitcnt lgkmcnt(2)
	v_pk_mul_f32 v[16:17], v[2:3], v[16:17] op_sel_hi:[1,0]
	v_pk_add_f32 v[14:15], v[14:15], v[18:19]
	v_pk_fma_f32 v[18:19], v[2:3], v[114:115], v[16:17] op_sel:[0,0,1] op_sel_hi:[1,1,0] neg_lo:[0,0,1] neg_hi:[0,0,1]
	v_pk_fma_f32 v[2:3], v[2:3], v[114:115], v[16:17] op_sel:[0,0,1] op_sel_hi:[1,0,0]
	v_mov_b32_e32 v19, v3
	v_pk_add_f32 v[2:3], v[14:15], v[18:19]
	v_mov_b32_e32 v14, v113
	v_pk_mul_f32 v[14:15], v[4:5], v[14:15] op_sel_hi:[1,0]
	v_pk_fma_f32 v[16:17], v[4:5], v[112:113], v[14:15] op_sel:[0,0,1] op_sel_hi:[1,1,0] neg_lo:[0,0,1] neg_hi:[0,0,1]
	v_pk_fma_f32 v[4:5], v[4:5], v[112:113], v[14:15] op_sel:[0,0,1] op_sel_hi:[1,0,0]
	v_mov_b32_e32 v4, v111
	v_mov_b32_e32 v17, v5
	s_waitcnt lgkmcnt(1)
	v_pk_mul_f32 v[4:5], v[6:7], v[4:5] op_sel_hi:[1,0]
	v_pk_fma_f32 v[14:15], v[6:7], v[110:111], v[4:5] op_sel:[0,0,1] op_sel_hi:[1,1,0] neg_lo:[0,0,1] neg_hi:[0,0,1]
	v_pk_fma_f32 v[4:5], v[6:7], v[110:111], v[4:5] op_sel:[0,0,1] op_sel_hi:[1,0,0]
	s_waitcnt vmcnt(1)
	v_mov_b32_e32 v4, v123
	v_mov_b32_e32 v15, v5
	v_pk_mul_f32 v[4:5], v[8:9], v[4:5] op_sel_hi:[1,0]
	s_waitcnt vmcnt(0)
	v_pk_fma_f32 v[6:7], v[8:9], v[122:123], v[4:5] op_sel:[0,0,1] op_sel_hi:[1,1,0] neg_lo:[0,0,1] neg_hi:[0,0,1]
	v_pk_fma_f32 v[4:5], v[8:9], v[122:123], v[4:5] op_sel:[0,0,1] op_sel_hi:[1,0,0]
	v_pk_add_f32 v[2:3], v[2:3], v[16:17]
	v_mov_b32_e32 v4, v121
	v_pk_add_f32 v[2:3], v[2:3], v[14:15]
	v_mov_b32_e32 v7, v5
	s_waitcnt lgkmcnt(0)
	v_pk_mul_f32 v[4:5], v[10:11], v[4:5] op_sel_hi:[1,0]
	v_pk_add_f32 v[2:3], v[2:3], v[6:7]
	v_pk_fma_f32 v[6:7], v[10:11], v[120:121], v[4:5] op_sel:[0,0,1] op_sel_hi:[1,1,0] neg_lo:[0,0,1] neg_hi:[0,0,1]
	v_pk_fma_f32 v[4:5], v[10:11], v[120:121], v[4:5] op_sel:[0,0,1] op_sel_hi:[1,0,0]
	v_mov_b32_e32 v4, v119
	v_mov_b32_e32 v7, v5
	v_pk_mul_f32 v[4:5], v[12:13], v[4:5] op_sel_hi:[1,0]
	v_pk_add_f32 v[2:3], v[2:3], v[6:7]
	v_pk_fma_f32 v[6:7], v[12:13], v[118:119], v[4:5] op_sel:[0,0,1] op_sel_hi:[1,1,0] neg_lo:[0,0,1] neg_hi:[0,0,1]
	v_pk_fma_f32 v[4:5], v[12:13], v[118:119], v[4:5] op_sel:[0,0,1] op_sel_hi:[1,0,0]
	v_mov_b32_e32 v7, v5
	v_pk_add_f32 v[2:3], v[2:3], v[6:7]
	v_pk_add_f32 v[2:3], v[34:35], v[2:3] neg_lo:[0,1] neg_hi:[0,1]
	buffer_store_dword v3, off, s[0:3], 0 offset:52
	buffer_store_dword v2, off, s[0:3], 0 offset:48
	s_and_saveexec_b64 s[4:5], vcc
	s_cbranch_execz .LBB120_345
; %bb.344:
	buffer_load_dword v2, off, s[0:3], 0 offset:40
	buffer_load_dword v3, off, s[0:3], 0 offset:44
	v_mov_b32_e32 v1, 0
	buffer_store_dword v1, off, s[0:3], 0 offset:40
	buffer_store_dword v1, off, s[0:3], 0 offset:44
	s_waitcnt vmcnt(2)
	ds_write_b64 v165, v[2:3]
.LBB120_345:
	s_or_b64 exec, exec, s[4:5]
	s_waitcnt lgkmcnt(0)
	; wave barrier
	s_waitcnt lgkmcnt(0)
	buffer_load_dword v45, off, s[0:3], 0 offset:52
	buffer_load_dword v43, off, s[0:3], 0 offset:60
	;; [unrolled: 1-line block ×48, first 2 shown]
	v_mov_b32_e32 v44, 0
	ds_read_b128 v[22:25], v44 offset:512
	ds_read_b128 v[18:21], v44 offset:528
	;; [unrolled: 1-line block ×6, first 2 shown]
	buffer_load_dword v217, off, s[0:3], 0 offset:232
	buffer_load_dword v218, off, s[0:3], 0 offset:236
	v_cmp_lt_u32_e32 vcc, 4, v0
	s_waitcnt vmcnt(49) lgkmcnt(5)
	v_mul_f32_e32 v26, v22, v45
	s_waitcnt vmcnt(48)
	v_mul_f32_e32 v27, v24, v43
	s_waitcnt vmcnt(47) lgkmcnt(4)
	v_mul_f32_e32 v29, v20, v42
	s_waitcnt vmcnt(46) lgkmcnt(3)
	v_mul_f32_e32 v30, v14, v41
	s_waitcnt vmcnt(45)
	v_mul_f32_e32 v31, v16, v40
	s_waitcnt vmcnt(44) lgkmcnt(2)
	v_mul_f32_e32 v32, v10, v1
	s_waitcnt vmcnt(43)
	v_mul_f32_e32 v28, v18, v46
	s_waitcnt vmcnt(42)
	v_mul_f32_e32 v33, v12, v47
	s_waitcnt vmcnt(41) lgkmcnt(1)
	v_mul_f32_e32 v34, v6, v48
	s_waitcnt vmcnt(40)
	v_mul_f32_e32 v35, v8, v49
	s_waitcnt vmcnt(39) lgkmcnt(0)
	v_mul_f32_e32 v36, v2, v50
	s_waitcnt vmcnt(38)
	v_mul_f32_e32 v37, v4, v51
	s_waitcnt vmcnt(37)
	v_fmac_f32_e32 v28, v19, v57
	s_waitcnt vmcnt(36)
	v_fmac_f32_e32 v27, v25, v60
	;; [unrolled: 2-line block ×3, first 2 shown]
	v_add_f32_e32 v26, 0, v26
	v_add_f32_e32 v26, v26, v27
	;; [unrolled: 1-line block ×3, first 2 shown]
	s_waitcnt vmcnt(31)
	v_fmac_f32_e32 v29, v21, v62
	v_fmac_f32_e32 v30, v15, v59
	v_add_f32_e32 v26, v26, v29
	v_fmac_f32_e32 v31, v17, v56
	v_add_f32_e32 v26, v26, v30
	;; [unrolled: 2-line block ×3, first 2 shown]
	s_waitcnt vmcnt(27)
	v_fmac_f32_e32 v33, v13, v58
	v_add_f32_e32 v26, v26, v32
	v_fmac_f32_e32 v34, v7, v55
	v_add_f32_e32 v26, v26, v33
	;; [unrolled: 2-line block ×4, first 2 shown]
	s_waitcnt vmcnt(22)
	v_fmac_f32_e32 v37, v5, v138
	v_add_f32_e32 v26, v26, v36
	v_add_f32_e32 v34, v26, v37
	ds_read_b128 v[26:29], v44 offset:608
	buffer_load_dword v219, off, s[0:3], 0 offset:240
	buffer_load_dword v220, off, s[0:3], 0 offset:244
	ds_read_b128 v[30:33], v44 offset:624
	buffer_load_dword v221, off, s[0:3], 0 offset:248
	buffer_load_dword v222, off, s[0:3], 0 offset:252
	;; [unrolled: 1-line block ×12, first 2 shown]
	s_waitcnt vmcnt(35) lgkmcnt(1)
	v_mul_f32_e32 v35, v26, v139
	v_fmac_f32_e32 v35, v27, v137
	buffer_load_dword v233, off, s[0:3], 0 offset:296
	buffer_load_dword v234, off, s[0:3], 0 offset:300
	v_add_f32_e32 v34, v34, v35
	s_waitcnt vmcnt(36)
	v_mul_f32_e32 v35, v28, v140
	v_fmac_f32_e32 v35, v29, v136
	v_add_f32_e32 v34, v34, v35
	s_waitcnt lgkmcnt(0)
	v_mul_f32_e32 v35, v30, v118
	buffer_load_dword v235, off, s[0:3], 0 offset:304
	buffer_load_dword v236, off, s[0:3], 0 offset:308
	v_fmac_f32_e32 v35, v31, v61
	v_add_f32_e32 v63, v34, v35
	ds_read_b128 v[34:37], v44 offset:640
	buffer_load_dword v237, off, s[0:3], 0 offset:312
	buffer_load_dword v238, off, s[0:3], 0 offset:316
	;; [unrolled: 1-line block ×4, first 2 shown]
	s_waitcnt vmcnt(38)
	v_mul_f32_e32 v64, v32, v142
	v_fmac_f32_e32 v64, v33, v141
	v_add_f32_e32 v63, v63, v64
	ds_read_b128 v[64:67], v44 offset:656
	buffer_load_dword v241, off, s[0:3], 0 offset:328
	buffer_load_dword v242, off, s[0:3], 0 offset:332
	;; [unrolled: 1-line block ×10, first 2 shown]
	s_waitcnt vmcnt(46) lgkmcnt(1)
	v_mul_f32_e32 v68, v34, v144
	v_fmac_f32_e32 v68, v35, v143
	v_add_f32_e32 v63, v63, v68
	s_waitcnt vmcnt(44)
	v_mul_f32_e32 v68, v36, v146
	v_fmac_f32_e32 v68, v37, v145
	v_add_f32_e32 v63, v63, v68
	s_waitcnt vmcnt(42) lgkmcnt(0)
	v_mul_f32_e32 v68, v64, v208
	v_fmac_f32_e32 v68, v65, v147
	v_add_f32_e32 v63, v63, v68
	buffer_load_dword v251, off, s[0:3], 0 offset:368
	buffer_load_dword v252, off, s[0:3], 0 offset:372
	buffer_load_dword v253, off, s[0:3], 0 offset:376
	buffer_load_dword v254, off, s[0:3], 0 offset:380
	buffer_load_dword v255, off, s[0:3], 0 offset:384
	buffer_load_dword v148, off, s[0:3], 0 offset:388
	ds_read_b128 v[68:71], v44 offset:672
	s_waitcnt vmcnt(46)
	v_mul_f32_e32 v72, v66, v210
	v_fmac_f32_e32 v72, v67, v209
	v_add_f32_e32 v63, v63, v72
	ds_read_b128 v[72:75], v44 offset:688
	s_waitcnt vmcnt(44) lgkmcnt(1)
	v_mul_f32_e32 v76, v68, v212
	v_fmac_f32_e32 v76, v69, v211
	v_add_f32_e32 v63, v63, v76
	s_waitcnt vmcnt(42)
	v_mul_f32_e32 v76, v70, v214
	v_fmac_f32_e32 v76, v71, v213
	v_add_f32_e32 v63, v63, v76
	s_waitcnt vmcnt(40) lgkmcnt(0)
	v_mul_f32_e32 v76, v72, v216
	v_fmac_f32_e32 v76, v73, v215
	v_add_f32_e32 v63, v63, v76
	ds_read_b128 v[76:79], v44 offset:704
	s_waitcnt vmcnt(38)
	v_mul_f32_e32 v80, v74, v218
	v_fmac_f32_e32 v80, v75, v217
	v_add_f32_e32 v63, v63, v80
	ds_read_b128 v[80:83], v44 offset:720
	v_mul_f32_e32 v23, v23, v45
	v_fma_f32 v22, v22, v116, -v23
	v_mul_f32_e32 v23, v25, v43
	v_add_f32_e32 v22, 0, v22
	v_fma_f32 v23, v24, v60, -v23
	v_mul_f32_e32 v19, v19, v46
	v_add_f32_e32 v22, v22, v23
	;; [unrolled: 3-line block ×6, first 2 shown]
	v_fma_f32 v1, v10, v54, -v1
	s_waitcnt vmcnt(36) lgkmcnt(1)
	v_mul_f32_e32 v84, v76, v220
	v_fmac_f32_e32 v84, v77, v219
	v_add_f32_e32 v63, v63, v84
	s_waitcnt vmcnt(34)
	v_mul_f32_e32 v84, v78, v222
	v_fmac_f32_e32 v84, v79, v221
	v_add_f32_e32 v63, v63, v84
	s_waitcnt vmcnt(32) lgkmcnt(0)
	v_mul_f32_e32 v84, v80, v224
	v_fmac_f32_e32 v84, v81, v223
	v_add_f32_e32 v63, v63, v84
	ds_read_b128 v[84:87], v44 offset:736
	s_waitcnt vmcnt(30)
	v_mul_f32_e32 v88, v82, v226
	v_fmac_f32_e32 v88, v83, v225
	v_add_f32_e32 v63, v63, v88
	ds_read_b128 v[88:91], v44 offset:752
	s_waitcnt vmcnt(28) lgkmcnt(1)
	v_mul_f32_e32 v92, v84, v228
	v_fmac_f32_e32 v92, v85, v227
	v_add_f32_e32 v63, v63, v92
	s_waitcnt vmcnt(26)
	v_mul_f32_e32 v92, v86, v230
	v_fmac_f32_e32 v92, v87, v229
	v_add_f32_e32 v63, v63, v92
	s_waitcnt vmcnt(24) lgkmcnt(0)
	v_mul_f32_e32 v92, v88, v232
	v_fmac_f32_e32 v92, v89, v231
	v_add_f32_e32 v63, v63, v92
	ds_read_b128 v[92:95], v44 offset:768
	s_waitcnt vmcnt(22)
	v_mul_f32_e32 v96, v90, v234
	v_fmac_f32_e32 v96, v91, v233
	v_add_f32_e32 v63, v63, v96
	ds_read_b128 v[96:99], v44 offset:784
	;; [unrolled: 18-line block ×3, first 2 shown]
	s_waitcnt vmcnt(12) lgkmcnt(1)
	v_mul_f32_e32 v108, v100, v244
	v_fmac_f32_e32 v108, v101, v243
	v_add_f32_e32 v63, v63, v108
	s_waitcnt vmcnt(10)
	v_mul_f32_e32 v108, v102, v246
	v_fmac_f32_e32 v108, v103, v245
	v_add_f32_e32 v63, v63, v108
	s_waitcnt vmcnt(8) lgkmcnt(0)
	v_mul_f32_e32 v108, v104, v248
	v_fmac_f32_e32 v108, v105, v247
	s_waitcnt vmcnt(6)
	v_mul_f32_e32 v112, v106, v250
	v_add_f32_e32 v63, v63, v108
	v_fmac_f32_e32 v112, v107, v249
	ds_read_b128 v[108:111], v44 offset:832
	v_add_f32_e32 v63, v63, v112
	ds_read_b128 v[112:115], v44 offset:848
	buffer_load_dword v121, off, s[0:3], 0 offset:420
	buffer_load_dword v120, off, s[0:3], 0 offset:416
	;; [unrolled: 1-line block ×16, first 2 shown]
	v_mul_f32_e32 v10, v13, v47
	v_add_f32_e32 v1, v14, v1
	v_fma_f32 v10, v12, v58, -v10
	v_mul_f32_e32 v7, v7, v48
	v_add_f32_e32 v1, v1, v10
	v_fma_f32 v6, v6, v55, -v7
	v_add_f32_e32 v1, v1, v6
	v_mul_f32_e32 v6, v9, v49
	v_fma_f32 v6, v8, v53, -v6
	v_mul_f32_e32 v3, v3, v50
	v_add_f32_e32 v1, v1, v6
	v_fma_f32 v2, v2, v52, -v3
	v_add_f32_e32 v1, v1, v2
	v_mul_f32_e32 v2, v5, v51
	v_fma_f32 v2, v4, v138, -v2
	v_add_f32_e32 v1, v1, v2
	v_mul_f32_e32 v2, v27, v139
	;; [unrolled: 3-line block ×29, first 2 shown]
	v_fma_f32 v2, v106, v249, -v2
	s_waitcnt vmcnt(20) lgkmcnt(1)
	v_mul_f32_e32 v117, v108, v252
	v_add_f32_e32 v1, v1, v2
	v_mul_f32_e32 v2, v109, v252
	v_fmac_f32_e32 v117, v109, v251
	v_fma_f32 v2, v108, v251, -v2
	s_waitcnt vmcnt(9)
	v_mov_b32_e32 v18, v127
	v_add_f32_e32 v63, v63, v117
	v_mul_f32_e32 v117, v110, v254
	v_add_f32_e32 v62, v1, v2
	v_mul_f32_e32 v1, v111, v254
	s_waitcnt lgkmcnt(0)
	v_pk_mul_f32 v[18:19], v[114:115], v[18:19] op_sel_hi:[1,0]
	v_fmac_f32_e32 v117, v111, v253
	v_mul_f32_e32 v119, v112, v148
	v_fma_f32 v116, v110, v253, -v1
	v_mul_f32_e32 v1, v113, v148
	ds_read_b128 v[2:5], v44 offset:864
	ds_read_b128 v[6:9], v44 offset:880
	ds_read_b128 v[10:13], v44 offset:896
	ds_read_b64 v[14:15], v44 offset:912
	s_waitcnt vmcnt(8)
	v_pk_fma_f32 v[20:21], v[114:115], v[126:127], v[18:19] op_sel:[0,0,1] op_sel_hi:[1,1,0] neg_lo:[0,0,1] neg_hi:[0,0,1]
	v_pk_fma_f32 v[18:19], v[114:115], v[126:127], v[18:19] op_sel:[0,0,1] op_sel_hi:[1,0,0]
	v_fmac_f32_e32 v119, v113, v255
	v_fma_f32 v118, v112, v255, -v1
	v_pk_add_f32 v[16:17], v[62:63], v[116:117]
	v_mov_b32_e32 v18, v125
	v_pk_add_f32 v[16:17], v[16:17], v[118:119]
	v_mov_b32_e32 v21, v19
	s_waitcnt lgkmcnt(3)
	v_pk_mul_f32 v[18:19], v[2:3], v[18:19] op_sel_hi:[1,0]
	v_pk_add_f32 v[16:17], v[16:17], v[20:21]
	v_pk_fma_f32 v[20:21], v[2:3], v[124:125], v[18:19] op_sel:[0,0,1] op_sel_hi:[1,1,0] neg_lo:[0,0,1] neg_hi:[0,0,1]
	v_pk_fma_f32 v[2:3], v[2:3], v[124:125], v[18:19] op_sel:[0,0,1] op_sel_hi:[1,0,0]
	v_mov_b32_e32 v21, v3
	v_pk_add_f32 v[2:3], v[16:17], v[20:21]
	v_mov_b32_e32 v16, v123
	v_pk_mul_f32 v[16:17], v[4:5], v[16:17] op_sel_hi:[1,0]
	v_pk_fma_f32 v[18:19], v[4:5], v[122:123], v[16:17] op_sel:[0,0,1] op_sel_hi:[1,1,0] neg_lo:[0,0,1] neg_hi:[0,0,1]
	v_pk_fma_f32 v[4:5], v[4:5], v[122:123], v[16:17] op_sel:[0,0,1] op_sel_hi:[1,0,0]
	v_mov_b32_e32 v4, v121
	v_mov_b32_e32 v19, v5
	s_waitcnt lgkmcnt(2)
	v_pk_mul_f32 v[4:5], v[6:7], v[4:5] op_sel_hi:[1,0]
	v_pk_fma_f32 v[16:17], v[6:7], v[120:121], v[4:5] op_sel:[0,0,1] op_sel_hi:[1,1,0] neg_lo:[0,0,1] neg_hi:[0,0,1]
	v_pk_fma_f32 v[4:5], v[6:7], v[120:121], v[4:5] op_sel:[0,0,1] op_sel_hi:[1,0,0]
	s_waitcnt vmcnt(1)
	v_mov_b32_e32 v4, v135
	v_mov_b32_e32 v17, v5
	v_pk_mul_f32 v[4:5], v[8:9], v[4:5] op_sel_hi:[1,0]
	s_waitcnt vmcnt(0)
	v_pk_fma_f32 v[6:7], v[8:9], v[134:135], v[4:5] op_sel:[0,0,1] op_sel_hi:[1,1,0] neg_lo:[0,0,1] neg_hi:[0,0,1]
	v_pk_fma_f32 v[4:5], v[8:9], v[134:135], v[4:5] op_sel:[0,0,1] op_sel_hi:[1,0,0]
	v_pk_add_f32 v[2:3], v[2:3], v[18:19]
	v_mov_b32_e32 v4, v133
	v_pk_add_f32 v[2:3], v[2:3], v[16:17]
	v_mov_b32_e32 v7, v5
	s_waitcnt lgkmcnt(1)
	v_pk_mul_f32 v[4:5], v[10:11], v[4:5] op_sel_hi:[1,0]
	v_pk_add_f32 v[2:3], v[2:3], v[6:7]
	v_pk_fma_f32 v[6:7], v[10:11], v[132:133], v[4:5] op_sel:[0,0,1] op_sel_hi:[1,1,0] neg_lo:[0,0,1] neg_hi:[0,0,1]
	v_pk_fma_f32 v[4:5], v[10:11], v[132:133], v[4:5] op_sel:[0,0,1] op_sel_hi:[1,0,0]
	v_mov_b32_e32 v4, v131
	v_mov_b32_e32 v7, v5
	v_pk_mul_f32 v[4:5], v[12:13], v[4:5] op_sel_hi:[1,0]
	v_pk_add_f32 v[2:3], v[2:3], v[6:7]
	v_pk_fma_f32 v[6:7], v[12:13], v[130:131], v[4:5] op_sel:[0,0,1] op_sel_hi:[1,1,0] neg_lo:[0,0,1] neg_hi:[0,0,1]
	v_pk_fma_f32 v[4:5], v[12:13], v[130:131], v[4:5] op_sel:[0,0,1] op_sel_hi:[1,0,0]
	v_mov_b32_e32 v4, v129
	v_mov_b32_e32 v7, v5
	s_waitcnt lgkmcnt(0)
	v_pk_mul_f32 v[4:5], v[14:15], v[4:5] op_sel_hi:[1,0]
	v_pk_add_f32 v[2:3], v[2:3], v[6:7]
	v_pk_fma_f32 v[6:7], v[14:15], v[128:129], v[4:5] op_sel:[0,0,1] op_sel_hi:[1,1,0] neg_lo:[0,0,1] neg_hi:[0,0,1]
	v_pk_fma_f32 v[4:5], v[14:15], v[128:129], v[4:5] op_sel:[0,0,1] op_sel_hi:[1,0,0]
	v_mov_b32_e32 v7, v5
	v_pk_add_f32 v[2:3], v[2:3], v[6:7]
	v_pk_add_f32 v[2:3], v[38:39], v[2:3] neg_lo:[0,1] neg_hi:[0,1]
	buffer_store_dword v3, off, s[0:3], 0 offset:44
	buffer_store_dword v2, off, s[0:3], 0 offset:40
	s_and_saveexec_b64 s[4:5], vcc
	s_cbranch_execz .LBB120_347
; %bb.346:
	buffer_load_dword v2, off, s[0:3], 0 offset:32
	buffer_load_dword v3, off, s[0:3], 0 offset:36
	s_waitcnt vmcnt(0)
	ds_write_b64 v165, v[2:3]
	buffer_store_dword v44, off, s[0:3], 0 offset:32
	buffer_store_dword v44, off, s[0:3], 0 offset:36
.LBB120_347:
	s_or_b64 exec, exec, s[4:5]
	s_waitcnt lgkmcnt(0)
	; wave barrier
	s_waitcnt lgkmcnt(0)
	buffer_load_dword v49, off, s[0:3], 0 offset:44
	buffer_load_dword v48, off, s[0:3], 0 offset:52
	;; [unrolled: 1-line block ×32, first 2 shown]
	ds_read2_b64 v[26:29], v44 offset0:63 offset1:64
	ds_read2_b64 v[22:25], v44 offset0:65 offset1:66
	;; [unrolled: 1-line block ×4, first 2 shown]
	buffer_load_dword v141, off, s[0:3], 0 offset:160
	buffer_load_dword v142, off, s[0:3], 0 offset:164
	ds_read2_b64 v[14:17], v44 offset0:71 offset1:72
	ds_read2_b64 v[6:9], v44 offset0:73 offset1:74
	;; [unrolled: 1-line block ×3, first 2 shown]
	buffer_load_dword v143, off, s[0:3], 0 offset:168
	buffer_load_dword v144, off, s[0:3], 0 offset:172
	;; [unrolled: 1-line block ×16, first 2 shown]
	v_cmp_lt_u32_e32 vcc, 3, v0
	s_waitcnt vmcnt(49) lgkmcnt(6)
	v_mul_f32_e32 v30, v26, v49
	s_waitcnt vmcnt(48)
	v_mul_f32_e32 v31, v28, v48
	s_waitcnt vmcnt(47) lgkmcnt(5)
	v_mul_f32_e32 v33, v24, v47
	s_waitcnt vmcnt(46) lgkmcnt(4)
	v_mul_f32_e32 v34, v18, v46
	s_waitcnt vmcnt(45)
	v_mul_f32_e32 v35, v20, v1
	s_waitcnt vmcnt(44)
	v_mul_f32_e32 v32, v22, v50
	s_waitcnt vmcnt(43) lgkmcnt(3)
	v_mul_f32_e32 v36, v10, v45
	s_waitcnt vmcnt(42)
	v_mul_f32_e32 v37, v12, v51
	s_waitcnt vmcnt(41) lgkmcnt(2)
	;; [unrolled: 4-line block ×3, first 2 shown]
	v_mul_f32_e32 v40, v6, v54
	s_waitcnt vmcnt(38)
	v_mul_f32_e32 v41, v8, v55
	s_waitcnt vmcnt(37)
	v_fmac_f32_e32 v32, v23, v61
	s_waitcnt vmcnt(36)
	v_fmac_f32_e32 v31, v29, v64
	;; [unrolled: 2-line block ×3, first 2 shown]
	v_add_f32_e32 v30, 0, v30
	v_add_f32_e32 v30, v30, v31
	;; [unrolled: 1-line block ×3, first 2 shown]
	s_waitcnt vmcnt(31)
	v_fmac_f32_e32 v33, v25, v65
	v_fmac_f32_e32 v34, v19, v63
	v_add_f32_e32 v30, v30, v33
	v_fmac_f32_e32 v35, v21, v60
	v_add_f32_e32 v30, v30, v34
	;; [unrolled: 2-line block ×3, first 2 shown]
	s_waitcnt vmcnt(27)
	v_fmac_f32_e32 v37, v13, v62
	v_add_f32_e32 v30, v30, v36
	v_fmac_f32_e32 v38, v15, v59
	v_add_f32_e32 v30, v30, v37
	;; [unrolled: 2-line block ×4, first 2 shown]
	s_waitcnt vmcnt(23)
	v_fmac_f32_e32 v41, v9, v137
	v_add_f32_e32 v30, v30, v40
	v_add_f32_e32 v34, v30, v41
	ds_read2_b64 v[30:33], v44 offset0:77 offset1:78
	buffer_load_dword v217, off, s[0:3], 0 offset:232
	buffer_load_dword v218, off, s[0:3], 0 offset:236
	;; [unrolled: 1-line block ×12, first 2 shown]
	s_waitcnt vmcnt(34) lgkmcnt(1)
	v_mul_f32_e32 v35, v2, v138
	v_fmac_f32_e32 v35, v3, v136
	buffer_load_dword v229, off, s[0:3], 0 offset:280
	buffer_load_dword v230, off, s[0:3], 0 offset:284
	v_add_f32_e32 v34, v34, v35
	s_waitcnt vmcnt(35)
	v_mul_f32_e32 v35, v4, v139
	v_fmac_f32_e32 v35, v5, v124
	v_add_f32_e32 v34, v34, v35
	s_waitcnt vmcnt(34) lgkmcnt(0)
	v_mul_f32_e32 v35, v30, v140
	v_fmac_f32_e32 v35, v31, v66
	buffer_load_dword v231, off, s[0:3], 0 offset:288
	buffer_load_dword v232, off, s[0:3], 0 offset:292
	v_add_f32_e32 v34, v34, v35
	s_waitcnt vmcnt(32)
	v_mul_f32_e32 v35, v32, v142
	v_fmac_f32_e32 v35, v33, v141
	v_add_f32_e32 v67, v34, v35
	ds_read2_b64 v[34:37], v44 offset0:79 offset1:80
	buffer_load_dword v233, off, s[0:3], 0 offset:296
	buffer_load_dword v234, off, s[0:3], 0 offset:300
	ds_read2_b64 v[38:41], v44 offset0:81 offset1:82
	buffer_load_dword v235, off, s[0:3], 0 offset:304
	buffer_load_dword v236, off, s[0:3], 0 offset:308
	buffer_load_dword v237, off, s[0:3], 0 offset:312
	buffer_load_dword v238, off, s[0:3], 0 offset:316
	buffer_load_dword v239, off, s[0:3], 0 offset:320
	buffer_load_dword v240, off, s[0:3], 0 offset:324
	buffer_load_dword v241, off, s[0:3], 0 offset:328
	buffer_load_dword v242, off, s[0:3], 0 offset:332
	buffer_load_dword v243, off, s[0:3], 0 offset:336
	buffer_load_dword v244, off, s[0:3], 0 offset:340
	buffer_load_dword v245, off, s[0:3], 0 offset:344
	buffer_load_dword v246, off, s[0:3], 0 offset:348
	buffer_load_dword v247, off, s[0:3], 0 offset:352
	buffer_load_dword v248, off, s[0:3], 0 offset:356
	s_waitcnt vmcnt(46) lgkmcnt(1)
	v_mul_f32_e32 v68, v34, v144
	v_fmac_f32_e32 v68, v35, v143
	v_add_f32_e32 v67, v67, v68
	s_waitcnt vmcnt(44)
	v_mul_f32_e32 v68, v36, v146
	v_fmac_f32_e32 v68, v37, v145
	v_add_f32_e32 v67, v67, v68
	s_waitcnt vmcnt(42) lgkmcnt(0)
	v_mul_f32_e32 v68, v38, v148
	v_fmac_f32_e32 v68, v39, v147
	v_add_f32_e32 v67, v67, v68
	buffer_load_dword v249, off, s[0:3], 0 offset:360
	buffer_load_dword v250, off, s[0:3], 0 offset:364
	ds_read2_b64 v[68:71], v44 offset0:83 offset1:84
	s_waitcnt vmcnt(42)
	v_mul_f32_e32 v72, v40, v208
	v_fmac_f32_e32 v72, v41, v149
	buffer_load_dword v251, off, s[0:3], 0 offset:368
	buffer_load_dword v252, off, s[0:3], 0 offset:372
	v_add_f32_e32 v67, v67, v72
	buffer_load_dword v253, off, s[0:3], 0 offset:376
	buffer_load_dword v254, off, s[0:3], 0 offset:380
	ds_read2_b64 v[72:75], v44 offset0:85 offset1:86
	s_waitcnt vmcnt(44) lgkmcnt(1)
	v_mul_f32_e32 v76, v68, v210
	v_fmac_f32_e32 v76, v69, v209
	v_add_f32_e32 v67, v67, v76
	s_waitcnt vmcnt(42)
	v_mul_f32_e32 v76, v70, v212
	v_fmac_f32_e32 v76, v71, v211
	v_add_f32_e32 v67, v67, v76
	s_waitcnt vmcnt(40) lgkmcnt(0)
	v_mul_f32_e32 v76, v72, v214
	v_fmac_f32_e32 v76, v73, v213
	buffer_load_dword v255, off, s[0:3], 0 offset:384
	buffer_load_dword v150, off, s[0:3], 0 offset:388
	v_add_f32_e32 v67, v67, v76
	ds_read2_b64 v[76:79], v44 offset0:87 offset1:88
	s_waitcnt vmcnt(40)
	v_mul_f32_e32 v80, v74, v216
	v_fmac_f32_e32 v80, v75, v215
	v_add_f32_e32 v67, v67, v80
	ds_read2_b64 v[80:83], v44 offset0:89 offset1:90
	v_mul_f32_e32 v27, v27, v49
	v_fma_f32 v26, v26, v116, -v27
	v_mul_f32_e32 v27, v29, v48
	v_add_f32_e32 v26, 0, v26
	v_fma_f32 v27, v28, v64, -v27
	v_mul_f32_e32 v23, v23, v50
	v_add_f32_e32 v26, v26, v27
	;; [unrolled: 3-line block ×5, first 2 shown]
	v_fma_f32 v1, v20, v60, -v1
	v_mul_f32_e32 v11, v11, v45
	s_waitcnt vmcnt(38) lgkmcnt(1)
	v_mul_f32_e32 v84, v76, v218
	v_fmac_f32_e32 v84, v77, v217
	v_add_f32_e32 v67, v67, v84
	s_waitcnt vmcnt(36)
	v_mul_f32_e32 v84, v78, v220
	v_fmac_f32_e32 v84, v79, v219
	v_add_f32_e32 v67, v67, v84
	s_waitcnt vmcnt(34) lgkmcnt(0)
	v_mul_f32_e32 v84, v80, v222
	v_fmac_f32_e32 v84, v81, v221
	v_add_f32_e32 v67, v67, v84
	ds_read2_b64 v[84:87], v44 offset0:91 offset1:92
	s_waitcnt vmcnt(32)
	v_mul_f32_e32 v88, v82, v224
	v_fmac_f32_e32 v88, v83, v223
	v_add_f32_e32 v67, v67, v88
	ds_read2_b64 v[88:91], v44 offset0:93 offset1:94
	s_waitcnt vmcnt(30) lgkmcnt(1)
	v_mul_f32_e32 v92, v84, v226
	v_fmac_f32_e32 v92, v85, v225
	v_add_f32_e32 v67, v67, v92
	s_waitcnt vmcnt(28)
	v_mul_f32_e32 v92, v86, v228
	v_fmac_f32_e32 v92, v87, v227
	v_add_f32_e32 v67, v67, v92
	s_waitcnt vmcnt(26) lgkmcnt(0)
	v_mul_f32_e32 v92, v88, v230
	v_fmac_f32_e32 v92, v89, v229
	v_add_f32_e32 v67, v67, v92
	ds_read2_b64 v[92:95], v44 offset0:95 offset1:96
	s_waitcnt vmcnt(24)
	v_mul_f32_e32 v96, v90, v232
	v_fmac_f32_e32 v96, v91, v231
	v_add_f32_e32 v67, v67, v96
	ds_read2_b64 v[96:99], v44 offset0:97 offset1:98
	;; [unrolled: 18-line block ×3, first 2 shown]
	s_waitcnt vmcnt(14) lgkmcnt(1)
	v_mul_f32_e32 v108, v100, v242
	v_fmac_f32_e32 v108, v101, v241
	v_add_f32_e32 v67, v67, v108
	s_waitcnt vmcnt(12)
	v_mul_f32_e32 v108, v102, v244
	v_fmac_f32_e32 v108, v103, v243
	v_add_f32_e32 v67, v67, v108
	s_waitcnt vmcnt(10) lgkmcnt(0)
	v_mul_f32_e32 v108, v104, v246
	v_fmac_f32_e32 v108, v105, v245
	s_waitcnt vmcnt(8)
	v_mul_f32_e32 v112, v106, v248
	v_add_f32_e32 v67, v67, v108
	v_fmac_f32_e32 v112, v107, v247
	ds_read2_b64 v[108:111], v44 offset0:103 offset1:104
	v_add_f32_e32 v67, v67, v112
	ds_read2_b64 v[112:115], v44 offset0:105 offset1:106
	buffer_load_dword v119, off, s[0:3], 0 offset:412
	buffer_load_dword v118, off, s[0:3], 0 offset:408
	;; [unrolled: 1-line block ×6, first 2 shown]
	v_add_f32_e32 v1, v18, v1
	v_fma_f32 v10, v10, v58, -v11
	v_add_f32_e32 v1, v1, v10
	v_mul_f32_e32 v10, v13, v51
	v_fma_f32 v10, v12, v62, -v10
	buffer_load_dword v127, off, s[0:3], 0 offset:444
	buffer_load_dword v126, off, s[0:3], 0 offset:440
	;; [unrolled: 1-line block ×10, first 2 shown]
	v_add_f32_e32 v1, v1, v10
	v_mul_f32_e32 v10, v15, v52
	v_fma_f32 v10, v14, v59, -v10
	v_add_f32_e32 v1, v1, v10
	v_mul_f32_e32 v10, v17, v53
	v_fma_f32 v10, v16, v57, -v10
	v_mul_f32_e32 v7, v7, v54
	v_add_f32_e32 v1, v1, v10
	v_fma_f32 v6, v6, v56, -v7
	v_add_f32_e32 v1, v1, v6
	v_mul_f32_e32 v6, v9, v55
	v_fma_f32 v6, v8, v137, -v6
	v_mul_f32_e32 v3, v3, v138
	v_add_f32_e32 v1, v1, v6
	v_fma_f32 v2, v2, v136, -v3
	v_add_f32_e32 v1, v1, v2
	v_mul_f32_e32 v2, v5, v139
	v_fma_f32 v2, v4, v124, -v2
	v_add_f32_e32 v1, v1, v2
	v_mul_f32_e32 v2, v31, v140
	;; [unrolled: 3-line block ×27, first 2 shown]
	v_fma_f32 v2, v106, v247, -v2
	v_add_f32_e32 v1, v1, v2
	s_waitcnt vmcnt(22) lgkmcnt(1)
	v_mul_f32_e32 v2, v109, v250
	v_mul_f32_e32 v117, v108, v250
	v_fma_f32 v2, v108, v249, -v2
	v_fmac_f32_e32 v117, v109, v249
	v_add_f32_e32 v1, v1, v2
	s_waitcnt vmcnt(20)
	v_mul_f32_e32 v2, v111, v252
	v_add_f32_e32 v67, v67, v117
	v_mul_f32_e32 v117, v110, v252
	v_fma_f32 v2, v110, v251, -v2
	v_fmac_f32_e32 v117, v111, v251
	v_add_f32_e32 v66, v1, v2
	ds_read2_b64 v[2:5], v44 offset0:107 offset1:108
	ds_read2_b64 v[6:9], v44 offset0:109 offset1:110
	;; [unrolled: 1-line block ×4, first 2 shown]
	v_add_f32_e32 v67, v67, v117
	s_waitcnt vmcnt(18) lgkmcnt(4)
	v_mul_f32_e32 v117, v112, v254
	v_mul_f32_e32 v1, v113, v254
	s_waitcnt vmcnt(11)
	v_mov_b32_e32 v20, v123
	v_fmac_f32_e32 v117, v113, v253
	v_mul_f32_e32 v125, v114, v150
	v_fma_f32 v116, v112, v253, -v1
	v_mul_f32_e32 v1, v115, v150
	s_waitcnt lgkmcnt(3)
	v_pk_mul_f32 v[20:21], v[2:3], v[20:21] op_sel_hi:[1,0]
	v_fmac_f32_e32 v125, v115, v255
	v_fma_f32 v124, v114, v255, -v1
	v_pk_add_f32 v[18:19], v[66:67], v[116:117]
	s_waitcnt vmcnt(10)
	v_pk_fma_f32 v[22:23], v[2:3], v[122:123], v[20:21] op_sel:[0,0,1] op_sel_hi:[1,1,0] neg_lo:[0,0,1] neg_hi:[0,0,1]
	v_pk_fma_f32 v[2:3], v[2:3], v[122:123], v[20:21] op_sel:[0,0,1] op_sel_hi:[1,0,0]
	v_pk_add_f32 v[18:19], v[18:19], v[124:125]
	v_mov_b32_e32 v23, v3
	v_pk_add_f32 v[2:3], v[18:19], v[22:23]
	v_mov_b32_e32 v18, v121
	v_pk_mul_f32 v[18:19], v[4:5], v[18:19] op_sel_hi:[1,0]
	v_pk_fma_f32 v[20:21], v[4:5], v[120:121], v[18:19] op_sel:[0,0,1] op_sel_hi:[1,1,0] neg_lo:[0,0,1] neg_hi:[0,0,1]
	v_pk_fma_f32 v[4:5], v[4:5], v[120:121], v[18:19] op_sel:[0,0,1] op_sel_hi:[1,0,0]
	v_mov_b32_e32 v4, v119
	v_mov_b32_e32 v21, v5
	s_waitcnt lgkmcnt(2)
	v_pk_mul_f32 v[4:5], v[6:7], v[4:5] op_sel_hi:[1,0]
	v_pk_fma_f32 v[18:19], v[6:7], v[118:119], v[4:5] op_sel:[0,0,1] op_sel_hi:[1,1,0] neg_lo:[0,0,1] neg_hi:[0,0,1]
	v_pk_fma_f32 v[4:5], v[6:7], v[118:119], v[4:5] op_sel:[0,0,1] op_sel_hi:[1,0,0]
	s_waitcnt vmcnt(3)
	v_mov_b32_e32 v4, v133
	v_mov_b32_e32 v19, v5
	v_pk_mul_f32 v[4:5], v[8:9], v[4:5] op_sel_hi:[1,0]
	s_waitcnt vmcnt(2)
	v_pk_fma_f32 v[6:7], v[8:9], v[132:133], v[4:5] op_sel:[0,0,1] op_sel_hi:[1,1,0] neg_lo:[0,0,1] neg_hi:[0,0,1]
	v_pk_fma_f32 v[4:5], v[8:9], v[132:133], v[4:5] op_sel:[0,0,1] op_sel_hi:[1,0,0]
	v_pk_add_f32 v[2:3], v[2:3], v[20:21]
	v_mov_b32_e32 v4, v131
	v_pk_add_f32 v[2:3], v[2:3], v[18:19]
	v_mov_b32_e32 v7, v5
	s_waitcnt lgkmcnt(1)
	v_pk_mul_f32 v[4:5], v[10:11], v[4:5] op_sel_hi:[1,0]
	v_pk_add_f32 v[2:3], v[2:3], v[6:7]
	v_pk_fma_f32 v[6:7], v[10:11], v[130:131], v[4:5] op_sel:[0,0,1] op_sel_hi:[1,1,0] neg_lo:[0,0,1] neg_hi:[0,0,1]
	v_pk_fma_f32 v[4:5], v[10:11], v[130:131], v[4:5] op_sel:[0,0,1] op_sel_hi:[1,0,0]
	v_mov_b32_e32 v4, v129
	v_mov_b32_e32 v7, v5
	v_pk_mul_f32 v[4:5], v[12:13], v[4:5] op_sel_hi:[1,0]
	v_pk_add_f32 v[2:3], v[2:3], v[6:7]
	v_pk_fma_f32 v[6:7], v[12:13], v[128:129], v[4:5] op_sel:[0,0,1] op_sel_hi:[1,1,0] neg_lo:[0,0,1] neg_hi:[0,0,1]
	v_pk_fma_f32 v[4:5], v[12:13], v[128:129], v[4:5] op_sel:[0,0,1] op_sel_hi:[1,0,0]
	v_mov_b32_e32 v4, v127
	v_mov_b32_e32 v7, v5
	s_waitcnt lgkmcnt(0)
	v_pk_mul_f32 v[4:5], v[14:15], v[4:5] op_sel_hi:[1,0]
	v_pk_add_f32 v[2:3], v[2:3], v[6:7]
	v_pk_fma_f32 v[6:7], v[14:15], v[126:127], v[4:5] op_sel:[0,0,1] op_sel_hi:[1,1,0] neg_lo:[0,0,1] neg_hi:[0,0,1]
	v_pk_fma_f32 v[4:5], v[14:15], v[126:127], v[4:5] op_sel:[0,0,1] op_sel_hi:[1,0,0]
	s_waitcnt vmcnt(1)
	v_mov_b32_e32 v4, v135
	v_mov_b32_e32 v7, v5
	v_pk_mul_f32 v[4:5], v[16:17], v[4:5] op_sel_hi:[1,0]
	v_pk_add_f32 v[2:3], v[2:3], v[6:7]
	s_waitcnt vmcnt(0)
	v_pk_fma_f32 v[6:7], v[16:17], v[134:135], v[4:5] op_sel:[0,0,1] op_sel_hi:[1,1,0] neg_lo:[0,0,1] neg_hi:[0,0,1]
	v_pk_fma_f32 v[4:5], v[16:17], v[134:135], v[4:5] op_sel:[0,0,1] op_sel_hi:[1,0,0]
	v_mov_b32_e32 v7, v5
	v_pk_add_f32 v[2:3], v[2:3], v[6:7]
	v_pk_add_f32 v[2:3], v[42:43], v[2:3] neg_lo:[0,1] neg_hi:[0,1]
	buffer_store_dword v3, off, s[0:3], 0 offset:36
	buffer_store_dword v2, off, s[0:3], 0 offset:32
	s_and_saveexec_b64 s[4:5], vcc
	s_cbranch_execz .LBB120_349
; %bb.348:
	buffer_load_dword v2, off, s[0:3], 0 offset:24
	buffer_load_dword v3, off, s[0:3], 0 offset:28
	v_mov_b32_e32 v1, 0
	buffer_store_dword v1, off, s[0:3], 0 offset:24
	buffer_store_dword v1, off, s[0:3], 0 offset:28
	s_waitcnt vmcnt(2)
	ds_write_b64 v165, v[2:3]
.LBB120_349:
	s_or_b64 exec, exec, s[4:5]
	v_mov_b32_e32 v232, 0
	s_waitcnt lgkmcnt(0)
	; wave barrier
	s_waitcnt lgkmcnt(0)
	ds_read_b128 v[2:5], v232 offset:496
	buffer_load_dword v208, off, s[0:3], 0 offset:24
	buffer_load_dword v209, off, s[0:3], 0 offset:28
	;; [unrolled: 1-line block ×16, first 2 shown]
	v_cmp_lt_u32_e32 vcc, 2, v0
	s_waitcnt vmcnt(12) lgkmcnt(0)
	v_mul_f32_e32 v1, v2, v233
	v_fmac_f32_e32 v1, v3, v210
	s_waitcnt vmcnt(10)
	v_mul_f32_e32 v6, v4, v235
	v_add_f32_e32 v1, 0, v1
	v_fmac_f32_e32 v6, v5, v212
	v_add_f32_e32 v1, v1, v6
	ds_read_b128 v[6:9], v232 offset:512
	v_mul_f32_e32 v3, v3, v233
	v_fma_f32 v2, v2, v210, -v3
	v_mul_f32_e32 v3, v5, v235
	v_add_f32_e32 v2, 0, v2
	s_waitcnt vmcnt(8) lgkmcnt(0)
	v_mul_f32_e32 v10, v6, v237
	v_fmac_f32_e32 v10, v7, v216
	v_add_f32_e32 v1, v1, v10
	s_waitcnt vmcnt(6)
	v_mul_f32_e32 v10, v8, v239
	v_fmac_f32_e32 v10, v9, v234
	v_add_f32_e32 v1, v1, v10
	ds_read_b128 v[10:13], v232 offset:528
	v_fma_f32 v3, v4, v212, -v3
	v_add_f32_e32 v2, v2, v3
	v_mul_f32_e32 v3, v7, v237
	v_fma_f32 v3, v6, v216, -v3
	s_waitcnt vmcnt(4) lgkmcnt(0)
	v_mul_f32_e32 v14, v10, v241
	v_fmac_f32_e32 v14, v11, v236
	v_add_f32_e32 v1, v1, v14
	s_waitcnt vmcnt(2)
	v_mul_f32_e32 v14, v12, v242
	v_fmac_f32_e32 v14, v13, v238
	v_add_f32_e32 v1, v1, v14
	ds_read_b128 v[14:17], v232 offset:544
	buffer_load_dword v244, off, s[0:3], 0 offset:88
	buffer_load_dword v245, off, s[0:3], 0 offset:92
	v_add_f32_e32 v2, v2, v3
	v_mul_f32_e32 v3, v9, v239
	v_fma_f32 v3, v8, v234, -v3
	s_waitcnt vmcnt(2) lgkmcnt(0)
	v_mul_f32_e32 v18, v14, v243
	v_fmac_f32_e32 v18, v15, v240
	v_add_f32_e32 v1, v1, v18
	v_add_f32_e32 v2, v2, v3
	v_mul_f32_e32 v3, v11, v241
	v_fma_f32 v3, v10, v236, -v3
	v_add_f32_e32 v2, v2, v3
	v_mul_f32_e32 v3, v13, v242
	v_fma_f32 v3, v12, v238, -v3
	v_add_f32_e32 v2, v2, v3
	v_mul_f32_e32 v3, v15, v243
	v_fma_f32 v3, v14, v240, -v3
	v_add_f32_e32 v2, v2, v3
	s_waitcnt vmcnt(0)
	v_mul_f32_e32 v18, v16, v245
	v_fmac_f32_e32 v18, v17, v244
	v_add_f32_e32 v1, v1, v18
	ds_read_b128 v[18:21], v232 offset:560
	buffer_load_dword v246, off, s[0:3], 0 offset:96
	buffer_load_dword v247, off, s[0:3], 0 offset:100
	;; [unrolled: 1-line block ×4, first 2 shown]
	v_mul_f32_e32 v3, v17, v245
	v_fma_f32 v3, v16, v244, -v3
	v_add_f32_e32 v2, v2, v3
	s_waitcnt vmcnt(2) lgkmcnt(0)
	v_mul_f32_e32 v22, v18, v247
	v_fmac_f32_e32 v22, v19, v246
	v_add_f32_e32 v1, v1, v22
	s_waitcnt vmcnt(0)
	v_mul_f32_e32 v22, v20, v249
	v_fmac_f32_e32 v22, v21, v248
	v_add_f32_e32 v1, v1, v22
	ds_read_b128 v[22:25], v232 offset:576
	buffer_load_dword v250, off, s[0:3], 0 offset:112
	buffer_load_dword v251, off, s[0:3], 0 offset:116
	;; [unrolled: 1-line block ×4, first 2 shown]
	v_mul_f32_e32 v3, v19, v247
	v_fma_f32 v3, v18, v246, -v3
	v_add_f32_e32 v2, v2, v3
	v_mul_f32_e32 v3, v21, v249
	v_fma_f32 v3, v20, v248, -v3
	v_add_f32_e32 v2, v2, v3
	s_waitcnt vmcnt(2) lgkmcnt(0)
	v_mul_f32_e32 v26, v22, v251
	v_fmac_f32_e32 v26, v23, v250
	v_add_f32_e32 v1, v1, v26
	s_waitcnt vmcnt(0)
	v_mul_f32_e32 v26, v24, v253
	v_fmac_f32_e32 v26, v25, v252
	v_add_f32_e32 v1, v1, v26
	ds_read_b128 v[26:29], v232 offset:592
	buffer_load_dword v254, off, s[0:3], 0 offset:128
	buffer_load_dword v255, off, s[0:3], 0 offset:132
	v_mul_f32_e32 v3, v23, v251
	v_fma_f32 v3, v22, v250, -v3
	v_add_f32_e32 v2, v2, v3
	v_mul_f32_e32 v3, v25, v253
	v_fma_f32 v3, v24, v252, -v3
	v_add_f32_e32 v2, v2, v3
	s_waitcnt vmcnt(0) lgkmcnt(0)
	v_mul_f32_e32 v30, v26, v255
	v_fmac_f32_e32 v30, v27, v254
	v_add_f32_e32 v30, v1, v30
	buffer_load_dword v1, off, s[0:3], 0 offset:136
	buffer_load_dword v94, off, s[0:3], 0 offset:140
	v_mul_f32_e32 v3, v27, v255
	v_fma_f32 v3, v26, v254, -v3
	v_add_f32_e32 v2, v2, v3
	s_waitcnt vmcnt(0)
	v_mul_f32_e32 v31, v28, v94
	v_fmac_f32_e32 v31, v29, v1
	v_add_f32_e32 v34, v30, v31
	ds_read_b128 v[30:33], v232 offset:608
	buffer_load_dword v95, off, s[0:3], 0 offset:144
	buffer_load_dword v96, off, s[0:3], 0 offset:148
	;; [unrolled: 1-line block ×4, first 2 shown]
	v_mul_f32_e32 v3, v29, v94
	v_fma_f32 v1, v28, v1, -v3
	v_add_f32_e32 v1, v2, v1
	s_waitcnt vmcnt(2) lgkmcnt(0)
	v_mul_f32_e32 v35, v30, v96
	v_fmac_f32_e32 v35, v31, v95
	v_add_f32_e32 v34, v34, v35
	s_waitcnt vmcnt(0)
	v_mul_f32_e32 v35, v32, v98
	v_fmac_f32_e32 v35, v33, v97
	v_add_f32_e32 v38, v34, v35
	ds_read_b128 v[34:37], v232 offset:624
	buffer_load_dword v99, off, s[0:3], 0 offset:160
	buffer_load_dword v100, off, s[0:3], 0 offset:164
	;; [unrolled: 1-line block ×4, first 2 shown]
	v_mul_f32_e32 v2, v31, v96
	v_fma_f32 v2, v30, v95, -v2
	v_add_f32_e32 v1, v1, v2
	v_mul_f32_e32 v2, v33, v98
	v_fma_f32 v2, v32, v97, -v2
	v_add_f32_e32 v1, v1, v2
	s_waitcnt vmcnt(2) lgkmcnt(0)
	v_mul_f32_e32 v39, v34, v100
	v_fmac_f32_e32 v39, v35, v99
	v_add_f32_e32 v38, v38, v39
	s_waitcnt vmcnt(0)
	v_mul_f32_e32 v39, v36, v102
	v_fmac_f32_e32 v39, v37, v101
	v_add_f32_e32 v42, v38, v39
	ds_read_b128 v[38:41], v232 offset:640
	buffer_load_dword v103, off, s[0:3], 0 offset:176
	buffer_load_dword v104, off, s[0:3], 0 offset:180
	buffer_load_dword v105, off, s[0:3], 0 offset:184
	buffer_load_dword v106, off, s[0:3], 0 offset:188
	ds_read_b128 v[46:49], v232 offset:656
	buffer_load_dword v107, off, s[0:3], 0 offset:192
	buffer_load_dword v108, off, s[0:3], 0 offset:196
	buffer_load_dword v109, off, s[0:3], 0 offset:200
	buffer_load_dword v110, off, s[0:3], 0 offset:204
	;; [unrolled: 5-line block ×13, first 2 shown]
	v_mul_f32_e32 v2, v35, v100
	v_fma_f32 v2, v34, v99, -v2
	v_add_f32_e32 v1, v1, v2
	v_mul_f32_e32 v2, v37, v102
	v_fma_f32 v2, v36, v101, -v2
	v_add_f32_e32 v1, v1, v2
	s_waitcnt vmcnt(50) lgkmcnt(12)
	v_mul_f32_e32 v43, v38, v104
	v_fmac_f32_e32 v43, v39, v103
	v_add_f32_e32 v42, v42, v43
	s_waitcnt vmcnt(48)
	v_mul_f32_e32 v43, v40, v106
	v_fmac_f32_e32 v43, v41, v105
	v_add_f32_e32 v42, v42, v43
	s_waitcnt vmcnt(46) lgkmcnt(11)
	v_mul_f32_e32 v43, v46, v108
	v_fmac_f32_e32 v43, v47, v107
	v_add_f32_e32 v42, v42, v43
	s_waitcnt vmcnt(44)
	v_mul_f32_e32 v43, v48, v110
	v_fmac_f32_e32 v43, v49, v109
	;; [unrolled: 8-line block ×12, first 2 shown]
	v_add_f32_e32 v42, v42, v43
	s_waitcnt vmcnt(2) lgkmcnt(0)
	v_mul_f32_e32 v43, v90, v152
	v_fmac_f32_e32 v43, v91, v151
	v_add_f32_e32 v211, v42, v43
	ds_read_b128 v[42:45], v232 offset:848
	buffer_load_dword v155, off, s[0:3], 0 offset:384
	buffer_load_dword v156, off, s[0:3], 0 offset:388
	buffer_load_dword v215, off, s[0:3], 0 offset:396
	buffer_load_dword v214, off, s[0:3], 0 offset:392
	buffer_load_dword v231, off, s[0:3], 0 offset:404
	buffer_load_dword v230, off, s[0:3], 0 offset:400
	buffer_load_dword v229, off, s[0:3], 0 offset:412
	buffer_load_dword v228, off, s[0:3], 0 offset:408
	buffer_load_dword v227, off, s[0:3], 0 offset:420
	buffer_load_dword v226, off, s[0:3], 0 offset:416
	buffer_load_dword v225, off, s[0:3], 0 offset:428
	buffer_load_dword v224, off, s[0:3], 0 offset:424
	buffer_load_dword v223, off, s[0:3], 0 offset:436
	buffer_load_dword v222, off, s[0:3], 0 offset:432
	buffer_load_dword v221, off, s[0:3], 0 offset:444
	buffer_load_dword v220, off, s[0:3], 0 offset:440
	buffer_load_dword v219, off, s[0:3], 0 offset:452
	buffer_load_dword v218, off, s[0:3], 0 offset:448
	v_mul_f32_e32 v2, v39, v104
	v_fma_f32 v2, v38, v103, -v2
	v_add_f32_e32 v1, v1, v2
	v_mul_f32_e32 v2, v41, v106
	v_fma_f32 v2, v40, v105, -v2
	v_add_f32_e32 v1, v1, v2
	;; [unrolled: 3-line block ×24, first 2 shown]
	v_mul_f32_e32 v2, v91, v152
	v_fma_f32 v2, v90, v151, -v2
	s_waitcnt vmcnt(15)
	v_mov_b32_e32 v18, v215
	v_mul_f32_e32 v213, v92, v154
	v_add_f32_e32 v210, v1, v2
	v_mul_f32_e32 v1, v93, v154
	s_waitcnt lgkmcnt(0)
	v_pk_mul_f32 v[18:19], v[44:45], v[18:19] op_sel_hi:[1,0]
	v_fmac_f32_e32 v213, v93, v153
	v_mul_f32_e32 v217, v42, v156
	v_fma_f32 v212, v92, v153, -v1
	v_mul_f32_e32 v1, v43, v156
	ds_read_b128 v[2:5], v232 offset:864
	ds_read_b128 v[6:9], v232 offset:880
	;; [unrolled: 1-line block ×3, first 2 shown]
	ds_read_b64 v[14:15], v232 offset:912
	s_waitcnt vmcnt(14)
	v_pk_fma_f32 v[20:21], v[44:45], v[214:215], v[18:19] op_sel:[0,0,1] op_sel_hi:[1,1,0] neg_lo:[0,0,1] neg_hi:[0,0,1]
	v_pk_fma_f32 v[18:19], v[44:45], v[214:215], v[18:19] op_sel:[0,0,1] op_sel_hi:[1,0,0]
	v_fmac_f32_e32 v217, v43, v155
	v_fma_f32 v216, v42, v155, -v1
	v_pk_add_f32 v[16:17], v[210:211], v[212:213]
	s_waitcnt vmcnt(13)
	v_mov_b32_e32 v18, v231
	v_pk_add_f32 v[16:17], v[16:17], v[216:217]
	v_mov_b32_e32 v21, v19
	s_waitcnt lgkmcnt(3)
	v_pk_mul_f32 v[18:19], v[2:3], v[18:19] op_sel_hi:[1,0]
	v_pk_add_f32 v[16:17], v[16:17], v[20:21]
	s_waitcnt vmcnt(12)
	v_pk_fma_f32 v[20:21], v[2:3], v[230:231], v[18:19] op_sel:[0,0,1] op_sel_hi:[1,1,0] neg_lo:[0,0,1] neg_hi:[0,0,1]
	v_pk_fma_f32 v[2:3], v[2:3], v[230:231], v[18:19] op_sel:[0,0,1] op_sel_hi:[1,0,0]
	v_mov_b32_e32 v21, v3
	v_pk_add_f32 v[2:3], v[16:17], v[20:21]
	s_waitcnt vmcnt(11)
	v_mov_b32_e32 v16, v229
	v_pk_mul_f32 v[16:17], v[4:5], v[16:17] op_sel_hi:[1,0]
	s_waitcnt vmcnt(10)
	v_pk_fma_f32 v[18:19], v[4:5], v[228:229], v[16:17] op_sel:[0,0,1] op_sel_hi:[1,1,0] neg_lo:[0,0,1] neg_hi:[0,0,1]
	v_pk_fma_f32 v[4:5], v[4:5], v[228:229], v[16:17] op_sel:[0,0,1] op_sel_hi:[1,0,0]
	s_waitcnt vmcnt(9)
	v_mov_b32_e32 v4, v227
	v_mov_b32_e32 v19, v5
	s_waitcnt lgkmcnt(2)
	v_pk_mul_f32 v[4:5], v[6:7], v[4:5] op_sel_hi:[1,0]
	s_waitcnt vmcnt(8)
	v_pk_fma_f32 v[16:17], v[6:7], v[226:227], v[4:5] op_sel:[0,0,1] op_sel_hi:[1,1,0] neg_lo:[0,0,1] neg_hi:[0,0,1]
	v_pk_fma_f32 v[4:5], v[6:7], v[226:227], v[4:5] op_sel:[0,0,1] op_sel_hi:[1,0,0]
	s_waitcnt vmcnt(7)
	v_mov_b32_e32 v4, v225
	v_mov_b32_e32 v17, v5
	v_pk_mul_f32 v[4:5], v[8:9], v[4:5] op_sel_hi:[1,0]
	s_waitcnt vmcnt(6)
	v_pk_fma_f32 v[6:7], v[8:9], v[224:225], v[4:5] op_sel:[0,0,1] op_sel_hi:[1,1,0] neg_lo:[0,0,1] neg_hi:[0,0,1]
	v_pk_fma_f32 v[4:5], v[8:9], v[224:225], v[4:5] op_sel:[0,0,1] op_sel_hi:[1,0,0]
	v_pk_add_f32 v[2:3], v[2:3], v[18:19]
	s_waitcnt vmcnt(5)
	v_mov_b32_e32 v4, v223
	v_pk_add_f32 v[2:3], v[2:3], v[16:17]
	v_mov_b32_e32 v7, v5
	s_waitcnt lgkmcnt(1)
	v_pk_mul_f32 v[4:5], v[10:11], v[4:5] op_sel_hi:[1,0]
	v_pk_add_f32 v[2:3], v[2:3], v[6:7]
	s_waitcnt vmcnt(4)
	v_pk_fma_f32 v[6:7], v[10:11], v[222:223], v[4:5] op_sel:[0,0,1] op_sel_hi:[1,1,0] neg_lo:[0,0,1] neg_hi:[0,0,1]
	v_pk_fma_f32 v[4:5], v[10:11], v[222:223], v[4:5] op_sel:[0,0,1] op_sel_hi:[1,0,0]
	s_waitcnt vmcnt(3)
	v_mov_b32_e32 v4, v221
	v_mov_b32_e32 v7, v5
	v_pk_mul_f32 v[4:5], v[12:13], v[4:5] op_sel_hi:[1,0]
	v_pk_add_f32 v[2:3], v[2:3], v[6:7]
	s_waitcnt vmcnt(2)
	v_pk_fma_f32 v[6:7], v[12:13], v[220:221], v[4:5] op_sel:[0,0,1] op_sel_hi:[1,1,0] neg_lo:[0,0,1] neg_hi:[0,0,1]
	v_pk_fma_f32 v[4:5], v[12:13], v[220:221], v[4:5] op_sel:[0,0,1] op_sel_hi:[1,0,0]
	s_waitcnt vmcnt(1)
	v_mov_b32_e32 v4, v219
	v_mov_b32_e32 v7, v5
	s_waitcnt lgkmcnt(0)
	v_pk_mul_f32 v[4:5], v[14:15], v[4:5] op_sel_hi:[1,0]
	v_pk_add_f32 v[2:3], v[2:3], v[6:7]
	s_waitcnt vmcnt(0)
	v_pk_fma_f32 v[6:7], v[14:15], v[218:219], v[4:5] op_sel:[0,0,1] op_sel_hi:[1,1,0] neg_lo:[0,0,1] neg_hi:[0,0,1]
	v_pk_fma_f32 v[4:5], v[14:15], v[218:219], v[4:5] op_sel:[0,0,1] op_sel_hi:[1,0,0]
	v_mov_b32_e32 v7, v5
	v_pk_add_f32 v[2:3], v[2:3], v[6:7]
	v_pk_add_f32 v[2:3], v[208:209], v[2:3] neg_lo:[0,1] neg_hi:[0,1]
	buffer_store_dword v3, off, s[0:3], 0 offset:28
	buffer_store_dword v2, off, s[0:3], 0 offset:24
	s_and_saveexec_b64 s[4:5], vcc
	s_cbranch_execz .LBB120_351
; %bb.350:
	buffer_load_dword v2, off, s[0:3], 0 offset:16
	buffer_load_dword v3, off, s[0:3], 0 offset:20
	s_waitcnt vmcnt(0)
	ds_write_b64 v165, v[2:3]
	buffer_store_dword v232, off, s[0:3], 0 offset:16
	buffer_store_dword v232, off, s[0:3], 0 offset:20
.LBB120_351:
	s_or_b64 exec, exec, s[4:5]
	s_waitcnt lgkmcnt(0)
	; wave barrier
	s_waitcnt lgkmcnt(0)
	buffer_load_dword v48, off, s[0:3], 0 offset:28
	buffer_load_dword v47, off, s[0:3], 0 offset:36
	buffer_load_dword v46, off, s[0:3], 0 offset:52
	buffer_load_dword v45, off, s[0:3], 0 offset:60
	buffer_load_dword v1, off, s[0:3], 0 offset:68
	buffer_load_dword v49, off, s[0:3], 0 offset:44
	buffer_load_dword v44, off, s[0:3], 0 offset:76
	buffer_load_dword v108, off, s[0:3], 0 offset:84
	buffer_load_dword v110, off, s[0:3], 0 offset:92
	buffer_load_dword v112, off, s[0:3], 0 offset:100
	buffer_load_dword v128, off, s[0:3], 0 offset:108
	buffer_load_dword v129, off, s[0:3], 0 offset:116
	buffer_load_dword v130, off, s[0:3], 0 offset:40
	buffer_load_dword v131, off, s[0:3], 0 offset:32
	buffer_load_dword v132, off, s[0:3], 0 offset:24
	buffer_load_dword v133, off, s[0:3], 0 offset:72
	buffer_load_dword v134, off, s[0:3], 0 offset:64
	buffer_load_dword v135, off, s[0:3], 0 offset:56
	buffer_load_dword v136, off, s[0:3], 0 offset:48
	buffer_load_dword v137, off, s[0:3], 0 offset:104
	buffer_load_dword v138, off, s[0:3], 0 offset:96
	buffer_load_dword v139, off, s[0:3], 0 offset:88
	buffer_load_dword v140, off, s[0:3], 0 offset:80
	buffer_load_dword v141, off, s[0:3], 0 offset:136
	buffer_load_dword v142, off, s[0:3], 0 offset:128
	buffer_load_dword v143, off, s[0:3], 0 offset:120
	buffer_load_dword v144, off, s[0:3], 0 offset:112
	buffer_load_dword v145, off, s[0:3], 0 offset:124
	buffer_load_dword v146, off, s[0:3], 0 offset:132
	buffer_load_dword v147, off, s[0:3], 0 offset:140
	buffer_load_dword v148, off, s[0:3], 0 offset:144
	buffer_load_dword v149, off, s[0:3], 0 offset:148
	buffer_load_dword v42, off, s[0:3], 0 offset:16
	buffer_load_dword v43, off, s[0:3], 0 offset:20
	ds_read2_b64 v[30:33], v232 offset0:61 offset1:62
	ds_read2_b64 v[26:29], v232 offset0:63 offset1:64
	;; [unrolled: 1-line block ×6, first 2 shown]
	buffer_load_dword v150, off, s[0:3], 0 offset:152
	buffer_load_dword v151, off, s[0:3], 0 offset:156
	ds_read2_b64 v[10:13], v232 offset0:73 offset1:74
	ds_read2_b64 v[2:5], v232 offset0:75 offset1:76
	buffer_load_dword v152, off, s[0:3], 0 offset:160
	buffer_load_dword v153, off, s[0:3], 0 offset:164
	;; [unrolled: 1-line block ×24, first 2 shown]
	v_cmp_lt_u32_e32 vcc, 1, v0
	s_waitcnt vmcnt(59) lgkmcnt(7)
	v_mul_f32_e32 v34, v30, v48
	s_waitcnt vmcnt(58)
	v_mul_f32_e32 v35, v32, v47
	s_waitcnt vmcnt(57) lgkmcnt(6)
	v_mul_f32_e32 v37, v28, v46
	s_waitcnt vmcnt(56) lgkmcnt(5)
	v_mul_f32_e32 v38, v22, v45
	s_waitcnt vmcnt(55)
	v_mul_f32_e32 v39, v24, v1
	s_waitcnt vmcnt(54)
	v_mul_f32_e32 v36, v26, v49
	s_waitcnt vmcnt(53) lgkmcnt(4)
	v_mul_f32_e32 v40, v18, v44
	s_waitcnt vmcnt(52)
	v_mul_f32_e32 v41, v20, v108
	s_waitcnt vmcnt(51) lgkmcnt(3)
	;; [unrolled: 4-line block ×3, first 2 shown]
	v_mul_f32_e32 v52, v6, v128
	s_waitcnt vmcnt(48)
	v_mul_f32_e32 v53, v8, v129
	s_waitcnt vmcnt(47)
	v_fmac_f32_e32 v36, v27, v130
	s_waitcnt vmcnt(46)
	v_fmac_f32_e32 v35, v33, v131
	;; [unrolled: 2-line block ×3, first 2 shown]
	v_add_f32_e32 v34, 0, v34
	v_add_f32_e32 v34, v34, v35
	;; [unrolled: 1-line block ×3, first 2 shown]
	s_waitcnt vmcnt(41)
	v_fmac_f32_e32 v37, v29, v136
	v_fmac_f32_e32 v38, v23, v135
	v_add_f32_e32 v34, v34, v37
	v_fmac_f32_e32 v39, v25, v134
	v_add_f32_e32 v34, v34, v38
	;; [unrolled: 2-line block ×3, first 2 shown]
	s_waitcnt vmcnt(37)
	v_fmac_f32_e32 v41, v21, v140
	v_add_f32_e32 v34, v34, v40
	v_fmac_f32_e32 v50, v15, v139
	v_add_f32_e32 v34, v34, v41
	v_fmac_f32_e32 v51, v17, v138
	v_add_f32_e32 v34, v34, v50
	v_fmac_f32_e32 v52, v7, v137
	v_add_f32_e32 v34, v34, v51
	s_waitcnt vmcnt(33)
	v_fmac_f32_e32 v53, v9, v144
	v_add_f32_e32 v34, v34, v52
	s_waitcnt vmcnt(32) lgkmcnt(1)
	v_mul_f32_e32 v35, v10, v145
	v_add_f32_e32 v34, v34, v53
	v_fmac_f32_e32 v35, v11, v143
	v_add_f32_e32 v34, v34, v35
	s_waitcnt vmcnt(31)
	v_mul_f32_e32 v35, v12, v146
	v_fmac_f32_e32 v35, v13, v142
	v_add_f32_e32 v34, v34, v35
	s_waitcnt vmcnt(30) lgkmcnt(0)
	v_mul_f32_e32 v35, v2, v147
	v_fmac_f32_e32 v35, v3, v141
	v_add_f32_e32 v38, v34, v35
	ds_read2_b64 v[34:37], v232 offset0:77 offset1:78
	buffer_load_dword v226, off, s[0:3], 0 offset:256
	buffer_load_dword v227, off, s[0:3], 0 offset:260
	;; [unrolled: 1-line block ×4, first 2 shown]
	s_waitcnt vmcnt(32)
	v_mul_f32_e32 v39, v4, v149
	v_fmac_f32_e32 v39, v5, v148
	v_add_f32_e32 v50, v38, v39
	ds_read2_b64 v[38:41], v232 offset0:79 offset1:80
	buffer_load_dword v230, off, s[0:3], 0 offset:272
	buffer_load_dword v231, off, s[0:3], 0 offset:276
	;; [unrolled: 1-line block ×12, first 2 shown]
	s_waitcnt vmcnt(40) lgkmcnt(1)
	v_mul_f32_e32 v51, v34, v151
	v_fmac_f32_e32 v51, v35, v150
	buffer_load_dword v243, off, s[0:3], 0 offset:320
	buffer_load_dword v244, off, s[0:3], 0 offset:324
	v_add_f32_e32 v50, v50, v51
	s_waitcnt vmcnt(40)
	v_mul_f32_e32 v51, v36, v153
	v_fmac_f32_e32 v51, v37, v152
	buffer_load_dword v245, off, s[0:3], 0 offset:328
	buffer_load_dword v246, off, s[0:3], 0 offset:332
	v_add_f32_e32 v50, v50, v51
	s_waitcnt vmcnt(40) lgkmcnt(0)
	v_mul_f32_e32 v51, v38, v155
	v_fmac_f32_e32 v51, v39, v154
	v_add_f32_e32 v54, v50, v51
	ds_read2_b64 v[50:53], v232 offset0:81 offset1:82
	buffer_load_dword v247, off, s[0:3], 0 offset:336
	buffer_load_dword v248, off, s[0:3], 0 offset:340
	s_waitcnt vmcnt(40)
	v_mul_f32_e32 v55, v40, v157
	v_fmac_f32_e32 v55, v41, v156
	v_add_f32_e32 v58, v54, v55
	ds_read2_b64 v[54:57], v232 offset0:83 offset1:84
	buffer_load_dword v249, off, s[0:3], 0 offset:344
	buffer_load_dword v250, off, s[0:3], 0 offset:348
	;; [unrolled: 1-line block ×8, first 2 shown]
	s_waitcnt vmcnt(46) lgkmcnt(1)
	v_mul_f32_e32 v59, v50, v209
	v_fmac_f32_e32 v59, v51, v208
	v_add_f32_e32 v58, v58, v59
	s_waitcnt vmcnt(44)
	v_mul_f32_e32 v59, v52, v211
	v_fmac_f32_e32 v59, v53, v210
	v_add_f32_e32 v58, v58, v59
	s_waitcnt vmcnt(42) lgkmcnt(0)
	v_mul_f32_e32 v59, v54, v213
	v_fmac_f32_e32 v59, v55, v212
	v_add_f32_e32 v62, v58, v59
	buffer_load_dword v159, off, s[0:3], 0 offset:376
	buffer_load_dword v160, off, s[0:3], 0 offset:380
	buffer_load_dword v161, off, s[0:3], 0 offset:384
	buffer_load_dword v162, off, s[0:3], 0 offset:388
	ds_read2_b64 v[58:61], v232 offset0:85 offset1:86
	s_waitcnt vmcnt(44)
	v_mul_f32_e32 v63, v56, v215
	v_fmac_f32_e32 v63, v57, v214
	v_add_f32_e32 v66, v62, v63
	ds_read2_b64 v[62:65], v232 offset0:87 offset1:88
	s_waitcnt vmcnt(42) lgkmcnt(1)
	v_mul_f32_e32 v67, v58, v217
	v_fmac_f32_e32 v67, v59, v216
	v_add_f32_e32 v66, v66, v67
	s_waitcnt vmcnt(40)
	v_mul_f32_e32 v67, v60, v219
	v_fmac_f32_e32 v67, v61, v218
	v_add_f32_e32 v66, v66, v67
	s_waitcnt vmcnt(38) lgkmcnt(0)
	v_mul_f32_e32 v67, v62, v221
	v_fmac_f32_e32 v67, v63, v220
	v_add_f32_e32 v70, v66, v67
	ds_read2_b64 v[66:69], v232 offset0:89 offset1:90
	s_waitcnt vmcnt(36)
	v_mul_f32_e32 v71, v64, v223
	v_fmac_f32_e32 v71, v65, v222
	v_add_f32_e32 v74, v70, v71
	ds_read2_b64 v[70:73], v232 offset0:91 offset1:92
	s_waitcnt vmcnt(34) lgkmcnt(1)
	v_mul_f32_e32 v75, v66, v225
	v_fmac_f32_e32 v75, v67, v224
	v_add_f32_e32 v74, v74, v75
	v_mul_f32_e32 v31, v31, v48
	v_fma_f32 v30, v30, v132, -v31
	v_mul_f32_e32 v31, v33, v47
	v_add_f32_e32 v30, 0, v30
	v_fma_f32 v31, v32, v131, -v31
	v_mul_f32_e32 v27, v27, v49
	v_add_f32_e32 v30, v30, v31
	;; [unrolled: 3-line block ×4, first 2 shown]
	v_fma_f32 v22, v22, v135, -v23
	v_mul_f32_e32 v1, v25, v1
	s_waitcnt vmcnt(32)
	v_mul_f32_e32 v75, v68, v227
	v_fmac_f32_e32 v75, v69, v226
	v_add_f32_e32 v74, v74, v75
	s_waitcnt vmcnt(30) lgkmcnt(0)
	v_mul_f32_e32 v75, v70, v229
	v_fmac_f32_e32 v75, v71, v228
	v_add_f32_e32 v78, v74, v75
	ds_read2_b64 v[74:77], v232 offset0:93 offset1:94
	s_waitcnt vmcnt(28)
	v_mul_f32_e32 v79, v72, v231
	v_fmac_f32_e32 v79, v73, v230
	v_add_f32_e32 v82, v78, v79
	ds_read2_b64 v[78:81], v232 offset0:95 offset1:96
	s_waitcnt vmcnt(26) lgkmcnt(1)
	v_mul_f32_e32 v83, v74, v234
	v_fmac_f32_e32 v83, v75, v233
	v_add_f32_e32 v82, v82, v83
	s_waitcnt vmcnt(24)
	v_mul_f32_e32 v83, v76, v236
	v_fmac_f32_e32 v83, v77, v235
	v_add_f32_e32 v82, v82, v83
	s_waitcnt vmcnt(22) lgkmcnt(0)
	v_mul_f32_e32 v83, v78, v238
	v_fmac_f32_e32 v83, v79, v237
	v_add_f32_e32 v86, v82, v83
	ds_read2_b64 v[82:85], v232 offset0:97 offset1:98
	s_waitcnt vmcnt(20)
	v_mul_f32_e32 v87, v80, v240
	v_fmac_f32_e32 v87, v81, v239
	v_add_f32_e32 v90, v86, v87
	ds_read2_b64 v[86:89], v232 offset0:99 offset1:100
	s_waitcnt vmcnt(18) lgkmcnt(1)
	v_mul_f32_e32 v91, v82, v242
	v_fmac_f32_e32 v91, v83, v241
	v_add_f32_e32 v90, v90, v91
	s_waitcnt vmcnt(16)
	v_mul_f32_e32 v91, v84, v244
	v_fmac_f32_e32 v91, v85, v243
	v_add_f32_e32 v90, v90, v91
	s_waitcnt vmcnt(14) lgkmcnt(0)
	v_mul_f32_e32 v91, v86, v246
	v_fmac_f32_e32 v91, v87, v245
	v_add_f32_e32 v94, v90, v91
	ds_read2_b64 v[90:93], v232 offset0:101 offset1:102
	s_waitcnt vmcnt(12)
	v_mul_f32_e32 v95, v88, v248
	v_fmac_f32_e32 v95, v89, v247
	v_add_f32_e32 v98, v94, v95
	ds_read2_b64 v[94:97], v232 offset0:103 offset1:104
	buffer_load_dword v107, off, s[0:3], 0 offset:396
	buffer_load_dword v106, off, s[0:3], 0 offset:392
	s_waitcnt vmcnt(12) lgkmcnt(1)
	v_mul_f32_e32 v99, v90, v250
	v_fmac_f32_e32 v99, v91, v249
	v_add_f32_e32 v98, v98, v99
	s_waitcnt vmcnt(10)
	v_mul_f32_e32 v99, v92, v252
	v_fmac_f32_e32 v99, v93, v251
	v_add_f32_e32 v98, v98, v99
	s_waitcnt vmcnt(8) lgkmcnt(0)
	v_mul_f32_e32 v99, v94, v254
	v_fmac_f32_e32 v99, v95, v253
	s_waitcnt vmcnt(6)
	v_mul_f32_e32 v103, v96, v158
	v_add_f32_e32 v22, v26, v22
	v_fma_f32 v1, v24, v134, -v1
	v_mul_f32_e32 v19, v19, v44
	v_add_f32_e32 v102, v98, v99
	v_fmac_f32_e32 v103, v97, v255
	v_add_f32_e32 v1, v22, v1
	v_fma_f32 v18, v18, v133, -v19
	ds_read2_b64 v[98:101], v232 offset0:105 offset1:106
	v_add_f32_e32 v109, v102, v103
	ds_read2_b64 v[102:105], v232 offset0:107 offset1:108
	buffer_load_dword v115, off, s[0:3], 0 offset:428
	buffer_load_dword v114, off, s[0:3], 0 offset:424
	;; [unrolled: 1-line block ×14, first 2 shown]
	v_add_f32_e32 v1, v1, v18
	v_mul_f32_e32 v18, v21, v108
	v_fma_f32 v18, v20, v140, -v18
	v_mul_f32_e32 v15, v15, v110
	v_add_f32_e32 v1, v1, v18
	v_fma_f32 v14, v14, v139, -v15
	v_add_f32_e32 v1, v1, v14
	v_mul_f32_e32 v14, v17, v112
	v_fma_f32 v14, v16, v138, -v14
	v_mul_f32_e32 v7, v7, v128
	v_add_f32_e32 v1, v1, v14
	v_fma_f32 v6, v6, v137, -v7
	v_add_f32_e32 v1, v1, v6
	v_mul_f32_e32 v6, v9, v129
	v_fma_f32 v6, v8, v144, -v6
	v_add_f32_e32 v1, v1, v6
	v_mul_f32_e32 v6, v11, v145
	;; [unrolled: 3-line block ×3, first 2 shown]
	v_fma_f32 v6, v12, v142, -v6
	v_mul_f32_e32 v3, v3, v147
	v_add_f32_e32 v1, v1, v6
	v_fma_f32 v2, v2, v141, -v3
	v_add_f32_e32 v1, v1, v2
	v_mul_f32_e32 v2, v5, v149
	v_fma_f32 v2, v4, v148, -v2
	v_add_f32_e32 v1, v1, v2
	v_mul_f32_e32 v2, v35, v151
	;; [unrolled: 3-line block ×29, first 2 shown]
	v_fma_f32 v2, v96, v255, -v2
	s_waitcnt vmcnt(15)
	v_mov_b32_e32 v16, v107
	s_waitcnt lgkmcnt(1)
	v_mul_f32_e32 v111, v98, v160
	v_add_f32_e32 v108, v1, v2
	v_mul_f32_e32 v1, v99, v160
	s_waitcnt lgkmcnt(0)
	v_pk_mul_f32 v[16:17], v[102:103], v[16:17] op_sel_hi:[1,0]
	v_fmac_f32_e32 v111, v99, v159
	v_mul_f32_e32 v113, v100, v162
	v_fma_f32 v110, v98, v159, -v1
	v_mul_f32_e32 v1, v101, v162
	s_waitcnt vmcnt(14)
	v_pk_fma_f32 v[18:19], v[102:103], v[106:107], v[16:17] op_sel:[0,0,1] op_sel_hi:[1,1,0] neg_lo:[0,0,1] neg_hi:[0,0,1]
	v_pk_fma_f32 v[16:17], v[102:103], v[106:107], v[16:17] op_sel:[0,0,1] op_sel_hi:[1,0,0]
	v_fmac_f32_e32 v113, v101, v161
	v_fma_f32 v112, v100, v161, -v1
	v_pk_add_f32 v[14:15], v[108:109], v[110:111]
	s_waitcnt vmcnt(7)
	v_mov_b32_e32 v16, v121
	ds_read2_b64 v[2:5], v232 offset0:109 offset1:110
	ds_read2_b64 v[6:9], v232 offset0:111 offset1:112
	;; [unrolled: 1-line block ×3, first 2 shown]
	v_pk_add_f32 v[14:15], v[14:15], v[112:113]
	v_mov_b32_e32 v19, v17
	v_pk_mul_f32 v[16:17], v[104:105], v[16:17] op_sel_hi:[1,0]
	v_pk_add_f32 v[14:15], v[14:15], v[18:19]
	s_waitcnt vmcnt(6)
	v_pk_fma_f32 v[18:19], v[104:105], v[120:121], v[16:17] op_sel:[0,0,1] op_sel_hi:[1,1,0] neg_lo:[0,0,1] neg_hi:[0,0,1]
	v_pk_fma_f32 v[16:17], v[104:105], v[120:121], v[16:17] op_sel:[0,0,1] op_sel_hi:[1,0,0]
	v_mov_b32_e32 v16, v119
	v_mov_b32_e32 v19, v17
	s_waitcnt lgkmcnt(2)
	v_pk_mul_f32 v[16:17], v[2:3], v[16:17] op_sel_hi:[1,0]
	v_pk_add_f32 v[14:15], v[14:15], v[18:19]
	v_pk_fma_f32 v[18:19], v[2:3], v[118:119], v[16:17] op_sel:[0,0,1] op_sel_hi:[1,1,0] neg_lo:[0,0,1] neg_hi:[0,0,1]
	v_pk_fma_f32 v[2:3], v[2:3], v[118:119], v[16:17] op_sel:[0,0,1] op_sel_hi:[1,0,0]
	v_mov_b32_e32 v19, v3
	v_pk_add_f32 v[2:3], v[14:15], v[18:19]
	v_mov_b32_e32 v14, v117
	v_pk_mul_f32 v[14:15], v[4:5], v[14:15] op_sel_hi:[1,0]
	v_pk_fma_f32 v[16:17], v[4:5], v[116:117], v[14:15] op_sel:[0,0,1] op_sel_hi:[1,1,0] neg_lo:[0,0,1] neg_hi:[0,0,1]
	v_pk_fma_f32 v[4:5], v[4:5], v[116:117], v[14:15] op_sel:[0,0,1] op_sel_hi:[1,0,0]
	v_mov_b32_e32 v4, v115
	v_mov_b32_e32 v17, v5
	s_waitcnt lgkmcnt(1)
	v_pk_mul_f32 v[4:5], v[6:7], v[4:5] op_sel_hi:[1,0]
	v_pk_fma_f32 v[14:15], v[6:7], v[114:115], v[4:5] op_sel:[0,0,1] op_sel_hi:[1,1,0] neg_lo:[0,0,1] neg_hi:[0,0,1]
	v_pk_fma_f32 v[4:5], v[6:7], v[114:115], v[4:5] op_sel:[0,0,1] op_sel_hi:[1,0,0]
	s_waitcnt vmcnt(1)
	v_mov_b32_e32 v4, v127
	v_mov_b32_e32 v15, v5
	v_pk_mul_f32 v[4:5], v[8:9], v[4:5] op_sel_hi:[1,0]
	s_waitcnt vmcnt(0)
	v_pk_fma_f32 v[6:7], v[8:9], v[126:127], v[4:5] op_sel:[0,0,1] op_sel_hi:[1,1,0] neg_lo:[0,0,1] neg_hi:[0,0,1]
	v_pk_fma_f32 v[4:5], v[8:9], v[126:127], v[4:5] op_sel:[0,0,1] op_sel_hi:[1,0,0]
	v_pk_add_f32 v[2:3], v[2:3], v[16:17]
	v_mov_b32_e32 v4, v125
	v_pk_add_f32 v[2:3], v[2:3], v[14:15]
	v_mov_b32_e32 v7, v5
	s_waitcnt lgkmcnt(0)
	v_pk_mul_f32 v[4:5], v[10:11], v[4:5] op_sel_hi:[1,0]
	v_pk_add_f32 v[2:3], v[2:3], v[6:7]
	v_pk_fma_f32 v[6:7], v[10:11], v[124:125], v[4:5] op_sel:[0,0,1] op_sel_hi:[1,1,0] neg_lo:[0,0,1] neg_hi:[0,0,1]
	v_pk_fma_f32 v[4:5], v[10:11], v[124:125], v[4:5] op_sel:[0,0,1] op_sel_hi:[1,0,0]
	v_mov_b32_e32 v4, v123
	v_mov_b32_e32 v7, v5
	v_pk_mul_f32 v[4:5], v[12:13], v[4:5] op_sel_hi:[1,0]
	v_pk_add_f32 v[2:3], v[2:3], v[6:7]
	v_pk_fma_f32 v[6:7], v[12:13], v[122:123], v[4:5] op_sel:[0,0,1] op_sel_hi:[1,1,0] neg_lo:[0,0,1] neg_hi:[0,0,1]
	v_pk_fma_f32 v[4:5], v[12:13], v[122:123], v[4:5] op_sel:[0,0,1] op_sel_hi:[1,0,0]
	v_mov_b32_e32 v7, v5
	v_pk_add_f32 v[2:3], v[2:3], v[6:7]
	v_pk_add_f32 v[2:3], v[42:43], v[2:3] neg_lo:[0,1] neg_hi:[0,1]
	buffer_store_dword v3, off, s[0:3], 0 offset:20
	buffer_store_dword v2, off, s[0:3], 0 offset:16
	s_and_saveexec_b64 s[4:5], vcc
	s_cbranch_execz .LBB120_353
; %bb.352:
	buffer_load_dword v2, off, s[0:3], 0 offset:8
	buffer_load_dword v3, off, s[0:3], 0 offset:12
	v_mov_b32_e32 v1, 0
	buffer_store_dword v1, off, s[0:3], 0 offset:8
	buffer_store_dword v1, off, s[0:3], 0 offset:12
	s_waitcnt vmcnt(2)
	ds_write_b64 v165, v[2:3]
.LBB120_353:
	s_or_b64 exec, exec, s[4:5]
	s_waitcnt lgkmcnt(0)
	; wave barrier
	s_waitcnt lgkmcnt(0)
	buffer_load_dword v57, off, s[0:3], 0 offset:20
	buffer_load_dword v56, off, s[0:3], 0 offset:28
	;; [unrolled: 1-line block ×48, first 2 shown]
	v_mov_b32_e32 v52, 0
	ds_read_b128 v[22:25], v52 offset:480
	ds_read_b128 v[18:21], v52 offset:496
	;; [unrolled: 1-line block ×6, first 2 shown]
	v_cmp_ne_u32_e32 vcc, 0, v0
	s_waitcnt vmcnt(47) lgkmcnt(5)
	v_mul_f32_e32 v26, v22, v57
	s_waitcnt vmcnt(46)
	v_mul_f32_e32 v27, v24, v56
	s_waitcnt vmcnt(45) lgkmcnt(4)
	v_mul_f32_e32 v29, v20, v55
	s_waitcnt vmcnt(44) lgkmcnt(3)
	v_mul_f32_e32 v30, v14, v54
	s_waitcnt vmcnt(43)
	v_mul_f32_e32 v31, v16, v1
	s_waitcnt vmcnt(42)
	v_mul_f32_e32 v28, v18, v58
	s_waitcnt vmcnt(41) lgkmcnt(2)
	v_mul_f32_e32 v32, v10, v53
	s_waitcnt vmcnt(40)
	v_mul_f32_e32 v33, v12, v59
	s_waitcnt vmcnt(39) lgkmcnt(1)
	;; [unrolled: 4-line block ×3, first 2 shown]
	v_mul_f32_e32 v36, v2, v62
	s_waitcnt vmcnt(36)
	v_mul_f32_e32 v37, v4, v63
	s_waitcnt vmcnt(35)
	v_fmac_f32_e32 v28, v19, v69
	s_waitcnt vmcnt(34)
	v_fmac_f32_e32 v27, v25, v72
	;; [unrolled: 2-line block ×3, first 2 shown]
	v_add_f32_e32 v26, 0, v26
	v_add_f32_e32 v26, v26, v27
	;; [unrolled: 1-line block ×3, first 2 shown]
	s_waitcnt vmcnt(29)
	v_fmac_f32_e32 v29, v21, v74
	v_fmac_f32_e32 v30, v15, v71
	v_add_f32_e32 v26, v26, v29
	v_fmac_f32_e32 v31, v17, v68
	v_add_f32_e32 v26, v26, v30
	;; [unrolled: 2-line block ×3, first 2 shown]
	s_waitcnt vmcnt(25)
	v_fmac_f32_e32 v33, v13, v70
	v_add_f32_e32 v26, v26, v32
	v_fmac_f32_e32 v34, v7, v67
	v_add_f32_e32 v26, v26, v33
	;; [unrolled: 2-line block ×4, first 2 shown]
	s_waitcnt vmcnt(21)
	v_fmac_f32_e32 v37, v5, v81
	v_add_f32_e32 v30, v30, v36
	ds_read_b128 v[26:29], v52 offset:576
	v_add_f32_e32 v34, v30, v37
	ds_read_b128 v[30:33], v52 offset:592
	buffer_load_dword v153, off, s[0:3], 0 offset:200
	buffer_load_dword v154, off, s[0:3], 0 offset:204
	;; [unrolled: 1-line block ×6, first 2 shown]
	s_waitcnt vmcnt(26) lgkmcnt(1)
	v_mul_f32_e32 v35, v26, v80
	v_fmac_f32_e32 v35, v27, v78
	buffer_load_dword v159, off, s[0:3], 0 offset:224
	buffer_load_dword v160, off, s[0:3], 0 offset:228
	v_add_f32_e32 v34, v34, v35
	s_waitcnt vmcnt(27)
	v_mul_f32_e32 v35, v28, v79
	v_fmac_f32_e32 v35, v29, v76
	v_add_f32_e32 v34, v34, v35
	s_waitcnt vmcnt(26) lgkmcnt(0)
	v_mul_f32_e32 v35, v30, v77
	v_fmac_f32_e32 v35, v31, v73
	buffer_load_dword v161, off, s[0:3], 0 offset:232
	buffer_load_dword v162, off, s[0:3], 0 offset:236
	v_add_f32_e32 v34, v34, v35
	s_waitcnt vmcnt(21)
	v_mul_f32_e32 v35, v32, v138
	s_waitcnt vmcnt(20)
	v_fmac_f32_e32 v35, v33, v140
	v_add_f32_e32 v42, v34, v35
	ds_read_b128 v[34:37], v52 offset:608
	buffer_load_dword v163, off, s[0:3], 0 offset:240
	buffer_load_dword v220, off, s[0:3], 0 offset:244
	ds_read_b128 v[38:41], v52 offset:624
	buffer_load_dword v221, off, s[0:3], 0 offset:248
	buffer_load_dword v222, off, s[0:3], 0 offset:252
	;; [unrolled: 1-line block ×12, first 2 shown]
	s_waitcnt lgkmcnt(1)
	v_mul_f32_e32 v43, v34, v83
	v_fmac_f32_e32 v43, v35, v82
	buffer_load_dword v233, off, s[0:3], 0 offset:296
	buffer_load_dword v234, off, s[0:3], 0 offset:300
	v_add_f32_e32 v42, v42, v43
	v_mul_f32_e32 v43, v36, v85
	v_fmac_f32_e32 v43, v37, v84
	v_add_f32_e32 v42, v42, v43
	s_waitcnt lgkmcnt(0)
	v_mul_f32_e32 v43, v38, v87
	buffer_load_dword v235, off, s[0:3], 0 offset:304
	buffer_load_dword v236, off, s[0:3], 0 offset:308
	v_fmac_f32_e32 v43, v39, v86
	v_add_f32_e32 v46, v42, v43
	ds_read_b128 v[42:45], v52 offset:640
	buffer_load_dword v237, off, s[0:3], 0 offset:312
	buffer_load_dword v238, off, s[0:3], 0 offset:316
	;; [unrolled: 1-line block ×4, first 2 shown]
	s_waitcnt vmcnt(38)
	v_mul_f32_e32 v47, v40, v146
	v_fmac_f32_e32 v47, v41, v88
	v_add_f32_e32 v89, v46, v47
	ds_read_b128 v[46:49], v52 offset:656
	buffer_load_dword v241, off, s[0:3], 0 offset:328
	buffer_load_dword v242, off, s[0:3], 0 offset:332
	;; [unrolled: 1-line block ×10, first 2 shown]
	s_waitcnt vmcnt(46) lgkmcnt(1)
	v_mul_f32_e32 v90, v42, v148
	v_fmac_f32_e32 v90, v43, v147
	v_add_f32_e32 v89, v89, v90
	s_waitcnt vmcnt(44)
	v_mul_f32_e32 v90, v44, v150
	v_fmac_f32_e32 v90, v45, v149
	v_add_f32_e32 v89, v89, v90
	s_waitcnt vmcnt(42) lgkmcnt(0)
	v_mul_f32_e32 v90, v46, v152
	v_fmac_f32_e32 v90, v47, v151
	v_add_f32_e32 v89, v89, v90
	buffer_load_dword v251, off, s[0:3], 0 offset:368
	buffer_load_dword v252, off, s[0:3], 0 offset:372
	;; [unrolled: 1-line block ×6, first 2 shown]
	ds_read_b128 v[90:93], v52 offset:672
	v_mul_f32_e32 v23, v23, v57
	v_fma_f32 v22, v22, v75, -v23
	v_mul_f32_e32 v23, v25, v56
	v_add_f32_e32 v22, 0, v22
	v_fma_f32 v23, v24, v72, -v23
	v_mul_f32_e32 v19, v19, v58
	v_add_f32_e32 v22, v22, v23
	;; [unrolled: 3-line block ×6, first 2 shown]
	v_fma_f32 v10, v10, v66, -v11
	s_waitcnt vmcnt(46)
	v_mul_f32_e32 v94, v48, v154
	v_fmac_f32_e32 v94, v49, v153
	v_add_f32_e32 v89, v89, v94
	ds_read_b128 v[94:97], v52 offset:688
	s_waitcnt vmcnt(44) lgkmcnt(1)
	v_mul_f32_e32 v98, v90, v156
	v_fmac_f32_e32 v98, v91, v155
	v_add_f32_e32 v89, v89, v98
	s_waitcnt vmcnt(42)
	v_mul_f32_e32 v98, v92, v158
	v_fmac_f32_e32 v98, v93, v157
	v_add_f32_e32 v89, v89, v98
	s_waitcnt vmcnt(40) lgkmcnt(0)
	v_mul_f32_e32 v98, v94, v160
	v_fmac_f32_e32 v98, v95, v159
	v_add_f32_e32 v89, v89, v98
	ds_read_b128 v[98:101], v52 offset:704
	s_waitcnt vmcnt(38)
	v_mul_f32_e32 v102, v96, v162
	v_fmac_f32_e32 v102, v97, v161
	v_add_f32_e32 v89, v89, v102
	ds_read_b128 v[102:105], v52 offset:720
	s_waitcnt vmcnt(36) lgkmcnt(1)
	v_mul_f32_e32 v106, v98, v220
	v_fmac_f32_e32 v106, v99, v163
	v_add_f32_e32 v89, v89, v106
	s_waitcnt vmcnt(34)
	v_mul_f32_e32 v106, v100, v222
	v_fmac_f32_e32 v106, v101, v221
	v_add_f32_e32 v89, v89, v106
	s_waitcnt vmcnt(32) lgkmcnt(0)
	v_mul_f32_e32 v106, v102, v224
	v_fmac_f32_e32 v106, v103, v223
	v_add_f32_e32 v89, v89, v106
	ds_read_b128 v[106:109], v52 offset:736
	;; [unrolled: 18-line block ×4, first 2 shown]
	s_waitcnt vmcnt(14)
	v_mul_f32_e32 v126, v120, v242
	v_fmac_f32_e32 v126, v121, v241
	v_add_f32_e32 v89, v89, v126
	ds_read_b128 v[126:129], v52 offset:816
	s_waitcnt vmcnt(12) lgkmcnt(1)
	v_mul_f32_e32 v130, v122, v244
	v_fmac_f32_e32 v130, v123, v243
	v_add_f32_e32 v89, v89, v130
	s_waitcnt vmcnt(10)
	v_mul_f32_e32 v130, v124, v246
	v_fmac_f32_e32 v130, v125, v245
	v_add_f32_e32 v89, v89, v130
	s_waitcnt vmcnt(8) lgkmcnt(0)
	v_mul_f32_e32 v130, v126, v248
	v_fmac_f32_e32 v130, v127, v247
	s_waitcnt vmcnt(6)
	v_mul_f32_e32 v134, v128, v250
	v_add_f32_e32 v1, v1, v10
	v_mul_f32_e32 v10, v13, v59
	v_add_f32_e32 v89, v89, v130
	v_fmac_f32_e32 v134, v129, v249
	v_fma_f32 v10, v12, v70, -v10
	v_mul_f32_e32 v7, v7, v60
	ds_read_b128 v[130:133], v52 offset:832
	v_add_f32_e32 v89, v89, v134
	ds_read_b128 v[134:137], v52 offset:848
	buffer_load_dword v143, off, s[0:3], 0 offset:420
	buffer_load_dword v142, off, s[0:3], 0 offset:416
	;; [unrolled: 1-line block ×16, first 2 shown]
	v_add_f32_e32 v1, v1, v10
	v_fma_f32 v6, v6, v67, -v7
	v_add_f32_e32 v1, v1, v6
	v_mul_f32_e32 v6, v9, v61
	v_fma_f32 v6, v8, v65, -v6
	v_mul_f32_e32 v3, v3, v62
	v_add_f32_e32 v1, v1, v6
	v_fma_f32 v2, v2, v64, -v3
	v_add_f32_e32 v1, v1, v2
	v_mul_f32_e32 v2, v5, v63
	v_fma_f32 v2, v4, v81, -v2
	v_add_f32_e32 v1, v1, v2
	v_mul_f32_e32 v2, v27, v80
	;; [unrolled: 3-line block ×33, first 2 shown]
	v_fma_f32 v2, v128, v249, -v2
	s_waitcnt vmcnt(20) lgkmcnt(1)
	v_mul_f32_e32 v139, v130, v252
	v_add_f32_e32 v1, v1, v2
	v_mul_f32_e32 v2, v131, v252
	v_fmac_f32_e32 v139, v131, v251
	v_fma_f32 v2, v130, v251, -v2
	s_waitcnt vmcnt(9)
	v_mov_b32_e32 v18, v211
	v_add_f32_e32 v89, v89, v139
	v_mul_f32_e32 v139, v132, v254
	v_add_f32_e32 v88, v1, v2
	v_mul_f32_e32 v1, v133, v254
	s_waitcnt lgkmcnt(0)
	v_pk_mul_f32 v[18:19], v[136:137], v[18:19] op_sel_hi:[1,0]
	v_fmac_f32_e32 v139, v133, v253
	v_mul_f32_e32 v141, v134, v164
	v_fma_f32 v138, v132, v253, -v1
	v_mul_f32_e32 v1, v135, v164
	ds_read_b128 v[2:5], v52 offset:864
	ds_read_b128 v[6:9], v52 offset:880
	;; [unrolled: 1-line block ×3, first 2 shown]
	ds_read_b64 v[14:15], v52 offset:912
	s_waitcnt vmcnt(8)
	v_pk_fma_f32 v[20:21], v[136:137], v[210:211], v[18:19] op_sel:[0,0,1] op_sel_hi:[1,1,0] neg_lo:[0,0,1] neg_hi:[0,0,1]
	v_pk_fma_f32 v[18:19], v[136:137], v[210:211], v[18:19] op_sel:[0,0,1] op_sel_hi:[1,0,0]
	v_fmac_f32_e32 v141, v135, v255
	v_fma_f32 v140, v134, v255, -v1
	v_pk_add_f32 v[16:17], v[88:89], v[138:139]
	v_mov_b32_e32 v18, v209
	v_pk_add_f32 v[16:17], v[16:17], v[140:141]
	v_mov_b32_e32 v21, v19
	s_waitcnt lgkmcnt(3)
	v_pk_mul_f32 v[18:19], v[2:3], v[18:19] op_sel_hi:[1,0]
	v_pk_add_f32 v[16:17], v[16:17], v[20:21]
	v_pk_fma_f32 v[20:21], v[2:3], v[208:209], v[18:19] op_sel:[0,0,1] op_sel_hi:[1,1,0] neg_lo:[0,0,1] neg_hi:[0,0,1]
	v_pk_fma_f32 v[2:3], v[2:3], v[208:209], v[18:19] op_sel:[0,0,1] op_sel_hi:[1,0,0]
	v_mov_b32_e32 v21, v3
	v_pk_add_f32 v[2:3], v[16:17], v[20:21]
	v_mov_b32_e32 v16, v145
	v_pk_mul_f32 v[16:17], v[4:5], v[16:17] op_sel_hi:[1,0]
	v_pk_fma_f32 v[18:19], v[4:5], v[144:145], v[16:17] op_sel:[0,0,1] op_sel_hi:[1,1,0] neg_lo:[0,0,1] neg_hi:[0,0,1]
	v_pk_fma_f32 v[4:5], v[4:5], v[144:145], v[16:17] op_sel:[0,0,1] op_sel_hi:[1,0,0]
	v_mov_b32_e32 v4, v143
	v_mov_b32_e32 v19, v5
	s_waitcnt lgkmcnt(2)
	v_pk_mul_f32 v[4:5], v[6:7], v[4:5] op_sel_hi:[1,0]
	v_pk_fma_f32 v[16:17], v[6:7], v[142:143], v[4:5] op_sel:[0,0,1] op_sel_hi:[1,1,0] neg_lo:[0,0,1] neg_hi:[0,0,1]
	v_pk_fma_f32 v[4:5], v[6:7], v[142:143], v[4:5] op_sel:[0,0,1] op_sel_hi:[1,0,0]
	s_waitcnt vmcnt(1)
	v_mov_b32_e32 v4, v219
	v_mov_b32_e32 v17, v5
	v_pk_mul_f32 v[4:5], v[8:9], v[4:5] op_sel_hi:[1,0]
	s_waitcnt vmcnt(0)
	v_pk_fma_f32 v[6:7], v[8:9], v[218:219], v[4:5] op_sel:[0,0,1] op_sel_hi:[1,1,0] neg_lo:[0,0,1] neg_hi:[0,0,1]
	v_pk_fma_f32 v[4:5], v[8:9], v[218:219], v[4:5] op_sel:[0,0,1] op_sel_hi:[1,0,0]
	v_pk_add_f32 v[2:3], v[2:3], v[18:19]
	v_mov_b32_e32 v4, v217
	v_pk_add_f32 v[2:3], v[2:3], v[16:17]
	v_mov_b32_e32 v7, v5
	s_waitcnt lgkmcnt(1)
	v_pk_mul_f32 v[4:5], v[10:11], v[4:5] op_sel_hi:[1,0]
	v_pk_add_f32 v[2:3], v[2:3], v[6:7]
	v_pk_fma_f32 v[6:7], v[10:11], v[216:217], v[4:5] op_sel:[0,0,1] op_sel_hi:[1,1,0] neg_lo:[0,0,1] neg_hi:[0,0,1]
	v_pk_fma_f32 v[4:5], v[10:11], v[216:217], v[4:5] op_sel:[0,0,1] op_sel_hi:[1,0,0]
	v_mov_b32_e32 v4, v215
	v_mov_b32_e32 v7, v5
	v_pk_mul_f32 v[4:5], v[12:13], v[4:5] op_sel_hi:[1,0]
	v_pk_add_f32 v[2:3], v[2:3], v[6:7]
	v_pk_fma_f32 v[6:7], v[12:13], v[214:215], v[4:5] op_sel:[0,0,1] op_sel_hi:[1,1,0] neg_lo:[0,0,1] neg_hi:[0,0,1]
	v_pk_fma_f32 v[4:5], v[12:13], v[214:215], v[4:5] op_sel:[0,0,1] op_sel_hi:[1,0,0]
	v_mov_b32_e32 v4, v213
	v_mov_b32_e32 v7, v5
	s_waitcnt lgkmcnt(0)
	v_pk_mul_f32 v[4:5], v[14:15], v[4:5] op_sel_hi:[1,0]
	v_pk_add_f32 v[2:3], v[2:3], v[6:7]
	v_pk_fma_f32 v[6:7], v[14:15], v[212:213], v[4:5] op_sel:[0,0,1] op_sel_hi:[1,1,0] neg_lo:[0,0,1] neg_hi:[0,0,1]
	v_pk_fma_f32 v[4:5], v[14:15], v[212:213], v[4:5] op_sel:[0,0,1] op_sel_hi:[1,0,0]
	v_mov_b32_e32 v7, v5
	v_pk_add_f32 v[2:3], v[2:3], v[6:7]
	v_pk_add_f32 v[2:3], v[50:51], v[2:3] neg_lo:[0,1] neg_hi:[0,1]
	buffer_store_dword v3, off, s[0:3], 0 offset:12
	buffer_store_dword v2, off, s[0:3], 0 offset:8
	s_and_saveexec_b64 s[4:5], vcc
	s_cbranch_execz .LBB120_355
; %bb.354:
	buffer_load_dword v0, off, s[0:3], 0
	buffer_load_dword v1, off, s[0:3], 0 offset:4
	s_waitcnt vmcnt(0)
	ds_write_b64 v165, v[0:1]
	buffer_store_dword v52, off, s[0:3], 0
	buffer_store_dword v52, off, s[0:3], 0 offset:4
.LBB120_355:
	s_or_b64 exec, exec, s[4:5]
	s_waitcnt lgkmcnt(0)
	; wave barrier
	s_waitcnt lgkmcnt(0)
	buffer_load_dword v56, off, s[0:3], 0 offset:12
	buffer_load_dword v55, off, s[0:3], 0 offset:20
	;; [unrolled: 1-line block ×38, first 2 shown]
	buffer_load_dword v48, off, s[0:3], 0
	buffer_load_dword v49, off, s[0:3], 0 offset:4
	ds_read2_b64 v[24:27], v52 offset0:59 offset1:60
	ds_read2_b64 v[20:23], v52 offset0:61 offset1:62
	ds_read2_b64 v[16:19], v52 offset0:63 offset1:64
	ds_read2_b64 v[12:15], v52 offset0:65 offset1:66
	ds_read2_b64 v[8:11], v52 offset0:67 offset1:68
	ds_read2_b64 v[4:7], v52 offset0:69 offset1:70
	ds_read2_b64 v[0:3], v52 offset0:71 offset1:72
	buffer_load_dword v89, off, s[0:3], 0 offset:160
	buffer_load_dword v90, off, s[0:3], 0 offset:164
	;; [unrolled: 1-line block ×10, first 2 shown]
	s_and_b64 vcc, exec, s[16:17]
	s_waitcnt vmcnt(49) lgkmcnt(6)
	v_mul_f32_e32 v28, v24, v56
	s_waitcnt vmcnt(48)
	v_mul_f32_e32 v29, v26, v55
	s_waitcnt vmcnt(47) lgkmcnt(5)
	v_mul_f32_e32 v31, v22, v54
	s_waitcnt vmcnt(46) lgkmcnt(4)
	v_mul_f32_e32 v32, v16, v53
	s_waitcnt vmcnt(45)
	v_mul_f32_e32 v33, v18, v50
	s_waitcnt vmcnt(44)
	v_mul_f32_e32 v30, v20, v57
	s_waitcnt vmcnt(43) lgkmcnt(3)
	v_mul_f32_e32 v34, v12, v51
	s_waitcnt vmcnt(42)
	v_mul_f32_e32 v35, v14, v58
	s_waitcnt vmcnt(41) lgkmcnt(2)
	;; [unrolled: 4-line block ×3, first 2 shown]
	v_mul_f32_e32 v38, v4, v61
	s_waitcnt vmcnt(38)
	v_mul_f32_e32 v39, v6, v62
	s_waitcnt vmcnt(37)
	v_fmac_f32_e32 v30, v21, v68
	s_waitcnt vmcnt(36)
	v_fmac_f32_e32 v29, v27, v71
	;; [unrolled: 2-line block ×3, first 2 shown]
	v_add_f32_e32 v28, 0, v28
	v_add_f32_e32 v28, v28, v29
	;; [unrolled: 1-line block ×3, first 2 shown]
	s_waitcnt vmcnt(31)
	v_fmac_f32_e32 v31, v23, v73
	v_fmac_f32_e32 v32, v17, v70
	v_add_f32_e32 v28, v28, v31
	v_fmac_f32_e32 v33, v19, v67
	v_add_f32_e32 v28, v28, v32
	v_fmac_f32_e32 v34, v13, v65
	v_add_f32_e32 v28, v28, v33
	s_waitcnt vmcnt(27)
	v_fmac_f32_e32 v35, v15, v69
	v_add_f32_e32 v28, v28, v34
	v_fmac_f32_e32 v36, v9, v66
	v_add_f32_e32 v28, v28, v35
	;; [unrolled: 2-line block ×4, first 2 shown]
	s_waitcnt vmcnt(23)
	v_fmac_f32_e32 v39, v7, v80
	v_add_f32_e32 v28, v28, v38
	v_add_f32_e32 v32, v28, v39
	ds_read2_b64 v[28:31], v52 offset0:73 offset1:74
	buffer_load_dword v149, off, s[0:3], 0 offset:200
	buffer_load_dword v150, off, s[0:3], 0 offset:204
	s_waitcnt vmcnt(24) lgkmcnt(1)
	v_mul_f32_e32 v33, v0, v79
	buffer_load_dword v151, off, s[0:3], 0 offset:208
	buffer_load_dword v152, off, s[0:3], 0 offset:212
	v_fmac_f32_e32 v33, v1, v77
	v_add_f32_e32 v32, v32, v33
	s_waitcnt vmcnt(25)
	v_mul_f32_e32 v33, v2, v78
	buffer_load_dword v153, off, s[0:3], 0 offset:216
	buffer_load_dword v154, off, s[0:3], 0 offset:220
	v_fmac_f32_e32 v33, v3, v75
	v_add_f32_e32 v32, v32, v33
	s_waitcnt vmcnt(26) lgkmcnt(0)
	v_mul_f32_e32 v33, v28, v76
	v_fmac_f32_e32 v33, v29, v72
	v_add_f32_e32 v36, v32, v33
	ds_read2_b64 v[32:35], v52 offset0:75 offset1:76
	buffer_load_dword v155, off, s[0:3], 0 offset:224
	buffer_load_dword v156, off, s[0:3], 0 offset:228
	s_waitcnt vmcnt(21)
	v_mul_f32_e32 v37, v30, v88
	s_waitcnt vmcnt(20)
	v_fmac_f32_e32 v37, v31, v87
	v_add_f32_e32 v40, v36, v37
	ds_read2_b64 v[36:39], v52 offset0:77 offset1:78
	buffer_load_dword v157, off, s[0:3], 0 offset:232
	buffer_load_dword v158, off, s[0:3], 0 offset:236
	;; [unrolled: 1-line block ×12, first 2 shown]
	s_waitcnt lgkmcnt(1)
	v_mul_f32_e32 v41, v32, v82
	v_fmac_f32_e32 v41, v33, v81
	buffer_load_dword v228, off, s[0:3], 0 offset:280
	buffer_load_dword v229, off, s[0:3], 0 offset:284
	v_add_f32_e32 v40, v40, v41
	v_mul_f32_e32 v41, v34, v84
	v_fmac_f32_e32 v41, v35, v83
	v_add_f32_e32 v40, v40, v41
	s_waitcnt lgkmcnt(0)
	v_mul_f32_e32 v41, v36, v86
	v_fmac_f32_e32 v41, v37, v85
	buffer_load_dword v230, off, s[0:3], 0 offset:288
	buffer_load_dword v231, off, s[0:3], 0 offset:292
	v_add_f32_e32 v40, v40, v41
	s_waitcnt vmcnt(32)
	v_mul_f32_e32 v41, v38, v90
	v_fmac_f32_e32 v41, v39, v89
	v_add_f32_e32 v94, v40, v41
	ds_read2_b64 v[40:43], v52 offset0:79 offset1:80
	buffer_load_dword v232, off, s[0:3], 0 offset:296
	buffer_load_dword v233, off, s[0:3], 0 offset:300
	ds_read2_b64 v[44:47], v52 offset0:81 offset1:82
	buffer_load_dword v234, off, s[0:3], 0 offset:304
	buffer_load_dword v235, off, s[0:3], 0 offset:308
	;; [unrolled: 1-line block ×14, first 2 shown]
	s_waitcnt vmcnt(46) lgkmcnt(1)
	v_mul_f32_e32 v95, v40, v92
	v_fmac_f32_e32 v95, v41, v91
	v_add_f32_e32 v94, v94, v95
	s_waitcnt vmcnt(44)
	v_mul_f32_e32 v95, v42, v142
	v_fmac_f32_e32 v95, v43, v93
	v_add_f32_e32 v94, v94, v95
	s_waitcnt vmcnt(42) lgkmcnt(0)
	v_mul_f32_e32 v95, v44, v146
	v_fmac_f32_e32 v95, v45, v144
	v_add_f32_e32 v98, v94, v95
	buffer_load_dword v248, off, s[0:3], 0 offset:360
	buffer_load_dword v249, off, s[0:3], 0 offset:364
	ds_read2_b64 v[94:97], v52 offset0:83 offset1:84
	s_waitcnt vmcnt(42)
	v_mul_f32_e32 v99, v46, v148
	v_fmac_f32_e32 v99, v47, v147
	buffer_load_dword v250, off, s[0:3], 0 offset:368
	buffer_load_dword v251, off, s[0:3], 0 offset:372
	v_add_f32_e32 v102, v98, v99
	buffer_load_dword v252, off, s[0:3], 0 offset:376
	buffer_load_dword v253, off, s[0:3], 0 offset:380
	ds_read2_b64 v[98:101], v52 offset0:85 offset1:86
	buffer_load_dword v254, off, s[0:3], 0 offset:384
	buffer_load_dword v255, off, s[0:3], 0 offset:388
	v_mul_f32_e32 v25, v25, v56
	v_fma_f32 v24, v24, v74, -v25
	v_mul_f32_e32 v25, v27, v55
	v_add_f32_e32 v24, 0, v24
	v_fma_f32 v25, v26, v71, -v25
	v_mul_f32_e32 v21, v21, v57
	v_add_f32_e32 v24, v24, v25
	v_fma_f32 v20, v20, v68, -v21
	v_mul_f32_e32 v21, v23, v54
	v_add_f32_e32 v20, v24, v20
	v_fma_f32 v21, v22, v73, -v21
	v_mul_f32_e32 v17, v17, v53
	v_add_f32_e32 v20, v20, v21
	v_fma_f32 v16, v16, v70, -v17
	s_waitcnt vmcnt(46) lgkmcnt(1)
	v_mul_f32_e32 v103, v94, v150
	v_fmac_f32_e32 v103, v95, v149
	v_add_f32_e32 v102, v102, v103
	s_waitcnt vmcnt(44)
	v_mul_f32_e32 v103, v96, v152
	v_fmac_f32_e32 v103, v97, v151
	v_add_f32_e32 v102, v102, v103
	s_waitcnt vmcnt(42) lgkmcnt(0)
	v_mul_f32_e32 v103, v98, v154
	v_fmac_f32_e32 v103, v99, v153
	v_add_f32_e32 v106, v102, v103
	ds_read2_b64 v[102:105], v52 offset0:87 offset1:88
	v_mul_f32_e32 v17, v19, v50
	v_add_f32_e32 v16, v20, v16
	v_fma_f32 v17, v18, v67, -v17
	s_waitcnt vmcnt(40)
	v_mul_f32_e32 v107, v100, v156
	v_fmac_f32_e32 v107, v101, v155
	v_add_f32_e32 v110, v106, v107
	ds_read2_b64 v[106:109], v52 offset0:89 offset1:90
	v_mul_f32_e32 v13, v13, v51
	s_waitcnt vmcnt(38) lgkmcnt(1)
	v_mul_f32_e32 v111, v102, v158
	v_fmac_f32_e32 v111, v103, v157
	v_add_f32_e32 v110, v110, v111
	s_waitcnt vmcnt(36)
	v_mul_f32_e32 v111, v104, v160
	v_fmac_f32_e32 v111, v105, v159
	v_add_f32_e32 v110, v110, v111
	s_waitcnt vmcnt(34) lgkmcnt(0)
	v_mul_f32_e32 v111, v106, v162
	v_fmac_f32_e32 v111, v107, v161
	v_add_f32_e32 v114, v110, v111
	ds_read2_b64 v[110:113], v52 offset0:91 offset1:92
	s_waitcnt vmcnt(32)
	v_mul_f32_e32 v115, v108, v164
	v_fmac_f32_e32 v115, v109, v163
	v_add_f32_e32 v118, v114, v115
	ds_read2_b64 v[114:117], v52 offset0:93 offset1:94
	s_waitcnt vmcnt(30) lgkmcnt(1)
	v_mul_f32_e32 v119, v110, v214
	v_fmac_f32_e32 v119, v111, v165
	v_add_f32_e32 v118, v118, v119
	s_waitcnt vmcnt(28)
	v_mul_f32_e32 v119, v112, v227
	v_fmac_f32_e32 v119, v113, v226
	v_add_f32_e32 v118, v118, v119
	s_waitcnt vmcnt(26) lgkmcnt(0)
	v_mul_f32_e32 v119, v114, v229
	v_fmac_f32_e32 v119, v115, v228
	v_add_f32_e32 v122, v118, v119
	ds_read2_b64 v[118:121], v52 offset0:95 offset1:96
	s_waitcnt vmcnt(24)
	v_mul_f32_e32 v123, v116, v231
	v_fmac_f32_e32 v123, v117, v230
	v_add_f32_e32 v126, v122, v123
	ds_read2_b64 v[122:125], v52 offset0:97 offset1:98
	;; [unrolled: 18-line block ×3, first 2 shown]
	s_waitcnt vmcnt(14) lgkmcnt(1)
	v_mul_f32_e32 v135, v126, v241
	v_fmac_f32_e32 v135, v127, v240
	v_add_f32_e32 v134, v134, v135
	s_waitcnt vmcnt(12)
	v_mul_f32_e32 v135, v128, v243
	v_fmac_f32_e32 v135, v129, v242
	v_add_f32_e32 v134, v134, v135
	s_waitcnt vmcnt(10) lgkmcnt(0)
	v_mul_f32_e32 v135, v130, v245
	v_fmac_f32_e32 v135, v131, v244
	s_waitcnt vmcnt(8)
	v_mul_f32_e32 v139, v132, v247
	v_add_f32_e32 v138, v134, v135
	v_fmac_f32_e32 v139, v133, v246
	ds_read2_b64 v[134:137], v52 offset0:103 offset1:104
	v_add_f32_e32 v143, v138, v139
	ds_read2_b64 v[138:141], v52 offset0:105 offset1:106
	buffer_load_dword v209, off, s[0:3], 0 offset:412
	buffer_load_dword v208, off, s[0:3], 0 offset:408
	;; [unrolled: 1-line block ×6, first 2 shown]
	v_add_f32_e32 v16, v16, v17
	v_fma_f32 v12, v12, v65, -v13
	v_mul_f32_e32 v13, v15, v58
	v_add_f32_e32 v12, v16, v12
	v_fma_f32 v13, v14, v69, -v13
	v_mul_f32_e32 v9, v9, v59
	v_add_f32_e32 v12, v12, v13
	v_fma_f32 v8, v8, v66, -v9
	v_mul_f32_e32 v9, v11, v60
	v_add_f32_e32 v8, v12, v8
	v_fma_f32 v9, v10, v64, -v9
	v_mul_f32_e32 v5, v5, v61
	v_add_f32_e32 v8, v8, v9
	v_fma_f32 v4, v4, v63, -v5
	v_mul_f32_e32 v5, v7, v62
	v_add_f32_e32 v4, v8, v4
	v_fma_f32 v5, v6, v80, -v5
	v_mul_f32_e32 v1, v1, v79
	v_add_f32_e32 v4, v4, v5
	v_fma_f32 v0, v0, v77, -v1
	v_mul_f32_e32 v1, v3, v78
	v_add_f32_e32 v0, v4, v0
	v_fma_f32 v1, v2, v75, -v1
	buffer_load_dword v217, off, s[0:3], 0 offset:444
	buffer_load_dword v216, off, s[0:3], 0 offset:440
	;; [unrolled: 1-line block ×10, first 2 shown]
	v_add_f32_e32 v0, v0, v1
	v_mul_f32_e32 v1, v29, v76
	v_fma_f32 v1, v28, v72, -v1
	v_add_f32_e32 v0, v0, v1
	v_mul_f32_e32 v1, v31, v88
	v_fma_f32 v1, v30, v87, -v1
	;; [unrolled: 3-line block ×30, first 2 shown]
	v_add_f32_e32 v0, v0, v1
	s_waitcnt vmcnt(22) lgkmcnt(1)
	v_mul_f32_e32 v1, v135, v249
	v_fma_f32 v1, v134, v248, -v1
	v_add_f32_e32 v0, v0, v1
	s_waitcnt vmcnt(20)
	v_mul_f32_e32 v1, v137, v251
	v_mul_f32_e32 v145, v134, v249
	v_fma_f32 v1, v136, v250, -v1
	v_fmac_f32_e32 v145, v135, v248
	v_add_f32_e32 v142, v0, v1
	s_waitcnt vmcnt(18) lgkmcnt(0)
	v_mul_f32_e32 v0, v139, v253
	v_add_f32_e32 v143, v143, v145
	v_mul_f32_e32 v145, v136, v251
	v_fma_f32 v144, v138, v252, -v0
	s_waitcnt vmcnt(16)
	v_mul_f32_e32 v0, v141, v255
	v_fmac_f32_e32 v145, v137, v250
	v_fma_f32 v214, v140, v254, -v0
	ds_read2_b64 v[0:3], v52 offset0:107 offset1:108
	ds_read2_b64 v[4:7], v52 offset0:109 offset1:110
	;; [unrolled: 1-line block ×4, first 2 shown]
	v_add_f32_e32 v143, v143, v145
	v_mul_f32_e32 v145, v138, v253
	s_waitcnt vmcnt(11)
	v_mov_b32_e32 v18, v213
	v_fmac_f32_e32 v145, v139, v252
	v_mul_f32_e32 v215, v140, v255
	s_waitcnt lgkmcnt(3)
	v_pk_mul_f32 v[18:19], v[0:1], v[18:19] op_sel_hi:[1,0]
	v_fmac_f32_e32 v215, v141, v254
	v_pk_add_f32 v[16:17], v[142:143], v[144:145]
	s_waitcnt vmcnt(10)
	v_pk_fma_f32 v[20:21], v[0:1], v[212:213], v[18:19] op_sel:[0,0,1] op_sel_hi:[1,1,0] neg_lo:[0,0,1] neg_hi:[0,0,1]
	v_pk_fma_f32 v[0:1], v[0:1], v[212:213], v[18:19] op_sel:[0,0,1] op_sel_hi:[1,0,0]
	v_pk_add_f32 v[16:17], v[16:17], v[214:215]
	v_mov_b32_e32 v21, v1
	v_pk_add_f32 v[0:1], v[16:17], v[20:21]
	v_mov_b32_e32 v16, v211
	v_pk_mul_f32 v[16:17], v[2:3], v[16:17] op_sel_hi:[1,0]
	v_pk_fma_f32 v[18:19], v[2:3], v[210:211], v[16:17] op_sel:[0,0,1] op_sel_hi:[1,1,0] neg_lo:[0,0,1] neg_hi:[0,0,1]
	v_pk_fma_f32 v[2:3], v[2:3], v[210:211], v[16:17] op_sel:[0,0,1] op_sel_hi:[1,0,0]
	v_mov_b32_e32 v2, v209
	v_mov_b32_e32 v19, v3
	s_waitcnt lgkmcnt(2)
	v_pk_mul_f32 v[2:3], v[4:5], v[2:3] op_sel_hi:[1,0]
	v_pk_fma_f32 v[16:17], v[4:5], v[208:209], v[2:3] op_sel:[0,0,1] op_sel_hi:[1,1,0] neg_lo:[0,0,1] neg_hi:[0,0,1]
	v_pk_fma_f32 v[2:3], v[4:5], v[208:209], v[2:3] op_sel:[0,0,1] op_sel_hi:[1,0,0]
	s_waitcnt vmcnt(3)
	v_mov_b32_e32 v2, v223
	v_mov_b32_e32 v17, v3
	v_pk_mul_f32 v[2:3], v[6:7], v[2:3] op_sel_hi:[1,0]
	s_waitcnt vmcnt(2)
	v_pk_fma_f32 v[4:5], v[6:7], v[222:223], v[2:3] op_sel:[0,0,1] op_sel_hi:[1,1,0] neg_lo:[0,0,1] neg_hi:[0,0,1]
	v_pk_fma_f32 v[2:3], v[6:7], v[222:223], v[2:3] op_sel:[0,0,1] op_sel_hi:[1,0,0]
	v_pk_add_f32 v[0:1], v[0:1], v[18:19]
	v_mov_b32_e32 v2, v221
	v_pk_add_f32 v[0:1], v[0:1], v[16:17]
	v_mov_b32_e32 v5, v3
	s_waitcnt lgkmcnt(1)
	v_pk_mul_f32 v[2:3], v[8:9], v[2:3] op_sel_hi:[1,0]
	v_pk_add_f32 v[0:1], v[0:1], v[4:5]
	v_pk_fma_f32 v[4:5], v[8:9], v[220:221], v[2:3] op_sel:[0,0,1] op_sel_hi:[1,1,0] neg_lo:[0,0,1] neg_hi:[0,0,1]
	v_pk_fma_f32 v[2:3], v[8:9], v[220:221], v[2:3] op_sel:[0,0,1] op_sel_hi:[1,0,0]
	v_mov_b32_e32 v2, v219
	v_mov_b32_e32 v5, v3
	v_pk_mul_f32 v[2:3], v[10:11], v[2:3] op_sel_hi:[1,0]
	v_pk_add_f32 v[0:1], v[0:1], v[4:5]
	v_pk_fma_f32 v[4:5], v[10:11], v[218:219], v[2:3] op_sel:[0,0,1] op_sel_hi:[1,1,0] neg_lo:[0,0,1] neg_hi:[0,0,1]
	v_pk_fma_f32 v[2:3], v[10:11], v[218:219], v[2:3] op_sel:[0,0,1] op_sel_hi:[1,0,0]
	v_mov_b32_e32 v2, v217
	v_mov_b32_e32 v5, v3
	s_waitcnt lgkmcnt(0)
	v_pk_mul_f32 v[2:3], v[12:13], v[2:3] op_sel_hi:[1,0]
	v_pk_add_f32 v[0:1], v[0:1], v[4:5]
	v_pk_fma_f32 v[4:5], v[12:13], v[216:217], v[2:3] op_sel:[0,0,1] op_sel_hi:[1,1,0] neg_lo:[0,0,1] neg_hi:[0,0,1]
	v_pk_fma_f32 v[2:3], v[12:13], v[216:217], v[2:3] op_sel:[0,0,1] op_sel_hi:[1,0,0]
	s_waitcnt vmcnt(1)
	v_mov_b32_e32 v2, v225
	v_mov_b32_e32 v5, v3
	v_pk_mul_f32 v[2:3], v[14:15], v[2:3] op_sel_hi:[1,0]
	v_pk_add_f32 v[0:1], v[0:1], v[4:5]
	s_waitcnt vmcnt(0)
	v_pk_fma_f32 v[4:5], v[14:15], v[224:225], v[2:3] op_sel:[0,0,1] op_sel_hi:[1,1,0] neg_lo:[0,0,1] neg_hi:[0,0,1]
	v_pk_fma_f32 v[2:3], v[14:15], v[224:225], v[2:3] op_sel:[0,0,1] op_sel_hi:[1,0,0]
	v_mov_b32_e32 v5, v3
	v_pk_add_f32 v[0:1], v[0:1], v[4:5]
	v_pk_add_f32 v[0:1], v[48:49], v[0:1] neg_lo:[0,1] neg_hi:[0,1]
	buffer_store_dword v1, off, s[0:3], 0 offset:4
	buffer_store_dword v0, off, s[0:3], 0
	s_cbranch_vccz .LBB120_469
; %bb.356:
	v_pk_mov_b32 v[0:1], s[10:11], s[10:11] op_sel:[0,1]
	flat_load_dword v0, v[0:1] offset:220
	s_waitcnt vmcnt(0) lgkmcnt(0)
	v_add_u32_e32 v0, -1, v0
	v_cmp_ne_u32_e32 vcc, 55, v0
	s_and_saveexec_b64 s[4:5], vcc
	s_cbranch_execz .LBB120_358
; %bb.357:
	v_mov_b32_e32 v1, 0
	v_lshl_add_u32 v0, v0, 3, v1
	buffer_load_dword v1, v0, s[0:3], 0 offen
	buffer_load_dword v2, v0, s[0:3], 0 offen offset:4
	buffer_load_dword v3, off, s[0:3], 0 offset:440
	buffer_load_dword v4, off, s[0:3], 0 offset:444
	s_waitcnt vmcnt(3)
	buffer_store_dword v1, off, s[0:3], 0 offset:440
	s_waitcnt vmcnt(3)
	buffer_store_dword v2, off, s[0:3], 0 offset:444
	s_waitcnt vmcnt(3)
	buffer_store_dword v3, v0, s[0:3], 0 offen
	s_waitcnt vmcnt(3)
	buffer_store_dword v4, v0, s[0:3], 0 offen offset:4
.LBB120_358:
	s_or_b64 exec, exec, s[4:5]
	v_pk_mov_b32 v[0:1], s[10:11], s[10:11] op_sel:[0,1]
	flat_load_dword v0, v[0:1] offset:216
	s_waitcnt vmcnt(0) lgkmcnt(0)
	v_add_u32_e32 v0, -1, v0
	v_cmp_ne_u32_e32 vcc, 54, v0
	s_and_saveexec_b64 s[4:5], vcc
	s_cbranch_execz .LBB120_360
; %bb.359:
	v_mov_b32_e32 v1, 0
	v_lshl_add_u32 v0, v0, 3, v1
	buffer_load_dword v1, v0, s[0:3], 0 offen
	buffer_load_dword v2, v0, s[0:3], 0 offen offset:4
	buffer_load_dword v3, off, s[0:3], 0 offset:436
	buffer_load_dword v4, off, s[0:3], 0 offset:432
	s_waitcnt vmcnt(3)
	buffer_store_dword v1, off, s[0:3], 0 offset:432
	s_waitcnt vmcnt(3)
	buffer_store_dword v2, off, s[0:3], 0 offset:436
	s_waitcnt vmcnt(3)
	buffer_store_dword v3, v0, s[0:3], 0 offen offset:4
	s_waitcnt vmcnt(3)
	buffer_store_dword v4, v0, s[0:3], 0 offen
.LBB120_360:
	s_or_b64 exec, exec, s[4:5]
	v_pk_mov_b32 v[0:1], s[10:11], s[10:11] op_sel:[0,1]
	flat_load_dword v0, v[0:1] offset:212
	s_waitcnt vmcnt(0) lgkmcnt(0)
	v_add_u32_e32 v0, -1, v0
	v_cmp_ne_u32_e32 vcc, 53, v0
	s_and_saveexec_b64 s[4:5], vcc
	s_cbranch_execz .LBB120_362
; %bb.361:
	v_mov_b32_e32 v1, 0
	v_lshl_add_u32 v0, v0, 3, v1
	buffer_load_dword v1, v0, s[0:3], 0 offen
	buffer_load_dword v2, v0, s[0:3], 0 offen offset:4
	buffer_load_dword v3, off, s[0:3], 0 offset:424
	buffer_load_dword v4, off, s[0:3], 0 offset:428
	s_waitcnt vmcnt(3)
	buffer_store_dword v1, off, s[0:3], 0 offset:424
	s_waitcnt vmcnt(3)
	buffer_store_dword v2, off, s[0:3], 0 offset:428
	s_waitcnt vmcnt(3)
	buffer_store_dword v3, v0, s[0:3], 0 offen
	s_waitcnt vmcnt(3)
	buffer_store_dword v4, v0, s[0:3], 0 offen offset:4
.LBB120_362:
	s_or_b64 exec, exec, s[4:5]
	v_pk_mov_b32 v[0:1], s[10:11], s[10:11] op_sel:[0,1]
	flat_load_dword v0, v[0:1] offset:208
	s_waitcnt vmcnt(0) lgkmcnt(0)
	v_add_u32_e32 v0, -1, v0
	v_cmp_ne_u32_e32 vcc, 52, v0
	s_and_saveexec_b64 s[4:5], vcc
	s_cbranch_execz .LBB120_364
; %bb.363:
	v_mov_b32_e32 v1, 0
	v_lshl_add_u32 v0, v0, 3, v1
	buffer_load_dword v1, v0, s[0:3], 0 offen
	buffer_load_dword v2, v0, s[0:3], 0 offen offset:4
	buffer_load_dword v3, off, s[0:3], 0 offset:420
	buffer_load_dword v4, off, s[0:3], 0 offset:416
	s_waitcnt vmcnt(3)
	buffer_store_dword v1, off, s[0:3], 0 offset:416
	s_waitcnt vmcnt(3)
	buffer_store_dword v2, off, s[0:3], 0 offset:420
	s_waitcnt vmcnt(3)
	buffer_store_dword v3, v0, s[0:3], 0 offen offset:4
	s_waitcnt vmcnt(3)
	buffer_store_dword v4, v0, s[0:3], 0 offen
.LBB120_364:
	s_or_b64 exec, exec, s[4:5]
	;; [unrolled: 48-line block ×27, first 2 shown]
	v_pk_mov_b32 v[0:1], s[10:11], s[10:11] op_sel:[0,1]
	flat_load_dword v0, v[0:1] offset:4
	s_waitcnt vmcnt(0) lgkmcnt(0)
	v_add_u32_e32 v0, -1, v0
	v_cmp_ne_u32_e32 vcc, 1, v0
	s_and_saveexec_b64 s[4:5], vcc
	s_cbranch_execz .LBB120_466
; %bb.465:
	v_mov_b32_e32 v1, 0
	v_lshl_add_u32 v0, v0, 3, v1
	buffer_load_dword v1, v0, s[0:3], 0 offen
	buffer_load_dword v2, v0, s[0:3], 0 offen offset:4
	buffer_load_dword v3, off, s[0:3], 0 offset:8
	buffer_load_dword v4, off, s[0:3], 0 offset:12
	s_waitcnt vmcnt(3)
	buffer_store_dword v1, off, s[0:3], 0 offset:8
	s_waitcnt vmcnt(3)
	buffer_store_dword v2, off, s[0:3], 0 offset:12
	s_waitcnt vmcnt(3)
	buffer_store_dword v3, v0, s[0:3], 0 offen
	s_waitcnt vmcnt(3)
	buffer_store_dword v4, v0, s[0:3], 0 offen offset:4
.LBB120_466:
	s_or_b64 exec, exec, s[4:5]
	v_pk_mov_b32 v[0:1], s[10:11], s[10:11] op_sel:[0,1]
	flat_load_dword v2, v[0:1]
	s_nop 0
	buffer_load_dword v0, off, s[0:3], 0
	buffer_load_dword v1, off, s[0:3], 0 offset:4
	s_waitcnt vmcnt(0) lgkmcnt(0)
	v_add_u32_e32 v2, -1, v2
	v_cmp_ne_u32_e32 vcc, 0, v2
	s_and_saveexec_b64 s[4:5], vcc
	s_cbranch_execz .LBB120_468
; %bb.467:
	v_mov_b32_e32 v3, 0
	v_lshl_add_u32 v2, v2, 3, v3
	buffer_load_dword v3, v2, s[0:3], 0 offen offset:4
	buffer_load_dword v4, v2, s[0:3], 0 offen
	s_waitcnt vmcnt(1)
	buffer_store_dword v3, off, s[0:3], 0 offset:4
	s_waitcnt vmcnt(1)
	buffer_store_dword v4, off, s[0:3], 0
	buffer_store_dword v1, v2, s[0:3], 0 offen offset:4
	buffer_store_dword v0, v2, s[0:3], 0 offen
	buffer_load_dword v0, off, s[0:3], 0
	s_nop 0
	buffer_load_dword v1, off, s[0:3], 0 offset:4
.LBB120_468:
	s_or_b64 exec, exec, s[4:5]
.LBB120_469:
	buffer_load_dword v2, off, s[0:3], 0 offset:8
	buffer_load_dword v3, off, s[0:3], 0 offset:12
	;; [unrolled: 1-line block ×112, first 2 shown]
	s_waitcnt vmcnt(62)
	global_store_dwordx2 v[196:197], v[0:1], off
	global_store_dwordx2 v[200:201], v[2:3], off
	v_accvgpr_read_b32 v0, a0
	v_accvgpr_read_b32 v1, a1
	global_store_dwordx2 v[0:1], v[4:5], off
	v_accvgpr_read_b32 v0, a2
	v_accvgpr_read_b32 v1, a3
	;; [unrolled: 3-line block ×25, first 2 shown]
	s_waitcnt vmcnt(62)
	global_store_dwordx2 v[0:1], v[52:53], off
	v_accvgpr_read_b32 v0, a50
	v_accvgpr_read_b32 v1, a51
	global_store_dwordx2 v[0:1], v[54:55], off
	v_accvgpr_read_b32 v0, a52
	v_accvgpr_read_b32 v1, a53
	;; [unrolled: 3-line block ×11, first 2 shown]
	global_store_dwordx2 v[0:1], v[74:75], off
	global_store_dwordx2 v[166:167], v[76:77], off
	s_waitcnt vmcnt(62)
	global_store_dwordx2 v[168:169], v[78:79], off
	global_store_dwordx2 v[170:171], v[80:81], off
	;; [unrolled: 1-line block ×6, first 2 shown]
	s_waitcnt vmcnt(62)
	global_store_dwordx2 v[180:181], v[90:91], off
	global_store_dwordx2 v[182:183], v[92:93], off
	global_store_dwordx2 v[184:185], v[94:95], off
	s_waitcnt vmcnt(62)
	global_store_dwordx2 v[186:187], v[96:97], off
	global_store_dwordx2 v[188:189], v[98:99], off
	s_waitcnt vmcnt(62)
	global_store_dwordx2 v[190:191], v[100:101], off
	s_waitcnt vmcnt(61)
	;; [unrolled: 2-line block ×7, first 2 shown]
	global_store_dwordx2 v[206:207], v[112:113], off
	s_endpgm
	.section	.rodata,"a",@progbits
	.p2align	6, 0x0
	.amdhsa_kernel _ZN9rocsolver6v33100L18getri_kernel_smallILi57E19rocblas_complex_numIfEPKPS3_EEvT1_iilPiilS8_bb
		.amdhsa_group_segment_fixed_size 920
		.amdhsa_private_segment_fixed_size 464
		.amdhsa_kernarg_size 60
		.amdhsa_user_sgpr_count 8
		.amdhsa_user_sgpr_private_segment_buffer 1
		.amdhsa_user_sgpr_dispatch_ptr 0
		.amdhsa_user_sgpr_queue_ptr 0
		.amdhsa_user_sgpr_kernarg_segment_ptr 1
		.amdhsa_user_sgpr_dispatch_id 0
		.amdhsa_user_sgpr_flat_scratch_init 1
		.amdhsa_user_sgpr_kernarg_preload_length 0
		.amdhsa_user_sgpr_kernarg_preload_offset 0
		.amdhsa_user_sgpr_private_segment_size 0
		.amdhsa_uses_dynamic_stack 0
		.amdhsa_system_sgpr_private_segment_wavefront_offset 1
		.amdhsa_system_sgpr_workgroup_id_x 1
		.amdhsa_system_sgpr_workgroup_id_y 0
		.amdhsa_system_sgpr_workgroup_id_z 0
		.amdhsa_system_sgpr_workgroup_info 0
		.amdhsa_system_vgpr_workitem_id 0
		.amdhsa_next_free_vgpr 328
		.amdhsa_next_free_sgpr 22
		.amdhsa_accum_offset 256
		.amdhsa_reserve_vcc 1
		.amdhsa_reserve_flat_scratch 1
		.amdhsa_float_round_mode_32 0
		.amdhsa_float_round_mode_16_64 0
		.amdhsa_float_denorm_mode_32 3
		.amdhsa_float_denorm_mode_16_64 3
		.amdhsa_dx10_clamp 1
		.amdhsa_ieee_mode 1
		.amdhsa_fp16_overflow 0
		.amdhsa_tg_split 0
		.amdhsa_exception_fp_ieee_invalid_op 0
		.amdhsa_exception_fp_denorm_src 0
		.amdhsa_exception_fp_ieee_div_zero 0
		.amdhsa_exception_fp_ieee_overflow 0
		.amdhsa_exception_fp_ieee_underflow 0
		.amdhsa_exception_fp_ieee_inexact 0
		.amdhsa_exception_int_div_zero 0
	.end_amdhsa_kernel
	.section	.text._ZN9rocsolver6v33100L18getri_kernel_smallILi57E19rocblas_complex_numIfEPKPS3_EEvT1_iilPiilS8_bb,"axG",@progbits,_ZN9rocsolver6v33100L18getri_kernel_smallILi57E19rocblas_complex_numIfEPKPS3_EEvT1_iilPiilS8_bb,comdat
.Lfunc_end120:
	.size	_ZN9rocsolver6v33100L18getri_kernel_smallILi57E19rocblas_complex_numIfEPKPS3_EEvT1_iilPiilS8_bb, .Lfunc_end120-_ZN9rocsolver6v33100L18getri_kernel_smallILi57E19rocblas_complex_numIfEPKPS3_EEvT1_iilPiilS8_bb
                                        ; -- End function
	.section	.AMDGPU.csdata,"",@progbits
; Kernel info:
; codeLenInByte = 123296
; NumSgprs: 28
; NumVgprs: 256
; NumAgprs: 72
; TotalNumVgprs: 328
; ScratchSize: 464
; MemoryBound: 0
; FloatMode: 240
; IeeeMode: 1
; LDSByteSize: 920 bytes/workgroup (compile time only)
; SGPRBlocks: 3
; VGPRBlocks: 40
; NumSGPRsForWavesPerEU: 28
; NumVGPRsForWavesPerEU: 328
; AccumOffset: 256
; Occupancy: 1
; WaveLimiterHint : 1
; COMPUTE_PGM_RSRC2:SCRATCH_EN: 1
; COMPUTE_PGM_RSRC2:USER_SGPR: 8
; COMPUTE_PGM_RSRC2:TRAP_HANDLER: 0
; COMPUTE_PGM_RSRC2:TGID_X_EN: 1
; COMPUTE_PGM_RSRC2:TGID_Y_EN: 0
; COMPUTE_PGM_RSRC2:TGID_Z_EN: 0
; COMPUTE_PGM_RSRC2:TIDIG_COMP_CNT: 0
; COMPUTE_PGM_RSRC3_GFX90A:ACCUM_OFFSET: 63
; COMPUTE_PGM_RSRC3_GFX90A:TG_SPLIT: 0
	.section	.text._ZN9rocsolver6v33100L18getri_kernel_smallILi58E19rocblas_complex_numIfEPKPS3_EEvT1_iilPiilS8_bb,"axG",@progbits,_ZN9rocsolver6v33100L18getri_kernel_smallILi58E19rocblas_complex_numIfEPKPS3_EEvT1_iilPiilS8_bb,comdat
	.globl	_ZN9rocsolver6v33100L18getri_kernel_smallILi58E19rocblas_complex_numIfEPKPS3_EEvT1_iilPiilS8_bb ; -- Begin function _ZN9rocsolver6v33100L18getri_kernel_smallILi58E19rocblas_complex_numIfEPKPS3_EEvT1_iilPiilS8_bb
	.p2align	8
	.type	_ZN9rocsolver6v33100L18getri_kernel_smallILi58E19rocblas_complex_numIfEPKPS3_EEvT1_iilPiilS8_bb,@function
_ZN9rocsolver6v33100L18getri_kernel_smallILi58E19rocblas_complex_numIfEPKPS3_EEvT1_iilPiilS8_bb: ; @_ZN9rocsolver6v33100L18getri_kernel_smallILi58E19rocblas_complex_numIfEPKPS3_EEvT1_iilPiilS8_bb
; %bb.0:
	s_add_u32 flat_scratch_lo, s6, s9
	s_addc_u32 flat_scratch_hi, s7, 0
	s_add_u32 s0, s0, s9
	s_addc_u32 s1, s1, 0
	v_cmp_gt_u32_e32 vcc, 58, v0
	s_and_saveexec_b64 s[6:7], vcc
	s_cbranch_execz .LBB121_246
; %bb.1:
	s_load_dword s20, s[4:5], 0x38
	s_load_dwordx2 s[6:7], s[4:5], 0x0
	s_load_dwordx4 s[12:15], s[4:5], 0x28
	s_waitcnt lgkmcnt(0)
	s_bitcmp1_b32 s20, 8
	s_cselect_b64 s[16:17], -1, 0
	s_ashr_i32 s9, s8, 31
	s_lshl_b64 s[10:11], s[8:9], 3
	s_add_u32 s6, s6, s10
	s_addc_u32 s7, s7, s11
	s_load_dwordx2 s[18:19], s[6:7], 0x0
	s_bfe_u32 s6, s20, 0x10008
	s_cmp_eq_u32 s6, 0
                                        ; implicit-def: $sgpr10_sgpr11
	s_cbranch_scc1 .LBB121_3
; %bb.2:
	s_load_dword s6, s[4:5], 0x20
	s_load_dwordx2 s[10:11], s[4:5], 0x18
	s_mul_i32 s7, s8, s13
	s_mul_hi_u32 s13, s8, s12
	s_add_i32 s13, s13, s7
	s_mul_i32 s21, s9, s12
	s_add_i32 s13, s13, s21
	s_mul_i32 s12, s8, s12
	s_waitcnt lgkmcnt(0)
	s_ashr_i32 s7, s6, 31
	s_lshl_b64 s[12:13], s[12:13], 2
	s_add_u32 s10, s10, s12
	s_addc_u32 s11, s11, s13
	s_lshl_b64 s[6:7], s[6:7], 2
	s_add_u32 s10, s10, s6
	s_addc_u32 s11, s11, s7
.LBB121_3:
	s_load_dwordx2 s[6:7], s[4:5], 0x8
	v_lshlrev_b32_e32 v6, 3, v0
	s_waitcnt lgkmcnt(0)
	s_ashr_i32 s5, s6, 31
	s_mov_b32 s4, s6
	s_lshl_b64 s[4:5], s[4:5], 3
	s_add_u32 s4, s18, s4
	s_addc_u32 s5, s19, s5
	s_add_i32 s6, s7, s7
	v_add_u32_e32 v2, s6, v0
	v_ashrrev_i32_e32 v3, 31, v2
	v_lshlrev_b64 v[4:5], 3, v[2:3]
	v_add_u32_e32 v2, s7, v2
	v_mov_b32_e32 v1, s5
	v_add_co_u32_e32 v12, vcc, s4, v4
	v_ashrrev_i32_e32 v3, 31, v2
	v_addc_co_u32_e32 v13, vcc, v1, v5, vcc
	v_lshlrev_b64 v[4:5], 3, v[2:3]
	v_add_u32_e32 v2, s7, v2
	v_add_co_u32_e32 v14, vcc, s4, v4
	v_ashrrev_i32_e32 v3, 31, v2
	v_addc_co_u32_e32 v15, vcc, v1, v5, vcc
	v_lshlrev_b64 v[4:5], 3, v[2:3]
	v_add_u32_e32 v2, s7, v2
	;; [unrolled: 5-line block ×47, first 2 shown]
	v_add_co_u32_e32 v194, vcc, s4, v4
	v_ashrrev_i32_e32 v3, 31, v2
	v_addc_co_u32_e32 v195, vcc, v1, v5, vcc
	v_lshlrev_b64 v[4:5], 3, v[2:3]
	v_add_co_u32_e32 v196, vcc, s4, v4
	v_add_u32_e32 v2, s7, v2
	v_addc_co_u32_e32 v197, vcc, v1, v5, vcc
	v_ashrrev_i32_e32 v3, 31, v2
	v_lshlrev_b64 v[4:5], 3, v[2:3]
	v_mov_b32_e32 v3, s5
	v_add_co_u32_e32 v206, vcc, s4, v6
	s_ashr_i32 s13, s7, 31
	s_mov_b32 s12, s7
	v_addc_co_u32_e32 v207, vcc, 0, v3, vcc
	s_lshl_b64 s[12:13], s[12:13], 3
	v_mov_b32_e32 v3, s13
	v_add_co_u32_e32 v208, vcc, s12, v206
	v_addc_co_u32_e32 v209, vcc, v207, v3, vcc
	v_accvgpr_write_b32 a0, v12
	v_add_co_u32_e32 v198, vcc, s4, v4
	v_accvgpr_write_b32 a4, v16
	global_load_dwordx2 v[8:9], v6, s[4:5]
	v_accvgpr_write_b32 a1, v13
	global_load_dwordx2 v[12:13], v[12:13], off
	v_addc_co_u32_e32 v199, vcc, v1, v5, vcc
	global_load_dwordx2 v[4:5], v[14:15], off
	v_add_u32_e32 v2, s7, v2
	v_accvgpr_write_b32 a5, v17
	global_load_dwordx2 v[16:17], v[16:17], off
	v_ashrrev_i32_e32 v3, 31, v2
	v_accvgpr_write_b32 a2, v14
	v_accvgpr_write_b32 a3, v15
	v_lshlrev_b64 v[14:15], 3, v[2:3]
	v_add_co_u32_e32 v200, vcc, s4, v14
	global_load_dwordx2 v[10:11], v[208:209], off
	v_addc_co_u32_e32 v201, vcc, v1, v15, vcc
	global_load_dwordx2 v[14:15], v[18:19], off
	v_accvgpr_write_b32 a6, v18
	v_accvgpr_write_b32 a10, v22
	v_accvgpr_write_b32 a16, v28
	v_accvgpr_write_b32 a7, v19
	v_accvgpr_write_b32 a11, v23
	global_load_dwordx2 v[22:23], v[22:23], off
	v_accvgpr_write_b32 a17, v29
	global_load_dwordx2 v[28:29], v[28:29], off
	v_add_u32_e32 v2, s7, v2
	global_load_dwordx2 v[18:19], v[20:21], off
	v_ashrrev_i32_e32 v3, 31, v2
	v_accvgpr_write_b32 a8, v20
	v_accvgpr_write_b32 a14, v26
	v_accvgpr_write_b32 a26, v38
	v_accvgpr_write_b32 a9, v21
	v_accvgpr_write_b32 a15, v27
	global_load_dwordx2 v[26:27], v[26:27], off
	v_accvgpr_write_b32 a27, v39
	global_load_dwordx2 v[38:39], v[38:39], off
	v_lshlrev_b64 v[20:21], 3, v[2:3]
	v_add_co_u32_e32 v202, vcc, s4, v20
	v_addc_co_u32_e32 v203, vcc, v1, v21, vcc
	global_load_dwordx2 v[20:21], v[24:25], off
	v_add_u32_e32 v2, s7, v2
	v_accvgpr_write_b32 a12, v24
	v_ashrrev_i32_e32 v3, 31, v2
	v_accvgpr_write_b32 a20, v32
	v_accvgpr_write_b32 a13, v25
	;; [unrolled: 1-line block ×3, first 2 shown]
	global_load_dwordx2 v[32:33], v[32:33], off
	v_lshlrev_b64 v[24:25], 3, v[2:3]
	v_add_co_u32_e32 v204, vcc, s4, v24
	v_addc_co_u32_e32 v205, vcc, v1, v25, vcc
	global_load_dwordx2 v[24:25], v[30:31], off
	v_add_u32_e32 v2, s7, v2
	v_ashrrev_i32_e32 v3, 31, v2
	v_accvgpr_write_b32 a18, v30
	v_accvgpr_write_b32 a19, v31
	v_lshlrev_b64 v[30:31], 3, v[2:3]
	v_add_co_u32_e32 v210, vcc, s4, v30
	v_addc_co_u32_e32 v211, vcc, v1, v31, vcc
	global_load_dwordx2 v[30:31], v[34:35], off
	v_accvgpr_write_b32 a22, v34
	v_accvgpr_write_b32 a23, v35
	global_load_dwordx2 v[34:35], v[36:37], off
	v_add_u32_e32 v2, s7, v2
	v_ashrrev_i32_e32 v3, 31, v2
	v_accvgpr_write_b32 a24, v36
	v_accvgpr_write_b32 a25, v37
	v_lshlrev_b64 v[36:37], 3, v[2:3]
	v_add_u32_e32 v2, s7, v2
	v_add_co_u32_e32 v212, vcc, s4, v36
	v_ashrrev_i32_e32 v3, 31, v2
	v_addc_co_u32_e32 v213, vcc, v1, v37, vcc
	v_lshlrev_b64 v[2:3], 3, v[2:3]
	v_accvgpr_write_b32 a28, v40
	v_accvgpr_write_b32 a30, v42
	;; [unrolled: 1-line block ×6, first 2 shown]
	v_add_co_u32_e32 v214, vcc, s4, v2
	v_accvgpr_write_b32 a29, v41
	global_load_dwordx2 v[36:37], v[40:41], off
	v_accvgpr_write_b32 a31, v43
	global_load_dwordx2 v[40:41], v[42:43], off
	;; [unrolled: 2-line block ×6, first 2 shown]
	v_addc_co_u32_e32 v215, vcc, v1, v3, vcc
	global_load_dwordx2 v[2:3], v[52:53], off
	global_load_dwordx2 v[50:51], v[214:215], off
	v_accvgpr_write_b32 a40, v52
	v_accvgpr_write_b32 a41, v53
	global_load_dwordx2 v[52:53], v[54:55], off
	v_accvgpr_write_b32 a42, v54
	v_accvgpr_write_b32 a43, v55
	s_waitcnt vmcnt(24)
	buffer_store_dword v9, off, s[0:3], 0 offset:4
	buffer_store_dword v8, off, s[0:3], 0
	global_load_dwordx2 v[8:9], v[58:59], off
	v_accvgpr_write_b32 a44, v56
	s_waitcnt vmcnt(26)
	buffer_store_dword v13, off, s[0:3], 0 offset:20
	buffer_store_dword v12, off, s[0:3], 0 offset:16
	global_load_dwordx2 v[12:13], v[66:67], off
	v_accvgpr_write_b32 a45, v57
	s_waitcnt vmcnt(27)
	buffer_store_dword v17, off, s[0:3], 0 offset:36
	buffer_store_dword v16, off, s[0:3], 0 offset:32
	global_load_dwordx2 v[16:17], v[74:75], off
	v_accvgpr_write_b32 a46, v58
	global_load_dwordx2 v[54:55], v[56:57], off
	v_accvgpr_write_b32 a47, v59
	s_waitcnt vmcnt(30)
	buffer_store_dword v11, off, s[0:3], 0 offset:12
	buffer_store_dword v10, off, s[0:3], 0 offset:8
	global_load_dwordx2 v[10:11], v[62:63], off
	v_accvgpr_write_b32 a48, v60
	buffer_store_dword v5, off, s[0:3], 0 offset:28
	buffer_store_dword v4, off, s[0:3], 0 offset:24
	global_load_dwordx2 v[4:5], v[70:71], off
	v_accvgpr_write_b32 a50, v62
	s_waitcnt vmcnt(35)
	buffer_store_dword v15, off, s[0:3], 0 offset:44
	buffer_store_dword v14, off, s[0:3], 0 offset:40
	global_load_dwordx2 v[14:15], v[78:79], off
	v_accvgpr_write_b32 a54, v66
	global_load_dwordx2 v[56:57], v[60:61], off
	global_load_dwordx2 v[58:59], v[64:65], off
	v_accvgpr_write_b32 a49, v61
	v_accvgpr_write_b32 a51, v63
	global_load_dwordx2 v[62:63], v[72:73], off
	v_accvgpr_write_b32 a55, v67
	global_load_dwordx2 v[66:67], v[80:81], off
	global_load_dwordx2 v[60:61], v[68:69], off
	v_accvgpr_write_b32 a52, v64
	v_accvgpr_write_b32 a53, v65
	global_load_dwordx2 v[64:65], v[76:77], off
	v_accvgpr_write_b32 a56, v68
	s_waitcnt vmcnt(41)
	buffer_store_dword v19, off, s[0:3], 0 offset:52
	buffer_store_dword v18, off, s[0:3], 0 offset:48
	global_load_dwordx2 v[18:19], v[82:83], off
	v_accvgpr_write_b32 a57, v69
	buffer_store_dword v23, off, s[0:3], 0 offset:60
	buffer_store_dword v22, off, s[0:3], 0 offset:56
	global_load_dwordx2 v[22:23], v[86:87], off
	v_accvgpr_write_b32 a58, v70
	global_load_dwordx2 v[68:69], v[84:85], off
	v_accvgpr_write_b32 a59, v71
	;; [unrolled: 2-line block ×3, first 2 shown]
	s_waitcnt vmcnt(46)
	buffer_store_dword v21, off, s[0:3], 0 offset:68
	buffer_store_dword v20, off, s[0:3], 0 offset:64
	global_load_dwordx2 v[20:21], v[90:91], off
	v_accvgpr_write_b32 a61, v73
	global_load_dwordx2 v[72:73], v[180:181], off
	v_accvgpr_write_b32 a62, v74
	buffer_store_dword v26, off, s[0:3], 0 offset:72
	buffer_store_dword v27, off, s[0:3], 0 offset:76
	global_load_dwordx2 v[26:27], v[182:183], off
	v_accvgpr_write_b32 a63, v75
	global_load_dwordx2 v[74:75], v[184:185], off
	v_accvgpr_write_b32 a64, v76
	buffer_store_dword v28, off, s[0:3], 0 offset:80
	buffer_store_dword v29, off, s[0:3], 0 offset:84
	global_load_dwordx2 v[28:29], v[186:187], off
	v_accvgpr_write_b32 a65, v77
	global_load_dwordx2 v[76:77], v[188:189], off
	v_accvgpr_write_b32 a66, v78
	s_waitcnt vmcnt(56)
	buffer_store_dword v24, off, s[0:3], 0 offset:88
	buffer_store_dword v25, off, s[0:3], 0 offset:92
	global_load_dwordx2 v[24:25], v[190:191], off
	v_accvgpr_write_b32 a67, v79
	global_load_dwordx2 v[78:79], v[192:193], off
	v_accvgpr_write_b32 a68, v80
	buffer_store_dword v32, off, s[0:3], 0 offset:96
	buffer_store_dword v33, off, s[0:3], 0 offset:100
	global_load_dwordx2 v[32:33], v[194:195], off
	v_accvgpr_write_b32 a69, v81
	global_load_dwordx2 v[80:81], v[196:197], off
	v_accvgpr_write_b32 a70, v82
	s_waitcnt vmcnt(62)
	buffer_store_dword v30, off, s[0:3], 0 offset:104
	buffer_store_dword v31, off, s[0:3], 0 offset:108
	global_load_dwordx2 v[30:31], v[198:199], off
	v_accvgpr_write_b32 a71, v83
	global_load_dwordx2 v[82:83], v[200:201], off
	v_accvgpr_write_b32 a72, v84
	buffer_store_dword v35, off, s[0:3], 0 offset:116
	buffer_store_dword v34, off, s[0:3], 0 offset:112
	global_load_dwordx2 v[34:35], v[202:203], off
	v_accvgpr_write_b32 a73, v85
	global_load_dwordx2 v[84:85], v[204:205], off
	v_accvgpr_write_b32 a74, v86
	buffer_store_dword v38, off, s[0:3], 0 offset:120
	buffer_store_dword v39, off, s[0:3], 0 offset:124
	global_load_dwordx2 v[38:39], v[210:211], off
	v_accvgpr_write_b32 a76, v88
	v_accvgpr_write_b32 a78, v90
	;; [unrolled: 1-line block ×3, first 2 shown]
	global_load_dwordx2 v[86:87], v[212:213], off
	v_accvgpr_write_b32 a77, v89
	v_accvgpr_write_b32 a79, v91
	s_bitcmp0_b32 s20, 0
	s_mov_b64 s[6:7], -1
	s_waitcnt vmcnt(62)
	buffer_store_dword v36, off, s[0:3], 0 offset:128
	buffer_store_dword v37, off, s[0:3], 0 offset:132
	;; [unrolled: 1-line block ×16, first 2 shown]
	s_waitcnt vmcnt(62)
	buffer_store_dword v54, off, s[0:3], 0 offset:192
	buffer_store_dword v55, off, s[0:3], 0 offset:196
	;; [unrolled: 1-line block ×4, first 2 shown]
	s_waitcnt vmcnt(62)
	buffer_store_dword v57, off, s[0:3], 0 offset:212
	buffer_store_dword v56, off, s[0:3], 0 offset:208
	;; [unrolled: 1-line block ×8, first 2 shown]
	s_waitcnt vmcnt(62)
	buffer_store_dword v60, off, s[0:3], 0 offset:240
	buffer_store_dword v61, off, s[0:3], 0 offset:244
	buffer_store_dword v5, off, s[0:3], 0 offset:252
	buffer_store_dword v4, off, s[0:3], 0 offset:248
	buffer_store_dword v63, off, s[0:3], 0 offset:260
	buffer_store_dword v62, off, s[0:3], 0 offset:256
	buffer_store_dword v16, off, s[0:3], 0 offset:264
	buffer_store_dword v17, off, s[0:3], 0 offset:268
	buffer_store_dword v64, off, s[0:3], 0 offset:272
	buffer_store_dword v65, off, s[0:3], 0 offset:276
	buffer_store_dword v14, off, s[0:3], 0 offset:280
	buffer_store_dword v15, off, s[0:3], 0 offset:284
	buffer_store_dword v66, off, s[0:3], 0 offset:288
	buffer_store_dword v67, off, s[0:3], 0 offset:292
	buffer_store_dword v19, off, s[0:3], 0 offset:300
	buffer_store_dword v18, off, s[0:3], 0 offset:296
	s_waitcnt vmcnt(62)
	buffer_store_dword v69, off, s[0:3], 0 offset:308
	buffer_store_dword v68, off, s[0:3], 0 offset:304
	;; [unrolled: 1-line block ×18, first 2 shown]
	s_waitcnt vmcnt(62)
	buffer_store_dword v24, off, s[0:3], 0 offset:376
	buffer_store_dword v25, off, s[0:3], 0 offset:380
	;; [unrolled: 1-line block ×22, first 2 shown]
	s_cbranch_scc1 .LBB121_244
; %bb.4:
	v_cmp_eq_u32_e64 s[4:5], 0, v0
	s_and_saveexec_b64 s[6:7], s[4:5]
	s_cbranch_execz .LBB121_6
; %bb.5:
	v_mov_b32_e32 v1, 0
	ds_write_b32 v1, v1 offset:928
.LBB121_6:
	s_or_b64 exec, exec, s[6:7]
	v_mov_b32_e32 v1, 0
	v_lshl_add_u32 v7, v0, 3, v1
	s_waitcnt lgkmcnt(0)
	; wave barrier
	s_waitcnt lgkmcnt(0)
	buffer_load_dword v1, v7, s[0:3], 0 offen
	buffer_load_dword v2, v7, s[0:3], 0 offen offset:4
	s_waitcnt vmcnt(1)
	v_cmp_eq_f32_e32 vcc, 0, v1
	s_waitcnt vmcnt(0)
	v_cmp_eq_f32_e64 s[6:7], 0, v2
	s_and_b64 s[6:7], vcc, s[6:7]
	s_and_saveexec_b64 s[12:13], s[6:7]
	s_cbranch_execz .LBB121_10
; %bb.7:
	v_mov_b32_e32 v1, 0
	ds_read_b32 v3, v1 offset:928
	v_add_u32_e32 v2, 1, v0
	s_waitcnt lgkmcnt(0)
	v_readfirstlane_b32 s6, v3
	s_cmp_eq_u32 s6, 0
	s_cselect_b64 s[18:19], -1, 0
	v_cmp_gt_i32_e32 vcc, s6, v2
	s_or_b64 s[18:19], s[18:19], vcc
	s_and_b64 exec, exec, s[18:19]
	s_cbranch_execz .LBB121_10
; %bb.8:
	s_mov_b64 s[18:19], 0
	v_mov_b32_e32 v3, s6
.LBB121_9:                              ; =>This Inner Loop Header: Depth=1
	ds_cmpst_rtn_b32 v3, v1, v3, v2 offset:928
	s_waitcnt lgkmcnt(0)
	v_cmp_ne_u32_e32 vcc, 0, v3
	v_cmp_le_i32_e64 s[6:7], v3, v2
	s_and_b64 s[6:7], vcc, s[6:7]
	s_and_b64 s[6:7], exec, s[6:7]
	s_or_b64 s[18:19], s[6:7], s[18:19]
	s_andn2_b64 exec, exec, s[18:19]
	s_cbranch_execnz .LBB121_9
.LBB121_10:
	s_or_b64 exec, exec, s[12:13]
	v_mov_b32_e32 v2, 0
	s_waitcnt lgkmcnt(0)
	; wave barrier
	ds_read_b32 v1, v2 offset:928
	s_and_saveexec_b64 s[6:7], s[4:5]
	s_cbranch_execz .LBB121_12
; %bb.11:
	s_lshl_b64 s[12:13], s[8:9], 2
	s_add_u32 s12, s14, s12
	s_addc_u32 s13, s15, s13
	s_waitcnt lgkmcnt(0)
	global_store_dword v2, v1, s[12:13]
.LBB121_12:
	s_or_b64 exec, exec, s[6:7]
	s_waitcnt lgkmcnt(0)
	v_cmp_ne_u32_e32 vcc, 0, v1
	s_mov_b64 s[6:7], 0
	s_cbranch_vccnz .LBB121_244
; %bb.13:
	buffer_load_dword v8, v7, s[0:3], 0 offen offset:4
	buffer_load_dword v3, v7, s[0:3], 0 offen
	s_waitcnt vmcnt(1)
	v_cmp_gt_f32_e32 vcc, 0, v8
	v_cndmask_b32_e64 v1, v8, -v8, vcc
	s_waitcnt vmcnt(0)
	v_cmp_gt_f32_e32 vcc, 0, v3
	v_cndmask_b32_e64 v2, v3, -v3, vcc
	v_cmp_ngt_f32_e32 vcc, v2, v1
                                        ; implicit-def: $vgpr1
                                        ; implicit-def: $vgpr2
	s_and_saveexec_b64 s[6:7], vcc
	s_xor_b64 s[6:7], exec, s[6:7]
                                        ; implicit-def: $vgpr4_vgpr5
	s_cbranch_execz .LBB121_15
; %bb.14:
	v_div_scale_f32 v1, s[12:13], v8, v8, v3
	v_rcp_f32_e32 v2, v1
	v_div_scale_f32 v4, vcc, v3, v8, v3
	v_fma_f32 v5, -v1, v2, 1.0
	v_fmac_f32_e32 v2, v5, v2
	v_mul_f32_e32 v5, v4, v2
	v_fma_f32 v9, -v1, v5, v4
	v_fmac_f32_e32 v5, v9, v2
	v_fma_f32 v1, -v1, v5, v4
	v_div_fmas_f32 v1, v1, v2, v5
	v_div_fixup_f32 v2, v1, v8, v3
	v_fmac_f32_e32 v8, v3, v2
	v_div_scale_f32 v1, s[12:13], v8, v8, -1.0
	v_rcp_f32_e32 v3, v1
	v_fma_f32 v4, -v1, v3, 1.0
	v_fmac_f32_e32 v3, v4, v3
	v_div_scale_f32 v4, vcc, -1.0, v8, -1.0
	v_mul_f32_e32 v5, v4, v3
	v_fma_f32 v9, -v1, v5, v4
	v_fmac_f32_e32 v5, v9, v3
	v_fma_f32 v1, -v1, v5, v4
	v_div_fmas_f32 v1, v1, v3, v5
	v_div_fixup_f32 v1, v1, v8, -1.0
	v_mul_f32_e32 v2, v2, v1
	v_xor_b32_e32 v4, 0x80000000, v2
                                        ; implicit-def: $vgpr3
                                        ; implicit-def: $vgpr8
.LBB121_15:
	s_andn2_saveexec_b64 s[6:7], s[6:7]
	s_cbranch_execz .LBB121_17
; %bb.16:
	v_div_scale_f32 v1, s[12:13], v3, v3, v8
	v_rcp_f32_e32 v2, v1
	v_div_scale_f32 v4, vcc, v8, v3, v8
	v_fma_f32 v5, -v1, v2, 1.0
	v_fmac_f32_e32 v2, v5, v2
	v_mul_f32_e32 v5, v4, v2
	v_fma_f32 v9, -v1, v5, v4
	v_fmac_f32_e32 v5, v9, v2
	v_fma_f32 v1, -v1, v5, v4
	v_div_fmas_f32 v1, v1, v2, v5
	v_div_fixup_f32 v1, v1, v3, v8
	v_fmac_f32_e32 v3, v8, v1
	v_div_scale_f32 v2, s[12:13], v3, v3, 1.0
	v_rcp_f32_e32 v4, v2
	v_fma_f32 v5, -v2, v4, 1.0
	v_fmac_f32_e32 v4, v5, v4
	v_div_scale_f32 v5, vcc, 1.0, v3, 1.0
	v_mul_f32_e32 v8, v5, v4
	v_fma_f32 v9, -v2, v8, v5
	v_fmac_f32_e32 v8, v9, v4
	v_fma_f32 v2, -v2, v8, v5
	v_div_fmas_f32 v2, v2, v4, v8
	v_div_fixup_f32 v4, v2, v3, 1.0
	v_xor_b32_e32 v2, 0x80000000, v4
	v_mul_f32_e64 v1, v1, -v4
.LBB121_17:
	s_or_b64 exec, exec, s[6:7]
	buffer_store_dword v1, v7, s[0:3], 0 offen offset:4
	buffer_store_dword v4, v7, s[0:3], 0 offen
	buffer_load_dword v5, off, s[0:3], 0 offset:12
	s_nop 0
	buffer_load_dword v4, off, s[0:3], 0 offset:8
	v_xor_b32_e32 v3, 0x80000000, v1
	v_add_u32_e32 v1, 0x1d0, v6
	s_waitcnt vmcnt(0)
	ds_write2_b64 v6, v[2:3], v[4:5] offset1:58
	s_waitcnt lgkmcnt(0)
	; wave barrier
	s_waitcnt lgkmcnt(0)
	s_and_saveexec_b64 s[6:7], s[4:5]
	s_cbranch_execz .LBB121_19
; %bb.18:
	buffer_load_dword v8, v7, s[0:3], 0 offen offset:4
	buffer_load_dword v9, v7, s[0:3], 0 offen
	ds_read_b64 v[2:3], v1
	v_mov_b32_e32 v4, 0
	ds_read_b64 v[4:5], v4 offset:8
	s_waitcnt vmcnt(1) lgkmcnt(1)
	v_mul_f32_e32 v10, v3, v8
	v_mul_f32_e32 v8, v2, v8
	s_waitcnt vmcnt(0)
	v_fmac_f32_e32 v8, v3, v9
	v_fma_f32 v2, v2, v9, -v10
	v_add_f32_e32 v3, 0, v8
	v_add_f32_e32 v2, 0, v2
	s_waitcnt lgkmcnt(0)
	v_mul_f32_e32 v8, v3, v5
	v_mul_f32_e32 v5, v2, v5
	v_fma_f32 v2, v2, v4, -v8
	v_fmac_f32_e32 v5, v3, v4
	buffer_store_dword v2, off, s[0:3], 0 offset:8
	buffer_store_dword v5, off, s[0:3], 0 offset:12
.LBB121_19:
	s_or_b64 exec, exec, s[6:7]
	s_waitcnt lgkmcnt(0)
	; wave barrier
	buffer_load_dword v2, off, s[0:3], 0 offset:16
	buffer_load_dword v3, off, s[0:3], 0 offset:20
	v_cmp_gt_u32_e32 vcc, 2, v0
	s_waitcnt vmcnt(0)
	ds_write_b64 v1, v[2:3]
	s_waitcnt lgkmcnt(0)
	; wave barrier
	s_waitcnt lgkmcnt(0)
	s_and_saveexec_b64 s[6:7], vcc
	s_cbranch_execz .LBB121_23
; %bb.20:
	buffer_load_dword v4, v7, s[0:3], 0 offen offset:4
	buffer_load_dword v5, v7, s[0:3], 0 offen
	ds_read_b64 v[2:3], v1
	s_waitcnt vmcnt(1) lgkmcnt(0)
	v_mul_f32_e32 v7, v3, v4
	v_mul_f32_e32 v4, v2, v4
	s_waitcnt vmcnt(0)
	v_fma_f32 v2, v2, v5, -v7
	v_fmac_f32_e32 v4, v3, v5
	v_add_f32_e32 v3, 0, v2
	v_add_f32_e32 v2, 0, v4
	s_and_saveexec_b64 s[12:13], s[4:5]
	s_cbranch_execz .LBB121_22
; %bb.21:
	buffer_load_dword v7, off, s[0:3], 0 offset:12
	buffer_load_dword v8, off, s[0:3], 0 offset:8
	v_mov_b32_e32 v4, 0
	ds_read_b64 v[4:5], v4 offset:472
	s_waitcnt vmcnt(1) lgkmcnt(0)
	v_mul_f32_e32 v9, v4, v7
	v_mul_f32_e32 v7, v5, v7
	s_waitcnt vmcnt(0)
	v_fmac_f32_e32 v9, v5, v8
	v_fma_f32 v4, v4, v8, -v7
	v_add_f32_e32 v2, v2, v9
	v_add_f32_e32 v3, v3, v4
.LBB121_22:
	s_or_b64 exec, exec, s[12:13]
	v_mov_b32_e32 v4, 0
	ds_read_b64 v[4:5], v4 offset:16
	s_waitcnt lgkmcnt(0)
	v_mul_f32_e32 v7, v2, v5
	v_mul_f32_e32 v5, v3, v5
	v_fma_f32 v3, v3, v4, -v7
	v_fmac_f32_e32 v5, v2, v4
	buffer_store_dword v3, off, s[0:3], 0 offset:16
	buffer_store_dword v5, off, s[0:3], 0 offset:20
.LBB121_23:
	s_or_b64 exec, exec, s[6:7]
	s_waitcnt lgkmcnt(0)
	; wave barrier
	buffer_load_dword v2, off, s[0:3], 0 offset:24
	buffer_load_dword v3, off, s[0:3], 0 offset:28
	v_cmp_gt_u32_e32 vcc, 3, v0
	s_waitcnt vmcnt(0)
	ds_write_b64 v1, v[2:3]
	v_add_u32_e32 v2, -1, v0
	s_waitcnt lgkmcnt(0)
	; wave barrier
	s_waitcnt lgkmcnt(0)
	s_and_saveexec_b64 s[4:5], vcc
	s_cbranch_execz .LBB121_27
; %bb.24:
	v_add_u32_e32 v4, -1, v0
	v_add_u32_e32 v5, 0x1d0, v6
	v_add_u32_e32 v7, 0, v6
	s_mov_b64 s[6:7], 0
	v_mov_b32_e32 v3, 0
	v_mov_b32_e32 v8, 0
.LBB121_25:                             ; =>This Inner Loop Header: Depth=1
	buffer_load_dword v9, v7, s[0:3], 0 offen offset:4
	buffer_load_dword v12, v7, s[0:3], 0 offen
	ds_read_b64 v[10:11], v5
	v_add_u32_e32 v4, 1, v4
	v_cmp_lt_u32_e32 vcc, 1, v4
	v_add_u32_e32 v5, 8, v5
	v_add_u32_e32 v7, 8, v7
	s_or_b64 s[6:7], vcc, s[6:7]
	s_waitcnt vmcnt(1) lgkmcnt(0)
	v_mul_f32_e32 v13, v11, v9
	v_mul_f32_e32 v9, v10, v9
	s_waitcnt vmcnt(0)
	v_fma_f32 v10, v10, v12, -v13
	v_fmac_f32_e32 v9, v11, v12
	v_add_f32_e32 v8, v8, v10
	v_add_f32_e32 v3, v3, v9
	s_andn2_b64 exec, exec, s[6:7]
	s_cbranch_execnz .LBB121_25
; %bb.26:
	s_or_b64 exec, exec, s[6:7]
	v_mov_b32_e32 v4, 0
	ds_read_b64 v[4:5], v4 offset:24
	s_waitcnt lgkmcnt(0)
	v_mul_f32_e32 v7, v3, v5
	v_mul_f32_e32 v5, v8, v5
	v_fma_f32 v7, v8, v4, -v7
	v_fmac_f32_e32 v5, v3, v4
	buffer_store_dword v7, off, s[0:3], 0 offset:24
	buffer_store_dword v5, off, s[0:3], 0 offset:28
.LBB121_27:
	s_or_b64 exec, exec, s[4:5]
	s_waitcnt lgkmcnt(0)
	; wave barrier
	buffer_load_dword v4, off, s[0:3], 0 offset:32
	buffer_load_dword v5, off, s[0:3], 0 offset:36
	v_cmp_gt_u32_e32 vcc, 4, v0
	s_waitcnt vmcnt(0)
	ds_write_b64 v1, v[4:5]
	s_waitcnt lgkmcnt(0)
	; wave barrier
	s_waitcnt lgkmcnt(0)
	s_and_saveexec_b64 s[4:5], vcc
	s_cbranch_execz .LBB121_31
; %bb.28:
	v_add_u32_e32 v4, -1, v0
	v_add_u32_e32 v5, 0x1d0, v6
	v_add_u32_e32 v7, 0, v6
	s_mov_b64 s[6:7], 0
	v_mov_b32_e32 v3, 0
	v_mov_b32_e32 v8, 0
.LBB121_29:                             ; =>This Inner Loop Header: Depth=1
	buffer_load_dword v9, v7, s[0:3], 0 offen offset:4
	buffer_load_dword v12, v7, s[0:3], 0 offen
	ds_read_b64 v[10:11], v5
	v_add_u32_e32 v4, 1, v4
	v_cmp_lt_u32_e32 vcc, 2, v4
	v_add_u32_e32 v5, 8, v5
	v_add_u32_e32 v7, 8, v7
	s_or_b64 s[6:7], vcc, s[6:7]
	s_waitcnt vmcnt(1) lgkmcnt(0)
	v_mul_f32_e32 v13, v11, v9
	v_mul_f32_e32 v9, v10, v9
	s_waitcnt vmcnt(0)
	v_fma_f32 v10, v10, v12, -v13
	v_fmac_f32_e32 v9, v11, v12
	v_add_f32_e32 v8, v8, v10
	v_add_f32_e32 v3, v3, v9
	s_andn2_b64 exec, exec, s[6:7]
	s_cbranch_execnz .LBB121_29
; %bb.30:
	s_or_b64 exec, exec, s[6:7]
	v_mov_b32_e32 v4, 0
	ds_read_b64 v[4:5], v4 offset:32
	s_waitcnt lgkmcnt(0)
	v_mul_f32_e32 v7, v3, v5
	v_mul_f32_e32 v5, v8, v5
	v_fma_f32 v7, v8, v4, -v7
	v_fmac_f32_e32 v5, v3, v4
	buffer_store_dword v7, off, s[0:3], 0 offset:32
	buffer_store_dword v5, off, s[0:3], 0 offset:36
.LBB121_31:
	s_or_b64 exec, exec, s[4:5]
	s_waitcnt lgkmcnt(0)
	; wave barrier
	buffer_load_dword v4, off, s[0:3], 0 offset:40
	buffer_load_dword v5, off, s[0:3], 0 offset:44
	v_cmp_gt_u32_e32 vcc, 5, v0
	s_waitcnt vmcnt(0)
	ds_write_b64 v1, v[4:5]
	;; [unrolled: 51-line block ×19, first 2 shown]
	s_waitcnt lgkmcnt(0)
	; wave barrier
	s_waitcnt lgkmcnt(0)
	s_and_saveexec_b64 s[4:5], vcc
	s_cbranch_execz .LBB121_103
; %bb.100:
	v_add_u32_e32 v4, -1, v0
	v_add_u32_e32 v5, 0x1d0, v6
	v_add_u32_e32 v7, 0, v6
	s_mov_b64 s[6:7], 0
	v_mov_b32_e32 v3, 0
	v_mov_b32_e32 v8, 0
.LBB121_101:                            ; =>This Inner Loop Header: Depth=1
	buffer_load_dword v9, v7, s[0:3], 0 offen offset:4
	buffer_load_dword v12, v7, s[0:3], 0 offen
	ds_read_b64 v[10:11], v5
	v_add_u32_e32 v4, 1, v4
	v_cmp_lt_u32_e32 vcc, 20, v4
	v_add_u32_e32 v5, 8, v5
	v_add_u32_e32 v7, 8, v7
	s_or_b64 s[6:7], vcc, s[6:7]
	s_waitcnt vmcnt(1) lgkmcnt(0)
	v_mul_f32_e32 v13, v11, v9
	v_mul_f32_e32 v9, v10, v9
	s_waitcnt vmcnt(0)
	v_fma_f32 v10, v10, v12, -v13
	v_fmac_f32_e32 v9, v11, v12
	v_add_f32_e32 v8, v8, v10
	v_add_f32_e32 v3, v3, v9
	s_andn2_b64 exec, exec, s[6:7]
	s_cbranch_execnz .LBB121_101
; %bb.102:
	s_or_b64 exec, exec, s[6:7]
	v_mov_b32_e32 v4, 0
	ds_read_b64 v[4:5], v4 offset:176
	s_waitcnt lgkmcnt(0)
	v_mul_f32_e32 v7, v3, v5
	v_mul_f32_e32 v5, v8, v5
	v_fma_f32 v7, v8, v4, -v7
	v_fmac_f32_e32 v5, v3, v4
	buffer_store_dword v7, off, s[0:3], 0 offset:176
	buffer_store_dword v5, off, s[0:3], 0 offset:180
.LBB121_103:
	s_or_b64 exec, exec, s[4:5]
	s_waitcnt lgkmcnt(0)
	; wave barrier
	buffer_load_dword v4, off, s[0:3], 0 offset:184
	buffer_load_dword v5, off, s[0:3], 0 offset:188
	v_cmp_gt_u32_e32 vcc, 23, v0
	s_waitcnt vmcnt(0)
	ds_write_b64 v1, v[4:5]
	s_waitcnt lgkmcnt(0)
	; wave barrier
	s_waitcnt lgkmcnt(0)
	s_and_saveexec_b64 s[4:5], vcc
	s_cbranch_execz .LBB121_107
; %bb.104:
	v_add_u32_e32 v4, -1, v0
	v_add_u32_e32 v5, 0x1d0, v6
	v_add_u32_e32 v7, 0, v6
	s_mov_b64 s[6:7], 0
	v_mov_b32_e32 v3, 0
	v_mov_b32_e32 v8, 0
.LBB121_105:                            ; =>This Inner Loop Header: Depth=1
	buffer_load_dword v9, v7, s[0:3], 0 offen offset:4
	buffer_load_dword v12, v7, s[0:3], 0 offen
	ds_read_b64 v[10:11], v5
	v_add_u32_e32 v4, 1, v4
	v_cmp_lt_u32_e32 vcc, 21, v4
	v_add_u32_e32 v5, 8, v5
	v_add_u32_e32 v7, 8, v7
	s_or_b64 s[6:7], vcc, s[6:7]
	s_waitcnt vmcnt(1) lgkmcnt(0)
	v_mul_f32_e32 v13, v11, v9
	v_mul_f32_e32 v9, v10, v9
	s_waitcnt vmcnt(0)
	v_fma_f32 v10, v10, v12, -v13
	v_fmac_f32_e32 v9, v11, v12
	v_add_f32_e32 v8, v8, v10
	v_add_f32_e32 v3, v3, v9
	s_andn2_b64 exec, exec, s[6:7]
	s_cbranch_execnz .LBB121_105
; %bb.106:
	s_or_b64 exec, exec, s[6:7]
	v_mov_b32_e32 v4, 0
	ds_read_b64 v[4:5], v4 offset:184
	s_waitcnt lgkmcnt(0)
	v_mul_f32_e32 v7, v3, v5
	v_mul_f32_e32 v5, v8, v5
	v_fma_f32 v7, v8, v4, -v7
	v_fmac_f32_e32 v5, v3, v4
	buffer_store_dword v7, off, s[0:3], 0 offset:184
	buffer_store_dword v5, off, s[0:3], 0 offset:188
.LBB121_107:
	s_or_b64 exec, exec, s[4:5]
	s_waitcnt lgkmcnt(0)
	; wave barrier
	buffer_load_dword v4, off, s[0:3], 0 offset:192
	buffer_load_dword v5, off, s[0:3], 0 offset:196
	v_cmp_gt_u32_e32 vcc, 24, v0
	s_waitcnt vmcnt(0)
	ds_write_b64 v1, v[4:5]
	s_waitcnt lgkmcnt(0)
	; wave barrier
	s_waitcnt lgkmcnt(0)
	s_and_saveexec_b64 s[4:5], vcc
	s_cbranch_execz .LBB121_111
; %bb.108:
	v_add_u32_e32 v4, -1, v0
	v_add_u32_e32 v5, 0x1d0, v6
	v_add_u32_e32 v7, 0, v6
	s_mov_b64 s[6:7], 0
	v_mov_b32_e32 v3, 0
	v_mov_b32_e32 v8, 0
.LBB121_109:                            ; =>This Inner Loop Header: Depth=1
	buffer_load_dword v9, v7, s[0:3], 0 offen offset:4
	buffer_load_dword v12, v7, s[0:3], 0 offen
	ds_read_b64 v[10:11], v5
	v_add_u32_e32 v4, 1, v4
	v_cmp_lt_u32_e32 vcc, 22, v4
	v_add_u32_e32 v5, 8, v5
	v_add_u32_e32 v7, 8, v7
	s_or_b64 s[6:7], vcc, s[6:7]
	s_waitcnt vmcnt(1) lgkmcnt(0)
	v_mul_f32_e32 v13, v11, v9
	v_mul_f32_e32 v9, v10, v9
	s_waitcnt vmcnt(0)
	v_fma_f32 v10, v10, v12, -v13
	v_fmac_f32_e32 v9, v11, v12
	v_add_f32_e32 v8, v8, v10
	v_add_f32_e32 v3, v3, v9
	s_andn2_b64 exec, exec, s[6:7]
	s_cbranch_execnz .LBB121_109
; %bb.110:
	s_or_b64 exec, exec, s[6:7]
	v_mov_b32_e32 v4, 0
	ds_read_b64 v[4:5], v4 offset:192
	s_waitcnt lgkmcnt(0)
	v_mul_f32_e32 v7, v3, v5
	v_mul_f32_e32 v5, v8, v5
	v_fma_f32 v7, v8, v4, -v7
	v_fmac_f32_e32 v5, v3, v4
	buffer_store_dword v7, off, s[0:3], 0 offset:192
	buffer_store_dword v5, off, s[0:3], 0 offset:196
.LBB121_111:
	s_or_b64 exec, exec, s[4:5]
	s_waitcnt lgkmcnt(0)
	; wave barrier
	buffer_load_dword v4, off, s[0:3], 0 offset:200
	buffer_load_dword v5, off, s[0:3], 0 offset:204
	v_cmp_gt_u32_e32 vcc, 25, v0
	s_waitcnt vmcnt(0)
	ds_write_b64 v1, v[4:5]
	s_waitcnt lgkmcnt(0)
	; wave barrier
	s_waitcnt lgkmcnt(0)
	s_and_saveexec_b64 s[4:5], vcc
	s_cbranch_execz .LBB121_115
; %bb.112:
	v_add_u32_e32 v4, -1, v0
	v_add_u32_e32 v5, 0x1d0, v6
	v_add_u32_e32 v7, 0, v6
	s_mov_b64 s[6:7], 0
	v_mov_b32_e32 v3, 0
	v_mov_b32_e32 v8, 0
.LBB121_113:                            ; =>This Inner Loop Header: Depth=1
	buffer_load_dword v9, v7, s[0:3], 0 offen offset:4
	buffer_load_dword v12, v7, s[0:3], 0 offen
	ds_read_b64 v[10:11], v5
	v_add_u32_e32 v4, 1, v4
	v_cmp_lt_u32_e32 vcc, 23, v4
	v_add_u32_e32 v5, 8, v5
	v_add_u32_e32 v7, 8, v7
	s_or_b64 s[6:7], vcc, s[6:7]
	s_waitcnt vmcnt(1) lgkmcnt(0)
	v_mul_f32_e32 v13, v11, v9
	v_mul_f32_e32 v9, v10, v9
	s_waitcnt vmcnt(0)
	v_fma_f32 v10, v10, v12, -v13
	v_fmac_f32_e32 v9, v11, v12
	v_add_f32_e32 v8, v8, v10
	v_add_f32_e32 v3, v3, v9
	s_andn2_b64 exec, exec, s[6:7]
	s_cbranch_execnz .LBB121_113
; %bb.114:
	s_or_b64 exec, exec, s[6:7]
	v_mov_b32_e32 v4, 0
	ds_read_b64 v[4:5], v4 offset:200
	s_waitcnt lgkmcnt(0)
	v_mul_f32_e32 v7, v3, v5
	v_mul_f32_e32 v5, v8, v5
	v_fma_f32 v7, v8, v4, -v7
	v_fmac_f32_e32 v5, v3, v4
	buffer_store_dword v7, off, s[0:3], 0 offset:200
	buffer_store_dword v5, off, s[0:3], 0 offset:204
.LBB121_115:
	s_or_b64 exec, exec, s[4:5]
	s_waitcnt lgkmcnt(0)
	; wave barrier
	buffer_load_dword v4, off, s[0:3], 0 offset:208
	buffer_load_dword v5, off, s[0:3], 0 offset:212
	v_cmp_gt_u32_e32 vcc, 26, v0
	s_waitcnt vmcnt(0)
	ds_write_b64 v1, v[4:5]
	s_waitcnt lgkmcnt(0)
	; wave barrier
	s_waitcnt lgkmcnt(0)
	s_and_saveexec_b64 s[4:5], vcc
	s_cbranch_execz .LBB121_119
; %bb.116:
	v_add_u32_e32 v4, -1, v0
	v_add_u32_e32 v5, 0x1d0, v6
	v_add_u32_e32 v7, 0, v6
	s_mov_b64 s[6:7], 0
	v_mov_b32_e32 v3, 0
	v_mov_b32_e32 v8, 0
.LBB121_117:                            ; =>This Inner Loop Header: Depth=1
	buffer_load_dword v9, v7, s[0:3], 0 offen offset:4
	buffer_load_dword v12, v7, s[0:3], 0 offen
	ds_read_b64 v[10:11], v5
	v_add_u32_e32 v4, 1, v4
	v_cmp_lt_u32_e32 vcc, 24, v4
	v_add_u32_e32 v5, 8, v5
	v_add_u32_e32 v7, 8, v7
	s_or_b64 s[6:7], vcc, s[6:7]
	s_waitcnt vmcnt(1) lgkmcnt(0)
	v_mul_f32_e32 v13, v11, v9
	v_mul_f32_e32 v9, v10, v9
	s_waitcnt vmcnt(0)
	v_fma_f32 v10, v10, v12, -v13
	v_fmac_f32_e32 v9, v11, v12
	v_add_f32_e32 v8, v8, v10
	v_add_f32_e32 v3, v3, v9
	s_andn2_b64 exec, exec, s[6:7]
	s_cbranch_execnz .LBB121_117
; %bb.118:
	s_or_b64 exec, exec, s[6:7]
	v_mov_b32_e32 v4, 0
	ds_read_b64 v[4:5], v4 offset:208
	s_waitcnt lgkmcnt(0)
	v_mul_f32_e32 v7, v3, v5
	v_mul_f32_e32 v5, v8, v5
	v_fma_f32 v7, v8, v4, -v7
	v_fmac_f32_e32 v5, v3, v4
	buffer_store_dword v7, off, s[0:3], 0 offset:208
	buffer_store_dword v5, off, s[0:3], 0 offset:212
.LBB121_119:
	s_or_b64 exec, exec, s[4:5]
	s_waitcnt lgkmcnt(0)
	; wave barrier
	buffer_load_dword v4, off, s[0:3], 0 offset:216
	buffer_load_dword v5, off, s[0:3], 0 offset:220
	v_cmp_gt_u32_e32 vcc, 27, v0
	s_waitcnt vmcnt(0)
	ds_write_b64 v1, v[4:5]
	s_waitcnt lgkmcnt(0)
	; wave barrier
	s_waitcnt lgkmcnt(0)
	s_and_saveexec_b64 s[4:5], vcc
	s_cbranch_execz .LBB121_123
; %bb.120:
	v_add_u32_e32 v4, -1, v0
	v_add_u32_e32 v5, 0x1d0, v6
	v_add_u32_e32 v7, 0, v6
	s_mov_b64 s[6:7], 0
	v_mov_b32_e32 v3, 0
	v_mov_b32_e32 v8, 0
.LBB121_121:                            ; =>This Inner Loop Header: Depth=1
	buffer_load_dword v9, v7, s[0:3], 0 offen offset:4
	buffer_load_dword v12, v7, s[0:3], 0 offen
	ds_read_b64 v[10:11], v5
	v_add_u32_e32 v4, 1, v4
	v_cmp_lt_u32_e32 vcc, 25, v4
	v_add_u32_e32 v5, 8, v5
	v_add_u32_e32 v7, 8, v7
	s_or_b64 s[6:7], vcc, s[6:7]
	s_waitcnt vmcnt(1) lgkmcnt(0)
	v_mul_f32_e32 v13, v11, v9
	v_mul_f32_e32 v9, v10, v9
	s_waitcnt vmcnt(0)
	v_fma_f32 v10, v10, v12, -v13
	v_fmac_f32_e32 v9, v11, v12
	v_add_f32_e32 v8, v8, v10
	v_add_f32_e32 v3, v3, v9
	s_andn2_b64 exec, exec, s[6:7]
	s_cbranch_execnz .LBB121_121
; %bb.122:
	s_or_b64 exec, exec, s[6:7]
	v_mov_b32_e32 v4, 0
	ds_read_b64 v[4:5], v4 offset:216
	s_waitcnt lgkmcnt(0)
	v_mul_f32_e32 v7, v3, v5
	v_mul_f32_e32 v5, v8, v5
	v_fma_f32 v7, v8, v4, -v7
	v_fmac_f32_e32 v5, v3, v4
	buffer_store_dword v7, off, s[0:3], 0 offset:216
	buffer_store_dword v5, off, s[0:3], 0 offset:220
.LBB121_123:
	s_or_b64 exec, exec, s[4:5]
	s_waitcnt lgkmcnt(0)
	; wave barrier
	buffer_load_dword v4, off, s[0:3], 0 offset:224
	buffer_load_dword v5, off, s[0:3], 0 offset:228
	v_cmp_gt_u32_e32 vcc, 28, v0
	s_waitcnt vmcnt(0)
	ds_write_b64 v1, v[4:5]
	s_waitcnt lgkmcnt(0)
	; wave barrier
	s_waitcnt lgkmcnt(0)
	s_and_saveexec_b64 s[4:5], vcc
	s_cbranch_execz .LBB121_127
; %bb.124:
	v_add_u32_e32 v4, -1, v0
	v_add_u32_e32 v5, 0x1d0, v6
	v_add_u32_e32 v7, 0, v6
	s_mov_b64 s[6:7], 0
	v_mov_b32_e32 v3, 0
	v_mov_b32_e32 v8, 0
.LBB121_125:                            ; =>This Inner Loop Header: Depth=1
	buffer_load_dword v9, v7, s[0:3], 0 offen offset:4
	buffer_load_dword v12, v7, s[0:3], 0 offen
	ds_read_b64 v[10:11], v5
	v_add_u32_e32 v4, 1, v4
	v_cmp_lt_u32_e32 vcc, 26, v4
	v_add_u32_e32 v5, 8, v5
	v_add_u32_e32 v7, 8, v7
	s_or_b64 s[6:7], vcc, s[6:7]
	s_waitcnt vmcnt(1) lgkmcnt(0)
	v_mul_f32_e32 v13, v11, v9
	v_mul_f32_e32 v9, v10, v9
	s_waitcnt vmcnt(0)
	v_fma_f32 v10, v10, v12, -v13
	v_fmac_f32_e32 v9, v11, v12
	v_add_f32_e32 v8, v8, v10
	v_add_f32_e32 v3, v3, v9
	s_andn2_b64 exec, exec, s[6:7]
	s_cbranch_execnz .LBB121_125
; %bb.126:
	s_or_b64 exec, exec, s[6:7]
	v_mov_b32_e32 v4, 0
	ds_read_b64 v[4:5], v4 offset:224
	s_waitcnt lgkmcnt(0)
	v_mul_f32_e32 v7, v3, v5
	v_mul_f32_e32 v5, v8, v5
	v_fma_f32 v7, v8, v4, -v7
	v_fmac_f32_e32 v5, v3, v4
	buffer_store_dword v7, off, s[0:3], 0 offset:224
	buffer_store_dword v5, off, s[0:3], 0 offset:228
.LBB121_127:
	s_or_b64 exec, exec, s[4:5]
	s_waitcnt lgkmcnt(0)
	; wave barrier
	buffer_load_dword v4, off, s[0:3], 0 offset:232
	buffer_load_dword v5, off, s[0:3], 0 offset:236
	v_cmp_gt_u32_e32 vcc, 29, v0
	s_waitcnt vmcnt(0)
	ds_write_b64 v1, v[4:5]
	s_waitcnt lgkmcnt(0)
	; wave barrier
	s_waitcnt lgkmcnt(0)
	s_and_saveexec_b64 s[4:5], vcc
	s_cbranch_execz .LBB121_131
; %bb.128:
	v_add_u32_e32 v4, -1, v0
	v_add_u32_e32 v5, 0x1d0, v6
	v_add_u32_e32 v7, 0, v6
	s_mov_b64 s[6:7], 0
	v_mov_b32_e32 v3, 0
	v_mov_b32_e32 v8, 0
.LBB121_129:                            ; =>This Inner Loop Header: Depth=1
	buffer_load_dword v9, v7, s[0:3], 0 offen offset:4
	buffer_load_dword v12, v7, s[0:3], 0 offen
	ds_read_b64 v[10:11], v5
	v_add_u32_e32 v4, 1, v4
	v_cmp_lt_u32_e32 vcc, 27, v4
	v_add_u32_e32 v5, 8, v5
	v_add_u32_e32 v7, 8, v7
	s_or_b64 s[6:7], vcc, s[6:7]
	s_waitcnt vmcnt(1) lgkmcnt(0)
	v_mul_f32_e32 v13, v11, v9
	v_mul_f32_e32 v9, v10, v9
	s_waitcnt vmcnt(0)
	v_fma_f32 v10, v10, v12, -v13
	v_fmac_f32_e32 v9, v11, v12
	v_add_f32_e32 v8, v8, v10
	v_add_f32_e32 v3, v3, v9
	s_andn2_b64 exec, exec, s[6:7]
	s_cbranch_execnz .LBB121_129
; %bb.130:
	s_or_b64 exec, exec, s[6:7]
	v_mov_b32_e32 v4, 0
	ds_read_b64 v[4:5], v4 offset:232
	s_waitcnt lgkmcnt(0)
	v_mul_f32_e32 v7, v3, v5
	v_mul_f32_e32 v5, v8, v5
	v_fma_f32 v7, v8, v4, -v7
	v_fmac_f32_e32 v5, v3, v4
	buffer_store_dword v7, off, s[0:3], 0 offset:232
	buffer_store_dword v5, off, s[0:3], 0 offset:236
.LBB121_131:
	s_or_b64 exec, exec, s[4:5]
	s_waitcnt lgkmcnt(0)
	; wave barrier
	buffer_load_dword v4, off, s[0:3], 0 offset:240
	buffer_load_dword v5, off, s[0:3], 0 offset:244
	v_cmp_gt_u32_e32 vcc, 30, v0
	s_waitcnt vmcnt(0)
	ds_write_b64 v1, v[4:5]
	s_waitcnt lgkmcnt(0)
	; wave barrier
	s_waitcnt lgkmcnt(0)
	s_and_saveexec_b64 s[4:5], vcc
	s_cbranch_execz .LBB121_135
; %bb.132:
	v_add_u32_e32 v4, -1, v0
	v_add_u32_e32 v5, 0x1d0, v6
	v_add_u32_e32 v7, 0, v6
	s_mov_b64 s[6:7], 0
	v_mov_b32_e32 v3, 0
	v_mov_b32_e32 v8, 0
.LBB121_133:                            ; =>This Inner Loop Header: Depth=1
	buffer_load_dword v9, v7, s[0:3], 0 offen offset:4
	buffer_load_dword v12, v7, s[0:3], 0 offen
	ds_read_b64 v[10:11], v5
	v_add_u32_e32 v4, 1, v4
	v_cmp_lt_u32_e32 vcc, 28, v4
	v_add_u32_e32 v5, 8, v5
	v_add_u32_e32 v7, 8, v7
	s_or_b64 s[6:7], vcc, s[6:7]
	s_waitcnt vmcnt(1) lgkmcnt(0)
	v_mul_f32_e32 v13, v11, v9
	v_mul_f32_e32 v9, v10, v9
	s_waitcnt vmcnt(0)
	v_fma_f32 v10, v10, v12, -v13
	v_fmac_f32_e32 v9, v11, v12
	v_add_f32_e32 v8, v8, v10
	v_add_f32_e32 v3, v3, v9
	s_andn2_b64 exec, exec, s[6:7]
	s_cbranch_execnz .LBB121_133
; %bb.134:
	s_or_b64 exec, exec, s[6:7]
	v_mov_b32_e32 v4, 0
	ds_read_b64 v[4:5], v4 offset:240
	s_waitcnt lgkmcnt(0)
	v_mul_f32_e32 v7, v3, v5
	v_mul_f32_e32 v5, v8, v5
	v_fma_f32 v7, v8, v4, -v7
	v_fmac_f32_e32 v5, v3, v4
	buffer_store_dword v7, off, s[0:3], 0 offset:240
	buffer_store_dword v5, off, s[0:3], 0 offset:244
.LBB121_135:
	s_or_b64 exec, exec, s[4:5]
	s_waitcnt lgkmcnt(0)
	; wave barrier
	buffer_load_dword v4, off, s[0:3], 0 offset:248
	buffer_load_dword v5, off, s[0:3], 0 offset:252
	v_cmp_gt_u32_e32 vcc, 31, v0
	s_waitcnt vmcnt(0)
	ds_write_b64 v1, v[4:5]
	s_waitcnt lgkmcnt(0)
	; wave barrier
	s_waitcnt lgkmcnt(0)
	s_and_saveexec_b64 s[4:5], vcc
	s_cbranch_execz .LBB121_139
; %bb.136:
	v_add_u32_e32 v4, -1, v0
	v_add_u32_e32 v5, 0x1d0, v6
	v_add_u32_e32 v7, 0, v6
	s_mov_b64 s[6:7], 0
	v_mov_b32_e32 v3, 0
	v_mov_b32_e32 v8, 0
.LBB121_137:                            ; =>This Inner Loop Header: Depth=1
	buffer_load_dword v9, v7, s[0:3], 0 offen offset:4
	buffer_load_dword v12, v7, s[0:3], 0 offen
	ds_read_b64 v[10:11], v5
	v_add_u32_e32 v4, 1, v4
	v_cmp_lt_u32_e32 vcc, 29, v4
	v_add_u32_e32 v5, 8, v5
	v_add_u32_e32 v7, 8, v7
	s_or_b64 s[6:7], vcc, s[6:7]
	s_waitcnt vmcnt(1) lgkmcnt(0)
	v_mul_f32_e32 v13, v11, v9
	v_mul_f32_e32 v9, v10, v9
	s_waitcnt vmcnt(0)
	v_fma_f32 v10, v10, v12, -v13
	v_fmac_f32_e32 v9, v11, v12
	v_add_f32_e32 v8, v8, v10
	v_add_f32_e32 v3, v3, v9
	s_andn2_b64 exec, exec, s[6:7]
	s_cbranch_execnz .LBB121_137
; %bb.138:
	s_or_b64 exec, exec, s[6:7]
	v_mov_b32_e32 v4, 0
	ds_read_b64 v[4:5], v4 offset:248
	s_waitcnt lgkmcnt(0)
	v_mul_f32_e32 v7, v3, v5
	v_mul_f32_e32 v5, v8, v5
	v_fma_f32 v7, v8, v4, -v7
	v_fmac_f32_e32 v5, v3, v4
	buffer_store_dword v7, off, s[0:3], 0 offset:248
	buffer_store_dword v5, off, s[0:3], 0 offset:252
.LBB121_139:
	s_or_b64 exec, exec, s[4:5]
	s_waitcnt lgkmcnt(0)
	; wave barrier
	buffer_load_dword v4, off, s[0:3], 0 offset:256
	buffer_load_dword v5, off, s[0:3], 0 offset:260
	v_cmp_gt_u32_e32 vcc, 32, v0
	s_waitcnt vmcnt(0)
	ds_write_b64 v1, v[4:5]
	s_waitcnt lgkmcnt(0)
	; wave barrier
	s_waitcnt lgkmcnt(0)
	s_and_saveexec_b64 s[4:5], vcc
	s_cbranch_execz .LBB121_143
; %bb.140:
	v_add_u32_e32 v4, -1, v0
	v_add_u32_e32 v5, 0x1d0, v6
	v_add_u32_e32 v7, 0, v6
	s_mov_b64 s[6:7], 0
	v_mov_b32_e32 v3, 0
	v_mov_b32_e32 v8, 0
.LBB121_141:                            ; =>This Inner Loop Header: Depth=1
	buffer_load_dword v9, v7, s[0:3], 0 offen offset:4
	buffer_load_dword v12, v7, s[0:3], 0 offen
	ds_read_b64 v[10:11], v5
	v_add_u32_e32 v4, 1, v4
	v_cmp_lt_u32_e32 vcc, 30, v4
	v_add_u32_e32 v5, 8, v5
	v_add_u32_e32 v7, 8, v7
	s_or_b64 s[6:7], vcc, s[6:7]
	s_waitcnt vmcnt(1) lgkmcnt(0)
	v_mul_f32_e32 v13, v11, v9
	v_mul_f32_e32 v9, v10, v9
	s_waitcnt vmcnt(0)
	v_fma_f32 v10, v10, v12, -v13
	v_fmac_f32_e32 v9, v11, v12
	v_add_f32_e32 v8, v8, v10
	v_add_f32_e32 v3, v3, v9
	s_andn2_b64 exec, exec, s[6:7]
	s_cbranch_execnz .LBB121_141
; %bb.142:
	s_or_b64 exec, exec, s[6:7]
	v_mov_b32_e32 v4, 0
	ds_read_b64 v[4:5], v4 offset:256
	s_waitcnt lgkmcnt(0)
	v_mul_f32_e32 v7, v3, v5
	v_mul_f32_e32 v5, v8, v5
	v_fma_f32 v7, v8, v4, -v7
	v_fmac_f32_e32 v5, v3, v4
	buffer_store_dword v7, off, s[0:3], 0 offset:256
	buffer_store_dword v5, off, s[0:3], 0 offset:260
.LBB121_143:
	s_or_b64 exec, exec, s[4:5]
	s_waitcnt lgkmcnt(0)
	; wave barrier
	buffer_load_dword v4, off, s[0:3], 0 offset:264
	buffer_load_dword v5, off, s[0:3], 0 offset:268
	v_cmp_gt_u32_e32 vcc, 33, v0
	s_waitcnt vmcnt(0)
	ds_write_b64 v1, v[4:5]
	s_waitcnt lgkmcnt(0)
	; wave barrier
	s_waitcnt lgkmcnt(0)
	s_and_saveexec_b64 s[4:5], vcc
	s_cbranch_execz .LBB121_147
; %bb.144:
	v_add_u32_e32 v4, -1, v0
	v_add_u32_e32 v5, 0x1d0, v6
	v_add_u32_e32 v7, 0, v6
	s_mov_b64 s[6:7], 0
	v_mov_b32_e32 v3, 0
	v_mov_b32_e32 v8, 0
.LBB121_145:                            ; =>This Inner Loop Header: Depth=1
	buffer_load_dword v9, v7, s[0:3], 0 offen offset:4
	buffer_load_dword v12, v7, s[0:3], 0 offen
	ds_read_b64 v[10:11], v5
	v_add_u32_e32 v4, 1, v4
	v_cmp_lt_u32_e32 vcc, 31, v4
	v_add_u32_e32 v5, 8, v5
	v_add_u32_e32 v7, 8, v7
	s_or_b64 s[6:7], vcc, s[6:7]
	s_waitcnt vmcnt(1) lgkmcnt(0)
	v_mul_f32_e32 v13, v11, v9
	v_mul_f32_e32 v9, v10, v9
	s_waitcnt vmcnt(0)
	v_fma_f32 v10, v10, v12, -v13
	v_fmac_f32_e32 v9, v11, v12
	v_add_f32_e32 v8, v8, v10
	v_add_f32_e32 v3, v3, v9
	s_andn2_b64 exec, exec, s[6:7]
	s_cbranch_execnz .LBB121_145
; %bb.146:
	s_or_b64 exec, exec, s[6:7]
	v_mov_b32_e32 v4, 0
	ds_read_b64 v[4:5], v4 offset:264
	s_waitcnt lgkmcnt(0)
	v_mul_f32_e32 v7, v3, v5
	v_mul_f32_e32 v5, v8, v5
	v_fma_f32 v7, v8, v4, -v7
	v_fmac_f32_e32 v5, v3, v4
	buffer_store_dword v7, off, s[0:3], 0 offset:264
	buffer_store_dword v5, off, s[0:3], 0 offset:268
.LBB121_147:
	s_or_b64 exec, exec, s[4:5]
	s_waitcnt lgkmcnt(0)
	; wave barrier
	buffer_load_dword v4, off, s[0:3], 0 offset:272
	buffer_load_dword v5, off, s[0:3], 0 offset:276
	v_cmp_gt_u32_e32 vcc, 34, v0
	s_waitcnt vmcnt(0)
	ds_write_b64 v1, v[4:5]
	s_waitcnt lgkmcnt(0)
	; wave barrier
	s_waitcnt lgkmcnt(0)
	s_and_saveexec_b64 s[4:5], vcc
	s_cbranch_execz .LBB121_151
; %bb.148:
	v_add_u32_e32 v4, -1, v0
	v_add_u32_e32 v5, 0x1d0, v6
	v_add_u32_e32 v7, 0, v6
	s_mov_b64 s[6:7], 0
	v_mov_b32_e32 v3, 0
	v_mov_b32_e32 v8, 0
.LBB121_149:                            ; =>This Inner Loop Header: Depth=1
	buffer_load_dword v9, v7, s[0:3], 0 offen offset:4
	buffer_load_dword v12, v7, s[0:3], 0 offen
	ds_read_b64 v[10:11], v5
	v_add_u32_e32 v4, 1, v4
	v_cmp_lt_u32_e32 vcc, 32, v4
	v_add_u32_e32 v5, 8, v5
	v_add_u32_e32 v7, 8, v7
	s_or_b64 s[6:7], vcc, s[6:7]
	s_waitcnt vmcnt(1) lgkmcnt(0)
	v_mul_f32_e32 v13, v11, v9
	v_mul_f32_e32 v9, v10, v9
	s_waitcnt vmcnt(0)
	v_fma_f32 v10, v10, v12, -v13
	v_fmac_f32_e32 v9, v11, v12
	v_add_f32_e32 v8, v8, v10
	v_add_f32_e32 v3, v3, v9
	s_andn2_b64 exec, exec, s[6:7]
	s_cbranch_execnz .LBB121_149
; %bb.150:
	s_or_b64 exec, exec, s[6:7]
	v_mov_b32_e32 v4, 0
	ds_read_b64 v[4:5], v4 offset:272
	s_waitcnt lgkmcnt(0)
	v_mul_f32_e32 v7, v3, v5
	v_mul_f32_e32 v5, v8, v5
	v_fma_f32 v7, v8, v4, -v7
	v_fmac_f32_e32 v5, v3, v4
	buffer_store_dword v7, off, s[0:3], 0 offset:272
	buffer_store_dword v5, off, s[0:3], 0 offset:276
.LBB121_151:
	s_or_b64 exec, exec, s[4:5]
	s_waitcnt lgkmcnt(0)
	; wave barrier
	buffer_load_dword v4, off, s[0:3], 0 offset:280
	buffer_load_dword v5, off, s[0:3], 0 offset:284
	v_cmp_gt_u32_e32 vcc, 35, v0
	s_waitcnt vmcnt(0)
	ds_write_b64 v1, v[4:5]
	s_waitcnt lgkmcnt(0)
	; wave barrier
	s_waitcnt lgkmcnt(0)
	s_and_saveexec_b64 s[4:5], vcc
	s_cbranch_execz .LBB121_155
; %bb.152:
	v_add_u32_e32 v4, -1, v0
	v_add_u32_e32 v5, 0x1d0, v6
	v_add_u32_e32 v7, 0, v6
	s_mov_b64 s[6:7], 0
	v_mov_b32_e32 v3, 0
	v_mov_b32_e32 v8, 0
.LBB121_153:                            ; =>This Inner Loop Header: Depth=1
	buffer_load_dword v9, v7, s[0:3], 0 offen offset:4
	buffer_load_dword v12, v7, s[0:3], 0 offen
	ds_read_b64 v[10:11], v5
	v_add_u32_e32 v4, 1, v4
	v_cmp_lt_u32_e32 vcc, 33, v4
	v_add_u32_e32 v5, 8, v5
	v_add_u32_e32 v7, 8, v7
	s_or_b64 s[6:7], vcc, s[6:7]
	s_waitcnt vmcnt(1) lgkmcnt(0)
	v_mul_f32_e32 v13, v11, v9
	v_mul_f32_e32 v9, v10, v9
	s_waitcnt vmcnt(0)
	v_fma_f32 v10, v10, v12, -v13
	v_fmac_f32_e32 v9, v11, v12
	v_add_f32_e32 v8, v8, v10
	v_add_f32_e32 v3, v3, v9
	s_andn2_b64 exec, exec, s[6:7]
	s_cbranch_execnz .LBB121_153
; %bb.154:
	s_or_b64 exec, exec, s[6:7]
	v_mov_b32_e32 v4, 0
	ds_read_b64 v[4:5], v4 offset:280
	s_waitcnt lgkmcnt(0)
	v_mul_f32_e32 v7, v3, v5
	v_mul_f32_e32 v5, v8, v5
	v_fma_f32 v7, v8, v4, -v7
	v_fmac_f32_e32 v5, v3, v4
	buffer_store_dword v7, off, s[0:3], 0 offset:280
	buffer_store_dword v5, off, s[0:3], 0 offset:284
.LBB121_155:
	s_or_b64 exec, exec, s[4:5]
	s_waitcnt lgkmcnt(0)
	; wave barrier
	buffer_load_dword v4, off, s[0:3], 0 offset:288
	buffer_load_dword v5, off, s[0:3], 0 offset:292
	v_cmp_gt_u32_e32 vcc, 36, v0
	s_waitcnt vmcnt(0)
	ds_write_b64 v1, v[4:5]
	s_waitcnt lgkmcnt(0)
	; wave barrier
	s_waitcnt lgkmcnt(0)
	s_and_saveexec_b64 s[4:5], vcc
	s_cbranch_execz .LBB121_159
; %bb.156:
	v_add_u32_e32 v4, -1, v0
	v_add_u32_e32 v5, 0x1d0, v6
	v_add_u32_e32 v7, 0, v6
	s_mov_b64 s[6:7], 0
	v_mov_b32_e32 v3, 0
	v_mov_b32_e32 v8, 0
.LBB121_157:                            ; =>This Inner Loop Header: Depth=1
	buffer_load_dword v9, v7, s[0:3], 0 offen offset:4
	buffer_load_dword v12, v7, s[0:3], 0 offen
	ds_read_b64 v[10:11], v5
	v_add_u32_e32 v4, 1, v4
	v_cmp_lt_u32_e32 vcc, 34, v4
	v_add_u32_e32 v5, 8, v5
	v_add_u32_e32 v7, 8, v7
	s_or_b64 s[6:7], vcc, s[6:7]
	s_waitcnt vmcnt(1) lgkmcnt(0)
	v_mul_f32_e32 v13, v11, v9
	v_mul_f32_e32 v9, v10, v9
	s_waitcnt vmcnt(0)
	v_fma_f32 v10, v10, v12, -v13
	v_fmac_f32_e32 v9, v11, v12
	v_add_f32_e32 v8, v8, v10
	v_add_f32_e32 v3, v3, v9
	s_andn2_b64 exec, exec, s[6:7]
	s_cbranch_execnz .LBB121_157
; %bb.158:
	s_or_b64 exec, exec, s[6:7]
	v_mov_b32_e32 v4, 0
	ds_read_b64 v[4:5], v4 offset:288
	s_waitcnt lgkmcnt(0)
	v_mul_f32_e32 v7, v3, v5
	v_mul_f32_e32 v5, v8, v5
	v_fma_f32 v7, v8, v4, -v7
	v_fmac_f32_e32 v5, v3, v4
	buffer_store_dword v7, off, s[0:3], 0 offset:288
	buffer_store_dword v5, off, s[0:3], 0 offset:292
.LBB121_159:
	s_or_b64 exec, exec, s[4:5]
	s_waitcnt lgkmcnt(0)
	; wave barrier
	buffer_load_dword v4, off, s[0:3], 0 offset:296
	buffer_load_dword v5, off, s[0:3], 0 offset:300
	v_cmp_gt_u32_e32 vcc, 37, v0
	s_waitcnt vmcnt(0)
	ds_write_b64 v1, v[4:5]
	s_waitcnt lgkmcnt(0)
	; wave barrier
	s_waitcnt lgkmcnt(0)
	s_and_saveexec_b64 s[4:5], vcc
	s_cbranch_execz .LBB121_163
; %bb.160:
	v_add_u32_e32 v4, -1, v0
	v_add_u32_e32 v5, 0x1d0, v6
	v_add_u32_e32 v7, 0, v6
	s_mov_b64 s[6:7], 0
	v_mov_b32_e32 v3, 0
	v_mov_b32_e32 v8, 0
.LBB121_161:                            ; =>This Inner Loop Header: Depth=1
	buffer_load_dword v9, v7, s[0:3], 0 offen offset:4
	buffer_load_dword v12, v7, s[0:3], 0 offen
	ds_read_b64 v[10:11], v5
	v_add_u32_e32 v4, 1, v4
	v_cmp_lt_u32_e32 vcc, 35, v4
	v_add_u32_e32 v5, 8, v5
	v_add_u32_e32 v7, 8, v7
	s_or_b64 s[6:7], vcc, s[6:7]
	s_waitcnt vmcnt(1) lgkmcnt(0)
	v_mul_f32_e32 v13, v11, v9
	v_mul_f32_e32 v9, v10, v9
	s_waitcnt vmcnt(0)
	v_fma_f32 v10, v10, v12, -v13
	v_fmac_f32_e32 v9, v11, v12
	v_add_f32_e32 v8, v8, v10
	v_add_f32_e32 v3, v3, v9
	s_andn2_b64 exec, exec, s[6:7]
	s_cbranch_execnz .LBB121_161
; %bb.162:
	s_or_b64 exec, exec, s[6:7]
	v_mov_b32_e32 v4, 0
	ds_read_b64 v[4:5], v4 offset:296
	s_waitcnt lgkmcnt(0)
	v_mul_f32_e32 v7, v3, v5
	v_mul_f32_e32 v5, v8, v5
	v_fma_f32 v7, v8, v4, -v7
	v_fmac_f32_e32 v5, v3, v4
	buffer_store_dword v7, off, s[0:3], 0 offset:296
	buffer_store_dword v5, off, s[0:3], 0 offset:300
.LBB121_163:
	s_or_b64 exec, exec, s[4:5]
	s_waitcnt lgkmcnt(0)
	; wave barrier
	buffer_load_dword v4, off, s[0:3], 0 offset:304
	buffer_load_dword v5, off, s[0:3], 0 offset:308
	v_cmp_gt_u32_e32 vcc, 38, v0
	s_waitcnt vmcnt(0)
	ds_write_b64 v1, v[4:5]
	s_waitcnt lgkmcnt(0)
	; wave barrier
	s_waitcnt lgkmcnt(0)
	s_and_saveexec_b64 s[4:5], vcc
	s_cbranch_execz .LBB121_167
; %bb.164:
	v_add_u32_e32 v4, -1, v0
	v_add_u32_e32 v5, 0x1d0, v6
	v_add_u32_e32 v7, 0, v6
	s_mov_b64 s[6:7], 0
	v_mov_b32_e32 v3, 0
	v_mov_b32_e32 v8, 0
.LBB121_165:                            ; =>This Inner Loop Header: Depth=1
	buffer_load_dword v9, v7, s[0:3], 0 offen offset:4
	buffer_load_dword v12, v7, s[0:3], 0 offen
	ds_read_b64 v[10:11], v5
	v_add_u32_e32 v4, 1, v4
	v_cmp_lt_u32_e32 vcc, 36, v4
	v_add_u32_e32 v5, 8, v5
	v_add_u32_e32 v7, 8, v7
	s_or_b64 s[6:7], vcc, s[6:7]
	s_waitcnt vmcnt(1) lgkmcnt(0)
	v_mul_f32_e32 v13, v11, v9
	v_mul_f32_e32 v9, v10, v9
	s_waitcnt vmcnt(0)
	v_fma_f32 v10, v10, v12, -v13
	v_fmac_f32_e32 v9, v11, v12
	v_add_f32_e32 v8, v8, v10
	v_add_f32_e32 v3, v3, v9
	s_andn2_b64 exec, exec, s[6:7]
	s_cbranch_execnz .LBB121_165
; %bb.166:
	s_or_b64 exec, exec, s[6:7]
	v_mov_b32_e32 v4, 0
	ds_read_b64 v[4:5], v4 offset:304
	s_waitcnt lgkmcnt(0)
	v_mul_f32_e32 v7, v3, v5
	v_mul_f32_e32 v5, v8, v5
	v_fma_f32 v7, v8, v4, -v7
	v_fmac_f32_e32 v5, v3, v4
	buffer_store_dword v7, off, s[0:3], 0 offset:304
	buffer_store_dword v5, off, s[0:3], 0 offset:308
.LBB121_167:
	s_or_b64 exec, exec, s[4:5]
	s_waitcnt lgkmcnt(0)
	; wave barrier
	buffer_load_dword v4, off, s[0:3], 0 offset:312
	buffer_load_dword v5, off, s[0:3], 0 offset:316
	v_cmp_gt_u32_e32 vcc, 39, v0
	s_waitcnt vmcnt(0)
	ds_write_b64 v1, v[4:5]
	s_waitcnt lgkmcnt(0)
	; wave barrier
	s_waitcnt lgkmcnt(0)
	s_and_saveexec_b64 s[4:5], vcc
	s_cbranch_execz .LBB121_171
; %bb.168:
	v_add_u32_e32 v4, -1, v0
	v_add_u32_e32 v5, 0x1d0, v6
	v_add_u32_e32 v7, 0, v6
	s_mov_b64 s[6:7], 0
	v_mov_b32_e32 v3, 0
	v_mov_b32_e32 v8, 0
.LBB121_169:                            ; =>This Inner Loop Header: Depth=1
	buffer_load_dword v9, v7, s[0:3], 0 offen offset:4
	buffer_load_dword v12, v7, s[0:3], 0 offen
	ds_read_b64 v[10:11], v5
	v_add_u32_e32 v4, 1, v4
	v_cmp_lt_u32_e32 vcc, 37, v4
	v_add_u32_e32 v5, 8, v5
	v_add_u32_e32 v7, 8, v7
	s_or_b64 s[6:7], vcc, s[6:7]
	s_waitcnt vmcnt(1) lgkmcnt(0)
	v_mul_f32_e32 v13, v11, v9
	v_mul_f32_e32 v9, v10, v9
	s_waitcnt vmcnt(0)
	v_fma_f32 v10, v10, v12, -v13
	v_fmac_f32_e32 v9, v11, v12
	v_add_f32_e32 v8, v8, v10
	v_add_f32_e32 v3, v3, v9
	s_andn2_b64 exec, exec, s[6:7]
	s_cbranch_execnz .LBB121_169
; %bb.170:
	s_or_b64 exec, exec, s[6:7]
	v_mov_b32_e32 v4, 0
	ds_read_b64 v[4:5], v4 offset:312
	s_waitcnt lgkmcnt(0)
	v_mul_f32_e32 v7, v3, v5
	v_mul_f32_e32 v5, v8, v5
	v_fma_f32 v7, v8, v4, -v7
	v_fmac_f32_e32 v5, v3, v4
	buffer_store_dword v7, off, s[0:3], 0 offset:312
	buffer_store_dword v5, off, s[0:3], 0 offset:316
.LBB121_171:
	s_or_b64 exec, exec, s[4:5]
	s_waitcnt lgkmcnt(0)
	; wave barrier
	buffer_load_dword v4, off, s[0:3], 0 offset:320
	buffer_load_dword v5, off, s[0:3], 0 offset:324
	v_cmp_gt_u32_e32 vcc, 40, v0
	s_waitcnt vmcnt(0)
	ds_write_b64 v1, v[4:5]
	s_waitcnt lgkmcnt(0)
	; wave barrier
	s_waitcnt lgkmcnt(0)
	s_and_saveexec_b64 s[4:5], vcc
	s_cbranch_execz .LBB121_175
; %bb.172:
	v_add_u32_e32 v4, -1, v0
	v_add_u32_e32 v5, 0x1d0, v6
	v_add_u32_e32 v7, 0, v6
	s_mov_b64 s[6:7], 0
	v_mov_b32_e32 v3, 0
	v_mov_b32_e32 v8, 0
.LBB121_173:                            ; =>This Inner Loop Header: Depth=1
	buffer_load_dword v9, v7, s[0:3], 0 offen offset:4
	buffer_load_dword v12, v7, s[0:3], 0 offen
	ds_read_b64 v[10:11], v5
	v_add_u32_e32 v4, 1, v4
	v_cmp_lt_u32_e32 vcc, 38, v4
	v_add_u32_e32 v5, 8, v5
	v_add_u32_e32 v7, 8, v7
	s_or_b64 s[6:7], vcc, s[6:7]
	s_waitcnt vmcnt(1) lgkmcnt(0)
	v_mul_f32_e32 v13, v11, v9
	v_mul_f32_e32 v9, v10, v9
	s_waitcnt vmcnt(0)
	v_fma_f32 v10, v10, v12, -v13
	v_fmac_f32_e32 v9, v11, v12
	v_add_f32_e32 v8, v8, v10
	v_add_f32_e32 v3, v3, v9
	s_andn2_b64 exec, exec, s[6:7]
	s_cbranch_execnz .LBB121_173
; %bb.174:
	s_or_b64 exec, exec, s[6:7]
	v_mov_b32_e32 v4, 0
	ds_read_b64 v[4:5], v4 offset:320
	s_waitcnt lgkmcnt(0)
	v_mul_f32_e32 v7, v3, v5
	v_mul_f32_e32 v5, v8, v5
	v_fma_f32 v7, v8, v4, -v7
	v_fmac_f32_e32 v5, v3, v4
	buffer_store_dword v7, off, s[0:3], 0 offset:320
	buffer_store_dword v5, off, s[0:3], 0 offset:324
.LBB121_175:
	s_or_b64 exec, exec, s[4:5]
	s_waitcnt lgkmcnt(0)
	; wave barrier
	buffer_load_dword v4, off, s[0:3], 0 offset:328
	buffer_load_dword v5, off, s[0:3], 0 offset:332
	v_cmp_gt_u32_e32 vcc, 41, v0
	s_waitcnt vmcnt(0)
	ds_write_b64 v1, v[4:5]
	s_waitcnt lgkmcnt(0)
	; wave barrier
	s_waitcnt lgkmcnt(0)
	s_and_saveexec_b64 s[4:5], vcc
	s_cbranch_execz .LBB121_179
; %bb.176:
	v_add_u32_e32 v4, -1, v0
	v_add_u32_e32 v5, 0x1d0, v6
	v_add_u32_e32 v7, 0, v6
	s_mov_b64 s[6:7], 0
	v_mov_b32_e32 v3, 0
	v_mov_b32_e32 v8, 0
.LBB121_177:                            ; =>This Inner Loop Header: Depth=1
	buffer_load_dword v9, v7, s[0:3], 0 offen offset:4
	buffer_load_dword v12, v7, s[0:3], 0 offen
	ds_read_b64 v[10:11], v5
	v_add_u32_e32 v4, 1, v4
	v_cmp_lt_u32_e32 vcc, 39, v4
	v_add_u32_e32 v5, 8, v5
	v_add_u32_e32 v7, 8, v7
	s_or_b64 s[6:7], vcc, s[6:7]
	s_waitcnt vmcnt(1) lgkmcnt(0)
	v_mul_f32_e32 v13, v11, v9
	v_mul_f32_e32 v9, v10, v9
	s_waitcnt vmcnt(0)
	v_fma_f32 v10, v10, v12, -v13
	v_fmac_f32_e32 v9, v11, v12
	v_add_f32_e32 v8, v8, v10
	v_add_f32_e32 v3, v3, v9
	s_andn2_b64 exec, exec, s[6:7]
	s_cbranch_execnz .LBB121_177
; %bb.178:
	s_or_b64 exec, exec, s[6:7]
	v_mov_b32_e32 v4, 0
	ds_read_b64 v[4:5], v4 offset:328
	s_waitcnt lgkmcnt(0)
	v_mul_f32_e32 v7, v3, v5
	v_mul_f32_e32 v5, v8, v5
	v_fma_f32 v7, v8, v4, -v7
	v_fmac_f32_e32 v5, v3, v4
	buffer_store_dword v7, off, s[0:3], 0 offset:328
	buffer_store_dword v5, off, s[0:3], 0 offset:332
.LBB121_179:
	s_or_b64 exec, exec, s[4:5]
	s_waitcnt lgkmcnt(0)
	; wave barrier
	buffer_load_dword v4, off, s[0:3], 0 offset:336
	buffer_load_dword v5, off, s[0:3], 0 offset:340
	v_cmp_gt_u32_e32 vcc, 42, v0
	s_waitcnt vmcnt(0)
	ds_write_b64 v1, v[4:5]
	s_waitcnt lgkmcnt(0)
	; wave barrier
	s_waitcnt lgkmcnt(0)
	s_and_saveexec_b64 s[4:5], vcc
	s_cbranch_execz .LBB121_183
; %bb.180:
	v_add_u32_e32 v4, -1, v0
	v_add_u32_e32 v5, 0x1d0, v6
	v_add_u32_e32 v7, 0, v6
	s_mov_b64 s[6:7], 0
	v_mov_b32_e32 v3, 0
	v_mov_b32_e32 v8, 0
.LBB121_181:                            ; =>This Inner Loop Header: Depth=1
	buffer_load_dword v9, v7, s[0:3], 0 offen offset:4
	buffer_load_dword v12, v7, s[0:3], 0 offen
	ds_read_b64 v[10:11], v5
	v_add_u32_e32 v4, 1, v4
	v_cmp_lt_u32_e32 vcc, 40, v4
	v_add_u32_e32 v5, 8, v5
	v_add_u32_e32 v7, 8, v7
	s_or_b64 s[6:7], vcc, s[6:7]
	s_waitcnt vmcnt(1) lgkmcnt(0)
	v_mul_f32_e32 v13, v11, v9
	v_mul_f32_e32 v9, v10, v9
	s_waitcnt vmcnt(0)
	v_fma_f32 v10, v10, v12, -v13
	v_fmac_f32_e32 v9, v11, v12
	v_add_f32_e32 v8, v8, v10
	v_add_f32_e32 v3, v3, v9
	s_andn2_b64 exec, exec, s[6:7]
	s_cbranch_execnz .LBB121_181
; %bb.182:
	s_or_b64 exec, exec, s[6:7]
	v_mov_b32_e32 v4, 0
	ds_read_b64 v[4:5], v4 offset:336
	s_waitcnt lgkmcnt(0)
	v_mul_f32_e32 v7, v3, v5
	v_mul_f32_e32 v5, v8, v5
	v_fma_f32 v7, v8, v4, -v7
	v_fmac_f32_e32 v5, v3, v4
	buffer_store_dword v7, off, s[0:3], 0 offset:336
	buffer_store_dword v5, off, s[0:3], 0 offset:340
.LBB121_183:
	s_or_b64 exec, exec, s[4:5]
	s_waitcnt lgkmcnt(0)
	; wave barrier
	buffer_load_dword v4, off, s[0:3], 0 offset:344
	buffer_load_dword v5, off, s[0:3], 0 offset:348
	v_cmp_gt_u32_e32 vcc, 43, v0
	s_waitcnt vmcnt(0)
	ds_write_b64 v1, v[4:5]
	s_waitcnt lgkmcnt(0)
	; wave barrier
	s_waitcnt lgkmcnt(0)
	s_and_saveexec_b64 s[4:5], vcc
	s_cbranch_execz .LBB121_187
; %bb.184:
	v_add_u32_e32 v4, -1, v0
	v_add_u32_e32 v5, 0x1d0, v6
	v_add_u32_e32 v7, 0, v6
	s_mov_b64 s[6:7], 0
	v_mov_b32_e32 v3, 0
	v_mov_b32_e32 v8, 0
.LBB121_185:                            ; =>This Inner Loop Header: Depth=1
	buffer_load_dword v9, v7, s[0:3], 0 offen offset:4
	buffer_load_dword v12, v7, s[0:3], 0 offen
	ds_read_b64 v[10:11], v5
	v_add_u32_e32 v4, 1, v4
	v_cmp_lt_u32_e32 vcc, 41, v4
	v_add_u32_e32 v5, 8, v5
	v_add_u32_e32 v7, 8, v7
	s_or_b64 s[6:7], vcc, s[6:7]
	s_waitcnt vmcnt(1) lgkmcnt(0)
	v_mul_f32_e32 v13, v11, v9
	v_mul_f32_e32 v9, v10, v9
	s_waitcnt vmcnt(0)
	v_fma_f32 v10, v10, v12, -v13
	v_fmac_f32_e32 v9, v11, v12
	v_add_f32_e32 v8, v8, v10
	v_add_f32_e32 v3, v3, v9
	s_andn2_b64 exec, exec, s[6:7]
	s_cbranch_execnz .LBB121_185
; %bb.186:
	s_or_b64 exec, exec, s[6:7]
	v_mov_b32_e32 v4, 0
	ds_read_b64 v[4:5], v4 offset:344
	s_waitcnt lgkmcnt(0)
	v_mul_f32_e32 v7, v3, v5
	v_mul_f32_e32 v5, v8, v5
	v_fma_f32 v7, v8, v4, -v7
	v_fmac_f32_e32 v5, v3, v4
	buffer_store_dword v7, off, s[0:3], 0 offset:344
	buffer_store_dword v5, off, s[0:3], 0 offset:348
.LBB121_187:
	s_or_b64 exec, exec, s[4:5]
	s_waitcnt lgkmcnt(0)
	; wave barrier
	buffer_load_dword v4, off, s[0:3], 0 offset:352
	buffer_load_dword v5, off, s[0:3], 0 offset:356
	v_cmp_gt_u32_e32 vcc, 44, v0
	s_waitcnt vmcnt(0)
	ds_write_b64 v1, v[4:5]
	s_waitcnt lgkmcnt(0)
	; wave barrier
	s_waitcnt lgkmcnt(0)
	s_and_saveexec_b64 s[4:5], vcc
	s_cbranch_execz .LBB121_191
; %bb.188:
	v_add_u32_e32 v4, -1, v0
	v_add_u32_e32 v5, 0x1d0, v6
	v_add_u32_e32 v7, 0, v6
	s_mov_b64 s[6:7], 0
	v_mov_b32_e32 v3, 0
	v_mov_b32_e32 v8, 0
.LBB121_189:                            ; =>This Inner Loop Header: Depth=1
	buffer_load_dword v9, v7, s[0:3], 0 offen offset:4
	buffer_load_dword v12, v7, s[0:3], 0 offen
	ds_read_b64 v[10:11], v5
	v_add_u32_e32 v4, 1, v4
	v_cmp_lt_u32_e32 vcc, 42, v4
	v_add_u32_e32 v5, 8, v5
	v_add_u32_e32 v7, 8, v7
	s_or_b64 s[6:7], vcc, s[6:7]
	s_waitcnt vmcnt(1) lgkmcnt(0)
	v_mul_f32_e32 v13, v11, v9
	v_mul_f32_e32 v9, v10, v9
	s_waitcnt vmcnt(0)
	v_fma_f32 v10, v10, v12, -v13
	v_fmac_f32_e32 v9, v11, v12
	v_add_f32_e32 v8, v8, v10
	v_add_f32_e32 v3, v3, v9
	s_andn2_b64 exec, exec, s[6:7]
	s_cbranch_execnz .LBB121_189
; %bb.190:
	s_or_b64 exec, exec, s[6:7]
	v_mov_b32_e32 v4, 0
	ds_read_b64 v[4:5], v4 offset:352
	s_waitcnt lgkmcnt(0)
	v_mul_f32_e32 v7, v3, v5
	v_mul_f32_e32 v5, v8, v5
	v_fma_f32 v7, v8, v4, -v7
	v_fmac_f32_e32 v5, v3, v4
	buffer_store_dword v7, off, s[0:3], 0 offset:352
	buffer_store_dword v5, off, s[0:3], 0 offset:356
.LBB121_191:
	s_or_b64 exec, exec, s[4:5]
	s_waitcnt lgkmcnt(0)
	; wave barrier
	buffer_load_dword v4, off, s[0:3], 0 offset:360
	buffer_load_dword v5, off, s[0:3], 0 offset:364
	v_cmp_gt_u32_e32 vcc, 45, v0
	s_waitcnt vmcnt(0)
	ds_write_b64 v1, v[4:5]
	s_waitcnt lgkmcnt(0)
	; wave barrier
	s_waitcnt lgkmcnt(0)
	s_and_saveexec_b64 s[4:5], vcc
	s_cbranch_execz .LBB121_195
; %bb.192:
	v_add_u32_e32 v4, -1, v0
	v_add_u32_e32 v5, 0x1d0, v6
	v_add_u32_e32 v7, 0, v6
	s_mov_b64 s[6:7], 0
	v_mov_b32_e32 v3, 0
	v_mov_b32_e32 v8, 0
.LBB121_193:                            ; =>This Inner Loop Header: Depth=1
	buffer_load_dword v9, v7, s[0:3], 0 offen offset:4
	buffer_load_dword v12, v7, s[0:3], 0 offen
	ds_read_b64 v[10:11], v5
	v_add_u32_e32 v4, 1, v4
	v_cmp_lt_u32_e32 vcc, 43, v4
	v_add_u32_e32 v5, 8, v5
	v_add_u32_e32 v7, 8, v7
	s_or_b64 s[6:7], vcc, s[6:7]
	s_waitcnt vmcnt(1) lgkmcnt(0)
	v_mul_f32_e32 v13, v11, v9
	v_mul_f32_e32 v9, v10, v9
	s_waitcnt vmcnt(0)
	v_fma_f32 v10, v10, v12, -v13
	v_fmac_f32_e32 v9, v11, v12
	v_add_f32_e32 v8, v8, v10
	v_add_f32_e32 v3, v3, v9
	s_andn2_b64 exec, exec, s[6:7]
	s_cbranch_execnz .LBB121_193
; %bb.194:
	s_or_b64 exec, exec, s[6:7]
	v_mov_b32_e32 v4, 0
	ds_read_b64 v[4:5], v4 offset:360
	s_waitcnt lgkmcnt(0)
	v_mul_f32_e32 v7, v3, v5
	v_mul_f32_e32 v5, v8, v5
	v_fma_f32 v7, v8, v4, -v7
	v_fmac_f32_e32 v5, v3, v4
	buffer_store_dword v7, off, s[0:3], 0 offset:360
	buffer_store_dword v5, off, s[0:3], 0 offset:364
.LBB121_195:
	s_or_b64 exec, exec, s[4:5]
	s_waitcnt lgkmcnt(0)
	; wave barrier
	buffer_load_dword v4, off, s[0:3], 0 offset:368
	buffer_load_dword v5, off, s[0:3], 0 offset:372
	v_cmp_gt_u32_e32 vcc, 46, v0
	s_waitcnt vmcnt(0)
	ds_write_b64 v1, v[4:5]
	s_waitcnt lgkmcnt(0)
	; wave barrier
	s_waitcnt lgkmcnt(0)
	s_and_saveexec_b64 s[4:5], vcc
	s_cbranch_execz .LBB121_199
; %bb.196:
	v_add_u32_e32 v4, -1, v0
	v_add_u32_e32 v5, 0x1d0, v6
	v_add_u32_e32 v7, 0, v6
	s_mov_b64 s[6:7], 0
	v_mov_b32_e32 v3, 0
	v_mov_b32_e32 v8, 0
.LBB121_197:                            ; =>This Inner Loop Header: Depth=1
	buffer_load_dword v9, v7, s[0:3], 0 offen offset:4
	buffer_load_dword v12, v7, s[0:3], 0 offen
	ds_read_b64 v[10:11], v5
	v_add_u32_e32 v4, 1, v4
	v_cmp_lt_u32_e32 vcc, 44, v4
	v_add_u32_e32 v5, 8, v5
	v_add_u32_e32 v7, 8, v7
	s_or_b64 s[6:7], vcc, s[6:7]
	s_waitcnt vmcnt(1) lgkmcnt(0)
	v_mul_f32_e32 v13, v11, v9
	v_mul_f32_e32 v9, v10, v9
	s_waitcnt vmcnt(0)
	v_fma_f32 v10, v10, v12, -v13
	v_fmac_f32_e32 v9, v11, v12
	v_add_f32_e32 v8, v8, v10
	v_add_f32_e32 v3, v3, v9
	s_andn2_b64 exec, exec, s[6:7]
	s_cbranch_execnz .LBB121_197
; %bb.198:
	s_or_b64 exec, exec, s[6:7]
	v_mov_b32_e32 v4, 0
	ds_read_b64 v[4:5], v4 offset:368
	s_waitcnt lgkmcnt(0)
	v_mul_f32_e32 v7, v3, v5
	v_mul_f32_e32 v5, v8, v5
	v_fma_f32 v7, v8, v4, -v7
	v_fmac_f32_e32 v5, v3, v4
	buffer_store_dword v7, off, s[0:3], 0 offset:368
	buffer_store_dword v5, off, s[0:3], 0 offset:372
.LBB121_199:
	s_or_b64 exec, exec, s[4:5]
	s_waitcnt lgkmcnt(0)
	; wave barrier
	buffer_load_dword v4, off, s[0:3], 0 offset:376
	buffer_load_dword v5, off, s[0:3], 0 offset:380
	v_cmp_gt_u32_e32 vcc, 47, v0
	s_waitcnt vmcnt(0)
	ds_write_b64 v1, v[4:5]
	s_waitcnt lgkmcnt(0)
	; wave barrier
	s_waitcnt lgkmcnt(0)
	s_and_saveexec_b64 s[4:5], vcc
	s_cbranch_execz .LBB121_203
; %bb.200:
	v_add_u32_e32 v4, -1, v0
	v_add_u32_e32 v5, 0x1d0, v6
	v_add_u32_e32 v7, 0, v6
	s_mov_b64 s[6:7], 0
	v_mov_b32_e32 v3, 0
	v_mov_b32_e32 v8, 0
.LBB121_201:                            ; =>This Inner Loop Header: Depth=1
	buffer_load_dword v9, v7, s[0:3], 0 offen offset:4
	buffer_load_dword v12, v7, s[0:3], 0 offen
	ds_read_b64 v[10:11], v5
	v_add_u32_e32 v4, 1, v4
	v_cmp_lt_u32_e32 vcc, 45, v4
	v_add_u32_e32 v5, 8, v5
	v_add_u32_e32 v7, 8, v7
	s_or_b64 s[6:7], vcc, s[6:7]
	s_waitcnt vmcnt(1) lgkmcnt(0)
	v_mul_f32_e32 v13, v11, v9
	v_mul_f32_e32 v9, v10, v9
	s_waitcnt vmcnt(0)
	v_fma_f32 v10, v10, v12, -v13
	v_fmac_f32_e32 v9, v11, v12
	v_add_f32_e32 v8, v8, v10
	v_add_f32_e32 v3, v3, v9
	s_andn2_b64 exec, exec, s[6:7]
	s_cbranch_execnz .LBB121_201
; %bb.202:
	s_or_b64 exec, exec, s[6:7]
	v_mov_b32_e32 v4, 0
	ds_read_b64 v[4:5], v4 offset:376
	s_waitcnt lgkmcnt(0)
	v_mul_f32_e32 v7, v3, v5
	v_mul_f32_e32 v5, v8, v5
	v_fma_f32 v7, v8, v4, -v7
	v_fmac_f32_e32 v5, v3, v4
	buffer_store_dword v7, off, s[0:3], 0 offset:376
	buffer_store_dword v5, off, s[0:3], 0 offset:380
.LBB121_203:
	s_or_b64 exec, exec, s[4:5]
	s_waitcnt lgkmcnt(0)
	; wave barrier
	buffer_load_dword v4, off, s[0:3], 0 offset:384
	buffer_load_dword v5, off, s[0:3], 0 offset:388
	v_cmp_gt_u32_e32 vcc, 48, v0
	s_waitcnt vmcnt(0)
	ds_write_b64 v1, v[4:5]
	s_waitcnt lgkmcnt(0)
	; wave barrier
	s_waitcnt lgkmcnt(0)
	s_and_saveexec_b64 s[4:5], vcc
	s_cbranch_execz .LBB121_207
; %bb.204:
	v_add_u32_e32 v4, -1, v0
	v_add_u32_e32 v5, 0x1d0, v6
	v_add_u32_e32 v7, 0, v6
	s_mov_b64 s[6:7], 0
	v_mov_b32_e32 v3, 0
	v_mov_b32_e32 v8, 0
.LBB121_205:                            ; =>This Inner Loop Header: Depth=1
	buffer_load_dword v9, v7, s[0:3], 0 offen offset:4
	buffer_load_dword v12, v7, s[0:3], 0 offen
	ds_read_b64 v[10:11], v5
	v_add_u32_e32 v4, 1, v4
	v_cmp_lt_u32_e32 vcc, 46, v4
	v_add_u32_e32 v5, 8, v5
	v_add_u32_e32 v7, 8, v7
	s_or_b64 s[6:7], vcc, s[6:7]
	s_waitcnt vmcnt(1) lgkmcnt(0)
	v_mul_f32_e32 v13, v11, v9
	v_mul_f32_e32 v9, v10, v9
	s_waitcnt vmcnt(0)
	v_fma_f32 v10, v10, v12, -v13
	v_fmac_f32_e32 v9, v11, v12
	v_add_f32_e32 v8, v8, v10
	v_add_f32_e32 v3, v3, v9
	s_andn2_b64 exec, exec, s[6:7]
	s_cbranch_execnz .LBB121_205
; %bb.206:
	s_or_b64 exec, exec, s[6:7]
	v_mov_b32_e32 v4, 0
	ds_read_b64 v[4:5], v4 offset:384
	s_waitcnt lgkmcnt(0)
	v_mul_f32_e32 v7, v3, v5
	v_mul_f32_e32 v5, v8, v5
	v_fma_f32 v7, v8, v4, -v7
	v_fmac_f32_e32 v5, v3, v4
	buffer_store_dword v7, off, s[0:3], 0 offset:384
	buffer_store_dword v5, off, s[0:3], 0 offset:388
.LBB121_207:
	s_or_b64 exec, exec, s[4:5]
	s_waitcnt lgkmcnt(0)
	; wave barrier
	buffer_load_dword v4, off, s[0:3], 0 offset:392
	buffer_load_dword v5, off, s[0:3], 0 offset:396
	v_cmp_gt_u32_e32 vcc, 49, v0
	s_waitcnt vmcnt(0)
	ds_write_b64 v1, v[4:5]
	s_waitcnt lgkmcnt(0)
	; wave barrier
	s_waitcnt lgkmcnt(0)
	s_and_saveexec_b64 s[4:5], vcc
	s_cbranch_execz .LBB121_211
; %bb.208:
	v_add_u32_e32 v4, -1, v0
	v_add_u32_e32 v5, 0x1d0, v6
	v_add_u32_e32 v7, 0, v6
	s_mov_b64 s[6:7], 0
	v_mov_b32_e32 v3, 0
	v_mov_b32_e32 v8, 0
.LBB121_209:                            ; =>This Inner Loop Header: Depth=1
	buffer_load_dword v9, v7, s[0:3], 0 offen offset:4
	buffer_load_dword v12, v7, s[0:3], 0 offen
	ds_read_b64 v[10:11], v5
	v_add_u32_e32 v4, 1, v4
	v_cmp_lt_u32_e32 vcc, 47, v4
	v_add_u32_e32 v5, 8, v5
	v_add_u32_e32 v7, 8, v7
	s_or_b64 s[6:7], vcc, s[6:7]
	s_waitcnt vmcnt(1) lgkmcnt(0)
	v_mul_f32_e32 v13, v11, v9
	v_mul_f32_e32 v9, v10, v9
	s_waitcnt vmcnt(0)
	v_fma_f32 v10, v10, v12, -v13
	v_fmac_f32_e32 v9, v11, v12
	v_add_f32_e32 v8, v8, v10
	v_add_f32_e32 v3, v3, v9
	s_andn2_b64 exec, exec, s[6:7]
	s_cbranch_execnz .LBB121_209
; %bb.210:
	s_or_b64 exec, exec, s[6:7]
	v_mov_b32_e32 v4, 0
	ds_read_b64 v[4:5], v4 offset:392
	s_waitcnt lgkmcnt(0)
	v_mul_f32_e32 v7, v3, v5
	v_mul_f32_e32 v5, v8, v5
	v_fma_f32 v7, v8, v4, -v7
	v_fmac_f32_e32 v5, v3, v4
	buffer_store_dword v7, off, s[0:3], 0 offset:392
	buffer_store_dword v5, off, s[0:3], 0 offset:396
.LBB121_211:
	s_or_b64 exec, exec, s[4:5]
	s_waitcnt lgkmcnt(0)
	; wave barrier
	buffer_load_dword v4, off, s[0:3], 0 offset:400
	buffer_load_dword v5, off, s[0:3], 0 offset:404
	v_cmp_gt_u32_e32 vcc, 50, v0
	s_waitcnt vmcnt(0)
	ds_write_b64 v1, v[4:5]
	s_waitcnt lgkmcnt(0)
	; wave barrier
	s_waitcnt lgkmcnt(0)
	s_and_saveexec_b64 s[4:5], vcc
	s_cbranch_execz .LBB121_215
; %bb.212:
	v_add_u32_e32 v4, -1, v0
	v_add_u32_e32 v5, 0x1d0, v6
	v_add_u32_e32 v7, 0, v6
	s_mov_b64 s[6:7], 0
	v_mov_b32_e32 v3, 0
	v_mov_b32_e32 v8, 0
.LBB121_213:                            ; =>This Inner Loop Header: Depth=1
	buffer_load_dword v9, v7, s[0:3], 0 offen offset:4
	buffer_load_dword v12, v7, s[0:3], 0 offen
	ds_read_b64 v[10:11], v5
	v_add_u32_e32 v4, 1, v4
	v_cmp_lt_u32_e32 vcc, 48, v4
	v_add_u32_e32 v5, 8, v5
	v_add_u32_e32 v7, 8, v7
	s_or_b64 s[6:7], vcc, s[6:7]
	s_waitcnt vmcnt(1) lgkmcnt(0)
	v_mul_f32_e32 v13, v11, v9
	v_mul_f32_e32 v9, v10, v9
	s_waitcnt vmcnt(0)
	v_fma_f32 v10, v10, v12, -v13
	v_fmac_f32_e32 v9, v11, v12
	v_add_f32_e32 v8, v8, v10
	v_add_f32_e32 v3, v3, v9
	s_andn2_b64 exec, exec, s[6:7]
	s_cbranch_execnz .LBB121_213
; %bb.214:
	s_or_b64 exec, exec, s[6:7]
	v_mov_b32_e32 v4, 0
	ds_read_b64 v[4:5], v4 offset:400
	s_waitcnt lgkmcnt(0)
	v_mul_f32_e32 v7, v3, v5
	v_mul_f32_e32 v5, v8, v5
	v_fma_f32 v7, v8, v4, -v7
	v_fmac_f32_e32 v5, v3, v4
	buffer_store_dword v7, off, s[0:3], 0 offset:400
	buffer_store_dword v5, off, s[0:3], 0 offset:404
.LBB121_215:
	s_or_b64 exec, exec, s[4:5]
	s_waitcnt lgkmcnt(0)
	; wave barrier
	buffer_load_dword v4, off, s[0:3], 0 offset:408
	buffer_load_dword v5, off, s[0:3], 0 offset:412
	v_cmp_gt_u32_e32 vcc, 51, v0
	s_waitcnt vmcnt(0)
	ds_write_b64 v1, v[4:5]
	s_waitcnt lgkmcnt(0)
	; wave barrier
	s_waitcnt lgkmcnt(0)
	s_and_saveexec_b64 s[4:5], vcc
	s_cbranch_execz .LBB121_219
; %bb.216:
	v_add_u32_e32 v4, -1, v0
	v_add_u32_e32 v5, 0x1d0, v6
	v_add_u32_e32 v7, 0, v6
	s_mov_b64 s[6:7], 0
	v_mov_b32_e32 v3, 0
	v_mov_b32_e32 v8, 0
.LBB121_217:                            ; =>This Inner Loop Header: Depth=1
	buffer_load_dword v9, v7, s[0:3], 0 offen offset:4
	buffer_load_dword v12, v7, s[0:3], 0 offen
	ds_read_b64 v[10:11], v5
	v_add_u32_e32 v4, 1, v4
	v_cmp_lt_u32_e32 vcc, 49, v4
	v_add_u32_e32 v5, 8, v5
	v_add_u32_e32 v7, 8, v7
	s_or_b64 s[6:7], vcc, s[6:7]
	s_waitcnt vmcnt(1) lgkmcnt(0)
	v_mul_f32_e32 v13, v11, v9
	v_mul_f32_e32 v9, v10, v9
	s_waitcnt vmcnt(0)
	v_fma_f32 v10, v10, v12, -v13
	v_fmac_f32_e32 v9, v11, v12
	v_add_f32_e32 v8, v8, v10
	v_add_f32_e32 v3, v3, v9
	s_andn2_b64 exec, exec, s[6:7]
	s_cbranch_execnz .LBB121_217
; %bb.218:
	s_or_b64 exec, exec, s[6:7]
	v_mov_b32_e32 v4, 0
	ds_read_b64 v[4:5], v4 offset:408
	s_waitcnt lgkmcnt(0)
	v_mul_f32_e32 v7, v3, v5
	v_mul_f32_e32 v5, v8, v5
	v_fma_f32 v7, v8, v4, -v7
	v_fmac_f32_e32 v5, v3, v4
	buffer_store_dword v7, off, s[0:3], 0 offset:408
	buffer_store_dword v5, off, s[0:3], 0 offset:412
.LBB121_219:
	s_or_b64 exec, exec, s[4:5]
	s_waitcnt lgkmcnt(0)
	; wave barrier
	buffer_load_dword v4, off, s[0:3], 0 offset:416
	buffer_load_dword v5, off, s[0:3], 0 offset:420
	v_cmp_gt_u32_e32 vcc, 52, v0
	s_waitcnt vmcnt(0)
	ds_write_b64 v1, v[4:5]
	s_waitcnt lgkmcnt(0)
	; wave barrier
	s_waitcnt lgkmcnt(0)
	s_and_saveexec_b64 s[4:5], vcc
	s_cbranch_execz .LBB121_223
; %bb.220:
	v_add_u32_e32 v4, -1, v0
	v_add_u32_e32 v5, 0x1d0, v6
	v_add_u32_e32 v7, 0, v6
	s_mov_b64 s[6:7], 0
	v_mov_b32_e32 v3, 0
	v_mov_b32_e32 v8, 0
.LBB121_221:                            ; =>This Inner Loop Header: Depth=1
	buffer_load_dword v9, v7, s[0:3], 0 offen offset:4
	buffer_load_dword v12, v7, s[0:3], 0 offen
	ds_read_b64 v[10:11], v5
	v_add_u32_e32 v4, 1, v4
	v_cmp_lt_u32_e32 vcc, 50, v4
	v_add_u32_e32 v5, 8, v5
	v_add_u32_e32 v7, 8, v7
	s_or_b64 s[6:7], vcc, s[6:7]
	s_waitcnt vmcnt(1) lgkmcnt(0)
	v_mul_f32_e32 v13, v11, v9
	v_mul_f32_e32 v9, v10, v9
	s_waitcnt vmcnt(0)
	v_fma_f32 v10, v10, v12, -v13
	v_fmac_f32_e32 v9, v11, v12
	v_add_f32_e32 v8, v8, v10
	v_add_f32_e32 v3, v3, v9
	s_andn2_b64 exec, exec, s[6:7]
	s_cbranch_execnz .LBB121_221
; %bb.222:
	s_or_b64 exec, exec, s[6:7]
	v_mov_b32_e32 v4, 0
	ds_read_b64 v[4:5], v4 offset:416
	s_waitcnt lgkmcnt(0)
	v_mul_f32_e32 v7, v3, v5
	v_mul_f32_e32 v5, v8, v5
	v_fma_f32 v7, v8, v4, -v7
	v_fmac_f32_e32 v5, v3, v4
	buffer_store_dword v7, off, s[0:3], 0 offset:416
	buffer_store_dword v5, off, s[0:3], 0 offset:420
.LBB121_223:
	s_or_b64 exec, exec, s[4:5]
	s_waitcnt lgkmcnt(0)
	; wave barrier
	buffer_load_dword v4, off, s[0:3], 0 offset:424
	buffer_load_dword v5, off, s[0:3], 0 offset:428
	v_cmp_gt_u32_e32 vcc, 53, v0
	s_waitcnt vmcnt(0)
	ds_write_b64 v1, v[4:5]
	s_waitcnt lgkmcnt(0)
	; wave barrier
	s_waitcnt lgkmcnt(0)
	s_and_saveexec_b64 s[4:5], vcc
	s_cbranch_execz .LBB121_227
; %bb.224:
	v_add_u32_e32 v4, -1, v0
	v_add_u32_e32 v5, 0x1d0, v6
	v_add_u32_e32 v7, 0, v6
	s_mov_b64 s[6:7], 0
	v_mov_b32_e32 v3, 0
	v_mov_b32_e32 v8, 0
.LBB121_225:                            ; =>This Inner Loop Header: Depth=1
	buffer_load_dword v9, v7, s[0:3], 0 offen offset:4
	buffer_load_dword v12, v7, s[0:3], 0 offen
	ds_read_b64 v[10:11], v5
	v_add_u32_e32 v4, 1, v4
	v_cmp_lt_u32_e32 vcc, 51, v4
	v_add_u32_e32 v5, 8, v5
	v_add_u32_e32 v7, 8, v7
	s_or_b64 s[6:7], vcc, s[6:7]
	s_waitcnt vmcnt(1) lgkmcnt(0)
	v_mul_f32_e32 v13, v11, v9
	v_mul_f32_e32 v9, v10, v9
	s_waitcnt vmcnt(0)
	v_fma_f32 v10, v10, v12, -v13
	v_fmac_f32_e32 v9, v11, v12
	v_add_f32_e32 v8, v8, v10
	v_add_f32_e32 v3, v3, v9
	s_andn2_b64 exec, exec, s[6:7]
	s_cbranch_execnz .LBB121_225
; %bb.226:
	s_or_b64 exec, exec, s[6:7]
	v_mov_b32_e32 v4, 0
	ds_read_b64 v[4:5], v4 offset:424
	s_waitcnt lgkmcnt(0)
	v_mul_f32_e32 v7, v3, v5
	v_mul_f32_e32 v5, v8, v5
	v_fma_f32 v7, v8, v4, -v7
	v_fmac_f32_e32 v5, v3, v4
	buffer_store_dword v7, off, s[0:3], 0 offset:424
	buffer_store_dword v5, off, s[0:3], 0 offset:428
.LBB121_227:
	s_or_b64 exec, exec, s[4:5]
	s_waitcnt lgkmcnt(0)
	; wave barrier
	buffer_load_dword v4, off, s[0:3], 0 offset:432
	buffer_load_dword v5, off, s[0:3], 0 offset:436
	v_cmp_gt_u32_e32 vcc, 54, v0
	s_waitcnt vmcnt(0)
	ds_write_b64 v1, v[4:5]
	s_waitcnt lgkmcnt(0)
	; wave barrier
	s_waitcnt lgkmcnt(0)
	s_and_saveexec_b64 s[4:5], vcc
	s_cbranch_execz .LBB121_231
; %bb.228:
	v_add_u32_e32 v4, -1, v0
	v_add_u32_e32 v5, 0x1d0, v6
	v_add_u32_e32 v7, 0, v6
	s_mov_b64 s[6:7], 0
	v_mov_b32_e32 v3, 0
	v_mov_b32_e32 v8, 0
.LBB121_229:                            ; =>This Inner Loop Header: Depth=1
	buffer_load_dword v9, v7, s[0:3], 0 offen offset:4
	buffer_load_dword v12, v7, s[0:3], 0 offen
	ds_read_b64 v[10:11], v5
	v_add_u32_e32 v4, 1, v4
	v_cmp_lt_u32_e32 vcc, 52, v4
	v_add_u32_e32 v5, 8, v5
	v_add_u32_e32 v7, 8, v7
	s_or_b64 s[6:7], vcc, s[6:7]
	s_waitcnt vmcnt(1) lgkmcnt(0)
	v_mul_f32_e32 v13, v11, v9
	v_mul_f32_e32 v9, v10, v9
	s_waitcnt vmcnt(0)
	v_fma_f32 v10, v10, v12, -v13
	v_fmac_f32_e32 v9, v11, v12
	v_add_f32_e32 v8, v8, v10
	v_add_f32_e32 v3, v3, v9
	s_andn2_b64 exec, exec, s[6:7]
	s_cbranch_execnz .LBB121_229
; %bb.230:
	s_or_b64 exec, exec, s[6:7]
	v_mov_b32_e32 v4, 0
	ds_read_b64 v[4:5], v4 offset:432
	s_waitcnt lgkmcnt(0)
	v_mul_f32_e32 v7, v3, v5
	v_mul_f32_e32 v5, v8, v5
	v_fma_f32 v7, v8, v4, -v7
	v_fmac_f32_e32 v5, v3, v4
	buffer_store_dword v7, off, s[0:3], 0 offset:432
	buffer_store_dword v5, off, s[0:3], 0 offset:436
.LBB121_231:
	s_or_b64 exec, exec, s[4:5]
	s_waitcnt lgkmcnt(0)
	; wave barrier
	buffer_load_dword v4, off, s[0:3], 0 offset:440
	buffer_load_dword v5, off, s[0:3], 0 offset:444
	v_cmp_gt_u32_e32 vcc, 55, v0
	s_waitcnt vmcnt(0)
	ds_write_b64 v1, v[4:5]
	s_waitcnt lgkmcnt(0)
	; wave barrier
	s_waitcnt lgkmcnt(0)
	s_and_saveexec_b64 s[4:5], vcc
	s_cbranch_execz .LBB121_235
; %bb.232:
	v_add_u32_e32 v4, -1, v0
	v_add_u32_e32 v5, 0x1d0, v6
	v_add_u32_e32 v7, 0, v6
	s_mov_b64 s[6:7], 0
	v_mov_b32_e32 v3, 0
	v_mov_b32_e32 v8, 0
.LBB121_233:                            ; =>This Inner Loop Header: Depth=1
	buffer_load_dword v9, v7, s[0:3], 0 offen offset:4
	buffer_load_dword v12, v7, s[0:3], 0 offen
	ds_read_b64 v[10:11], v5
	v_add_u32_e32 v4, 1, v4
	v_cmp_lt_u32_e32 vcc, 53, v4
	v_add_u32_e32 v5, 8, v5
	v_add_u32_e32 v7, 8, v7
	s_or_b64 s[6:7], vcc, s[6:7]
	s_waitcnt vmcnt(1) lgkmcnt(0)
	v_mul_f32_e32 v13, v11, v9
	v_mul_f32_e32 v9, v10, v9
	s_waitcnt vmcnt(0)
	v_fma_f32 v10, v10, v12, -v13
	v_fmac_f32_e32 v9, v11, v12
	v_add_f32_e32 v8, v8, v10
	v_add_f32_e32 v3, v3, v9
	s_andn2_b64 exec, exec, s[6:7]
	s_cbranch_execnz .LBB121_233
; %bb.234:
	s_or_b64 exec, exec, s[6:7]
	v_mov_b32_e32 v4, 0
	ds_read_b64 v[4:5], v4 offset:440
	s_waitcnt lgkmcnt(0)
	v_mul_f32_e32 v7, v3, v5
	v_mul_f32_e32 v5, v8, v5
	v_fma_f32 v7, v8, v4, -v7
	v_fmac_f32_e32 v5, v3, v4
	buffer_store_dword v7, off, s[0:3], 0 offset:440
	buffer_store_dword v5, off, s[0:3], 0 offset:444
.LBB121_235:
	s_or_b64 exec, exec, s[4:5]
	s_waitcnt lgkmcnt(0)
	; wave barrier
	buffer_load_dword v4, off, s[0:3], 0 offset:448
	buffer_load_dword v5, off, s[0:3], 0 offset:452
	v_cmp_gt_u32_e32 vcc, 56, v0
	s_waitcnt vmcnt(0)
	ds_write_b64 v1, v[4:5]
	s_waitcnt lgkmcnt(0)
	; wave barrier
	s_waitcnt lgkmcnt(0)
	s_and_saveexec_b64 s[4:5], vcc
	s_cbranch_execz .LBB121_239
; %bb.236:
	v_add_u32_e32 v4, -1, v0
	v_add_u32_e32 v5, 0x1d0, v6
	v_add_u32_e32 v7, 0, v6
	s_mov_b64 s[6:7], 0
	v_mov_b32_e32 v3, 0
	v_mov_b32_e32 v8, 0
.LBB121_237:                            ; =>This Inner Loop Header: Depth=1
	buffer_load_dword v9, v7, s[0:3], 0 offen offset:4
	buffer_load_dword v12, v7, s[0:3], 0 offen
	ds_read_b64 v[10:11], v5
	v_add_u32_e32 v4, 1, v4
	v_cmp_lt_u32_e32 vcc, 54, v4
	v_add_u32_e32 v5, 8, v5
	v_add_u32_e32 v7, 8, v7
	s_or_b64 s[6:7], vcc, s[6:7]
	s_waitcnt vmcnt(1) lgkmcnt(0)
	v_mul_f32_e32 v13, v11, v9
	v_mul_f32_e32 v9, v10, v9
	s_waitcnt vmcnt(0)
	v_fma_f32 v10, v10, v12, -v13
	v_fmac_f32_e32 v9, v11, v12
	v_add_f32_e32 v8, v8, v10
	v_add_f32_e32 v3, v3, v9
	s_andn2_b64 exec, exec, s[6:7]
	s_cbranch_execnz .LBB121_237
; %bb.238:
	s_or_b64 exec, exec, s[6:7]
	v_mov_b32_e32 v4, 0
	ds_read_b64 v[4:5], v4 offset:448
	s_waitcnt lgkmcnt(0)
	v_mul_f32_e32 v7, v3, v5
	v_mul_f32_e32 v5, v8, v5
	v_fma_f32 v7, v8, v4, -v7
	v_fmac_f32_e32 v5, v3, v4
	buffer_store_dword v7, off, s[0:3], 0 offset:448
	buffer_store_dword v5, off, s[0:3], 0 offset:452
.LBB121_239:
	s_or_b64 exec, exec, s[4:5]
	s_waitcnt lgkmcnt(0)
	; wave barrier
	buffer_load_dword v4, off, s[0:3], 0 offset:456
	buffer_load_dword v5, off, s[0:3], 0 offset:460
	v_cmp_ne_u32_e32 vcc, 57, v0
	s_waitcnt vmcnt(0)
	ds_write_b64 v1, v[4:5]
	s_waitcnt lgkmcnt(0)
	; wave barrier
	s_waitcnt lgkmcnt(0)
	s_and_saveexec_b64 s[4:5], vcc
	s_cbranch_execz .LBB121_243
; %bb.240:
	v_add_u32_e32 v3, 0x1d0, v6
	v_add_u32_e32 v4, 0, v6
	s_mov_b64 s[6:7], 0
	v_mov_b32_e32 v1, 0
	v_mov_b32_e32 v5, 0
.LBB121_241:                            ; =>This Inner Loop Header: Depth=1
	buffer_load_dword v8, v4, s[0:3], 0 offen offset:4
	buffer_load_dword v9, v4, s[0:3], 0 offen
	ds_read_b64 v[6:7], v3
	v_add_u32_e32 v2, 1, v2
	v_cmp_lt_u32_e32 vcc, 55, v2
	v_add_u32_e32 v3, 8, v3
	v_add_u32_e32 v4, 8, v4
	s_or_b64 s[6:7], vcc, s[6:7]
	s_waitcnt vmcnt(1) lgkmcnt(0)
	v_mul_f32_e32 v10, v7, v8
	v_mul_f32_e32 v8, v6, v8
	s_waitcnt vmcnt(0)
	v_fma_f32 v6, v6, v9, -v10
	v_fmac_f32_e32 v8, v7, v9
	v_add_f32_e32 v5, v5, v6
	v_add_f32_e32 v1, v1, v8
	s_andn2_b64 exec, exec, s[6:7]
	s_cbranch_execnz .LBB121_241
; %bb.242:
	s_or_b64 exec, exec, s[6:7]
	v_mov_b32_e32 v2, 0
	ds_read_b64 v[2:3], v2 offset:456
	s_waitcnt lgkmcnt(0)
	v_mul_f32_e32 v4, v1, v3
	v_mul_f32_e32 v3, v5, v3
	v_fma_f32 v4, v5, v2, -v4
	v_fmac_f32_e32 v3, v1, v2
	buffer_store_dword v4, off, s[0:3], 0 offset:456
	buffer_store_dword v3, off, s[0:3], 0 offset:460
.LBB121_243:
	s_or_b64 exec, exec, s[4:5]
	s_mov_b64 s[6:7], -1
	s_waitcnt lgkmcnt(0)
	; wave barrier
.LBB121_244:
	s_and_b64 vcc, exec, s[6:7]
	s_cbranch_vccz .LBB121_246
; %bb.245:
	s_lshl_b64 s[4:5], s[8:9], 2
	s_add_u32 s4, s14, s4
	s_addc_u32 s5, s15, s5
	v_mov_b32_e32 v1, 0
	global_load_dword v1, v1, s[4:5]
	s_waitcnt vmcnt(0)
	v_cmp_ne_u32_e32 vcc, 0, v1
	s_cbranch_vccz .LBB121_247
.LBB121_246:
	s_endpgm
.LBB121_247:
	v_mov_b32_e32 v1, 0x1d0
	v_lshl_add_u32 v175, v0, 3, v1
	v_cmp_eq_u32_e32 vcc, 57, v0
	s_and_saveexec_b64 s[4:5], vcc
	s_cbranch_execz .LBB121_249
; %bb.248:
	buffer_load_dword v2, off, s[0:3], 0 offset:448
	buffer_load_dword v3, off, s[0:3], 0 offset:452
	v_mov_b32_e32 v4, 0
	buffer_store_dword v4, off, s[0:3], 0 offset:448
	buffer_store_dword v4, off, s[0:3], 0 offset:452
	s_waitcnt vmcnt(2)
	ds_write_b64 v175, v[2:3]
.LBB121_249:
	s_or_b64 exec, exec, s[4:5]
	s_waitcnt lgkmcnt(0)
	; wave barrier
	s_waitcnt lgkmcnt(0)
	buffer_load_dword v5, off, s[0:3], 0 offset:460
	buffer_load_dword v4, off, s[0:3], 0 offset:456
	;; [unrolled: 1-line block ×4, first 2 shown]
	v_mov_b32_e32 v2, 0
	ds_read_b64 v[8:9], v2 offset:920
	v_cmp_lt_u32_e32 vcc, 55, v0
	s_waitcnt vmcnt(3)
	v_mov_b32_e32 v10, v5
	s_waitcnt lgkmcnt(0)
	v_pk_mul_f32 v[10:11], v[8:9], v[10:11] op_sel_hi:[1,0]
	s_waitcnt vmcnt(2)
	v_pk_fma_f32 v[12:13], v[8:9], v[4:5], v[10:11] op_sel:[0,0,1] op_sel_hi:[1,1,0] neg_lo:[0,0,1] neg_hi:[0,0,1]
	v_pk_fma_f32 v[4:5], v[8:9], v[4:5], v[10:11] op_sel:[0,0,1] op_sel_hi:[1,0,0]
	v_mov_b32_e32 v13, v5
	v_pk_add_f32 v[4:5], v[12:13], 0 op_sel_hi:[1,0]
	s_waitcnt vmcnt(0)
	v_pk_add_f32 v[4:5], v[6:7], v[4:5] neg_lo:[0,1] neg_hi:[0,1]
	buffer_store_dword v4, off, s[0:3], 0 offset:448
	buffer_store_dword v5, off, s[0:3], 0 offset:452
	s_and_saveexec_b64 s[4:5], vcc
	s_cbranch_execz .LBB121_251
; %bb.250:
	buffer_load_dword v4, off, s[0:3], 0 offset:440
	buffer_load_dword v5, off, s[0:3], 0 offset:444
	s_waitcnt vmcnt(0)
	ds_write_b64 v175, v[4:5]
	buffer_store_dword v2, off, s[0:3], 0 offset:440
	buffer_store_dword v2, off, s[0:3], 0 offset:444
.LBB121_251:
	s_or_b64 exec, exec, s[4:5]
	s_waitcnt lgkmcnt(0)
	; wave barrier
	s_waitcnt lgkmcnt(0)
	buffer_load_dword v7, off, s[0:3], 0 offset:452
	buffer_load_dword v9, off, s[0:3], 0 offset:460
	buffer_load_dword v6, off, s[0:3], 0 offset:448
	buffer_load_dword v8, off, s[0:3], 0 offset:456
	buffer_load_dword v10, off, s[0:3], 0 offset:440
	buffer_load_dword v11, off, s[0:3], 0 offset:444
	ds_read_b128 v[2:5], v2 offset:912
	v_cmp_lt_u32_e32 vcc, 54, v0
	s_waitcnt vmcnt(5)
	v_mov_b32_e32 v12, v7
	s_waitcnt vmcnt(4)
	v_mov_b32_e32 v14, v9
	s_waitcnt lgkmcnt(0)
	v_pk_mul_f32 v[12:13], v[2:3], v[12:13] op_sel_hi:[1,0]
	v_pk_mul_f32 v[14:15], v[4:5], v[14:15] op_sel_hi:[1,0]
	s_waitcnt vmcnt(3)
	v_pk_fma_f32 v[16:17], v[2:3], v[6:7], v[12:13] op_sel:[0,0,1] op_sel_hi:[1,1,0] neg_lo:[0,0,1] neg_hi:[0,0,1]
	v_pk_fma_f32 v[2:3], v[2:3], v[6:7], v[12:13] op_sel:[0,0,1] op_sel_hi:[1,0,0]
	s_waitcnt vmcnt(2)
	v_pk_fma_f32 v[6:7], v[4:5], v[8:9], v[14:15] op_sel:[0,0,1] op_sel_hi:[1,1,0] neg_lo:[0,0,1] neg_hi:[0,0,1]
	v_pk_fma_f32 v[4:5], v[4:5], v[8:9], v[14:15] op_sel:[0,0,1] op_sel_hi:[1,0,0]
	v_mov_b32_e32 v17, v3
	v_mov_b32_e32 v7, v5
	v_pk_add_f32 v[2:3], v[16:17], 0 op_sel_hi:[1,0]
	v_pk_add_f32 v[2:3], v[2:3], v[6:7]
	s_waitcnt vmcnt(0)
	v_pk_add_f32 v[2:3], v[10:11], v[2:3] neg_lo:[0,1] neg_hi:[0,1]
	buffer_store_dword v2, off, s[0:3], 0 offset:440
	buffer_store_dword v3, off, s[0:3], 0 offset:444
	s_and_saveexec_b64 s[4:5], vcc
	s_cbranch_execz .LBB121_253
; %bb.252:
	buffer_load_dword v2, off, s[0:3], 0 offset:432
	buffer_load_dword v3, off, s[0:3], 0 offset:436
	v_mov_b32_e32 v4, 0
	buffer_store_dword v4, off, s[0:3], 0 offset:432
	buffer_store_dword v4, off, s[0:3], 0 offset:436
	s_waitcnt vmcnt(2)
	ds_write_b64 v175, v[2:3]
.LBB121_253:
	s_or_b64 exec, exec, s[4:5]
	s_waitcnt lgkmcnt(0)
	; wave barrier
	s_waitcnt lgkmcnt(0)
	buffer_load_dword v9, off, s[0:3], 0 offset:444
	buffer_load_dword v11, off, s[0:3], 0 offset:452
	;; [unrolled: 1-line block ×8, first 2 shown]
	v_mov_b32_e32 v2, 0
	ds_read2_b64 v[4:7], v2 offset0:113 offset1:114
	ds_read_b64 v[16:17], v2 offset:920
	v_cmp_lt_u32_e32 vcc, 53, v0
	s_waitcnt vmcnt(7)
	v_mov_b32_e32 v18, v9
	s_waitcnt vmcnt(6)
	v_mov_b32_e32 v20, v11
	s_waitcnt lgkmcnt(1)
	v_pk_mul_f32 v[18:19], v[4:5], v[18:19] op_sel_hi:[1,0]
	s_waitcnt vmcnt(5)
	v_mov_b32_e32 v22, v13
	v_pk_mul_f32 v[20:21], v[6:7], v[20:21] op_sel_hi:[1,0]
	s_waitcnt vmcnt(4)
	v_pk_fma_f32 v[24:25], v[4:5], v[8:9], v[18:19] op_sel:[0,0,1] op_sel_hi:[1,1,0] neg_lo:[0,0,1] neg_hi:[0,0,1]
	v_pk_fma_f32 v[4:5], v[4:5], v[8:9], v[18:19] op_sel:[0,0,1] op_sel_hi:[1,0,0]
	s_waitcnt lgkmcnt(0)
	v_pk_mul_f32 v[22:23], v[16:17], v[22:23] op_sel_hi:[1,0]
	s_waitcnt vmcnt(3)
	v_pk_fma_f32 v[8:9], v[6:7], v[10:11], v[20:21] op_sel:[0,0,1] op_sel_hi:[1,1,0] neg_lo:[0,0,1] neg_hi:[0,0,1]
	v_pk_fma_f32 v[6:7], v[6:7], v[10:11], v[20:21] op_sel:[0,0,1] op_sel_hi:[1,0,0]
	v_mov_b32_e32 v25, v5
	s_waitcnt vmcnt(2)
	v_pk_fma_f32 v[10:11], v[16:17], v[12:13], v[22:23] op_sel:[0,0,1] op_sel_hi:[1,1,0] neg_lo:[0,0,1] neg_hi:[0,0,1]
	v_pk_fma_f32 v[12:13], v[16:17], v[12:13], v[22:23] op_sel:[0,0,1] op_sel_hi:[1,0,0]
	v_mov_b32_e32 v9, v7
	v_pk_add_f32 v[4:5], v[24:25], 0 op_sel_hi:[1,0]
	v_mov_b32_e32 v11, v13
	v_pk_add_f32 v[4:5], v[4:5], v[8:9]
	v_pk_add_f32 v[4:5], v[4:5], v[10:11]
	s_waitcnt vmcnt(0)
	v_pk_add_f32 v[4:5], v[14:15], v[4:5] neg_lo:[0,1] neg_hi:[0,1]
	buffer_store_dword v4, off, s[0:3], 0 offset:432
	buffer_store_dword v5, off, s[0:3], 0 offset:436
	s_and_saveexec_b64 s[4:5], vcc
	s_cbranch_execz .LBB121_255
; %bb.254:
	buffer_load_dword v4, off, s[0:3], 0 offset:424
	buffer_load_dword v5, off, s[0:3], 0 offset:428
	s_waitcnt vmcnt(0)
	ds_write_b64 v175, v[4:5]
	buffer_store_dword v2, off, s[0:3], 0 offset:424
	buffer_store_dword v2, off, s[0:3], 0 offset:428
.LBB121_255:
	s_or_b64 exec, exec, s[4:5]
	s_waitcnt lgkmcnt(0)
	; wave barrier
	s_waitcnt lgkmcnt(0)
	buffer_load_dword v13, off, s[0:3], 0 offset:436
	buffer_load_dword v15, off, s[0:3], 0 offset:444
	;; [unrolled: 1-line block ×10, first 2 shown]
	ds_read_b128 v[4:7], v2 offset:896
	ds_read_b128 v[8:11], v2 offset:912
	v_cmp_lt_u32_e32 vcc, 52, v0
	s_waitcnt vmcnt(9)
	v_mov_b32_e32 v2, v13
	s_waitcnt vmcnt(8)
	v_mov_b32_e32 v22, v15
	s_waitcnt lgkmcnt(1)
	v_pk_mul_f32 v[2:3], v[4:5], v[2:3] op_sel_hi:[1,0]
	s_waitcnt vmcnt(7)
	v_mov_b32_e32 v24, v17
	v_pk_mul_f32 v[22:23], v[6:7], v[22:23] op_sel_hi:[1,0]
	s_waitcnt vmcnt(5)
	v_pk_fma_f32 v[28:29], v[4:5], v[12:13], v[2:3] op_sel:[0,0,1] op_sel_hi:[1,1,0] neg_lo:[0,0,1] neg_hi:[0,0,1]
	v_pk_fma_f32 v[2:3], v[4:5], v[12:13], v[2:3] op_sel:[0,0,1] op_sel_hi:[1,0,0]
	v_mov_b32_e32 v26, v19
	s_waitcnt lgkmcnt(0)
	v_pk_mul_f32 v[24:25], v[8:9], v[24:25] op_sel_hi:[1,0]
	s_waitcnt vmcnt(4)
	v_pk_fma_f32 v[4:5], v[6:7], v[14:15], v[22:23] op_sel:[0,0,1] op_sel_hi:[1,1,0] neg_lo:[0,0,1] neg_hi:[0,0,1]
	v_pk_fma_f32 v[6:7], v[6:7], v[14:15], v[22:23] op_sel:[0,0,1] op_sel_hi:[1,0,0]
	v_mov_b32_e32 v29, v3
	v_pk_mul_f32 v[26:27], v[10:11], v[26:27] op_sel_hi:[1,0]
	s_waitcnt vmcnt(3)
	v_pk_fma_f32 v[12:13], v[8:9], v[16:17], v[24:25] op_sel:[0,0,1] op_sel_hi:[1,1,0] neg_lo:[0,0,1] neg_hi:[0,0,1]
	v_pk_fma_f32 v[8:9], v[8:9], v[16:17], v[24:25] op_sel:[0,0,1] op_sel_hi:[1,0,0]
	v_mov_b32_e32 v5, v7
	v_pk_add_f32 v[2:3], v[28:29], 0 op_sel_hi:[1,0]
	s_waitcnt vmcnt(2)
	v_pk_fma_f32 v[14:15], v[10:11], v[18:19], v[26:27] op_sel:[0,0,1] op_sel_hi:[1,1,0] neg_lo:[0,0,1] neg_hi:[0,0,1]
	v_pk_fma_f32 v[10:11], v[10:11], v[18:19], v[26:27] op_sel:[0,0,1] op_sel_hi:[1,0,0]
	v_mov_b32_e32 v13, v9
	v_pk_add_f32 v[2:3], v[2:3], v[4:5]
	v_mov_b32_e32 v15, v11
	v_pk_add_f32 v[2:3], v[2:3], v[12:13]
	v_pk_add_f32 v[2:3], v[2:3], v[14:15]
	s_waitcnt vmcnt(0)
	v_pk_add_f32 v[2:3], v[20:21], v[2:3] neg_lo:[0,1] neg_hi:[0,1]
	buffer_store_dword v2, off, s[0:3], 0 offset:424
	buffer_store_dword v3, off, s[0:3], 0 offset:428
	s_and_saveexec_b64 s[4:5], vcc
	s_cbranch_execz .LBB121_257
; %bb.256:
	buffer_load_dword v2, off, s[0:3], 0 offset:416
	buffer_load_dword v3, off, s[0:3], 0 offset:420
	v_mov_b32_e32 v4, 0
	buffer_store_dword v4, off, s[0:3], 0 offset:416
	buffer_store_dword v4, off, s[0:3], 0 offset:420
	s_waitcnt vmcnt(2)
	ds_write_b64 v175, v[2:3]
.LBB121_257:
	s_or_b64 exec, exec, s[4:5]
	s_waitcnt lgkmcnt(0)
	; wave barrier
	s_waitcnt lgkmcnt(0)
	buffer_load_dword v13, off, s[0:3], 0 offset:428
	buffer_load_dword v15, off, s[0:3], 0 offset:436
	;; [unrolled: 1-line block ×12, first 2 shown]
	v_mov_b32_e32 v2, 0
	ds_read2_b64 v[4:7], v2 offset0:111 offset1:112
	ds_read2_b64 v[8:11], v2 offset0:113 offset1:114
	ds_read_b64 v[24:25], v2 offset:920
	v_cmp_lt_u32_e32 vcc, 51, v0
	s_waitcnt vmcnt(11)
	v_mov_b32_e32 v26, v13
	s_waitcnt vmcnt(10)
	v_mov_b32_e32 v28, v15
	s_waitcnt lgkmcnt(2)
	v_pk_mul_f32 v[26:27], v[4:5], v[26:27] op_sel_hi:[1,0]
	s_waitcnt vmcnt(9)
	v_mov_b32_e32 v30, v17
	v_pk_mul_f32 v[28:29], v[6:7], v[28:29] op_sel_hi:[1,0]
	s_waitcnt vmcnt(6)
	v_pk_fma_f32 v[36:37], v[4:5], v[12:13], v[26:27] op_sel:[0,0,1] op_sel_hi:[1,1,0] neg_lo:[0,0,1] neg_hi:[0,0,1]
	v_pk_fma_f32 v[4:5], v[4:5], v[12:13], v[26:27] op_sel:[0,0,1] op_sel_hi:[1,0,0]
	v_mov_b32_e32 v32, v19
	s_waitcnt lgkmcnt(1)
	v_pk_mul_f32 v[30:31], v[8:9], v[30:31] op_sel_hi:[1,0]
	s_waitcnt vmcnt(5)
	v_pk_fma_f32 v[12:13], v[6:7], v[14:15], v[28:29] op_sel:[0,0,1] op_sel_hi:[1,1,0] neg_lo:[0,0,1] neg_hi:[0,0,1]
	v_pk_fma_f32 v[6:7], v[6:7], v[14:15], v[28:29] op_sel:[0,0,1] op_sel_hi:[1,0,0]
	v_mov_b32_e32 v37, v5
	v_mov_b32_e32 v34, v21
	v_pk_mul_f32 v[32:33], v[10:11], v[32:33] op_sel_hi:[1,0]
	s_waitcnt vmcnt(4)
	v_pk_fma_f32 v[14:15], v[8:9], v[16:17], v[30:31] op_sel:[0,0,1] op_sel_hi:[1,1,0] neg_lo:[0,0,1] neg_hi:[0,0,1]
	v_pk_fma_f32 v[8:9], v[8:9], v[16:17], v[30:31] op_sel:[0,0,1] op_sel_hi:[1,0,0]
	v_mov_b32_e32 v13, v7
	v_pk_add_f32 v[4:5], v[36:37], 0 op_sel_hi:[1,0]
	s_waitcnt lgkmcnt(0)
	v_pk_mul_f32 v[34:35], v[24:25], v[34:35] op_sel_hi:[1,0]
	s_waitcnt vmcnt(3)
	v_pk_fma_f32 v[16:17], v[10:11], v[18:19], v[32:33] op_sel:[0,0,1] op_sel_hi:[1,1,0] neg_lo:[0,0,1] neg_hi:[0,0,1]
	v_pk_fma_f32 v[10:11], v[10:11], v[18:19], v[32:33] op_sel:[0,0,1] op_sel_hi:[1,0,0]
	v_mov_b32_e32 v15, v9
	v_pk_add_f32 v[4:5], v[4:5], v[12:13]
	s_waitcnt vmcnt(2)
	v_pk_fma_f32 v[18:19], v[24:25], v[20:21], v[34:35] op_sel:[0,0,1] op_sel_hi:[1,1,0] neg_lo:[0,0,1] neg_hi:[0,0,1]
	v_pk_fma_f32 v[20:21], v[24:25], v[20:21], v[34:35] op_sel:[0,0,1] op_sel_hi:[1,0,0]
	v_mov_b32_e32 v17, v11
	v_pk_add_f32 v[4:5], v[4:5], v[14:15]
	v_mov_b32_e32 v19, v21
	v_pk_add_f32 v[4:5], v[4:5], v[16:17]
	v_pk_add_f32 v[4:5], v[4:5], v[18:19]
	s_waitcnt vmcnt(0)
	v_pk_add_f32 v[4:5], v[22:23], v[4:5] neg_lo:[0,1] neg_hi:[0,1]
	buffer_store_dword v4, off, s[0:3], 0 offset:416
	buffer_store_dword v5, off, s[0:3], 0 offset:420
	s_and_saveexec_b64 s[4:5], vcc
	s_cbranch_execz .LBB121_259
; %bb.258:
	buffer_load_dword v4, off, s[0:3], 0 offset:408
	buffer_load_dword v5, off, s[0:3], 0 offset:412
	s_waitcnt vmcnt(0)
	ds_write_b64 v175, v[4:5]
	buffer_store_dword v2, off, s[0:3], 0 offset:408
	buffer_store_dword v2, off, s[0:3], 0 offset:412
.LBB121_259:
	s_or_b64 exec, exec, s[4:5]
	s_waitcnt lgkmcnt(0)
	; wave barrier
	s_waitcnt lgkmcnt(0)
	buffer_load_dword v17, off, s[0:3], 0 offset:420
	buffer_load_dword v19, off, s[0:3], 0 offset:428
	;; [unrolled: 1-line block ×14, first 2 shown]
	ds_read_b128 v[4:7], v2 offset:880
	ds_read_b128 v[8:11], v2 offset:896
	;; [unrolled: 1-line block ×3, first 2 shown]
	v_cmp_lt_u32_e32 vcc, 50, v0
	s_waitcnt vmcnt(13)
	v_mov_b32_e32 v2, v17
	s_waitcnt vmcnt(12)
	v_mov_b32_e32 v30, v19
	s_waitcnt lgkmcnt(2)
	v_pk_mul_f32 v[2:3], v[4:5], v[2:3] op_sel_hi:[1,0]
	s_waitcnt vmcnt(11)
	v_mov_b32_e32 v32, v21
	v_pk_mul_f32 v[30:31], v[6:7], v[30:31] op_sel_hi:[1,0]
	s_waitcnt vmcnt(10)
	v_mov_b32_e32 v34, v23
	s_waitcnt vmcnt(7)
	v_pk_fma_f32 v[40:41], v[4:5], v[16:17], v[2:3] op_sel:[0,0,1] op_sel_hi:[1,1,0] neg_lo:[0,0,1] neg_hi:[0,0,1]
	v_pk_fma_f32 v[2:3], v[4:5], v[16:17], v[2:3] op_sel:[0,0,1] op_sel_hi:[1,0,0]
	s_waitcnt lgkmcnt(1)
	v_pk_mul_f32 v[32:33], v[8:9], v[32:33] op_sel_hi:[1,0]
	s_waitcnt vmcnt(6)
	v_pk_fma_f32 v[4:5], v[6:7], v[18:19], v[30:31] op_sel:[0,0,1] op_sel_hi:[1,1,0] neg_lo:[0,0,1] neg_hi:[0,0,1]
	v_pk_fma_f32 v[6:7], v[6:7], v[18:19], v[30:31] op_sel:[0,0,1] op_sel_hi:[1,0,0]
	v_mov_b32_e32 v41, v3
	v_mov_b32_e32 v36, v25
	v_pk_mul_f32 v[34:35], v[10:11], v[34:35] op_sel_hi:[1,0]
	s_waitcnt vmcnt(5)
	v_pk_fma_f32 v[16:17], v[8:9], v[20:21], v[32:33] op_sel:[0,0,1] op_sel_hi:[1,1,0] neg_lo:[0,0,1] neg_hi:[0,0,1]
	v_pk_fma_f32 v[8:9], v[8:9], v[20:21], v[32:33] op_sel:[0,0,1] op_sel_hi:[1,0,0]
	v_mov_b32_e32 v5, v7
	v_pk_add_f32 v[2:3], v[40:41], 0 op_sel_hi:[1,0]
	v_mov_b32_e32 v38, v27
	s_waitcnt lgkmcnt(0)
	v_pk_mul_f32 v[36:37], v[12:13], v[36:37] op_sel_hi:[1,0]
	s_waitcnt vmcnt(4)
	v_pk_fma_f32 v[18:19], v[10:11], v[22:23], v[34:35] op_sel:[0,0,1] op_sel_hi:[1,1,0] neg_lo:[0,0,1] neg_hi:[0,0,1]
	v_pk_fma_f32 v[10:11], v[10:11], v[22:23], v[34:35] op_sel:[0,0,1] op_sel_hi:[1,0,0]
	v_mov_b32_e32 v17, v9
	v_pk_add_f32 v[2:3], v[2:3], v[4:5]
	v_pk_mul_f32 v[38:39], v[14:15], v[38:39] op_sel_hi:[1,0]
	s_waitcnt vmcnt(3)
	v_pk_fma_f32 v[20:21], v[12:13], v[24:25], v[36:37] op_sel:[0,0,1] op_sel_hi:[1,1,0] neg_lo:[0,0,1] neg_hi:[0,0,1]
	v_pk_fma_f32 v[12:13], v[12:13], v[24:25], v[36:37] op_sel:[0,0,1] op_sel_hi:[1,0,0]
	v_mov_b32_e32 v19, v11
	v_pk_add_f32 v[2:3], v[2:3], v[16:17]
	s_waitcnt vmcnt(2)
	v_pk_fma_f32 v[22:23], v[14:15], v[26:27], v[38:39] op_sel:[0,0,1] op_sel_hi:[1,1,0] neg_lo:[0,0,1] neg_hi:[0,0,1]
	v_pk_fma_f32 v[14:15], v[14:15], v[26:27], v[38:39] op_sel:[0,0,1] op_sel_hi:[1,0,0]
	v_mov_b32_e32 v21, v13
	v_pk_add_f32 v[2:3], v[2:3], v[18:19]
	v_mov_b32_e32 v23, v15
	v_pk_add_f32 v[2:3], v[2:3], v[20:21]
	v_pk_add_f32 v[2:3], v[2:3], v[22:23]
	s_waitcnt vmcnt(0)
	v_pk_add_f32 v[2:3], v[28:29], v[2:3] neg_lo:[0,1] neg_hi:[0,1]
	buffer_store_dword v2, off, s[0:3], 0 offset:408
	buffer_store_dword v3, off, s[0:3], 0 offset:412
	s_and_saveexec_b64 s[4:5], vcc
	s_cbranch_execz .LBB121_261
; %bb.260:
	buffer_load_dword v2, off, s[0:3], 0 offset:400
	buffer_load_dword v3, off, s[0:3], 0 offset:404
	v_mov_b32_e32 v4, 0
	buffer_store_dword v4, off, s[0:3], 0 offset:400
	buffer_store_dword v4, off, s[0:3], 0 offset:404
	s_waitcnt vmcnt(2)
	ds_write_b64 v175, v[2:3]
.LBB121_261:
	s_or_b64 exec, exec, s[4:5]
	s_waitcnt lgkmcnt(0)
	; wave barrier
	s_waitcnt lgkmcnt(0)
	buffer_load_dword v17, off, s[0:3], 0 offset:412
	buffer_load_dword v19, off, s[0:3], 0 offset:420
	;; [unrolled: 1-line block ×16, first 2 shown]
	v_mov_b32_e32 v2, 0
	ds_read2_b64 v[4:7], v2 offset0:109 offset1:110
	ds_read2_b64 v[8:11], v2 offset0:111 offset1:112
	ds_read2_b64 v[12:15], v2 offset0:113 offset1:114
	ds_read_b64 v[32:33], v2 offset:920
	v_cmp_lt_u32_e32 vcc, 49, v0
	s_waitcnt vmcnt(15)
	v_mov_b32_e32 v34, v17
	s_waitcnt vmcnt(14)
	v_mov_b32_e32 v36, v19
	s_waitcnt lgkmcnt(3)
	v_pk_mul_f32 v[34:35], v[4:5], v[34:35] op_sel_hi:[1,0]
	s_waitcnt vmcnt(13)
	v_mov_b32_e32 v38, v21
	v_pk_mul_f32 v[36:37], v[6:7], v[36:37] op_sel_hi:[1,0]
	s_waitcnt vmcnt(12)
	v_mov_b32_e32 v40, v23
	s_waitcnt lgkmcnt(2)
	v_pk_mul_f32 v[38:39], v[8:9], v[38:39] op_sel_hi:[1,0]
	s_waitcnt vmcnt(8)
	v_pk_fma_f32 v[48:49], v[4:5], v[16:17], v[34:35] op_sel:[0,0,1] op_sel_hi:[1,1,0] neg_lo:[0,0,1] neg_hi:[0,0,1]
	v_pk_fma_f32 v[4:5], v[4:5], v[16:17], v[34:35] op_sel:[0,0,1] op_sel_hi:[1,0,0]
	s_waitcnt vmcnt(7)
	v_pk_fma_f32 v[16:17], v[6:7], v[18:19], v[36:37] op_sel:[0,0,1] op_sel_hi:[1,1,0] neg_lo:[0,0,1] neg_hi:[0,0,1]
	v_pk_fma_f32 v[6:7], v[6:7], v[18:19], v[36:37] op_sel:[0,0,1] op_sel_hi:[1,0,0]
	v_mov_b32_e32 v49, v5
	v_mov_b32_e32 v42, v25
	v_pk_mul_f32 v[40:41], v[10:11], v[40:41] op_sel_hi:[1,0]
	s_waitcnt vmcnt(6)
	v_pk_fma_f32 v[18:19], v[8:9], v[20:21], v[38:39] op_sel:[0,0,1] op_sel_hi:[1,1,0] neg_lo:[0,0,1] neg_hi:[0,0,1]
	v_pk_fma_f32 v[8:9], v[8:9], v[20:21], v[38:39] op_sel:[0,0,1] op_sel_hi:[1,0,0]
	v_mov_b32_e32 v17, v7
	v_pk_add_f32 v[4:5], v[48:49], 0 op_sel_hi:[1,0]
	v_mov_b32_e32 v44, v27
	s_waitcnt lgkmcnt(1)
	v_pk_mul_f32 v[42:43], v[12:13], v[42:43] op_sel_hi:[1,0]
	s_waitcnt vmcnt(5)
	v_pk_fma_f32 v[20:21], v[10:11], v[22:23], v[40:41] op_sel:[0,0,1] op_sel_hi:[1,1,0] neg_lo:[0,0,1] neg_hi:[0,0,1]
	v_pk_fma_f32 v[10:11], v[10:11], v[22:23], v[40:41] op_sel:[0,0,1] op_sel_hi:[1,0,0]
	v_mov_b32_e32 v19, v9
	v_pk_add_f32 v[4:5], v[4:5], v[16:17]
	v_mov_b32_e32 v46, v29
	v_pk_mul_f32 v[44:45], v[14:15], v[44:45] op_sel_hi:[1,0]
	s_waitcnt vmcnt(4)
	v_pk_fma_f32 v[22:23], v[12:13], v[24:25], v[42:43] op_sel:[0,0,1] op_sel_hi:[1,1,0] neg_lo:[0,0,1] neg_hi:[0,0,1]
	v_pk_fma_f32 v[12:13], v[12:13], v[24:25], v[42:43] op_sel:[0,0,1] op_sel_hi:[1,0,0]
	v_mov_b32_e32 v21, v11
	v_pk_add_f32 v[4:5], v[4:5], v[18:19]
	s_waitcnt lgkmcnt(0)
	v_pk_mul_f32 v[46:47], v[32:33], v[46:47] op_sel_hi:[1,0]
	s_waitcnt vmcnt(3)
	v_pk_fma_f32 v[24:25], v[14:15], v[26:27], v[44:45] op_sel:[0,0,1] op_sel_hi:[1,1,0] neg_lo:[0,0,1] neg_hi:[0,0,1]
	v_pk_fma_f32 v[14:15], v[14:15], v[26:27], v[44:45] op_sel:[0,0,1] op_sel_hi:[1,0,0]
	v_mov_b32_e32 v23, v13
	v_pk_add_f32 v[4:5], v[4:5], v[20:21]
	s_waitcnt vmcnt(2)
	v_pk_fma_f32 v[26:27], v[32:33], v[28:29], v[46:47] op_sel:[0,0,1] op_sel_hi:[1,1,0] neg_lo:[0,0,1] neg_hi:[0,0,1]
	v_pk_fma_f32 v[28:29], v[32:33], v[28:29], v[46:47] op_sel:[0,0,1] op_sel_hi:[1,0,0]
	v_mov_b32_e32 v25, v15
	v_pk_add_f32 v[4:5], v[4:5], v[22:23]
	v_mov_b32_e32 v27, v29
	v_pk_add_f32 v[4:5], v[4:5], v[24:25]
	v_pk_add_f32 v[4:5], v[4:5], v[26:27]
	s_waitcnt vmcnt(0)
	v_pk_add_f32 v[4:5], v[30:31], v[4:5] neg_lo:[0,1] neg_hi:[0,1]
	buffer_store_dword v4, off, s[0:3], 0 offset:400
	buffer_store_dword v5, off, s[0:3], 0 offset:404
	s_and_saveexec_b64 s[4:5], vcc
	s_cbranch_execz .LBB121_263
; %bb.262:
	buffer_load_dword v4, off, s[0:3], 0 offset:392
	buffer_load_dword v5, off, s[0:3], 0 offset:396
	s_waitcnt vmcnt(0)
	ds_write_b64 v175, v[4:5]
	buffer_store_dword v2, off, s[0:3], 0 offset:392
	buffer_store_dword v2, off, s[0:3], 0 offset:396
.LBB121_263:
	s_or_b64 exec, exec, s[4:5]
	s_waitcnt lgkmcnt(0)
	; wave barrier
	s_waitcnt lgkmcnt(0)
	buffer_load_dword v20, off, s[0:3], 0 offset:392
	buffer_load_dword v21, off, s[0:3], 0 offset:396
	;; [unrolled: 1-line block ×16, first 2 shown]
	ds_read_b128 v[4:7], v2 offset:864
	ds_read_b128 v[8:11], v2 offset:880
	;; [unrolled: 1-line block ×4, first 2 shown]
	buffer_load_dword v3, off, s[0:3], 0 offset:460
	buffer_load_dword v2, off, s[0:3], 0 offset:456
	v_cmp_lt_u32_e32 vcc, 48, v0
	s_waitcnt vmcnt(14)
	v_mov_b32_e32 v36, v23
	s_waitcnt lgkmcnt(3)
	v_pk_mul_f32 v[36:37], v[4:5], v[36:37] op_sel_hi:[1,0]
	v_pk_fma_f32 v[38:39], v[4:5], v[22:23], v[36:37] op_sel:[0,0,1] op_sel_hi:[1,1,0] neg_lo:[0,0,1] neg_hi:[0,0,1]
	v_pk_fma_f32 v[4:5], v[4:5], v[22:23], v[36:37] op_sel:[0,0,1] op_sel_hi:[1,0,0]
	s_waitcnt vmcnt(12)
	v_mov_b32_e32 v22, v25
	v_pk_mul_f32 v[22:23], v[6:7], v[22:23] op_sel_hi:[1,0]
	v_pk_fma_f32 v[36:37], v[6:7], v[24:25], v[22:23] op_sel:[0,0,1] op_sel_hi:[1,1,0] neg_lo:[0,0,1] neg_hi:[0,0,1]
	v_pk_fma_f32 v[6:7], v[6:7], v[24:25], v[22:23] op_sel:[0,0,1] op_sel_hi:[1,0,0]
	s_waitcnt vmcnt(10)
	v_mov_b32_e32 v6, v27
	v_mov_b32_e32 v37, v7
	s_waitcnt lgkmcnt(2)
	v_pk_mul_f32 v[6:7], v[8:9], v[6:7] op_sel_hi:[1,0]
	v_pk_fma_f32 v[22:23], v[8:9], v[26:27], v[6:7] op_sel:[0,0,1] op_sel_hi:[1,1,0] neg_lo:[0,0,1] neg_hi:[0,0,1]
	v_pk_fma_f32 v[6:7], v[8:9], v[26:27], v[6:7] op_sel:[0,0,1] op_sel_hi:[1,0,0]
	s_waitcnt vmcnt(8)
	v_mov_b32_e32 v6, v29
	v_mov_b32_e32 v39, v5
	;; [unrolled: 1-line block ×3, first 2 shown]
	v_pk_mul_f32 v[6:7], v[10:11], v[6:7] op_sel_hi:[1,0]
	v_pk_add_f32 v[4:5], v[38:39], 0 op_sel_hi:[1,0]
	v_pk_fma_f32 v[8:9], v[10:11], v[28:29], v[6:7] op_sel:[0,0,1] op_sel_hi:[1,1,0] neg_lo:[0,0,1] neg_hi:[0,0,1]
	v_pk_fma_f32 v[6:7], v[10:11], v[28:29], v[6:7] op_sel:[0,0,1] op_sel_hi:[1,0,0]
	v_pk_add_f32 v[4:5], v[4:5], v[36:37]
	s_waitcnt vmcnt(6)
	v_mov_b32_e32 v6, v31
	v_pk_add_f32 v[4:5], v[4:5], v[22:23]
	v_mov_b32_e32 v9, v7
	s_waitcnt lgkmcnt(1)
	v_pk_mul_f32 v[6:7], v[12:13], v[6:7] op_sel_hi:[1,0]
	v_pk_add_f32 v[4:5], v[4:5], v[8:9]
	v_pk_fma_f32 v[8:9], v[12:13], v[30:31], v[6:7] op_sel:[0,0,1] op_sel_hi:[1,1,0] neg_lo:[0,0,1] neg_hi:[0,0,1]
	v_pk_fma_f32 v[6:7], v[12:13], v[30:31], v[6:7] op_sel:[0,0,1] op_sel_hi:[1,0,0]
	s_waitcnt vmcnt(4)
	v_mov_b32_e32 v6, v33
	v_mov_b32_e32 v9, v7
	v_pk_mul_f32 v[6:7], v[14:15], v[6:7] op_sel_hi:[1,0]
	v_pk_add_f32 v[4:5], v[4:5], v[8:9]
	v_pk_fma_f32 v[8:9], v[14:15], v[32:33], v[6:7] op_sel:[0,0,1] op_sel_hi:[1,1,0] neg_lo:[0,0,1] neg_hi:[0,0,1]
	v_pk_fma_f32 v[6:7], v[14:15], v[32:33], v[6:7] op_sel:[0,0,1] op_sel_hi:[1,0,0]
	s_waitcnt vmcnt(2)
	v_mov_b32_e32 v6, v35
	v_mov_b32_e32 v9, v7
	s_waitcnt lgkmcnt(0)
	v_pk_mul_f32 v[6:7], v[16:17], v[6:7] op_sel_hi:[1,0]
	v_pk_add_f32 v[4:5], v[4:5], v[8:9]
	v_pk_fma_f32 v[8:9], v[16:17], v[34:35], v[6:7] op_sel:[0,0,1] op_sel_hi:[1,1,0] neg_lo:[0,0,1] neg_hi:[0,0,1]
	v_pk_fma_f32 v[6:7], v[16:17], v[34:35], v[6:7] op_sel:[0,0,1] op_sel_hi:[1,0,0]
	s_waitcnt vmcnt(1)
	v_mov_b32_e32 v6, v3
	v_mov_b32_e32 v9, v7
	v_pk_mul_f32 v[6:7], v[18:19], v[6:7] op_sel_hi:[1,0]
	v_pk_add_f32 v[4:5], v[4:5], v[8:9]
	s_waitcnt vmcnt(0)
	v_pk_fma_f32 v[8:9], v[18:19], v[2:3], v[6:7] op_sel:[0,0,1] op_sel_hi:[1,1,0] neg_lo:[0,0,1] neg_hi:[0,0,1]
	v_pk_fma_f32 v[2:3], v[18:19], v[2:3], v[6:7] op_sel:[0,0,1] op_sel_hi:[1,0,0]
	v_mov_b32_e32 v9, v3
	v_pk_add_f32 v[2:3], v[4:5], v[8:9]
	v_pk_add_f32 v[2:3], v[20:21], v[2:3] neg_lo:[0,1] neg_hi:[0,1]
	buffer_store_dword v2, off, s[0:3], 0 offset:392
	buffer_store_dword v3, off, s[0:3], 0 offset:396
	s_and_saveexec_b64 s[4:5], vcc
	s_cbranch_execz .LBB121_265
; %bb.264:
	buffer_load_dword v2, off, s[0:3], 0 offset:384
	buffer_load_dword v3, off, s[0:3], 0 offset:388
	v_mov_b32_e32 v4, 0
	buffer_store_dword v4, off, s[0:3], 0 offset:384
	buffer_store_dword v4, off, s[0:3], 0 offset:388
	s_waitcnt vmcnt(2)
	ds_write_b64 v175, v[2:3]
.LBB121_265:
	s_or_b64 exec, exec, s[4:5]
	v_mov_b32_e32 v4, 0
	s_waitcnt lgkmcnt(0)
	; wave barrier
	s_waitcnt lgkmcnt(0)
	ds_read2_b64 v[6:9], v4 offset0:107 offset1:108
	buffer_load_dword v2, off, s[0:3], 0 offset:384
	buffer_load_dword v3, off, s[0:3], 0 offset:388
	;; [unrolled: 1-line block ×20, first 2 shown]
	v_cmp_lt_u32_e32 vcc, 47, v0
	s_waitcnt vmcnt(16) lgkmcnt(0)
	v_mul_f32_e32 v35, v6, v10
	v_fmac_f32_e32 v35, v7, v5
	v_mul_f32_e32 v7, v7, v10
	s_waitcnt vmcnt(14)
	v_mov_b32_e32 v40, v23
	v_fma_f32 v34, v6, v5, -v7
	ds_read2_b64 v[10:13], v4 offset0:109 offset1:110
	ds_read2_b64 v[14:17], v4 offset0:111 offset1:112
	;; [unrolled: 1-line block ×3, first 2 shown]
	ds_read_b64 v[6:7], v4 offset:920
	v_pk_mul_f32 v[40:41], v[8:9], v[40:41] op_sel_hi:[1,0]
	v_pk_fma_f32 v[42:43], v[8:9], v[22:23], v[40:41] op_sel:[0,0,1] op_sel_hi:[1,1,0] neg_lo:[0,0,1] neg_hi:[0,0,1]
	v_pk_fma_f32 v[8:9], v[8:9], v[22:23], v[40:41] op_sel:[0,0,1] op_sel_hi:[1,0,0]
	s_waitcnt vmcnt(12)
	v_mov_b32_e32 v22, v25
	v_pk_add_f32 v[34:35], v[34:35], 0 op_sel_hi:[1,0]
	v_mov_b32_e32 v43, v9
	s_waitcnt lgkmcnt(3)
	v_pk_mul_f32 v[22:23], v[10:11], v[22:23] op_sel_hi:[1,0]
	v_pk_add_f32 v[8:9], v[34:35], v[42:43]
	v_pk_fma_f32 v[34:35], v[10:11], v[24:25], v[22:23] op_sel:[0,0,1] op_sel_hi:[1,1,0] neg_lo:[0,0,1] neg_hi:[0,0,1]
	v_pk_fma_f32 v[10:11], v[10:11], v[24:25], v[22:23] op_sel:[0,0,1] op_sel_hi:[1,0,0]
	s_waitcnt vmcnt(10)
	v_mov_b32_e32 v10, v27
	v_mov_b32_e32 v35, v11
	v_pk_mul_f32 v[10:11], v[12:13], v[10:11] op_sel_hi:[1,0]
	v_pk_fma_f32 v[22:23], v[12:13], v[26:27], v[10:11] op_sel:[0,0,1] op_sel_hi:[1,1,0] neg_lo:[0,0,1] neg_hi:[0,0,1]
	v_pk_fma_f32 v[10:11], v[12:13], v[26:27], v[10:11] op_sel:[0,0,1] op_sel_hi:[1,0,0]
	s_waitcnt vmcnt(8)
	v_mov_b32_e32 v10, v29
	v_mov_b32_e32 v23, v11
	s_waitcnt lgkmcnt(2)
	v_pk_mul_f32 v[10:11], v[14:15], v[10:11] op_sel_hi:[1,0]
	v_pk_fma_f32 v[12:13], v[14:15], v[28:29], v[10:11] op_sel:[0,0,1] op_sel_hi:[1,1,0] neg_lo:[0,0,1] neg_hi:[0,0,1]
	v_pk_fma_f32 v[10:11], v[14:15], v[28:29], v[10:11] op_sel:[0,0,1] op_sel_hi:[1,0,0]
	v_pk_add_f32 v[8:9], v[8:9], v[34:35]
	s_waitcnt vmcnt(6)
	v_mov_b32_e32 v10, v31
	v_pk_add_f32 v[8:9], v[8:9], v[22:23]
	v_mov_b32_e32 v13, v11
	v_pk_mul_f32 v[10:11], v[16:17], v[10:11] op_sel_hi:[1,0]
	v_pk_add_f32 v[8:9], v[8:9], v[12:13]
	v_pk_fma_f32 v[12:13], v[16:17], v[30:31], v[10:11] op_sel:[0,0,1] op_sel_hi:[1,1,0] neg_lo:[0,0,1] neg_hi:[0,0,1]
	v_pk_fma_f32 v[10:11], v[16:17], v[30:31], v[10:11] op_sel:[0,0,1] op_sel_hi:[1,0,0]
	s_waitcnt vmcnt(4)
	v_mov_b32_e32 v10, v33
	v_mov_b32_e32 v13, v11
	s_waitcnt lgkmcnt(1)
	v_pk_mul_f32 v[10:11], v[18:19], v[10:11] op_sel_hi:[1,0]
	v_pk_add_f32 v[8:9], v[8:9], v[12:13]
	v_pk_fma_f32 v[12:13], v[18:19], v[32:33], v[10:11] op_sel:[0,0,1] op_sel_hi:[1,1,0] neg_lo:[0,0,1] neg_hi:[0,0,1]
	v_pk_fma_f32 v[10:11], v[18:19], v[32:33], v[10:11] op_sel:[0,0,1] op_sel_hi:[1,0,0]
	s_waitcnt vmcnt(3)
	v_mov_b32_e32 v10, v37
	v_mov_b32_e32 v13, v11
	v_pk_mul_f32 v[10:11], v[20:21], v[10:11] op_sel_hi:[1,0]
	v_pk_add_f32 v[8:9], v[8:9], v[12:13]
	s_waitcnt vmcnt(2)
	v_pk_fma_f32 v[12:13], v[20:21], v[36:37], v[10:11] op_sel:[0,0,1] op_sel_hi:[1,1,0] neg_lo:[0,0,1] neg_hi:[0,0,1]
	v_pk_fma_f32 v[10:11], v[20:21], v[36:37], v[10:11] op_sel:[0,0,1] op_sel_hi:[1,0,0]
	s_waitcnt vmcnt(1)
	v_mov_b32_e32 v10, v39
	v_mov_b32_e32 v13, v11
	s_waitcnt lgkmcnt(0)
	v_pk_mul_f32 v[10:11], v[6:7], v[10:11] op_sel_hi:[1,0]
	v_pk_add_f32 v[8:9], v[8:9], v[12:13]
	s_waitcnt vmcnt(0)
	v_pk_fma_f32 v[12:13], v[6:7], v[38:39], v[10:11] op_sel:[0,0,1] op_sel_hi:[1,1,0] neg_lo:[0,0,1] neg_hi:[0,0,1]
	v_pk_fma_f32 v[6:7], v[6:7], v[38:39], v[10:11] op_sel:[0,0,1] op_sel_hi:[1,0,0]
	v_mov_b32_e32 v13, v7
	v_pk_add_f32 v[6:7], v[8:9], v[12:13]
	v_pk_add_f32 v[2:3], v[2:3], v[6:7] neg_lo:[0,1] neg_hi:[0,1]
	buffer_store_dword v2, off, s[0:3], 0 offset:384
	buffer_store_dword v3, off, s[0:3], 0 offset:388
	s_and_saveexec_b64 s[4:5], vcc
	s_cbranch_execz .LBB121_267
; %bb.266:
	buffer_load_dword v2, off, s[0:3], 0 offset:376
	buffer_load_dword v3, off, s[0:3], 0 offset:380
	s_waitcnt vmcnt(0)
	ds_write_b64 v175, v[2:3]
	buffer_store_dword v4, off, s[0:3], 0 offset:376
	buffer_store_dword v4, off, s[0:3], 0 offset:380
.LBB121_267:
	s_or_b64 exec, exec, s[4:5]
	s_waitcnt lgkmcnt(0)
	; wave barrier
	s_waitcnt lgkmcnt(0)
	ds_read_b128 v[6:9], v4 offset:848
	ds_read_b128 v[10:13], v4 offset:864
	;; [unrolled: 1-line block ×4, first 2 shown]
	buffer_load_dword v2, off, s[0:3], 0 offset:376
	buffer_load_dword v3, off, s[0:3], 0 offset:380
	;; [unrolled: 1-line block ×22, first 2 shown]
	v_cmp_lt_u32_e32 vcc, 46, v0
	s_waitcnt vmcnt(18) lgkmcnt(3)
	v_mul_f32_e32 v33, v6, v32
	v_fmac_f32_e32 v33, v7, v5
	v_mul_f32_e32 v7, v7, v32
	s_waitcnt vmcnt(16)
	v_mul_f32_e32 v35, v8, v42
	v_fma_f32 v32, v6, v5, -v7
	v_mul_f32_e32 v5, v9, v42
	v_fmac_f32_e32 v35, v9, v34
	v_fma_f32 v34, v8, v34, -v5
	v_pk_add_f32 v[8:9], v[32:33], 0 op_sel_hi:[1,0]
	s_waitcnt vmcnt(14)
	v_mov_b32_e32 v32, v23
	s_waitcnt lgkmcnt(2)
	v_pk_mul_f32 v[32:33], v[10:11], v[32:33] op_sel_hi:[1,0]
	v_pk_add_f32 v[8:9], v[8:9], v[34:35]
	v_pk_fma_f32 v[34:35], v[10:11], v[22:23], v[32:33] op_sel:[0,0,1] op_sel_hi:[1,1,0] neg_lo:[0,0,1] neg_hi:[0,0,1]
	v_pk_fma_f32 v[10:11], v[10:11], v[22:23], v[32:33] op_sel:[0,0,1] op_sel_hi:[1,0,0]
	s_waitcnt vmcnt(12)
	v_mov_b32_e32 v10, v25
	v_mov_b32_e32 v35, v11
	v_pk_mul_f32 v[10:11], v[12:13], v[10:11] op_sel_hi:[1,0]
	v_pk_fma_f32 v[22:23], v[12:13], v[24:25], v[10:11] op_sel:[0,0,1] op_sel_hi:[1,1,0] neg_lo:[0,0,1] neg_hi:[0,0,1]
	v_pk_fma_f32 v[10:11], v[12:13], v[24:25], v[10:11] op_sel:[0,0,1] op_sel_hi:[1,0,0]
	s_waitcnt vmcnt(10)
	v_mov_b32_e32 v10, v27
	v_mov_b32_e32 v23, v11
	s_waitcnt lgkmcnt(1)
	v_pk_mul_f32 v[10:11], v[14:15], v[10:11] op_sel_hi:[1,0]
	v_pk_fma_f32 v[12:13], v[14:15], v[26:27], v[10:11] op_sel:[0,0,1] op_sel_hi:[1,1,0] neg_lo:[0,0,1] neg_hi:[0,0,1]
	v_pk_fma_f32 v[10:11], v[14:15], v[26:27], v[10:11] op_sel:[0,0,1] op_sel_hi:[1,0,0]
	v_pk_add_f32 v[8:9], v[8:9], v[34:35]
	s_waitcnt vmcnt(8)
	v_mov_b32_e32 v10, v29
	v_pk_add_f32 v[8:9], v[8:9], v[22:23]
	v_mov_b32_e32 v13, v11
	v_pk_mul_f32 v[10:11], v[16:17], v[10:11] op_sel_hi:[1,0]
	v_pk_add_f32 v[8:9], v[8:9], v[12:13]
	v_pk_fma_f32 v[12:13], v[16:17], v[28:29], v[10:11] op_sel:[0,0,1] op_sel_hi:[1,1,0] neg_lo:[0,0,1] neg_hi:[0,0,1]
	v_pk_fma_f32 v[10:11], v[16:17], v[28:29], v[10:11] op_sel:[0,0,1] op_sel_hi:[1,0,0]
	s_waitcnt vmcnt(6)
	v_mov_b32_e32 v10, v31
	v_mov_b32_e32 v13, v11
	s_waitcnt lgkmcnt(0)
	v_pk_mul_f32 v[10:11], v[18:19], v[10:11] op_sel_hi:[1,0]
	ds_read_b128 v[4:7], v4 offset:912
	v_pk_add_f32 v[8:9], v[8:9], v[12:13]
	v_pk_fma_f32 v[12:13], v[18:19], v[30:31], v[10:11] op_sel:[0,0,1] op_sel_hi:[1,1,0] neg_lo:[0,0,1] neg_hi:[0,0,1]
	v_pk_fma_f32 v[10:11], v[18:19], v[30:31], v[10:11] op_sel:[0,0,1] op_sel_hi:[1,0,0]
	s_waitcnt vmcnt(5)
	v_mov_b32_e32 v10, v37
	v_mov_b32_e32 v13, v11
	v_pk_mul_f32 v[10:11], v[20:21], v[10:11] op_sel_hi:[1,0]
	v_pk_add_f32 v[8:9], v[8:9], v[12:13]
	s_waitcnt vmcnt(4)
	v_pk_fma_f32 v[12:13], v[20:21], v[36:37], v[10:11] op_sel:[0,0,1] op_sel_hi:[1,1,0] neg_lo:[0,0,1] neg_hi:[0,0,1]
	v_pk_fma_f32 v[10:11], v[20:21], v[36:37], v[10:11] op_sel:[0,0,1] op_sel_hi:[1,0,0]
	s_waitcnt vmcnt(3)
	v_mov_b32_e32 v10, v39
	v_mov_b32_e32 v13, v11
	s_waitcnt lgkmcnt(0)
	v_pk_mul_f32 v[10:11], v[4:5], v[10:11] op_sel_hi:[1,0]
	v_pk_add_f32 v[8:9], v[8:9], v[12:13]
	s_waitcnt vmcnt(2)
	v_pk_fma_f32 v[12:13], v[4:5], v[38:39], v[10:11] op_sel:[0,0,1] op_sel_hi:[1,1,0] neg_lo:[0,0,1] neg_hi:[0,0,1]
	v_pk_fma_f32 v[4:5], v[4:5], v[38:39], v[10:11] op_sel:[0,0,1] op_sel_hi:[1,0,0]
	v_mov_b32_e32 v13, v5
	v_pk_add_f32 v[4:5], v[8:9], v[12:13]
	s_waitcnt vmcnt(1)
	v_mov_b32_e32 v8, v41
	v_pk_mul_f32 v[8:9], v[6:7], v[8:9] op_sel_hi:[1,0]
	s_waitcnt vmcnt(0)
	v_pk_fma_f32 v[10:11], v[6:7], v[40:41], v[8:9] op_sel:[0,0,1] op_sel_hi:[1,1,0] neg_lo:[0,0,1] neg_hi:[0,0,1]
	v_pk_fma_f32 v[6:7], v[6:7], v[40:41], v[8:9] op_sel:[0,0,1] op_sel_hi:[1,0,0]
	v_mov_b32_e32 v11, v7
	v_pk_add_f32 v[4:5], v[4:5], v[10:11]
	v_pk_add_f32 v[2:3], v[2:3], v[4:5] neg_lo:[0,1] neg_hi:[0,1]
	buffer_store_dword v2, off, s[0:3], 0 offset:376
	buffer_store_dword v3, off, s[0:3], 0 offset:380
	s_and_saveexec_b64 s[4:5], vcc
	s_cbranch_execz .LBB121_269
; %bb.268:
	buffer_load_dword v2, off, s[0:3], 0 offset:368
	buffer_load_dword v3, off, s[0:3], 0 offset:372
	v_mov_b32_e32 v4, 0
	buffer_store_dword v4, off, s[0:3], 0 offset:368
	buffer_store_dword v4, off, s[0:3], 0 offset:372
	s_waitcnt vmcnt(2)
	ds_write_b64 v175, v[2:3]
.LBB121_269:
	s_or_b64 exec, exec, s[4:5]
	v_mov_b32_e32 v4, 0
	s_waitcnt lgkmcnt(0)
	; wave barrier
	s_waitcnt lgkmcnt(0)
	ds_read2_b64 v[6:9], v4 offset0:105 offset1:106
	buffer_load_dword v2, off, s[0:3], 0 offset:368
	buffer_load_dword v3, off, s[0:3], 0 offset:372
	;; [unrolled: 1-line block ×16, first 2 shown]
	v_cmp_lt_u32_e32 vcc, 45, v0
	s_waitcnt vmcnt(12) lgkmcnt(0)
	v_mul_f32_e32 v10, v6, v14
	v_fmac_f32_e32 v10, v7, v5
	v_add_f32_e32 v31, 0, v10
	ds_read2_b64 v[10:13], v4 offset0:107 offset1:108
	buffer_load_dword v37, off, s[0:3], 0 offset:436
	buffer_load_dword v36, off, s[0:3], 0 offset:432
	;; [unrolled: 1-line block ×8, first 2 shown]
	v_mul_f32_e32 v7, v7, v14
	v_fma_f32 v5, v6, v5, -v7
	s_waitcnt vmcnt(18)
	v_mul_f32_e32 v33, v8, v16
	v_add_f32_e32 v30, 0, v5
	v_mul_f32_e32 v5, v9, v16
	v_fmac_f32_e32 v33, v9, v15
	v_fma_f32 v32, v8, v15, -v5
	s_waitcnt vmcnt(16) lgkmcnt(0)
	v_mul_f32_e32 v35, v10, v18
	v_mul_f32_e32 v5, v11, v18
	v_pk_add_f32 v[30:31], v[30:31], v[32:33]
	s_waitcnt vmcnt(14)
	v_mov_b32_e32 v32, v23
	v_fmac_f32_e32 v35, v11, v17
	v_fma_f32 v34, v10, v17, -v5
	ds_read2_b64 v[6:9], v4 offset0:109 offset1:110
	ds_read2_b64 v[14:17], v4 offset0:111 offset1:112
	;; [unrolled: 1-line block ×3, first 2 shown]
	ds_read_b64 v[10:11], v4 offset:920
	v_pk_mul_f32 v[32:33], v[12:13], v[32:33] op_sel_hi:[1,0]
	v_pk_add_f32 v[30:31], v[30:31], v[34:35]
	v_pk_fma_f32 v[34:35], v[12:13], v[22:23], v[32:33] op_sel:[0,0,1] op_sel_hi:[1,1,0] neg_lo:[0,0,1] neg_hi:[0,0,1]
	v_pk_fma_f32 v[12:13], v[12:13], v[22:23], v[32:33] op_sel:[0,0,1] op_sel_hi:[1,0,0]
	s_waitcnt vmcnt(12)
	v_mov_b32_e32 v22, v25
	v_mov_b32_e32 v35, v13
	s_waitcnt lgkmcnt(3)
	v_pk_mul_f32 v[22:23], v[6:7], v[22:23] op_sel_hi:[1,0]
	v_pk_add_f32 v[12:13], v[30:31], v[34:35]
	v_pk_fma_f32 v[30:31], v[6:7], v[24:25], v[22:23] op_sel:[0,0,1] op_sel_hi:[1,1,0] neg_lo:[0,0,1] neg_hi:[0,0,1]
	v_pk_fma_f32 v[6:7], v[6:7], v[24:25], v[22:23] op_sel:[0,0,1] op_sel_hi:[1,0,0]
	v_mov_b32_e32 v31, v7
	v_pk_add_f32 v[6:7], v[12:13], v[30:31]
	s_waitcnt vmcnt(10)
	v_mov_b32_e32 v12, v27
	v_pk_mul_f32 v[12:13], v[8:9], v[12:13] op_sel_hi:[1,0]
	v_pk_fma_f32 v[22:23], v[8:9], v[26:27], v[12:13] op_sel:[0,0,1] op_sel_hi:[1,1,0] neg_lo:[0,0,1] neg_hi:[0,0,1]
	v_pk_fma_f32 v[8:9], v[8:9], v[26:27], v[12:13] op_sel:[0,0,1] op_sel_hi:[1,0,0]
	s_waitcnt vmcnt(8)
	v_mov_b32_e32 v8, v29
	v_mov_b32_e32 v23, v9
	s_waitcnt lgkmcnt(2)
	v_pk_mul_f32 v[8:9], v[14:15], v[8:9] op_sel_hi:[1,0]
	v_pk_fma_f32 v[12:13], v[14:15], v[28:29], v[8:9] op_sel:[0,0,1] op_sel_hi:[1,1,0] neg_lo:[0,0,1] neg_hi:[0,0,1]
	v_pk_fma_f32 v[8:9], v[14:15], v[28:29], v[8:9] op_sel:[0,0,1] op_sel_hi:[1,0,0]
	v_pk_add_f32 v[6:7], v[6:7], v[22:23]
	v_mov_b32_e32 v13, v9
	v_pk_add_f32 v[6:7], v[6:7], v[12:13]
	s_waitcnt vmcnt(7)
	v_mov_b32_e32 v8, v37
	v_pk_mul_f32 v[8:9], v[16:17], v[8:9] op_sel_hi:[1,0]
	s_waitcnt vmcnt(6)
	v_pk_fma_f32 v[12:13], v[16:17], v[36:37], v[8:9] op_sel:[0,0,1] op_sel_hi:[1,1,0] neg_lo:[0,0,1] neg_hi:[0,0,1]
	v_pk_fma_f32 v[8:9], v[16:17], v[36:37], v[8:9] op_sel:[0,0,1] op_sel_hi:[1,0,0]
	s_waitcnt vmcnt(5)
	v_mov_b32_e32 v8, v39
	v_mov_b32_e32 v13, v9
	s_waitcnt lgkmcnt(1)
	v_pk_mul_f32 v[8:9], v[18:19], v[8:9] op_sel_hi:[1,0]
	v_pk_add_f32 v[6:7], v[6:7], v[12:13]
	s_waitcnt vmcnt(4)
	v_pk_fma_f32 v[12:13], v[18:19], v[38:39], v[8:9] op_sel:[0,0,1] op_sel_hi:[1,1,0] neg_lo:[0,0,1] neg_hi:[0,0,1]
	v_pk_fma_f32 v[8:9], v[18:19], v[38:39], v[8:9] op_sel:[0,0,1] op_sel_hi:[1,0,0]
	s_waitcnt vmcnt(3)
	v_mov_b32_e32 v8, v41
	v_mov_b32_e32 v13, v9
	v_pk_mul_f32 v[8:9], v[20:21], v[8:9] op_sel_hi:[1,0]
	v_pk_add_f32 v[6:7], v[6:7], v[12:13]
	s_waitcnt vmcnt(2)
	v_pk_fma_f32 v[12:13], v[20:21], v[40:41], v[8:9] op_sel:[0,0,1] op_sel_hi:[1,1,0] neg_lo:[0,0,1] neg_hi:[0,0,1]
	v_pk_fma_f32 v[8:9], v[20:21], v[40:41], v[8:9] op_sel:[0,0,1] op_sel_hi:[1,0,0]
	s_waitcnt vmcnt(1)
	v_mov_b32_e32 v8, v43
	v_mov_b32_e32 v13, v9
	s_waitcnt lgkmcnt(0)
	v_pk_mul_f32 v[8:9], v[10:11], v[8:9] op_sel_hi:[1,0]
	v_pk_add_f32 v[6:7], v[6:7], v[12:13]
	s_waitcnt vmcnt(0)
	v_pk_fma_f32 v[12:13], v[10:11], v[42:43], v[8:9] op_sel:[0,0,1] op_sel_hi:[1,1,0] neg_lo:[0,0,1] neg_hi:[0,0,1]
	v_pk_fma_f32 v[8:9], v[10:11], v[42:43], v[8:9] op_sel:[0,0,1] op_sel_hi:[1,0,0]
	v_mov_b32_e32 v13, v9
	v_pk_add_f32 v[6:7], v[6:7], v[12:13]
	v_pk_add_f32 v[2:3], v[2:3], v[6:7] neg_lo:[0,1] neg_hi:[0,1]
	buffer_store_dword v3, off, s[0:3], 0 offset:372
	buffer_store_dword v2, off, s[0:3], 0 offset:368
	s_and_saveexec_b64 s[4:5], vcc
	s_cbranch_execz .LBB121_271
; %bb.270:
	buffer_load_dword v2, off, s[0:3], 0 offset:360
	buffer_load_dword v3, off, s[0:3], 0 offset:364
	s_waitcnt vmcnt(0)
	ds_write_b64 v175, v[2:3]
	buffer_store_dword v4, off, s[0:3], 0 offset:360
	buffer_store_dword v4, off, s[0:3], 0 offset:364
.LBB121_271:
	s_or_b64 exec, exec, s[4:5]
	s_waitcnt lgkmcnt(0)
	; wave barrier
	s_waitcnt lgkmcnt(0)
	ds_read_b128 v[6:9], v4 offset:832
	ds_read_b128 v[10:13], v4 offset:848
	ds_read_b128 v[14:17], v4 offset:864
	ds_read_b128 v[18:21], v4 offset:880
	buffer_load_dword v2, off, s[0:3], 0 offset:360
	buffer_load_dword v3, off, s[0:3], 0 offset:364
	;; [unrolled: 1-line block ×26, first 2 shown]
	v_cmp_lt_u32_e32 vcc, 44, v0
	s_waitcnt vmcnt(22) lgkmcnt(3)
	v_mul_f32_e32 v29, v6, v28
	v_fmac_f32_e32 v29, v7, v5
	v_mul_f32_e32 v7, v7, v28
	s_waitcnt vmcnt(20)
	v_mul_f32_e32 v31, v8, v32
	v_fma_f32 v5, v6, v5, -v7
	v_mul_f32_e32 v6, v9, v32
	v_add_f32_e32 v29, 0, v29
	v_fmac_f32_e32 v31, v9, v30
	v_add_f32_e32 v5, 0, v5
	v_fma_f32 v6, v8, v30, -v6
	v_add_f32_e32 v29, v29, v31
	s_waitcnt vmcnt(18) lgkmcnt(2)
	v_mul_f32_e32 v31, v10, v45
	v_add_f32_e32 v28, v5, v6
	v_mul_f32_e32 v5, v11, v45
	v_fmac_f32_e32 v31, v11, v44
	s_waitcnt vmcnt(16)
	v_mul_f32_e32 v33, v12, v47
	v_fma_f32 v30, v10, v44, -v5
	v_mul_f32_e32 v5, v13, v47
	v_fmac_f32_e32 v33, v13, v46
	v_fma_f32 v32, v12, v46, -v5
	ds_read_b128 v[6:9], v4 offset:896
	ds_read_b128 v[10:13], v4 offset:912
	v_pk_add_f32 v[4:5], v[28:29], v[30:31]
	s_waitcnt vmcnt(14)
	v_mov_b32_e32 v28, v23
	s_waitcnt lgkmcnt(3)
	v_pk_mul_f32 v[28:29], v[14:15], v[28:29] op_sel_hi:[1,0]
	v_pk_fma_f32 v[30:31], v[14:15], v[22:23], v[28:29] op_sel:[0,0,1] op_sel_hi:[1,1,0] neg_lo:[0,0,1] neg_hi:[0,0,1]
	v_pk_fma_f32 v[14:15], v[14:15], v[22:23], v[28:29] op_sel:[0,0,1] op_sel_hi:[1,0,0]
	s_waitcnt vmcnt(12)
	v_mov_b32_e32 v14, v25
	v_mov_b32_e32 v31, v15
	v_pk_mul_f32 v[14:15], v[16:17], v[14:15] op_sel_hi:[1,0]
	v_pk_fma_f32 v[22:23], v[16:17], v[24:25], v[14:15] op_sel:[0,0,1] op_sel_hi:[1,1,0] neg_lo:[0,0,1] neg_hi:[0,0,1]
	v_pk_fma_f32 v[14:15], v[16:17], v[24:25], v[14:15] op_sel:[0,0,1] op_sel_hi:[1,0,0]
	s_waitcnt vmcnt(10)
	v_mov_b32_e32 v14, v27
	v_mov_b32_e32 v23, v15
	s_waitcnt lgkmcnt(2)
	v_pk_mul_f32 v[14:15], v[18:19], v[14:15] op_sel_hi:[1,0]
	v_pk_add_f32 v[4:5], v[4:5], v[32:33]
	v_pk_fma_f32 v[16:17], v[18:19], v[26:27], v[14:15] op_sel:[0,0,1] op_sel_hi:[1,1,0] neg_lo:[0,0,1] neg_hi:[0,0,1]
	v_pk_fma_f32 v[14:15], v[18:19], v[26:27], v[14:15] op_sel:[0,0,1] op_sel_hi:[1,0,0]
	v_pk_add_f32 v[4:5], v[4:5], v[30:31]
	s_waitcnt vmcnt(9)
	v_mov_b32_e32 v14, v35
	v_pk_add_f32 v[4:5], v[4:5], v[22:23]
	v_mov_b32_e32 v17, v15
	v_pk_mul_f32 v[14:15], v[20:21], v[14:15] op_sel_hi:[1,0]
	v_pk_add_f32 v[4:5], v[4:5], v[16:17]
	s_waitcnt vmcnt(8)
	v_pk_fma_f32 v[16:17], v[20:21], v[34:35], v[14:15] op_sel:[0,0,1] op_sel_hi:[1,1,0] neg_lo:[0,0,1] neg_hi:[0,0,1]
	v_pk_fma_f32 v[14:15], v[20:21], v[34:35], v[14:15] op_sel:[0,0,1] op_sel_hi:[1,0,0]
	s_waitcnt vmcnt(7)
	v_mov_b32_e32 v14, v37
	v_mov_b32_e32 v17, v15
	s_waitcnt lgkmcnt(1)
	v_pk_mul_f32 v[14:15], v[6:7], v[14:15] op_sel_hi:[1,0]
	v_pk_add_f32 v[4:5], v[4:5], v[16:17]
	s_waitcnt vmcnt(6)
	v_pk_fma_f32 v[16:17], v[6:7], v[36:37], v[14:15] op_sel:[0,0,1] op_sel_hi:[1,1,0] neg_lo:[0,0,1] neg_hi:[0,0,1]
	v_pk_fma_f32 v[6:7], v[6:7], v[36:37], v[14:15] op_sel:[0,0,1] op_sel_hi:[1,0,0]
	s_waitcnt vmcnt(5)
	v_mov_b32_e32 v6, v39
	v_mov_b32_e32 v17, v7
	v_pk_mul_f32 v[6:7], v[8:9], v[6:7] op_sel_hi:[1,0]
	s_waitcnt vmcnt(4)
	v_pk_fma_f32 v[14:15], v[8:9], v[38:39], v[6:7] op_sel:[0,0,1] op_sel_hi:[1,1,0] neg_lo:[0,0,1] neg_hi:[0,0,1]
	v_pk_fma_f32 v[6:7], v[8:9], v[38:39], v[6:7] op_sel:[0,0,1] op_sel_hi:[1,0,0]
	s_waitcnt vmcnt(3)
	v_mov_b32_e32 v6, v41
	v_mov_b32_e32 v15, v7
	s_waitcnt lgkmcnt(0)
	v_pk_mul_f32 v[6:7], v[10:11], v[6:7] op_sel_hi:[1,0]
	s_waitcnt vmcnt(2)
	v_pk_fma_f32 v[8:9], v[10:11], v[40:41], v[6:7] op_sel:[0,0,1] op_sel_hi:[1,1,0] neg_lo:[0,0,1] neg_hi:[0,0,1]
	v_pk_fma_f32 v[6:7], v[10:11], v[40:41], v[6:7] op_sel:[0,0,1] op_sel_hi:[1,0,0]
	v_pk_add_f32 v[4:5], v[4:5], v[16:17]
	s_waitcnt vmcnt(1)
	v_mov_b32_e32 v6, v43
	v_pk_add_f32 v[4:5], v[4:5], v[14:15]
	v_mov_b32_e32 v9, v7
	v_pk_mul_f32 v[6:7], v[12:13], v[6:7] op_sel_hi:[1,0]
	v_pk_add_f32 v[4:5], v[4:5], v[8:9]
	s_waitcnt vmcnt(0)
	v_pk_fma_f32 v[8:9], v[12:13], v[42:43], v[6:7] op_sel:[0,0,1] op_sel_hi:[1,1,0] neg_lo:[0,0,1] neg_hi:[0,0,1]
	v_pk_fma_f32 v[6:7], v[12:13], v[42:43], v[6:7] op_sel:[0,0,1] op_sel_hi:[1,0,0]
	v_mov_b32_e32 v9, v7
	v_pk_add_f32 v[4:5], v[4:5], v[8:9]
	v_pk_add_f32 v[2:3], v[2:3], v[4:5] neg_lo:[0,1] neg_hi:[0,1]
	buffer_store_dword v3, off, s[0:3], 0 offset:364
	buffer_store_dword v2, off, s[0:3], 0 offset:360
	s_and_saveexec_b64 s[4:5], vcc
	s_cbranch_execz .LBB121_273
; %bb.272:
	buffer_load_dword v2, off, s[0:3], 0 offset:352
	buffer_load_dword v3, off, s[0:3], 0 offset:356
	v_mov_b32_e32 v4, 0
	buffer_store_dword v4, off, s[0:3], 0 offset:352
	buffer_store_dword v4, off, s[0:3], 0 offset:356
	s_waitcnt vmcnt(2)
	ds_write_b64 v175, v[2:3]
.LBB121_273:
	s_or_b64 exec, exec, s[4:5]
	v_mov_b32_e32 v4, 0
	s_waitcnt lgkmcnt(0)
	; wave barrier
	s_waitcnt lgkmcnt(0)
	ds_read2_b64 v[6:9], v4 offset0:103 offset1:104
	buffer_load_dword v2, off, s[0:3], 0 offset:352
	buffer_load_dword v3, off, s[0:3], 0 offset:356
	;; [unrolled: 1-line block ×16, first 2 shown]
	v_cmp_lt_u32_e32 vcc, 43, v0
	s_waitcnt vmcnt(12) lgkmcnt(0)
	v_mul_f32_e32 v10, v6, v18
	v_fmac_f32_e32 v10, v7, v5
	s_waitcnt vmcnt(10)
	v_mul_f32_e32 v11, v8, v20
	v_add_f32_e32 v10, 0, v10
	v_fmac_f32_e32 v11, v9, v19
	v_add_f32_e32 v14, v10, v11
	ds_read2_b64 v[10:13], v4 offset0:105 offset1:106
	v_mul_f32_e32 v7, v7, v18
	v_fma_f32 v5, v6, v5, -v7
	v_mul_f32_e32 v6, v9, v20
	v_add_f32_e32 v5, 0, v5
	s_waitcnt vmcnt(8) lgkmcnt(0)
	v_mul_f32_e32 v15, v10, v26
	v_fmac_f32_e32 v15, v11, v21
	v_add_f32_e32 v27, v14, v15
	ds_read2_b64 v[14:17], v4 offset0:107 offset1:108
	buffer_load_dword v33, off, s[0:3], 0 offset:420
	buffer_load_dword v32, off, s[0:3], 0 offset:416
	;; [unrolled: 1-line block ×12, first 2 shown]
	v_fma_f32 v6, v8, v19, -v6
	v_add_f32_e32 v5, v5, v6
	v_mul_f32_e32 v6, v11, v26
	v_fma_f32 v6, v10, v21, -v6
	s_waitcnt vmcnt(18)
	v_mul_f32_e32 v29, v12, v30
	v_add_f32_e32 v26, v5, v6
	v_mul_f32_e32 v5, v13, v30
	v_fmac_f32_e32 v29, v13, v28
	v_fma_f32 v28, v12, v28, -v5
	s_waitcnt vmcnt(16) lgkmcnt(0)
	v_mul_f32_e32 v31, v14, v45
	v_mul_f32_e32 v5, v15, v45
	v_pk_add_f32 v[26:27], v[26:27], v[28:29]
	s_waitcnt vmcnt(14)
	v_mov_b32_e32 v28, v23
	v_fmac_f32_e32 v31, v15, v44
	v_fma_f32 v30, v14, v44, -v5
	ds_read2_b64 v[6:9], v4 offset0:109 offset1:110
	ds_read2_b64 v[10:13], v4 offset0:111 offset1:112
	;; [unrolled: 1-line block ×3, first 2 shown]
	ds_read_b64 v[14:15], v4 offset:920
	v_pk_mul_f32 v[28:29], v[16:17], v[28:29] op_sel_hi:[1,0]
	v_pk_add_f32 v[26:27], v[26:27], v[30:31]
	v_pk_fma_f32 v[30:31], v[16:17], v[22:23], v[28:29] op_sel:[0,0,1] op_sel_hi:[1,1,0] neg_lo:[0,0,1] neg_hi:[0,0,1]
	v_pk_fma_f32 v[16:17], v[16:17], v[22:23], v[28:29] op_sel:[0,0,1] op_sel_hi:[1,0,0]
	s_waitcnt vmcnt(12)
	v_mov_b32_e32 v22, v25
	v_mov_b32_e32 v31, v17
	s_waitcnt lgkmcnt(3)
	v_pk_mul_f32 v[22:23], v[6:7], v[22:23] op_sel_hi:[1,0]
	v_pk_add_f32 v[16:17], v[26:27], v[30:31]
	v_pk_fma_f32 v[26:27], v[6:7], v[24:25], v[22:23] op_sel:[0,0,1] op_sel_hi:[1,1,0] neg_lo:[0,0,1] neg_hi:[0,0,1]
	v_pk_fma_f32 v[6:7], v[6:7], v[24:25], v[22:23] op_sel:[0,0,1] op_sel_hi:[1,0,0]
	v_mov_b32_e32 v27, v7
	v_pk_add_f32 v[6:7], v[16:17], v[26:27]
	s_waitcnt vmcnt(11)
	v_mov_b32_e32 v16, v33
	v_pk_mul_f32 v[16:17], v[8:9], v[16:17] op_sel_hi:[1,0]
	s_waitcnt vmcnt(10)
	v_pk_fma_f32 v[22:23], v[8:9], v[32:33], v[16:17] op_sel:[0,0,1] op_sel_hi:[1,1,0] neg_lo:[0,0,1] neg_hi:[0,0,1]
	v_pk_fma_f32 v[8:9], v[8:9], v[32:33], v[16:17] op_sel:[0,0,1] op_sel_hi:[1,0,0]
	s_waitcnt vmcnt(9)
	v_mov_b32_e32 v8, v35
	v_mov_b32_e32 v23, v9
	s_waitcnt lgkmcnt(2)
	v_pk_mul_f32 v[8:9], v[10:11], v[8:9] op_sel_hi:[1,0]
	s_waitcnt vmcnt(8)
	v_pk_fma_f32 v[16:17], v[10:11], v[34:35], v[8:9] op_sel:[0,0,1] op_sel_hi:[1,1,0] neg_lo:[0,0,1] neg_hi:[0,0,1]
	v_pk_fma_f32 v[8:9], v[10:11], v[34:35], v[8:9] op_sel:[0,0,1] op_sel_hi:[1,0,0]
	s_waitcnt vmcnt(7)
	v_mov_b32_e32 v8, v37
	v_mov_b32_e32 v17, v9
	v_pk_mul_f32 v[8:9], v[12:13], v[8:9] op_sel_hi:[1,0]
	s_waitcnt vmcnt(6)
	v_pk_fma_f32 v[10:11], v[12:13], v[36:37], v[8:9] op_sel:[0,0,1] op_sel_hi:[1,1,0] neg_lo:[0,0,1] neg_hi:[0,0,1]
	v_pk_fma_f32 v[8:9], v[12:13], v[36:37], v[8:9] op_sel:[0,0,1] op_sel_hi:[1,0,0]
	v_pk_add_f32 v[6:7], v[6:7], v[22:23]
	s_waitcnt vmcnt(5)
	v_mov_b32_e32 v8, v39
	v_pk_add_f32 v[6:7], v[6:7], v[16:17]
	v_mov_b32_e32 v11, v9
	s_waitcnt lgkmcnt(1)
	v_pk_mul_f32 v[8:9], v[18:19], v[8:9] op_sel_hi:[1,0]
	v_pk_add_f32 v[6:7], v[6:7], v[10:11]
	s_waitcnt vmcnt(4)
	v_pk_fma_f32 v[10:11], v[18:19], v[38:39], v[8:9] op_sel:[0,0,1] op_sel_hi:[1,1,0] neg_lo:[0,0,1] neg_hi:[0,0,1]
	v_pk_fma_f32 v[8:9], v[18:19], v[38:39], v[8:9] op_sel:[0,0,1] op_sel_hi:[1,0,0]
	s_waitcnt vmcnt(3)
	v_mov_b32_e32 v8, v41
	v_mov_b32_e32 v11, v9
	v_pk_mul_f32 v[8:9], v[20:21], v[8:9] op_sel_hi:[1,0]
	v_pk_add_f32 v[6:7], v[6:7], v[10:11]
	s_waitcnt vmcnt(2)
	v_pk_fma_f32 v[10:11], v[20:21], v[40:41], v[8:9] op_sel:[0,0,1] op_sel_hi:[1,1,0] neg_lo:[0,0,1] neg_hi:[0,0,1]
	v_pk_fma_f32 v[8:9], v[20:21], v[40:41], v[8:9] op_sel:[0,0,1] op_sel_hi:[1,0,0]
	s_waitcnt vmcnt(1)
	v_mov_b32_e32 v8, v43
	v_mov_b32_e32 v11, v9
	s_waitcnt lgkmcnt(0)
	v_pk_mul_f32 v[8:9], v[14:15], v[8:9] op_sel_hi:[1,0]
	v_pk_add_f32 v[6:7], v[6:7], v[10:11]
	s_waitcnt vmcnt(0)
	v_pk_fma_f32 v[10:11], v[14:15], v[42:43], v[8:9] op_sel:[0,0,1] op_sel_hi:[1,1,0] neg_lo:[0,0,1] neg_hi:[0,0,1]
	v_pk_fma_f32 v[8:9], v[14:15], v[42:43], v[8:9] op_sel:[0,0,1] op_sel_hi:[1,0,0]
	v_mov_b32_e32 v11, v9
	v_pk_add_f32 v[6:7], v[6:7], v[10:11]
	v_pk_add_f32 v[2:3], v[2:3], v[6:7] neg_lo:[0,1] neg_hi:[0,1]
	buffer_store_dword v3, off, s[0:3], 0 offset:356
	buffer_store_dword v2, off, s[0:3], 0 offset:352
	s_and_saveexec_b64 s[4:5], vcc
	s_cbranch_execz .LBB121_275
; %bb.274:
	buffer_load_dword v2, off, s[0:3], 0 offset:344
	buffer_load_dword v3, off, s[0:3], 0 offset:348
	s_waitcnt vmcnt(0)
	ds_write_b64 v175, v[2:3]
	buffer_store_dword v4, off, s[0:3], 0 offset:344
	buffer_store_dword v4, off, s[0:3], 0 offset:348
.LBB121_275:
	s_or_b64 exec, exec, s[4:5]
	s_waitcnt lgkmcnt(0)
	; wave barrier
	s_waitcnt lgkmcnt(0)
	buffer_load_dword v48, off, s[0:3], 0 offset:356
	buffer_load_dword v50, off, s[0:3], 0 offset:364
	;; [unrolled: 1-line block ×30, first 2 shown]
	ds_read_b128 v[6:9], v4 offset:816
	ds_read_b128 v[10:13], v4 offset:832
	;; [unrolled: 1-line block ×7, first 2 shown]
	v_cmp_lt_u32_e32 vcc, 42, v0
	s_waitcnt vmcnt(29) lgkmcnt(6)
	v_mul_f32_e32 v63, v6, v48
	s_waitcnt vmcnt(28)
	v_mul_f32_e32 v64, v8, v50
	s_waitcnt vmcnt(27) lgkmcnt(5)
	v_mul_f32_e32 v65, v10, v52
	s_waitcnt vmcnt(26)
	v_mul_f32_e32 v66, v12, v53
	v_mul_f32_e32 v53, v13, v53
	s_waitcnt vmcnt(25) lgkmcnt(4)
	v_mul_f32_e32 v49, v14, v54
	s_waitcnt vmcnt(24)
	v_mul_f32_e32 v51, v16, v55
	v_mul_f32_e32 v48, v7, v48
	;; [unrolled: 1-line block ×6, first 2 shown]
	s_waitcnt vmcnt(23)
	v_mov_b32_e32 v52, v31
	s_waitcnt vmcnt(22)
	v_mov_b32_e32 v54, v33
	s_waitcnt vmcnt(17)
	v_fma_f32 v53, v12, v60, -v53
	v_fmac_f32_e32 v63, v7, v57
	v_fmac_f32_e32 v64, v9, v58
	;; [unrolled: 1-line block ×3, first 2 shown]
	v_fma_f32 v13, v6, v57, -v48
	v_fma_f32 v57, v8, v58, -v50
	s_waitcnt lgkmcnt(3)
	v_pk_mul_f32 v[6:7], v[18:19], v[52:53] op_sel_hi:[1,0]
	v_pk_mul_f32 v[8:9], v[20:21], v[54:55] op_sel_hi:[1,0]
	s_waitcnt vmcnt(16)
	v_fmac_f32_e32 v49, v15, v61
	v_fma_f32 v48, v14, v61, -v68
	v_add_f32_e32 v52, 0, v63
	v_add_f32_e32 v54, 0, v13
	s_waitcnt vmcnt(14)
	v_pk_fma_f32 v[12:13], v[18:19], v[30:31], v[6:7] op_sel:[0,0,1] op_sel_hi:[1,1,0] neg_lo:[0,0,1] neg_hi:[0,0,1]
	v_pk_fma_f32 v[6:7], v[18:19], v[30:31], v[6:7] op_sel:[0,0,1] op_sel_hi:[1,0,0]
	s_waitcnt vmcnt(10)
	v_pk_fma_f32 v[14:15], v[20:21], v[32:33], v[8:9] op_sel:[0,0,1] op_sel_hi:[1,1,0] neg_lo:[0,0,1] neg_hi:[0,0,1]
	v_pk_fma_f32 v[8:9], v[20:21], v[32:33], v[8:9] op_sel:[0,0,1] op_sel_hi:[1,0,0]
	v_fmac_f32_e32 v65, v11, v59
	v_fma_f32 v58, v10, v59, -v67
	v_add_f32_e32 v6, v52, v64
	v_add_f32_e32 v8, v54, v57
	;; [unrolled: 1-line block ×4, first 2 shown]
	v_mov_b32_e32 v56, v35
	v_mov_b32_e32 v13, v7
	v_add_f32_e32 v7, v6, v66
	v_add_f32_e32 v6, v8, v53
	v_fmac_f32_e32 v51, v17, v62
	v_fma_f32 v50, v16, v62, -v55
	s_waitcnt lgkmcnt(2)
	v_pk_mul_f32 v[10:11], v[22:23], v[56:57] op_sel_hi:[1,0]
	v_pk_add_f32 v[6:7], v[6:7], v[48:49]
	s_waitcnt vmcnt(9)
	v_mov_b32_e32 v8, v39
	v_pk_fma_f32 v[16:17], v[22:23], v[34:35], v[10:11] op_sel:[0,0,1] op_sel_hi:[1,1,0] neg_lo:[0,0,1] neg_hi:[0,0,1]
	v_pk_fma_f32 v[10:11], v[22:23], v[34:35], v[10:11] op_sel:[0,0,1] op_sel_hi:[1,0,0]
	v_mov_b32_e32 v15, v9
	v_pk_add_f32 v[6:7], v[6:7], v[50:51]
	v_pk_mul_f32 v[8:9], v[24:25], v[8:9] op_sel_hi:[1,0]
	v_mov_b32_e32 v17, v11
	v_pk_add_f32 v[6:7], v[6:7], v[12:13]
	v_pk_fma_f32 v[10:11], v[24:25], v[38:39], v[8:9] op_sel:[0,0,1] op_sel_hi:[1,1,0] neg_lo:[0,0,1] neg_hi:[0,0,1]
	v_pk_fma_f32 v[8:9], v[24:25], v[38:39], v[8:9] op_sel:[0,0,1] op_sel_hi:[1,0,0]
	v_pk_add_f32 v[6:7], v[6:7], v[14:15]
	s_waitcnt vmcnt(8)
	v_mov_b32_e32 v8, v37
	v_pk_add_f32 v[6:7], v[6:7], v[16:17]
	v_mov_b32_e32 v11, v9
	s_waitcnt lgkmcnt(1)
	v_pk_mul_f32 v[8:9], v[26:27], v[8:9] op_sel_hi:[1,0]
	v_pk_add_f32 v[6:7], v[6:7], v[10:11]
	v_pk_fma_f32 v[10:11], v[26:27], v[36:37], v[8:9] op_sel:[0,0,1] op_sel_hi:[1,1,0] neg_lo:[0,0,1] neg_hi:[0,0,1]
	v_pk_fma_f32 v[8:9], v[26:27], v[36:37], v[8:9] op_sel:[0,0,1] op_sel_hi:[1,0,0]
	s_waitcnt vmcnt(7)
	v_mov_b32_e32 v8, v41
	v_mov_b32_e32 v11, v9
	v_pk_mul_f32 v[8:9], v[28:29], v[8:9] op_sel_hi:[1,0]
	v_pk_add_f32 v[6:7], v[6:7], v[10:11]
	s_waitcnt vmcnt(4)
	v_pk_fma_f32 v[10:11], v[28:29], v[40:41], v[8:9] op_sel:[0,0,1] op_sel_hi:[1,1,0] neg_lo:[0,0,1] neg_hi:[0,0,1]
	v_pk_fma_f32 v[8:9], v[28:29], v[40:41], v[8:9] op_sel:[0,0,1] op_sel_hi:[1,0,0]
	s_waitcnt vmcnt(3)
	v_mov_b32_e32 v8, v45
	v_mov_b32_e32 v11, v9
	s_waitcnt lgkmcnt(0)
	v_pk_mul_f32 v[8:9], v[2:3], v[8:9] op_sel_hi:[1,0]
	v_pk_add_f32 v[6:7], v[6:7], v[10:11]
	v_pk_fma_f32 v[10:11], v[2:3], v[44:45], v[8:9] op_sel:[0,0,1] op_sel_hi:[1,1,0] neg_lo:[0,0,1] neg_hi:[0,0,1]
	v_pk_fma_f32 v[2:3], v[2:3], v[44:45], v[8:9] op_sel:[0,0,1] op_sel_hi:[1,0,0]
	v_mov_b32_e32 v11, v3
	v_pk_add_f32 v[2:3], v[6:7], v[10:11]
	s_waitcnt vmcnt(0)
	v_mov_b32_e32 v6, v43
	v_pk_mul_f32 v[6:7], v[4:5], v[6:7] op_sel_hi:[1,0]
	v_pk_fma_f32 v[8:9], v[4:5], v[42:43], v[6:7] op_sel:[0,0,1] op_sel_hi:[1,1,0] neg_lo:[0,0,1] neg_hi:[0,0,1]
	v_pk_fma_f32 v[4:5], v[4:5], v[42:43], v[6:7] op_sel:[0,0,1] op_sel_hi:[1,0,0]
	v_mov_b32_e32 v9, v5
	v_pk_add_f32 v[2:3], v[2:3], v[8:9]
	v_pk_add_f32 v[2:3], v[46:47], v[2:3] neg_lo:[0,1] neg_hi:[0,1]
	buffer_store_dword v3, off, s[0:3], 0 offset:348
	buffer_store_dword v2, off, s[0:3], 0 offset:344
	s_and_saveexec_b64 s[4:5], vcc
	s_cbranch_execz .LBB121_277
; %bb.276:
	buffer_load_dword v2, off, s[0:3], 0 offset:336
	buffer_load_dword v3, off, s[0:3], 0 offset:340
	v_mov_b32_e32 v4, 0
	buffer_store_dword v4, off, s[0:3], 0 offset:336
	buffer_store_dword v4, off, s[0:3], 0 offset:340
	s_waitcnt vmcnt(2)
	ds_write_b64 v175, v[2:3]
.LBB121_277:
	s_or_b64 exec, exec, s[4:5]
	s_waitcnt lgkmcnt(0)
	; wave barrier
	s_waitcnt lgkmcnt(0)
	buffer_load_dword v3, off, s[0:3], 0 offset:348
	buffer_load_dword v52, off, s[0:3], 0 offset:356
	;; [unrolled: 1-line block ×32, first 2 shown]
	v_mov_b32_e32 v2, 0
	ds_read2_b64 v[4:7], v2 offset0:101 offset1:102
	ds_read2_b64 v[8:11], v2 offset0:103 offset1:104
	;; [unrolled: 1-line block ×7, first 2 shown]
	ds_read_b64 v[50:51], v2 offset:920
	v_cmp_lt_u32_e32 vcc, 41, v0
	s_waitcnt vmcnt(31) lgkmcnt(7)
	v_mul_f32_e32 v67, v4, v3
	v_mul_f32_e32 v3, v5, v3
	s_waitcnt vmcnt(30)
	v_mul_f32_e32 v68, v6, v52
	s_waitcnt vmcnt(28) lgkmcnt(6)
	v_mul_f32_e32 v70, v10, v56
	s_waitcnt vmcnt(27) lgkmcnt(5)
	v_mul_f32_e32 v71, v12, v57
	v_mul_f32_e32 v72, v11, v56
	;; [unrolled: 1-line block ×3, first 2 shown]
	s_waitcnt vmcnt(24)
	v_mov_b32_e32 v56, v33
	v_mul_f32_e32 v69, v8, v54
	v_mul_f32_e32 v52, v7, v52
	s_waitcnt vmcnt(22)
	v_fmac_f32_e32 v67, v5, v60
	v_fma_f32 v3, v4, v60, -v3
	s_waitcnt lgkmcnt(4)
	v_pk_mul_f32 v[4:5], v[18:19], v[56:57] op_sel_hi:[1,0]
	v_mul_f32_e32 v54, v9, v54
	s_waitcnt vmcnt(21)
	v_fmac_f32_e32 v68, v7, v61
	s_waitcnt vmcnt(20)
	v_fmac_f32_e32 v69, v9, v62
	;; [unrolled: 2-line block ×3, first 2 shown]
	v_fma_f32 v9, v6, v61, -v52
	s_waitcnt vmcnt(18)
	v_fma_f32 v11, v12, v64, -v57
	v_add_f32_e32 v12, 0, v67
	v_add_f32_e32 v3, 0, v3
	s_waitcnt vmcnt(12)
	v_pk_fma_f32 v[6:7], v[18:19], v[32:33], v[4:5] op_sel:[0,0,1] op_sel_hi:[1,1,0] neg_lo:[0,0,1] neg_hi:[0,0,1]
	v_pk_fma_f32 v[4:5], v[18:19], v[32:33], v[4:5] op_sel:[0,0,1] op_sel_hi:[1,0,0]
	v_fma_f32 v8, v8, v62, -v54
	v_add_f32_e32 v4, v12, v68
	v_add_f32_e32 v3, v3, v9
	v_fma_f32 v10, v10, v63, -v72
	v_add_f32_e32 v4, v4, v69
	v_add_f32_e32 v3, v3, v8
	v_mul_f32_e32 v53, v14, v58
	v_mul_f32_e32 v73, v15, v58
	v_fmac_f32_e32 v71, v13, v64
	v_add_f32_e32 v4, v4, v70
	v_add_f32_e32 v3, v3, v10
	v_mul_f32_e32 v55, v16, v59
	v_mul_f32_e32 v59, v17, v59
	v_fmac_f32_e32 v53, v15, v65
	v_fma_f32 v52, v14, v65, -v73
	v_mov_b32_e32 v7, v5
	v_add_f32_e32 v5, v4, v71
	v_add_f32_e32 v4, v3, v11
	v_fmac_f32_e32 v55, v17, v66
	v_fma_f32 v54, v16, v66, -v59
	v_pk_add_f32 v[4:5], v[4:5], v[52:53]
	v_mov_b32_e32 v58, v35
	v_pk_add_f32 v[4:5], v[4:5], v[54:55]
	v_pk_add_f32 v[4:5], v[4:5], v[6:7]
	s_waitcnt lgkmcnt(3)
	v_pk_mul_f32 v[6:7], v[20:21], v[58:59] op_sel_hi:[1,0]
	v_pk_fma_f32 v[8:9], v[20:21], v[34:35], v[6:7] op_sel:[0,0,1] op_sel_hi:[1,1,0] neg_lo:[0,0,1] neg_hi:[0,0,1]
	v_pk_fma_f32 v[6:7], v[20:21], v[34:35], v[6:7] op_sel:[0,0,1] op_sel_hi:[1,0,0]
	s_waitcnt vmcnt(11)
	v_mov_b32_e32 v6, v39
	v_mov_b32_e32 v9, v7
	v_pk_mul_f32 v[6:7], v[22:23], v[6:7] op_sel_hi:[1,0]
	v_pk_add_f32 v[4:5], v[4:5], v[8:9]
	v_pk_fma_f32 v[8:9], v[22:23], v[38:39], v[6:7] op_sel:[0,0,1] op_sel_hi:[1,1,0] neg_lo:[0,0,1] neg_hi:[0,0,1]
	v_pk_fma_f32 v[6:7], v[22:23], v[38:39], v[6:7] op_sel:[0,0,1] op_sel_hi:[1,0,0]
	s_waitcnt vmcnt(10)
	v_mov_b32_e32 v6, v37
	v_mov_b32_e32 v9, v7
	s_waitcnt lgkmcnt(2)
	v_pk_mul_f32 v[6:7], v[24:25], v[6:7] op_sel_hi:[1,0]
	v_pk_add_f32 v[4:5], v[4:5], v[8:9]
	v_pk_fma_f32 v[8:9], v[24:25], v[36:37], v[6:7] op_sel:[0,0,1] op_sel_hi:[1,1,0] neg_lo:[0,0,1] neg_hi:[0,0,1]
	v_pk_fma_f32 v[6:7], v[24:25], v[36:37], v[6:7] op_sel:[0,0,1] op_sel_hi:[1,0,0]
	s_waitcnt vmcnt(9)
	v_mov_b32_e32 v6, v41
	v_mov_b32_e32 v9, v7
	v_pk_mul_f32 v[6:7], v[26:27], v[6:7] op_sel_hi:[1,0]
	v_pk_add_f32 v[4:5], v[4:5], v[8:9]
	s_waitcnt vmcnt(4)
	v_pk_fma_f32 v[8:9], v[26:27], v[40:41], v[6:7] op_sel:[0,0,1] op_sel_hi:[1,1,0] neg_lo:[0,0,1] neg_hi:[0,0,1]
	v_pk_fma_f32 v[6:7], v[26:27], v[40:41], v[6:7] op_sel:[0,0,1] op_sel_hi:[1,0,0]
	v_mov_b32_e32 v6, v47
	v_mov_b32_e32 v9, v7
	s_waitcnt lgkmcnt(1)
	v_pk_mul_f32 v[6:7], v[28:29], v[6:7] op_sel_hi:[1,0]
	v_pk_add_f32 v[4:5], v[4:5], v[8:9]
	v_pk_fma_f32 v[8:9], v[28:29], v[46:47], v[6:7] op_sel:[0,0,1] op_sel_hi:[1,1,0] neg_lo:[0,0,1] neg_hi:[0,0,1]
	v_pk_fma_f32 v[6:7], v[28:29], v[46:47], v[6:7] op_sel:[0,0,1] op_sel_hi:[1,0,0]
	s_waitcnt vmcnt(3)
	v_mov_b32_e32 v6, v45
	v_mov_b32_e32 v9, v7
	v_pk_mul_f32 v[6:7], v[30:31], v[6:7] op_sel_hi:[1,0]
	v_pk_add_f32 v[4:5], v[4:5], v[8:9]
	v_pk_fma_f32 v[8:9], v[30:31], v[44:45], v[6:7] op_sel:[0,0,1] op_sel_hi:[1,1,0] neg_lo:[0,0,1] neg_hi:[0,0,1]
	v_pk_fma_f32 v[6:7], v[30:31], v[44:45], v[6:7] op_sel:[0,0,1] op_sel_hi:[1,0,0]
	s_waitcnt vmcnt(0)
	v_mov_b32_e32 v6, v43
	v_mov_b32_e32 v9, v7
	s_waitcnt lgkmcnt(0)
	v_pk_mul_f32 v[6:7], v[50:51], v[6:7] op_sel_hi:[1,0]
	v_pk_add_f32 v[4:5], v[4:5], v[8:9]
	v_pk_fma_f32 v[8:9], v[50:51], v[42:43], v[6:7] op_sel:[0,0,1] op_sel_hi:[1,1,0] neg_lo:[0,0,1] neg_hi:[0,0,1]
	v_pk_fma_f32 v[6:7], v[50:51], v[42:43], v[6:7] op_sel:[0,0,1] op_sel_hi:[1,0,0]
	v_mov_b32_e32 v9, v7
	v_pk_add_f32 v[4:5], v[4:5], v[8:9]
	v_pk_add_f32 v[4:5], v[48:49], v[4:5] neg_lo:[0,1] neg_hi:[0,1]
	buffer_store_dword v5, off, s[0:3], 0 offset:340
	buffer_store_dword v4, off, s[0:3], 0 offset:336
	s_and_saveexec_b64 s[4:5], vcc
	s_cbranch_execz .LBB121_279
; %bb.278:
	buffer_load_dword v4, off, s[0:3], 0 offset:328
	buffer_load_dword v5, off, s[0:3], 0 offset:332
	s_waitcnt vmcnt(0)
	ds_write_b64 v175, v[4:5]
	buffer_store_dword v2, off, s[0:3], 0 offset:328
	buffer_store_dword v2, off, s[0:3], 0 offset:332
.LBB121_279:
	s_or_b64 exec, exec, s[4:5]
	s_waitcnt lgkmcnt(0)
	; wave barrier
	s_waitcnt lgkmcnt(0)
	buffer_load_dword v54, off, s[0:3], 0 offset:340
	buffer_load_dword v56, off, s[0:3], 0 offset:348
	;; [unrolled: 1-line block ×32, first 2 shown]
	ds_read_b128 v[4:7], v2 offset:800
	ds_read_b128 v[8:11], v2 offset:816
	;; [unrolled: 1-line block ×4, first 2 shown]
	buffer_load_dword v53, off, s[0:3], 0 offset:460
	buffer_load_dword v52, off, s[0:3], 0 offset:456
	ds_read_b128 v[20:23], v2 offset:864
	ds_read_b128 v[24:27], v2 offset:880
	;; [unrolled: 1-line block ×4, first 2 shown]
	v_cmp_lt_u32_e32 vcc, 40, v0
	s_waitcnt vmcnt(33) lgkmcnt(7)
	v_mul_f32_e32 v71, v4, v54
	v_mul_f32_e32 v2, v5, v54
	s_waitcnt vmcnt(32)
	v_mul_f32_e32 v72, v6, v56
	s_waitcnt vmcnt(31) lgkmcnt(6)
	v_mul_f32_e32 v73, v8, v57
	v_mul_f32_e32 v54, v7, v56
	;; [unrolled: 1-line block ×3, first 2 shown]
	s_waitcnt vmcnt(30)
	v_mul_f32_e32 v57, v11, v58
	v_mul_f32_e32 v74, v10, v58
	s_waitcnt vmcnt(25)
	v_fmac_f32_e32 v71, v5, v63
	v_fma_f32 v4, v4, v63, -v2
	s_waitcnt vmcnt(24)
	v_fmac_f32_e32 v72, v7, v64
	v_fma_f32 v5, v6, v64, -v54
	s_waitcnt vmcnt(22)
	v_fma_f32 v7, v10, v66, -v57
	v_add_f32_e32 v10, 0, v71
	v_add_f32_e32 v4, 0, v4
	v_fmac_f32_e32 v73, v9, v65
	v_fma_f32 v6, v8, v65, -v56
	v_add_f32_e32 v10, v10, v72
	v_add_f32_e32 v4, v4, v5
	s_waitcnt lgkmcnt(5)
	v_mul_f32_e32 v75, v12, v59
	v_mul_f32_e32 v58, v13, v59
	v_fmac_f32_e32 v74, v11, v66
	v_add_f32_e32 v5, v10, v73
	v_add_f32_e32 v4, v4, v6
	v_mul_f32_e32 v76, v14, v60
	v_mul_f32_e32 v59, v15, v60
	s_waitcnt vmcnt(21)
	v_fmac_f32_e32 v75, v13, v67
	v_fma_f32 v8, v12, v67, -v58
	v_add_f32_e32 v5, v5, v74
	v_add_f32_e32 v4, v4, v7
	s_waitcnt lgkmcnt(4)
	v_mul_f32_e32 v3, v16, v61
	v_mul_f32_e32 v60, v17, v61
	s_waitcnt vmcnt(20)
	v_fmac_f32_e32 v76, v15, v68
	v_fma_f32 v9, v14, v68, -v59
	v_add_f32_e32 v5, v5, v75
	v_add_f32_e32 v4, v4, v8
	s_waitcnt vmcnt(19)
	v_fmac_f32_e32 v3, v17, v69
	v_fma_f32 v2, v16, v69, -v60
	v_add_f32_e32 v5, v5, v76
	v_add_f32_e32 v4, v4, v9
	v_pk_add_f32 v[2:3], v[4:5], v[2:3]
	s_waitcnt vmcnt(17)
	v_mov_b32_e32 v4, v37
	s_waitcnt lgkmcnt(3)
	v_pk_mul_f32 v[4:5], v[20:21], v[4:5] op_sel_hi:[1,0]
	v_mul_f32_e32 v55, v18, v62
	v_mul_f32_e32 v61, v19, v62
	s_waitcnt vmcnt(14)
	v_pk_fma_f32 v[6:7], v[20:21], v[36:37], v[4:5] op_sel:[0,0,1] op_sel_hi:[1,1,0] neg_lo:[0,0,1] neg_hi:[0,0,1]
	v_pk_fma_f32 v[4:5], v[20:21], v[36:37], v[4:5] op_sel:[0,0,1] op_sel_hi:[1,0,0]
	v_fmac_f32_e32 v55, v19, v70
	v_fma_f32 v54, v18, v70, -v61
	s_waitcnt vmcnt(13)
	v_mov_b32_e32 v4, v41
	v_pk_add_f32 v[2:3], v[2:3], v[54:55]
	v_mov_b32_e32 v7, v5
	v_pk_mul_f32 v[4:5], v[22:23], v[4:5] op_sel_hi:[1,0]
	v_pk_add_f32 v[2:3], v[2:3], v[6:7]
	v_pk_fma_f32 v[6:7], v[22:23], v[40:41], v[4:5] op_sel:[0,0,1] op_sel_hi:[1,1,0] neg_lo:[0,0,1] neg_hi:[0,0,1]
	v_pk_fma_f32 v[4:5], v[22:23], v[40:41], v[4:5] op_sel:[0,0,1] op_sel_hi:[1,0,0]
	s_waitcnt vmcnt(12)
	v_mov_b32_e32 v4, v39
	v_mov_b32_e32 v7, v5
	s_waitcnt lgkmcnt(2)
	v_pk_mul_f32 v[4:5], v[24:25], v[4:5] op_sel_hi:[1,0]
	v_pk_add_f32 v[2:3], v[2:3], v[6:7]
	v_pk_fma_f32 v[6:7], v[24:25], v[38:39], v[4:5] op_sel:[0,0,1] op_sel_hi:[1,1,0] neg_lo:[0,0,1] neg_hi:[0,0,1]
	v_pk_fma_f32 v[4:5], v[24:25], v[38:39], v[4:5] op_sel:[0,0,1] op_sel_hi:[1,0,0]
	s_waitcnt vmcnt(11)
	v_mov_b32_e32 v4, v43
	v_mov_b32_e32 v7, v5
	v_pk_mul_f32 v[4:5], v[26:27], v[4:5] op_sel_hi:[1,0]
	v_pk_add_f32 v[2:3], v[2:3], v[6:7]
	s_waitcnt vmcnt(5)
	v_pk_fma_f32 v[6:7], v[26:27], v[42:43], v[4:5] op_sel:[0,0,1] op_sel_hi:[1,1,0] neg_lo:[0,0,1] neg_hi:[0,0,1]
	v_pk_fma_f32 v[4:5], v[26:27], v[42:43], v[4:5] op_sel:[0,0,1] op_sel_hi:[1,0,0]
	v_mov_b32_e32 v4, v49
	v_mov_b32_e32 v7, v5
	s_waitcnt lgkmcnt(1)
	v_pk_mul_f32 v[4:5], v[28:29], v[4:5] op_sel_hi:[1,0]
	v_pk_add_f32 v[2:3], v[2:3], v[6:7]
	v_pk_fma_f32 v[6:7], v[28:29], v[48:49], v[4:5] op_sel:[0,0,1] op_sel_hi:[1,1,0] neg_lo:[0,0,1] neg_hi:[0,0,1]
	v_pk_fma_f32 v[4:5], v[28:29], v[48:49], v[4:5] op_sel:[0,0,1] op_sel_hi:[1,0,0]
	v_mov_b32_e32 v4, v47
	v_mov_b32_e32 v7, v5
	v_pk_mul_f32 v[4:5], v[30:31], v[4:5] op_sel_hi:[1,0]
	v_pk_add_f32 v[2:3], v[2:3], v[6:7]
	v_pk_fma_f32 v[6:7], v[30:31], v[46:47], v[4:5] op_sel:[0,0,1] op_sel_hi:[1,1,0] neg_lo:[0,0,1] neg_hi:[0,0,1]
	v_pk_fma_f32 v[4:5], v[30:31], v[46:47], v[4:5] op_sel:[0,0,1] op_sel_hi:[1,0,0]
	s_waitcnt vmcnt(2)
	v_mov_b32_e32 v4, v45
	v_mov_b32_e32 v7, v5
	s_waitcnt lgkmcnt(0)
	v_pk_mul_f32 v[4:5], v[32:33], v[4:5] op_sel_hi:[1,0]
	v_pk_add_f32 v[2:3], v[2:3], v[6:7]
	v_pk_fma_f32 v[6:7], v[32:33], v[44:45], v[4:5] op_sel:[0,0,1] op_sel_hi:[1,1,0] neg_lo:[0,0,1] neg_hi:[0,0,1]
	v_pk_fma_f32 v[4:5], v[32:33], v[44:45], v[4:5] op_sel:[0,0,1] op_sel_hi:[1,0,0]
	s_waitcnt vmcnt(1)
	v_mov_b32_e32 v4, v53
	v_mov_b32_e32 v7, v5
	v_pk_mul_f32 v[4:5], v[34:35], v[4:5] op_sel_hi:[1,0]
	v_pk_add_f32 v[2:3], v[2:3], v[6:7]
	s_waitcnt vmcnt(0)
	v_pk_fma_f32 v[6:7], v[34:35], v[52:53], v[4:5] op_sel:[0,0,1] op_sel_hi:[1,1,0] neg_lo:[0,0,1] neg_hi:[0,0,1]
	v_pk_fma_f32 v[4:5], v[34:35], v[52:53], v[4:5] op_sel:[0,0,1] op_sel_hi:[1,0,0]
	v_mov_b32_e32 v7, v5
	v_pk_add_f32 v[2:3], v[2:3], v[6:7]
	v_pk_add_f32 v[2:3], v[50:51], v[2:3] neg_lo:[0,1] neg_hi:[0,1]
	buffer_store_dword v3, off, s[0:3], 0 offset:332
	buffer_store_dword v2, off, s[0:3], 0 offset:328
	s_and_saveexec_b64 s[4:5], vcc
	s_cbranch_execz .LBB121_281
; %bb.280:
	buffer_load_dword v2, off, s[0:3], 0 offset:320
	buffer_load_dword v3, off, s[0:3], 0 offset:324
	v_mov_b32_e32 v4, 0
	buffer_store_dword v4, off, s[0:3], 0 offset:320
	buffer_store_dword v4, off, s[0:3], 0 offset:324
	s_waitcnt vmcnt(2)
	ds_write_b64 v175, v[2:3]
.LBB121_281:
	s_or_b64 exec, exec, s[4:5]
	s_waitcnt lgkmcnt(0)
	; wave barrier
	s_waitcnt lgkmcnt(0)
	buffer_load_dword v3, off, s[0:3], 0 offset:332
	buffer_load_dword v46, off, s[0:3], 0 offset:340
	;; [unrolled: 1-line block ×36, first 2 shown]
	v_mov_b32_e32 v2, 0
	ds_read2_b64 v[4:7], v2 offset0:99 offset1:100
	ds_read2_b64 v[8:11], v2 offset0:101 offset1:102
	;; [unrolled: 1-line block ×6, first 2 shown]
	v_cmp_lt_u32_e32 vcc, 39, v0
	s_waitcnt vmcnt(35) lgkmcnt(5)
	v_mul_f32_e32 v65, v4, v3
	s_waitcnt vmcnt(34)
	v_mul_f32_e32 v66, v6, v46
	s_waitcnt vmcnt(33) lgkmcnt(4)
	v_mul_f32_e32 v67, v8, v48
	v_mul_f32_e32 v3, v5, v3
	;; [unrolled: 1-line block ×4, first 2 shown]
	s_waitcnt vmcnt(32)
	v_mul_f32_e32 v68, v10, v50
	s_waitcnt vmcnt(31) lgkmcnt(3)
	v_mul_f32_e32 v69, v12, v51
	v_mul_f32_e32 v50, v11, v50
	s_waitcnt vmcnt(26)
	v_fmac_f32_e32 v65, v5, v56
	s_waitcnt vmcnt(25)
	v_fmac_f32_e32 v66, v7, v57
	;; [unrolled: 2-line block ×3, first 2 shown]
	v_fma_f32 v3, v4, v56, -v3
	v_add_f32_e32 v9, 0, v65
	v_fma_f32 v4, v6, v57, -v46
	v_add_f32_e32 v3, 0, v3
	v_add_f32_e32 v9, v9, v66
	s_waitcnt vmcnt(23)
	v_fmac_f32_e32 v68, v11, v59
	v_fma_f32 v5, v8, v58, -v48
	v_add_f32_e32 v3, v3, v4
	v_add_f32_e32 v4, v9, v67
	v_mul_f32_e32 v70, v14, v52
	v_mul_f32_e32 v51, v13, v51
	s_waitcnt vmcnt(22)
	v_fmac_f32_e32 v69, v13, v60
	v_fma_f32 v6, v10, v59, -v50
	v_add_f32_e32 v3, v3, v5
	v_add_f32_e32 v4, v4, v68
	s_waitcnt lgkmcnt(2)
	v_mul_f32_e32 v71, v16, v53
	v_mul_f32_e32 v52, v15, v52
	s_waitcnt vmcnt(21)
	v_fmac_f32_e32 v70, v15, v61
	v_fma_f32 v7, v12, v60, -v51
	v_add_f32_e32 v3, v3, v6
	v_add_f32_e32 v4, v4, v69
	v_mul_f32_e32 v53, v17, v53
	s_waitcnt vmcnt(20)
	v_fmac_f32_e32 v71, v17, v62
	v_fma_f32 v8, v14, v61, -v52
	v_add_f32_e32 v3, v3, v7
	v_add_f32_e32 v4, v4, v70
	;; [unrolled: 1-line block ×4, first 2 shown]
	v_fma_f32 v4, v16, v62, -v53
	s_waitcnt vmcnt(17)
	v_mov_b32_e32 v16, v29
	v_mul_f32_e32 v47, v18, v54
	v_add_f32_e32 v12, v3, v4
	v_mul_f32_e32 v3, v19, v54
	s_waitcnt lgkmcnt(1)
	v_pk_mul_f32 v[16:17], v[22:23], v[16:17] op_sel_hi:[1,0]
	v_mul_f32_e32 v49, v20, v55
	v_fmac_f32_e32 v47, v19, v63
	v_fma_f32 v46, v18, v63, -v3
	v_mul_f32_e32 v3, v21, v55
	s_waitcnt vmcnt(15)
	v_pk_fma_f32 v[18:19], v[22:23], v[28:29], v[16:17] op_sel:[0,0,1] op_sel_hi:[1,1,0] neg_lo:[0,0,1] neg_hi:[0,0,1]
	v_pk_fma_f32 v[16:17], v[22:23], v[28:29], v[16:17] op_sel:[0,0,1] op_sel_hi:[1,0,0]
	v_fmac_f32_e32 v49, v21, v64
	v_fma_f32 v48, v20, v64, -v3
	v_pk_add_f32 v[12:13], v[12:13], v[46:47]
	s_waitcnt vmcnt(12)
	v_mov_b32_e32 v16, v31
	v_pk_add_f32 v[12:13], v[12:13], v[48:49]
	v_mov_b32_e32 v19, v17
	s_waitcnt lgkmcnt(0)
	v_pk_mul_f32 v[16:17], v[24:25], v[16:17] op_sel_hi:[1,0]
	v_pk_add_f32 v[12:13], v[12:13], v[18:19]
	v_pk_fma_f32 v[18:19], v[24:25], v[30:31], v[16:17] op_sel:[0,0,1] op_sel_hi:[1,1,0] neg_lo:[0,0,1] neg_hi:[0,0,1]
	v_pk_fma_f32 v[16:17], v[24:25], v[30:31], v[16:17] op_sel:[0,0,1] op_sel_hi:[1,0,0]
	s_waitcnt vmcnt(11)
	v_mov_b32_e32 v16, v35
	ds_read2_b64 v[4:7], v2 offset0:111 offset1:112
	ds_read2_b64 v[8:11], v2 offset0:113 offset1:114
	ds_read_b64 v[14:15], v2 offset:920
	v_mov_b32_e32 v19, v17
	v_pk_mul_f32 v[16:17], v[26:27], v[16:17] op_sel_hi:[1,0]
	v_pk_add_f32 v[12:13], v[12:13], v[18:19]
	s_waitcnt vmcnt(4)
	v_pk_fma_f32 v[18:19], v[26:27], v[34:35], v[16:17] op_sel:[0,0,1] op_sel_hi:[1,1,0] neg_lo:[0,0,1] neg_hi:[0,0,1]
	v_pk_fma_f32 v[16:17], v[26:27], v[34:35], v[16:17] op_sel:[0,0,1] op_sel_hi:[1,0,0]
	v_mov_b32_e32 v16, v41
	v_mov_b32_e32 v19, v17
	s_waitcnt lgkmcnt(2)
	v_pk_mul_f32 v[16:17], v[4:5], v[16:17] op_sel_hi:[1,0]
	v_pk_add_f32 v[12:13], v[12:13], v[18:19]
	v_pk_fma_f32 v[18:19], v[4:5], v[40:41], v[16:17] op_sel:[0,0,1] op_sel_hi:[1,1,0] neg_lo:[0,0,1] neg_hi:[0,0,1]
	v_pk_fma_f32 v[4:5], v[4:5], v[40:41], v[16:17] op_sel:[0,0,1] op_sel_hi:[1,0,0]
	v_mov_b32_e32 v19, v5
	v_pk_add_f32 v[4:5], v[12:13], v[18:19]
	v_mov_b32_e32 v12, v39
	v_pk_mul_f32 v[12:13], v[6:7], v[12:13] op_sel_hi:[1,0]
	v_pk_fma_f32 v[16:17], v[6:7], v[38:39], v[12:13] op_sel:[0,0,1] op_sel_hi:[1,1,0] neg_lo:[0,0,1] neg_hi:[0,0,1]
	v_pk_fma_f32 v[6:7], v[6:7], v[38:39], v[12:13] op_sel:[0,0,1] op_sel_hi:[1,0,0]
	v_mov_b32_e32 v6, v37
	v_mov_b32_e32 v17, v7
	s_waitcnt lgkmcnt(1)
	v_pk_mul_f32 v[6:7], v[8:9], v[6:7] op_sel_hi:[1,0]
	v_pk_fma_f32 v[12:13], v[8:9], v[36:37], v[6:7] op_sel:[0,0,1] op_sel_hi:[1,1,0] neg_lo:[0,0,1] neg_hi:[0,0,1]
	v_pk_fma_f32 v[6:7], v[8:9], v[36:37], v[6:7] op_sel:[0,0,1] op_sel_hi:[1,0,0]
	s_waitcnt vmcnt(1)
	v_mov_b32_e32 v6, v45
	v_mov_b32_e32 v13, v7
	v_pk_mul_f32 v[6:7], v[10:11], v[6:7] op_sel_hi:[1,0]
	s_waitcnt vmcnt(0)
	v_pk_fma_f32 v[8:9], v[10:11], v[44:45], v[6:7] op_sel:[0,0,1] op_sel_hi:[1,1,0] neg_lo:[0,0,1] neg_hi:[0,0,1]
	v_pk_fma_f32 v[6:7], v[10:11], v[44:45], v[6:7] op_sel:[0,0,1] op_sel_hi:[1,0,0]
	v_pk_add_f32 v[4:5], v[4:5], v[16:17]
	v_mov_b32_e32 v6, v43
	v_pk_add_f32 v[4:5], v[4:5], v[12:13]
	v_mov_b32_e32 v9, v7
	s_waitcnt lgkmcnt(0)
	v_pk_mul_f32 v[6:7], v[14:15], v[6:7] op_sel_hi:[1,0]
	v_pk_add_f32 v[4:5], v[4:5], v[8:9]
	v_pk_fma_f32 v[8:9], v[14:15], v[42:43], v[6:7] op_sel:[0,0,1] op_sel_hi:[1,1,0] neg_lo:[0,0,1] neg_hi:[0,0,1]
	v_pk_fma_f32 v[6:7], v[14:15], v[42:43], v[6:7] op_sel:[0,0,1] op_sel_hi:[1,0,0]
	v_mov_b32_e32 v9, v7
	v_pk_add_f32 v[4:5], v[4:5], v[8:9]
	v_pk_add_f32 v[4:5], v[32:33], v[4:5] neg_lo:[0,1] neg_hi:[0,1]
	buffer_store_dword v5, off, s[0:3], 0 offset:324
	buffer_store_dword v4, off, s[0:3], 0 offset:320
	s_and_saveexec_b64 s[4:5], vcc
	s_cbranch_execz .LBB121_283
; %bb.282:
	buffer_load_dword v4, off, s[0:3], 0 offset:312
	buffer_load_dword v5, off, s[0:3], 0 offset:316
	s_waitcnt vmcnt(0)
	ds_write_b64 v175, v[4:5]
	buffer_store_dword v2, off, s[0:3], 0 offset:312
	buffer_store_dword v2, off, s[0:3], 0 offset:316
.LBB121_283:
	s_or_b64 exec, exec, s[4:5]
	s_waitcnt lgkmcnt(0)
	; wave barrier
	s_waitcnt lgkmcnt(0)
	buffer_load_dword v3, off, s[0:3], 0 offset:324
	buffer_load_dword v46, off, s[0:3], 0 offset:332
	;; [unrolled: 1-line block ×22, first 2 shown]
	ds_read_b128 v[4:7], v2 offset:784
	ds_read_b128 v[8:11], v2 offset:800
	buffer_load_dword v31, off, s[0:3], 0 offset:404
	buffer_load_dword v30, off, s[0:3], 0 offset:400
	;; [unrolled: 1-line block ×10, first 2 shown]
	ds_read_b128 v[12:15], v2 offset:816
	ds_read_b128 v[16:19], v2 offset:832
	ds_read_b128 v[20:23], v2 offset:848
	ds_read_b128 v[24:27], v2 offset:864
	buffer_load_dword v41, off, s[0:3], 0 offset:460
	buffer_load_dword v40, off, s[0:3], 0 offset:456
	;; [unrolled: 1-line block ×6, first 2 shown]
	v_cmp_lt_u32_e32 vcc, 38, v0
	s_waitcnt vmcnt(37) lgkmcnt(5)
	v_mul_f32_e32 v67, v4, v3
	s_waitcnt vmcnt(36)
	v_mul_f32_e32 v68, v6, v46
	s_waitcnt vmcnt(35) lgkmcnt(4)
	v_mul_f32_e32 v69, v8, v48
	v_mul_f32_e32 v3, v5, v3
	;; [unrolled: 1-line block ×4, first 2 shown]
	s_waitcnt vmcnt(34)
	v_mul_f32_e32 v70, v10, v50
	s_waitcnt vmcnt(33) lgkmcnt(3)
	v_mul_f32_e32 v71, v12, v51
	s_waitcnt vmcnt(32)
	v_mul_f32_e32 v72, v14, v52
	s_waitcnt vmcnt(31) lgkmcnt(2)
	v_mul_f32_e32 v73, v16, v53
	s_waitcnt vmcnt(27)
	v_fmac_f32_e32 v67, v5, v57
	s_waitcnt vmcnt(26)
	v_fmac_f32_e32 v68, v7, v58
	v_fma_f32 v3, v4, v57, -v3
	s_waitcnt vmcnt(25)
	v_fma_f32 v5, v8, v59, -v48
	v_add_f32_e32 v8, 0, v67
	v_fmac_f32_e32 v69, v9, v59
	v_fma_f32 v4, v6, v58, -v46
	v_add_f32_e32 v3, 0, v3
	v_add_f32_e32 v8, v8, v68
	s_waitcnt vmcnt(24)
	v_fmac_f32_e32 v70, v11, v60
	v_add_f32_e32 v3, v3, v4
	v_add_f32_e32 v4, v8, v69
	s_waitcnt vmcnt(23)
	v_fmac_f32_e32 v71, v13, v61
	v_add_f32_e32 v4, v4, v70
	v_mul_f32_e32 v50, v11, v50
	s_waitcnt vmcnt(22)
	v_fmac_f32_e32 v72, v15, v62
	v_add_f32_e32 v4, v4, v71
	v_mul_f32_e32 v74, v18, v54
	v_mul_f32_e32 v51, v13, v51
	s_waitcnt vmcnt(21)
	v_fmac_f32_e32 v73, v17, v63
	v_fma_f32 v6, v10, v60, -v50
	v_add_f32_e32 v3, v3, v5
	v_add_f32_e32 v4, v4, v72
	v_mul_f32_e32 v52, v15, v52
	s_waitcnt vmcnt(20)
	v_fmac_f32_e32 v74, v19, v64
	v_fma_f32 v7, v12, v61, -v51
	v_add_f32_e32 v3, v3, v6
	v_add_f32_e32 v4, v4, v73
	;; [unrolled: 1-line block ×4, first 2 shown]
	v_fma_f32 v4, v14, v62, -v52
	v_add_f32_e32 v3, v3, v4
	v_mul_f32_e32 v4, v17, v53
	v_fma_f32 v4, v16, v63, -v4
	v_add_f32_e32 v3, v3, v4
	v_mul_f32_e32 v4, v19, v54
	v_fma_f32 v4, v18, v64, -v4
	s_waitcnt vmcnt(15)
	v_mov_b32_e32 v16, v31
	s_waitcnt lgkmcnt(1)
	v_mul_f32_e32 v47, v20, v55
	v_add_f32_e32 v50, v3, v4
	v_mul_f32_e32 v3, v21, v55
	s_waitcnt lgkmcnt(0)
	v_pk_mul_f32 v[16:17], v[24:25], v[16:17] op_sel_hi:[1,0]
	v_mul_f32_e32 v49, v22, v56
	v_fmac_f32_e32 v47, v21, v65
	v_fma_f32 v46, v20, v65, -v3
	v_mul_f32_e32 v3, v23, v56
	s_waitcnt vmcnt(14)
	v_pk_fma_f32 v[18:19], v[24:25], v[30:31], v[16:17] op_sel:[0,0,1] op_sel_hi:[1,1,0] neg_lo:[0,0,1] neg_hi:[0,0,1]
	v_pk_fma_f32 v[16:17], v[24:25], v[30:31], v[16:17] op_sel:[0,0,1] op_sel_hi:[1,0,0]
	v_fmac_f32_e32 v49, v23, v66
	v_fma_f32 v48, v22, v66, -v3
	ds_read_b128 v[4:7], v2 offset:880
	ds_read_b128 v[8:11], v2 offset:896
	;; [unrolled: 1-line block ×3, first 2 shown]
	v_pk_add_f32 v[2:3], v[50:51], v[46:47]
	s_waitcnt vmcnt(13)
	v_mov_b32_e32 v16, v33
	v_pk_add_f32 v[2:3], v[2:3], v[48:49]
	v_mov_b32_e32 v19, v17
	v_pk_mul_f32 v[16:17], v[26:27], v[16:17] op_sel_hi:[1,0]
	v_pk_add_f32 v[2:3], v[2:3], v[18:19]
	s_waitcnt vmcnt(6)
	v_pk_fma_f32 v[18:19], v[26:27], v[32:33], v[16:17] op_sel:[0,0,1] op_sel_hi:[1,1,0] neg_lo:[0,0,1] neg_hi:[0,0,1]
	v_pk_fma_f32 v[16:17], v[26:27], v[32:33], v[16:17] op_sel:[0,0,1] op_sel_hi:[1,0,0]
	v_mov_b32_e32 v16, v39
	v_mov_b32_e32 v19, v17
	s_waitcnt lgkmcnt(2)
	v_pk_mul_f32 v[16:17], v[4:5], v[16:17] op_sel_hi:[1,0]
	v_pk_add_f32 v[2:3], v[2:3], v[18:19]
	v_pk_fma_f32 v[18:19], v[4:5], v[38:39], v[16:17] op_sel:[0,0,1] op_sel_hi:[1,1,0] neg_lo:[0,0,1] neg_hi:[0,0,1]
	v_pk_fma_f32 v[4:5], v[4:5], v[38:39], v[16:17] op_sel:[0,0,1] op_sel_hi:[1,0,0]
	v_mov_b32_e32 v4, v37
	v_mov_b32_e32 v19, v5
	v_pk_mul_f32 v[4:5], v[6:7], v[4:5] op_sel_hi:[1,0]
	v_pk_fma_f32 v[16:17], v[6:7], v[36:37], v[4:5] op_sel:[0,0,1] op_sel_hi:[1,1,0] neg_lo:[0,0,1] neg_hi:[0,0,1]
	v_pk_fma_f32 v[4:5], v[6:7], v[36:37], v[4:5] op_sel:[0,0,1] op_sel_hi:[1,0,0]
	v_mov_b32_e32 v4, v35
	v_mov_b32_e32 v17, v5
	s_waitcnt lgkmcnt(1)
	v_pk_mul_f32 v[4:5], v[8:9], v[4:5] op_sel_hi:[1,0]
	v_pk_fma_f32 v[6:7], v[8:9], v[34:35], v[4:5] op_sel:[0,0,1] op_sel_hi:[1,1,0] neg_lo:[0,0,1] neg_hi:[0,0,1]
	v_pk_fma_f32 v[4:5], v[8:9], v[34:35], v[4:5] op_sel:[0,0,1] op_sel_hi:[1,0,0]
	v_pk_add_f32 v[2:3], v[2:3], v[18:19]
	s_waitcnt vmcnt(1)
	v_mov_b32_e32 v4, v45
	v_pk_add_f32 v[2:3], v[2:3], v[16:17]
	v_mov_b32_e32 v7, v5
	v_pk_mul_f32 v[4:5], v[10:11], v[4:5] op_sel_hi:[1,0]
	v_pk_add_f32 v[2:3], v[2:3], v[6:7]
	s_waitcnt vmcnt(0)
	v_pk_fma_f32 v[6:7], v[10:11], v[44:45], v[4:5] op_sel:[0,0,1] op_sel_hi:[1,1,0] neg_lo:[0,0,1] neg_hi:[0,0,1]
	v_pk_fma_f32 v[4:5], v[10:11], v[44:45], v[4:5] op_sel:[0,0,1] op_sel_hi:[1,0,0]
	v_mov_b32_e32 v4, v43
	v_mov_b32_e32 v7, v5
	s_waitcnt lgkmcnt(0)
	v_pk_mul_f32 v[4:5], v[12:13], v[4:5] op_sel_hi:[1,0]
	v_pk_add_f32 v[2:3], v[2:3], v[6:7]
	v_pk_fma_f32 v[6:7], v[12:13], v[42:43], v[4:5] op_sel:[0,0,1] op_sel_hi:[1,1,0] neg_lo:[0,0,1] neg_hi:[0,0,1]
	v_pk_fma_f32 v[4:5], v[12:13], v[42:43], v[4:5] op_sel:[0,0,1] op_sel_hi:[1,0,0]
	v_mov_b32_e32 v4, v41
	v_mov_b32_e32 v7, v5
	v_pk_mul_f32 v[4:5], v[14:15], v[4:5] op_sel_hi:[1,0]
	v_pk_add_f32 v[2:3], v[2:3], v[6:7]
	v_pk_fma_f32 v[6:7], v[14:15], v[40:41], v[4:5] op_sel:[0,0,1] op_sel_hi:[1,1,0] neg_lo:[0,0,1] neg_hi:[0,0,1]
	v_pk_fma_f32 v[4:5], v[14:15], v[40:41], v[4:5] op_sel:[0,0,1] op_sel_hi:[1,0,0]
	v_mov_b32_e32 v7, v5
	v_pk_add_f32 v[2:3], v[2:3], v[6:7]
	v_pk_add_f32 v[2:3], v[28:29], v[2:3] neg_lo:[0,1] neg_hi:[0,1]
	buffer_store_dword v3, off, s[0:3], 0 offset:316
	buffer_store_dword v2, off, s[0:3], 0 offset:312
	s_and_saveexec_b64 s[4:5], vcc
	s_cbranch_execz .LBB121_285
; %bb.284:
	buffer_load_dword v2, off, s[0:3], 0 offset:304
	buffer_load_dword v3, off, s[0:3], 0 offset:308
	v_mov_b32_e32 v4, 0
	buffer_store_dword v4, off, s[0:3], 0 offset:304
	buffer_store_dword v4, off, s[0:3], 0 offset:308
	s_waitcnt vmcnt(2)
	ds_write_b64 v175, v[2:3]
.LBB121_285:
	s_or_b64 exec, exec, s[4:5]
	s_waitcnt lgkmcnt(0)
	; wave barrier
	s_waitcnt lgkmcnt(0)
	buffer_load_dword v3, off, s[0:3], 0 offset:316
	buffer_load_dword v46, off, s[0:3], 0 offset:324
	;; [unrolled: 1-line block ×40, first 2 shown]
	v_mov_b32_e32 v2, 0
	ds_read2_b64 v[4:7], v2 offset0:97 offset1:98
	ds_read2_b64 v[8:11], v2 offset0:99 offset1:100
	;; [unrolled: 1-line block ×6, first 2 shown]
	v_cmp_lt_u32_e32 vcc, 37, v0
	s_waitcnt vmcnt(39) lgkmcnt(5)
	v_mul_f32_e32 v69, v4, v3
	s_waitcnt vmcnt(38)
	v_mul_f32_e32 v70, v6, v46
	v_mul_f32_e32 v3, v5, v3
	s_waitcnt vmcnt(37) lgkmcnt(4)
	v_mul_f32_e32 v71, v8, v48
	v_mul_f32_e32 v46, v7, v46
	s_waitcnt vmcnt(36)
	v_mul_f32_e32 v72, v10, v50
	s_waitcnt vmcnt(35) lgkmcnt(3)
	v_mul_f32_e32 v73, v12, v52
	s_waitcnt vmcnt(34)
	v_mul_f32_e32 v74, v14, v53
	s_waitcnt vmcnt(33) lgkmcnt(2)
	;; [unrolled: 4-line block ×3, first 2 shown]
	v_mul_f32_e32 v77, v20, v56
	s_waitcnt vmcnt(28)
	v_fmac_f32_e32 v69, v5, v51
	s_waitcnt vmcnt(27)
	v_fmac_f32_e32 v70, v7, v59
	v_fma_f32 v3, v4, v51, -v3
	v_add_f32_e32 v7, 0, v69
	s_waitcnt vmcnt(26)
	v_fmac_f32_e32 v71, v9, v60
	v_fma_f32 v4, v6, v59, -v46
	v_add_f32_e32 v3, 0, v3
	v_add_f32_e32 v7, v7, v70
	s_waitcnt vmcnt(25)
	v_fmac_f32_e32 v72, v11, v61
	v_add_f32_e32 v3, v3, v4
	v_add_f32_e32 v4, v7, v71
	s_waitcnt vmcnt(24)
	v_fmac_f32_e32 v73, v13, v62
	v_add_f32_e32 v4, v4, v72
	s_waitcnt vmcnt(23)
	v_fmac_f32_e32 v74, v15, v63
	v_add_f32_e32 v4, v4, v73
	s_waitcnt vmcnt(22)
	v_fmac_f32_e32 v75, v17, v64
	v_add_f32_e32 v4, v4, v74
	v_mul_f32_e32 v48, v9, v48
	s_waitcnt vmcnt(21)
	v_fmac_f32_e32 v76, v19, v65
	v_add_f32_e32 v4, v4, v75
	v_mul_f32_e32 v50, v11, v50
	s_waitcnt vmcnt(20)
	v_fmac_f32_e32 v77, v21, v66
	v_fma_f32 v5, v8, v60, -v48
	v_add_f32_e32 v4, v4, v76
	v_fma_f32 v6, v10, v61, -v50
	v_add_f32_e32 v3, v3, v5
	v_add_f32_e32 v51, v4, v77
	v_mul_f32_e32 v4, v13, v52
	v_add_f32_e32 v3, v3, v6
	v_fma_f32 v4, v12, v62, -v4
	v_add_f32_e32 v3, v3, v4
	v_mul_f32_e32 v4, v15, v53
	v_fma_f32 v4, v14, v63, -v4
	v_add_f32_e32 v3, v3, v4
	v_mul_f32_e32 v4, v17, v54
	;; [unrolled: 3-line block ×4, first 2 shown]
	v_fma_f32 v4, v20, v66, -v4
	s_waitcnt vmcnt(9)
	v_mov_b32_e32 v20, v37
	v_mul_f32_e32 v47, v22, v57
	v_add_f32_e32 v50, v3, v4
	v_mul_f32_e32 v3, v23, v57
	s_waitcnt lgkmcnt(0)
	v_pk_mul_f32 v[20:21], v[26:27], v[20:21] op_sel_hi:[1,0]
	v_mul_f32_e32 v49, v24, v58
	v_fmac_f32_e32 v47, v23, v67
	v_fma_f32 v46, v22, v67, -v3
	v_mul_f32_e32 v3, v25, v58
	ds_read2_b64 v[4:7], v2 offset0:109 offset1:110
	ds_read2_b64 v[8:11], v2 offset0:111 offset1:112
	;; [unrolled: 1-line block ×3, first 2 shown]
	ds_read_b64 v[16:17], v2 offset:920
	s_waitcnt vmcnt(8)
	v_pk_fma_f32 v[22:23], v[26:27], v[36:37], v[20:21] op_sel:[0,0,1] op_sel_hi:[1,1,0] neg_lo:[0,0,1] neg_hi:[0,0,1]
	v_pk_fma_f32 v[20:21], v[26:27], v[36:37], v[20:21] op_sel:[0,0,1] op_sel_hi:[1,0,0]
	v_fmac_f32_e32 v49, v25, v68
	v_fma_f32 v48, v24, v68, -v3
	v_pk_add_f32 v[18:19], v[50:51], v[46:47]
	v_mov_b32_e32 v20, v35
	v_pk_add_f32 v[18:19], v[18:19], v[48:49]
	v_mov_b32_e32 v23, v21
	s_waitcnt lgkmcnt(3)
	v_pk_mul_f32 v[20:21], v[4:5], v[20:21] op_sel_hi:[1,0]
	v_pk_add_f32 v[18:19], v[18:19], v[22:23]
	v_pk_fma_f32 v[22:23], v[4:5], v[34:35], v[20:21] op_sel:[0,0,1] op_sel_hi:[1,1,0] neg_lo:[0,0,1] neg_hi:[0,0,1]
	v_pk_fma_f32 v[4:5], v[4:5], v[34:35], v[20:21] op_sel:[0,0,1] op_sel_hi:[1,0,0]
	v_mov_b32_e32 v23, v5
	v_pk_add_f32 v[4:5], v[18:19], v[22:23]
	v_mov_b32_e32 v18, v33
	v_pk_mul_f32 v[18:19], v[6:7], v[18:19] op_sel_hi:[1,0]
	v_pk_fma_f32 v[20:21], v[6:7], v[32:33], v[18:19] op_sel:[0,0,1] op_sel_hi:[1,1,0] neg_lo:[0,0,1] neg_hi:[0,0,1]
	v_pk_fma_f32 v[6:7], v[6:7], v[32:33], v[18:19] op_sel:[0,0,1] op_sel_hi:[1,0,0]
	v_mov_b32_e32 v6, v31
	v_mov_b32_e32 v21, v7
	s_waitcnt lgkmcnt(2)
	v_pk_mul_f32 v[6:7], v[8:9], v[6:7] op_sel_hi:[1,0]
	v_pk_fma_f32 v[18:19], v[8:9], v[30:31], v[6:7] op_sel:[0,0,1] op_sel_hi:[1,1,0] neg_lo:[0,0,1] neg_hi:[0,0,1]
	v_pk_fma_f32 v[6:7], v[8:9], v[30:31], v[6:7] op_sel:[0,0,1] op_sel_hi:[1,0,0]
	s_waitcnt vmcnt(1)
	v_mov_b32_e32 v6, v45
	v_mov_b32_e32 v19, v7
	v_pk_mul_f32 v[6:7], v[10:11], v[6:7] op_sel_hi:[1,0]
	s_waitcnt vmcnt(0)
	v_pk_fma_f32 v[8:9], v[10:11], v[44:45], v[6:7] op_sel:[0,0,1] op_sel_hi:[1,1,0] neg_lo:[0,0,1] neg_hi:[0,0,1]
	v_pk_fma_f32 v[6:7], v[10:11], v[44:45], v[6:7] op_sel:[0,0,1] op_sel_hi:[1,0,0]
	v_pk_add_f32 v[4:5], v[4:5], v[20:21]
	v_mov_b32_e32 v6, v43
	v_pk_add_f32 v[4:5], v[4:5], v[18:19]
	v_mov_b32_e32 v9, v7
	s_waitcnt lgkmcnt(1)
	v_pk_mul_f32 v[6:7], v[12:13], v[6:7] op_sel_hi:[1,0]
	v_pk_add_f32 v[4:5], v[4:5], v[8:9]
	v_pk_fma_f32 v[8:9], v[12:13], v[42:43], v[6:7] op_sel:[0,0,1] op_sel_hi:[1,1,0] neg_lo:[0,0,1] neg_hi:[0,0,1]
	v_pk_fma_f32 v[6:7], v[12:13], v[42:43], v[6:7] op_sel:[0,0,1] op_sel_hi:[1,0,0]
	v_mov_b32_e32 v6, v41
	v_mov_b32_e32 v9, v7
	v_pk_mul_f32 v[6:7], v[14:15], v[6:7] op_sel_hi:[1,0]
	v_pk_add_f32 v[4:5], v[4:5], v[8:9]
	v_pk_fma_f32 v[8:9], v[14:15], v[40:41], v[6:7] op_sel:[0,0,1] op_sel_hi:[1,1,0] neg_lo:[0,0,1] neg_hi:[0,0,1]
	v_pk_fma_f32 v[6:7], v[14:15], v[40:41], v[6:7] op_sel:[0,0,1] op_sel_hi:[1,0,0]
	v_mov_b32_e32 v6, v39
	v_mov_b32_e32 v9, v7
	s_waitcnt lgkmcnt(0)
	v_pk_mul_f32 v[6:7], v[16:17], v[6:7] op_sel_hi:[1,0]
	v_pk_add_f32 v[4:5], v[4:5], v[8:9]
	v_pk_fma_f32 v[8:9], v[16:17], v[38:39], v[6:7] op_sel:[0,0,1] op_sel_hi:[1,1,0] neg_lo:[0,0,1] neg_hi:[0,0,1]
	v_pk_fma_f32 v[6:7], v[16:17], v[38:39], v[6:7] op_sel:[0,0,1] op_sel_hi:[1,0,0]
	v_mov_b32_e32 v9, v7
	v_pk_add_f32 v[4:5], v[4:5], v[8:9]
	v_pk_add_f32 v[4:5], v[28:29], v[4:5] neg_lo:[0,1] neg_hi:[0,1]
	buffer_store_dword v5, off, s[0:3], 0 offset:308
	buffer_store_dword v4, off, s[0:3], 0 offset:304
	s_and_saveexec_b64 s[4:5], vcc
	s_cbranch_execz .LBB121_287
; %bb.286:
	buffer_load_dword v4, off, s[0:3], 0 offset:296
	buffer_load_dword v5, off, s[0:3], 0 offset:300
	s_waitcnt vmcnt(0)
	ds_write_b64 v175, v[4:5]
	buffer_store_dword v2, off, s[0:3], 0 offset:296
	buffer_store_dword v2, off, s[0:3], 0 offset:300
.LBB121_287:
	s_or_b64 exec, exec, s[4:5]
	s_waitcnt lgkmcnt(0)
	; wave barrier
	s_waitcnt lgkmcnt(0)
	buffer_load_dword v3, off, s[0:3], 0 offset:308
	buffer_load_dword v46, off, s[0:3], 0 offset:316
	;; [unrolled: 1-line block ×26, first 2 shown]
	ds_read_b128 v[4:7], v2 offset:768
	ds_read_b128 v[8:11], v2 offset:784
	;; [unrolled: 1-line block ×6, first 2 shown]
	buffer_load_dword v31, off, s[0:3], 0 offset:420
	buffer_load_dword v30, off, s[0:3], 0 offset:416
	;; [unrolled: 1-line block ×16, first 2 shown]
	v_cmp_lt_u32_e32 vcc, 36, v0
	s_waitcnt vmcnt(41) lgkmcnt(5)
	v_mul_f32_e32 v71, v4, v3
	s_waitcnt vmcnt(40)
	v_mul_f32_e32 v72, v6, v46
	v_mul_f32_e32 v3, v5, v3
	;; [unrolled: 1-line block ×3, first 2 shown]
	s_waitcnt vmcnt(39) lgkmcnt(4)
	v_mul_f32_e32 v73, v8, v48
	s_waitcnt vmcnt(38)
	v_mul_f32_e32 v74, v10, v50
	s_waitcnt vmcnt(37) lgkmcnt(3)
	v_mul_f32_e32 v75, v12, v52
	s_waitcnt vmcnt(36)
	v_mul_f32_e32 v76, v14, v53
	;; [unrolled: 4-line block ×4, first 2 shown]
	s_waitcnt vmcnt(29)
	v_fmac_f32_e32 v71, v5, v51
	s_waitcnt vmcnt(28)
	v_fmac_f32_e32 v72, v7, v60
	v_fma_f32 v3, v4, v51, -v3
	v_fma_f32 v4, v6, v60, -v46
	v_add_f32_e32 v6, 0, v71
	s_waitcnt vmcnt(27)
	v_fmac_f32_e32 v73, v9, v61
	v_add_f32_e32 v3, 0, v3
	v_add_f32_e32 v6, v6, v72
	s_waitcnt vmcnt(26)
	v_fmac_f32_e32 v74, v11, v62
	v_add_f32_e32 v3, v3, v4
	;; [unrolled: 4-line block ×3, first 2 shown]
	s_waitcnt vmcnt(24)
	v_fmac_f32_e32 v76, v15, v64
	v_add_f32_e32 v4, v4, v75
	s_waitcnt vmcnt(23)
	v_fmac_f32_e32 v77, v17, v65
	v_add_f32_e32 v4, v4, v76
	s_waitcnt vmcnt(22)
	v_fmac_f32_e32 v78, v19, v66
	v_add_f32_e32 v4, v4, v77
	s_waitcnt vmcnt(21)
	v_fmac_f32_e32 v79, v21, v67
	v_add_f32_e32 v4, v4, v78
	v_mul_f32_e32 v48, v9, v48
	s_waitcnt vmcnt(20)
	v_fmac_f32_e32 v80, v23, v68
	v_add_f32_e32 v4, v4, v79
	v_fma_f32 v5, v8, v61, -v48
	v_add_f32_e32 v51, v4, v80
	v_mul_f32_e32 v4, v11, v50
	v_add_f32_e32 v3, v3, v5
	v_fma_f32 v4, v10, v62, -v4
	v_add_f32_e32 v3, v3, v4
	v_mul_f32_e32 v4, v13, v52
	v_fma_f32 v4, v12, v63, -v4
	v_add_f32_e32 v3, v3, v4
	v_mul_f32_e32 v4, v15, v53
	;; [unrolled: 3-line block ×6, first 2 shown]
	v_fma_f32 v4, v22, v68, -v4
	v_add_f32_e32 v50, v3, v4
	ds_read_b128 v[4:7], v2 offset:864
	ds_read_b128 v[8:11], v2 offset:880
	;; [unrolled: 1-line block ×4, first 2 shown]
	s_waitcnt vmcnt(11)
	v_mov_b32_e32 v20, v35
	s_waitcnt lgkmcnt(3)
	v_pk_mul_f32 v[20:21], v[4:5], v[20:21] op_sel_hi:[1,0]
	s_waitcnt vmcnt(10)
	v_pk_fma_f32 v[22:23], v[4:5], v[34:35], v[20:21] op_sel:[0,0,1] op_sel_hi:[1,1,0] neg_lo:[0,0,1] neg_hi:[0,0,1]
	v_pk_fma_f32 v[4:5], v[4:5], v[34:35], v[20:21] op_sel:[0,0,1] op_sel_hi:[1,0,0]
	v_mov_b32_e32 v4, v33
	v_mov_b32_e32 v23, v5
	v_pk_mul_f32 v[4:5], v[6:7], v[4:5] op_sel_hi:[1,0]
	v_mul_f32_e32 v47, v24, v58
	v_mul_f32_e32 v3, v25, v58
	v_pk_fma_f32 v[20:21], v[6:7], v[32:33], v[4:5] op_sel:[0,0,1] op_sel_hi:[1,1,0] neg_lo:[0,0,1] neg_hi:[0,0,1]
	v_pk_fma_f32 v[4:5], v[6:7], v[32:33], v[4:5] op_sel:[0,0,1] op_sel_hi:[1,0,0]
	v_mul_f32_e32 v49, v26, v59
	v_fmac_f32_e32 v47, v25, v69
	v_fma_f32 v46, v24, v69, -v3
	v_mul_f32_e32 v3, v27, v59
	v_mov_b32_e32 v4, v31
	v_fmac_f32_e32 v49, v27, v70
	v_fma_f32 v48, v26, v70, -v3
	v_pk_add_f32 v[2:3], v[50:51], v[46:47]
	v_mov_b32_e32 v21, v5
	s_waitcnt lgkmcnt(2)
	v_pk_mul_f32 v[4:5], v[8:9], v[4:5] op_sel_hi:[1,0]
	v_pk_add_f32 v[2:3], v[2:3], v[48:49]
	v_pk_fma_f32 v[6:7], v[8:9], v[30:31], v[4:5] op_sel:[0,0,1] op_sel_hi:[1,1,0] neg_lo:[0,0,1] neg_hi:[0,0,1]
	v_pk_fma_f32 v[4:5], v[8:9], v[30:31], v[4:5] op_sel:[0,0,1] op_sel_hi:[1,0,0]
	v_pk_add_f32 v[2:3], v[2:3], v[22:23]
	s_waitcnt vmcnt(3)
	v_mov_b32_e32 v4, v43
	v_pk_add_f32 v[2:3], v[2:3], v[20:21]
	v_mov_b32_e32 v7, v5
	v_pk_mul_f32 v[4:5], v[10:11], v[4:5] op_sel_hi:[1,0]
	v_pk_add_f32 v[2:3], v[2:3], v[6:7]
	s_waitcnt vmcnt(2)
	v_pk_fma_f32 v[6:7], v[10:11], v[42:43], v[4:5] op_sel:[0,0,1] op_sel_hi:[1,1,0] neg_lo:[0,0,1] neg_hi:[0,0,1]
	v_pk_fma_f32 v[4:5], v[10:11], v[42:43], v[4:5] op_sel:[0,0,1] op_sel_hi:[1,0,0]
	v_mov_b32_e32 v4, v41
	v_mov_b32_e32 v7, v5
	s_waitcnt lgkmcnt(1)
	v_pk_mul_f32 v[4:5], v[12:13], v[4:5] op_sel_hi:[1,0]
	v_pk_add_f32 v[2:3], v[2:3], v[6:7]
	v_pk_fma_f32 v[6:7], v[12:13], v[40:41], v[4:5] op_sel:[0,0,1] op_sel_hi:[1,1,0] neg_lo:[0,0,1] neg_hi:[0,0,1]
	v_pk_fma_f32 v[4:5], v[12:13], v[40:41], v[4:5] op_sel:[0,0,1] op_sel_hi:[1,0,0]
	v_mov_b32_e32 v4, v39
	v_mov_b32_e32 v7, v5
	v_pk_mul_f32 v[4:5], v[14:15], v[4:5] op_sel_hi:[1,0]
	v_pk_add_f32 v[2:3], v[2:3], v[6:7]
	v_pk_fma_f32 v[6:7], v[14:15], v[38:39], v[4:5] op_sel:[0,0,1] op_sel_hi:[1,1,0] neg_lo:[0,0,1] neg_hi:[0,0,1]
	v_pk_fma_f32 v[4:5], v[14:15], v[38:39], v[4:5] op_sel:[0,0,1] op_sel_hi:[1,0,0]
	v_mov_b32_e32 v4, v37
	v_mov_b32_e32 v7, v5
	s_waitcnt lgkmcnt(0)
	v_pk_mul_f32 v[4:5], v[16:17], v[4:5] op_sel_hi:[1,0]
	v_pk_add_f32 v[2:3], v[2:3], v[6:7]
	v_pk_fma_f32 v[6:7], v[16:17], v[36:37], v[4:5] op_sel:[0,0,1] op_sel_hi:[1,1,0] neg_lo:[0,0,1] neg_hi:[0,0,1]
	v_pk_fma_f32 v[4:5], v[16:17], v[36:37], v[4:5] op_sel:[0,0,1] op_sel_hi:[1,0,0]
	s_waitcnt vmcnt(1)
	v_mov_b32_e32 v4, v45
	v_mov_b32_e32 v7, v5
	v_pk_mul_f32 v[4:5], v[18:19], v[4:5] op_sel_hi:[1,0]
	v_pk_add_f32 v[2:3], v[2:3], v[6:7]
	s_waitcnt vmcnt(0)
	v_pk_fma_f32 v[6:7], v[18:19], v[44:45], v[4:5] op_sel:[0,0,1] op_sel_hi:[1,1,0] neg_lo:[0,0,1] neg_hi:[0,0,1]
	v_pk_fma_f32 v[4:5], v[18:19], v[44:45], v[4:5] op_sel:[0,0,1] op_sel_hi:[1,0,0]
	v_mov_b32_e32 v7, v5
	v_pk_add_f32 v[2:3], v[2:3], v[6:7]
	v_pk_add_f32 v[2:3], v[28:29], v[2:3] neg_lo:[0,1] neg_hi:[0,1]
	buffer_store_dword v3, off, s[0:3], 0 offset:300
	buffer_store_dword v2, off, s[0:3], 0 offset:296
	s_and_saveexec_b64 s[4:5], vcc
	s_cbranch_execz .LBB121_289
; %bb.288:
	buffer_load_dword v2, off, s[0:3], 0 offset:288
	buffer_load_dword v3, off, s[0:3], 0 offset:292
	v_mov_b32_e32 v4, 0
	buffer_store_dword v4, off, s[0:3], 0 offset:288
	buffer_store_dword v4, off, s[0:3], 0 offset:292
	s_waitcnt vmcnt(2)
	ds_write_b64 v175, v[2:3]
.LBB121_289:
	s_or_b64 exec, exec, s[4:5]
	s_waitcnt lgkmcnt(0)
	; wave barrier
	s_waitcnt lgkmcnt(0)
	buffer_load_dword v3, off, s[0:3], 0 offset:300
	buffer_load_dword v54, off, s[0:3], 0 offset:308
	;; [unrolled: 1-line block ×44, first 2 shown]
	v_mov_b32_e32 v2, 0
	ds_read2_b64 v[4:7], v2 offset0:95 offset1:96
	ds_read2_b64 v[8:11], v2 offset0:97 offset1:98
	;; [unrolled: 1-line block ×8, first 2 shown]
	v_cmp_lt_u32_e32 vcc, 35, v0
	s_waitcnt vmcnt(43) lgkmcnt(7)
	v_mul_f32_e32 v59, v4, v3
	v_mul_f32_e32 v3, v5, v3
	s_waitcnt vmcnt(42)
	v_mul_f32_e32 v82, v6, v54
	s_waitcnt vmcnt(41) lgkmcnt(6)
	v_mul_f32_e32 v83, v8, v56
	s_waitcnt vmcnt(40)
	v_mul_f32_e32 v84, v10, v58
	s_waitcnt vmcnt(39) lgkmcnt(5)
	;; [unrolled: 4-line block ×5, first 2 shown]
	v_mul_f32_e32 v91, v24, v66
	s_waitcnt vmcnt(32)
	v_mul_f32_e32 v55, v26, v67
	s_waitcnt vmcnt(30)
	v_fma_f32 v3, v4, v69, -v3
	v_mul_f32_e32 v4, v7, v54
	v_add_f32_e32 v3, 0, v3
	s_waitcnt vmcnt(29)
	v_fma_f32 v4, v6, v70, -v4
	v_add_f32_e32 v3, v3, v4
	v_mul_f32_e32 v4, v9, v56
	s_waitcnt vmcnt(28)
	v_fma_f32 v4, v8, v71, -v4
	v_add_f32_e32 v3, v3, v4
	v_mul_f32_e32 v4, v11, v58
	;; [unrolled: 4-line block ×4, first 2 shown]
	s_waitcnt vmcnt(25)
	v_fma_f32 v4, v14, v74, -v4
	v_fmac_f32_e32 v59, v5, v69
	v_add_f32_e32 v3, v3, v4
	v_mul_f32_e32 v4, v17, v62
	v_fmac_f32_e32 v82, v7, v70
	v_add_f32_e32 v5, 0, v59
	s_waitcnt vmcnt(24)
	v_fma_f32 v4, v16, v75, -v4
	v_fmac_f32_e32 v83, v9, v71
	v_add_f32_e32 v5, v5, v82
	v_add_f32_e32 v3, v3, v4
	v_mul_f32_e32 v4, v19, v63
	v_fmac_f32_e32 v84, v11, v72
	v_add_f32_e32 v5, v5, v83
	s_waitcnt vmcnt(23)
	v_fma_f32 v4, v18, v76, -v4
	v_fmac_f32_e32 v85, v13, v73
	v_add_f32_e32 v5, v5, v84
	;; [unrolled: 8-line block ×4, first 2 shown]
	v_add_f32_e32 v3, v3, v4
	v_mul_f32_e32 v4, v25, v66
	v_fmac_f32_e32 v90, v23, v78
	v_add_f32_e32 v5, v5, v89
	s_waitcnt vmcnt(20)
	v_fma_f32 v4, v24, v79, -v4
	s_waitcnt vmcnt(13)
	v_mov_b32_e32 v16, v41
	v_fmac_f32_e32 v91, v25, v79
	v_add_f32_e32 v5, v5, v90
	v_add_f32_e32 v58, v3, v4
	v_mul_f32_e32 v3, v27, v67
	s_waitcnt lgkmcnt(1)
	v_pk_mul_f32 v[16:17], v[30:31], v[16:17] op_sel_hi:[1,0]
	v_mul_f32_e32 v57, v28, v68
	v_fmac_f32_e32 v55, v27, v80
	v_add_f32_e32 v59, v5, v91
	v_fma_f32 v54, v26, v80, -v3
	v_mul_f32_e32 v3, v29, v68
	s_waitcnt vmcnt(12)
	v_pk_fma_f32 v[18:19], v[30:31], v[40:41], v[16:17] op_sel:[0,0,1] op_sel_hi:[1,1,0] neg_lo:[0,0,1] neg_hi:[0,0,1]
	v_pk_fma_f32 v[16:17], v[30:31], v[40:41], v[16:17] op_sel:[0,0,1] op_sel_hi:[1,0,0]
	v_fmac_f32_e32 v57, v29, v81
	v_fma_f32 v56, v28, v81, -v3
	v_pk_add_f32 v[14:15], v[58:59], v[54:55]
	v_mov_b32_e32 v16, v39
	v_pk_add_f32 v[14:15], v[14:15], v[56:57]
	v_mov_b32_e32 v19, v17
	s_waitcnt lgkmcnt(0)
	v_pk_mul_f32 v[16:17], v[32:33], v[16:17] op_sel_hi:[1,0]
	v_pk_add_f32 v[14:15], v[14:15], v[18:19]
	v_pk_fma_f32 v[18:19], v[32:33], v[38:39], v[16:17] op_sel:[0,0,1] op_sel_hi:[1,1,0] neg_lo:[0,0,1] neg_hi:[0,0,1]
	v_pk_fma_f32 v[16:17], v[32:33], v[38:39], v[16:17] op_sel:[0,0,1] op_sel_hi:[1,0,0]
	s_waitcnt vmcnt(5)
	v_mov_b32_e32 v16, v49
	ds_read2_b64 v[4:7], v2 offset0:111 offset1:112
	ds_read2_b64 v[8:11], v2 offset0:113 offset1:114
	ds_read_b64 v[12:13], v2 offset:920
	v_mov_b32_e32 v19, v17
	v_pk_mul_f32 v[16:17], v[34:35], v[16:17] op_sel_hi:[1,0]
	v_pk_add_f32 v[14:15], v[14:15], v[18:19]
	s_waitcnt vmcnt(4)
	v_pk_fma_f32 v[18:19], v[34:35], v[48:49], v[16:17] op_sel:[0,0,1] op_sel_hi:[1,1,0] neg_lo:[0,0,1] neg_hi:[0,0,1]
	v_pk_fma_f32 v[16:17], v[34:35], v[48:49], v[16:17] op_sel:[0,0,1] op_sel_hi:[1,0,0]
	v_mov_b32_e32 v16, v47
	v_mov_b32_e32 v19, v17
	s_waitcnt lgkmcnt(2)
	v_pk_mul_f32 v[16:17], v[4:5], v[16:17] op_sel_hi:[1,0]
	v_pk_add_f32 v[14:15], v[14:15], v[18:19]
	v_pk_fma_f32 v[18:19], v[4:5], v[46:47], v[16:17] op_sel:[0,0,1] op_sel_hi:[1,1,0] neg_lo:[0,0,1] neg_hi:[0,0,1]
	v_pk_fma_f32 v[4:5], v[4:5], v[46:47], v[16:17] op_sel:[0,0,1] op_sel_hi:[1,0,0]
	v_mov_b32_e32 v19, v5
	v_pk_add_f32 v[4:5], v[14:15], v[18:19]
	v_mov_b32_e32 v14, v45
	v_pk_mul_f32 v[14:15], v[6:7], v[14:15] op_sel_hi:[1,0]
	v_pk_fma_f32 v[16:17], v[6:7], v[44:45], v[14:15] op_sel:[0,0,1] op_sel_hi:[1,1,0] neg_lo:[0,0,1] neg_hi:[0,0,1]
	v_pk_fma_f32 v[6:7], v[6:7], v[44:45], v[14:15] op_sel:[0,0,1] op_sel_hi:[1,0,0]
	v_mov_b32_e32 v6, v43
	v_mov_b32_e32 v17, v7
	s_waitcnt lgkmcnt(1)
	v_pk_mul_f32 v[6:7], v[8:9], v[6:7] op_sel_hi:[1,0]
	v_pk_fma_f32 v[14:15], v[8:9], v[42:43], v[6:7] op_sel:[0,0,1] op_sel_hi:[1,1,0] neg_lo:[0,0,1] neg_hi:[0,0,1]
	v_pk_fma_f32 v[6:7], v[8:9], v[42:43], v[6:7] op_sel:[0,0,1] op_sel_hi:[1,0,0]
	s_waitcnt vmcnt(1)
	v_mov_b32_e32 v6, v53
	v_mov_b32_e32 v15, v7
	v_pk_mul_f32 v[6:7], v[10:11], v[6:7] op_sel_hi:[1,0]
	s_waitcnt vmcnt(0)
	v_pk_fma_f32 v[8:9], v[10:11], v[52:53], v[6:7] op_sel:[0,0,1] op_sel_hi:[1,1,0] neg_lo:[0,0,1] neg_hi:[0,0,1]
	v_pk_fma_f32 v[6:7], v[10:11], v[52:53], v[6:7] op_sel:[0,0,1] op_sel_hi:[1,0,0]
	v_pk_add_f32 v[4:5], v[4:5], v[16:17]
	v_mov_b32_e32 v6, v51
	v_pk_add_f32 v[4:5], v[4:5], v[14:15]
	v_mov_b32_e32 v9, v7
	s_waitcnt lgkmcnt(0)
	v_pk_mul_f32 v[6:7], v[12:13], v[6:7] op_sel_hi:[1,0]
	v_pk_add_f32 v[4:5], v[4:5], v[8:9]
	v_pk_fma_f32 v[8:9], v[12:13], v[50:51], v[6:7] op_sel:[0,0,1] op_sel_hi:[1,1,0] neg_lo:[0,0,1] neg_hi:[0,0,1]
	v_pk_fma_f32 v[6:7], v[12:13], v[50:51], v[6:7] op_sel:[0,0,1] op_sel_hi:[1,0,0]
	v_mov_b32_e32 v9, v7
	v_pk_add_f32 v[4:5], v[4:5], v[8:9]
	v_pk_add_f32 v[4:5], v[36:37], v[4:5] neg_lo:[0,1] neg_hi:[0,1]
	buffer_store_dword v5, off, s[0:3], 0 offset:292
	buffer_store_dword v4, off, s[0:3], 0 offset:288
	s_and_saveexec_b64 s[4:5], vcc
	s_cbranch_execz .LBB121_291
; %bb.290:
	buffer_load_dword v4, off, s[0:3], 0 offset:280
	buffer_load_dword v5, off, s[0:3], 0 offset:284
	s_waitcnt vmcnt(0)
	ds_write_b64 v175, v[4:5]
	buffer_store_dword v2, off, s[0:3], 0 offset:280
	buffer_store_dword v2, off, s[0:3], 0 offset:284
.LBB121_291:
	s_or_b64 exec, exec, s[4:5]
	s_waitcnt lgkmcnt(0)
	; wave barrier
	s_waitcnt lgkmcnt(0)
	buffer_load_dword v3, off, s[0:3], 0 offset:292
	buffer_load_dword v54, off, s[0:3], 0 offset:300
	buffer_load_dword v56, off, s[0:3], 0 offset:308
	buffer_load_dword v58, off, s[0:3], 0 offset:316
	buffer_load_dword v60, off, s[0:3], 0 offset:324
	buffer_load_dword v61, off, s[0:3], 0 offset:332
	buffer_load_dword v62, off, s[0:3], 0 offset:340
	buffer_load_dword v63, off, s[0:3], 0 offset:348
	buffer_load_dword v64, off, s[0:3], 0 offset:356
	buffer_load_dword v65, off, s[0:3], 0 offset:364
	buffer_load_dword v66, off, s[0:3], 0 offset:372
	buffer_load_dword v67, off, s[0:3], 0 offset:380
	buffer_load_dword v68, off, s[0:3], 0 offset:388
	buffer_load_dword v69, off, s[0:3], 0 offset:288
	buffer_load_dword v70, off, s[0:3], 0 offset:296
	buffer_load_dword v71, off, s[0:3], 0 offset:304
	buffer_load_dword v72, off, s[0:3], 0 offset:312
	buffer_load_dword v73, off, s[0:3], 0 offset:320
	buffer_load_dword v74, off, s[0:3], 0 offset:328
	buffer_load_dword v75, off, s[0:3], 0 offset:336
	buffer_load_dword v76, off, s[0:3], 0 offset:344
	buffer_load_dword v77, off, s[0:3], 0 offset:352
	buffer_load_dword v78, off, s[0:3], 0 offset:360
	buffer_load_dword v79, off, s[0:3], 0 offset:368
	buffer_load_dword v80, off, s[0:3], 0 offset:376
	buffer_load_dword v81, off, s[0:3], 0 offset:384
	buffer_load_dword v82, off, s[0:3], 0 offset:396
	buffer_load_dword v83, off, s[0:3], 0 offset:392
	buffer_load_dword v36, off, s[0:3], 0 offset:280
	buffer_load_dword v37, off, s[0:3], 0 offset:284
	ds_read_b128 v[4:7], v2 offset:752
	ds_read_b128 v[8:11], v2 offset:768
	;; [unrolled: 1-line block ×6, first 2 shown]
	buffer_load_dword v39, off, s[0:3], 0 offset:404
	buffer_load_dword v38, off, s[0:3], 0 offset:400
	ds_read_b128 v[28:31], v2 offset:848
	ds_read_b128 v[32:35], v2 offset:864
	buffer_load_dword v41, off, s[0:3], 0 offset:436
	buffer_load_dword v40, off, s[0:3], 0 offset:432
	;; [unrolled: 1-line block ×14, first 2 shown]
	v_cmp_lt_u32_e32 vcc, 34, v0
	s_waitcnt vmcnt(45) lgkmcnt(7)
	v_mul_f32_e32 v57, v4, v3
	v_mul_f32_e32 v3, v5, v3
	s_waitcnt vmcnt(44)
	v_mul_f32_e32 v59, v6, v54
	s_waitcnt vmcnt(43) lgkmcnt(6)
	v_mul_f32_e32 v84, v8, v56
	s_waitcnt vmcnt(42)
	v_mul_f32_e32 v85, v10, v58
	s_waitcnt vmcnt(41) lgkmcnt(5)
	;; [unrolled: 4-line block ×5, first 2 shown]
	v_mul_f32_e32 v92, v24, v66
	s_waitcnt vmcnt(34)
	v_mul_f32_e32 v93, v26, v67
	s_waitcnt vmcnt(32)
	v_fma_f32 v3, v4, v69, -v3
	v_mul_f32_e32 v4, v7, v54
	v_add_f32_e32 v3, 0, v3
	s_waitcnt vmcnt(31)
	v_fma_f32 v4, v6, v70, -v4
	v_add_f32_e32 v3, v3, v4
	v_mul_f32_e32 v4, v9, v56
	s_waitcnt vmcnt(30)
	v_fma_f32 v4, v8, v71, -v4
	v_add_f32_e32 v3, v3, v4
	v_mul_f32_e32 v4, v11, v58
	;; [unrolled: 4-line block ×5, first 2 shown]
	v_fmac_f32_e32 v57, v5, v69
	s_waitcnt vmcnt(26)
	v_fma_f32 v4, v16, v75, -v4
	v_fmac_f32_e32 v59, v7, v70
	v_add_f32_e32 v57, 0, v57
	v_add_f32_e32 v3, v3, v4
	v_mul_f32_e32 v4, v19, v63
	v_fmac_f32_e32 v84, v9, v71
	v_add_f32_e32 v57, v57, v59
	s_waitcnt vmcnt(25)
	v_fma_f32 v4, v18, v76, -v4
	v_fmac_f32_e32 v85, v11, v72
	v_add_f32_e32 v57, v57, v84
	v_add_f32_e32 v3, v3, v4
	v_mul_f32_e32 v4, v21, v64
	v_fmac_f32_e32 v86, v13, v73
	v_add_f32_e32 v57, v57, v85
	;; [unrolled: 8-line block ×5, first 2 shown]
	s_waitcnt vmcnt(21)
	v_fma_f32 v4, v26, v80, -v4
	s_waitcnt vmcnt(15)
	v_mov_b32_e32 v16, v39
	s_waitcnt lgkmcnt(1)
	v_mul_f32_e32 v55, v28, v68
	v_fmac_f32_e32 v93, v27, v80
	v_add_f32_e32 v57, v57, v92
	v_add_f32_e32 v56, v3, v4
	v_mul_f32_e32 v3, v29, v68
	s_waitcnt lgkmcnt(0)
	v_pk_mul_f32 v[16:17], v[32:33], v[16:17] op_sel_hi:[1,0]
	v_fmac_f32_e32 v55, v29, v81
	v_add_f32_e32 v57, v57, v93
	v_mul_f32_e32 v59, v30, v82
	v_fma_f32 v54, v28, v81, -v3
	v_mul_f32_e32 v3, v31, v82
	s_waitcnt vmcnt(14)
	v_pk_fma_f32 v[18:19], v[32:33], v[38:39], v[16:17] op_sel:[0,0,1] op_sel_hi:[1,1,0] neg_lo:[0,0,1] neg_hi:[0,0,1]
	v_pk_fma_f32 v[16:17], v[32:33], v[38:39], v[16:17] op_sel:[0,0,1] op_sel_hi:[1,0,0]
	v_fmac_f32_e32 v59, v31, v83
	v_fma_f32 v58, v30, v83, -v3
	ds_read_b128 v[4:7], v2 offset:880
	ds_read_b128 v[8:11], v2 offset:896
	;; [unrolled: 1-line block ×3, first 2 shown]
	v_pk_add_f32 v[2:3], v[56:57], v[54:55]
	s_waitcnt vmcnt(7)
	v_mov_b32_e32 v16, v47
	v_pk_add_f32 v[2:3], v[2:3], v[58:59]
	v_mov_b32_e32 v19, v17
	v_pk_mul_f32 v[16:17], v[34:35], v[16:17] op_sel_hi:[1,0]
	v_pk_add_f32 v[2:3], v[2:3], v[18:19]
	s_waitcnt vmcnt(6)
	v_pk_fma_f32 v[18:19], v[34:35], v[46:47], v[16:17] op_sel:[0,0,1] op_sel_hi:[1,1,0] neg_lo:[0,0,1] neg_hi:[0,0,1]
	v_pk_fma_f32 v[16:17], v[34:35], v[46:47], v[16:17] op_sel:[0,0,1] op_sel_hi:[1,0,0]
	v_mov_b32_e32 v16, v45
	v_mov_b32_e32 v19, v17
	s_waitcnt lgkmcnt(2)
	v_pk_mul_f32 v[16:17], v[4:5], v[16:17] op_sel_hi:[1,0]
	v_pk_add_f32 v[2:3], v[2:3], v[18:19]
	v_pk_fma_f32 v[18:19], v[4:5], v[44:45], v[16:17] op_sel:[0,0,1] op_sel_hi:[1,1,0] neg_lo:[0,0,1] neg_hi:[0,0,1]
	v_pk_fma_f32 v[4:5], v[4:5], v[44:45], v[16:17] op_sel:[0,0,1] op_sel_hi:[1,0,0]
	v_mov_b32_e32 v4, v43
	v_mov_b32_e32 v19, v5
	v_pk_mul_f32 v[4:5], v[6:7], v[4:5] op_sel_hi:[1,0]
	v_pk_fma_f32 v[16:17], v[6:7], v[42:43], v[4:5] op_sel:[0,0,1] op_sel_hi:[1,1,0] neg_lo:[0,0,1] neg_hi:[0,0,1]
	v_pk_fma_f32 v[4:5], v[6:7], v[42:43], v[4:5] op_sel:[0,0,1] op_sel_hi:[1,0,0]
	v_mov_b32_e32 v4, v41
	v_mov_b32_e32 v17, v5
	s_waitcnt lgkmcnt(1)
	v_pk_mul_f32 v[4:5], v[8:9], v[4:5] op_sel_hi:[1,0]
	v_pk_fma_f32 v[6:7], v[8:9], v[40:41], v[4:5] op_sel:[0,0,1] op_sel_hi:[1,1,0] neg_lo:[0,0,1] neg_hi:[0,0,1]
	v_pk_fma_f32 v[4:5], v[8:9], v[40:41], v[4:5] op_sel:[0,0,1] op_sel_hi:[1,0,0]
	v_pk_add_f32 v[2:3], v[2:3], v[18:19]
	s_waitcnt vmcnt(1)
	v_mov_b32_e32 v4, v53
	v_pk_add_f32 v[2:3], v[2:3], v[16:17]
	v_mov_b32_e32 v7, v5
	v_pk_mul_f32 v[4:5], v[10:11], v[4:5] op_sel_hi:[1,0]
	v_pk_add_f32 v[2:3], v[2:3], v[6:7]
	s_waitcnt vmcnt(0)
	v_pk_fma_f32 v[6:7], v[10:11], v[52:53], v[4:5] op_sel:[0,0,1] op_sel_hi:[1,1,0] neg_lo:[0,0,1] neg_hi:[0,0,1]
	v_pk_fma_f32 v[4:5], v[10:11], v[52:53], v[4:5] op_sel:[0,0,1] op_sel_hi:[1,0,0]
	v_mov_b32_e32 v4, v51
	v_mov_b32_e32 v7, v5
	s_waitcnt lgkmcnt(0)
	v_pk_mul_f32 v[4:5], v[12:13], v[4:5] op_sel_hi:[1,0]
	v_pk_add_f32 v[2:3], v[2:3], v[6:7]
	v_pk_fma_f32 v[6:7], v[12:13], v[50:51], v[4:5] op_sel:[0,0,1] op_sel_hi:[1,1,0] neg_lo:[0,0,1] neg_hi:[0,0,1]
	v_pk_fma_f32 v[4:5], v[12:13], v[50:51], v[4:5] op_sel:[0,0,1] op_sel_hi:[1,0,0]
	v_mov_b32_e32 v4, v49
	v_mov_b32_e32 v7, v5
	v_pk_mul_f32 v[4:5], v[14:15], v[4:5] op_sel_hi:[1,0]
	v_pk_add_f32 v[2:3], v[2:3], v[6:7]
	v_pk_fma_f32 v[6:7], v[14:15], v[48:49], v[4:5] op_sel:[0,0,1] op_sel_hi:[1,1,0] neg_lo:[0,0,1] neg_hi:[0,0,1]
	v_pk_fma_f32 v[4:5], v[14:15], v[48:49], v[4:5] op_sel:[0,0,1] op_sel_hi:[1,0,0]
	v_mov_b32_e32 v7, v5
	v_pk_add_f32 v[2:3], v[2:3], v[6:7]
	v_pk_add_f32 v[2:3], v[36:37], v[2:3] neg_lo:[0,1] neg_hi:[0,1]
	buffer_store_dword v3, off, s[0:3], 0 offset:284
	buffer_store_dword v2, off, s[0:3], 0 offset:280
	s_and_saveexec_b64 s[4:5], vcc
	s_cbranch_execz .LBB121_293
; %bb.292:
	buffer_load_dword v2, off, s[0:3], 0 offset:272
	buffer_load_dword v3, off, s[0:3], 0 offset:276
	v_mov_b32_e32 v4, 0
	buffer_store_dword v4, off, s[0:3], 0 offset:272
	buffer_store_dword v4, off, s[0:3], 0 offset:276
	s_waitcnt vmcnt(2)
	ds_write_b64 v175, v[2:3]
.LBB121_293:
	s_or_b64 exec, exec, s[4:5]
	s_waitcnt lgkmcnt(0)
	; wave barrier
	s_waitcnt lgkmcnt(0)
	buffer_load_dword v3, off, s[0:3], 0 offset:284
	buffer_load_dword v52, off, s[0:3], 0 offset:292
	;; [unrolled: 1-line block ×32, first 2 shown]
	v_mov_b32_e32 v2, 0
	buffer_load_dword v39, off, s[0:3], 0 offset:428
	buffer_load_dword v38, off, s[0:3], 0 offset:424
	;; [unrolled: 1-line block ×13, first 2 shown]
	ds_read2_b64 v[4:7], v2 offset0:93 offset1:94
	ds_read2_b64 v[8:11], v2 offset0:95 offset1:96
	;; [unrolled: 1-line block ×8, first 2 shown]
	v_cmp_lt_u32_e32 vcc, 33, v0
	s_waitcnt vmcnt(44) lgkmcnt(7)
	v_mul_f32_e32 v46, v4, v3
	s_waitcnt vmcnt(43)
	v_mul_f32_e32 v53, v6, v52
	s_waitcnt vmcnt(42) lgkmcnt(6)
	v_mul_f32_e32 v54, v8, v56
	s_waitcnt vmcnt(41)
	v_mul_f32_e32 v55, v10, v58
	;; [unrolled: 4-line block ×6, first 2 shown]
	s_waitcnt vmcnt(32) lgkmcnt(1)
	v_mul_f32_e32 v92, v28, v68
	s_waitcnt vmcnt(31)
	v_fmac_f32_e32 v46, v5, v69
	s_waitcnt vmcnt(30)
	v_fmac_f32_e32 v53, v7, v70
	v_add_f32_e32 v46, 0, v46
	s_waitcnt vmcnt(29)
	v_fmac_f32_e32 v54, v9, v71
	v_add_f32_e32 v46, v46, v53
	;; [unrolled: 3-line block ×12, first 2 shown]
	v_add_f32_e32 v53, v46, v92
	buffer_load_dword v55, off, s[0:3], 0 offset:444
	buffer_load_dword v54, off, s[0:3], 0 offset:440
	;; [unrolled: 1-line block ×3, first 2 shown]
	v_mul_f32_e32 v3, v5, v3
	v_fma_f32 v3, v4, v69, -v3
	v_mul_f32_e32 v4, v7, v52
	v_add_f32_e32 v3, 0, v3
	v_fma_f32 v4, v6, v70, -v4
	v_add_f32_e32 v3, v3, v4
	v_mul_f32_e32 v4, v9, v56
	v_fma_f32 v4, v8, v71, -v4
	v_add_f32_e32 v3, v3, v4
	v_mul_f32_e32 v4, v11, v58
	;; [unrolled: 3-line block ×11, first 2 shown]
	v_fma_f32 v4, v28, v81, -v4
	s_waitcnt vmcnt(9)
	v_mov_b32_e32 v20, v45
	v_mul_f32_e32 v57, v30, v82
	v_add_f32_e32 v52, v3, v4
	v_mul_f32_e32 v3, v31, v82
	s_waitcnt lgkmcnt(0)
	v_pk_mul_f32 v[20:21], v[34:35], v[20:21] op_sel_hi:[1,0]
	v_fmac_f32_e32 v57, v31, v83
	v_mul_f32_e32 v59, v32, v84
	v_fma_f32 v56, v30, v83, -v3
	v_mul_f32_e32 v3, v33, v84
	ds_read2_b64 v[4:7], v2 offset0:109 offset1:110
	ds_read2_b64 v[8:11], v2 offset0:111 offset1:112
	;; [unrolled: 1-line block ×3, first 2 shown]
	ds_read_b64 v[16:17], v2 offset:920
	s_waitcnt vmcnt(8)
	v_pk_fma_f32 v[22:23], v[34:35], v[44:45], v[20:21] op_sel:[0,0,1] op_sel_hi:[1,1,0] neg_lo:[0,0,1] neg_hi:[0,0,1]
	v_pk_fma_f32 v[20:21], v[34:35], v[44:45], v[20:21] op_sel:[0,0,1] op_sel_hi:[1,0,0]
	v_fmac_f32_e32 v59, v33, v85
	v_fma_f32 v58, v32, v85, -v3
	v_pk_add_f32 v[18:19], v[52:53], v[56:57]
	v_mov_b32_e32 v20, v43
	v_pk_add_f32 v[18:19], v[18:19], v[58:59]
	v_mov_b32_e32 v23, v21
	s_waitcnt lgkmcnt(3)
	v_pk_mul_f32 v[20:21], v[4:5], v[20:21] op_sel_hi:[1,0]
	v_pk_add_f32 v[18:19], v[18:19], v[22:23]
	v_pk_fma_f32 v[22:23], v[4:5], v[42:43], v[20:21] op_sel:[0,0,1] op_sel_hi:[1,1,0] neg_lo:[0,0,1] neg_hi:[0,0,1]
	v_pk_fma_f32 v[4:5], v[4:5], v[42:43], v[20:21] op_sel:[0,0,1] op_sel_hi:[1,0,0]
	v_mov_b32_e32 v23, v5
	v_pk_add_f32 v[4:5], v[18:19], v[22:23]
	v_mov_b32_e32 v18, v41
	v_pk_mul_f32 v[18:19], v[6:7], v[18:19] op_sel_hi:[1,0]
	v_pk_fma_f32 v[20:21], v[6:7], v[40:41], v[18:19] op_sel:[0,0,1] op_sel_hi:[1,1,0] neg_lo:[0,0,1] neg_hi:[0,0,1]
	v_pk_fma_f32 v[6:7], v[6:7], v[40:41], v[18:19] op_sel:[0,0,1] op_sel_hi:[1,0,0]
	v_mov_b32_e32 v6, v39
	v_mov_b32_e32 v21, v7
	s_waitcnt lgkmcnt(2)
	v_pk_mul_f32 v[6:7], v[8:9], v[6:7] op_sel_hi:[1,0]
	v_pk_fma_f32 v[18:19], v[8:9], v[38:39], v[6:7] op_sel:[0,0,1] op_sel_hi:[1,1,0] neg_lo:[0,0,1] neg_hi:[0,0,1]
	v_pk_fma_f32 v[6:7], v[8:9], v[38:39], v[6:7] op_sel:[0,0,1] op_sel_hi:[1,0,0]
	s_waitcnt vmcnt(7)
	v_mov_b32_e32 v6, v47
	v_mov_b32_e32 v19, v7
	v_pk_mul_f32 v[6:7], v[10:11], v[6:7] op_sel_hi:[1,0]
	v_pk_add_f32 v[4:5], v[4:5], v[20:21]
	v_pk_add_f32 v[4:5], v[4:5], v[18:19]
	s_waitcnt vmcnt(0)
	v_pk_fma_f32 v[8:9], v[10:11], v[46:47], v[6:7] op_sel:[0,0,1] op_sel_hi:[1,1,0] neg_lo:[0,0,1] neg_hi:[0,0,1]
	v_pk_fma_f32 v[6:7], v[10:11], v[46:47], v[6:7] op_sel:[0,0,1] op_sel_hi:[1,0,0]
	v_mov_b32_e32 v6, v55
	v_mov_b32_e32 v9, v7
	s_waitcnt lgkmcnt(1)
	v_pk_mul_f32 v[6:7], v[12:13], v[6:7] op_sel_hi:[1,0]
	v_pk_add_f32 v[4:5], v[4:5], v[8:9]
	v_pk_fma_f32 v[8:9], v[12:13], v[54:55], v[6:7] op_sel:[0,0,1] op_sel_hi:[1,1,0] neg_lo:[0,0,1] neg_hi:[0,0,1]
	v_pk_fma_f32 v[6:7], v[12:13], v[54:55], v[6:7] op_sel:[0,0,1] op_sel_hi:[1,0,0]
	v_mov_b32_e32 v6, v51
	v_mov_b32_e32 v9, v7
	v_pk_mul_f32 v[6:7], v[14:15], v[6:7] op_sel_hi:[1,0]
	v_pk_add_f32 v[4:5], v[4:5], v[8:9]
	v_pk_fma_f32 v[8:9], v[14:15], v[50:51], v[6:7] op_sel:[0,0,1] op_sel_hi:[1,1,0] neg_lo:[0,0,1] neg_hi:[0,0,1]
	v_pk_fma_f32 v[6:7], v[14:15], v[50:51], v[6:7] op_sel:[0,0,1] op_sel_hi:[1,0,0]
	v_mov_b32_e32 v6, v49
	v_mov_b32_e32 v9, v7
	s_waitcnt lgkmcnt(0)
	v_pk_mul_f32 v[6:7], v[16:17], v[6:7] op_sel_hi:[1,0]
	v_pk_add_f32 v[4:5], v[4:5], v[8:9]
	v_pk_fma_f32 v[8:9], v[16:17], v[48:49], v[6:7] op_sel:[0,0,1] op_sel_hi:[1,1,0] neg_lo:[0,0,1] neg_hi:[0,0,1]
	v_pk_fma_f32 v[6:7], v[16:17], v[48:49], v[6:7] op_sel:[0,0,1] op_sel_hi:[1,0,0]
	v_mov_b32_e32 v9, v7
	v_pk_add_f32 v[4:5], v[4:5], v[8:9]
	v_pk_add_f32 v[4:5], v[36:37], v[4:5] neg_lo:[0,1] neg_hi:[0,1]
	buffer_store_dword v5, off, s[0:3], 0 offset:276
	buffer_store_dword v4, off, s[0:3], 0 offset:272
	s_and_saveexec_b64 s[4:5], vcc
	s_cbranch_execz .LBB121_295
; %bb.294:
	buffer_load_dword v4, off, s[0:3], 0 offset:264
	buffer_load_dword v5, off, s[0:3], 0 offset:268
	s_waitcnt vmcnt(0)
	ds_write_b64 v175, v[4:5]
	buffer_store_dword v2, off, s[0:3], 0 offset:264
	buffer_store_dword v2, off, s[0:3], 0 offset:268
.LBB121_295:
	s_or_b64 exec, exec, s[4:5]
	s_waitcnt lgkmcnt(0)
	; wave barrier
	s_waitcnt lgkmcnt(0)
	buffer_load_dword v3, off, s[0:3], 0 offset:276
	buffer_load_dword v52, off, s[0:3], 0 offset:284
	;; [unrolled: 1-line block ×34, first 2 shown]
	ds_read_b128 v[4:7], v2 offset:736
	ds_read_b128 v[8:11], v2 offset:752
	;; [unrolled: 1-line block ×8, first 2 shown]
	buffer_load_dword v39, off, s[0:3], 0 offset:420
	buffer_load_dword v38, off, s[0:3], 0 offset:416
	;; [unrolled: 1-line block ×9, first 2 shown]
	v_cmp_lt_u32_e32 vcc, 32, v0
	s_waitcnt vmcnt(42) lgkmcnt(7)
	v_mul_f32_e32 v44, v4, v3
	s_waitcnt vmcnt(41)
	v_mul_f32_e32 v48, v6, v52
	s_waitcnt vmcnt(40) lgkmcnt(6)
	v_mul_f32_e32 v49, v8, v54
	s_waitcnt vmcnt(39)
	v_mul_f32_e32 v50, v10, v56
	;; [unrolled: 4-line block ×6, first 2 shown]
	s_waitcnt vmcnt(30) lgkmcnt(1)
	v_mul_f32_e32 v90, v28, v68
	v_mul_f32_e32 v3, v5, v3
	s_waitcnt vmcnt(28)
	v_fmac_f32_e32 v44, v5, v70
	s_waitcnt vmcnt(27)
	v_fmac_f32_e32 v48, v7, v71
	v_add_f32_e32 v44, 0, v44
	s_waitcnt vmcnt(26)
	v_fmac_f32_e32 v49, v9, v72
	v_add_f32_e32 v44, v44, v48
	;; [unrolled: 3-line block ×12, first 2 shown]
	v_add_f32_e32 v53, v44, v90
	buffer_load_dword v49, off, s[0:3], 0 offset:444
	buffer_load_dword v48, off, s[0:3], 0 offset:440
	;; [unrolled: 1-line block ×7, first 2 shown]
	v_fma_f32 v3, v4, v70, -v3
	v_mul_f32_e32 v4, v7, v52
	v_add_f32_e32 v3, 0, v3
	v_fma_f32 v4, v6, v71, -v4
	v_add_f32_e32 v3, v3, v4
	v_mul_f32_e32 v4, v9, v54
	v_fma_f32 v4, v8, v72, -v4
	v_add_f32_e32 v3, v3, v4
	v_mul_f32_e32 v4, v11, v56
	;; [unrolled: 3-line block ×12, first 2 shown]
	s_waitcnt vmcnt(22)
	v_fma_f32 v4, v30, v83, -v4
	v_add_f32_e32 v52, v3, v4
	ds_read_b128 v[4:7], v2 offset:864
	ds_read_b128 v[8:11], v2 offset:880
	;; [unrolled: 1-line block ×4, first 2 shown]
	s_waitcnt vmcnt(11)
	v_mov_b32_e32 v20, v43
	s_waitcnt lgkmcnt(3)
	v_pk_mul_f32 v[20:21], v[4:5], v[20:21] op_sel_hi:[1,0]
	s_waitcnt vmcnt(10)
	v_pk_fma_f32 v[22:23], v[4:5], v[42:43], v[20:21] op_sel:[0,0,1] op_sel_hi:[1,1,0] neg_lo:[0,0,1] neg_hi:[0,0,1]
	v_pk_fma_f32 v[4:5], v[4:5], v[42:43], v[20:21] op_sel:[0,0,1] op_sel_hi:[1,0,0]
	v_mov_b32_e32 v4, v41
	v_mul_f32_e32 v91, v30, v69
	v_mov_b32_e32 v23, v5
	v_pk_mul_f32 v[4:5], v[6:7], v[4:5] op_sel_hi:[1,0]
	v_fmac_f32_e32 v91, v31, v83
	v_mul_f32_e32 v55, v32, v84
	v_mul_f32_e32 v3, v33, v84
	v_pk_fma_f32 v[20:21], v[6:7], v[40:41], v[4:5] op_sel:[0,0,1] op_sel_hi:[1,1,0] neg_lo:[0,0,1] neg_hi:[0,0,1]
	v_pk_fma_f32 v[4:5], v[6:7], v[40:41], v[4:5] op_sel:[0,0,1] op_sel_hi:[1,0,0]
	v_add_f32_e32 v53, v53, v91
	v_fmac_f32_e32 v55, v33, v85
	v_mul_f32_e32 v57, v34, v86
	v_fma_f32 v54, v32, v85, -v3
	v_mul_f32_e32 v3, v35, v86
	v_mov_b32_e32 v4, v39
	v_fmac_f32_e32 v57, v35, v87
	v_fma_f32 v56, v34, v87, -v3
	v_pk_add_f32 v[2:3], v[52:53], v[54:55]
	v_mov_b32_e32 v21, v5
	s_waitcnt lgkmcnt(2)
	v_pk_mul_f32 v[4:5], v[8:9], v[4:5] op_sel_hi:[1,0]
	v_pk_add_f32 v[2:3], v[2:3], v[56:57]
	v_pk_fma_f32 v[6:7], v[8:9], v[38:39], v[4:5] op_sel:[0,0,1] op_sel_hi:[1,1,0] neg_lo:[0,0,1] neg_hi:[0,0,1]
	v_pk_fma_f32 v[4:5], v[8:9], v[38:39], v[4:5] op_sel:[0,0,1] op_sel_hi:[1,0,0]
	v_pk_add_f32 v[2:3], v[2:3], v[22:23]
	s_waitcnt vmcnt(9)
	v_mov_b32_e32 v4, v45
	v_pk_add_f32 v[2:3], v[2:3], v[20:21]
	v_mov_b32_e32 v7, v5
	v_pk_mul_f32 v[4:5], v[10:11], v[4:5] op_sel_hi:[1,0]
	v_pk_add_f32 v[2:3], v[2:3], v[6:7]
	s_waitcnt vmcnt(2)
	v_pk_fma_f32 v[6:7], v[10:11], v[44:45], v[4:5] op_sel:[0,0,1] op_sel_hi:[1,1,0] neg_lo:[0,0,1] neg_hi:[0,0,1]
	v_pk_fma_f32 v[4:5], v[10:11], v[44:45], v[4:5] op_sel:[0,0,1] op_sel_hi:[1,0,0]
	v_mov_b32_e32 v4, v51
	v_mov_b32_e32 v7, v5
	s_waitcnt lgkmcnt(1)
	v_pk_mul_f32 v[4:5], v[12:13], v[4:5] op_sel_hi:[1,0]
	v_pk_add_f32 v[2:3], v[2:3], v[6:7]
	v_pk_fma_f32 v[6:7], v[12:13], v[50:51], v[4:5] op_sel:[0,0,1] op_sel_hi:[1,1,0] neg_lo:[0,0,1] neg_hi:[0,0,1]
	v_pk_fma_f32 v[4:5], v[12:13], v[50:51], v[4:5] op_sel:[0,0,1] op_sel_hi:[1,0,0]
	v_mov_b32_e32 v4, v49
	v_mov_b32_e32 v7, v5
	v_pk_mul_f32 v[4:5], v[14:15], v[4:5] op_sel_hi:[1,0]
	v_pk_add_f32 v[2:3], v[2:3], v[6:7]
	v_pk_fma_f32 v[6:7], v[14:15], v[48:49], v[4:5] op_sel:[0,0,1] op_sel_hi:[1,1,0] neg_lo:[0,0,1] neg_hi:[0,0,1]
	v_pk_fma_f32 v[4:5], v[14:15], v[48:49], v[4:5] op_sel:[0,0,1] op_sel_hi:[1,0,0]
	v_mov_b32_e32 v4, v47
	v_mov_b32_e32 v7, v5
	s_waitcnt lgkmcnt(0)
	v_pk_mul_f32 v[4:5], v[16:17], v[4:5] op_sel_hi:[1,0]
	v_pk_add_f32 v[2:3], v[2:3], v[6:7]
	v_pk_fma_f32 v[6:7], v[16:17], v[46:47], v[4:5] op_sel:[0,0,1] op_sel_hi:[1,1,0] neg_lo:[0,0,1] neg_hi:[0,0,1]
	v_pk_fma_f32 v[4:5], v[16:17], v[46:47], v[4:5] op_sel:[0,0,1] op_sel_hi:[1,0,0]
	s_waitcnt vmcnt(1)
	v_mov_b32_e32 v4, v59
	v_mov_b32_e32 v7, v5
	v_pk_mul_f32 v[4:5], v[18:19], v[4:5] op_sel_hi:[1,0]
	v_pk_add_f32 v[2:3], v[2:3], v[6:7]
	s_waitcnt vmcnt(0)
	v_pk_fma_f32 v[6:7], v[18:19], v[58:59], v[4:5] op_sel:[0,0,1] op_sel_hi:[1,1,0] neg_lo:[0,0,1] neg_hi:[0,0,1]
	v_pk_fma_f32 v[4:5], v[18:19], v[58:59], v[4:5] op_sel:[0,0,1] op_sel_hi:[1,0,0]
	v_mov_b32_e32 v7, v5
	v_pk_add_f32 v[2:3], v[2:3], v[6:7]
	v_pk_add_f32 v[2:3], v[36:37], v[2:3] neg_lo:[0,1] neg_hi:[0,1]
	buffer_store_dword v3, off, s[0:3], 0 offset:268
	buffer_store_dword v2, off, s[0:3], 0 offset:264
	s_and_saveexec_b64 s[4:5], vcc
	s_cbranch_execz .LBB121_297
; %bb.296:
	buffer_load_dword v2, off, s[0:3], 0 offset:256
	buffer_load_dword v3, off, s[0:3], 0 offset:260
	v_mov_b32_e32 v4, 0
	buffer_store_dword v4, off, s[0:3], 0 offset:256
	buffer_store_dword v4, off, s[0:3], 0 offset:260
	s_waitcnt vmcnt(2)
	ds_write_b64 v175, v[2:3]
.LBB121_297:
	s_or_b64 exec, exec, s[4:5]
	s_waitcnt lgkmcnt(0)
	; wave barrier
	s_waitcnt lgkmcnt(0)
	buffer_load_dword v5, off, s[0:3], 0 offset:268
	buffer_load_dword v58, off, s[0:3], 0 offset:276
	;; [unrolled: 1-line block ×36, first 2 shown]
	v_mov_b32_e32 v4, 0
	buffer_load_dword v47, off, s[0:3], 0 offset:412
	buffer_load_dword v46, off, s[0:3], 0 offset:408
	;; [unrolled: 1-line block ×5, first 2 shown]
	ds_read2_b64 v[6:9], v4 offset0:91 offset1:92
	ds_read2_b64 v[10:13], v4 offset0:93 offset1:94
	;; [unrolled: 1-line block ×8, first 2 shown]
	v_cmp_lt_u32_e32 vcc, 31, v0
	s_waitcnt vmcnt(40) lgkmcnt(7)
	v_mul_f32_e32 v38, v6, v5
	s_waitcnt vmcnt(39)
	v_mul_f32_e32 v39, v8, v58
	s_waitcnt vmcnt(38) lgkmcnt(6)
	v_mul_f32_e32 v40, v10, v60
	s_waitcnt vmcnt(37)
	v_mul_f32_e32 v41, v12, v62
	;; [unrolled: 4-line block ×7, first 2 shown]
	s_waitcnt vmcnt(26) lgkmcnt(0)
	v_mul_f32_e32 v59, v34, v78
	s_waitcnt vmcnt(25)
	v_fmac_f32_e32 v38, v7, v79
	s_waitcnt vmcnt(24)
	v_fmac_f32_e32 v39, v9, v80
	v_add_f32_e32 v38, 0, v38
	s_waitcnt vmcnt(23)
	v_fmac_f32_e32 v40, v11, v81
	v_add_f32_e32 v38, v38, v39
	;; [unrolled: 3-line block ×13, first 2 shown]
	v_add_f32_e32 v42, v38, v56
	buffer_load_dword v53, off, s[0:3], 0 offset:444
	buffer_load_dword v52, off, s[0:3], 0 offset:440
	buffer_load_dword v55, off, s[0:3], 0 offset:436
	buffer_load_dword v54, off, s[0:3], 0 offset:432
	buffer_load_dword v57, off, s[0:3], 0 offset:428
	buffer_load_dword v56, off, s[0:3], 0 offset:424
	buffer_load_dword v50, off, s[0:3], 0 offset:416
	s_waitcnt vmcnt(18)
	v_fmac_f32_e32 v59, v35, v93
	ds_read2_b64 v[38:41], v4 offset0:107 offset1:108
	v_add_f32_e32 v59, v42, v59
	ds_read2_b64 v[42:45], v4 offset0:109 offset1:110
	buffer_load_dword v65, off, s[0:3], 0 offset:460
	buffer_load_dword v64, off, s[0:3], 0 offset:456
	;; [unrolled: 1-line block ×4, first 2 shown]
	v_mul_f32_e32 v5, v7, v5
	v_fma_f32 v5, v6, v79, -v5
	v_mul_f32_e32 v6, v9, v58
	v_add_f32_e32 v5, 0, v5
	v_fma_f32 v6, v8, v80, -v6
	v_add_f32_e32 v5, v5, v6
	v_mul_f32_e32 v6, v11, v60
	v_fma_f32 v6, v10, v81, -v6
	v_add_f32_e32 v5, v5, v6
	v_mul_f32_e32 v6, v13, v62
	v_fma_f32 v6, v12, v82, -v6
	v_add_f32_e32 v5, v5, v6
	v_mul_f32_e32 v6, v15, v68
	v_fma_f32 v6, v14, v83, -v6
	v_add_f32_e32 v5, v5, v6
	v_mul_f32_e32 v6, v17, v69
	v_fma_f32 v6, v16, v84, -v6
	v_add_f32_e32 v5, v5, v6
	v_mul_f32_e32 v6, v19, v70
	v_fma_f32 v6, v18, v85, -v6
	v_add_f32_e32 v5, v5, v6
	v_mul_f32_e32 v6, v21, v71
	v_fma_f32 v6, v20, v86, -v6
	v_add_f32_e32 v5, v5, v6
	v_mul_f32_e32 v6, v23, v72
	v_fma_f32 v6, v22, v87, -v6
	v_add_f32_e32 v5, v5, v6
	v_mul_f32_e32 v6, v25, v73
	v_fma_f32 v6, v24, v88, -v6
	v_add_f32_e32 v5, v5, v6
	v_mul_f32_e32 v6, v27, v74
	v_fma_f32 v6, v26, v89, -v6
	v_add_f32_e32 v5, v5, v6
	v_mul_f32_e32 v6, v29, v75
	v_fma_f32 v6, v28, v90, -v6
	v_add_f32_e32 v5, v5, v6
	v_mul_f32_e32 v6, v31, v76
	v_fma_f32 v6, v30, v91, -v6
	v_add_f32_e32 v5, v5, v6
	v_mul_f32_e32 v6, v33, v77
	v_fma_f32 v6, v32, v92, -v6
	v_add_f32_e32 v5, v5, v6
	v_mul_f32_e32 v6, v35, v78
	v_fma_f32 v6, v34, v93, -v6
	s_waitcnt vmcnt(13)
	v_mov_b32_e32 v18, v49
	v_mul_f32_e32 v61, v36, v94
	v_add_f32_e32 v58, v5, v6
	v_mul_f32_e32 v5, v37, v94
	s_waitcnt lgkmcnt(1)
	v_pk_mul_f32 v[18:19], v[40:41], v[18:19] op_sel_hi:[1,0]
	v_fmac_f32_e32 v61, v37, v95
	v_mul_f32_e32 v63, v38, v96
	v_fma_f32 v60, v36, v95, -v5
	v_mul_f32_e32 v5, v39, v96
	s_waitcnt vmcnt(12)
	v_pk_fma_f32 v[20:21], v[40:41], v[48:49], v[18:19] op_sel:[0,0,1] op_sel_hi:[1,1,0] neg_lo:[0,0,1] neg_hi:[0,0,1]
	v_pk_fma_f32 v[18:19], v[40:41], v[48:49], v[18:19] op_sel:[0,0,1] op_sel_hi:[1,0,0]
	v_fmac_f32_e32 v63, v39, v97
	v_fma_f32 v62, v38, v97, -v5
	v_pk_add_f32 v[16:17], v[58:59], v[60:61]
	v_mov_b32_e32 v18, v47
	v_pk_add_f32 v[16:17], v[16:17], v[62:63]
	v_mov_b32_e32 v21, v19
	s_waitcnt lgkmcnt(0)
	v_pk_mul_f32 v[18:19], v[42:43], v[18:19] op_sel_hi:[1,0]
	v_pk_add_f32 v[16:17], v[16:17], v[20:21]
	v_pk_fma_f32 v[20:21], v[42:43], v[46:47], v[18:19] op_sel:[0,0,1] op_sel_hi:[1,1,0] neg_lo:[0,0,1] neg_hi:[0,0,1]
	v_pk_fma_f32 v[18:19], v[42:43], v[46:47], v[18:19] op_sel:[0,0,1] op_sel_hi:[1,0,0]
	s_waitcnt vmcnt(11)
	v_mov_b32_e32 v18, v51
	ds_read2_b64 v[6:9], v4 offset0:111 offset1:112
	ds_read2_b64 v[10:13], v4 offset0:113 offset1:114
	ds_read_b64 v[14:15], v4 offset:920
	v_mov_b32_e32 v21, v19
	v_pk_mul_f32 v[18:19], v[44:45], v[18:19] op_sel_hi:[1,0]
	v_pk_add_f32 v[16:17], v[16:17], v[20:21]
	s_waitcnt vmcnt(4)
	v_pk_fma_f32 v[20:21], v[44:45], v[50:51], v[18:19] op_sel:[0,0,1] op_sel_hi:[1,1,0] neg_lo:[0,0,1] neg_hi:[0,0,1]
	v_pk_fma_f32 v[18:19], v[44:45], v[50:51], v[18:19] op_sel:[0,0,1] op_sel_hi:[1,0,0]
	v_mov_b32_e32 v18, v57
	v_mov_b32_e32 v21, v19
	s_waitcnt lgkmcnt(2)
	v_pk_mul_f32 v[18:19], v[6:7], v[18:19] op_sel_hi:[1,0]
	v_pk_add_f32 v[16:17], v[16:17], v[20:21]
	v_pk_fma_f32 v[20:21], v[6:7], v[56:57], v[18:19] op_sel:[0,0,1] op_sel_hi:[1,1,0] neg_lo:[0,0,1] neg_hi:[0,0,1]
	v_pk_fma_f32 v[6:7], v[6:7], v[56:57], v[18:19] op_sel:[0,0,1] op_sel_hi:[1,0,0]
	v_mov_b32_e32 v21, v7
	v_pk_add_f32 v[6:7], v[16:17], v[20:21]
	v_mov_b32_e32 v16, v55
	v_pk_mul_f32 v[16:17], v[8:9], v[16:17] op_sel_hi:[1,0]
	v_pk_fma_f32 v[18:19], v[8:9], v[54:55], v[16:17] op_sel:[0,0,1] op_sel_hi:[1,1,0] neg_lo:[0,0,1] neg_hi:[0,0,1]
	v_pk_fma_f32 v[8:9], v[8:9], v[54:55], v[16:17] op_sel:[0,0,1] op_sel_hi:[1,0,0]
	v_mov_b32_e32 v8, v53
	v_mov_b32_e32 v19, v9
	s_waitcnt lgkmcnt(1)
	v_pk_mul_f32 v[8:9], v[10:11], v[8:9] op_sel_hi:[1,0]
	v_pk_fma_f32 v[16:17], v[10:11], v[52:53], v[8:9] op_sel:[0,0,1] op_sel_hi:[1,1,0] neg_lo:[0,0,1] neg_hi:[0,0,1]
	v_pk_fma_f32 v[8:9], v[10:11], v[52:53], v[8:9] op_sel:[0,0,1] op_sel_hi:[1,0,0]
	s_waitcnt vmcnt(1)
	v_mov_b32_e32 v8, v67
	v_mov_b32_e32 v17, v9
	v_pk_mul_f32 v[8:9], v[12:13], v[8:9] op_sel_hi:[1,0]
	s_waitcnt vmcnt(0)
	v_pk_fma_f32 v[10:11], v[12:13], v[66:67], v[8:9] op_sel:[0,0,1] op_sel_hi:[1,1,0] neg_lo:[0,0,1] neg_hi:[0,0,1]
	v_pk_fma_f32 v[8:9], v[12:13], v[66:67], v[8:9] op_sel:[0,0,1] op_sel_hi:[1,0,0]
	v_pk_add_f32 v[6:7], v[6:7], v[18:19]
	v_mov_b32_e32 v8, v65
	v_pk_add_f32 v[6:7], v[6:7], v[16:17]
	v_mov_b32_e32 v11, v9
	s_waitcnt lgkmcnt(0)
	v_pk_mul_f32 v[8:9], v[14:15], v[8:9] op_sel_hi:[1,0]
	v_pk_add_f32 v[6:7], v[6:7], v[10:11]
	v_pk_fma_f32 v[10:11], v[14:15], v[64:65], v[8:9] op_sel:[0,0,1] op_sel_hi:[1,1,0] neg_lo:[0,0,1] neg_hi:[0,0,1]
	v_pk_fma_f32 v[8:9], v[14:15], v[64:65], v[8:9] op_sel:[0,0,1] op_sel_hi:[1,0,0]
	v_mov_b32_e32 v11, v9
	v_pk_add_f32 v[6:7], v[6:7], v[10:11]
	v_pk_add_f32 v[2:3], v[2:3], v[6:7] neg_lo:[0,1] neg_hi:[0,1]
	buffer_store_dword v3, off, s[0:3], 0 offset:260
	buffer_store_dword v2, off, s[0:3], 0 offset:256
	s_and_saveexec_b64 s[4:5], vcc
	s_cbranch_execz .LBB121_299
; %bb.298:
	buffer_load_dword v2, off, s[0:3], 0 offset:248
	buffer_load_dword v3, off, s[0:3], 0 offset:252
	s_waitcnt vmcnt(0)
	ds_write_b64 v175, v[2:3]
	buffer_store_dword v4, off, s[0:3], 0 offset:248
	buffer_store_dword v4, off, s[0:3], 0 offset:252
.LBB121_299:
	s_or_b64 exec, exec, s[4:5]
	s_waitcnt lgkmcnt(0)
	; wave barrier
	s_waitcnt lgkmcnt(0)
	buffer_load_dword v2, off, s[0:3], 0 offset:260
	buffer_load_dword v3, off, s[0:3], 0 offset:268
	;; [unrolled: 1-line block ×38, first 2 shown]
	ds_read_b128 v[6:9], v4 offset:720
	ds_read_b128 v[10:13], v4 offset:736
	;; [unrolled: 1-line block ×8, first 2 shown]
	buffer_load_dword v49, off, s[0:3], 0 offset:404
	buffer_load_dword v48, off, s[0:3], 0 offset:400
	;; [unrolled: 1-line block ×4, first 2 shown]
	v_cmp_lt_u32_e32 vcc, 30, v0
	s_waitcnt vmcnt(41) lgkmcnt(7)
	v_mul_f32_e32 v38, v6, v2
	s_waitcnt vmcnt(40)
	v_mul_f32_e32 v39, v8, v3
	s_waitcnt vmcnt(39) lgkmcnt(6)
	v_mul_f32_e32 v40, v10, v5
	s_waitcnt vmcnt(38)
	v_mul_f32_e32 v41, v12, v58
	;; [unrolled: 4-line block ×7, first 2 shown]
	s_waitcnt vmcnt(27) lgkmcnt(0)
	v_mul_f32_e32 v59, v34, v78
	s_waitcnt vmcnt(26)
	v_fmac_f32_e32 v38, v7, v79
	s_waitcnt vmcnt(25)
	v_fmac_f32_e32 v39, v9, v80
	v_add_f32_e32 v38, 0, v38
	s_waitcnt vmcnt(24)
	v_fmac_f32_e32 v40, v11, v81
	v_add_f32_e32 v38, v38, v39
	;; [unrolled: 3-line block ×13, first 2 shown]
	v_add_f32_e32 v38, v38, v57
	buffer_load_dword v53, off, s[0:3], 0 offset:428
	buffer_load_dword v52, off, s[0:3], 0 offset:424
	;; [unrolled: 1-line block ×6, first 2 shown]
	s_waitcnt vmcnt(18)
	v_fmac_f32_e32 v59, v35, v93
	s_waitcnt vmcnt(17)
	v_mul_f32_e32 v43, v36, v94
	v_add_f32_e32 v42, v38, v59
	s_waitcnt vmcnt(16)
	v_fmac_f32_e32 v43, v37, v95
	ds_read_b128 v[38:41], v4 offset:848
	v_add_f32_e32 v59, v42, v43
	ds_read_b128 v[42:45], v4 offset:864
	buffer_load_dword v65, off, s[0:3], 0 offset:460
	buffer_load_dword v64, off, s[0:3], 0 offset:456
	;; [unrolled: 1-line block ×6, first 2 shown]
	v_mul_f32_e32 v2, v7, v2
	v_fma_f32 v2, v6, v79, -v2
	v_mul_f32_e32 v3, v9, v3
	v_add_f32_e32 v2, 0, v2
	v_fma_f32 v3, v8, v80, -v3
	v_add_f32_e32 v2, v2, v3
	v_mul_f32_e32 v3, v11, v5
	v_fma_f32 v3, v10, v81, -v3
	v_add_f32_e32 v2, v2, v3
	v_mul_f32_e32 v3, v13, v58
	v_fma_f32 v3, v12, v82, -v3
	v_add_f32_e32 v2, v2, v3
	v_mul_f32_e32 v3, v15, v60
	v_fma_f32 v3, v14, v83, -v3
	v_add_f32_e32 v2, v2, v3
	v_mul_f32_e32 v3, v17, v62
	v_fma_f32 v3, v16, v84, -v3
	v_add_f32_e32 v2, v2, v3
	v_mul_f32_e32 v3, v19, v70
	v_fma_f32 v3, v18, v85, -v3
	v_add_f32_e32 v2, v2, v3
	v_mul_f32_e32 v3, v21, v71
	v_fma_f32 v3, v20, v86, -v3
	v_add_f32_e32 v2, v2, v3
	v_mul_f32_e32 v3, v23, v72
	v_fma_f32 v3, v22, v87, -v3
	v_add_f32_e32 v2, v2, v3
	v_mul_f32_e32 v3, v25, v73
	v_fma_f32 v3, v24, v88, -v3
	v_add_f32_e32 v2, v2, v3
	v_mul_f32_e32 v3, v27, v74
	v_fma_f32 v3, v26, v89, -v3
	v_add_f32_e32 v2, v2, v3
	v_mul_f32_e32 v3, v29, v75
	v_fma_f32 v3, v28, v90, -v3
	v_add_f32_e32 v2, v2, v3
	v_mul_f32_e32 v3, v31, v76
	v_fma_f32 v3, v30, v91, -v3
	v_add_f32_e32 v2, v2, v3
	v_mul_f32_e32 v3, v33, v77
	v_fma_f32 v3, v32, v92, -v3
	v_add_f32_e32 v2, v2, v3
	v_mul_f32_e32 v3, v35, v78
	v_fma_f32 v3, v34, v93, -v3
	v_add_f32_e32 v2, v2, v3
	v_mul_f32_e32 v3, v37, v94
	v_fma_f32 v3, v36, v95, -v3
	s_waitcnt vmcnt(15)
	v_mov_b32_e32 v16, v49
	s_waitcnt lgkmcnt(1)
	v_mul_f32_e32 v61, v38, v96
	v_add_f32_e32 v58, v2, v3
	v_mul_f32_e32 v2, v39, v96
	s_waitcnt lgkmcnt(0)
	v_pk_mul_f32 v[16:17], v[42:43], v[16:17] op_sel_hi:[1,0]
	v_fmac_f32_e32 v61, v39, v97
	v_mul_f32_e32 v63, v40, v98
	v_fma_f32 v60, v38, v97, -v2
	v_mul_f32_e32 v2, v41, v98
	s_waitcnt vmcnt(14)
	v_pk_fma_f32 v[18:19], v[42:43], v[48:49], v[16:17] op_sel:[0,0,1] op_sel_hi:[1,1,0] neg_lo:[0,0,1] neg_hi:[0,0,1]
	v_pk_fma_f32 v[16:17], v[42:43], v[48:49], v[16:17] op_sel:[0,0,1] op_sel_hi:[1,0,0]
	v_fmac_f32_e32 v63, v41, v99
	v_fma_f32 v62, v40, v99, -v2
	v_pk_add_f32 v[14:15], v[58:59], v[60:61]
	ds_read_b128 v[6:9], v4 offset:880
	ds_read_b128 v[10:13], v4 offset:896
	;; [unrolled: 1-line block ×3, first 2 shown]
	v_pk_add_f32 v[14:15], v[14:15], v[62:63]
	v_mov_b32_e32 v19, v17
	v_pk_add_f32 v[14:15], v[14:15], v[18:19]
	s_waitcnt vmcnt(7)
	v_mov_b32_e32 v16, v57
	v_pk_mul_f32 v[16:17], v[44:45], v[16:17] op_sel_hi:[1,0]
	s_waitcnt vmcnt(6)
	v_pk_fma_f32 v[18:19], v[44:45], v[56:57], v[16:17] op_sel:[0,0,1] op_sel_hi:[1,1,0] neg_lo:[0,0,1] neg_hi:[0,0,1]
	v_pk_fma_f32 v[16:17], v[44:45], v[56:57], v[16:17] op_sel:[0,0,1] op_sel_hi:[1,0,0]
	v_mov_b32_e32 v16, v55
	v_mov_b32_e32 v19, v17
	s_waitcnt lgkmcnt(2)
	v_pk_mul_f32 v[16:17], v[6:7], v[16:17] op_sel_hi:[1,0]
	v_pk_add_f32 v[14:15], v[14:15], v[18:19]
	v_pk_fma_f32 v[18:19], v[6:7], v[54:55], v[16:17] op_sel:[0,0,1] op_sel_hi:[1,1,0] neg_lo:[0,0,1] neg_hi:[0,0,1]
	v_pk_fma_f32 v[6:7], v[6:7], v[54:55], v[16:17] op_sel:[0,0,1] op_sel_hi:[1,0,0]
	v_mov_b32_e32 v19, v7
	v_pk_add_f32 v[6:7], v[14:15], v[18:19]
	v_mov_b32_e32 v14, v53
	v_pk_mul_f32 v[14:15], v[8:9], v[14:15] op_sel_hi:[1,0]
	v_pk_fma_f32 v[16:17], v[8:9], v[52:53], v[14:15] op_sel:[0,0,1] op_sel_hi:[1,1,0] neg_lo:[0,0,1] neg_hi:[0,0,1]
	v_pk_fma_f32 v[8:9], v[8:9], v[52:53], v[14:15] op_sel:[0,0,1] op_sel_hi:[1,0,0]
	v_mov_b32_e32 v8, v51
	v_mov_b32_e32 v17, v9
	s_waitcnt lgkmcnt(1)
	v_pk_mul_f32 v[8:9], v[10:11], v[8:9] op_sel_hi:[1,0]
	v_pk_fma_f32 v[14:15], v[10:11], v[50:51], v[8:9] op_sel:[0,0,1] op_sel_hi:[1,1,0] neg_lo:[0,0,1] neg_hi:[0,0,1]
	v_pk_fma_f32 v[8:9], v[10:11], v[50:51], v[8:9] op_sel:[0,0,1] op_sel_hi:[1,0,0]
	s_waitcnt vmcnt(1)
	v_mov_b32_e32 v8, v69
	v_mov_b32_e32 v15, v9
	v_pk_mul_f32 v[8:9], v[12:13], v[8:9] op_sel_hi:[1,0]
	s_waitcnt vmcnt(0)
	v_pk_fma_f32 v[10:11], v[12:13], v[68:69], v[8:9] op_sel:[0,0,1] op_sel_hi:[1,1,0] neg_lo:[0,0,1] neg_hi:[0,0,1]
	v_pk_fma_f32 v[8:9], v[12:13], v[68:69], v[8:9] op_sel:[0,0,1] op_sel_hi:[1,0,0]
	v_pk_add_f32 v[6:7], v[6:7], v[16:17]
	v_mov_b32_e32 v8, v67
	v_pk_add_f32 v[6:7], v[6:7], v[14:15]
	v_mov_b32_e32 v11, v9
	s_waitcnt lgkmcnt(0)
	v_pk_mul_f32 v[8:9], v[2:3], v[8:9] op_sel_hi:[1,0]
	v_pk_add_f32 v[6:7], v[6:7], v[10:11]
	v_pk_fma_f32 v[10:11], v[2:3], v[66:67], v[8:9] op_sel:[0,0,1] op_sel_hi:[1,1,0] neg_lo:[0,0,1] neg_hi:[0,0,1]
	v_pk_fma_f32 v[2:3], v[2:3], v[66:67], v[8:9] op_sel:[0,0,1] op_sel_hi:[1,0,0]
	v_mov_b32_e32 v11, v3
	v_pk_add_f32 v[2:3], v[6:7], v[10:11]
	v_mov_b32_e32 v6, v65
	v_pk_mul_f32 v[6:7], v[4:5], v[6:7] op_sel_hi:[1,0]
	v_pk_fma_f32 v[8:9], v[4:5], v[64:65], v[6:7] op_sel:[0,0,1] op_sel_hi:[1,1,0] neg_lo:[0,0,1] neg_hi:[0,0,1]
	v_pk_fma_f32 v[4:5], v[4:5], v[64:65], v[6:7] op_sel:[0,0,1] op_sel_hi:[1,0,0]
	v_mov_b32_e32 v9, v5
	v_pk_add_f32 v[2:3], v[2:3], v[8:9]
	v_pk_add_f32 v[2:3], v[46:47], v[2:3] neg_lo:[0,1] neg_hi:[0,1]
	buffer_store_dword v3, off, s[0:3], 0 offset:252
	buffer_store_dword v2, off, s[0:3], 0 offset:248
	s_and_saveexec_b64 s[4:5], vcc
	s_cbranch_execz .LBB121_301
; %bb.300:
	buffer_load_dword v2, off, s[0:3], 0 offset:240
	buffer_load_dword v3, off, s[0:3], 0 offset:244
	v_mov_b32_e32 v4, 0
	buffer_store_dword v4, off, s[0:3], 0 offset:240
	buffer_store_dword v4, off, s[0:3], 0 offset:244
	s_waitcnt vmcnt(2)
	ds_write_b64 v175, v[2:3]
.LBB121_301:
	s_or_b64 exec, exec, s[4:5]
	s_waitcnt lgkmcnt(0)
	; wave barrier
	s_waitcnt lgkmcnt(0)
	buffer_load_dword v5, off, s[0:3], 0 offset:252
	buffer_load_dword v54, off, s[0:3], 0 offset:260
	;; [unrolled: 1-line block ×40, first 2 shown]
	v_mov_b32_e32 v4, 0
	ds_read2_b64 v[6:9], v4 offset0:89 offset1:90
	ds_read2_b64 v[10:13], v4 offset0:91 offset1:92
	;; [unrolled: 1-line block ×8, first 2 shown]
	v_cmp_lt_u32_e32 vcc, 29, v0
	s_waitcnt vmcnt(39) lgkmcnt(7)
	v_mul_f32_e32 v38, v6, v5
	s_waitcnt vmcnt(38)
	v_mul_f32_e32 v39, v8, v54
	s_waitcnt vmcnt(37) lgkmcnt(6)
	v_mul_f32_e32 v40, v10, v56
	s_waitcnt vmcnt(36)
	v_mul_f32_e32 v41, v12, v58
	;; [unrolled: 4-line block ×8, first 2 shown]
	s_waitcnt vmcnt(23)
	v_fmac_f32_e32 v38, v7, v80
	s_waitcnt vmcnt(22)
	v_fmac_f32_e32 v39, v9, v81
	v_add_f32_e32 v38, 0, v38
	s_waitcnt vmcnt(21)
	v_fmac_f32_e32 v40, v11, v82
	v_add_f32_e32 v38, v38, v39
	;; [unrolled: 3-line block ×14, first 2 shown]
	v_add_f32_e32 v38, v38, v52
	s_waitcnt vmcnt(8)
	v_fmac_f32_e32 v53, v37, v95
	v_add_f32_e32 v55, v38, v53
	ds_read2_b64 v[38:41], v4 offset0:105 offset1:106
	buffer_load_dword v47, off, s[0:3], 0 offset:404
	buffer_load_dword v49, off, s[0:3], 0 offset:428
	;; [unrolled: 1-line block ×8, first 2 shown]
	ds_read2_b64 v[42:45], v4 offset0:107 offset1:108
	buffer_load_dword v61, off, s[0:3], 0 offset:460
	buffer_load_dword v60, off, s[0:3], 0 offset:456
	;; [unrolled: 1-line block ×8, first 2 shown]
	v_mul_f32_e32 v5, v7, v5
	v_fma_f32 v5, v6, v80, -v5
	v_mul_f32_e32 v6, v9, v54
	v_add_f32_e32 v5, 0, v5
	v_fma_f32 v6, v8, v81, -v6
	v_add_f32_e32 v5, v5, v6
	v_mul_f32_e32 v6, v11, v56
	v_fma_f32 v6, v10, v82, -v6
	v_add_f32_e32 v5, v5, v6
	v_mul_f32_e32 v6, v13, v58
	;; [unrolled: 3-line block ×14, first 2 shown]
	v_fma_f32 v6, v36, v95, -v6
	s_waitcnt vmcnt(23) lgkmcnt(1)
	v_mul_f32_e32 v57, v38, v96
	v_add_f32_e32 v5, v5, v6
	v_mul_f32_e32 v6, v39, v96
	s_waitcnt vmcnt(22)
	v_fmac_f32_e32 v57, v39, v97
	v_fma_f32 v6, v38, v97, -v6
	v_add_f32_e32 v55, v55, v57
	s_waitcnt vmcnt(21)
	v_mul_f32_e32 v57, v40, v98
	v_add_f32_e32 v54, v5, v6
	v_mul_f32_e32 v5, v41, v98
	s_waitcnt vmcnt(20)
	v_fmac_f32_e32 v57, v41, v99
	s_waitcnt vmcnt(19) lgkmcnt(0)
	v_mul_f32_e32 v59, v42, v100
	v_fma_f32 v56, v40, v99, -v5
	v_mul_f32_e32 v5, v43, v100
	ds_read2_b64 v[6:9], v4 offset0:109 offset1:110
	ds_read2_b64 v[10:13], v4 offset0:111 offset1:112
	;; [unrolled: 1-line block ×3, first 2 shown]
	ds_read_b64 v[18:19], v4 offset:920
	s_waitcnt vmcnt(18)
	v_fmac_f32_e32 v59, v43, v101
	v_fma_f32 v58, v42, v101, -v5
	v_pk_add_f32 v[20:21], v[54:55], v[56:57]
	v_pk_add_f32 v[20:21], v[20:21], v[58:59]
	s_waitcnt vmcnt(15)
	v_mov_b32_e32 v22, v47
	v_pk_mul_f32 v[22:23], v[44:45], v[22:23] op_sel_hi:[1,0]
	s_waitcnt vmcnt(8)
	v_pk_fma_f32 v[24:25], v[44:45], v[46:47], v[22:23] op_sel:[0,0,1] op_sel_hi:[1,1,0] neg_lo:[0,0,1] neg_hi:[0,0,1]
	v_pk_fma_f32 v[22:23], v[44:45], v[46:47], v[22:23] op_sel:[0,0,1] op_sel_hi:[1,0,0]
	v_mov_b32_e32 v22, v53
	v_mov_b32_e32 v25, v23
	s_waitcnt lgkmcnt(3)
	v_pk_mul_f32 v[22:23], v[6:7], v[22:23] op_sel_hi:[1,0]
	v_pk_add_f32 v[20:21], v[20:21], v[24:25]
	v_pk_fma_f32 v[24:25], v[6:7], v[52:53], v[22:23] op_sel:[0,0,1] op_sel_hi:[1,1,0] neg_lo:[0,0,1] neg_hi:[0,0,1]
	v_pk_fma_f32 v[6:7], v[6:7], v[52:53], v[22:23] op_sel:[0,0,1] op_sel_hi:[1,0,0]
	v_mov_b32_e32 v25, v7
	v_pk_add_f32 v[6:7], v[20:21], v[24:25]
	v_mov_b32_e32 v20, v51
	v_pk_mul_f32 v[20:21], v[8:9], v[20:21] op_sel_hi:[1,0]
	v_pk_fma_f32 v[22:23], v[8:9], v[50:51], v[20:21] op_sel:[0,0,1] op_sel_hi:[1,1,0] neg_lo:[0,0,1] neg_hi:[0,0,1]
	v_pk_fma_f32 v[8:9], v[8:9], v[50:51], v[20:21] op_sel:[0,0,1] op_sel_hi:[1,0,0]
	v_mov_b32_e32 v8, v49
	v_mov_b32_e32 v23, v9
	s_waitcnt lgkmcnt(2)
	v_pk_mul_f32 v[8:9], v[10:11], v[8:9] op_sel_hi:[1,0]
	v_pk_fma_f32 v[20:21], v[10:11], v[48:49], v[8:9] op_sel:[0,0,1] op_sel_hi:[1,1,0] neg_lo:[0,0,1] neg_hi:[0,0,1]
	v_pk_fma_f32 v[8:9], v[10:11], v[48:49], v[8:9] op_sel:[0,0,1] op_sel_hi:[1,0,0]
	s_waitcnt vmcnt(1)
	v_mov_b32_e32 v8, v67
	v_mov_b32_e32 v21, v9
	v_pk_mul_f32 v[8:9], v[12:13], v[8:9] op_sel_hi:[1,0]
	s_waitcnt vmcnt(0)
	v_pk_fma_f32 v[10:11], v[12:13], v[66:67], v[8:9] op_sel:[0,0,1] op_sel_hi:[1,1,0] neg_lo:[0,0,1] neg_hi:[0,0,1]
	v_pk_fma_f32 v[8:9], v[12:13], v[66:67], v[8:9] op_sel:[0,0,1] op_sel_hi:[1,0,0]
	v_pk_add_f32 v[6:7], v[6:7], v[22:23]
	v_mov_b32_e32 v8, v65
	v_pk_add_f32 v[6:7], v[6:7], v[20:21]
	v_mov_b32_e32 v11, v9
	s_waitcnt lgkmcnt(1)
	v_pk_mul_f32 v[8:9], v[14:15], v[8:9] op_sel_hi:[1,0]
	v_pk_add_f32 v[6:7], v[6:7], v[10:11]
	v_pk_fma_f32 v[10:11], v[14:15], v[64:65], v[8:9] op_sel:[0,0,1] op_sel_hi:[1,1,0] neg_lo:[0,0,1] neg_hi:[0,0,1]
	v_pk_fma_f32 v[8:9], v[14:15], v[64:65], v[8:9] op_sel:[0,0,1] op_sel_hi:[1,0,0]
	v_mov_b32_e32 v8, v63
	v_mov_b32_e32 v11, v9
	v_pk_mul_f32 v[8:9], v[16:17], v[8:9] op_sel_hi:[1,0]
	v_pk_add_f32 v[6:7], v[6:7], v[10:11]
	v_pk_fma_f32 v[10:11], v[16:17], v[62:63], v[8:9] op_sel:[0,0,1] op_sel_hi:[1,1,0] neg_lo:[0,0,1] neg_hi:[0,0,1]
	v_pk_fma_f32 v[8:9], v[16:17], v[62:63], v[8:9] op_sel:[0,0,1] op_sel_hi:[1,0,0]
	v_mov_b32_e32 v8, v61
	v_mov_b32_e32 v11, v9
	s_waitcnt lgkmcnt(0)
	v_pk_mul_f32 v[8:9], v[18:19], v[8:9] op_sel_hi:[1,0]
	v_pk_add_f32 v[6:7], v[6:7], v[10:11]
	v_pk_fma_f32 v[10:11], v[18:19], v[60:61], v[8:9] op_sel:[0,0,1] op_sel_hi:[1,1,0] neg_lo:[0,0,1] neg_hi:[0,0,1]
	v_pk_fma_f32 v[8:9], v[18:19], v[60:61], v[8:9] op_sel:[0,0,1] op_sel_hi:[1,0,0]
	v_mov_b32_e32 v11, v9
	v_pk_add_f32 v[6:7], v[6:7], v[10:11]
	v_pk_add_f32 v[2:3], v[2:3], v[6:7] neg_lo:[0,1] neg_hi:[0,1]
	buffer_store_dword v3, off, s[0:3], 0 offset:244
	buffer_store_dword v2, off, s[0:3], 0 offset:240
	s_and_saveexec_b64 s[4:5], vcc
	s_cbranch_execz .LBB121_303
; %bb.302:
	buffer_load_dword v2, off, s[0:3], 0 offset:232
	buffer_load_dword v3, off, s[0:3], 0 offset:236
	s_waitcnt vmcnt(0)
	ds_write_b64 v175, v[2:3]
	buffer_store_dword v4, off, s[0:3], 0 offset:232
	buffer_store_dword v4, off, s[0:3], 0 offset:236
.LBB121_303:
	s_or_b64 exec, exec, s[4:5]
	s_waitcnt lgkmcnt(0)
	; wave barrier
	s_waitcnt lgkmcnt(0)
	buffer_load_dword v5, off, s[0:3], 0 offset:244
	buffer_load_dword v46, off, s[0:3], 0 offset:252
	buffer_load_dword v48, off, s[0:3], 0 offset:260
	buffer_load_dword v56, off, s[0:3], 0 offset:268
	buffer_load_dword v68, off, s[0:3], 0 offset:276
	buffer_load_dword v69, off, s[0:3], 0 offset:284
	buffer_load_dword v70, off, s[0:3], 0 offset:292
	buffer_load_dword v71, off, s[0:3], 0 offset:300
	buffer_load_dword v72, off, s[0:3], 0 offset:308
	buffer_load_dword v73, off, s[0:3], 0 offset:316
	buffer_load_dword v74, off, s[0:3], 0 offset:324
	buffer_load_dword v75, off, s[0:3], 0 offset:332
	buffer_load_dword v76, off, s[0:3], 0 offset:340
	buffer_load_dword v77, off, s[0:3], 0 offset:348
	buffer_load_dword v78, off, s[0:3], 0 offset:356
	buffer_load_dword v79, off, s[0:3], 0 offset:240
	buffer_load_dword v80, off, s[0:3], 0 offset:248
	buffer_load_dword v81, off, s[0:3], 0 offset:256
	buffer_load_dword v82, off, s[0:3], 0 offset:264
	buffer_load_dword v83, off, s[0:3], 0 offset:272
	buffer_load_dword v84, off, s[0:3], 0 offset:280
	buffer_load_dword v85, off, s[0:3], 0 offset:288
	buffer_load_dword v86, off, s[0:3], 0 offset:296
	buffer_load_dword v87, off, s[0:3], 0 offset:304
	buffer_load_dword v88, off, s[0:3], 0 offset:312
	buffer_load_dword v89, off, s[0:3], 0 offset:320
	buffer_load_dword v90, off, s[0:3], 0 offset:328
	buffer_load_dword v91, off, s[0:3], 0 offset:336
	buffer_load_dword v92, off, s[0:3], 0 offset:344
	buffer_load_dword v93, off, s[0:3], 0 offset:352
	buffer_load_dword v94, off, s[0:3], 0 offset:364
	buffer_load_dword v95, off, s[0:3], 0 offset:360
	buffer_load_dword v96, off, s[0:3], 0 offset:372
	buffer_load_dword v97, off, s[0:3], 0 offset:368
	buffer_load_dword v98, off, s[0:3], 0 offset:380
	buffer_load_dword v99, off, s[0:3], 0 offset:376
	buffer_load_dword v100, off, s[0:3], 0 offset:388
	buffer_load_dword v101, off, s[0:3], 0 offset:384
	buffer_load_dword v102, off, s[0:3], 0 offset:396
	buffer_load_dword v103, off, s[0:3], 0 offset:392
	buffer_load_dword v2, off, s[0:3], 0 offset:232
	buffer_load_dword v3, off, s[0:3], 0 offset:236
	ds_read_b128 v[6:9], v4 offset:704
	ds_read_b128 v[10:13], v4 offset:720
	;; [unrolled: 1-line block ×8, first 2 shown]
	v_cmp_lt_u32_e32 vcc, 28, v0
	s_waitcnt vmcnt(41) lgkmcnt(7)
	v_mul_f32_e32 v38, v6, v5
	s_waitcnt vmcnt(40)
	v_mul_f32_e32 v39, v8, v46
	s_waitcnt vmcnt(39) lgkmcnt(6)
	v_mul_f32_e32 v40, v10, v48
	s_waitcnt vmcnt(38)
	v_mul_f32_e32 v41, v12, v56
	;; [unrolled: 4-line block ×7, first 2 shown]
	s_waitcnt vmcnt(27) lgkmcnt(0)
	v_mul_f32_e32 v54, v34, v78
	s_waitcnt vmcnt(26)
	v_fmac_f32_e32 v38, v7, v79
	s_waitcnt vmcnt(25)
	v_fmac_f32_e32 v39, v9, v80
	v_add_f32_e32 v38, 0, v38
	s_waitcnt vmcnt(24)
	v_fmac_f32_e32 v40, v11, v81
	v_add_f32_e32 v38, v38, v39
	;; [unrolled: 3-line block ×14, first 2 shown]
	s_waitcnt vmcnt(11)
	v_mul_f32_e32 v43, v36, v94
	v_add_f32_e32 v42, v38, v54
	s_waitcnt vmcnt(10)
	v_fmac_f32_e32 v43, v37, v95
	ds_read_b128 v[38:41], v4 offset:832
	v_add_f32_e32 v47, v42, v43
	ds_read_b128 v[42:45], v4 offset:848
	buffer_load_dword v51, off, s[0:3], 0 offset:404
	buffer_load_dword v53, off, s[0:3], 0 offset:420
	;; [unrolled: 1-line block ×16, first 2 shown]
	v_mul_f32_e32 v5, v7, v5
	v_fma_f32 v5, v6, v79, -v5
	v_mul_f32_e32 v6, v9, v46
	v_add_f32_e32 v5, 0, v5
	v_fma_f32 v6, v8, v80, -v6
	v_add_f32_e32 v5, v5, v6
	v_mul_f32_e32 v6, v11, v48
	v_fma_f32 v6, v10, v81, -v6
	v_add_f32_e32 v5, v5, v6
	v_mul_f32_e32 v6, v13, v56
	;; [unrolled: 3-line block ×14, first 2 shown]
	v_fma_f32 v6, v36, v95, -v6
	v_add_f32_e32 v5, v5, v6
	s_waitcnt vmcnt(25) lgkmcnt(1)
	v_mul_f32_e32 v6, v39, v96
	s_waitcnt vmcnt(24)
	v_fma_f32 v6, v38, v97, -v6
	v_add_f32_e32 v5, v5, v6
	s_waitcnt vmcnt(23)
	v_mul_f32_e32 v6, v41, v98
	s_waitcnt vmcnt(22)
	v_fma_f32 v6, v40, v99, -v6
	v_add_f32_e32 v46, v5, v6
	ds_read_b128 v[6:9], v4 offset:864
	ds_read_b128 v[10:13], v4 offset:880
	;; [unrolled: 1-line block ×4, first 2 shown]
	v_mul_f32_e32 v49, v38, v96
	v_fmac_f32_e32 v49, v39, v97
	v_add_f32_e32 v47, v47, v49
	v_mul_f32_e32 v49, v40, v98
	v_fmac_f32_e32 v49, v41, v99
	v_add_f32_e32 v47, v47, v49
	s_waitcnt vmcnt(21) lgkmcnt(4)
	v_mul_f32_e32 v49, v42, v100
	v_mul_f32_e32 v5, v43, v100
	s_waitcnt vmcnt(20)
	v_fmac_f32_e32 v49, v43, v101
	s_waitcnt vmcnt(19)
	v_mul_f32_e32 v57, v44, v102
	v_fma_f32 v48, v42, v101, -v5
	v_mul_f32_e32 v5, v45, v102
	s_waitcnt vmcnt(18)
	v_fmac_f32_e32 v57, v45, v103
	v_fma_f32 v56, v44, v103, -v5
	v_pk_add_f32 v[4:5], v[46:47], v[48:49]
	v_pk_add_f32 v[4:5], v[4:5], v[56:57]
	s_waitcnt vmcnt(15)
	v_mov_b32_e32 v22, v51
	s_waitcnt lgkmcnt(3)
	v_pk_mul_f32 v[22:23], v[6:7], v[22:23] op_sel_hi:[1,0]
	s_waitcnt vmcnt(10)
	v_pk_fma_f32 v[24:25], v[6:7], v[50:51], v[22:23] op_sel:[0,0,1] op_sel_hi:[1,1,0] neg_lo:[0,0,1] neg_hi:[0,0,1]
	v_pk_fma_f32 v[6:7], v[6:7], v[50:51], v[22:23] op_sel:[0,0,1] op_sel_hi:[1,0,0]
	v_mov_b32_e32 v6, v55
	v_mov_b32_e32 v25, v7
	v_pk_mul_f32 v[6:7], v[8:9], v[6:7] op_sel_hi:[1,0]
	v_pk_fma_f32 v[22:23], v[8:9], v[54:55], v[6:7] op_sel:[0,0,1] op_sel_hi:[1,1,0] neg_lo:[0,0,1] neg_hi:[0,0,1]
	v_pk_fma_f32 v[6:7], v[8:9], v[54:55], v[6:7] op_sel:[0,0,1] op_sel_hi:[1,0,0]
	v_mov_b32_e32 v6, v53
	v_mov_b32_e32 v23, v7
	s_waitcnt lgkmcnt(2)
	v_pk_mul_f32 v[6:7], v[10:11], v[6:7] op_sel_hi:[1,0]
	v_pk_fma_f32 v[8:9], v[10:11], v[52:53], v[6:7] op_sel:[0,0,1] op_sel_hi:[1,1,0] neg_lo:[0,0,1] neg_hi:[0,0,1]
	v_pk_fma_f32 v[6:7], v[10:11], v[52:53], v[6:7] op_sel:[0,0,1] op_sel_hi:[1,0,0]
	v_pk_add_f32 v[4:5], v[4:5], v[24:25]
	s_waitcnt vmcnt(3)
	v_mov_b32_e32 v6, v65
	v_pk_add_f32 v[4:5], v[4:5], v[22:23]
	v_mov_b32_e32 v9, v7
	v_pk_mul_f32 v[6:7], v[12:13], v[6:7] op_sel_hi:[1,0]
	v_pk_add_f32 v[4:5], v[4:5], v[8:9]
	s_waitcnt vmcnt(2)
	v_pk_fma_f32 v[8:9], v[12:13], v[64:65], v[6:7] op_sel:[0,0,1] op_sel_hi:[1,1,0] neg_lo:[0,0,1] neg_hi:[0,0,1]
	v_pk_fma_f32 v[6:7], v[12:13], v[64:65], v[6:7] op_sel:[0,0,1] op_sel_hi:[1,0,0]
	v_mov_b32_e32 v6, v63
	v_mov_b32_e32 v9, v7
	s_waitcnt lgkmcnt(1)
	v_pk_mul_f32 v[6:7], v[14:15], v[6:7] op_sel_hi:[1,0]
	v_pk_add_f32 v[4:5], v[4:5], v[8:9]
	v_pk_fma_f32 v[8:9], v[14:15], v[62:63], v[6:7] op_sel:[0,0,1] op_sel_hi:[1,1,0] neg_lo:[0,0,1] neg_hi:[0,0,1]
	v_pk_fma_f32 v[6:7], v[14:15], v[62:63], v[6:7] op_sel:[0,0,1] op_sel_hi:[1,0,0]
	v_mov_b32_e32 v6, v61
	v_mov_b32_e32 v9, v7
	v_pk_mul_f32 v[6:7], v[16:17], v[6:7] op_sel_hi:[1,0]
	v_pk_add_f32 v[4:5], v[4:5], v[8:9]
	v_pk_fma_f32 v[8:9], v[16:17], v[60:61], v[6:7] op_sel:[0,0,1] op_sel_hi:[1,1,0] neg_lo:[0,0,1] neg_hi:[0,0,1]
	v_pk_fma_f32 v[6:7], v[16:17], v[60:61], v[6:7] op_sel:[0,0,1] op_sel_hi:[1,0,0]
	v_mov_b32_e32 v6, v59
	v_mov_b32_e32 v9, v7
	s_waitcnt lgkmcnt(0)
	v_pk_mul_f32 v[6:7], v[18:19], v[6:7] op_sel_hi:[1,0]
	v_pk_add_f32 v[4:5], v[4:5], v[8:9]
	v_pk_fma_f32 v[8:9], v[18:19], v[58:59], v[6:7] op_sel:[0,0,1] op_sel_hi:[1,1,0] neg_lo:[0,0,1] neg_hi:[0,0,1]
	v_pk_fma_f32 v[6:7], v[18:19], v[58:59], v[6:7] op_sel:[0,0,1] op_sel_hi:[1,0,0]
	s_waitcnt vmcnt(1)
	v_mov_b32_e32 v6, v67
	v_mov_b32_e32 v9, v7
	v_pk_mul_f32 v[6:7], v[20:21], v[6:7] op_sel_hi:[1,0]
	v_pk_add_f32 v[4:5], v[4:5], v[8:9]
	s_waitcnt vmcnt(0)
	v_pk_fma_f32 v[8:9], v[20:21], v[66:67], v[6:7] op_sel:[0,0,1] op_sel_hi:[1,1,0] neg_lo:[0,0,1] neg_hi:[0,0,1]
	v_pk_fma_f32 v[6:7], v[20:21], v[66:67], v[6:7] op_sel:[0,0,1] op_sel_hi:[1,0,0]
	v_mov_b32_e32 v9, v7
	v_pk_add_f32 v[4:5], v[4:5], v[8:9]
	v_pk_add_f32 v[2:3], v[2:3], v[4:5] neg_lo:[0,1] neg_hi:[0,1]
	buffer_store_dword v3, off, s[0:3], 0 offset:236
	buffer_store_dword v2, off, s[0:3], 0 offset:232
	s_and_saveexec_b64 s[4:5], vcc
	s_cbranch_execz .LBB121_305
; %bb.304:
	buffer_load_dword v2, off, s[0:3], 0 offset:224
	buffer_load_dword v3, off, s[0:3], 0 offset:228
	v_mov_b32_e32 v4, 0
	buffer_store_dword v4, off, s[0:3], 0 offset:224
	buffer_store_dword v4, off, s[0:3], 0 offset:228
	s_waitcnt vmcnt(2)
	ds_write_b64 v175, v[2:3]
.LBB121_305:
	s_or_b64 exec, exec, s[4:5]
	s_waitcnt lgkmcnt(0)
	; wave barrier
	s_waitcnt lgkmcnt(0)
	buffer_load_dword v5, off, s[0:3], 0 offset:236
	buffer_load_dword v54, off, s[0:3], 0 offset:244
	;; [unrolled: 1-line block ×44, first 2 shown]
	v_mov_b32_e32 v4, 0
	ds_read2_b64 v[6:9], v4 offset0:87 offset1:88
	ds_read2_b64 v[10:13], v4 offset0:89 offset1:90
	;; [unrolled: 1-line block ×8, first 2 shown]
	v_cmp_lt_u32_e32 vcc, 27, v0
	s_waitcnt vmcnt(43) lgkmcnt(7)
	v_mul_f32_e32 v38, v6, v5
	s_waitcnt vmcnt(42)
	v_mul_f32_e32 v39, v8, v54
	s_waitcnt vmcnt(41) lgkmcnt(6)
	v_mul_f32_e32 v40, v10, v60
	s_waitcnt vmcnt(40)
	v_mul_f32_e32 v41, v12, v62
	;; [unrolled: 4-line block ×7, first 2 shown]
	s_waitcnt vmcnt(29)
	v_fmac_f32_e32 v38, v7, v86
	s_waitcnt vmcnt(28)
	v_fmac_f32_e32 v39, v9, v87
	v_add_f32_e32 v38, 0, v38
	s_waitcnt vmcnt(27)
	v_fmac_f32_e32 v40, v11, v88
	v_add_f32_e32 v38, v38, v39
	;; [unrolled: 3-line block ×12, first 2 shown]
	v_add_f32_e32 v38, v38, v50
	s_waitcnt vmcnt(16)
	v_fmac_f32_e32 v51, v33, v99
	s_waitcnt vmcnt(15) lgkmcnt(0)
	v_mul_f32_e32 v39, v34, v100
	v_add_f32_e32 v38, v38, v51
	s_waitcnt vmcnt(14)
	v_fmac_f32_e32 v39, v35, v101
	v_add_f32_e32 v42, v38, v39
	ds_read2_b64 v[38:41], v4 offset0:103 offset1:104
	s_waitcnt vmcnt(13)
	v_mul_f32_e32 v43, v36, v102
	s_waitcnt vmcnt(12)
	v_fmac_f32_e32 v43, v37, v103
	v_add_f32_e32 v46, v42, v43
	ds_read2_b64 v[42:45], v4 offset0:105 offset1:106
	s_waitcnt vmcnt(11) lgkmcnt(1)
	v_mul_f32_e32 v47, v38, v104
	s_waitcnt vmcnt(10)
	v_fmac_f32_e32 v47, v39, v105
	v_add_f32_e32 v46, v46, v47
	s_waitcnt vmcnt(9)
	v_mul_f32_e32 v47, v40, v106
	s_waitcnt vmcnt(8)
	v_fmac_f32_e32 v47, v41, v107
	v_add_f32_e32 v46, v46, v47
	s_waitcnt vmcnt(7) lgkmcnt(0)
	v_mul_f32_e32 v47, v42, v108
	s_waitcnt vmcnt(6)
	v_fmac_f32_e32 v47, v43, v109
	v_add_f32_e32 v55, v46, v47
	ds_read2_b64 v[46:49], v4 offset0:107 offset1:108
	buffer_load_dword v57, off, s[0:3], 0 offset:412
	buffer_load_dword v56, off, s[0:3], 0 offset:408
	buffer_load_dword v59, off, s[0:3], 0 offset:404
	buffer_load_dword v58, off, s[0:3], 0 offset:400
	ds_read2_b64 v[50:53], v4 offset0:109 offset1:110
	buffer_load_dword v65, off, s[0:3], 0 offset:444
	buffer_load_dword v64, off, s[0:3], 0 offset:440
	;; [unrolled: 1-line block ×12, first 2 shown]
	v_mul_f32_e32 v5, v7, v5
	v_fma_f32 v5, v6, v86, -v5
	v_mul_f32_e32 v6, v9, v54
	v_add_f32_e32 v5, 0, v5
	v_fma_f32 v6, v8, v87, -v6
	v_add_f32_e32 v5, v5, v6
	v_mul_f32_e32 v6, v11, v60
	v_fma_f32 v6, v10, v88, -v6
	v_add_f32_e32 v5, v5, v6
	v_mul_f32_e32 v6, v13, v62
	;; [unrolled: 3-line block ×17, first 2 shown]
	v_fma_f32 v6, v42, v109, -v6
	s_waitcnt vmcnt(21)
	v_mul_f32_e32 v61, v44, v110
	v_add_f32_e32 v54, v5, v6
	v_mul_f32_e32 v5, v45, v110
	s_waitcnt vmcnt(20)
	v_fmac_f32_e32 v61, v45, v111
	s_waitcnt vmcnt(19) lgkmcnt(1)
	v_mul_f32_e32 v63, v46, v112
	v_fma_f32 v60, v44, v111, -v5
	v_mul_f32_e32 v5, v47, v112
	s_waitcnt vmcnt(18)
	v_fmac_f32_e32 v63, v47, v113
	v_fma_f32 v62, v46, v113, -v5
	v_pk_add_f32 v[16:17], v[54:55], v[60:61]
	v_pk_add_f32 v[16:17], v[16:17], v[62:63]
	ds_read2_b64 v[6:9], v4 offset0:111 offset1:112
	ds_read2_b64 v[10:13], v4 offset0:113 offset1:114
	ds_read_b64 v[14:15], v4 offset:920
	s_waitcnt vmcnt(13)
	v_mov_b32_e32 v18, v59
	v_pk_mul_f32 v[18:19], v[48:49], v[18:19] op_sel_hi:[1,0]
	s_waitcnt vmcnt(12)
	v_pk_fma_f32 v[20:21], v[48:49], v[58:59], v[18:19] op_sel:[0,0,1] op_sel_hi:[1,1,0] neg_lo:[0,0,1] neg_hi:[0,0,1]
	v_pk_fma_f32 v[18:19], v[48:49], v[58:59], v[18:19] op_sel:[0,0,1] op_sel_hi:[1,0,0]
	v_mov_b32_e32 v18, v57
	v_mov_b32_e32 v21, v19
	s_waitcnt lgkmcnt(3)
	v_pk_mul_f32 v[18:19], v[50:51], v[18:19] op_sel_hi:[1,0]
	v_pk_add_f32 v[16:17], v[16:17], v[20:21]
	v_pk_fma_f32 v[20:21], v[50:51], v[56:57], v[18:19] op_sel:[0,0,1] op_sel_hi:[1,1,0] neg_lo:[0,0,1] neg_hi:[0,0,1]
	v_pk_fma_f32 v[18:19], v[50:51], v[56:57], v[18:19] op_sel:[0,0,1] op_sel_hi:[1,0,0]
	s_waitcnt vmcnt(5)
	v_mov_b32_e32 v18, v71
	v_mov_b32_e32 v21, v19
	v_pk_mul_f32 v[18:19], v[52:53], v[18:19] op_sel_hi:[1,0]
	v_pk_add_f32 v[16:17], v[16:17], v[20:21]
	s_waitcnt vmcnt(4)
	v_pk_fma_f32 v[20:21], v[52:53], v[70:71], v[18:19] op_sel:[0,0,1] op_sel_hi:[1,1,0] neg_lo:[0,0,1] neg_hi:[0,0,1]
	v_pk_fma_f32 v[18:19], v[52:53], v[70:71], v[18:19] op_sel:[0,0,1] op_sel_hi:[1,0,0]
	v_mov_b32_e32 v18, v69
	v_mov_b32_e32 v21, v19
	s_waitcnt lgkmcnt(2)
	v_pk_mul_f32 v[18:19], v[6:7], v[18:19] op_sel_hi:[1,0]
	v_pk_add_f32 v[16:17], v[16:17], v[20:21]
	v_pk_fma_f32 v[20:21], v[6:7], v[68:69], v[18:19] op_sel:[0,0,1] op_sel_hi:[1,1,0] neg_lo:[0,0,1] neg_hi:[0,0,1]
	v_pk_fma_f32 v[6:7], v[6:7], v[68:69], v[18:19] op_sel:[0,0,1] op_sel_hi:[1,0,0]
	v_mov_b32_e32 v21, v7
	v_pk_add_f32 v[6:7], v[16:17], v[20:21]
	v_mov_b32_e32 v16, v67
	v_pk_mul_f32 v[16:17], v[8:9], v[16:17] op_sel_hi:[1,0]
	v_pk_fma_f32 v[18:19], v[8:9], v[66:67], v[16:17] op_sel:[0,0,1] op_sel_hi:[1,1,0] neg_lo:[0,0,1] neg_hi:[0,0,1]
	v_pk_fma_f32 v[8:9], v[8:9], v[66:67], v[16:17] op_sel:[0,0,1] op_sel_hi:[1,0,0]
	v_mov_b32_e32 v8, v65
	v_mov_b32_e32 v19, v9
	s_waitcnt lgkmcnt(1)
	v_pk_mul_f32 v[8:9], v[10:11], v[8:9] op_sel_hi:[1,0]
	v_pk_fma_f32 v[16:17], v[10:11], v[64:65], v[8:9] op_sel:[0,0,1] op_sel_hi:[1,1,0] neg_lo:[0,0,1] neg_hi:[0,0,1]
	v_pk_fma_f32 v[8:9], v[10:11], v[64:65], v[8:9] op_sel:[0,0,1] op_sel_hi:[1,0,0]
	s_waitcnt vmcnt(1)
	v_mov_b32_e32 v8, v75
	v_mov_b32_e32 v17, v9
	v_pk_mul_f32 v[8:9], v[12:13], v[8:9] op_sel_hi:[1,0]
	s_waitcnt vmcnt(0)
	v_pk_fma_f32 v[10:11], v[12:13], v[74:75], v[8:9] op_sel:[0,0,1] op_sel_hi:[1,1,0] neg_lo:[0,0,1] neg_hi:[0,0,1]
	v_pk_fma_f32 v[8:9], v[12:13], v[74:75], v[8:9] op_sel:[0,0,1] op_sel_hi:[1,0,0]
	v_pk_add_f32 v[6:7], v[6:7], v[18:19]
	v_mov_b32_e32 v8, v73
	v_pk_add_f32 v[6:7], v[6:7], v[16:17]
	v_mov_b32_e32 v11, v9
	s_waitcnt lgkmcnt(0)
	v_pk_mul_f32 v[8:9], v[14:15], v[8:9] op_sel_hi:[1,0]
	v_pk_add_f32 v[6:7], v[6:7], v[10:11]
	v_pk_fma_f32 v[10:11], v[14:15], v[72:73], v[8:9] op_sel:[0,0,1] op_sel_hi:[1,1,0] neg_lo:[0,0,1] neg_hi:[0,0,1]
	v_pk_fma_f32 v[8:9], v[14:15], v[72:73], v[8:9] op_sel:[0,0,1] op_sel_hi:[1,0,0]
	v_mov_b32_e32 v11, v9
	v_pk_add_f32 v[6:7], v[6:7], v[10:11]
	v_pk_add_f32 v[2:3], v[2:3], v[6:7] neg_lo:[0,1] neg_hi:[0,1]
	buffer_store_dword v3, off, s[0:3], 0 offset:228
	buffer_store_dword v2, off, s[0:3], 0 offset:224
	s_and_saveexec_b64 s[4:5], vcc
	s_cbranch_execz .LBB121_307
; %bb.306:
	buffer_load_dword v2, off, s[0:3], 0 offset:216
	buffer_load_dword v3, off, s[0:3], 0 offset:220
	s_waitcnt vmcnt(0)
	ds_write_b64 v175, v[2:3]
	buffer_store_dword v4, off, s[0:3], 0 offset:216
	buffer_store_dword v4, off, s[0:3], 0 offset:220
.LBB121_307:
	s_or_b64 exec, exec, s[4:5]
	s_waitcnt lgkmcnt(0)
	; wave barrier
	s_waitcnt lgkmcnt(0)
	buffer_load_dword v5, off, s[0:3], 0 offset:228
	buffer_load_dword v56, off, s[0:3], 0 offset:236
	;; [unrolled: 1-line block ×46, first 2 shown]
	ds_read_b128 v[6:9], v4 offset:688
	ds_read_b128 v[10:13], v4 offset:704
	;; [unrolled: 1-line block ×8, first 2 shown]
	v_cmp_lt_u32_e32 vcc, 26, v0
	s_waitcnt vmcnt(45) lgkmcnt(7)
	v_mul_f32_e32 v38, v6, v5
	s_waitcnt vmcnt(44)
	v_mul_f32_e32 v39, v8, v56
	s_waitcnt vmcnt(43) lgkmcnt(6)
	v_mul_f32_e32 v40, v10, v58
	s_waitcnt vmcnt(42)
	v_mul_f32_e32 v41, v12, v60
	;; [unrolled: 4-line block ×6, first 2 shown]
	s_waitcnt vmcnt(33) lgkmcnt(1)
	v_mul_f32_e32 v50, v30, v84
	s_waitcnt vmcnt(32)
	v_fmac_f32_e32 v38, v7, v85
	s_waitcnt vmcnt(31)
	v_fmac_f32_e32 v39, v9, v86
	v_add_f32_e32 v38, 0, v38
	s_waitcnt vmcnt(30)
	v_fmac_f32_e32 v40, v11, v87
	v_add_f32_e32 v38, v38, v39
	;; [unrolled: 3-line block ×12, first 2 shown]
	s_waitcnt vmcnt(19)
	v_mul_f32_e32 v39, v32, v98
	v_add_f32_e32 v38, v38, v50
	s_waitcnt vmcnt(18)
	v_fmac_f32_e32 v39, v33, v99
	v_add_f32_e32 v38, v38, v39
	s_waitcnt vmcnt(17) lgkmcnt(0)
	v_mul_f32_e32 v39, v34, v100
	s_waitcnt vmcnt(16)
	v_fmac_f32_e32 v39, v35, v101
	v_add_f32_e32 v42, v38, v39
	ds_read_b128 v[38:41], v4 offset:816
	s_waitcnt vmcnt(15)
	v_mul_f32_e32 v43, v36, v102
	s_waitcnt vmcnt(14)
	v_fmac_f32_e32 v43, v37, v103
	v_add_f32_e32 v46, v42, v43
	ds_read_b128 v[42:45], v4 offset:832
	buffer_load_dword v55, off, s[0:3], 0 offset:404
	buffer_load_dword v54, off, s[0:3], 0 offset:400
	s_waitcnt vmcnt(15) lgkmcnt(1)
	v_mul_f32_e32 v47, v38, v104
	s_waitcnt vmcnt(14)
	v_fmac_f32_e32 v47, v39, v105
	v_add_f32_e32 v46, v46, v47
	s_waitcnt vmcnt(13)
	v_mul_f32_e32 v47, v40, v106
	s_waitcnt vmcnt(12)
	v_fmac_f32_e32 v47, v41, v107
	v_add_f32_e32 v46, v46, v47
	s_waitcnt vmcnt(11) lgkmcnt(0)
	v_mul_f32_e32 v47, v42, v108
	s_waitcnt vmcnt(10)
	v_fmac_f32_e32 v47, v43, v109
	s_waitcnt vmcnt(9)
	v_mul_f32_e32 v51, v44, v110
	v_add_f32_e32 v50, v46, v47
	s_waitcnt vmcnt(8)
	v_fmac_f32_e32 v51, v45, v111
	ds_read_b128 v[46:49], v4 offset:848
	v_add_f32_e32 v57, v50, v51
	ds_read_b128 v[50:53], v4 offset:864
	buffer_load_dword v63, off, s[0:3], 0 offset:436
	buffer_load_dword v62, off, s[0:3], 0 offset:432
	;; [unrolled: 1-line block ×14, first 2 shown]
	v_mul_f32_e32 v5, v7, v5
	v_fma_f32 v5, v6, v85, -v5
	v_mul_f32_e32 v6, v9, v56
	v_add_f32_e32 v5, 0, v5
	v_fma_f32 v6, v8, v86, -v6
	v_add_f32_e32 v5, v5, v6
	v_mul_f32_e32 v6, v11, v58
	v_fma_f32 v6, v10, v87, -v6
	v_add_f32_e32 v5, v5, v6
	v_mul_f32_e32 v6, v13, v60
	v_fma_f32 v6, v12, v88, -v6
	v_add_f32_e32 v5, v5, v6
	v_mul_f32_e32 v6, v15, v76
	v_fma_f32 v6, v14, v89, -v6
	v_add_f32_e32 v5, v5, v6
	v_mul_f32_e32 v6, v17, v77
	v_fma_f32 v6, v16, v90, -v6
	v_add_f32_e32 v5, v5, v6
	v_mul_f32_e32 v6, v19, v78
	v_fma_f32 v6, v18, v91, -v6
	v_add_f32_e32 v5, v5, v6
	v_mul_f32_e32 v6, v21, v79
	v_fma_f32 v6, v20, v92, -v6
	v_add_f32_e32 v5, v5, v6
	v_mul_f32_e32 v6, v23, v80
	v_fma_f32 v6, v22, v93, -v6
	v_add_f32_e32 v5, v5, v6
	v_mul_f32_e32 v6, v25, v81
	v_fma_f32 v6, v24, v94, -v6
	v_add_f32_e32 v5, v5, v6
	v_mul_f32_e32 v6, v27, v82
	v_fma_f32 v6, v26, v95, -v6
	v_add_f32_e32 v5, v5, v6
	v_mul_f32_e32 v6, v29, v83
	v_fma_f32 v6, v28, v96, -v6
	v_add_f32_e32 v5, v5, v6
	v_mul_f32_e32 v6, v31, v84
	v_fma_f32 v6, v30, v97, -v6
	v_add_f32_e32 v5, v5, v6
	v_mul_f32_e32 v6, v33, v98
	v_fma_f32 v6, v32, v99, -v6
	v_add_f32_e32 v5, v5, v6
	v_mul_f32_e32 v6, v35, v100
	v_fma_f32 v6, v34, v101, -v6
	v_add_f32_e32 v5, v5, v6
	v_mul_f32_e32 v6, v37, v102
	v_fma_f32 v6, v36, v103, -v6
	v_add_f32_e32 v5, v5, v6
	v_mul_f32_e32 v6, v39, v104
	v_fma_f32 v6, v38, v105, -v6
	v_add_f32_e32 v5, v5, v6
	v_mul_f32_e32 v6, v41, v106
	v_fma_f32 v6, v40, v107, -v6
	v_add_f32_e32 v5, v5, v6
	v_mul_f32_e32 v6, v43, v108
	v_fma_f32 v6, v42, v109, -v6
	v_add_f32_e32 v5, v5, v6
	v_mul_f32_e32 v6, v45, v110
	v_fma_f32 v6, v44, v111, -v6
	s_waitcnt vmcnt(21) lgkmcnt(1)
	v_mul_f32_e32 v59, v46, v112
	v_add_f32_e32 v56, v5, v6
	v_mul_f32_e32 v5, v47, v112
	s_waitcnt vmcnt(20)
	v_fmac_f32_e32 v59, v47, v113
	s_waitcnt vmcnt(15)
	v_mov_b32_e32 v18, v55
	s_waitcnt lgkmcnt(0)
	v_pk_mul_f32 v[18:19], v[50:51], v[18:19] op_sel_hi:[1,0]
	v_mul_f32_e32 v61, v48, v114
	v_fma_f32 v58, v46, v113, -v5
	v_mul_f32_e32 v5, v49, v114
	s_waitcnt vmcnt(14)
	v_pk_fma_f32 v[20:21], v[50:51], v[54:55], v[18:19] op_sel:[0,0,1] op_sel_hi:[1,1,0] neg_lo:[0,0,1] neg_hi:[0,0,1]
	v_pk_fma_f32 v[18:19], v[50:51], v[54:55], v[18:19] op_sel:[0,0,1] op_sel_hi:[1,0,0]
	v_fmac_f32_e32 v61, v49, v115
	v_fma_f32 v60, v48, v115, -v5
	ds_read_b128 v[6:9], v4 offset:880
	ds_read_b128 v[10:13], v4 offset:896
	;; [unrolled: 1-line block ×3, first 2 shown]
	v_pk_add_f32 v[4:5], v[56:57], v[58:59]
	s_waitcnt vmcnt(7)
	v_mov_b32_e32 v18, v69
	v_pk_add_f32 v[4:5], v[4:5], v[60:61]
	v_mov_b32_e32 v21, v19
	v_pk_mul_f32 v[18:19], v[52:53], v[18:19] op_sel_hi:[1,0]
	v_pk_add_f32 v[4:5], v[4:5], v[20:21]
	s_waitcnt vmcnt(6)
	v_pk_fma_f32 v[20:21], v[52:53], v[68:69], v[18:19] op_sel:[0,0,1] op_sel_hi:[1,1,0] neg_lo:[0,0,1] neg_hi:[0,0,1]
	v_pk_fma_f32 v[18:19], v[52:53], v[68:69], v[18:19] op_sel:[0,0,1] op_sel_hi:[1,0,0]
	v_mov_b32_e32 v18, v67
	v_mov_b32_e32 v21, v19
	s_waitcnt lgkmcnt(2)
	v_pk_mul_f32 v[18:19], v[6:7], v[18:19] op_sel_hi:[1,0]
	v_pk_add_f32 v[4:5], v[4:5], v[20:21]
	v_pk_fma_f32 v[20:21], v[6:7], v[66:67], v[18:19] op_sel:[0,0,1] op_sel_hi:[1,1,0] neg_lo:[0,0,1] neg_hi:[0,0,1]
	v_pk_fma_f32 v[6:7], v[6:7], v[66:67], v[18:19] op_sel:[0,0,1] op_sel_hi:[1,0,0]
	v_mov_b32_e32 v6, v65
	v_mov_b32_e32 v21, v7
	v_pk_mul_f32 v[6:7], v[8:9], v[6:7] op_sel_hi:[1,0]
	v_pk_fma_f32 v[18:19], v[8:9], v[64:65], v[6:7] op_sel:[0,0,1] op_sel_hi:[1,1,0] neg_lo:[0,0,1] neg_hi:[0,0,1]
	v_pk_fma_f32 v[6:7], v[8:9], v[64:65], v[6:7] op_sel:[0,0,1] op_sel_hi:[1,0,0]
	v_mov_b32_e32 v6, v63
	v_mov_b32_e32 v19, v7
	s_waitcnt lgkmcnt(1)
	v_pk_mul_f32 v[6:7], v[10:11], v[6:7] op_sel_hi:[1,0]
	v_pk_fma_f32 v[8:9], v[10:11], v[62:63], v[6:7] op_sel:[0,0,1] op_sel_hi:[1,1,0] neg_lo:[0,0,1] neg_hi:[0,0,1]
	v_pk_fma_f32 v[6:7], v[10:11], v[62:63], v[6:7] op_sel:[0,0,1] op_sel_hi:[1,0,0]
	v_pk_add_f32 v[4:5], v[4:5], v[20:21]
	s_waitcnt vmcnt(1)
	v_mov_b32_e32 v6, v75
	v_pk_add_f32 v[4:5], v[4:5], v[18:19]
	v_mov_b32_e32 v9, v7
	v_pk_mul_f32 v[6:7], v[12:13], v[6:7] op_sel_hi:[1,0]
	v_pk_add_f32 v[4:5], v[4:5], v[8:9]
	s_waitcnt vmcnt(0)
	v_pk_fma_f32 v[8:9], v[12:13], v[74:75], v[6:7] op_sel:[0,0,1] op_sel_hi:[1,1,0] neg_lo:[0,0,1] neg_hi:[0,0,1]
	v_pk_fma_f32 v[6:7], v[12:13], v[74:75], v[6:7] op_sel:[0,0,1] op_sel_hi:[1,0,0]
	v_mov_b32_e32 v6, v73
	v_mov_b32_e32 v9, v7
	s_waitcnt lgkmcnt(0)
	v_pk_mul_f32 v[6:7], v[14:15], v[6:7] op_sel_hi:[1,0]
	v_pk_add_f32 v[4:5], v[4:5], v[8:9]
	v_pk_fma_f32 v[8:9], v[14:15], v[72:73], v[6:7] op_sel:[0,0,1] op_sel_hi:[1,1,0] neg_lo:[0,0,1] neg_hi:[0,0,1]
	v_pk_fma_f32 v[6:7], v[14:15], v[72:73], v[6:7] op_sel:[0,0,1] op_sel_hi:[1,0,0]
	v_mov_b32_e32 v6, v71
	v_mov_b32_e32 v9, v7
	v_pk_mul_f32 v[6:7], v[16:17], v[6:7] op_sel_hi:[1,0]
	v_pk_add_f32 v[4:5], v[4:5], v[8:9]
	v_pk_fma_f32 v[8:9], v[16:17], v[70:71], v[6:7] op_sel:[0,0,1] op_sel_hi:[1,1,0] neg_lo:[0,0,1] neg_hi:[0,0,1]
	v_pk_fma_f32 v[6:7], v[16:17], v[70:71], v[6:7] op_sel:[0,0,1] op_sel_hi:[1,0,0]
	v_mov_b32_e32 v9, v7
	v_pk_add_f32 v[4:5], v[4:5], v[8:9]
	v_pk_add_f32 v[2:3], v[2:3], v[4:5] neg_lo:[0,1] neg_hi:[0,1]
	buffer_store_dword v3, off, s[0:3], 0 offset:220
	buffer_store_dword v2, off, s[0:3], 0 offset:216
	s_and_saveexec_b64 s[4:5], vcc
	s_cbranch_execz .LBB121_309
; %bb.308:
	buffer_load_dword v2, off, s[0:3], 0 offset:208
	buffer_load_dword v3, off, s[0:3], 0 offset:212
	v_mov_b32_e32 v4, 0
	buffer_store_dword v4, off, s[0:3], 0 offset:208
	buffer_store_dword v4, off, s[0:3], 0 offset:212
	s_waitcnt vmcnt(2)
	ds_write_b64 v175, v[2:3]
.LBB121_309:
	s_or_b64 exec, exec, s[4:5]
	s_waitcnt lgkmcnt(0)
	; wave barrier
	s_waitcnt lgkmcnt(0)
	buffer_load_dword v5, off, s[0:3], 0 offset:220
	buffer_load_dword v54, off, s[0:3], 0 offset:228
	;; [unrolled: 1-line block ×48, first 2 shown]
	v_mov_b32_e32 v4, 0
	ds_read2_b64 v[6:9], v4 offset0:85 offset1:86
	ds_read2_b64 v[10:13], v4 offset0:87 offset1:88
	;; [unrolled: 1-line block ×6, first 2 shown]
	v_cmp_lt_u32_e32 vcc, 25, v0
	s_waitcnt vmcnt(47) lgkmcnt(5)
	v_mul_f32_e32 v30, v6, v5
	s_waitcnt vmcnt(46)
	v_mul_f32_e32 v31, v8, v54
	s_waitcnt vmcnt(45) lgkmcnt(4)
	v_mul_f32_e32 v32, v10, v56
	s_waitcnt vmcnt(44)
	v_mul_f32_e32 v33, v12, v58
	;; [unrolled: 4-line block ×6, first 2 shown]
	s_waitcnt vmcnt(35)
	v_fmac_f32_e32 v30, v7, v84
	s_waitcnt vmcnt(34)
	v_fmac_f32_e32 v31, v9, v85
	v_add_f32_e32 v30, 0, v30
	s_waitcnt vmcnt(33)
	v_fmac_f32_e32 v32, v11, v86
	v_add_f32_e32 v30, v30, v31
	;; [unrolled: 3-line block ×8, first 2 shown]
	v_add_f32_e32 v34, v30, v38
	ds_read2_b64 v[30:33], v4 offset0:97 offset1:98
	s_waitcnt vmcnt(26)
	v_fmac_f32_e32 v39, v25, v93
	s_waitcnt vmcnt(25)
	v_fmac_f32_e32 v40, v27, v94
	v_add_f32_e32 v34, v34, v39
	s_waitcnt vmcnt(24)
	v_fmac_f32_e32 v41, v29, v95
	v_add_f32_e32 v34, v34, v40
	v_add_f32_e32 v38, v34, v41
	ds_read2_b64 v[34:37], v4 offset0:99 offset1:100
	s_waitcnt vmcnt(23) lgkmcnt(1)
	v_mul_f32_e32 v39, v30, v96
	s_waitcnt vmcnt(22)
	v_fmac_f32_e32 v39, v31, v97
	v_add_f32_e32 v38, v38, v39
	s_waitcnt vmcnt(21)
	v_mul_f32_e32 v39, v32, v98
	s_waitcnt vmcnt(20)
	v_fmac_f32_e32 v39, v33, v99
	v_add_f32_e32 v38, v38, v39
	s_waitcnt vmcnt(19) lgkmcnt(0)
	v_mul_f32_e32 v39, v34, v100
	s_waitcnt vmcnt(18)
	v_fmac_f32_e32 v39, v35, v101
	v_add_f32_e32 v42, v38, v39
	ds_read2_b64 v[38:41], v4 offset0:101 offset1:102
	s_waitcnt vmcnt(17)
	v_mul_f32_e32 v43, v36, v102
	s_waitcnt vmcnt(16)
	v_fmac_f32_e32 v43, v37, v103
	v_add_f32_e32 v46, v42, v43
	ds_read2_b64 v[42:45], v4 offset0:103 offset1:104
	s_waitcnt vmcnt(15) lgkmcnt(1)
	v_mul_f32_e32 v47, v38, v104
	s_waitcnt vmcnt(14)
	v_fmac_f32_e32 v47, v39, v105
	v_add_f32_e32 v46, v46, v47
	s_waitcnt vmcnt(13)
	v_mul_f32_e32 v47, v40, v106
	s_waitcnt vmcnt(12)
	v_fmac_f32_e32 v47, v41, v107
	v_add_f32_e32 v46, v46, v47
	s_waitcnt vmcnt(11) lgkmcnt(0)
	v_mul_f32_e32 v47, v42, v108
	s_waitcnt vmcnt(10)
	v_fmac_f32_e32 v47, v43, v109
	s_waitcnt vmcnt(9)
	v_mul_f32_e32 v51, v44, v110
	v_add_f32_e32 v50, v46, v47
	s_waitcnt vmcnt(8)
	v_fmac_f32_e32 v51, v45, v111
	ds_read2_b64 v[46:49], v4 offset0:105 offset1:106
	v_add_f32_e32 v55, v50, v51
	ds_read2_b64 v[50:53], v4 offset0:107 offset1:108
	buffer_load_dword v61, off, s[0:3], 0 offset:428
	buffer_load_dword v60, off, s[0:3], 0 offset:424
	;; [unrolled: 1-line block ×16, first 2 shown]
	v_mul_f32_e32 v5, v7, v5
	v_fma_f32 v5, v6, v84, -v5
	v_mul_f32_e32 v6, v9, v54
	v_add_f32_e32 v5, 0, v5
	v_fma_f32 v6, v8, v85, -v6
	v_add_f32_e32 v5, v5, v6
	v_mul_f32_e32 v6, v11, v56
	v_fma_f32 v6, v10, v86, -v6
	v_add_f32_e32 v5, v5, v6
	v_mul_f32_e32 v6, v13, v58
	;; [unrolled: 3-line block ×18, first 2 shown]
	v_fma_f32 v6, v44, v111, -v6
	s_waitcnt vmcnt(22) lgkmcnt(1)
	v_mul_f32_e32 v57, v46, v113
	v_add_f32_e32 v5, v5, v6
	v_mul_f32_e32 v6, v47, v113
	v_fmac_f32_e32 v57, v47, v112
	v_fma_f32 v6, v46, v112, -v6
	v_add_f32_e32 v55, v55, v57
	s_waitcnt vmcnt(19)
	v_mul_f32_e32 v57, v48, v114
	v_add_f32_e32 v54, v5, v6
	v_mul_f32_e32 v5, v49, v114
	s_waitcnt vmcnt(18)
	v_fmac_f32_e32 v57, v49, v115
	s_waitcnt vmcnt(17) lgkmcnt(0)
	v_mul_f32_e32 v59, v50, v116
	s_waitcnt vmcnt(9)
	v_mov_b32_e32 v22, v67
	v_pk_mul_f32 v[22:23], v[52:53], v[22:23] op_sel_hi:[1,0]
	v_fma_f32 v56, v48, v115, -v5
	v_mul_f32_e32 v5, v51, v116
	ds_read2_b64 v[6:9], v4 offset0:109 offset1:110
	ds_read2_b64 v[10:13], v4 offset0:111 offset1:112
	;; [unrolled: 1-line block ×3, first 2 shown]
	ds_read_b64 v[18:19], v4 offset:920
	s_waitcnt vmcnt(8)
	v_pk_fma_f32 v[24:25], v[52:53], v[66:67], v[22:23] op_sel:[0,0,1] op_sel_hi:[1,1,0] neg_lo:[0,0,1] neg_hi:[0,0,1]
	v_pk_fma_f32 v[22:23], v[52:53], v[66:67], v[22:23] op_sel:[0,0,1] op_sel_hi:[1,0,0]
	v_fmac_f32_e32 v59, v51, v117
	v_fma_f32 v58, v50, v117, -v5
	v_pk_add_f32 v[20:21], v[54:55], v[56:57]
	v_mov_b32_e32 v22, v65
	v_pk_add_f32 v[20:21], v[20:21], v[58:59]
	v_mov_b32_e32 v25, v23
	s_waitcnt lgkmcnt(3)
	v_pk_mul_f32 v[22:23], v[6:7], v[22:23] op_sel_hi:[1,0]
	v_pk_add_f32 v[20:21], v[20:21], v[24:25]
	v_pk_fma_f32 v[24:25], v[6:7], v[64:65], v[22:23] op_sel:[0,0,1] op_sel_hi:[1,1,0] neg_lo:[0,0,1] neg_hi:[0,0,1]
	v_pk_fma_f32 v[6:7], v[6:7], v[64:65], v[22:23] op_sel:[0,0,1] op_sel_hi:[1,0,0]
	v_mov_b32_e32 v25, v7
	v_pk_add_f32 v[6:7], v[20:21], v[24:25]
	v_mov_b32_e32 v20, v63
	v_pk_mul_f32 v[20:21], v[8:9], v[20:21] op_sel_hi:[1,0]
	v_pk_fma_f32 v[22:23], v[8:9], v[62:63], v[20:21] op_sel:[0,0,1] op_sel_hi:[1,1,0] neg_lo:[0,0,1] neg_hi:[0,0,1]
	v_pk_fma_f32 v[8:9], v[8:9], v[62:63], v[20:21] op_sel:[0,0,1] op_sel_hi:[1,0,0]
	v_mov_b32_e32 v8, v61
	v_mov_b32_e32 v23, v9
	s_waitcnt lgkmcnt(2)
	v_pk_mul_f32 v[8:9], v[10:11], v[8:9] op_sel_hi:[1,0]
	v_pk_fma_f32 v[20:21], v[10:11], v[60:61], v[8:9] op_sel:[0,0,1] op_sel_hi:[1,1,0] neg_lo:[0,0,1] neg_hi:[0,0,1]
	v_pk_fma_f32 v[8:9], v[10:11], v[60:61], v[8:9] op_sel:[0,0,1] op_sel_hi:[1,0,0]
	s_waitcnt vmcnt(1)
	v_mov_b32_e32 v8, v75
	v_mov_b32_e32 v21, v9
	v_pk_mul_f32 v[8:9], v[12:13], v[8:9] op_sel_hi:[1,0]
	s_waitcnt vmcnt(0)
	v_pk_fma_f32 v[10:11], v[12:13], v[74:75], v[8:9] op_sel:[0,0,1] op_sel_hi:[1,1,0] neg_lo:[0,0,1] neg_hi:[0,0,1]
	v_pk_fma_f32 v[8:9], v[12:13], v[74:75], v[8:9] op_sel:[0,0,1] op_sel_hi:[1,0,0]
	v_pk_add_f32 v[6:7], v[6:7], v[22:23]
	v_mov_b32_e32 v8, v73
	v_pk_add_f32 v[6:7], v[6:7], v[20:21]
	v_mov_b32_e32 v11, v9
	s_waitcnt lgkmcnt(1)
	v_pk_mul_f32 v[8:9], v[14:15], v[8:9] op_sel_hi:[1,0]
	v_pk_add_f32 v[6:7], v[6:7], v[10:11]
	v_pk_fma_f32 v[10:11], v[14:15], v[72:73], v[8:9] op_sel:[0,0,1] op_sel_hi:[1,1,0] neg_lo:[0,0,1] neg_hi:[0,0,1]
	v_pk_fma_f32 v[8:9], v[14:15], v[72:73], v[8:9] op_sel:[0,0,1] op_sel_hi:[1,0,0]
	v_mov_b32_e32 v8, v71
	v_mov_b32_e32 v11, v9
	v_pk_mul_f32 v[8:9], v[16:17], v[8:9] op_sel_hi:[1,0]
	v_pk_add_f32 v[6:7], v[6:7], v[10:11]
	v_pk_fma_f32 v[10:11], v[16:17], v[70:71], v[8:9] op_sel:[0,0,1] op_sel_hi:[1,1,0] neg_lo:[0,0,1] neg_hi:[0,0,1]
	v_pk_fma_f32 v[8:9], v[16:17], v[70:71], v[8:9] op_sel:[0,0,1] op_sel_hi:[1,0,0]
	v_mov_b32_e32 v8, v69
	v_mov_b32_e32 v11, v9
	s_waitcnt lgkmcnt(0)
	v_pk_mul_f32 v[8:9], v[18:19], v[8:9] op_sel_hi:[1,0]
	v_pk_add_f32 v[6:7], v[6:7], v[10:11]
	v_pk_fma_f32 v[10:11], v[18:19], v[68:69], v[8:9] op_sel:[0,0,1] op_sel_hi:[1,1,0] neg_lo:[0,0,1] neg_hi:[0,0,1]
	v_pk_fma_f32 v[8:9], v[18:19], v[68:69], v[8:9] op_sel:[0,0,1] op_sel_hi:[1,0,0]
	v_mov_b32_e32 v11, v9
	v_pk_add_f32 v[6:7], v[6:7], v[10:11]
	v_pk_add_f32 v[2:3], v[2:3], v[6:7] neg_lo:[0,1] neg_hi:[0,1]
	buffer_store_dword v3, off, s[0:3], 0 offset:212
	buffer_store_dword v2, off, s[0:3], 0 offset:208
	s_and_saveexec_b64 s[4:5], vcc
	s_cbranch_execz .LBB121_311
; %bb.310:
	buffer_load_dword v2, off, s[0:3], 0 offset:200
	buffer_load_dword v3, off, s[0:3], 0 offset:204
	s_waitcnt vmcnt(0)
	ds_write_b64 v175, v[2:3]
	buffer_store_dword v4, off, s[0:3], 0 offset:200
	buffer_store_dword v4, off, s[0:3], 0 offset:204
.LBB121_311:
	s_or_b64 exec, exec, s[4:5]
	s_waitcnt lgkmcnt(0)
	; wave barrier
	s_waitcnt lgkmcnt(0)
	buffer_load_dword v5, off, s[0:3], 0 offset:212
	buffer_load_dword v54, off, s[0:3], 0 offset:220
	;; [unrolled: 1-line block ×48, first 2 shown]
	ds_read_b128 v[6:9], v4 offset:672
	ds_read_b128 v[10:13], v4 offset:688
	;; [unrolled: 1-line block ×6, first 2 shown]
	buffer_load_dword v118, off, s[0:3], 0 offset:392
	buffer_load_dword v119, off, s[0:3], 0 offset:396
	v_cmp_lt_u32_e32 vcc, 24, v0
	s_waitcnt vmcnt(49) lgkmcnt(5)
	v_mul_f32_e32 v30, v6, v5
	s_waitcnt vmcnt(48)
	v_mul_f32_e32 v31, v8, v54
	s_waitcnt vmcnt(47) lgkmcnt(4)
	v_mul_f32_e32 v32, v10, v56
	s_waitcnt vmcnt(46)
	v_mul_f32_e32 v33, v12, v64
	;; [unrolled: 4-line block ×6, first 2 shown]
	s_waitcnt vmcnt(37)
	v_fmac_f32_e32 v30, v7, v84
	s_waitcnt vmcnt(36)
	v_fmac_f32_e32 v31, v9, v85
	v_add_f32_e32 v30, 0, v30
	s_waitcnt vmcnt(35)
	v_fmac_f32_e32 v32, v11, v86
	v_add_f32_e32 v30, v30, v31
	;; [unrolled: 3-line block ×9, first 2 shown]
	v_add_f32_e32 v34, v30, v39
	ds_read_b128 v[30:33], v4 offset:768
	s_waitcnt vmcnt(27)
	v_fmac_f32_e32 v40, v27, v94
	v_add_f32_e32 v34, v34, v40
	s_waitcnt vmcnt(26)
	v_fmac_f32_e32 v41, v29, v95
	v_add_f32_e32 v38, v34, v41
	ds_read_b128 v[34:37], v4 offset:784
	s_waitcnt vmcnt(25) lgkmcnt(1)
	v_mul_f32_e32 v39, v30, v96
	s_waitcnt vmcnt(24)
	v_fmac_f32_e32 v39, v31, v97
	v_add_f32_e32 v38, v38, v39
	s_waitcnt vmcnt(23)
	v_mul_f32_e32 v39, v32, v98
	s_waitcnt vmcnt(22)
	v_fmac_f32_e32 v39, v33, v99
	v_add_f32_e32 v38, v38, v39
	s_waitcnt vmcnt(21) lgkmcnt(0)
	v_mul_f32_e32 v39, v34, v100
	s_waitcnt vmcnt(20)
	v_fmac_f32_e32 v39, v35, v101
	v_add_f32_e32 v42, v38, v39
	ds_read_b128 v[38:41], v4 offset:800
	s_waitcnt vmcnt(19)
	v_mul_f32_e32 v43, v36, v102
	s_waitcnt vmcnt(18)
	v_fmac_f32_e32 v43, v37, v103
	v_add_f32_e32 v46, v42, v43
	ds_read_b128 v[42:45], v4 offset:816
	s_waitcnt vmcnt(17) lgkmcnt(1)
	v_mul_f32_e32 v47, v38, v104
	s_waitcnt vmcnt(16)
	v_fmac_f32_e32 v47, v39, v105
	v_add_f32_e32 v46, v46, v47
	s_waitcnt vmcnt(15)
	v_mul_f32_e32 v47, v40, v106
	s_waitcnt vmcnt(14)
	v_fmac_f32_e32 v47, v41, v107
	v_add_f32_e32 v46, v46, v47
	s_waitcnt vmcnt(13) lgkmcnt(0)
	v_mul_f32_e32 v47, v42, v108
	s_waitcnt vmcnt(12)
	v_fmac_f32_e32 v47, v43, v109
	s_waitcnt vmcnt(11)
	v_mul_f32_e32 v51, v44, v110
	v_add_f32_e32 v50, v46, v47
	s_waitcnt vmcnt(10)
	v_fmac_f32_e32 v51, v45, v111
	ds_read_b128 v[46:49], v4 offset:832
	v_add_f32_e32 v55, v50, v51
	ds_read_b128 v[50:53], v4 offset:848
	buffer_load_dword v59, off, s[0:3], 0 offset:420
	buffer_load_dword v58, off, s[0:3], 0 offset:416
	;; [unrolled: 1-line block ×16, first 2 shown]
	v_mul_f32_e32 v5, v7, v5
	v_fma_f32 v5, v6, v84, -v5
	v_mul_f32_e32 v6, v9, v54
	v_add_f32_e32 v5, 0, v5
	v_fma_f32 v6, v8, v85, -v6
	v_add_f32_e32 v5, v5, v6
	v_mul_f32_e32 v6, v11, v56
	v_fma_f32 v6, v10, v86, -v6
	v_add_f32_e32 v5, v5, v6
	v_mul_f32_e32 v6, v13, v64
	;; [unrolled: 3-line block ×18, first 2 shown]
	v_fma_f32 v6, v44, v111, -v6
	v_add_f32_e32 v5, v5, v6
	s_waitcnt vmcnt(23) lgkmcnt(1)
	v_mul_f32_e32 v6, v47, v112
	s_waitcnt vmcnt(22)
	v_fma_f32 v6, v46, v113, -v6
	v_add_f32_e32 v5, v5, v6
	s_waitcnt vmcnt(20)
	v_mul_f32_e32 v6, v49, v115
	v_fma_f32 v6, v48, v114, -v6
	v_add_f32_e32 v54, v5, v6
	ds_read_b128 v[6:9], v4 offset:864
	ds_read_b128 v[10:13], v4 offset:880
	;; [unrolled: 1-line block ×4, first 2 shown]
	v_mul_f32_e32 v57, v46, v112
	v_fmac_f32_e32 v57, v47, v113
	v_add_f32_e32 v55, v55, v57
	v_mul_f32_e32 v57, v48, v115
	v_fmac_f32_e32 v57, v49, v114
	v_add_f32_e32 v55, v55, v57
	s_waitcnt vmcnt(18) lgkmcnt(4)
	v_mul_f32_e32 v57, v50, v117
	v_mul_f32_e32 v5, v51, v117
	v_fmac_f32_e32 v57, v51, v116
	s_waitcnt vmcnt(16)
	v_mul_f32_e32 v65, v52, v119
	s_waitcnt vmcnt(11)
	v_mov_b32_e32 v22, v63
	s_waitcnt lgkmcnt(3)
	v_pk_mul_f32 v[22:23], v[6:7], v[22:23] op_sel_hi:[1,0]
	s_waitcnt vmcnt(10)
	v_pk_fma_f32 v[24:25], v[6:7], v[62:63], v[22:23] op_sel:[0,0,1] op_sel_hi:[1,1,0] neg_lo:[0,0,1] neg_hi:[0,0,1]
	v_pk_fma_f32 v[6:7], v[6:7], v[62:63], v[22:23] op_sel:[0,0,1] op_sel_hi:[1,0,0]
	v_mov_b32_e32 v6, v61
	v_mov_b32_e32 v25, v7
	v_pk_mul_f32 v[6:7], v[8:9], v[6:7] op_sel_hi:[1,0]
	v_pk_fma_f32 v[22:23], v[8:9], v[60:61], v[6:7] op_sel:[0,0,1] op_sel_hi:[1,1,0] neg_lo:[0,0,1] neg_hi:[0,0,1]
	v_pk_fma_f32 v[6:7], v[8:9], v[60:61], v[6:7] op_sel:[0,0,1] op_sel_hi:[1,0,0]
	v_fma_f32 v56, v50, v116, -v5
	v_mul_f32_e32 v5, v53, v119
	v_mov_b32_e32 v6, v59
	v_fmac_f32_e32 v65, v53, v118
	v_fma_f32 v64, v52, v118, -v5
	v_pk_add_f32 v[4:5], v[54:55], v[56:57]
	v_mov_b32_e32 v23, v7
	s_waitcnt lgkmcnt(2)
	v_pk_mul_f32 v[6:7], v[10:11], v[6:7] op_sel_hi:[1,0]
	v_pk_add_f32 v[4:5], v[4:5], v[64:65]
	v_pk_fma_f32 v[8:9], v[10:11], v[58:59], v[6:7] op_sel:[0,0,1] op_sel_hi:[1,1,0] neg_lo:[0,0,1] neg_hi:[0,0,1]
	v_pk_fma_f32 v[6:7], v[10:11], v[58:59], v[6:7] op_sel:[0,0,1] op_sel_hi:[1,0,0]
	v_pk_add_f32 v[4:5], v[4:5], v[24:25]
	s_waitcnt vmcnt(3)
	v_mov_b32_e32 v6, v73
	v_pk_add_f32 v[4:5], v[4:5], v[22:23]
	v_mov_b32_e32 v9, v7
	v_pk_mul_f32 v[6:7], v[12:13], v[6:7] op_sel_hi:[1,0]
	v_pk_add_f32 v[4:5], v[4:5], v[8:9]
	s_waitcnt vmcnt(2)
	v_pk_fma_f32 v[8:9], v[12:13], v[72:73], v[6:7] op_sel:[0,0,1] op_sel_hi:[1,1,0] neg_lo:[0,0,1] neg_hi:[0,0,1]
	v_pk_fma_f32 v[6:7], v[12:13], v[72:73], v[6:7] op_sel:[0,0,1] op_sel_hi:[1,0,0]
	v_mov_b32_e32 v6, v71
	v_mov_b32_e32 v9, v7
	s_waitcnt lgkmcnt(1)
	v_pk_mul_f32 v[6:7], v[14:15], v[6:7] op_sel_hi:[1,0]
	v_pk_add_f32 v[4:5], v[4:5], v[8:9]
	v_pk_fma_f32 v[8:9], v[14:15], v[70:71], v[6:7] op_sel:[0,0,1] op_sel_hi:[1,1,0] neg_lo:[0,0,1] neg_hi:[0,0,1]
	v_pk_fma_f32 v[6:7], v[14:15], v[70:71], v[6:7] op_sel:[0,0,1] op_sel_hi:[1,0,0]
	v_mov_b32_e32 v6, v69
	v_mov_b32_e32 v9, v7
	v_pk_mul_f32 v[6:7], v[16:17], v[6:7] op_sel_hi:[1,0]
	v_pk_add_f32 v[4:5], v[4:5], v[8:9]
	v_pk_fma_f32 v[8:9], v[16:17], v[68:69], v[6:7] op_sel:[0,0,1] op_sel_hi:[1,1,0] neg_lo:[0,0,1] neg_hi:[0,0,1]
	v_pk_fma_f32 v[6:7], v[16:17], v[68:69], v[6:7] op_sel:[0,0,1] op_sel_hi:[1,0,0]
	v_mov_b32_e32 v6, v67
	v_mov_b32_e32 v9, v7
	s_waitcnt lgkmcnt(0)
	v_pk_mul_f32 v[6:7], v[18:19], v[6:7] op_sel_hi:[1,0]
	v_pk_add_f32 v[4:5], v[4:5], v[8:9]
	v_pk_fma_f32 v[8:9], v[18:19], v[66:67], v[6:7] op_sel:[0,0,1] op_sel_hi:[1,1,0] neg_lo:[0,0,1] neg_hi:[0,0,1]
	v_pk_fma_f32 v[6:7], v[18:19], v[66:67], v[6:7] op_sel:[0,0,1] op_sel_hi:[1,0,0]
	s_waitcnt vmcnt(1)
	v_mov_b32_e32 v6, v75
	v_mov_b32_e32 v9, v7
	v_pk_mul_f32 v[6:7], v[20:21], v[6:7] op_sel_hi:[1,0]
	v_pk_add_f32 v[4:5], v[4:5], v[8:9]
	s_waitcnt vmcnt(0)
	v_pk_fma_f32 v[8:9], v[20:21], v[74:75], v[6:7] op_sel:[0,0,1] op_sel_hi:[1,1,0] neg_lo:[0,0,1] neg_hi:[0,0,1]
	v_pk_fma_f32 v[6:7], v[20:21], v[74:75], v[6:7] op_sel:[0,0,1] op_sel_hi:[1,0,0]
	v_mov_b32_e32 v9, v7
	v_pk_add_f32 v[4:5], v[4:5], v[8:9]
	v_pk_add_f32 v[2:3], v[2:3], v[4:5] neg_lo:[0,1] neg_hi:[0,1]
	buffer_store_dword v3, off, s[0:3], 0 offset:204
	buffer_store_dword v2, off, s[0:3], 0 offset:200
	s_and_saveexec_b64 s[4:5], vcc
	s_cbranch_execz .LBB121_313
; %bb.312:
	buffer_load_dword v2, off, s[0:3], 0 offset:192
	buffer_load_dword v3, off, s[0:3], 0 offset:196
	v_mov_b32_e32 v4, 0
	buffer_store_dword v4, off, s[0:3], 0 offset:192
	buffer_store_dword v4, off, s[0:3], 0 offset:196
	s_waitcnt vmcnt(2)
	ds_write_b64 v175, v[2:3]
.LBB121_313:
	s_or_b64 exec, exec, s[4:5]
	s_waitcnt lgkmcnt(0)
	; wave barrier
	s_waitcnt lgkmcnt(0)
	buffer_load_dword v5, off, s[0:3], 0 offset:204
	buffer_load_dword v62, off, s[0:3], 0 offset:212
	;; [unrolled: 1-line block ×52, first 2 shown]
	v_mov_b32_e32 v4, 0
	ds_read2_b64 v[6:9], v4 offset0:83 offset1:84
	ds_read2_b64 v[10:13], v4 offset0:85 offset1:86
	;; [unrolled: 1-line block ×6, first 2 shown]
	v_cmp_lt_u32_e32 vcc, 23, v0
	s_waitcnt vmcnt(51) lgkmcnt(5)
	v_mul_f32_e32 v30, v6, v5
	s_waitcnt vmcnt(50)
	v_mul_f32_e32 v31, v8, v62
	s_waitcnt vmcnt(49) lgkmcnt(4)
	v_mul_f32_e32 v32, v10, v68
	s_waitcnt vmcnt(48)
	v_mul_f32_e32 v33, v12, v70
	;; [unrolled: 4-line block ×5, first 2 shown]
	s_waitcnt vmcnt(41) lgkmcnt(0)
	v_mul_f32_e32 v40, v26, v90
	s_waitcnt vmcnt(40)
	v_fmac_f32_e32 v30, v7, v91
	s_waitcnt vmcnt(39)
	v_fmac_f32_e32 v31, v9, v92
	v_add_f32_e32 v30, 0, v30
	s_waitcnt vmcnt(38)
	v_fmac_f32_e32 v32, v11, v93
	v_add_f32_e32 v30, v30, v31
	;; [unrolled: 3-line block ×9, first 2 shown]
	v_add_f32_e32 v30, v30, v39
	s_waitcnt vmcnt(30)
	v_fmac_f32_e32 v40, v27, v101
	v_add_f32_e32 v34, v30, v40
	ds_read2_b64 v[30:33], v4 offset0:95 offset1:96
	s_waitcnt vmcnt(29)
	v_mul_f32_e32 v35, v28, v102
	s_waitcnt vmcnt(28)
	v_fmac_f32_e32 v35, v29, v103
	v_add_f32_e32 v38, v34, v35
	ds_read2_b64 v[34:37], v4 offset0:97 offset1:98
	s_waitcnt vmcnt(27) lgkmcnt(1)
	v_mul_f32_e32 v39, v30, v104
	s_waitcnt vmcnt(26)
	v_fmac_f32_e32 v39, v31, v105
	v_add_f32_e32 v38, v38, v39
	s_waitcnt vmcnt(25)
	v_mul_f32_e32 v39, v32, v106
	s_waitcnt vmcnt(24)
	v_fmac_f32_e32 v39, v33, v107
	v_add_f32_e32 v38, v38, v39
	s_waitcnt vmcnt(23) lgkmcnt(0)
	v_mul_f32_e32 v39, v34, v108
	s_waitcnt vmcnt(22)
	v_fmac_f32_e32 v39, v35, v109
	v_add_f32_e32 v42, v38, v39
	ds_read2_b64 v[38:41], v4 offset0:99 offset1:100
	s_waitcnt vmcnt(21)
	v_mul_f32_e32 v43, v36, v110
	s_waitcnt vmcnt(20)
	v_fmac_f32_e32 v43, v37, v111
	v_add_f32_e32 v46, v42, v43
	ds_read2_b64 v[42:45], v4 offset0:101 offset1:102
	s_waitcnt vmcnt(19) lgkmcnt(1)
	v_mul_f32_e32 v47, v38, v112
	s_waitcnt vmcnt(18)
	v_fmac_f32_e32 v47, v39, v113
	v_add_f32_e32 v46, v46, v47
	s_waitcnt vmcnt(17)
	v_mul_f32_e32 v47, v40, v114
	s_waitcnt vmcnt(16)
	v_fmac_f32_e32 v47, v41, v115
	v_add_f32_e32 v46, v46, v47
	s_waitcnt vmcnt(14) lgkmcnt(0)
	v_mul_f32_e32 v47, v42, v117
	v_fmac_f32_e32 v47, v43, v116
	v_add_f32_e32 v50, v46, v47
	ds_read2_b64 v[46:49], v4 offset0:103 offset1:104
	s_waitcnt vmcnt(10)
	v_mul_f32_e32 v51, v44, v119
	v_fmac_f32_e32 v51, v45, v118
	v_add_f32_e32 v54, v50, v51
	ds_read2_b64 v[50:53], v4 offset0:105 offset1:106
	s_waitcnt vmcnt(8) lgkmcnt(1)
	v_mul_f32_e32 v55, v46, v121
	v_fmac_f32_e32 v55, v47, v120
	v_add_f32_e32 v54, v54, v55
	s_waitcnt vmcnt(6)
	v_mul_f32_e32 v55, v48, v123
	v_fmac_f32_e32 v55, v49, v122
	v_add_f32_e32 v54, v54, v55
	s_waitcnt vmcnt(4) lgkmcnt(0)
	v_mul_f32_e32 v55, v50, v125
	v_fmac_f32_e32 v55, v51, v124
	v_add_f32_e32 v63, v54, v55
	ds_read2_b64 v[54:57], v4 offset0:107 offset1:108
	buffer_load_dword v65, off, s[0:3], 0 offset:412
	buffer_load_dword v64, off, s[0:3], 0 offset:408
	;; [unrolled: 1-line block ×4, first 2 shown]
	ds_read2_b64 v[58:61], v4 offset0:109 offset1:110
	buffer_load_dword v73, off, s[0:3], 0 offset:444
	buffer_load_dword v72, off, s[0:3], 0 offset:440
	;; [unrolled: 1-line block ×12, first 2 shown]
	v_mul_f32_e32 v5, v7, v5
	v_fma_f32 v5, v6, v91, -v5
	v_mul_f32_e32 v6, v9, v62
	v_add_f32_e32 v5, 0, v5
	v_fma_f32 v6, v8, v92, -v6
	v_add_f32_e32 v5, v5, v6
	v_mul_f32_e32 v6, v11, v68
	v_fma_f32 v6, v10, v93, -v6
	v_add_f32_e32 v5, v5, v6
	v_mul_f32_e32 v6, v13, v70
	;; [unrolled: 3-line block ×21, first 2 shown]
	v_fma_f32 v6, v50, v124, -v6
	s_waitcnt vmcnt(18)
	v_mul_f32_e32 v69, v52, v127
	v_add_f32_e32 v62, v5, v6
	v_mul_f32_e32 v5, v53, v127
	v_fmac_f32_e32 v69, v53, v126
	s_waitcnt vmcnt(16) lgkmcnt(1)
	v_mul_f32_e32 v71, v54, v129
	v_fma_f32 v68, v52, v126, -v5
	v_mul_f32_e32 v5, v55, v129
	v_fmac_f32_e32 v71, v55, v128
	s_waitcnt vmcnt(13)
	v_mov_b32_e32 v18, v67
	v_pk_mul_f32 v[18:19], v[56:57], v[18:19] op_sel_hi:[1,0]
	s_waitcnt vmcnt(12)
	v_pk_fma_f32 v[20:21], v[56:57], v[66:67], v[18:19] op_sel:[0,0,1] op_sel_hi:[1,1,0] neg_lo:[0,0,1] neg_hi:[0,0,1]
	v_pk_fma_f32 v[18:19], v[56:57], v[66:67], v[18:19] op_sel:[0,0,1] op_sel_hi:[1,0,0]
	v_fma_f32 v70, v54, v128, -v5
	v_pk_add_f32 v[16:17], v[62:63], v[68:69]
	v_mov_b32_e32 v18, v65
	v_pk_add_f32 v[16:17], v[16:17], v[70:71]
	v_mov_b32_e32 v21, v19
	s_waitcnt lgkmcnt(0)
	v_pk_mul_f32 v[18:19], v[58:59], v[18:19] op_sel_hi:[1,0]
	v_pk_add_f32 v[16:17], v[16:17], v[20:21]
	v_pk_fma_f32 v[20:21], v[58:59], v[64:65], v[18:19] op_sel:[0,0,1] op_sel_hi:[1,1,0] neg_lo:[0,0,1] neg_hi:[0,0,1]
	v_pk_fma_f32 v[18:19], v[58:59], v[64:65], v[18:19] op_sel:[0,0,1] op_sel_hi:[1,0,0]
	s_waitcnt vmcnt(5)
	v_mov_b32_e32 v18, v79
	ds_read2_b64 v[6:9], v4 offset0:111 offset1:112
	ds_read2_b64 v[10:13], v4 offset0:113 offset1:114
	ds_read_b64 v[14:15], v4 offset:920
	v_mov_b32_e32 v21, v19
	v_pk_mul_f32 v[18:19], v[60:61], v[18:19] op_sel_hi:[1,0]
	v_pk_add_f32 v[16:17], v[16:17], v[20:21]
	s_waitcnt vmcnt(4)
	v_pk_fma_f32 v[20:21], v[60:61], v[78:79], v[18:19] op_sel:[0,0,1] op_sel_hi:[1,1,0] neg_lo:[0,0,1] neg_hi:[0,0,1]
	v_pk_fma_f32 v[18:19], v[60:61], v[78:79], v[18:19] op_sel:[0,0,1] op_sel_hi:[1,0,0]
	v_mov_b32_e32 v18, v77
	v_mov_b32_e32 v21, v19
	s_waitcnt lgkmcnt(2)
	v_pk_mul_f32 v[18:19], v[6:7], v[18:19] op_sel_hi:[1,0]
	v_pk_add_f32 v[16:17], v[16:17], v[20:21]
	v_pk_fma_f32 v[20:21], v[6:7], v[76:77], v[18:19] op_sel:[0,0,1] op_sel_hi:[1,1,0] neg_lo:[0,0,1] neg_hi:[0,0,1]
	v_pk_fma_f32 v[6:7], v[6:7], v[76:77], v[18:19] op_sel:[0,0,1] op_sel_hi:[1,0,0]
	v_mov_b32_e32 v21, v7
	v_pk_add_f32 v[6:7], v[16:17], v[20:21]
	v_mov_b32_e32 v16, v75
	v_pk_mul_f32 v[16:17], v[8:9], v[16:17] op_sel_hi:[1,0]
	v_pk_fma_f32 v[18:19], v[8:9], v[74:75], v[16:17] op_sel:[0,0,1] op_sel_hi:[1,1,0] neg_lo:[0,0,1] neg_hi:[0,0,1]
	v_pk_fma_f32 v[8:9], v[8:9], v[74:75], v[16:17] op_sel:[0,0,1] op_sel_hi:[1,0,0]
	v_mov_b32_e32 v8, v73
	v_mov_b32_e32 v19, v9
	s_waitcnt lgkmcnt(1)
	v_pk_mul_f32 v[8:9], v[10:11], v[8:9] op_sel_hi:[1,0]
	v_pk_fma_f32 v[16:17], v[10:11], v[72:73], v[8:9] op_sel:[0,0,1] op_sel_hi:[1,1,0] neg_lo:[0,0,1] neg_hi:[0,0,1]
	v_pk_fma_f32 v[8:9], v[10:11], v[72:73], v[8:9] op_sel:[0,0,1] op_sel_hi:[1,0,0]
	s_waitcnt vmcnt(1)
	v_mov_b32_e32 v8, v83
	v_mov_b32_e32 v17, v9
	v_pk_mul_f32 v[8:9], v[12:13], v[8:9] op_sel_hi:[1,0]
	s_waitcnt vmcnt(0)
	v_pk_fma_f32 v[10:11], v[12:13], v[82:83], v[8:9] op_sel:[0,0,1] op_sel_hi:[1,1,0] neg_lo:[0,0,1] neg_hi:[0,0,1]
	v_pk_fma_f32 v[8:9], v[12:13], v[82:83], v[8:9] op_sel:[0,0,1] op_sel_hi:[1,0,0]
	v_pk_add_f32 v[6:7], v[6:7], v[18:19]
	v_mov_b32_e32 v8, v81
	v_pk_add_f32 v[6:7], v[6:7], v[16:17]
	v_mov_b32_e32 v11, v9
	s_waitcnt lgkmcnt(0)
	v_pk_mul_f32 v[8:9], v[14:15], v[8:9] op_sel_hi:[1,0]
	v_pk_add_f32 v[6:7], v[6:7], v[10:11]
	v_pk_fma_f32 v[10:11], v[14:15], v[80:81], v[8:9] op_sel:[0,0,1] op_sel_hi:[1,1,0] neg_lo:[0,0,1] neg_hi:[0,0,1]
	v_pk_fma_f32 v[8:9], v[14:15], v[80:81], v[8:9] op_sel:[0,0,1] op_sel_hi:[1,0,0]
	v_mov_b32_e32 v11, v9
	v_pk_add_f32 v[6:7], v[6:7], v[10:11]
	v_pk_add_f32 v[2:3], v[2:3], v[6:7] neg_lo:[0,1] neg_hi:[0,1]
	buffer_store_dword v3, off, s[0:3], 0 offset:196
	buffer_store_dword v2, off, s[0:3], 0 offset:192
	s_and_saveexec_b64 s[4:5], vcc
	s_cbranch_execz .LBB121_315
; %bb.314:
	buffer_load_dword v2, off, s[0:3], 0 offset:184
	buffer_load_dword v3, off, s[0:3], 0 offset:188
	s_waitcnt vmcnt(0)
	ds_write_b64 v175, v[2:3]
	buffer_store_dword v4, off, s[0:3], 0 offset:184
	buffer_store_dword v4, off, s[0:3], 0 offset:188
.LBB121_315:
	s_or_b64 exec, exec, s[4:5]
	s_waitcnt lgkmcnt(0)
	; wave barrier
	s_waitcnt lgkmcnt(0)
	buffer_load_dword v5, off, s[0:3], 0 offset:196
	buffer_load_dword v64, off, s[0:3], 0 offset:204
	;; [unrolled: 1-line block ×42, first 2 shown]
	ds_read_b128 v[6:9], v4 offset:656
	ds_read_b128 v[10:13], v4 offset:672
	buffer_load_dword v120, off, s[0:3], 0 offset:352
	buffer_load_dword v121, off, s[0:3], 0 offset:356
	ds_read_b128 v[14:17], v4 offset:688
	ds_read_b128 v[18:21], v4 offset:704
	buffer_load_dword v122, off, s[0:3], 0 offset:360
	buffer_load_dword v123, off, s[0:3], 0 offset:364
	;; [unrolled: 1-line block ×4, first 2 shown]
	ds_read_b128 v[22:25], v4 offset:720
	ds_read_b128 v[26:29], v4 offset:736
	buffer_load_dword v126, off, s[0:3], 0 offset:376
	buffer_load_dword v127, off, s[0:3], 0 offset:380
	;; [unrolled: 1-line block ×6, first 2 shown]
	v_cmp_lt_u32_e32 vcc, 22, v0
	s_waitcnt vmcnt(53) lgkmcnt(5)
	v_mul_f32_e32 v30, v6, v5
	s_waitcnt vmcnt(52)
	v_mul_f32_e32 v31, v8, v64
	s_waitcnt vmcnt(51) lgkmcnt(4)
	v_mul_f32_e32 v32, v10, v66
	s_waitcnt vmcnt(50)
	v_mul_f32_e32 v33, v12, v68
	s_waitcnt vmcnt(49) lgkmcnt(3)
	v_mul_f32_e32 v34, v14, v84
	s_waitcnt vmcnt(48)
	v_mul_f32_e32 v35, v16, v85
	s_waitcnt vmcnt(47) lgkmcnt(2)
	v_mul_f32_e32 v36, v18, v86
	s_waitcnt vmcnt(46)
	v_mul_f32_e32 v37, v20, v87
	s_waitcnt vmcnt(45) lgkmcnt(1)
	v_mul_f32_e32 v38, v22, v88
	s_waitcnt vmcnt(44)
	v_mul_f32_e32 v39, v24, v89
	s_waitcnt vmcnt(43)
	v_fmac_f32_e32 v30, v7, v90
	s_waitcnt vmcnt(42)
	v_fmac_f32_e32 v31, v9, v91
	v_add_f32_e32 v30, 0, v30
	s_waitcnt vmcnt(41)
	v_fmac_f32_e32 v32, v11, v92
	v_add_f32_e32 v30, v30, v31
	;; [unrolled: 3-line block ×9, first 2 shown]
	s_waitcnt vmcnt(33) lgkmcnt(0)
	v_mul_f32_e32 v31, v26, v100
	v_add_f32_e32 v30, v30, v39
	s_waitcnt vmcnt(32)
	v_fmac_f32_e32 v31, v27, v101
	v_add_f32_e32 v34, v30, v31
	ds_read_b128 v[30:33], v4 offset:752
	s_waitcnt vmcnt(31)
	v_mul_f32_e32 v35, v28, v102
	s_waitcnt vmcnt(30)
	v_fmac_f32_e32 v35, v29, v103
	v_add_f32_e32 v38, v34, v35
	ds_read_b128 v[34:37], v4 offset:768
	s_waitcnt vmcnt(29) lgkmcnt(1)
	v_mul_f32_e32 v39, v30, v104
	s_waitcnt vmcnt(28)
	v_fmac_f32_e32 v39, v31, v105
	v_add_f32_e32 v38, v38, v39
	s_waitcnt vmcnt(27)
	v_mul_f32_e32 v39, v32, v106
	s_waitcnt vmcnt(26)
	v_fmac_f32_e32 v39, v33, v107
	v_add_f32_e32 v38, v38, v39
	s_waitcnt vmcnt(25) lgkmcnt(0)
	v_mul_f32_e32 v39, v34, v108
	s_waitcnt vmcnt(24)
	v_fmac_f32_e32 v39, v35, v109
	v_add_f32_e32 v42, v38, v39
	ds_read_b128 v[38:41], v4 offset:784
	s_waitcnt vmcnt(23)
	v_mul_f32_e32 v43, v36, v110
	s_waitcnt vmcnt(22)
	v_fmac_f32_e32 v43, v37, v111
	v_add_f32_e32 v46, v42, v43
	ds_read_b128 v[42:45], v4 offset:800
	s_waitcnt vmcnt(21) lgkmcnt(1)
	v_mul_f32_e32 v47, v38, v112
	s_waitcnt vmcnt(20)
	v_fmac_f32_e32 v47, v39, v113
	v_add_f32_e32 v46, v46, v47
	s_waitcnt vmcnt(18)
	v_mul_f32_e32 v47, v40, v115
	v_fmac_f32_e32 v47, v41, v114
	v_add_f32_e32 v46, v46, v47
	s_waitcnt vmcnt(15) lgkmcnt(0)
	v_mul_f32_e32 v47, v42, v116
	s_waitcnt vmcnt(14)
	v_fmac_f32_e32 v47, v43, v117
	v_add_f32_e32 v50, v46, v47
	ds_read_b128 v[46:49], v4 offset:816
	s_waitcnt vmcnt(12)
	v_mul_f32_e32 v51, v44, v119
	v_fmac_f32_e32 v51, v45, v118
	v_add_f32_e32 v54, v50, v51
	ds_read_b128 v[50:53], v4 offset:832
	buffer_load_dword v63, off, s[0:3], 0 offset:404
	buffer_load_dword v62, off, s[0:3], 0 offset:400
	s_waitcnt vmcnt(12) lgkmcnt(1)
	v_mul_f32_e32 v55, v46, v121
	v_fmac_f32_e32 v55, v47, v120
	v_add_f32_e32 v54, v54, v55
	s_waitcnt vmcnt(10)
	v_mul_f32_e32 v55, v48, v123
	v_fmac_f32_e32 v55, v49, v122
	v_add_f32_e32 v54, v54, v55
	s_waitcnt vmcnt(8) lgkmcnt(0)
	v_mul_f32_e32 v55, v50, v125
	v_fmac_f32_e32 v55, v51, v124
	s_waitcnt vmcnt(6)
	v_mul_f32_e32 v59, v52, v127
	v_add_f32_e32 v58, v54, v55
	v_fmac_f32_e32 v59, v53, v126
	ds_read_b128 v[54:57], v4 offset:848
	v_add_f32_e32 v65, v58, v59
	ds_read_b128 v[58:61], v4 offset:864
	buffer_load_dword v71, off, s[0:3], 0 offset:436
	buffer_load_dword v70, off, s[0:3], 0 offset:432
	buffer_load_dword v73, off, s[0:3], 0 offset:428
	buffer_load_dword v72, off, s[0:3], 0 offset:424
	buffer_load_dword v75, off, s[0:3], 0 offset:420
	buffer_load_dword v74, off, s[0:3], 0 offset:416
	buffer_load_dword v77, off, s[0:3], 0 offset:412
	buffer_load_dword v76, off, s[0:3], 0 offset:408
	buffer_load_dword v79, off, s[0:3], 0 offset:460
	buffer_load_dword v78, off, s[0:3], 0 offset:456
	buffer_load_dword v81, off, s[0:3], 0 offset:452
	buffer_load_dword v80, off, s[0:3], 0 offset:448
	buffer_load_dword v83, off, s[0:3], 0 offset:444
	buffer_load_dword v82, off, s[0:3], 0 offset:440
	v_mul_f32_e32 v5, v7, v5
	v_fma_f32 v5, v6, v90, -v5
	v_mul_f32_e32 v6, v9, v64
	v_add_f32_e32 v5, 0, v5
	v_fma_f32 v6, v8, v91, -v6
	v_add_f32_e32 v5, v5, v6
	v_mul_f32_e32 v6, v11, v66
	v_fma_f32 v6, v10, v92, -v6
	v_add_f32_e32 v5, v5, v6
	v_mul_f32_e32 v6, v13, v68
	;; [unrolled: 3-line block ×22, first 2 shown]
	v_fma_f32 v6, v52, v126, -v6
	s_waitcnt vmcnt(15)
	v_mov_b32_e32 v18, v63
	s_waitcnt lgkmcnt(1)
	v_mul_f32_e32 v67, v54, v129
	v_add_f32_e32 v64, v5, v6
	v_mul_f32_e32 v5, v55, v129
	s_waitcnt lgkmcnt(0)
	v_pk_mul_f32 v[18:19], v[58:59], v[18:19] op_sel_hi:[1,0]
	v_fmac_f32_e32 v67, v55, v128
	v_mul_f32_e32 v69, v56, v131
	v_fma_f32 v66, v54, v128, -v5
	v_mul_f32_e32 v5, v57, v131
	s_waitcnt vmcnt(14)
	v_pk_fma_f32 v[20:21], v[58:59], v[62:63], v[18:19] op_sel:[0,0,1] op_sel_hi:[1,1,0] neg_lo:[0,0,1] neg_hi:[0,0,1]
	v_pk_fma_f32 v[18:19], v[58:59], v[62:63], v[18:19] op_sel:[0,0,1] op_sel_hi:[1,0,0]
	v_fmac_f32_e32 v69, v57, v130
	v_fma_f32 v68, v56, v130, -v5
	ds_read_b128 v[6:9], v4 offset:880
	ds_read_b128 v[10:13], v4 offset:896
	;; [unrolled: 1-line block ×3, first 2 shown]
	v_pk_add_f32 v[4:5], v[64:65], v[66:67]
	s_waitcnt vmcnt(7)
	v_mov_b32_e32 v18, v77
	v_pk_add_f32 v[4:5], v[4:5], v[68:69]
	v_mov_b32_e32 v21, v19
	v_pk_mul_f32 v[18:19], v[60:61], v[18:19] op_sel_hi:[1,0]
	v_pk_add_f32 v[4:5], v[4:5], v[20:21]
	s_waitcnt vmcnt(6)
	v_pk_fma_f32 v[20:21], v[60:61], v[76:77], v[18:19] op_sel:[0,0,1] op_sel_hi:[1,1,0] neg_lo:[0,0,1] neg_hi:[0,0,1]
	v_pk_fma_f32 v[18:19], v[60:61], v[76:77], v[18:19] op_sel:[0,0,1] op_sel_hi:[1,0,0]
	v_mov_b32_e32 v18, v75
	v_mov_b32_e32 v21, v19
	s_waitcnt lgkmcnt(2)
	v_pk_mul_f32 v[18:19], v[6:7], v[18:19] op_sel_hi:[1,0]
	v_pk_add_f32 v[4:5], v[4:5], v[20:21]
	v_pk_fma_f32 v[20:21], v[6:7], v[74:75], v[18:19] op_sel:[0,0,1] op_sel_hi:[1,1,0] neg_lo:[0,0,1] neg_hi:[0,0,1]
	v_pk_fma_f32 v[6:7], v[6:7], v[74:75], v[18:19] op_sel:[0,0,1] op_sel_hi:[1,0,0]
	v_mov_b32_e32 v6, v73
	v_mov_b32_e32 v21, v7
	v_pk_mul_f32 v[6:7], v[8:9], v[6:7] op_sel_hi:[1,0]
	v_pk_fma_f32 v[18:19], v[8:9], v[72:73], v[6:7] op_sel:[0,0,1] op_sel_hi:[1,1,0] neg_lo:[0,0,1] neg_hi:[0,0,1]
	v_pk_fma_f32 v[6:7], v[8:9], v[72:73], v[6:7] op_sel:[0,0,1] op_sel_hi:[1,0,0]
	v_mov_b32_e32 v6, v71
	v_mov_b32_e32 v19, v7
	s_waitcnt lgkmcnt(1)
	v_pk_mul_f32 v[6:7], v[10:11], v[6:7] op_sel_hi:[1,0]
	v_pk_fma_f32 v[8:9], v[10:11], v[70:71], v[6:7] op_sel:[0,0,1] op_sel_hi:[1,1,0] neg_lo:[0,0,1] neg_hi:[0,0,1]
	v_pk_fma_f32 v[6:7], v[10:11], v[70:71], v[6:7] op_sel:[0,0,1] op_sel_hi:[1,0,0]
	v_pk_add_f32 v[4:5], v[4:5], v[20:21]
	s_waitcnt vmcnt(1)
	v_mov_b32_e32 v6, v83
	v_pk_add_f32 v[4:5], v[4:5], v[18:19]
	v_mov_b32_e32 v9, v7
	v_pk_mul_f32 v[6:7], v[12:13], v[6:7] op_sel_hi:[1,0]
	v_pk_add_f32 v[4:5], v[4:5], v[8:9]
	s_waitcnt vmcnt(0)
	v_pk_fma_f32 v[8:9], v[12:13], v[82:83], v[6:7] op_sel:[0,0,1] op_sel_hi:[1,1,0] neg_lo:[0,0,1] neg_hi:[0,0,1]
	v_pk_fma_f32 v[6:7], v[12:13], v[82:83], v[6:7] op_sel:[0,0,1] op_sel_hi:[1,0,0]
	v_mov_b32_e32 v6, v81
	v_mov_b32_e32 v9, v7
	s_waitcnt lgkmcnt(0)
	v_pk_mul_f32 v[6:7], v[14:15], v[6:7] op_sel_hi:[1,0]
	v_pk_add_f32 v[4:5], v[4:5], v[8:9]
	v_pk_fma_f32 v[8:9], v[14:15], v[80:81], v[6:7] op_sel:[0,0,1] op_sel_hi:[1,1,0] neg_lo:[0,0,1] neg_hi:[0,0,1]
	v_pk_fma_f32 v[6:7], v[14:15], v[80:81], v[6:7] op_sel:[0,0,1] op_sel_hi:[1,0,0]
	v_mov_b32_e32 v6, v79
	v_mov_b32_e32 v9, v7
	v_pk_mul_f32 v[6:7], v[16:17], v[6:7] op_sel_hi:[1,0]
	v_pk_add_f32 v[4:5], v[4:5], v[8:9]
	v_pk_fma_f32 v[8:9], v[16:17], v[78:79], v[6:7] op_sel:[0,0,1] op_sel_hi:[1,1,0] neg_lo:[0,0,1] neg_hi:[0,0,1]
	v_pk_fma_f32 v[6:7], v[16:17], v[78:79], v[6:7] op_sel:[0,0,1] op_sel_hi:[1,0,0]
	v_mov_b32_e32 v9, v7
	v_pk_add_f32 v[4:5], v[4:5], v[8:9]
	v_pk_add_f32 v[2:3], v[2:3], v[4:5] neg_lo:[0,1] neg_hi:[0,1]
	buffer_store_dword v3, off, s[0:3], 0 offset:188
	buffer_store_dword v2, off, s[0:3], 0 offset:184
	s_and_saveexec_b64 s[4:5], vcc
	s_cbranch_execz .LBB121_317
; %bb.316:
	buffer_load_dword v2, off, s[0:3], 0 offset:176
	buffer_load_dword v3, off, s[0:3], 0 offset:180
	v_mov_b32_e32 v4, 0
	buffer_store_dword v4, off, s[0:3], 0 offset:176
	buffer_store_dword v4, off, s[0:3], 0 offset:180
	s_waitcnt vmcnt(2)
	ds_write_b64 v175, v[2:3]
.LBB121_317:
	s_or_b64 exec, exec, s[4:5]
	s_waitcnt lgkmcnt(0)
	; wave barrier
	s_waitcnt lgkmcnt(0)
	buffer_load_dword v5, off, s[0:3], 0 offset:188
	buffer_load_dword v62, off, s[0:3], 0 offset:196
	;; [unrolled: 1-line block ×56, first 2 shown]
	v_mov_b32_e32 v4, 0
	ds_read2_b64 v[6:9], v4 offset0:81 offset1:82
	ds_read2_b64 v[10:13], v4 offset0:83 offset1:84
	;; [unrolled: 1-line block ×6, first 2 shown]
	v_cmp_lt_u32_e32 vcc, 21, v0
	s_waitcnt vmcnt(55) lgkmcnt(5)
	v_mul_f32_e32 v30, v6, v5
	s_waitcnt vmcnt(54)
	v_mul_f32_e32 v31, v8, v62
	s_waitcnt vmcnt(53) lgkmcnt(4)
	v_mul_f32_e32 v32, v10, v64
	s_waitcnt vmcnt(52)
	v_mul_f32_e32 v33, v12, v66
	;; [unrolled: 4-line block ×4, first 2 shown]
	s_waitcnt vmcnt(47) lgkmcnt(1)
	v_mul_f32_e32 v38, v22, v88
	s_waitcnt vmcnt(46)
	v_fmac_f32_e32 v30, v7, v89
	s_waitcnt vmcnt(45)
	v_fmac_f32_e32 v31, v9, v90
	v_add_f32_e32 v30, 0, v30
	s_waitcnt vmcnt(44)
	v_fmac_f32_e32 v32, v11, v91
	v_add_f32_e32 v30, v30, v31
	;; [unrolled: 3-line block ×7, first 2 shown]
	v_add_f32_e32 v30, v30, v37
	s_waitcnt vmcnt(38)
	v_fmac_f32_e32 v38, v23, v97
	s_waitcnt vmcnt(37)
	v_mul_f32_e32 v31, v24, v98
	v_add_f32_e32 v30, v30, v38
	s_waitcnt vmcnt(36)
	v_fmac_f32_e32 v31, v25, v99
	v_add_f32_e32 v30, v30, v31
	s_waitcnt vmcnt(35) lgkmcnt(0)
	v_mul_f32_e32 v31, v26, v100
	s_waitcnt vmcnt(34)
	v_fmac_f32_e32 v31, v27, v101
	v_add_f32_e32 v34, v30, v31
	ds_read2_b64 v[30:33], v4 offset0:93 offset1:94
	s_waitcnt vmcnt(33)
	v_mul_f32_e32 v35, v28, v102
	s_waitcnt vmcnt(32)
	v_fmac_f32_e32 v35, v29, v103
	v_add_f32_e32 v38, v34, v35
	ds_read2_b64 v[34:37], v4 offset0:95 offset1:96
	s_waitcnt vmcnt(31) lgkmcnt(1)
	v_mul_f32_e32 v39, v30, v104
	s_waitcnt vmcnt(30)
	v_fmac_f32_e32 v39, v31, v105
	v_add_f32_e32 v38, v38, v39
	s_waitcnt vmcnt(29)
	v_mul_f32_e32 v39, v32, v106
	s_waitcnt vmcnt(28)
	v_fmac_f32_e32 v39, v33, v107
	v_add_f32_e32 v38, v38, v39
	s_waitcnt vmcnt(27) lgkmcnt(0)
	v_mul_f32_e32 v39, v34, v108
	s_waitcnt vmcnt(26)
	v_fmac_f32_e32 v39, v35, v109
	v_add_f32_e32 v42, v38, v39
	ds_read2_b64 v[38:41], v4 offset0:97 offset1:98
	s_waitcnt vmcnt(24)
	v_mul_f32_e32 v43, v36, v111
	v_fmac_f32_e32 v43, v37, v110
	v_add_f32_e32 v46, v42, v43
	ds_read2_b64 v[42:45], v4 offset0:99 offset1:100
	s_waitcnt vmcnt(20) lgkmcnt(1)
	v_mul_f32_e32 v47, v38, v113
	v_fmac_f32_e32 v47, v39, v112
	v_add_f32_e32 v46, v46, v47
	s_waitcnt vmcnt(18)
	v_mul_f32_e32 v47, v40, v115
	v_fmac_f32_e32 v47, v41, v114
	v_add_f32_e32 v46, v46, v47
	s_waitcnt vmcnt(16) lgkmcnt(0)
	v_mul_f32_e32 v47, v42, v117
	v_fmac_f32_e32 v47, v43, v116
	v_add_f32_e32 v50, v46, v47
	ds_read2_b64 v[46:49], v4 offset0:101 offset1:102
	s_waitcnt vmcnt(14)
	v_mul_f32_e32 v51, v44, v119
	v_fmac_f32_e32 v51, v45, v118
	v_add_f32_e32 v54, v50, v51
	ds_read2_b64 v[50:53], v4 offset0:103 offset1:104
	s_waitcnt vmcnt(12) lgkmcnt(1)
	v_mul_f32_e32 v55, v46, v121
	v_fmac_f32_e32 v55, v47, v120
	v_add_f32_e32 v54, v54, v55
	s_waitcnt vmcnt(10)
	v_mul_f32_e32 v55, v48, v123
	v_fmac_f32_e32 v55, v49, v122
	v_add_f32_e32 v54, v54, v55
	s_waitcnt vmcnt(8) lgkmcnt(0)
	v_mul_f32_e32 v55, v50, v125
	v_fmac_f32_e32 v55, v51, v124
	s_waitcnt vmcnt(6)
	v_mul_f32_e32 v59, v52, v127
	v_add_f32_e32 v58, v54, v55
	v_fmac_f32_e32 v59, v53, v126
	ds_read2_b64 v[54:57], v4 offset0:105 offset1:106
	v_add_f32_e32 v63, v58, v59
	ds_read2_b64 v[58:61], v4 offset0:107 offset1:108
	buffer_load_dword v69, off, s[0:3], 0 offset:428
	buffer_load_dword v68, off, s[0:3], 0 offset:424
	;; [unrolled: 1-line block ×16, first 2 shown]
	v_mul_f32_e32 v5, v7, v5
	v_fma_f32 v5, v6, v89, -v5
	v_mul_f32_e32 v6, v9, v62
	v_add_f32_e32 v5, 0, v5
	v_fma_f32 v6, v8, v90, -v6
	v_add_f32_e32 v5, v5, v6
	v_mul_f32_e32 v6, v11, v64
	v_fma_f32 v6, v10, v91, -v6
	v_add_f32_e32 v5, v5, v6
	v_mul_f32_e32 v6, v13, v66
	;; [unrolled: 3-line block ×22, first 2 shown]
	v_fma_f32 v6, v52, v126, -v6
	s_waitcnt vmcnt(20) lgkmcnt(1)
	v_mul_f32_e32 v65, v54, v129
	v_add_f32_e32 v5, v5, v6
	v_mul_f32_e32 v6, v55, v129
	v_fmac_f32_e32 v65, v55, v128
	v_fma_f32 v6, v54, v128, -v6
	s_waitcnt vmcnt(9)
	v_mov_b32_e32 v22, v75
	v_add_f32_e32 v63, v63, v65
	v_mul_f32_e32 v65, v56, v131
	v_add_f32_e32 v62, v5, v6
	v_mul_f32_e32 v5, v57, v131
	s_waitcnt lgkmcnt(0)
	v_pk_mul_f32 v[22:23], v[60:61], v[22:23] op_sel_hi:[1,0]
	v_fmac_f32_e32 v65, v57, v130
	v_mul_f32_e32 v67, v58, v133
	v_fma_f32 v64, v56, v130, -v5
	v_mul_f32_e32 v5, v59, v133
	ds_read2_b64 v[6:9], v4 offset0:109 offset1:110
	ds_read2_b64 v[10:13], v4 offset0:111 offset1:112
	ds_read2_b64 v[14:17], v4 offset0:113 offset1:114
	ds_read_b64 v[18:19], v4 offset:920
	s_waitcnt vmcnt(8)
	v_pk_fma_f32 v[24:25], v[60:61], v[74:75], v[22:23] op_sel:[0,0,1] op_sel_hi:[1,1,0] neg_lo:[0,0,1] neg_hi:[0,0,1]
	v_pk_fma_f32 v[22:23], v[60:61], v[74:75], v[22:23] op_sel:[0,0,1] op_sel_hi:[1,0,0]
	v_fmac_f32_e32 v67, v59, v132
	v_fma_f32 v66, v58, v132, -v5
	v_pk_add_f32 v[20:21], v[62:63], v[64:65]
	v_mov_b32_e32 v22, v73
	v_pk_add_f32 v[20:21], v[20:21], v[66:67]
	v_mov_b32_e32 v25, v23
	s_waitcnt lgkmcnt(3)
	v_pk_mul_f32 v[22:23], v[6:7], v[22:23] op_sel_hi:[1,0]
	v_pk_add_f32 v[20:21], v[20:21], v[24:25]
	v_pk_fma_f32 v[24:25], v[6:7], v[72:73], v[22:23] op_sel:[0,0,1] op_sel_hi:[1,1,0] neg_lo:[0,0,1] neg_hi:[0,0,1]
	v_pk_fma_f32 v[6:7], v[6:7], v[72:73], v[22:23] op_sel:[0,0,1] op_sel_hi:[1,0,0]
	v_mov_b32_e32 v25, v7
	v_pk_add_f32 v[6:7], v[20:21], v[24:25]
	v_mov_b32_e32 v20, v71
	v_pk_mul_f32 v[20:21], v[8:9], v[20:21] op_sel_hi:[1,0]
	v_pk_fma_f32 v[22:23], v[8:9], v[70:71], v[20:21] op_sel:[0,0,1] op_sel_hi:[1,1,0] neg_lo:[0,0,1] neg_hi:[0,0,1]
	v_pk_fma_f32 v[8:9], v[8:9], v[70:71], v[20:21] op_sel:[0,0,1] op_sel_hi:[1,0,0]
	v_mov_b32_e32 v8, v69
	v_mov_b32_e32 v23, v9
	s_waitcnt lgkmcnt(2)
	v_pk_mul_f32 v[8:9], v[10:11], v[8:9] op_sel_hi:[1,0]
	v_pk_fma_f32 v[20:21], v[10:11], v[68:69], v[8:9] op_sel:[0,0,1] op_sel_hi:[1,1,0] neg_lo:[0,0,1] neg_hi:[0,0,1]
	v_pk_fma_f32 v[8:9], v[10:11], v[68:69], v[8:9] op_sel:[0,0,1] op_sel_hi:[1,0,0]
	s_waitcnt vmcnt(1)
	v_mov_b32_e32 v8, v83
	v_mov_b32_e32 v21, v9
	v_pk_mul_f32 v[8:9], v[12:13], v[8:9] op_sel_hi:[1,0]
	s_waitcnt vmcnt(0)
	v_pk_fma_f32 v[10:11], v[12:13], v[82:83], v[8:9] op_sel:[0,0,1] op_sel_hi:[1,1,0] neg_lo:[0,0,1] neg_hi:[0,0,1]
	v_pk_fma_f32 v[8:9], v[12:13], v[82:83], v[8:9] op_sel:[0,0,1] op_sel_hi:[1,0,0]
	v_pk_add_f32 v[6:7], v[6:7], v[22:23]
	v_mov_b32_e32 v8, v81
	v_pk_add_f32 v[6:7], v[6:7], v[20:21]
	v_mov_b32_e32 v11, v9
	s_waitcnt lgkmcnt(1)
	v_pk_mul_f32 v[8:9], v[14:15], v[8:9] op_sel_hi:[1,0]
	v_pk_add_f32 v[6:7], v[6:7], v[10:11]
	v_pk_fma_f32 v[10:11], v[14:15], v[80:81], v[8:9] op_sel:[0,0,1] op_sel_hi:[1,1,0] neg_lo:[0,0,1] neg_hi:[0,0,1]
	v_pk_fma_f32 v[8:9], v[14:15], v[80:81], v[8:9] op_sel:[0,0,1] op_sel_hi:[1,0,0]
	v_mov_b32_e32 v8, v79
	v_mov_b32_e32 v11, v9
	v_pk_mul_f32 v[8:9], v[16:17], v[8:9] op_sel_hi:[1,0]
	v_pk_add_f32 v[6:7], v[6:7], v[10:11]
	v_pk_fma_f32 v[10:11], v[16:17], v[78:79], v[8:9] op_sel:[0,0,1] op_sel_hi:[1,1,0] neg_lo:[0,0,1] neg_hi:[0,0,1]
	v_pk_fma_f32 v[8:9], v[16:17], v[78:79], v[8:9] op_sel:[0,0,1] op_sel_hi:[1,0,0]
	v_mov_b32_e32 v8, v77
	v_mov_b32_e32 v11, v9
	s_waitcnt lgkmcnt(0)
	v_pk_mul_f32 v[8:9], v[18:19], v[8:9] op_sel_hi:[1,0]
	v_pk_add_f32 v[6:7], v[6:7], v[10:11]
	v_pk_fma_f32 v[10:11], v[18:19], v[76:77], v[8:9] op_sel:[0,0,1] op_sel_hi:[1,1,0] neg_lo:[0,0,1] neg_hi:[0,0,1]
	v_pk_fma_f32 v[8:9], v[18:19], v[76:77], v[8:9] op_sel:[0,0,1] op_sel_hi:[1,0,0]
	v_mov_b32_e32 v11, v9
	v_pk_add_f32 v[6:7], v[6:7], v[10:11]
	v_pk_add_f32 v[2:3], v[2:3], v[6:7] neg_lo:[0,1] neg_hi:[0,1]
	buffer_store_dword v3, off, s[0:3], 0 offset:180
	buffer_store_dword v2, off, s[0:3], 0 offset:176
	s_and_saveexec_b64 s[4:5], vcc
	s_cbranch_execz .LBB121_319
; %bb.318:
	buffer_load_dword v2, off, s[0:3], 0 offset:168
	buffer_load_dword v3, off, s[0:3], 0 offset:172
	s_waitcnt vmcnt(0)
	ds_write_b64 v175, v[2:3]
	buffer_store_dword v4, off, s[0:3], 0 offset:168
	buffer_store_dword v4, off, s[0:3], 0 offset:172
.LBB121_319:
	s_or_b64 exec, exec, s[4:5]
	s_waitcnt lgkmcnt(0)
	; wave barrier
	s_waitcnt lgkmcnt(0)
	buffer_load_dword v5, off, s[0:3], 0 offset:180
	buffer_load_dword v62, off, s[0:3], 0 offset:188
	;; [unrolled: 1-line block ×36, first 2 shown]
	ds_read_b128 v[6:9], v4 offset:640
	ds_read_b128 v[10:13], v4 offset:656
	buffer_load_dword v114, off, s[0:3], 0 offset:312
	buffer_load_dword v115, off, s[0:3], 0 offset:316
	;; [unrolled: 1-line block ×4, first 2 shown]
	ds_read_b128 v[14:17], v4 offset:672
	ds_read_b128 v[18:21], v4 offset:688
	buffer_load_dword v118, off, s[0:3], 0 offset:328
	buffer_load_dword v119, off, s[0:3], 0 offset:332
	ds_read_b128 v[22:25], v4 offset:704
	ds_read_b128 v[26:29], v4 offset:720
	buffer_load_dword v120, off, s[0:3], 0 offset:336
	buffer_load_dword v121, off, s[0:3], 0 offset:340
	;; [unrolled: 1-line block ×16, first 2 shown]
	v_cmp_lt_u32_e32 vcc, 20, v0
	s_waitcnt vmcnt(57) lgkmcnt(5)
	v_mul_f32_e32 v30, v6, v5
	s_waitcnt vmcnt(56)
	v_mul_f32_e32 v31, v8, v62
	s_waitcnt vmcnt(55) lgkmcnt(4)
	v_mul_f32_e32 v32, v10, v64
	s_waitcnt vmcnt(54)
	v_mul_f32_e32 v33, v12, v72
	;; [unrolled: 4-line block ×4, first 2 shown]
	s_waitcnt vmcnt(49)
	v_fmac_f32_e32 v30, v7, v88
	s_waitcnt vmcnt(48)
	v_fmac_f32_e32 v31, v9, v89
	v_add_f32_e32 v30, 0, v30
	s_waitcnt vmcnt(47)
	v_fmac_f32_e32 v32, v11, v90
	v_add_f32_e32 v30, v30, v31
	;; [unrolled: 3-line block ×7, first 2 shown]
	s_waitcnt vmcnt(41) lgkmcnt(1)
	v_mul_f32_e32 v31, v22, v96
	v_add_f32_e32 v30, v30, v37
	s_waitcnt vmcnt(40)
	v_fmac_f32_e32 v31, v23, v97
	v_add_f32_e32 v30, v30, v31
	s_waitcnt vmcnt(39)
	v_mul_f32_e32 v31, v24, v98
	s_waitcnt vmcnt(38)
	v_fmac_f32_e32 v31, v25, v99
	v_add_f32_e32 v30, v30, v31
	s_waitcnt vmcnt(37) lgkmcnt(0)
	v_mul_f32_e32 v31, v26, v100
	s_waitcnt vmcnt(36)
	v_fmac_f32_e32 v31, v27, v101
	v_add_f32_e32 v34, v30, v31
	ds_read_b128 v[30:33], v4 offset:736
	s_waitcnt vmcnt(35)
	v_mul_f32_e32 v35, v28, v102
	s_waitcnt vmcnt(34)
	v_fmac_f32_e32 v35, v29, v103
	v_add_f32_e32 v38, v34, v35
	ds_read_b128 v[34:37], v4 offset:752
	s_waitcnt vmcnt(33) lgkmcnt(1)
	v_mul_f32_e32 v39, v30, v104
	s_waitcnt vmcnt(32)
	v_fmac_f32_e32 v39, v31, v105
	v_add_f32_e32 v38, v38, v39
	s_waitcnt vmcnt(31)
	v_mul_f32_e32 v39, v32, v106
	s_waitcnt vmcnt(30)
	v_fmac_f32_e32 v39, v33, v107
	v_add_f32_e32 v38, v38, v39
	s_waitcnt vmcnt(29) lgkmcnt(0)
	v_mul_f32_e32 v39, v34, v108
	s_waitcnt vmcnt(28)
	v_fmac_f32_e32 v39, v35, v109
	v_add_f32_e32 v42, v38, v39
	ds_read_b128 v[38:41], v4 offset:768
	s_waitcnt vmcnt(25)
	v_mul_f32_e32 v43, v36, v110
	s_waitcnt vmcnt(24)
	v_fmac_f32_e32 v43, v37, v111
	v_add_f32_e32 v46, v42, v43
	ds_read_b128 v[42:45], v4 offset:784
	s_waitcnt vmcnt(22) lgkmcnt(1)
	v_mul_f32_e32 v47, v38, v113
	v_fmac_f32_e32 v47, v39, v112
	v_add_f32_e32 v46, v46, v47
	s_waitcnt vmcnt(20)
	v_mul_f32_e32 v47, v40, v115
	v_fmac_f32_e32 v47, v41, v114
	v_add_f32_e32 v46, v46, v47
	s_waitcnt vmcnt(18) lgkmcnt(0)
	v_mul_f32_e32 v47, v42, v117
	v_fmac_f32_e32 v47, v43, v116
	v_add_f32_e32 v50, v46, v47
	ds_read_b128 v[46:49], v4 offset:800
	s_waitcnt vmcnt(16)
	v_mul_f32_e32 v51, v44, v119
	v_fmac_f32_e32 v51, v45, v118
	v_add_f32_e32 v54, v50, v51
	ds_read_b128 v[50:53], v4 offset:816
	s_waitcnt vmcnt(14) lgkmcnt(1)
	v_mul_f32_e32 v55, v46, v121
	v_fmac_f32_e32 v55, v47, v120
	v_add_f32_e32 v54, v54, v55
	s_waitcnt vmcnt(12)
	v_mul_f32_e32 v55, v48, v123
	v_fmac_f32_e32 v55, v49, v122
	v_add_f32_e32 v54, v54, v55
	s_waitcnt vmcnt(10) lgkmcnt(0)
	v_mul_f32_e32 v55, v50, v125
	v_fmac_f32_e32 v55, v51, v124
	s_waitcnt vmcnt(8)
	v_mul_f32_e32 v59, v52, v127
	v_add_f32_e32 v58, v54, v55
	v_fmac_f32_e32 v59, v53, v126
	ds_read_b128 v[54:57], v4 offset:832
	v_add_f32_e32 v63, v58, v59
	ds_read_b128 v[58:61], v4 offset:848
	buffer_load_dword v67, off, s[0:3], 0 offset:420
	buffer_load_dword v66, off, s[0:3], 0 offset:416
	;; [unrolled: 1-line block ×16, first 2 shown]
	v_mul_f32_e32 v5, v7, v5
	v_fma_f32 v5, v6, v88, -v5
	v_mul_f32_e32 v6, v9, v62
	v_add_f32_e32 v5, 0, v5
	v_fma_f32 v6, v8, v89, -v6
	v_add_f32_e32 v5, v5, v6
	v_mul_f32_e32 v6, v11, v64
	v_fma_f32 v6, v10, v90, -v6
	v_add_f32_e32 v5, v5, v6
	v_mul_f32_e32 v6, v13, v72
	;; [unrolled: 3-line block ×22, first 2 shown]
	v_fma_f32 v6, v52, v126, -v6
	v_add_f32_e32 v5, v5, v6
	s_waitcnt vmcnt(22) lgkmcnt(1)
	v_mul_f32_e32 v6, v55, v129
	v_fma_f32 v6, v54, v128, -v6
	v_add_f32_e32 v5, v5, v6
	s_waitcnt vmcnt(20)
	v_mul_f32_e32 v6, v57, v131
	v_fma_f32 v6, v56, v130, -v6
	v_add_f32_e32 v62, v5, v6
	ds_read_b128 v[6:9], v4 offset:864
	ds_read_b128 v[10:13], v4 offset:880
	;; [unrolled: 1-line block ×4, first 2 shown]
	s_waitcnt vmcnt(11)
	v_mov_b32_e32 v22, v71
	v_mul_f32_e32 v65, v54, v129
	s_waitcnt lgkmcnt(3)
	v_pk_mul_f32 v[22:23], v[6:7], v[22:23] op_sel_hi:[1,0]
	v_fmac_f32_e32 v65, v55, v128
	s_waitcnt vmcnt(10)
	v_pk_fma_f32 v[24:25], v[6:7], v[70:71], v[22:23] op_sel:[0,0,1] op_sel_hi:[1,1,0] neg_lo:[0,0,1] neg_hi:[0,0,1]
	v_pk_fma_f32 v[6:7], v[6:7], v[70:71], v[22:23] op_sel:[0,0,1] op_sel_hi:[1,0,0]
	v_add_f32_e32 v63, v63, v65
	v_mul_f32_e32 v65, v56, v131
	v_mov_b32_e32 v6, v69
	v_fmac_f32_e32 v65, v57, v130
	v_mov_b32_e32 v25, v7
	v_pk_mul_f32 v[6:7], v[8:9], v[6:7] op_sel_hi:[1,0]
	v_add_f32_e32 v63, v63, v65
	v_mul_f32_e32 v65, v58, v133
	v_mul_f32_e32 v5, v59, v133
	v_pk_fma_f32 v[22:23], v[8:9], v[68:69], v[6:7] op_sel:[0,0,1] op_sel_hi:[1,1,0] neg_lo:[0,0,1] neg_hi:[0,0,1]
	v_pk_fma_f32 v[6:7], v[8:9], v[68:69], v[6:7] op_sel:[0,0,1] op_sel_hi:[1,0,0]
	v_fmac_f32_e32 v65, v59, v132
	v_mul_f32_e32 v73, v60, v135
	v_fma_f32 v64, v58, v132, -v5
	v_mul_f32_e32 v5, v61, v135
	v_mov_b32_e32 v6, v67
	v_fmac_f32_e32 v73, v61, v134
	v_fma_f32 v72, v60, v134, -v5
	v_pk_add_f32 v[4:5], v[62:63], v[64:65]
	v_mov_b32_e32 v23, v7
	s_waitcnt lgkmcnt(2)
	v_pk_mul_f32 v[6:7], v[10:11], v[6:7] op_sel_hi:[1,0]
	v_pk_add_f32 v[4:5], v[4:5], v[72:73]
	v_pk_fma_f32 v[8:9], v[10:11], v[66:67], v[6:7] op_sel:[0,0,1] op_sel_hi:[1,1,0] neg_lo:[0,0,1] neg_hi:[0,0,1]
	v_pk_fma_f32 v[6:7], v[10:11], v[66:67], v[6:7] op_sel:[0,0,1] op_sel_hi:[1,0,0]
	v_pk_add_f32 v[4:5], v[4:5], v[24:25]
	s_waitcnt vmcnt(3)
	v_mov_b32_e32 v6, v81
	v_pk_add_f32 v[4:5], v[4:5], v[22:23]
	v_mov_b32_e32 v9, v7
	v_pk_mul_f32 v[6:7], v[12:13], v[6:7] op_sel_hi:[1,0]
	v_pk_add_f32 v[4:5], v[4:5], v[8:9]
	s_waitcnt vmcnt(2)
	v_pk_fma_f32 v[8:9], v[12:13], v[80:81], v[6:7] op_sel:[0,0,1] op_sel_hi:[1,1,0] neg_lo:[0,0,1] neg_hi:[0,0,1]
	v_pk_fma_f32 v[6:7], v[12:13], v[80:81], v[6:7] op_sel:[0,0,1] op_sel_hi:[1,0,0]
	v_mov_b32_e32 v6, v79
	v_mov_b32_e32 v9, v7
	s_waitcnt lgkmcnt(1)
	v_pk_mul_f32 v[6:7], v[14:15], v[6:7] op_sel_hi:[1,0]
	v_pk_add_f32 v[4:5], v[4:5], v[8:9]
	v_pk_fma_f32 v[8:9], v[14:15], v[78:79], v[6:7] op_sel:[0,0,1] op_sel_hi:[1,1,0] neg_lo:[0,0,1] neg_hi:[0,0,1]
	v_pk_fma_f32 v[6:7], v[14:15], v[78:79], v[6:7] op_sel:[0,0,1] op_sel_hi:[1,0,0]
	v_mov_b32_e32 v6, v77
	v_mov_b32_e32 v9, v7
	v_pk_mul_f32 v[6:7], v[16:17], v[6:7] op_sel_hi:[1,0]
	v_pk_add_f32 v[4:5], v[4:5], v[8:9]
	v_pk_fma_f32 v[8:9], v[16:17], v[76:77], v[6:7] op_sel:[0,0,1] op_sel_hi:[1,1,0] neg_lo:[0,0,1] neg_hi:[0,0,1]
	v_pk_fma_f32 v[6:7], v[16:17], v[76:77], v[6:7] op_sel:[0,0,1] op_sel_hi:[1,0,0]
	v_mov_b32_e32 v6, v75
	v_mov_b32_e32 v9, v7
	s_waitcnt lgkmcnt(0)
	v_pk_mul_f32 v[6:7], v[18:19], v[6:7] op_sel_hi:[1,0]
	v_pk_add_f32 v[4:5], v[4:5], v[8:9]
	v_pk_fma_f32 v[8:9], v[18:19], v[74:75], v[6:7] op_sel:[0,0,1] op_sel_hi:[1,1,0] neg_lo:[0,0,1] neg_hi:[0,0,1]
	v_pk_fma_f32 v[6:7], v[18:19], v[74:75], v[6:7] op_sel:[0,0,1] op_sel_hi:[1,0,0]
	s_waitcnt vmcnt(1)
	v_mov_b32_e32 v6, v83
	v_mov_b32_e32 v9, v7
	v_pk_mul_f32 v[6:7], v[20:21], v[6:7] op_sel_hi:[1,0]
	v_pk_add_f32 v[4:5], v[4:5], v[8:9]
	s_waitcnt vmcnt(0)
	v_pk_fma_f32 v[8:9], v[20:21], v[82:83], v[6:7] op_sel:[0,0,1] op_sel_hi:[1,1,0] neg_lo:[0,0,1] neg_hi:[0,0,1]
	v_pk_fma_f32 v[6:7], v[20:21], v[82:83], v[6:7] op_sel:[0,0,1] op_sel_hi:[1,0,0]
	v_mov_b32_e32 v9, v7
	v_pk_add_f32 v[4:5], v[4:5], v[8:9]
	v_pk_add_f32 v[2:3], v[2:3], v[4:5] neg_lo:[0,1] neg_hi:[0,1]
	buffer_store_dword v3, off, s[0:3], 0 offset:172
	buffer_store_dword v2, off, s[0:3], 0 offset:168
	s_and_saveexec_b64 s[4:5], vcc
	s_cbranch_execz .LBB121_321
; %bb.320:
	buffer_load_dword v2, off, s[0:3], 0 offset:160
	buffer_load_dword v3, off, s[0:3], 0 offset:164
	v_mov_b32_e32 v4, 0
	buffer_store_dword v4, off, s[0:3], 0 offset:160
	buffer_store_dword v4, off, s[0:3], 0 offset:164
	s_waitcnt vmcnt(2)
	ds_write_b64 v175, v[2:3]
.LBB121_321:
	s_or_b64 exec, exec, s[4:5]
	v_mov_b32_e32 v86, 0
	s_waitcnt lgkmcnt(0)
	; wave barrier
	s_waitcnt lgkmcnt(0)
	ds_read2_b64 v[2:5], v86 offset0:79 offset1:80
	buffer_load_dword v62, off, s[0:3], 0 offset:160
	buffer_load_dword v63, off, s[0:3], 0 offset:164
	;; [unrolled: 1-line block ×16, first 2 shown]
	ds_read2_b64 v[10:13], v86 offset0:81 offset1:82
	ds_read2_b64 v[14:17], v86 offset0:83 offset1:84
	;; [unrolled: 1-line block ×3, first 2 shown]
	buffer_load_dword v98, off, s[0:3], 0 offset:224
	buffer_load_dword v99, off, s[0:3], 0 offset:228
	ds_read2_b64 v[22:25], v86 offset0:87 offset1:88
	buffer_load_dword v100, off, s[0:3], 0 offset:232
	buffer_load_dword v101, off, s[0:3], 0 offset:236
	buffer_load_dword v102, off, s[0:3], 0 offset:240
	buffer_load_dword v103, off, s[0:3], 0 offset:244
	ds_read2_b64 v[26:29], v86 offset0:89 offset1:90
	buffer_load_dword v104, off, s[0:3], 0 offset:248
	buffer_load_dword v105, off, s[0:3], 0 offset:252
	;; [unrolled: 5-line block ×10, first 2 shown]
	buffer_load_dword v138, off, s[0:3], 0 offset:384
	buffer_load_dword v139, off, s[0:3], 0 offset:388
	v_cmp_lt_u32_e32 vcc, 19, v0
	s_waitcnt vmcnt(54) lgkmcnt(13)
	v_mul_f32_e32 v6, v2, v87
	v_fmac_f32_e32 v6, v3, v64
	s_waitcnt vmcnt(52)
	v_mul_f32_e32 v7, v4, v89
	v_add_f32_e32 v6, 0, v6
	v_fmac_f32_e32 v7, v5, v66
	v_add_f32_e32 v6, v6, v7
	s_waitcnt vmcnt(50) lgkmcnt(12)
	v_mul_f32_e32 v7, v10, v91
	v_fmac_f32_e32 v7, v11, v70
	v_add_f32_e32 v6, v6, v7
	s_waitcnt vmcnt(48)
	v_mul_f32_e32 v7, v12, v93
	v_fmac_f32_e32 v7, v13, v88
	v_add_f32_e32 v6, v6, v7
	s_waitcnt vmcnt(46) lgkmcnt(11)
	v_mul_f32_e32 v7, v14, v95
	v_fmac_f32_e32 v7, v15, v90
	v_add_f32_e32 v6, v6, v7
	s_waitcnt vmcnt(44)
	v_mul_f32_e32 v7, v16, v96
	;; [unrolled: 8-line block ×12, first 2 shown]
	v_fmac_f32_e32 v7, v57, v134
	v_add_f32_e32 v6, v6, v7
	s_waitcnt vmcnt(2) lgkmcnt(0)
	v_mul_f32_e32 v7, v58, v137
	v_fmac_f32_e32 v7, v59, v136
	v_add_f32_e32 v65, v6, v7
	ds_read2_b64 v[6:9], v86 offset0:107 offset1:108
	buffer_load_dword v140, off, s[0:3], 0 offset:392
	buffer_load_dword v141, off, s[0:3], 0 offset:396
	;; [unrolled: 1-line block ×18, first 2 shown]
	v_mul_f32_e32 v3, v3, v87
	v_fma_f32 v2, v2, v64, -v3
	v_mul_f32_e32 v3, v5, v89
	v_add_f32_e32 v2, 0, v2
	v_fma_f32 v3, v4, v66, -v3
	v_add_f32_e32 v2, v2, v3
	v_mul_f32_e32 v3, v11, v91
	v_fma_f32 v3, v10, v70, -v3
	v_add_f32_e32 v2, v2, v3
	v_mul_f32_e32 v3, v13, v93
	;; [unrolled: 3-line block ×25, first 2 shown]
	v_fma_f32 v3, v58, v136, -v3
	s_waitcnt vmcnt(18)
	v_mul_f32_e32 v67, v60, v139
	v_add_f32_e32 v64, v2, v3
	v_mul_f32_e32 v2, v61, v139
	s_waitcnt vmcnt(15)
	v_mov_b32_e32 v20, v69
	v_fmac_f32_e32 v67, v61, v138
	s_waitcnt lgkmcnt(0)
	v_mul_f32_e32 v71, v6, v141
	v_fma_f32 v66, v60, v138, -v2
	v_mul_f32_e32 v2, v7, v141
	v_pk_mul_f32 v[20:21], v[8:9], v[20:21] op_sel_hi:[1,0]
	v_fmac_f32_e32 v71, v7, v140
	v_fma_f32 v70, v6, v140, -v2
	v_pk_add_f32 v[18:19], v[64:65], v[66:67]
	s_waitcnt vmcnt(14)
	v_pk_fma_f32 v[22:23], v[8:9], v[68:69], v[20:21] op_sel:[0,0,1] op_sel_hi:[1,1,0] neg_lo:[0,0,1] neg_hi:[0,0,1]
	v_pk_fma_f32 v[8:9], v[8:9], v[68:69], v[20:21] op_sel:[0,0,1] op_sel_hi:[1,0,0]
	ds_read2_b64 v[2:5], v86 offset0:109 offset1:110
	ds_read2_b64 v[10:13], v86 offset0:111 offset1:112
	;; [unrolled: 1-line block ×3, first 2 shown]
	ds_read_b64 v[6:7], v86 offset:920
	v_pk_add_f32 v[18:19], v[18:19], v[70:71]
	v_mov_b32_e32 v23, v9
	v_pk_add_f32 v[8:9], v[18:19], v[22:23]
	s_waitcnt vmcnt(13)
	v_mov_b32_e32 v18, v85
	s_waitcnt lgkmcnt(3)
	v_pk_mul_f32 v[18:19], v[2:3], v[18:19] op_sel_hi:[1,0]
	s_waitcnt vmcnt(12)
	v_pk_fma_f32 v[20:21], v[2:3], v[84:85], v[18:19] op_sel:[0,0,1] op_sel_hi:[1,1,0] neg_lo:[0,0,1] neg_hi:[0,0,1]
	v_pk_fma_f32 v[2:3], v[2:3], v[84:85], v[18:19] op_sel:[0,0,1] op_sel_hi:[1,0,0]
	v_mov_b32_e32 v21, v3
	v_pk_add_f32 v[2:3], v[8:9], v[20:21]
	s_waitcnt vmcnt(11)
	v_mov_b32_e32 v8, v83
	v_pk_mul_f32 v[8:9], v[4:5], v[8:9] op_sel_hi:[1,0]
	s_waitcnt vmcnt(10)
	v_pk_fma_f32 v[18:19], v[4:5], v[82:83], v[8:9] op_sel:[0,0,1] op_sel_hi:[1,1,0] neg_lo:[0,0,1] neg_hi:[0,0,1]
	v_pk_fma_f32 v[4:5], v[4:5], v[82:83], v[8:9] op_sel:[0,0,1] op_sel_hi:[1,0,0]
	s_waitcnt vmcnt(9)
	v_mov_b32_e32 v4, v81
	v_mov_b32_e32 v19, v5
	s_waitcnt lgkmcnt(2)
	v_pk_mul_f32 v[4:5], v[10:11], v[4:5] op_sel_hi:[1,0]
	s_waitcnt vmcnt(8)
	v_pk_fma_f32 v[8:9], v[10:11], v[80:81], v[4:5] op_sel:[0,0,1] op_sel_hi:[1,1,0] neg_lo:[0,0,1] neg_hi:[0,0,1]
	v_pk_fma_f32 v[4:5], v[10:11], v[80:81], v[4:5] op_sel:[0,0,1] op_sel_hi:[1,0,0]
	s_waitcnt vmcnt(7)
	v_mov_b32_e32 v4, v79
	v_pk_add_f32 v[2:3], v[2:3], v[18:19]
	v_mov_b32_e32 v9, v5
	v_pk_mul_f32 v[4:5], v[12:13], v[4:5] op_sel_hi:[1,0]
	v_pk_add_f32 v[2:3], v[2:3], v[8:9]
	s_waitcnt vmcnt(6)
	v_pk_fma_f32 v[8:9], v[12:13], v[78:79], v[4:5] op_sel:[0,0,1] op_sel_hi:[1,1,0] neg_lo:[0,0,1] neg_hi:[0,0,1]
	v_pk_fma_f32 v[4:5], v[12:13], v[78:79], v[4:5] op_sel:[0,0,1] op_sel_hi:[1,0,0]
	s_waitcnt vmcnt(5)
	v_mov_b32_e32 v4, v77
	v_mov_b32_e32 v9, v5
	s_waitcnt lgkmcnt(1)
	v_pk_mul_f32 v[4:5], v[14:15], v[4:5] op_sel_hi:[1,0]
	v_pk_add_f32 v[2:3], v[2:3], v[8:9]
	s_waitcnt vmcnt(4)
	v_pk_fma_f32 v[8:9], v[14:15], v[76:77], v[4:5] op_sel:[0,0,1] op_sel_hi:[1,1,0] neg_lo:[0,0,1] neg_hi:[0,0,1]
	v_pk_fma_f32 v[4:5], v[14:15], v[76:77], v[4:5] op_sel:[0,0,1] op_sel_hi:[1,0,0]
	s_waitcnt vmcnt(3)
	v_mov_b32_e32 v4, v75
	v_mov_b32_e32 v9, v5
	v_pk_mul_f32 v[4:5], v[16:17], v[4:5] op_sel_hi:[1,0]
	v_pk_add_f32 v[2:3], v[2:3], v[8:9]
	s_waitcnt vmcnt(2)
	v_pk_fma_f32 v[8:9], v[16:17], v[74:75], v[4:5] op_sel:[0,0,1] op_sel_hi:[1,1,0] neg_lo:[0,0,1] neg_hi:[0,0,1]
	v_pk_fma_f32 v[4:5], v[16:17], v[74:75], v[4:5] op_sel:[0,0,1] op_sel_hi:[1,0,0]
	s_waitcnt vmcnt(1)
	v_mov_b32_e32 v4, v73
	v_mov_b32_e32 v9, v5
	s_waitcnt lgkmcnt(0)
	v_pk_mul_f32 v[4:5], v[6:7], v[4:5] op_sel_hi:[1,0]
	v_pk_add_f32 v[2:3], v[2:3], v[8:9]
	s_waitcnt vmcnt(0)
	v_pk_fma_f32 v[8:9], v[6:7], v[72:73], v[4:5] op_sel:[0,0,1] op_sel_hi:[1,1,0] neg_lo:[0,0,1] neg_hi:[0,0,1]
	v_pk_fma_f32 v[4:5], v[6:7], v[72:73], v[4:5] op_sel:[0,0,1] op_sel_hi:[1,0,0]
	v_mov_b32_e32 v9, v5
	v_pk_add_f32 v[2:3], v[2:3], v[8:9]
	v_pk_add_f32 v[2:3], v[62:63], v[2:3] neg_lo:[0,1] neg_hi:[0,1]
	buffer_store_dword v3, off, s[0:3], 0 offset:164
	buffer_store_dword v2, off, s[0:3], 0 offset:160
	s_and_saveexec_b64 s[4:5], vcc
	s_cbranch_execz .LBB121_323
; %bb.322:
	buffer_load_dword v2, off, s[0:3], 0 offset:152
	buffer_load_dword v3, off, s[0:3], 0 offset:156
	s_waitcnt vmcnt(0)
	ds_write_b64 v175, v[2:3]
	buffer_store_dword v86, off, s[0:3], 0 offset:152
	buffer_store_dword v86, off, s[0:3], 0 offset:156
.LBB121_323:
	s_or_b64 exec, exec, s[4:5]
	s_waitcnt lgkmcnt(0)
	; wave barrier
	s_waitcnt lgkmcnt(0)
	buffer_load_dword v70, off, s[0:3], 0 offset:164
	buffer_load_dword v72, off, s[0:3], 0 offset:172
	;; [unrolled: 1-line block ×32, first 2 shown]
	ds_read_b128 v[16:19], v86 offset:624
	ds_read_b128 v[6:9], v86 offset:640
	buffer_load_dword v118, off, s[0:3], 0 offset:280
	buffer_load_dword v119, off, s[0:3], 0 offset:284
	ds_read_b128 v[10:13], v86 offset:656
	ds_read_b128 v[2:5], v86 offset:672
	buffer_load_dword v120, off, s[0:3], 0 offset:288
	buffer_load_dword v121, off, s[0:3], 0 offset:292
	;; [unrolled: 1-line block ×28, first 2 shown]
	v_cmp_lt_u32_e32 vcc, 18, v0
	s_waitcnt vmcnt(61) lgkmcnt(3)
	v_mul_f32_e32 v20, v16, v70
	s_waitcnt vmcnt(60)
	v_mul_f32_e32 v21, v18, v72
	s_waitcnt vmcnt(59) lgkmcnt(2)
	v_mul_f32_e32 v23, v8, v74
	s_waitcnt vmcnt(58) lgkmcnt(1)
	v_mul_f32_e32 v24, v10, v87
	s_waitcnt vmcnt(57)
	v_mul_f32_e32 v25, v12, v92
	s_waitcnt vmcnt(56)
	v_mul_f32_e32 v22, v6, v93
	s_waitcnt vmcnt(55)
	v_fmac_f32_e32 v22, v7, v94
	s_waitcnt vmcnt(54)
	v_fmac_f32_e32 v21, v19, v95
	s_waitcnt vmcnt(53)
	v_fmac_f32_e32 v20, v17, v96
	v_add_f32_e32 v20, 0, v20
	v_add_f32_e32 v20, v20, v21
	;; [unrolled: 1-line block ×3, first 2 shown]
	s_waitcnt vmcnt(49)
	v_fmac_f32_e32 v24, v11, v100
	s_waitcnt vmcnt(48)
	v_fmac_f32_e32 v23, v9, v101
	v_add_f32_e32 v20, v20, v23
	s_waitcnt lgkmcnt(0)
	v_mul_f32_e32 v26, v2, v97
	v_fmac_f32_e32 v25, v13, v99
	v_add_f32_e32 v20, v20, v24
	v_fmac_f32_e32 v26, v3, v98
	v_add_f32_e32 v20, v20, v25
	v_add_f32_e32 v24, v20, v26
	ds_read_b128 v[20:23], v86 offset:688
	s_waitcnt vmcnt(44)
	v_mul_f32_e32 v25, v4, v105
	s_waitcnt vmcnt(43)
	v_fmac_f32_e32 v25, v5, v106
	v_add_f32_e32 v28, v24, v25
	ds_read_b128 v[24:27], v86 offset:704
	s_waitcnt vmcnt(42) lgkmcnt(1)
	v_mul_f32_e32 v29, v20, v107
	v_fmac_f32_e32 v29, v21, v104
	v_add_f32_e32 v28, v28, v29
	s_waitcnt vmcnt(41)
	v_mul_f32_e32 v29, v22, v108
	v_fmac_f32_e32 v29, v23, v103
	v_add_f32_e32 v28, v28, v29
	s_waitcnt vmcnt(40) lgkmcnt(0)
	v_mul_f32_e32 v29, v24, v109
	v_fmac_f32_e32 v29, v25, v102
	v_add_f32_e32 v32, v28, v29
	ds_read_b128 v[28:31], v86 offset:720
	s_waitcnt vmcnt(34)
	v_mul_f32_e32 v33, v26, v115
	s_waitcnt vmcnt(33)
	v_fmac_f32_e32 v33, v27, v116
	v_add_f32_e32 v36, v32, v33
	ds_read_b128 v[32:35], v86 offset:736
	s_waitcnt vmcnt(32) lgkmcnt(1)
	v_mul_f32_e32 v37, v28, v117
	v_fmac_f32_e32 v37, v29, v114
	v_add_f32_e32 v36, v36, v37
	v_mul_f32_e32 v37, v30, v111
	v_fmac_f32_e32 v37, v31, v110
	v_add_f32_e32 v36, v36, v37
	s_waitcnt lgkmcnt(0)
	v_mul_f32_e32 v37, v32, v113
	v_fmac_f32_e32 v37, v33, v112
	v_add_f32_e32 v40, v36, v37
	ds_read_b128 v[36:39], v86 offset:752
	s_waitcnt vmcnt(28)
	v_mul_f32_e32 v41, v34, v119
	v_fmac_f32_e32 v41, v35, v118
	v_add_f32_e32 v44, v40, v41
	ds_read_b128 v[40:43], v86 offset:768
	s_waitcnt vmcnt(26) lgkmcnt(1)
	v_mul_f32_e32 v45, v36, v121
	v_fmac_f32_e32 v45, v37, v120
	v_add_f32_e32 v44, v44, v45
	s_waitcnt vmcnt(24)
	v_mul_f32_e32 v45, v38, v123
	v_fmac_f32_e32 v45, v39, v122
	v_add_f32_e32 v44, v44, v45
	s_waitcnt vmcnt(22) lgkmcnt(0)
	v_mul_f32_e32 v45, v40, v125
	v_fmac_f32_e32 v45, v41, v124
	v_add_f32_e32 v48, v44, v45
	ds_read_b128 v[44:47], v86 offset:784
	s_waitcnt vmcnt(20)
	v_mul_f32_e32 v49, v42, v127
	v_fmac_f32_e32 v49, v43, v126
	v_add_f32_e32 v52, v48, v49
	ds_read_b128 v[48:51], v86 offset:800
	s_waitcnt vmcnt(18) lgkmcnt(1)
	v_mul_f32_e32 v53, v44, v129
	v_fmac_f32_e32 v53, v45, v128
	v_add_f32_e32 v52, v52, v53
	s_waitcnt vmcnt(16)
	v_mul_f32_e32 v53, v46, v131
	v_fmac_f32_e32 v53, v47, v130
	v_add_f32_e32 v52, v52, v53
	s_waitcnt vmcnt(14) lgkmcnt(0)
	v_mul_f32_e32 v53, v48, v133
	v_fmac_f32_e32 v53, v49, v132
	v_add_f32_e32 v56, v52, v53
	ds_read_b128 v[52:55], v86 offset:816
	s_waitcnt vmcnt(12)
	v_mul_f32_e32 v57, v50, v135
	v_fmac_f32_e32 v57, v51, v134
	v_add_f32_e32 v60, v56, v57
	ds_read_b128 v[56:59], v86 offset:832
	buffer_load_dword v69, off, s[0:3], 0 offset:404
	buffer_load_dword v68, off, s[0:3], 0 offset:400
	s_waitcnt vmcnt(12) lgkmcnt(1)
	v_mul_f32_e32 v61, v52, v137
	v_fmac_f32_e32 v61, v53, v136
	v_add_f32_e32 v60, v60, v61
	s_waitcnt vmcnt(10)
	v_mul_f32_e32 v61, v54, v139
	v_fmac_f32_e32 v61, v55, v138
	v_add_f32_e32 v60, v60, v61
	s_waitcnt vmcnt(8) lgkmcnt(0)
	v_mul_f32_e32 v61, v56, v141
	v_fmac_f32_e32 v61, v57, v140
	s_waitcnt vmcnt(6)
	v_mul_f32_e32 v65, v58, v143
	v_add_f32_e32 v64, v60, v61
	v_fmac_f32_e32 v65, v59, v142
	ds_read_b128 v[60:63], v86 offset:848
	v_add_f32_e32 v71, v64, v65
	ds_read_b128 v[64:67], v86 offset:864
	buffer_load_dword v77, off, s[0:3], 0 offset:436
	buffer_load_dword v76, off, s[0:3], 0 offset:432
	;; [unrolled: 1-line block ×14, first 2 shown]
	v_mul_f32_e32 v17, v17, v70
	v_fma_f32 v16, v16, v96, -v17
	v_mul_f32_e32 v17, v19, v72
	v_add_f32_e32 v16, 0, v16
	v_fma_f32 v17, v18, v95, -v17
	v_mul_f32_e32 v7, v7, v93
	v_add_f32_e32 v16, v16, v17
	;; [unrolled: 3-line block ×3, first 2 shown]
	v_fma_f32 v7, v8, v101, -v7
	v_add_f32_e32 v6, v6, v7
	v_mul_f32_e32 v7, v11, v87
	v_fma_f32 v7, v10, v100, -v7
	v_add_f32_e32 v6, v6, v7
	v_mul_f32_e32 v7, v13, v92
	v_fma_f32 v7, v12, v99, -v7
	v_mul_f32_e32 v3, v3, v97
	v_add_f32_e32 v6, v6, v7
	v_fma_f32 v2, v2, v98, -v3
	v_mul_f32_e32 v3, v5, v105
	v_add_f32_e32 v2, v6, v2
	v_fma_f32 v3, v4, v106, -v3
	v_add_f32_e32 v2, v2, v3
	v_mul_f32_e32 v3, v21, v107
	v_fma_f32 v3, v20, v104, -v3
	v_add_f32_e32 v2, v2, v3
	v_mul_f32_e32 v3, v23, v108
	;; [unrolled: 3-line block ×20, first 2 shown]
	v_fma_f32 v3, v58, v142, -v3
	s_waitcnt vmcnt(15)
	v_mov_b32_e32 v18, v69
	s_waitcnt lgkmcnt(1)
	v_mul_f32_e32 v73, v60, v145
	v_add_f32_e32 v70, v2, v3
	v_mul_f32_e32 v2, v61, v145
	s_waitcnt lgkmcnt(0)
	v_pk_mul_f32 v[18:19], v[64:65], v[18:19] op_sel_hi:[1,0]
	v_fmac_f32_e32 v73, v61, v144
	v_mul_f32_e32 v75, v62, v147
	v_fma_f32 v72, v60, v144, -v2
	v_mul_f32_e32 v2, v63, v147
	s_waitcnt vmcnt(14)
	v_pk_fma_f32 v[20:21], v[64:65], v[68:69], v[18:19] op_sel:[0,0,1] op_sel_hi:[1,1,0] neg_lo:[0,0,1] neg_hi:[0,0,1]
	v_pk_fma_f32 v[18:19], v[64:65], v[68:69], v[18:19] op_sel:[0,0,1] op_sel_hi:[1,0,0]
	v_fmac_f32_e32 v75, v63, v146
	v_fma_f32 v74, v62, v146, -v2
	v_pk_add_f32 v[16:17], v[70:71], v[72:73]
	s_waitcnt vmcnt(7)
	v_mov_b32_e32 v18, v83
	ds_read_b128 v[2:5], v86 offset:880
	ds_read_b128 v[6:9], v86 offset:896
	;; [unrolled: 1-line block ×3, first 2 shown]
	v_pk_add_f32 v[16:17], v[16:17], v[74:75]
	v_mov_b32_e32 v21, v19
	v_pk_mul_f32 v[18:19], v[66:67], v[18:19] op_sel_hi:[1,0]
	v_pk_add_f32 v[16:17], v[16:17], v[20:21]
	s_waitcnt vmcnt(6)
	v_pk_fma_f32 v[20:21], v[66:67], v[82:83], v[18:19] op_sel:[0,0,1] op_sel_hi:[1,1,0] neg_lo:[0,0,1] neg_hi:[0,0,1]
	v_pk_fma_f32 v[18:19], v[66:67], v[82:83], v[18:19] op_sel:[0,0,1] op_sel_hi:[1,0,0]
	v_mov_b32_e32 v18, v81
	v_mov_b32_e32 v21, v19
	s_waitcnt lgkmcnt(2)
	v_pk_mul_f32 v[18:19], v[2:3], v[18:19] op_sel_hi:[1,0]
	v_pk_add_f32 v[16:17], v[16:17], v[20:21]
	v_pk_fma_f32 v[20:21], v[2:3], v[80:81], v[18:19] op_sel:[0,0,1] op_sel_hi:[1,1,0] neg_lo:[0,0,1] neg_hi:[0,0,1]
	v_pk_fma_f32 v[2:3], v[2:3], v[80:81], v[18:19] op_sel:[0,0,1] op_sel_hi:[1,0,0]
	v_mov_b32_e32 v21, v3
	v_pk_add_f32 v[2:3], v[16:17], v[20:21]
	v_mov_b32_e32 v16, v79
	v_pk_mul_f32 v[16:17], v[4:5], v[16:17] op_sel_hi:[1,0]
	v_pk_fma_f32 v[18:19], v[4:5], v[78:79], v[16:17] op_sel:[0,0,1] op_sel_hi:[1,1,0] neg_lo:[0,0,1] neg_hi:[0,0,1]
	v_pk_fma_f32 v[4:5], v[4:5], v[78:79], v[16:17] op_sel:[0,0,1] op_sel_hi:[1,0,0]
	v_mov_b32_e32 v4, v77
	v_mov_b32_e32 v19, v5
	s_waitcnt lgkmcnt(1)
	v_pk_mul_f32 v[4:5], v[6:7], v[4:5] op_sel_hi:[1,0]
	v_pk_fma_f32 v[16:17], v[6:7], v[76:77], v[4:5] op_sel:[0,0,1] op_sel_hi:[1,1,0] neg_lo:[0,0,1] neg_hi:[0,0,1]
	v_pk_fma_f32 v[4:5], v[6:7], v[76:77], v[4:5] op_sel:[0,0,1] op_sel_hi:[1,0,0]
	s_waitcnt vmcnt(1)
	v_mov_b32_e32 v4, v91
	v_mov_b32_e32 v17, v5
	v_pk_mul_f32 v[4:5], v[8:9], v[4:5] op_sel_hi:[1,0]
	s_waitcnt vmcnt(0)
	v_pk_fma_f32 v[6:7], v[8:9], v[90:91], v[4:5] op_sel:[0,0,1] op_sel_hi:[1,1,0] neg_lo:[0,0,1] neg_hi:[0,0,1]
	v_pk_fma_f32 v[4:5], v[8:9], v[90:91], v[4:5] op_sel:[0,0,1] op_sel_hi:[1,0,0]
	v_pk_add_f32 v[2:3], v[2:3], v[18:19]
	v_mov_b32_e32 v4, v89
	v_pk_add_f32 v[2:3], v[2:3], v[16:17]
	v_mov_b32_e32 v7, v5
	s_waitcnt lgkmcnt(0)
	v_pk_mul_f32 v[4:5], v[10:11], v[4:5] op_sel_hi:[1,0]
	v_pk_add_f32 v[2:3], v[2:3], v[6:7]
	v_pk_fma_f32 v[6:7], v[10:11], v[88:89], v[4:5] op_sel:[0,0,1] op_sel_hi:[1,1,0] neg_lo:[0,0,1] neg_hi:[0,0,1]
	v_pk_fma_f32 v[4:5], v[10:11], v[88:89], v[4:5] op_sel:[0,0,1] op_sel_hi:[1,0,0]
	v_mov_b32_e32 v4, v85
	v_mov_b32_e32 v7, v5
	v_pk_mul_f32 v[4:5], v[12:13], v[4:5] op_sel_hi:[1,0]
	v_pk_add_f32 v[2:3], v[2:3], v[6:7]
	v_pk_fma_f32 v[6:7], v[12:13], v[84:85], v[4:5] op_sel:[0,0,1] op_sel_hi:[1,1,0] neg_lo:[0,0,1] neg_hi:[0,0,1]
	v_pk_fma_f32 v[4:5], v[12:13], v[84:85], v[4:5] op_sel:[0,0,1] op_sel_hi:[1,0,0]
	v_mov_b32_e32 v7, v5
	v_pk_add_f32 v[2:3], v[2:3], v[6:7]
	v_pk_add_f32 v[2:3], v[14:15], v[2:3] neg_lo:[0,1] neg_hi:[0,1]
	buffer_store_dword v3, off, s[0:3], 0 offset:156
	buffer_store_dword v2, off, s[0:3], 0 offset:152
	s_and_saveexec_b64 s[4:5], vcc
	s_cbranch_execz .LBB121_325
; %bb.324:
	buffer_load_dword v2, off, s[0:3], 0 offset:144
	buffer_load_dword v3, off, s[0:3], 0 offset:148
	v_mov_b32_e32 v4, 0
	buffer_store_dword v4, off, s[0:3], 0 offset:144
	buffer_store_dword v4, off, s[0:3], 0 offset:148
	s_waitcnt vmcnt(2)
	ds_write_b64 v175, v[2:3]
.LBB121_325:
	s_or_b64 exec, exec, s[4:5]
	s_waitcnt lgkmcnt(0)
	; wave barrier
	s_waitcnt lgkmcnt(0)
	buffer_load_dword v21, off, s[0:3], 0 offset:156
	buffer_load_dword v70, off, s[0:3], 0 offset:164
	buffer_load_dword v72, off, s[0:3], 0 offset:180
	buffer_load_dword v74, off, s[0:3], 0 offset:188
	buffer_load_dword v92, off, s[0:3], 0 offset:196
	buffer_load_dword v93, off, s[0:3], 0 offset:172
	buffer_load_dword v94, off, s[0:3], 0 offset:168
	buffer_load_dword v95, off, s[0:3], 0 offset:160
	buffer_load_dword v96, off, s[0:3], 0 offset:152
	buffer_load_dword v97, off, s[0:3], 0 offset:204
	buffer_load_dword v98, off, s[0:3], 0 offset:200
	buffer_load_dword v99, off, s[0:3], 0 offset:192
	buffer_load_dword v100, off, s[0:3], 0 offset:184
	buffer_load_dword v101, off, s[0:3], 0 offset:176
	buffer_load_dword v102, off, s[0:3], 0 offset:232
	buffer_load_dword v103, off, s[0:3], 0 offset:236
	buffer_load_dword v104, off, s[0:3], 0 offset:224
	buffer_load_dword v105, off, s[0:3], 0 offset:216
	buffer_load_dword v106, off, s[0:3], 0 offset:212
	buffer_load_dword v107, off, s[0:3], 0 offset:208
	buffer_load_dword v108, off, s[0:3], 0 offset:220
	buffer_load_dword v109, off, s[0:3], 0 offset:228
	buffer_load_dword v6, off, s[0:3], 0 offset:144
	buffer_load_dword v7, off, s[0:3], 0 offset:148
	buffer_load_dword v110, off, s[0:3], 0 offset:240
	buffer_load_dword v111, off, s[0:3], 0 offset:244
	buffer_load_dword v112, off, s[0:3], 0 offset:248
	buffer_load_dword v113, off, s[0:3], 0 offset:252
	buffer_load_dword v114, off, s[0:3], 0 offset:256
	buffer_load_dword v115, off, s[0:3], 0 offset:260
	buffer_load_dword v116, off, s[0:3], 0 offset:264
	buffer_load_dword v117, off, s[0:3], 0 offset:268
	buffer_load_dword v118, off, s[0:3], 0 offset:272
	buffer_load_dword v119, off, s[0:3], 0 offset:276
	buffer_load_dword v120, off, s[0:3], 0 offset:280
	buffer_load_dword v121, off, s[0:3], 0 offset:284
	buffer_load_dword v122, off, s[0:3], 0 offset:288
	buffer_load_dword v123, off, s[0:3], 0 offset:292
	buffer_load_dword v124, off, s[0:3], 0 offset:296
	buffer_load_dword v125, off, s[0:3], 0 offset:300
	buffer_load_dword v126, off, s[0:3], 0 offset:304
	buffer_load_dword v127, off, s[0:3], 0 offset:308
	buffer_load_dword v128, off, s[0:3], 0 offset:312
	buffer_load_dword v129, off, s[0:3], 0 offset:316
	buffer_load_dword v130, off, s[0:3], 0 offset:320
	buffer_load_dword v131, off, s[0:3], 0 offset:324
	buffer_load_dword v132, off, s[0:3], 0 offset:328
	buffer_load_dword v133, off, s[0:3], 0 offset:332
	v_mov_b32_e32 v20, 0
	ds_read2_b64 v[2:5], v20 offset0:77 offset1:78
	buffer_load_dword v134, off, s[0:3], 0 offset:336
	buffer_load_dword v135, off, s[0:3], 0 offset:340
	;; [unrolled: 1-line block ×8, first 2 shown]
	ds_read2_b64 v[8:11], v20 offset0:79 offset1:80
	ds_read2_b64 v[12:15], v20 offset0:81 offset1:82
	;; [unrolled: 1-line block ×3, first 2 shown]
	buffer_load_dword v142, off, s[0:3], 0 offset:368
	buffer_load_dword v143, off, s[0:3], 0 offset:372
	buffer_load_dword v144, off, s[0:3], 0 offset:376
	buffer_load_dword v145, off, s[0:3], 0 offset:380
	buffer_load_dword v146, off, s[0:3], 0 offset:384
	buffer_load_dword v147, off, s[0:3], 0 offset:388
	buffer_load_dword v148, off, s[0:3], 0 offset:392
	buffer_load_dword v149, off, s[0:3], 0 offset:396
	v_cmp_lt_u32_e32 vcc, 17, v0
	s_waitcnt vmcnt(62) lgkmcnt(3)
	v_mul_f32_e32 v22, v2, v21
	v_mul_f32_e32 v23, v4, v70
	s_waitcnt vmcnt(61) lgkmcnt(2)
	v_mul_f32_e32 v25, v10, v72
	s_waitcnt vmcnt(60) lgkmcnt(1)
	v_mul_f32_e32 v26, v12, v74
	s_waitcnt vmcnt(59)
	v_mul_f32_e32 v27, v14, v92
	s_waitcnt vmcnt(58)
	;; [unrolled: 2-line block ×3, first 2 shown]
	v_fmac_f32_e32 v24, v9, v94
	s_waitcnt vmcnt(56)
	v_fmac_f32_e32 v23, v5, v95
	s_waitcnt vmcnt(55)
	v_fmac_f32_e32 v22, v3, v96
	v_add_f32_e32 v22, 0, v22
	v_add_f32_e32 v22, v22, v23
	;; [unrolled: 1-line block ×3, first 2 shown]
	s_waitcnt vmcnt(51)
	v_fmac_f32_e32 v26, v13, v100
	s_waitcnt vmcnt(50)
	v_fmac_f32_e32 v25, v11, v101
	v_add_f32_e32 v22, v22, v25
	s_waitcnt lgkmcnt(0)
	v_mul_f32_e32 v28, v16, v97
	v_fmac_f32_e32 v27, v15, v99
	v_add_f32_e32 v22, v22, v26
	v_fmac_f32_e32 v28, v17, v98
	v_add_f32_e32 v22, v22, v27
	v_add_f32_e32 v26, v22, v28
	ds_read2_b64 v[22:25], v20 offset0:85 offset1:86
	s_waitcnt vmcnt(45)
	v_mul_f32_e32 v27, v18, v106
	s_waitcnt vmcnt(44)
	v_fmac_f32_e32 v27, v19, v107
	v_add_f32_e32 v30, v26, v27
	ds_read2_b64 v[26:29], v20 offset0:87 offset1:88
	s_waitcnt vmcnt(43) lgkmcnt(1)
	v_mul_f32_e32 v31, v22, v108
	v_fmac_f32_e32 v31, v23, v105
	v_add_f32_e32 v30, v30, v31
	s_waitcnt vmcnt(42)
	v_mul_f32_e32 v31, v24, v109
	v_fmac_f32_e32 v31, v25, v104
	v_add_f32_e32 v30, v30, v31
	s_waitcnt lgkmcnt(0)
	v_mul_f32_e32 v31, v26, v103
	v_fmac_f32_e32 v31, v27, v102
	v_add_f32_e32 v34, v30, v31
	ds_read2_b64 v[30:33], v20 offset0:89 offset1:90
	s_waitcnt vmcnt(38)
	v_mul_f32_e32 v35, v28, v111
	v_fmac_f32_e32 v35, v29, v110
	v_add_f32_e32 v38, v34, v35
	ds_read2_b64 v[34:37], v20 offset0:91 offset1:92
	s_waitcnt vmcnt(36) lgkmcnt(1)
	v_mul_f32_e32 v39, v30, v113
	v_fmac_f32_e32 v39, v31, v112
	v_add_f32_e32 v38, v38, v39
	s_waitcnt vmcnt(34)
	v_mul_f32_e32 v39, v32, v115
	v_fmac_f32_e32 v39, v33, v114
	v_add_f32_e32 v38, v38, v39
	s_waitcnt vmcnt(32) lgkmcnt(0)
	v_mul_f32_e32 v39, v34, v117
	v_fmac_f32_e32 v39, v35, v116
	v_add_f32_e32 v42, v38, v39
	ds_read2_b64 v[38:41], v20 offset0:93 offset1:94
	s_waitcnt vmcnt(30)
	v_mul_f32_e32 v43, v36, v119
	v_fmac_f32_e32 v43, v37, v118
	v_add_f32_e32 v46, v42, v43
	ds_read2_b64 v[42:45], v20 offset0:95 offset1:96
	s_waitcnt vmcnt(28) lgkmcnt(1)
	v_mul_f32_e32 v47, v38, v121
	v_fmac_f32_e32 v47, v39, v120
	v_add_f32_e32 v46, v46, v47
	s_waitcnt vmcnt(26)
	v_mul_f32_e32 v47, v40, v123
	v_fmac_f32_e32 v47, v41, v122
	v_add_f32_e32 v46, v46, v47
	s_waitcnt vmcnt(24) lgkmcnt(0)
	;; [unrolled: 18-line block ×4, first 2 shown]
	v_mul_f32_e32 v63, v58, v141
	v_fmac_f32_e32 v63, v59, v140
	s_waitcnt vmcnt(6)
	v_mul_f32_e32 v67, v60, v143
	v_add_f32_e32 v66, v62, v63
	v_fmac_f32_e32 v67, v61, v142
	ds_read2_b64 v[62:65], v20 offset0:105 offset1:106
	v_add_f32_e32 v71, v66, v67
	ds_read2_b64 v[66:69], v20 offset0:107 offset1:108
	buffer_load_dword v77, off, s[0:3], 0 offset:428
	buffer_load_dword v76, off, s[0:3], 0 offset:424
	buffer_load_dword v79, off, s[0:3], 0 offset:420
	buffer_load_dword v78, off, s[0:3], 0 offset:416
	buffer_load_dword v81, off, s[0:3], 0 offset:412
	buffer_load_dword v80, off, s[0:3], 0 offset:408
	buffer_load_dword v83, off, s[0:3], 0 offset:404
	buffer_load_dword v82, off, s[0:3], 0 offset:400
	buffer_load_dword v85, off, s[0:3], 0 offset:460
	buffer_load_dword v84, off, s[0:3], 0 offset:456
	buffer_load_dword v87, off, s[0:3], 0 offset:452
	buffer_load_dword v86, off, s[0:3], 0 offset:448
	buffer_load_dword v89, off, s[0:3], 0 offset:444
	buffer_load_dword v88, off, s[0:3], 0 offset:440
	buffer_load_dword v91, off, s[0:3], 0 offset:436
	buffer_load_dword v90, off, s[0:3], 0 offset:432
	v_mul_f32_e32 v3, v3, v21
	v_fma_f32 v2, v2, v96, -v3
	v_mul_f32_e32 v3, v5, v70
	v_add_f32_e32 v2, 0, v2
	v_fma_f32 v3, v4, v95, -v3
	v_add_f32_e32 v2, v2, v3
	v_mul_f32_e32 v3, v9, v93
	v_fma_f32 v3, v8, v94, -v3
	v_add_f32_e32 v2, v2, v3
	v_mul_f32_e32 v3, v11, v72
	;; [unrolled: 3-line block ×26, first 2 shown]
	v_fma_f32 v3, v60, v142, -v3
	v_add_f32_e32 v2, v2, v3
	s_waitcnt vmcnt(20) lgkmcnt(1)
	v_mul_f32_e32 v3, v63, v145
	v_mul_f32_e32 v73, v62, v145
	v_fma_f32 v3, v62, v144, -v3
	v_fmac_f32_e32 v73, v63, v144
	v_add_f32_e32 v70, v2, v3
	s_waitcnt vmcnt(18)
	v_mul_f32_e32 v2, v65, v147
	s_waitcnt vmcnt(9)
	v_mov_b32_e32 v22, v83
	v_add_f32_e32 v71, v71, v73
	v_mul_f32_e32 v73, v64, v147
	v_fma_f32 v72, v64, v146, -v2
	s_waitcnt lgkmcnt(0)
	v_mul_f32_e32 v2, v67, v149
	v_pk_mul_f32 v[22:23], v[68:69], v[22:23] op_sel_hi:[1,0]
	v_fmac_f32_e32 v73, v65, v146
	v_mul_f32_e32 v75, v66, v149
	v_fma_f32 v74, v66, v148, -v2
	ds_read2_b64 v[2:5], v20 offset0:109 offset1:110
	ds_read2_b64 v[8:11], v20 offset0:111 offset1:112
	;; [unrolled: 1-line block ×3, first 2 shown]
	ds_read_b64 v[16:17], v20 offset:920
	s_waitcnt vmcnt(8)
	v_pk_fma_f32 v[24:25], v[68:69], v[82:83], v[22:23] op_sel:[0,0,1] op_sel_hi:[1,1,0] neg_lo:[0,0,1] neg_hi:[0,0,1]
	v_pk_fma_f32 v[22:23], v[68:69], v[82:83], v[22:23] op_sel:[0,0,1] op_sel_hi:[1,0,0]
	v_fmac_f32_e32 v75, v67, v148
	v_pk_add_f32 v[18:19], v[70:71], v[72:73]
	v_mov_b32_e32 v22, v81
	v_pk_add_f32 v[18:19], v[18:19], v[74:75]
	v_mov_b32_e32 v25, v23
	s_waitcnt lgkmcnt(3)
	v_pk_mul_f32 v[22:23], v[2:3], v[22:23] op_sel_hi:[1,0]
	v_pk_add_f32 v[18:19], v[18:19], v[24:25]
	v_pk_fma_f32 v[24:25], v[2:3], v[80:81], v[22:23] op_sel:[0,0,1] op_sel_hi:[1,1,0] neg_lo:[0,0,1] neg_hi:[0,0,1]
	v_pk_fma_f32 v[2:3], v[2:3], v[80:81], v[22:23] op_sel:[0,0,1] op_sel_hi:[1,0,0]
	v_mov_b32_e32 v25, v3
	v_pk_add_f32 v[2:3], v[18:19], v[24:25]
	v_mov_b32_e32 v18, v79
	v_pk_mul_f32 v[18:19], v[4:5], v[18:19] op_sel_hi:[1,0]
	v_pk_fma_f32 v[22:23], v[4:5], v[78:79], v[18:19] op_sel:[0,0,1] op_sel_hi:[1,1,0] neg_lo:[0,0,1] neg_hi:[0,0,1]
	v_pk_fma_f32 v[4:5], v[4:5], v[78:79], v[18:19] op_sel:[0,0,1] op_sel_hi:[1,0,0]
	v_mov_b32_e32 v4, v77
	v_mov_b32_e32 v23, v5
	s_waitcnt lgkmcnt(2)
	v_pk_mul_f32 v[4:5], v[8:9], v[4:5] op_sel_hi:[1,0]
	v_pk_fma_f32 v[18:19], v[8:9], v[76:77], v[4:5] op_sel:[0,0,1] op_sel_hi:[1,1,0] neg_lo:[0,0,1] neg_hi:[0,0,1]
	v_pk_fma_f32 v[4:5], v[8:9], v[76:77], v[4:5] op_sel:[0,0,1] op_sel_hi:[1,0,0]
	s_waitcnt vmcnt(1)
	v_mov_b32_e32 v4, v91
	v_mov_b32_e32 v19, v5
	v_pk_mul_f32 v[4:5], v[10:11], v[4:5] op_sel_hi:[1,0]
	s_waitcnt vmcnt(0)
	v_pk_fma_f32 v[8:9], v[10:11], v[90:91], v[4:5] op_sel:[0,0,1] op_sel_hi:[1,1,0] neg_lo:[0,0,1] neg_hi:[0,0,1]
	v_pk_fma_f32 v[4:5], v[10:11], v[90:91], v[4:5] op_sel:[0,0,1] op_sel_hi:[1,0,0]
	v_pk_add_f32 v[2:3], v[2:3], v[22:23]
	v_mov_b32_e32 v4, v89
	v_pk_add_f32 v[2:3], v[2:3], v[18:19]
	v_mov_b32_e32 v9, v5
	s_waitcnt lgkmcnt(1)
	v_pk_mul_f32 v[4:5], v[12:13], v[4:5] op_sel_hi:[1,0]
	v_pk_add_f32 v[2:3], v[2:3], v[8:9]
	v_pk_fma_f32 v[8:9], v[12:13], v[88:89], v[4:5] op_sel:[0,0,1] op_sel_hi:[1,1,0] neg_lo:[0,0,1] neg_hi:[0,0,1]
	v_pk_fma_f32 v[4:5], v[12:13], v[88:89], v[4:5] op_sel:[0,0,1] op_sel_hi:[1,0,0]
	v_mov_b32_e32 v4, v87
	v_mov_b32_e32 v9, v5
	v_pk_mul_f32 v[4:5], v[14:15], v[4:5] op_sel_hi:[1,0]
	v_pk_add_f32 v[2:3], v[2:3], v[8:9]
	v_pk_fma_f32 v[8:9], v[14:15], v[86:87], v[4:5] op_sel:[0,0,1] op_sel_hi:[1,1,0] neg_lo:[0,0,1] neg_hi:[0,0,1]
	v_pk_fma_f32 v[4:5], v[14:15], v[86:87], v[4:5] op_sel:[0,0,1] op_sel_hi:[1,0,0]
	v_mov_b32_e32 v4, v85
	v_mov_b32_e32 v9, v5
	s_waitcnt lgkmcnt(0)
	v_pk_mul_f32 v[4:5], v[16:17], v[4:5] op_sel_hi:[1,0]
	v_pk_add_f32 v[2:3], v[2:3], v[8:9]
	v_pk_fma_f32 v[8:9], v[16:17], v[84:85], v[4:5] op_sel:[0,0,1] op_sel_hi:[1,1,0] neg_lo:[0,0,1] neg_hi:[0,0,1]
	v_pk_fma_f32 v[4:5], v[16:17], v[84:85], v[4:5] op_sel:[0,0,1] op_sel_hi:[1,0,0]
	v_mov_b32_e32 v9, v5
	v_pk_add_f32 v[2:3], v[2:3], v[8:9]
	v_pk_add_f32 v[2:3], v[6:7], v[2:3] neg_lo:[0,1] neg_hi:[0,1]
	buffer_store_dword v3, off, s[0:3], 0 offset:148
	buffer_store_dword v2, off, s[0:3], 0 offset:144
	s_and_saveexec_b64 s[4:5], vcc
	s_cbranch_execz .LBB121_327
; %bb.326:
	buffer_load_dword v2, off, s[0:3], 0 offset:136
	buffer_load_dword v3, off, s[0:3], 0 offset:140
	s_waitcnt vmcnt(0)
	ds_write_b64 v175, v[2:3]
	buffer_store_dword v20, off, s[0:3], 0 offset:136
	buffer_store_dword v20, off, s[0:3], 0 offset:140
.LBB121_327:
	s_or_b64 exec, exec, s[4:5]
	s_waitcnt lgkmcnt(0)
	; wave barrier
	s_waitcnt lgkmcnt(0)
	buffer_load_dword v21, off, s[0:3], 0 offset:148
	buffer_load_dword v70, off, s[0:3], 0 offset:156
	;; [unrolled: 1-line block ×26, first 2 shown]
	ds_read_b128 v[14:17], v20 offset:608
	ds_read_b128 v[6:9], v20 offset:624
	buffer_load_dword v112, off, s[0:3], 0 offset:240
	buffer_load_dword v113, off, s[0:3], 0 offset:244
	ds_read_b128 v[10:13], v20 offset:640
	ds_read_b128 v[2:5], v20 offset:656
	buffer_load_dword v114, off, s[0:3], 0 offset:248
	buffer_load_dword v115, off, s[0:3], 0 offset:252
	;; [unrolled: 1-line block ×32, first 2 shown]
	v_cmp_lt_u32_e32 vcc, 16, v0
	s_waitcnt vmcnt(59) lgkmcnt(3)
	v_mul_f32_e32 v22, v14, v21
	s_waitcnt vmcnt(58)
	v_mul_f32_e32 v23, v16, v70
	s_waitcnt vmcnt(57) lgkmcnt(2)
	v_mul_f32_e32 v25, v8, v72
	s_waitcnt vmcnt(56) lgkmcnt(1)
	v_mul_f32_e32 v26, v10, v80
	s_waitcnt vmcnt(55)
	v_mul_f32_e32 v27, v12, v92
	s_waitcnt vmcnt(54)
	v_mul_f32_e32 v24, v6, v93
	s_waitcnt vmcnt(53) lgkmcnt(0)
	v_mul_f32_e32 v28, v2, v94
	s_waitcnt vmcnt(52)
	v_mul_f32_e32 v29, v4, v95
	s_waitcnt vmcnt(51)
	v_fmac_f32_e32 v24, v7, v96
	s_waitcnt vmcnt(50)
	v_fmac_f32_e32 v23, v17, v97
	;; [unrolled: 2-line block ×3, first 2 shown]
	v_add_f32_e32 v22, 0, v22
	v_add_f32_e32 v22, v22, v23
	;; [unrolled: 1-line block ×3, first 2 shown]
	s_waitcnt vmcnt(45)
	v_fmac_f32_e32 v25, v9, v102
	v_fmac_f32_e32 v26, v11, v101
	v_add_f32_e32 v22, v22, v25
	v_fmac_f32_e32 v27, v13, v100
	v_add_f32_e32 v22, v22, v26
	;; [unrolled: 2-line block ×3, first 2 shown]
	v_add_f32_e32 v26, v22, v28
	ds_read_b128 v[22:25], v20 offset:672
	s_waitcnt vmcnt(41)
	v_fmac_f32_e32 v29, v5, v106
	buffer_load_dword v146, off, s[0:3], 0 offset:376
	buffer_load_dword v147, off, s[0:3], 0 offset:380
	v_add_f32_e32 v30, v26, v29
	buffer_load_dword v148, off, s[0:3], 0 offset:384
	buffer_load_dword v149, off, s[0:3], 0 offset:388
	ds_read_b128 v[26:29], v20 offset:688
	s_waitcnt vmcnt(44) lgkmcnt(1)
	v_mul_f32_e32 v31, v22, v107
	v_fmac_f32_e32 v31, v23, v105
	v_add_f32_e32 v30, v30, v31
	s_waitcnt vmcnt(43)
	v_mul_f32_e32 v31, v24, v108
	v_fmac_f32_e32 v31, v25, v104
	v_add_f32_e32 v30, v30, v31
	s_waitcnt vmcnt(42) lgkmcnt(0)
	v_mul_f32_e32 v31, v26, v109
	v_fmac_f32_e32 v31, v27, v103
	buffer_load_dword v150, off, s[0:3], 0 offset:392
	buffer_load_dword v151, off, s[0:3], 0 offset:396
	v_add_f32_e32 v34, v30, v31
	ds_read_b128 v[30:33], v20 offset:704
	s_waitcnt vmcnt(40)
	v_mul_f32_e32 v35, v28, v111
	v_fmac_f32_e32 v35, v29, v110
	v_add_f32_e32 v38, v34, v35
	ds_read_b128 v[34:37], v20 offset:720
	s_waitcnt vmcnt(38) lgkmcnt(1)
	v_mul_f32_e32 v39, v30, v113
	v_fmac_f32_e32 v39, v31, v112
	v_add_f32_e32 v38, v38, v39
	s_waitcnt vmcnt(36)
	v_mul_f32_e32 v39, v32, v115
	v_fmac_f32_e32 v39, v33, v114
	v_add_f32_e32 v38, v38, v39
	s_waitcnt vmcnt(34) lgkmcnt(0)
	v_mul_f32_e32 v39, v34, v117
	v_fmac_f32_e32 v39, v35, v116
	v_add_f32_e32 v42, v38, v39
	ds_read_b128 v[38:41], v20 offset:736
	s_waitcnt vmcnt(32)
	v_mul_f32_e32 v43, v36, v119
	v_fmac_f32_e32 v43, v37, v118
	v_add_f32_e32 v46, v42, v43
	ds_read_b128 v[42:45], v20 offset:752
	s_waitcnt vmcnt(30) lgkmcnt(1)
	v_mul_f32_e32 v47, v38, v121
	v_fmac_f32_e32 v47, v39, v120
	v_add_f32_e32 v46, v46, v47
	s_waitcnt vmcnt(28)
	v_mul_f32_e32 v47, v40, v123
	v_fmac_f32_e32 v47, v41, v122
	v_add_f32_e32 v46, v46, v47
	s_waitcnt vmcnt(26) lgkmcnt(0)
	v_mul_f32_e32 v47, v42, v125
	v_fmac_f32_e32 v47, v43, v124
	;; [unrolled: 18-line block ×4, first 2 shown]
	s_waitcnt vmcnt(8)
	v_mul_f32_e32 v67, v60, v143
	v_add_f32_e32 v66, v62, v63
	v_fmac_f32_e32 v67, v61, v142
	ds_read_b128 v[62:65], v20 offset:832
	v_add_f32_e32 v71, v66, v67
	ds_read_b128 v[66:69], v20 offset:848
	buffer_load_dword v75, off, s[0:3], 0 offset:420
	buffer_load_dword v74, off, s[0:3], 0 offset:416
	;; [unrolled: 1-line block ×16, first 2 shown]
	v_mul_f32_e32 v15, v15, v21
	v_fma_f32 v14, v14, v98, -v15
	v_mul_f32_e32 v15, v17, v70
	v_add_f32_e32 v14, 0, v14
	v_fma_f32 v15, v16, v97, -v15
	v_mul_f32_e32 v7, v7, v93
	v_add_f32_e32 v14, v14, v15
	;; [unrolled: 3-line block ×3, first 2 shown]
	v_fma_f32 v7, v8, v102, -v7
	v_add_f32_e32 v6, v6, v7
	v_mul_f32_e32 v7, v11, v80
	v_fma_f32 v7, v10, v101, -v7
	v_add_f32_e32 v6, v6, v7
	v_mul_f32_e32 v7, v13, v92
	v_fma_f32 v7, v12, v100, -v7
	v_mul_f32_e32 v3, v3, v94
	v_add_f32_e32 v6, v6, v7
	v_fma_f32 v2, v2, v99, -v3
	v_mul_f32_e32 v3, v5, v95
	v_add_f32_e32 v2, v6, v2
	v_fma_f32 v3, v4, v106, -v3
	v_add_f32_e32 v2, v2, v3
	v_mul_f32_e32 v3, v23, v107
	v_fma_f32 v3, v22, v105, -v3
	v_add_f32_e32 v2, v2, v3
	v_mul_f32_e32 v3, v25, v108
	;; [unrolled: 3-line block ×20, first 2 shown]
	v_fma_f32 v3, v60, v142, -v3
	v_add_f32_e32 v2, v2, v3
	s_waitcnt vmcnt(22) lgkmcnt(1)
	v_mul_f32_e32 v3, v63, v145
	v_fma_f32 v3, v62, v144, -v3
	v_add_f32_e32 v2, v2, v3
	s_waitcnt vmcnt(20)
	v_mul_f32_e32 v3, v65, v147
	v_mul_f32_e32 v73, v62, v145
	v_fma_f32 v3, v64, v146, -v3
	v_fmac_f32_e32 v73, v63, v144
	v_add_f32_e32 v70, v2, v3
	s_waitcnt vmcnt(18) lgkmcnt(0)
	v_mul_f32_e32 v2, v67, v149
	v_add_f32_e32 v71, v71, v73
	v_mul_f32_e32 v73, v64, v147
	v_fma_f32 v72, v66, v148, -v2
	s_waitcnt vmcnt(16)
	v_mul_f32_e32 v2, v69, v151
	v_fmac_f32_e32 v73, v65, v146
	v_fma_f32 v80, v68, v150, -v2
	ds_read_b128 v[2:5], v20 offset:864
	ds_read_b128 v[6:9], v20 offset:880
	;; [unrolled: 1-line block ×4, first 2 shown]
	v_add_f32_e32 v71, v71, v73
	v_mul_f32_e32 v73, v66, v149
	s_waitcnt vmcnt(11)
	v_mov_b32_e32 v22, v79
	v_fmac_f32_e32 v73, v67, v148
	v_mul_f32_e32 v81, v68, v151
	s_waitcnt lgkmcnt(3)
	v_pk_mul_f32 v[22:23], v[2:3], v[22:23] op_sel_hi:[1,0]
	v_fmac_f32_e32 v81, v69, v150
	v_pk_add_f32 v[20:21], v[70:71], v[72:73]
	s_waitcnt vmcnt(10)
	v_pk_fma_f32 v[24:25], v[2:3], v[78:79], v[22:23] op_sel:[0,0,1] op_sel_hi:[1,1,0] neg_lo:[0,0,1] neg_hi:[0,0,1]
	v_pk_fma_f32 v[2:3], v[2:3], v[78:79], v[22:23] op_sel:[0,0,1] op_sel_hi:[1,0,0]
	v_pk_add_f32 v[20:21], v[20:21], v[80:81]
	v_mov_b32_e32 v25, v3
	v_pk_add_f32 v[2:3], v[20:21], v[24:25]
	v_mov_b32_e32 v20, v77
	v_pk_mul_f32 v[20:21], v[4:5], v[20:21] op_sel_hi:[1,0]
	v_pk_fma_f32 v[22:23], v[4:5], v[76:77], v[20:21] op_sel:[0,0,1] op_sel_hi:[1,1,0] neg_lo:[0,0,1] neg_hi:[0,0,1]
	v_pk_fma_f32 v[4:5], v[4:5], v[76:77], v[20:21] op_sel:[0,0,1] op_sel_hi:[1,0,0]
	v_mov_b32_e32 v4, v75
	v_mov_b32_e32 v23, v5
	s_waitcnt lgkmcnt(2)
	v_pk_mul_f32 v[4:5], v[6:7], v[4:5] op_sel_hi:[1,0]
	v_pk_fma_f32 v[20:21], v[6:7], v[74:75], v[4:5] op_sel:[0,0,1] op_sel_hi:[1,1,0] neg_lo:[0,0,1] neg_hi:[0,0,1]
	v_pk_fma_f32 v[4:5], v[6:7], v[74:75], v[4:5] op_sel:[0,0,1] op_sel_hi:[1,0,0]
	s_waitcnt vmcnt(3)
	v_mov_b32_e32 v4, v89
	v_mov_b32_e32 v21, v5
	v_pk_mul_f32 v[4:5], v[8:9], v[4:5] op_sel_hi:[1,0]
	s_waitcnt vmcnt(2)
	v_pk_fma_f32 v[6:7], v[8:9], v[88:89], v[4:5] op_sel:[0,0,1] op_sel_hi:[1,1,0] neg_lo:[0,0,1] neg_hi:[0,0,1]
	v_pk_fma_f32 v[4:5], v[8:9], v[88:89], v[4:5] op_sel:[0,0,1] op_sel_hi:[1,0,0]
	v_pk_add_f32 v[2:3], v[2:3], v[22:23]
	v_mov_b32_e32 v4, v87
	v_pk_add_f32 v[2:3], v[2:3], v[20:21]
	v_mov_b32_e32 v7, v5
	s_waitcnt lgkmcnt(1)
	v_pk_mul_f32 v[4:5], v[10:11], v[4:5] op_sel_hi:[1,0]
	v_pk_add_f32 v[2:3], v[2:3], v[6:7]
	v_pk_fma_f32 v[6:7], v[10:11], v[86:87], v[4:5] op_sel:[0,0,1] op_sel_hi:[1,1,0] neg_lo:[0,0,1] neg_hi:[0,0,1]
	v_pk_fma_f32 v[4:5], v[10:11], v[86:87], v[4:5] op_sel:[0,0,1] op_sel_hi:[1,0,0]
	v_mov_b32_e32 v4, v85
	v_mov_b32_e32 v7, v5
	v_pk_mul_f32 v[4:5], v[12:13], v[4:5] op_sel_hi:[1,0]
	v_pk_add_f32 v[2:3], v[2:3], v[6:7]
	v_pk_fma_f32 v[6:7], v[12:13], v[84:85], v[4:5] op_sel:[0,0,1] op_sel_hi:[1,1,0] neg_lo:[0,0,1] neg_hi:[0,0,1]
	v_pk_fma_f32 v[4:5], v[12:13], v[84:85], v[4:5] op_sel:[0,0,1] op_sel_hi:[1,0,0]
	v_mov_b32_e32 v4, v83
	v_mov_b32_e32 v7, v5
	s_waitcnt lgkmcnt(0)
	v_pk_mul_f32 v[4:5], v[14:15], v[4:5] op_sel_hi:[1,0]
	v_pk_add_f32 v[2:3], v[2:3], v[6:7]
	v_pk_fma_f32 v[6:7], v[14:15], v[82:83], v[4:5] op_sel:[0,0,1] op_sel_hi:[1,1,0] neg_lo:[0,0,1] neg_hi:[0,0,1]
	v_pk_fma_f32 v[4:5], v[14:15], v[82:83], v[4:5] op_sel:[0,0,1] op_sel_hi:[1,0,0]
	s_waitcnt vmcnt(1)
	v_mov_b32_e32 v4, v91
	v_mov_b32_e32 v7, v5
	v_pk_mul_f32 v[4:5], v[16:17], v[4:5] op_sel_hi:[1,0]
	v_pk_add_f32 v[2:3], v[2:3], v[6:7]
	s_waitcnt vmcnt(0)
	v_pk_fma_f32 v[6:7], v[16:17], v[90:91], v[4:5] op_sel:[0,0,1] op_sel_hi:[1,1,0] neg_lo:[0,0,1] neg_hi:[0,0,1]
	v_pk_fma_f32 v[4:5], v[16:17], v[90:91], v[4:5] op_sel:[0,0,1] op_sel_hi:[1,0,0]
	v_mov_b32_e32 v7, v5
	v_pk_add_f32 v[2:3], v[2:3], v[6:7]
	v_pk_add_f32 v[2:3], v[18:19], v[2:3] neg_lo:[0,1] neg_hi:[0,1]
	buffer_store_dword v3, off, s[0:3], 0 offset:140
	buffer_store_dword v2, off, s[0:3], 0 offset:136
	s_and_saveexec_b64 s[4:5], vcc
	s_cbranch_execz .LBB121_329
; %bb.328:
	buffer_load_dword v2, off, s[0:3], 0 offset:128
	buffer_load_dword v3, off, s[0:3], 0 offset:132
	v_mov_b32_e32 v4, 0
	buffer_store_dword v4, off, s[0:3], 0 offset:128
	buffer_store_dword v4, off, s[0:3], 0 offset:132
	s_waitcnt vmcnt(2)
	ds_write_b64 v175, v[2:3]
.LBB121_329:
	s_or_b64 exec, exec, s[4:5]
	v_mov_b32_e32 v94, 0
	s_waitcnt lgkmcnt(0)
	; wave barrier
	s_waitcnt lgkmcnt(0)
	ds_read2_b64 v[2:5], v94 offset0:75 offset1:76
	buffer_load_dword v70, off, s[0:3], 0 offset:128
	buffer_load_dword v71, off, s[0:3], 0 offset:132
	;; [unrolled: 1-line block ×16, first 2 shown]
	v_cmp_lt_u32_e32 vcc, 15, v0
	s_waitcnt vmcnt(12) lgkmcnt(0)
	v_mul_f32_e32 v6, v2, v95
	v_fmac_f32_e32 v6, v3, v72
	s_waitcnt vmcnt(10)
	v_mul_f32_e32 v7, v4, v97
	v_add_f32_e32 v6, 0, v6
	v_fmac_f32_e32 v7, v5, v74
	v_add_f32_e32 v10, v6, v7
	ds_read2_b64 v[6:9], v94 offset0:77 offset1:78
	v_mul_f32_e32 v3, v3, v95
	v_fma_f32 v2, v2, v72, -v3
	v_mul_f32_e32 v3, v5, v97
	v_add_f32_e32 v2, 0, v2
	s_waitcnt vmcnt(8) lgkmcnt(0)
	v_mul_f32_e32 v11, v6, v99
	v_fmac_f32_e32 v11, v7, v78
	v_add_f32_e32 v10, v10, v11
	s_waitcnt vmcnt(6)
	v_mul_f32_e32 v11, v8, v101
	v_fmac_f32_e32 v11, v9, v96
	v_add_f32_e32 v14, v10, v11
	ds_read2_b64 v[10:13], v94 offset0:79 offset1:80
	v_fma_f32 v3, v4, v74, -v3
	v_add_f32_e32 v2, v2, v3
	v_mul_f32_e32 v3, v7, v99
	v_fma_f32 v3, v6, v78, -v3
	s_waitcnt vmcnt(4) lgkmcnt(0)
	v_mul_f32_e32 v15, v10, v103
	v_fmac_f32_e32 v15, v11, v98
	v_add_f32_e32 v14, v14, v15
	s_waitcnt vmcnt(2)
	v_mul_f32_e32 v15, v12, v104
	v_fmac_f32_e32 v15, v13, v100
	v_add_f32_e32 v18, v14, v15
	ds_read2_b64 v[14:17], v94 offset0:81 offset1:82
	buffer_load_dword v106, off, s[0:3], 0 offset:192
	buffer_load_dword v107, off, s[0:3], 0 offset:196
	v_add_f32_e32 v2, v2, v3
	v_mul_f32_e32 v3, v9, v101
	v_fma_f32 v3, v8, v96, -v3
	s_waitcnt vmcnt(2) lgkmcnt(0)
	v_mul_f32_e32 v19, v14, v105
	v_fmac_f32_e32 v19, v15, v102
	v_add_f32_e32 v18, v18, v19
	v_add_f32_e32 v2, v2, v3
	v_mul_f32_e32 v3, v11, v103
	v_fma_f32 v3, v10, v98, -v3
	v_add_f32_e32 v2, v2, v3
	v_mul_f32_e32 v3, v13, v104
	v_fma_f32 v3, v12, v100, -v3
	;; [unrolled: 3-line block ×3, first 2 shown]
	v_add_f32_e32 v2, v2, v3
	s_waitcnt vmcnt(0)
	v_mul_f32_e32 v19, v16, v107
	v_fmac_f32_e32 v19, v17, v106
	v_add_f32_e32 v22, v18, v19
	ds_read2_b64 v[18:21], v94 offset0:83 offset1:84
	buffer_load_dword v108, off, s[0:3], 0 offset:200
	buffer_load_dword v109, off, s[0:3], 0 offset:204
	buffer_load_dword v110, off, s[0:3], 0 offset:208
	buffer_load_dword v111, off, s[0:3], 0 offset:212
	ds_read2_b64 v[26:29], v94 offset0:85 offset1:86
	buffer_load_dword v112, off, s[0:3], 0 offset:216
	buffer_load_dword v113, off, s[0:3], 0 offset:220
	buffer_load_dword v114, off, s[0:3], 0 offset:224
	buffer_load_dword v115, off, s[0:3], 0 offset:228
	;; [unrolled: 5-line block ×12, first 2 shown]
	v_mul_f32_e32 v3, v17, v107
	v_fma_f32 v3, v16, v106, -v3
	v_add_f32_e32 v2, v2, v3
	s_waitcnt vmcnt(46) lgkmcnt(11)
	v_mul_f32_e32 v23, v18, v109
	v_fmac_f32_e32 v23, v19, v108
	v_add_f32_e32 v22, v22, v23
	s_waitcnt vmcnt(44)
	v_mul_f32_e32 v23, v20, v111
	v_fmac_f32_e32 v23, v21, v110
	v_add_f32_e32 v22, v22, v23
	s_waitcnt vmcnt(42) lgkmcnt(10)
	v_mul_f32_e32 v23, v26, v113
	v_fmac_f32_e32 v23, v27, v112
	v_add_f32_e32 v22, v22, v23
	s_waitcnt vmcnt(40)
	v_mul_f32_e32 v23, v28, v115
	v_fmac_f32_e32 v23, v29, v114
	;; [unrolled: 8-line block ×11, first 2 shown]
	v_add_f32_e32 v22, v22, v23
	s_waitcnt vmcnt(2) lgkmcnt(0)
	v_mul_f32_e32 v23, v66, v153
	v_fmac_f32_e32 v23, v67, v152
	v_add_f32_e32 v73, v22, v23
	ds_read2_b64 v[22:25], v94 offset0:107 offset1:108
	buffer_load_dword v156, off, s[0:3], 0 offset:392
	buffer_load_dword v157, off, s[0:3], 0 offset:396
	;; [unrolled: 1-line block ×18, first 2 shown]
	v_mul_f32_e32 v3, v19, v109
	v_fma_f32 v3, v18, v108, -v3
	v_add_f32_e32 v2, v2, v3
	v_mul_f32_e32 v3, v21, v111
	v_fma_f32 v3, v20, v110, -v3
	v_add_f32_e32 v2, v2, v3
	;; [unrolled: 3-line block ×23, first 2 shown]
	s_waitcnt vmcnt(18)
	v_mul_f32_e32 v2, v69, v155
	s_waitcnt vmcnt(15)
	v_mov_b32_e32 v18, v77
	v_mul_f32_e32 v75, v68, v155
	v_fma_f32 v74, v68, v154, -v2
	s_waitcnt lgkmcnt(0)
	v_pk_mul_f32 v[18:19], v[24:25], v[18:19] op_sel_hi:[1,0]
	v_fmac_f32_e32 v75, v69, v154
	s_waitcnt vmcnt(14)
	v_pk_fma_f32 v[20:21], v[24:25], v[76:77], v[18:19] op_sel:[0,0,1] op_sel_hi:[1,1,0] neg_lo:[0,0,1] neg_hi:[0,0,1]
	v_pk_fma_f32 v[18:19], v[24:25], v[76:77], v[18:19] op_sel:[0,0,1] op_sel_hi:[1,0,0]
	v_pk_add_f32 v[16:17], v[72:73], v[74:75]
	v_mul_f32_e32 v2, v23, v157
	v_mul_f32_e32 v79, v22, v157
	v_fma_f32 v78, v22, v156, -v2
	ds_read2_b64 v[2:5], v94 offset0:109 offset1:110
	ds_read2_b64 v[6:9], v94 offset0:111 offset1:112
	;; [unrolled: 1-line block ×3, first 2 shown]
	ds_read_b64 v[14:15], v94 offset:920
	v_fmac_f32_e32 v79, v23, v156
	s_waitcnt vmcnt(13)
	v_mov_b32_e32 v18, v93
	v_pk_add_f32 v[16:17], v[16:17], v[78:79]
	v_mov_b32_e32 v21, v19
	s_waitcnt lgkmcnt(3)
	v_pk_mul_f32 v[18:19], v[2:3], v[18:19] op_sel_hi:[1,0]
	v_pk_add_f32 v[16:17], v[16:17], v[20:21]
	s_waitcnt vmcnt(12)
	v_pk_fma_f32 v[20:21], v[2:3], v[92:93], v[18:19] op_sel:[0,0,1] op_sel_hi:[1,1,0] neg_lo:[0,0,1] neg_hi:[0,0,1]
	v_pk_fma_f32 v[2:3], v[2:3], v[92:93], v[18:19] op_sel:[0,0,1] op_sel_hi:[1,0,0]
	v_mov_b32_e32 v21, v3
	v_pk_add_f32 v[2:3], v[16:17], v[20:21]
	s_waitcnt vmcnt(11)
	v_mov_b32_e32 v16, v91
	v_pk_mul_f32 v[16:17], v[4:5], v[16:17] op_sel_hi:[1,0]
	s_waitcnt vmcnt(10)
	v_pk_fma_f32 v[18:19], v[4:5], v[90:91], v[16:17] op_sel:[0,0,1] op_sel_hi:[1,1,0] neg_lo:[0,0,1] neg_hi:[0,0,1]
	v_pk_fma_f32 v[4:5], v[4:5], v[90:91], v[16:17] op_sel:[0,0,1] op_sel_hi:[1,0,0]
	s_waitcnt vmcnt(9)
	v_mov_b32_e32 v4, v89
	v_mov_b32_e32 v19, v5
	s_waitcnt lgkmcnt(2)
	v_pk_mul_f32 v[4:5], v[6:7], v[4:5] op_sel_hi:[1,0]
	s_waitcnt vmcnt(8)
	v_pk_fma_f32 v[16:17], v[6:7], v[88:89], v[4:5] op_sel:[0,0,1] op_sel_hi:[1,1,0] neg_lo:[0,0,1] neg_hi:[0,0,1]
	v_pk_fma_f32 v[4:5], v[6:7], v[88:89], v[4:5] op_sel:[0,0,1] op_sel_hi:[1,0,0]
	s_waitcnt vmcnt(7)
	v_mov_b32_e32 v4, v87
	v_mov_b32_e32 v17, v5
	v_pk_mul_f32 v[4:5], v[8:9], v[4:5] op_sel_hi:[1,0]
	s_waitcnt vmcnt(6)
	v_pk_fma_f32 v[6:7], v[8:9], v[86:87], v[4:5] op_sel:[0,0,1] op_sel_hi:[1,1,0] neg_lo:[0,0,1] neg_hi:[0,0,1]
	v_pk_fma_f32 v[4:5], v[8:9], v[86:87], v[4:5] op_sel:[0,0,1] op_sel_hi:[1,0,0]
	v_pk_add_f32 v[2:3], v[2:3], v[18:19]
	s_waitcnt vmcnt(5)
	v_mov_b32_e32 v4, v85
	v_pk_add_f32 v[2:3], v[2:3], v[16:17]
	v_mov_b32_e32 v7, v5
	s_waitcnt lgkmcnt(1)
	v_pk_mul_f32 v[4:5], v[10:11], v[4:5] op_sel_hi:[1,0]
	v_pk_add_f32 v[2:3], v[2:3], v[6:7]
	s_waitcnt vmcnt(4)
	v_pk_fma_f32 v[6:7], v[10:11], v[84:85], v[4:5] op_sel:[0,0,1] op_sel_hi:[1,1,0] neg_lo:[0,0,1] neg_hi:[0,0,1]
	v_pk_fma_f32 v[4:5], v[10:11], v[84:85], v[4:5] op_sel:[0,0,1] op_sel_hi:[1,0,0]
	s_waitcnt vmcnt(3)
	v_mov_b32_e32 v4, v83
	v_mov_b32_e32 v7, v5
	v_pk_mul_f32 v[4:5], v[12:13], v[4:5] op_sel_hi:[1,0]
	v_pk_add_f32 v[2:3], v[2:3], v[6:7]
	s_waitcnt vmcnt(2)
	v_pk_fma_f32 v[6:7], v[12:13], v[82:83], v[4:5] op_sel:[0,0,1] op_sel_hi:[1,1,0] neg_lo:[0,0,1] neg_hi:[0,0,1]
	v_pk_fma_f32 v[4:5], v[12:13], v[82:83], v[4:5] op_sel:[0,0,1] op_sel_hi:[1,0,0]
	s_waitcnt vmcnt(1)
	v_mov_b32_e32 v4, v81
	v_mov_b32_e32 v7, v5
	s_waitcnt lgkmcnt(0)
	v_pk_mul_f32 v[4:5], v[14:15], v[4:5] op_sel_hi:[1,0]
	v_pk_add_f32 v[2:3], v[2:3], v[6:7]
	s_waitcnt vmcnt(0)
	v_pk_fma_f32 v[6:7], v[14:15], v[80:81], v[4:5] op_sel:[0,0,1] op_sel_hi:[1,1,0] neg_lo:[0,0,1] neg_hi:[0,0,1]
	v_pk_fma_f32 v[4:5], v[14:15], v[80:81], v[4:5] op_sel:[0,0,1] op_sel_hi:[1,0,0]
	v_mov_b32_e32 v7, v5
	v_pk_add_f32 v[2:3], v[2:3], v[6:7]
	v_pk_add_f32 v[2:3], v[70:71], v[2:3] neg_lo:[0,1] neg_hi:[0,1]
	buffer_store_dword v3, off, s[0:3], 0 offset:132
	buffer_store_dword v2, off, s[0:3], 0 offset:128
	s_and_saveexec_b64 s[4:5], vcc
	s_cbranch_execz .LBB121_331
; %bb.330:
	buffer_load_dword v2, off, s[0:3], 0 offset:120
	buffer_load_dword v3, off, s[0:3], 0 offset:124
	s_waitcnt vmcnt(0)
	ds_write_b64 v175, v[2:3]
	buffer_store_dword v94, off, s[0:3], 0 offset:120
	buffer_store_dword v94, off, s[0:3], 0 offset:124
.LBB121_331:
	s_or_b64 exec, exec, s[4:5]
	s_waitcnt lgkmcnt(0)
	; wave barrier
	s_waitcnt lgkmcnt(0)
	buffer_load_dword v78, off, s[0:3], 0 offset:132
	buffer_load_dword v80, off, s[0:3], 0 offset:140
	;; [unrolled: 1-line block ×24, first 2 shown]
	ds_read_b128 v[22:25], v94 offset:592
	ds_read_b128 v[18:21], v94 offset:608
	;; [unrolled: 1-line block ×4, first 2 shown]
	buffer_load_dword v118, off, s[0:3], 0 offset:216
	buffer_load_dword v119, off, s[0:3], 0 offset:220
	ds_read_b128 v[10:13], v94 offset:656
	ds_read_b128 v[2:5], v94 offset:672
	buffer_load_dword v120, off, s[0:3], 0 offset:224
	buffer_load_dword v121, off, s[0:3], 0 offset:228
	;; [unrolled: 1-line block ×44, first 2 shown]
	v_cmp_lt_u32_e32 vcc, 14, v0
	s_waitcnt vmcnt(62) lgkmcnt(5)
	v_mul_f32_e32 v28, v22, v78
	v_mul_f32_e32 v29, v24, v80
	s_waitcnt lgkmcnt(4)
	v_mul_f32_e32 v31, v20, v82
	s_waitcnt lgkmcnt(3)
	v_mul_f32_e32 v32, v14, v95
	v_mul_f32_e32 v33, v16, v100
	v_mul_f32_e32 v30, v18, v101
	s_waitcnt lgkmcnt(2)
	v_mul_f32_e32 v34, v6, v102
	v_mul_f32_e32 v35, v8, v103
	s_waitcnt vmcnt(61)
	v_fmac_f32_e32 v30, v19, v104
	s_waitcnt vmcnt(60)
	v_fmac_f32_e32 v29, v25, v105
	;; [unrolled: 2-line block ×3, first 2 shown]
	v_add_f32_e32 v28, 0, v28
	v_add_f32_e32 v28, v28, v29
	v_add_f32_e32 v28, v28, v30
	s_waitcnt vmcnt(55)
	v_fmac_f32_e32 v31, v21, v110
	v_fmac_f32_e32 v32, v15, v109
	v_add_f32_e32 v28, v28, v31
	v_fmac_f32_e32 v33, v17, v108
	v_add_f32_e32 v28, v28, v32
	;; [unrolled: 2-line block ×3, first 2 shown]
	s_waitcnt vmcnt(51)
	v_fmac_f32_e32 v35, v9, v114
	v_add_f32_e32 v28, v28, v34
	s_waitcnt vmcnt(50) lgkmcnt(1)
	v_mul_f32_e32 v29, v10, v115
	v_add_f32_e32 v28, v28, v35
	v_fmac_f32_e32 v29, v11, v113
	v_add_f32_e32 v28, v28, v29
	s_waitcnt vmcnt(49)
	v_mul_f32_e32 v29, v12, v116
	v_fmac_f32_e32 v29, v13, v112
	v_add_f32_e32 v28, v28, v29
	s_waitcnt vmcnt(48) lgkmcnt(0)
	v_mul_f32_e32 v29, v2, v117
	v_fmac_f32_e32 v29, v3, v111
	v_add_f32_e32 v32, v28, v29
	ds_read_b128 v[28:31], v94 offset:688
	s_waitcnt vmcnt(44)
	v_mul_f32_e32 v33, v4, v119
	v_fmac_f32_e32 v33, v5, v118
	v_add_f32_e32 v36, v32, v33
	ds_read_b128 v[32:35], v94 offset:704
	s_waitcnt vmcnt(42) lgkmcnt(1)
	v_mul_f32_e32 v37, v28, v121
	v_fmac_f32_e32 v37, v29, v120
	v_add_f32_e32 v36, v36, v37
	s_waitcnt vmcnt(40)
	v_mul_f32_e32 v37, v30, v123
	v_fmac_f32_e32 v37, v31, v122
	v_add_f32_e32 v36, v36, v37
	s_waitcnt vmcnt(38) lgkmcnt(0)
	v_mul_f32_e32 v37, v32, v125
	v_fmac_f32_e32 v37, v33, v124
	v_add_f32_e32 v40, v36, v37
	ds_read_b128 v[36:39], v94 offset:720
	s_waitcnt vmcnt(36)
	v_mul_f32_e32 v41, v34, v127
	v_fmac_f32_e32 v41, v35, v126
	v_add_f32_e32 v44, v40, v41
	ds_read_b128 v[40:43], v94 offset:736
	s_waitcnt vmcnt(34) lgkmcnt(1)
	v_mul_f32_e32 v45, v36, v129
	;; [unrolled: 18-line block ×4, first 2 shown]
	v_fmac_f32_e32 v61, v53, v144
	v_add_f32_e32 v60, v60, v61
	s_waitcnt vmcnt(16)
	v_mul_f32_e32 v61, v54, v147
	v_fmac_f32_e32 v61, v55, v146
	v_add_f32_e32 v60, v60, v61
	s_waitcnt vmcnt(14) lgkmcnt(0)
	v_mul_f32_e32 v61, v56, v149
	v_fmac_f32_e32 v61, v57, v148
	v_add_f32_e32 v64, v60, v61
	ds_read_b128 v[60:63], v94 offset:816
	s_waitcnt vmcnt(12)
	v_mul_f32_e32 v65, v58, v151
	v_fmac_f32_e32 v65, v59, v150
	v_add_f32_e32 v68, v64, v65
	ds_read_b128 v[64:67], v94 offset:832
	buffer_load_dword v77, off, s[0:3], 0 offset:404
	buffer_load_dword v76, off, s[0:3], 0 offset:400
	s_waitcnt vmcnt(12) lgkmcnt(1)
	v_mul_f32_e32 v69, v60, v153
	v_fmac_f32_e32 v69, v61, v152
	v_add_f32_e32 v68, v68, v69
	s_waitcnt vmcnt(10)
	v_mul_f32_e32 v69, v62, v155
	v_fmac_f32_e32 v69, v63, v154
	v_add_f32_e32 v68, v68, v69
	s_waitcnt vmcnt(8) lgkmcnt(0)
	v_mul_f32_e32 v69, v64, v157
	v_fmac_f32_e32 v69, v65, v156
	s_waitcnt vmcnt(6)
	v_mul_f32_e32 v73, v66, v159
	v_add_f32_e32 v72, v68, v69
	v_fmac_f32_e32 v73, v67, v158
	ds_read_b128 v[68:71], v94 offset:848
	v_add_f32_e32 v79, v72, v73
	ds_read_b128 v[72:75], v94 offset:864
	buffer_load_dword v85, off, s[0:3], 0 offset:436
	buffer_load_dword v84, off, s[0:3], 0 offset:432
	;; [unrolled: 1-line block ×14, first 2 shown]
	v_mul_f32_e32 v23, v23, v78
	v_fma_f32 v22, v22, v106, -v23
	v_mul_f32_e32 v23, v25, v80
	v_add_f32_e32 v22, 0, v22
	v_fma_f32 v23, v24, v105, -v23
	v_mul_f32_e32 v19, v19, v101
	v_add_f32_e32 v22, v22, v23
	v_fma_f32 v18, v18, v104, -v19
	v_mul_f32_e32 v19, v21, v82
	v_add_f32_e32 v18, v22, v18
	v_fma_f32 v19, v20, v110, -v19
	v_mul_f32_e32 v15, v15, v95
	v_add_f32_e32 v18, v18, v19
	v_fma_f32 v14, v14, v109, -v15
	v_mul_f32_e32 v15, v17, v100
	v_add_f32_e32 v14, v18, v14
	v_fma_f32 v15, v16, v108, -v15
	v_mul_f32_e32 v7, v7, v102
	v_add_f32_e32 v14, v14, v15
	v_fma_f32 v6, v6, v107, -v7
	v_mul_f32_e32 v7, v9, v103
	v_add_f32_e32 v6, v14, v6
	v_fma_f32 v7, v8, v114, -v7
	v_add_f32_e32 v6, v6, v7
	v_mul_f32_e32 v7, v11, v115
	v_fma_f32 v7, v10, v113, -v7
	v_add_f32_e32 v6, v6, v7
	v_mul_f32_e32 v7, v13, v116
	v_fma_f32 v7, v12, v112, -v7
	v_mul_f32_e32 v3, v3, v117
	v_add_f32_e32 v6, v6, v7
	v_fma_f32 v2, v2, v111, -v3
	v_mul_f32_e32 v3, v5, v119
	v_add_f32_e32 v2, v6, v2
	v_fma_f32 v3, v4, v118, -v3
	v_add_f32_e32 v2, v2, v3
	v_mul_f32_e32 v3, v29, v121
	v_fma_f32 v3, v28, v120, -v3
	v_add_f32_e32 v2, v2, v3
	v_mul_f32_e32 v3, v31, v123
	;; [unrolled: 3-line block ×20, first 2 shown]
	v_fma_f32 v3, v66, v158, -v3
	s_waitcnt vmcnt(15)
	v_mov_b32_e32 v16, v77
	s_waitcnt lgkmcnt(1)
	v_mul_f32_e32 v81, v68, v161
	v_add_f32_e32 v78, v2, v3
	v_mul_f32_e32 v2, v69, v161
	s_waitcnt lgkmcnt(0)
	v_pk_mul_f32 v[16:17], v[72:73], v[16:17] op_sel_hi:[1,0]
	v_fmac_f32_e32 v81, v69, v160
	v_mul_f32_e32 v83, v70, v163
	v_fma_f32 v80, v68, v160, -v2
	v_mul_f32_e32 v2, v71, v163
	s_waitcnt vmcnt(14)
	v_pk_fma_f32 v[18:19], v[72:73], v[76:77], v[16:17] op_sel:[0,0,1] op_sel_hi:[1,1,0] neg_lo:[0,0,1] neg_hi:[0,0,1]
	v_pk_fma_f32 v[16:17], v[72:73], v[76:77], v[16:17] op_sel:[0,0,1] op_sel_hi:[1,0,0]
	v_fmac_f32_e32 v83, v71, v162
	v_fma_f32 v82, v70, v162, -v2
	v_pk_add_f32 v[14:15], v[78:79], v[80:81]
	s_waitcnt vmcnt(7)
	v_mov_b32_e32 v16, v91
	ds_read_b128 v[2:5], v94 offset:880
	ds_read_b128 v[6:9], v94 offset:896
	ds_read_b128 v[10:13], v94 offset:912
	v_pk_add_f32 v[14:15], v[14:15], v[82:83]
	v_mov_b32_e32 v19, v17
	v_pk_mul_f32 v[16:17], v[74:75], v[16:17] op_sel_hi:[1,0]
	v_pk_add_f32 v[14:15], v[14:15], v[18:19]
	s_waitcnt vmcnt(6)
	v_pk_fma_f32 v[18:19], v[74:75], v[90:91], v[16:17] op_sel:[0,0,1] op_sel_hi:[1,1,0] neg_lo:[0,0,1] neg_hi:[0,0,1]
	v_pk_fma_f32 v[16:17], v[74:75], v[90:91], v[16:17] op_sel:[0,0,1] op_sel_hi:[1,0,0]
	v_mov_b32_e32 v16, v89
	v_mov_b32_e32 v19, v17
	s_waitcnt lgkmcnt(2)
	v_pk_mul_f32 v[16:17], v[2:3], v[16:17] op_sel_hi:[1,0]
	v_pk_add_f32 v[14:15], v[14:15], v[18:19]
	v_pk_fma_f32 v[18:19], v[2:3], v[88:89], v[16:17] op_sel:[0,0,1] op_sel_hi:[1,1,0] neg_lo:[0,0,1] neg_hi:[0,0,1]
	v_pk_fma_f32 v[2:3], v[2:3], v[88:89], v[16:17] op_sel:[0,0,1] op_sel_hi:[1,0,0]
	v_mov_b32_e32 v19, v3
	v_pk_add_f32 v[2:3], v[14:15], v[18:19]
	v_mov_b32_e32 v14, v87
	v_pk_mul_f32 v[14:15], v[4:5], v[14:15] op_sel_hi:[1,0]
	v_pk_fma_f32 v[16:17], v[4:5], v[86:87], v[14:15] op_sel:[0,0,1] op_sel_hi:[1,1,0] neg_lo:[0,0,1] neg_hi:[0,0,1]
	v_pk_fma_f32 v[4:5], v[4:5], v[86:87], v[14:15] op_sel:[0,0,1] op_sel_hi:[1,0,0]
	v_mov_b32_e32 v4, v85
	v_mov_b32_e32 v17, v5
	s_waitcnt lgkmcnt(1)
	v_pk_mul_f32 v[4:5], v[6:7], v[4:5] op_sel_hi:[1,0]
	v_pk_fma_f32 v[14:15], v[6:7], v[84:85], v[4:5] op_sel:[0,0,1] op_sel_hi:[1,1,0] neg_lo:[0,0,1] neg_hi:[0,0,1]
	v_pk_fma_f32 v[4:5], v[6:7], v[84:85], v[4:5] op_sel:[0,0,1] op_sel_hi:[1,0,0]
	s_waitcnt vmcnt(1)
	v_mov_b32_e32 v4, v99
	v_mov_b32_e32 v15, v5
	v_pk_mul_f32 v[4:5], v[8:9], v[4:5] op_sel_hi:[1,0]
	s_waitcnt vmcnt(0)
	v_pk_fma_f32 v[6:7], v[8:9], v[98:99], v[4:5] op_sel:[0,0,1] op_sel_hi:[1,1,0] neg_lo:[0,0,1] neg_hi:[0,0,1]
	v_pk_fma_f32 v[4:5], v[8:9], v[98:99], v[4:5] op_sel:[0,0,1] op_sel_hi:[1,0,0]
	v_pk_add_f32 v[2:3], v[2:3], v[16:17]
	v_mov_b32_e32 v4, v97
	v_pk_add_f32 v[2:3], v[2:3], v[14:15]
	v_mov_b32_e32 v7, v5
	s_waitcnt lgkmcnt(0)
	v_pk_mul_f32 v[4:5], v[10:11], v[4:5] op_sel_hi:[1,0]
	v_pk_add_f32 v[2:3], v[2:3], v[6:7]
	v_pk_fma_f32 v[6:7], v[10:11], v[96:97], v[4:5] op_sel:[0,0,1] op_sel_hi:[1,1,0] neg_lo:[0,0,1] neg_hi:[0,0,1]
	v_pk_fma_f32 v[4:5], v[10:11], v[96:97], v[4:5] op_sel:[0,0,1] op_sel_hi:[1,0,0]
	v_mov_b32_e32 v4, v93
	v_mov_b32_e32 v7, v5
	v_pk_mul_f32 v[4:5], v[12:13], v[4:5] op_sel_hi:[1,0]
	v_pk_add_f32 v[2:3], v[2:3], v[6:7]
	v_pk_fma_f32 v[6:7], v[12:13], v[92:93], v[4:5] op_sel:[0,0,1] op_sel_hi:[1,1,0] neg_lo:[0,0,1] neg_hi:[0,0,1]
	v_pk_fma_f32 v[4:5], v[12:13], v[92:93], v[4:5] op_sel:[0,0,1] op_sel_hi:[1,0,0]
	v_mov_b32_e32 v7, v5
	v_pk_add_f32 v[2:3], v[2:3], v[6:7]
	v_pk_add_f32 v[2:3], v[26:27], v[2:3] neg_lo:[0,1] neg_hi:[0,1]
	buffer_store_dword v3, off, s[0:3], 0 offset:124
	buffer_store_dword v2, off, s[0:3], 0 offset:120
	s_and_saveexec_b64 s[4:5], vcc
	s_cbranch_execz .LBB121_333
; %bb.332:
	buffer_load_dword v2, off, s[0:3], 0 offset:112
	buffer_load_dword v3, off, s[0:3], 0 offset:116
	v_mov_b32_e32 v4, 0
	buffer_store_dword v4, off, s[0:3], 0 offset:112
	buffer_store_dword v4, off, s[0:3], 0 offset:116
	s_waitcnt vmcnt(2)
	ds_write_b64 v175, v[2:3]
.LBB121_333:
	s_or_b64 exec, exec, s[4:5]
	s_waitcnt lgkmcnt(0)
	; wave barrier
	s_waitcnt lgkmcnt(0)
	buffer_load_dword v29, off, s[0:3], 0 offset:124
	buffer_load_dword v78, off, s[0:3], 0 offset:132
	;; [unrolled: 1-line block ×56, first 2 shown]
	v_mov_b32_e32 v28, 0
	ds_read2_b64 v[4:7], v28 offset0:73 offset1:74
	ds_read2_b64 v[8:11], v28 offset0:75 offset1:76
	;; [unrolled: 1-line block ×6, first 2 shown]
	buffer_load_dword v150, off, s[0:3], 0 offset:336
	buffer_load_dword v151, off, s[0:3], 0 offset:340
	;; [unrolled: 1-line block ×16, first 2 shown]
	v_cmp_lt_u32_e32 vcc, 13, v0
	s_waitcnt vmcnt(62) lgkmcnt(5)
	v_mul_f32_e32 v30, v4, v29
	v_mul_f32_e32 v31, v6, v78
	s_waitcnt lgkmcnt(4)
	v_mul_f32_e32 v33, v10, v80
	s_waitcnt lgkmcnt(3)
	v_mul_f32_e32 v34, v12, v82
	v_mul_f32_e32 v35, v14, v100
	;; [unrolled: 1-line block ×3, first 2 shown]
	s_waitcnt lgkmcnt(2)
	v_mul_f32_e32 v36, v16, v102
	v_mul_f32_e32 v37, v18, v103
	s_waitcnt lgkmcnt(1)
	v_mul_f32_e32 v38, v20, v104
	v_fmac_f32_e32 v32, v9, v105
	s_waitcnt vmcnt(61)
	v_fmac_f32_e32 v31, v7, v106
	s_waitcnt vmcnt(60)
	v_fmac_f32_e32 v30, v5, v107
	v_add_f32_e32 v30, 0, v30
	v_add_f32_e32 v30, v30, v31
	v_add_f32_e32 v30, v30, v32
	s_waitcnt vmcnt(56)
	v_fmac_f32_e32 v33, v11, v111
	v_fmac_f32_e32 v34, v13, v110
	v_add_f32_e32 v30, v30, v33
	v_fmac_f32_e32 v35, v15, v109
	v_add_f32_e32 v30, v30, v34
	;; [unrolled: 2-line block ×3, first 2 shown]
	s_waitcnt vmcnt(52)
	v_fmac_f32_e32 v37, v19, v115
	v_add_f32_e32 v30, v30, v36
	v_add_f32_e32 v30, v30, v37
	v_fmac_f32_e32 v38, v21, v114
	s_waitcnt vmcnt(51)
	v_mul_f32_e32 v31, v22, v116
	v_add_f32_e32 v30, v30, v38
	v_fmac_f32_e32 v31, v23, v113
	v_add_f32_e32 v30, v30, v31
	s_waitcnt vmcnt(50) lgkmcnt(0)
	v_mul_f32_e32 v31, v24, v117
	v_fmac_f32_e32 v31, v25, v112
	v_add_f32_e32 v34, v30, v31
	ds_read2_b64 v[30:33], v28 offset0:85 offset1:86
	s_waitcnt vmcnt(46)
	v_mul_f32_e32 v35, v26, v119
	v_fmac_f32_e32 v35, v27, v118
	v_add_f32_e32 v38, v34, v35
	ds_read2_b64 v[34:37], v28 offset0:87 offset1:88
	s_waitcnt vmcnt(44) lgkmcnt(1)
	v_mul_f32_e32 v39, v30, v121
	v_fmac_f32_e32 v39, v31, v120
	v_add_f32_e32 v38, v38, v39
	s_waitcnt vmcnt(42)
	v_mul_f32_e32 v39, v32, v123
	v_fmac_f32_e32 v39, v33, v122
	v_add_f32_e32 v38, v38, v39
	s_waitcnt vmcnt(40) lgkmcnt(0)
	v_mul_f32_e32 v39, v34, v125
	v_fmac_f32_e32 v39, v35, v124
	v_add_f32_e32 v42, v38, v39
	ds_read2_b64 v[38:41], v28 offset0:89 offset1:90
	s_waitcnt vmcnt(38)
	v_mul_f32_e32 v43, v36, v127
	v_fmac_f32_e32 v43, v37, v126
	v_add_f32_e32 v46, v42, v43
	ds_read2_b64 v[42:45], v28 offset0:91 offset1:92
	s_waitcnt vmcnt(36) lgkmcnt(1)
	v_mul_f32_e32 v47, v38, v129
	v_fmac_f32_e32 v47, v39, v128
	v_add_f32_e32 v46, v46, v47
	s_waitcnt vmcnt(34)
	v_mul_f32_e32 v47, v40, v131
	v_fmac_f32_e32 v47, v41, v130
	v_add_f32_e32 v46, v46, v47
	s_waitcnt vmcnt(32) lgkmcnt(0)
	v_mul_f32_e32 v47, v42, v133
	v_fmac_f32_e32 v47, v43, v132
	v_add_f32_e32 v50, v46, v47
	ds_read2_b64 v[46:49], v28 offset0:93 offset1:94
	s_waitcnt vmcnt(30)
	v_mul_f32_e32 v51, v44, v135
	v_fmac_f32_e32 v51, v45, v134
	v_add_f32_e32 v54, v50, v51
	ds_read2_b64 v[50:53], v28 offset0:95 offset1:96
	s_waitcnt vmcnt(28) lgkmcnt(1)
	v_mul_f32_e32 v55, v46, v137
	v_fmac_f32_e32 v55, v47, v136
	v_add_f32_e32 v54, v54, v55
	s_waitcnt vmcnt(26)
	v_mul_f32_e32 v55, v48, v139
	v_fmac_f32_e32 v55, v49, v138
	v_add_f32_e32 v54, v54, v55
	s_waitcnt vmcnt(24) lgkmcnt(0)
	v_mul_f32_e32 v55, v50, v141
	v_fmac_f32_e32 v55, v51, v140
	v_add_f32_e32 v58, v54, v55
	ds_read2_b64 v[54:57], v28 offset0:97 offset1:98
	s_waitcnt vmcnt(22)
	v_mul_f32_e32 v59, v52, v143
	v_fmac_f32_e32 v59, v53, v142
	v_add_f32_e32 v62, v58, v59
	ds_read2_b64 v[58:61], v28 offset0:99 offset1:100
	s_waitcnt vmcnt(20) lgkmcnt(1)
	v_mul_f32_e32 v63, v54, v145
	v_fmac_f32_e32 v63, v55, v144
	v_add_f32_e32 v62, v62, v63
	s_waitcnt vmcnt(18)
	v_mul_f32_e32 v63, v56, v147
	v_fmac_f32_e32 v63, v57, v146
	v_add_f32_e32 v62, v62, v63
	s_waitcnt vmcnt(16) lgkmcnt(0)
	v_mul_f32_e32 v63, v58, v149
	v_fmac_f32_e32 v63, v59, v148
	v_add_f32_e32 v66, v62, v63
	ds_read2_b64 v[62:65], v28 offset0:101 offset1:102
	s_waitcnt vmcnt(14)
	v_mul_f32_e32 v67, v60, v151
	v_fmac_f32_e32 v67, v61, v150
	v_add_f32_e32 v70, v66, v67
	ds_read2_b64 v[66:69], v28 offset0:103 offset1:104
	s_waitcnt vmcnt(12) lgkmcnt(1)
	v_mul_f32_e32 v71, v62, v153
	v_fmac_f32_e32 v71, v63, v152
	v_add_f32_e32 v70, v70, v71
	s_waitcnt vmcnt(10)
	v_mul_f32_e32 v71, v64, v155
	v_fmac_f32_e32 v71, v65, v154
	v_add_f32_e32 v70, v70, v71
	s_waitcnt vmcnt(8) lgkmcnt(0)
	v_mul_f32_e32 v71, v66, v157
	v_fmac_f32_e32 v71, v67, v156
	s_waitcnt vmcnt(6)
	v_mul_f32_e32 v75, v68, v159
	v_add_f32_e32 v74, v70, v71
	v_fmac_f32_e32 v75, v69, v158
	ds_read2_b64 v[70:73], v28 offset0:105 offset1:106
	v_add_f32_e32 v79, v74, v75
	ds_read2_b64 v[74:77], v28 offset0:107 offset1:108
	buffer_load_dword v85, off, s[0:3], 0 offset:428
	buffer_load_dword v84, off, s[0:3], 0 offset:424
	;; [unrolled: 1-line block ×16, first 2 shown]
	v_mul_f32_e32 v5, v5, v29
	v_fma_f32 v4, v4, v107, -v5
	v_mul_f32_e32 v5, v7, v78
	v_add_f32_e32 v4, 0, v4
	v_fma_f32 v5, v6, v106, -v5
	v_add_f32_e32 v4, v4, v5
	v_mul_f32_e32 v5, v9, v101
	v_fma_f32 v5, v8, v105, -v5
	v_add_f32_e32 v4, v4, v5
	v_mul_f32_e32 v5, v11, v80
	;; [unrolled: 3-line block ×30, first 2 shown]
	v_fma_f32 v5, v68, v158, -v5
	v_add_f32_e32 v4, v4, v5
	s_waitcnt vmcnt(20) lgkmcnt(1)
	v_mul_f32_e32 v5, v71, v161
	v_mul_f32_e32 v81, v70, v161
	v_fma_f32 v5, v70, v160, -v5
	v_fmac_f32_e32 v81, v71, v160
	v_add_f32_e32 v78, v4, v5
	s_waitcnt vmcnt(18)
	v_mul_f32_e32 v4, v73, v163
	s_waitcnt vmcnt(9)
	v_mov_b32_e32 v20, v91
	v_add_f32_e32 v79, v79, v81
	v_mul_f32_e32 v81, v72, v163
	v_fma_f32 v80, v72, v162, -v4
	s_waitcnt lgkmcnt(0)
	v_mul_f32_e32 v4, v75, v165
	v_pk_mul_f32 v[20:21], v[76:77], v[20:21] op_sel_hi:[1,0]
	v_fmac_f32_e32 v81, v73, v162
	v_mul_f32_e32 v83, v74, v165
	v_fma_f32 v82, v74, v164, -v4
	ds_read2_b64 v[4:7], v28 offset0:109 offset1:110
	ds_read2_b64 v[8:11], v28 offset0:111 offset1:112
	;; [unrolled: 1-line block ×3, first 2 shown]
	ds_read_b64 v[16:17], v28 offset:920
	s_waitcnt vmcnt(8)
	v_pk_fma_f32 v[22:23], v[76:77], v[90:91], v[20:21] op_sel:[0,0,1] op_sel_hi:[1,1,0] neg_lo:[0,0,1] neg_hi:[0,0,1]
	v_pk_fma_f32 v[20:21], v[76:77], v[90:91], v[20:21] op_sel:[0,0,1] op_sel_hi:[1,0,0]
	v_fmac_f32_e32 v83, v75, v164
	v_pk_add_f32 v[18:19], v[78:79], v[80:81]
	v_mov_b32_e32 v20, v89
	v_pk_add_f32 v[18:19], v[18:19], v[82:83]
	v_mov_b32_e32 v23, v21
	s_waitcnt lgkmcnt(3)
	v_pk_mul_f32 v[20:21], v[4:5], v[20:21] op_sel_hi:[1,0]
	v_pk_add_f32 v[18:19], v[18:19], v[22:23]
	v_pk_fma_f32 v[22:23], v[4:5], v[88:89], v[20:21] op_sel:[0,0,1] op_sel_hi:[1,1,0] neg_lo:[0,0,1] neg_hi:[0,0,1]
	v_pk_fma_f32 v[4:5], v[4:5], v[88:89], v[20:21] op_sel:[0,0,1] op_sel_hi:[1,0,0]
	v_mov_b32_e32 v23, v5
	v_pk_add_f32 v[4:5], v[18:19], v[22:23]
	v_mov_b32_e32 v18, v87
	v_pk_mul_f32 v[18:19], v[6:7], v[18:19] op_sel_hi:[1,0]
	v_pk_fma_f32 v[20:21], v[6:7], v[86:87], v[18:19] op_sel:[0,0,1] op_sel_hi:[1,1,0] neg_lo:[0,0,1] neg_hi:[0,0,1]
	v_pk_fma_f32 v[6:7], v[6:7], v[86:87], v[18:19] op_sel:[0,0,1] op_sel_hi:[1,0,0]
	v_mov_b32_e32 v6, v85
	v_mov_b32_e32 v21, v7
	s_waitcnt lgkmcnt(2)
	v_pk_mul_f32 v[6:7], v[8:9], v[6:7] op_sel_hi:[1,0]
	v_pk_fma_f32 v[18:19], v[8:9], v[84:85], v[6:7] op_sel:[0,0,1] op_sel_hi:[1,1,0] neg_lo:[0,0,1] neg_hi:[0,0,1]
	v_pk_fma_f32 v[6:7], v[8:9], v[84:85], v[6:7] op_sel:[0,0,1] op_sel_hi:[1,0,0]
	s_waitcnt vmcnt(1)
	v_mov_b32_e32 v6, v99
	v_mov_b32_e32 v19, v7
	v_pk_mul_f32 v[6:7], v[10:11], v[6:7] op_sel_hi:[1,0]
	s_waitcnt vmcnt(0)
	v_pk_fma_f32 v[8:9], v[10:11], v[98:99], v[6:7] op_sel:[0,0,1] op_sel_hi:[1,1,0] neg_lo:[0,0,1] neg_hi:[0,0,1]
	v_pk_fma_f32 v[6:7], v[10:11], v[98:99], v[6:7] op_sel:[0,0,1] op_sel_hi:[1,0,0]
	v_pk_add_f32 v[4:5], v[4:5], v[20:21]
	v_mov_b32_e32 v6, v97
	v_pk_add_f32 v[4:5], v[4:5], v[18:19]
	v_mov_b32_e32 v9, v7
	s_waitcnt lgkmcnt(1)
	v_pk_mul_f32 v[6:7], v[12:13], v[6:7] op_sel_hi:[1,0]
	v_pk_add_f32 v[4:5], v[4:5], v[8:9]
	v_pk_fma_f32 v[8:9], v[12:13], v[96:97], v[6:7] op_sel:[0,0,1] op_sel_hi:[1,1,0] neg_lo:[0,0,1] neg_hi:[0,0,1]
	v_pk_fma_f32 v[6:7], v[12:13], v[96:97], v[6:7] op_sel:[0,0,1] op_sel_hi:[1,0,0]
	v_mov_b32_e32 v6, v95
	v_mov_b32_e32 v9, v7
	v_pk_mul_f32 v[6:7], v[14:15], v[6:7] op_sel_hi:[1,0]
	v_pk_add_f32 v[4:5], v[4:5], v[8:9]
	v_pk_fma_f32 v[8:9], v[14:15], v[94:95], v[6:7] op_sel:[0,0,1] op_sel_hi:[1,1,0] neg_lo:[0,0,1] neg_hi:[0,0,1]
	v_pk_fma_f32 v[6:7], v[14:15], v[94:95], v[6:7] op_sel:[0,0,1] op_sel_hi:[1,0,0]
	v_mov_b32_e32 v6, v93
	v_mov_b32_e32 v9, v7
	s_waitcnt lgkmcnt(0)
	v_pk_mul_f32 v[6:7], v[16:17], v[6:7] op_sel_hi:[1,0]
	v_pk_add_f32 v[4:5], v[4:5], v[8:9]
	v_pk_fma_f32 v[8:9], v[16:17], v[92:93], v[6:7] op_sel:[0,0,1] op_sel_hi:[1,1,0] neg_lo:[0,0,1] neg_hi:[0,0,1]
	v_pk_fma_f32 v[6:7], v[16:17], v[92:93], v[6:7] op_sel:[0,0,1] op_sel_hi:[1,0,0]
	v_mov_b32_e32 v9, v7
	v_pk_add_f32 v[4:5], v[4:5], v[8:9]
	v_pk_add_f32 v[2:3], v[2:3], v[4:5] neg_lo:[0,1] neg_hi:[0,1]
	buffer_store_dword v3, off, s[0:3], 0 offset:116
	buffer_store_dword v2, off, s[0:3], 0 offset:112
	s_and_saveexec_b64 s[4:5], vcc
	s_cbranch_execz .LBB121_335
; %bb.334:
	buffer_load_dword v2, off, s[0:3], 0 offset:104
	buffer_load_dword v3, off, s[0:3], 0 offset:108
	s_waitcnt vmcnt(0)
	ds_write_b64 v175, v[2:3]
	buffer_store_dword v28, off, s[0:3], 0 offset:104
	buffer_store_dword v28, off, s[0:3], 0 offset:108
.LBB121_335:
	s_or_b64 exec, exec, s[4:5]
	s_waitcnt lgkmcnt(0)
	; wave barrier
	s_waitcnt lgkmcnt(0)
	buffer_load_dword v29, off, s[0:3], 0 offset:116
	buffer_load_dword v78, off, s[0:3], 0 offset:124
	;; [unrolled: 1-line block ×26, first 2 shown]
	ds_read_b128 v[22:25], v28 offset:576
	ds_read_b128 v[18:21], v28 offset:592
	;; [unrolled: 1-line block ×6, first 2 shown]
	buffer_load_dword v120, off, s[0:3], 0 offset:208
	buffer_load_dword v121, off, s[0:3], 0 offset:212
	;; [unrolled: 1-line block ×42, first 2 shown]
	v_cmp_lt_u32_e32 vcc, 12, v0
	s_waitcnt vmcnt(62) lgkmcnt(5)
	v_mul_f32_e32 v30, v22, v29
	v_mul_f32_e32 v31, v24, v78
	s_waitcnt lgkmcnt(4)
	v_mul_f32_e32 v33, v20, v80
	s_waitcnt lgkmcnt(3)
	v_mul_f32_e32 v34, v14, v88
	v_mul_f32_e32 v35, v16, v100
	;; [unrolled: 1-line block ×3, first 2 shown]
	s_waitcnt vmcnt(61) lgkmcnt(2)
	v_mul_f32_e32 v36, v10, v102
	s_waitcnt vmcnt(60)
	v_mul_f32_e32 v37, v12, v103
	s_waitcnt vmcnt(59) lgkmcnt(1)
	v_mul_f32_e32 v38, v6, v104
	s_waitcnt vmcnt(58)
	v_fmac_f32_e32 v32, v19, v105
	s_waitcnt vmcnt(57)
	v_fmac_f32_e32 v31, v25, v106
	;; [unrolled: 2-line block ×3, first 2 shown]
	v_add_f32_e32 v30, 0, v30
	v_add_f32_e32 v30, v30, v31
	;; [unrolled: 1-line block ×3, first 2 shown]
	s_waitcnt vmcnt(52)
	v_fmac_f32_e32 v33, v21, v111
	v_fmac_f32_e32 v34, v15, v110
	v_add_f32_e32 v30, v30, v33
	v_fmac_f32_e32 v35, v17, v109
	v_add_f32_e32 v30, v30, v34
	;; [unrolled: 2-line block ×3, first 2 shown]
	s_waitcnt vmcnt(48)
	v_fmac_f32_e32 v37, v13, v115
	v_add_f32_e32 v30, v30, v36
	v_fmac_f32_e32 v38, v7, v114
	v_add_f32_e32 v30, v30, v37
	s_waitcnt vmcnt(47)
	v_mul_f32_e32 v31, v8, v116
	v_add_f32_e32 v30, v30, v38
	v_fmac_f32_e32 v31, v9, v113
	v_add_f32_e32 v30, v30, v31
	s_waitcnt vmcnt(46) lgkmcnt(0)
	v_mul_f32_e32 v31, v2, v117
	v_fmac_f32_e32 v31, v3, v112
	v_add_f32_e32 v34, v30, v31
	ds_read_b128 v[30:33], v28 offset:672
	s_waitcnt vmcnt(42)
	v_mul_f32_e32 v35, v4, v119
	v_fmac_f32_e32 v35, v5, v118
	buffer_load_dword v162, off, s[0:3], 0 offset:376
	buffer_load_dword v163, off, s[0:3], 0 offset:380
	v_add_f32_e32 v38, v34, v35
	buffer_load_dword v164, off, s[0:3], 0 offset:384
	buffer_load_dword v165, off, s[0:3], 0 offset:388
	ds_read_b128 v[34:37], v28 offset:688
	s_waitcnt vmcnt(44) lgkmcnt(1)
	v_mul_f32_e32 v39, v30, v121
	v_fmac_f32_e32 v39, v31, v120
	v_add_f32_e32 v38, v38, v39
	s_waitcnt vmcnt(42)
	v_mul_f32_e32 v39, v32, v123
	v_fmac_f32_e32 v39, v33, v122
	v_add_f32_e32 v38, v38, v39
	s_waitcnt vmcnt(40) lgkmcnt(0)
	v_mul_f32_e32 v39, v34, v125
	v_fmac_f32_e32 v39, v35, v124
	buffer_load_dword v166, off, s[0:3], 0 offset:392
	buffer_load_dword v167, off, s[0:3], 0 offset:396
	v_add_f32_e32 v42, v38, v39
	ds_read_b128 v[38:41], v28 offset:704
	s_waitcnt vmcnt(40)
	v_mul_f32_e32 v43, v36, v127
	v_fmac_f32_e32 v43, v37, v126
	v_add_f32_e32 v46, v42, v43
	ds_read_b128 v[42:45], v28 offset:720
	s_waitcnt vmcnt(38) lgkmcnt(1)
	v_mul_f32_e32 v47, v38, v129
	v_fmac_f32_e32 v47, v39, v128
	v_add_f32_e32 v46, v46, v47
	s_waitcnt vmcnt(36)
	v_mul_f32_e32 v47, v40, v131
	v_fmac_f32_e32 v47, v41, v130
	v_add_f32_e32 v46, v46, v47
	s_waitcnt vmcnt(34) lgkmcnt(0)
	v_mul_f32_e32 v47, v42, v133
	v_fmac_f32_e32 v47, v43, v132
	v_add_f32_e32 v50, v46, v47
	ds_read_b128 v[46:49], v28 offset:736
	s_waitcnt vmcnt(32)
	v_mul_f32_e32 v51, v44, v135
	v_fmac_f32_e32 v51, v45, v134
	v_add_f32_e32 v54, v50, v51
	ds_read_b128 v[50:53], v28 offset:752
	s_waitcnt vmcnt(30) lgkmcnt(1)
	v_mul_f32_e32 v55, v46, v137
	v_fmac_f32_e32 v55, v47, v136
	v_add_f32_e32 v54, v54, v55
	s_waitcnt vmcnt(28)
	v_mul_f32_e32 v55, v48, v139
	v_fmac_f32_e32 v55, v49, v138
	v_add_f32_e32 v54, v54, v55
	s_waitcnt vmcnt(26) lgkmcnt(0)
	v_mul_f32_e32 v55, v50, v141
	v_fmac_f32_e32 v55, v51, v140
	v_add_f32_e32 v58, v54, v55
	ds_read_b128 v[54:57], v28 offset:768
	s_waitcnt vmcnt(24)
	v_mul_f32_e32 v59, v52, v143
	v_fmac_f32_e32 v59, v53, v142
	v_add_f32_e32 v62, v58, v59
	ds_read_b128 v[58:61], v28 offset:784
	s_waitcnt vmcnt(22) lgkmcnt(1)
	v_mul_f32_e32 v63, v54, v145
	v_fmac_f32_e32 v63, v55, v144
	v_add_f32_e32 v62, v62, v63
	s_waitcnt vmcnt(20)
	v_mul_f32_e32 v63, v56, v147
	v_fmac_f32_e32 v63, v57, v146
	v_add_f32_e32 v62, v62, v63
	s_waitcnt vmcnt(18) lgkmcnt(0)
	v_mul_f32_e32 v63, v58, v149
	v_fmac_f32_e32 v63, v59, v148
	v_add_f32_e32 v66, v62, v63
	ds_read_b128 v[62:65], v28 offset:800
	s_waitcnt vmcnt(16)
	v_mul_f32_e32 v67, v60, v151
	v_fmac_f32_e32 v67, v61, v150
	v_add_f32_e32 v70, v66, v67
	ds_read_b128 v[66:69], v28 offset:816
	s_waitcnt vmcnt(14) lgkmcnt(1)
	v_mul_f32_e32 v71, v62, v153
	v_fmac_f32_e32 v71, v63, v152
	v_add_f32_e32 v70, v70, v71
	s_waitcnt vmcnt(12)
	v_mul_f32_e32 v71, v64, v155
	v_fmac_f32_e32 v71, v65, v154
	v_add_f32_e32 v70, v70, v71
	s_waitcnt vmcnt(10) lgkmcnt(0)
	v_mul_f32_e32 v71, v66, v157
	v_fmac_f32_e32 v71, v67, v156
	s_waitcnt vmcnt(8)
	v_mul_f32_e32 v75, v68, v159
	v_add_f32_e32 v74, v70, v71
	v_fmac_f32_e32 v75, v69, v158
	ds_read_b128 v[70:73], v28 offset:832
	v_add_f32_e32 v79, v74, v75
	ds_read_b128 v[74:77], v28 offset:848
	buffer_load_dword v83, off, s[0:3], 0 offset:420
	buffer_load_dword v82, off, s[0:3], 0 offset:416
	;; [unrolled: 1-line block ×16, first 2 shown]
	v_mul_f32_e32 v23, v23, v29
	v_fma_f32 v22, v22, v107, -v23
	v_mul_f32_e32 v23, v25, v78
	v_add_f32_e32 v22, 0, v22
	v_fma_f32 v23, v24, v106, -v23
	v_mul_f32_e32 v19, v19, v101
	v_add_f32_e32 v22, v22, v23
	;; [unrolled: 3-line block ×11, first 2 shown]
	v_fma_f32 v3, v4, v118, -v3
	v_add_f32_e32 v2, v2, v3
	v_mul_f32_e32 v3, v31, v121
	v_fma_f32 v3, v30, v120, -v3
	v_add_f32_e32 v2, v2, v3
	v_mul_f32_e32 v3, v33, v123
	;; [unrolled: 3-line block ×20, first 2 shown]
	v_fma_f32 v3, v68, v158, -v3
	v_add_f32_e32 v2, v2, v3
	s_waitcnt vmcnt(22) lgkmcnt(1)
	v_mul_f32_e32 v3, v71, v161
	v_fma_f32 v3, v70, v160, -v3
	v_add_f32_e32 v2, v2, v3
	s_waitcnt vmcnt(20)
	v_mul_f32_e32 v3, v73, v163
	v_mul_f32_e32 v81, v70, v161
	v_fma_f32 v3, v72, v162, -v3
	v_fmac_f32_e32 v81, v71, v160
	v_add_f32_e32 v78, v2, v3
	s_waitcnt vmcnt(18) lgkmcnt(0)
	v_mul_f32_e32 v2, v75, v165
	v_add_f32_e32 v79, v79, v81
	v_mul_f32_e32 v81, v72, v163
	v_fma_f32 v80, v74, v164, -v2
	s_waitcnt vmcnt(16)
	v_mul_f32_e32 v2, v77, v167
	v_fmac_f32_e32 v81, v73, v162
	v_fma_f32 v88, v76, v166, -v2
	ds_read_b128 v[2:5], v28 offset:864
	ds_read_b128 v[6:9], v28 offset:880
	;; [unrolled: 1-line block ×4, first 2 shown]
	v_add_f32_e32 v79, v79, v81
	v_mul_f32_e32 v81, v74, v165
	s_waitcnt vmcnt(11)
	v_mov_b32_e32 v20, v87
	v_fmac_f32_e32 v81, v75, v164
	v_mul_f32_e32 v89, v76, v167
	s_waitcnt lgkmcnt(3)
	v_pk_mul_f32 v[20:21], v[2:3], v[20:21] op_sel_hi:[1,0]
	v_fmac_f32_e32 v89, v77, v166
	v_pk_add_f32 v[18:19], v[78:79], v[80:81]
	s_waitcnt vmcnt(10)
	v_pk_fma_f32 v[22:23], v[2:3], v[86:87], v[20:21] op_sel:[0,0,1] op_sel_hi:[1,1,0] neg_lo:[0,0,1] neg_hi:[0,0,1]
	v_pk_fma_f32 v[2:3], v[2:3], v[86:87], v[20:21] op_sel:[0,0,1] op_sel_hi:[1,0,0]
	v_pk_add_f32 v[18:19], v[18:19], v[88:89]
	v_mov_b32_e32 v23, v3
	v_pk_add_f32 v[2:3], v[18:19], v[22:23]
	v_mov_b32_e32 v18, v85
	v_pk_mul_f32 v[18:19], v[4:5], v[18:19] op_sel_hi:[1,0]
	v_pk_fma_f32 v[20:21], v[4:5], v[84:85], v[18:19] op_sel:[0,0,1] op_sel_hi:[1,1,0] neg_lo:[0,0,1] neg_hi:[0,0,1]
	v_pk_fma_f32 v[4:5], v[4:5], v[84:85], v[18:19] op_sel:[0,0,1] op_sel_hi:[1,0,0]
	v_mov_b32_e32 v4, v83
	v_mov_b32_e32 v21, v5
	s_waitcnt lgkmcnt(2)
	v_pk_mul_f32 v[4:5], v[6:7], v[4:5] op_sel_hi:[1,0]
	v_pk_fma_f32 v[18:19], v[6:7], v[82:83], v[4:5] op_sel:[0,0,1] op_sel_hi:[1,1,0] neg_lo:[0,0,1] neg_hi:[0,0,1]
	v_pk_fma_f32 v[4:5], v[6:7], v[82:83], v[4:5] op_sel:[0,0,1] op_sel_hi:[1,0,0]
	s_waitcnt vmcnt(3)
	v_mov_b32_e32 v4, v97
	v_mov_b32_e32 v19, v5
	v_pk_mul_f32 v[4:5], v[8:9], v[4:5] op_sel_hi:[1,0]
	s_waitcnt vmcnt(2)
	v_pk_fma_f32 v[6:7], v[8:9], v[96:97], v[4:5] op_sel:[0,0,1] op_sel_hi:[1,1,0] neg_lo:[0,0,1] neg_hi:[0,0,1]
	v_pk_fma_f32 v[4:5], v[8:9], v[96:97], v[4:5] op_sel:[0,0,1] op_sel_hi:[1,0,0]
	v_pk_add_f32 v[2:3], v[2:3], v[20:21]
	v_mov_b32_e32 v4, v95
	v_pk_add_f32 v[2:3], v[2:3], v[18:19]
	v_mov_b32_e32 v7, v5
	s_waitcnt lgkmcnt(1)
	v_pk_mul_f32 v[4:5], v[10:11], v[4:5] op_sel_hi:[1,0]
	v_pk_add_f32 v[2:3], v[2:3], v[6:7]
	v_pk_fma_f32 v[6:7], v[10:11], v[94:95], v[4:5] op_sel:[0,0,1] op_sel_hi:[1,1,0] neg_lo:[0,0,1] neg_hi:[0,0,1]
	v_pk_fma_f32 v[4:5], v[10:11], v[94:95], v[4:5] op_sel:[0,0,1] op_sel_hi:[1,0,0]
	v_mov_b32_e32 v4, v93
	v_mov_b32_e32 v7, v5
	v_pk_mul_f32 v[4:5], v[12:13], v[4:5] op_sel_hi:[1,0]
	v_pk_add_f32 v[2:3], v[2:3], v[6:7]
	v_pk_fma_f32 v[6:7], v[12:13], v[92:93], v[4:5] op_sel:[0,0,1] op_sel_hi:[1,1,0] neg_lo:[0,0,1] neg_hi:[0,0,1]
	v_pk_fma_f32 v[4:5], v[12:13], v[92:93], v[4:5] op_sel:[0,0,1] op_sel_hi:[1,0,0]
	v_mov_b32_e32 v4, v91
	v_mov_b32_e32 v7, v5
	s_waitcnt lgkmcnt(0)
	v_pk_mul_f32 v[4:5], v[14:15], v[4:5] op_sel_hi:[1,0]
	v_pk_add_f32 v[2:3], v[2:3], v[6:7]
	v_pk_fma_f32 v[6:7], v[14:15], v[90:91], v[4:5] op_sel:[0,0,1] op_sel_hi:[1,1,0] neg_lo:[0,0,1] neg_hi:[0,0,1]
	v_pk_fma_f32 v[4:5], v[14:15], v[90:91], v[4:5] op_sel:[0,0,1] op_sel_hi:[1,0,0]
	s_waitcnt vmcnt(1)
	v_mov_b32_e32 v4, v99
	v_mov_b32_e32 v7, v5
	v_pk_mul_f32 v[4:5], v[16:17], v[4:5] op_sel_hi:[1,0]
	v_pk_add_f32 v[2:3], v[2:3], v[6:7]
	s_waitcnt vmcnt(0)
	v_pk_fma_f32 v[6:7], v[16:17], v[98:99], v[4:5] op_sel:[0,0,1] op_sel_hi:[1,1,0] neg_lo:[0,0,1] neg_hi:[0,0,1]
	v_pk_fma_f32 v[4:5], v[16:17], v[98:99], v[4:5] op_sel:[0,0,1] op_sel_hi:[1,0,0]
	v_mov_b32_e32 v7, v5
	v_pk_add_f32 v[2:3], v[2:3], v[6:7]
	v_pk_add_f32 v[2:3], v[26:27], v[2:3] neg_lo:[0,1] neg_hi:[0,1]
	buffer_store_dword v3, off, s[0:3], 0 offset:108
	buffer_store_dword v2, off, s[0:3], 0 offset:104
	s_and_saveexec_b64 s[4:5], vcc
	s_cbranch_execz .LBB121_337
; %bb.336:
	buffer_load_dword v2, off, s[0:3], 0 offset:96
	buffer_load_dword v3, off, s[0:3], 0 offset:100
	v_mov_b32_e32 v4, 0
	buffer_store_dword v4, off, s[0:3], 0 offset:96
	buffer_store_dword v4, off, s[0:3], 0 offset:100
	s_waitcnt vmcnt(2)
	ds_write_b64 v175, v[2:3]
.LBB121_337:
	s_or_b64 exec, exec, s[4:5]
	v_mov_b32_e32 v218, 0
	s_waitcnt lgkmcnt(0)
	; wave barrier
	s_waitcnt lgkmcnt(0)
	ds_read2_b64 v[2:5], v218 offset0:71 offset1:72
	buffer_load_dword v78, off, s[0:3], 0 offset:96
	buffer_load_dword v79, off, s[0:3], 0 offset:100
	;; [unrolled: 1-line block ×16, first 2 shown]
	v_cmp_lt_u32_e32 vcc, 11, v0
	s_waitcnt vmcnt(12) lgkmcnt(0)
	v_mul_f32_e32 v6, v2, v100
	v_fmac_f32_e32 v6, v3, v80
	s_waitcnt vmcnt(10)
	v_mul_f32_e32 v7, v4, v102
	v_add_f32_e32 v6, 0, v6
	v_fmac_f32_e32 v7, v5, v82
	v_add_f32_e32 v10, v6, v7
	ds_read2_b64 v[6:9], v218 offset0:73 offset1:74
	v_mul_f32_e32 v3, v3, v100
	v_fma_f32 v2, v2, v80, -v3
	v_mul_f32_e32 v3, v5, v102
	v_add_f32_e32 v2, 0, v2
	s_waitcnt vmcnt(8) lgkmcnt(0)
	v_mul_f32_e32 v11, v6, v104
	v_fmac_f32_e32 v11, v7, v86
	v_add_f32_e32 v10, v10, v11
	s_waitcnt vmcnt(6)
	v_mul_f32_e32 v11, v8, v106
	v_fmac_f32_e32 v11, v9, v101
	v_add_f32_e32 v14, v10, v11
	ds_read2_b64 v[10:13], v218 offset0:75 offset1:76
	v_fma_f32 v3, v4, v82, -v3
	v_add_f32_e32 v2, v2, v3
	v_mul_f32_e32 v3, v7, v104
	v_fma_f32 v3, v6, v86, -v3
	s_waitcnt vmcnt(4) lgkmcnt(0)
	v_mul_f32_e32 v15, v10, v108
	v_fmac_f32_e32 v15, v11, v103
	v_add_f32_e32 v14, v14, v15
	s_waitcnt vmcnt(2)
	v_mul_f32_e32 v15, v12, v109
	v_fmac_f32_e32 v15, v13, v105
	v_add_f32_e32 v18, v14, v15
	ds_read2_b64 v[14:17], v218 offset0:77 offset1:78
	buffer_load_dword v111, off, s[0:3], 0 offset:160
	buffer_load_dword v112, off, s[0:3], 0 offset:164
	v_add_f32_e32 v2, v2, v3
	v_mul_f32_e32 v3, v9, v106
	v_fma_f32 v3, v8, v101, -v3
	s_waitcnt vmcnt(2) lgkmcnt(0)
	v_mul_f32_e32 v19, v14, v110
	v_fmac_f32_e32 v19, v15, v107
	v_add_f32_e32 v18, v18, v19
	v_add_f32_e32 v2, v2, v3
	v_mul_f32_e32 v3, v11, v108
	v_fma_f32 v3, v10, v103, -v3
	v_add_f32_e32 v2, v2, v3
	v_mul_f32_e32 v3, v13, v109
	v_fma_f32 v3, v12, v105, -v3
	;; [unrolled: 3-line block ×3, first 2 shown]
	v_add_f32_e32 v2, v2, v3
	s_waitcnt vmcnt(0)
	v_mul_f32_e32 v19, v16, v112
	v_fmac_f32_e32 v19, v17, v111
	v_add_f32_e32 v22, v18, v19
	ds_read2_b64 v[18:21], v218 offset0:79 offset1:80
	buffer_load_dword v113, off, s[0:3], 0 offset:168
	buffer_load_dword v114, off, s[0:3], 0 offset:172
	buffer_load_dword v115, off, s[0:3], 0 offset:176
	buffer_load_dword v116, off, s[0:3], 0 offset:180
	v_mul_f32_e32 v3, v17, v112
	v_fma_f32 v3, v16, v111, -v3
	v_add_f32_e32 v2, v2, v3
	s_waitcnt vmcnt(2) lgkmcnt(0)
	v_mul_f32_e32 v23, v18, v114
	v_fmac_f32_e32 v23, v19, v113
	v_add_f32_e32 v22, v22, v23
	s_waitcnt vmcnt(0)
	v_mul_f32_e32 v23, v20, v116
	v_fmac_f32_e32 v23, v21, v115
	v_add_f32_e32 v26, v22, v23
	ds_read2_b64 v[22:25], v218 offset0:81 offset1:82
	buffer_load_dword v117, off, s[0:3], 0 offset:184
	buffer_load_dword v118, off, s[0:3], 0 offset:188
	buffer_load_dword v119, off, s[0:3], 0 offset:192
	buffer_load_dword v120, off, s[0:3], 0 offset:196
	ds_read2_b64 v[30:33], v218 offset0:83 offset1:84
	buffer_load_dword v121, off, s[0:3], 0 offset:200
	buffer_load_dword v122, off, s[0:3], 0 offset:204
	buffer_load_dword v123, off, s[0:3], 0 offset:208
	buffer_load_dword v124, off, s[0:3], 0 offset:212
	;; [unrolled: 5-line block ×13, first 2 shown]
	v_mul_f32_e32 v3, v19, v114
	v_fma_f32 v3, v18, v113, -v3
	v_add_f32_e32 v2, v2, v3
	v_mul_f32_e32 v3, v21, v116
	v_fma_f32 v3, v20, v115, -v3
	v_add_f32_e32 v2, v2, v3
	s_waitcnt vmcnt(50) lgkmcnt(12)
	v_mul_f32_e32 v27, v22, v118
	v_fmac_f32_e32 v27, v23, v117
	v_add_f32_e32 v26, v26, v27
	s_waitcnt vmcnt(48)
	v_mul_f32_e32 v27, v24, v120
	v_fmac_f32_e32 v27, v25, v119
	v_add_f32_e32 v26, v26, v27
	s_waitcnt vmcnt(46) lgkmcnt(11)
	v_mul_f32_e32 v27, v30, v122
	v_fmac_f32_e32 v27, v31, v121
	v_add_f32_e32 v26, v26, v27
	s_waitcnt vmcnt(44)
	v_mul_f32_e32 v27, v32, v124
	v_fmac_f32_e32 v27, v33, v123
	;; [unrolled: 8-line block ×12, first 2 shown]
	v_add_f32_e32 v26, v26, v27
	s_waitcnt vmcnt(2) lgkmcnt(0)
	v_mul_f32_e32 v27, v74, v166
	v_fmac_f32_e32 v27, v75, v165
	v_add_f32_e32 v81, v26, v27
	ds_read2_b64 v[26:29], v218 offset0:107 offset1:108
	buffer_load_dword v169, off, s[0:3], 0 offset:392
	buffer_load_dword v219, off, s[0:3], 0 offset:396
	;; [unrolled: 1-line block ×18, first 2 shown]
	v_mul_f32_e32 v3, v23, v118
	v_fma_f32 v3, v22, v117, -v3
	v_add_f32_e32 v2, v2, v3
	v_mul_f32_e32 v3, v25, v120
	v_fma_f32 v3, v24, v119, -v3
	v_add_f32_e32 v2, v2, v3
	;; [unrolled: 3-line block ×25, first 2 shown]
	s_waitcnt vmcnt(18)
	v_mul_f32_e32 v2, v77, v168
	s_waitcnt vmcnt(15)
	v_mov_b32_e32 v18, v85
	v_mul_f32_e32 v83, v76, v168
	v_fma_f32 v82, v76, v167, -v2
	s_waitcnt lgkmcnt(0)
	v_mul_f32_e32 v2, v27, v219
	v_pk_mul_f32 v[18:19], v[28:29], v[18:19] op_sel_hi:[1,0]
	v_fmac_f32_e32 v83, v77, v167
	v_mul_f32_e32 v87, v26, v219
	v_fma_f32 v86, v26, v169, -v2
	ds_read2_b64 v[2:5], v218 offset0:109 offset1:110
	ds_read2_b64 v[6:9], v218 offset0:111 offset1:112
	;; [unrolled: 1-line block ×3, first 2 shown]
	ds_read_b64 v[14:15], v218 offset:920
	s_waitcnt vmcnt(14)
	v_pk_fma_f32 v[20:21], v[28:29], v[84:85], v[18:19] op_sel:[0,0,1] op_sel_hi:[1,1,0] neg_lo:[0,0,1] neg_hi:[0,0,1]
	v_pk_fma_f32 v[18:19], v[28:29], v[84:85], v[18:19] op_sel:[0,0,1] op_sel_hi:[1,0,0]
	v_fmac_f32_e32 v87, v27, v169
	v_pk_add_f32 v[16:17], v[80:81], v[82:83]
	s_waitcnt vmcnt(13)
	v_mov_b32_e32 v18, v217
	v_pk_add_f32 v[16:17], v[16:17], v[86:87]
	v_mov_b32_e32 v21, v19
	s_waitcnt lgkmcnt(3)
	v_pk_mul_f32 v[18:19], v[2:3], v[18:19] op_sel_hi:[1,0]
	v_pk_add_f32 v[16:17], v[16:17], v[20:21]
	s_waitcnt vmcnt(12)
	v_pk_fma_f32 v[20:21], v[2:3], v[216:217], v[18:19] op_sel:[0,0,1] op_sel_hi:[1,1,0] neg_lo:[0,0,1] neg_hi:[0,0,1]
	v_pk_fma_f32 v[2:3], v[2:3], v[216:217], v[18:19] op_sel:[0,0,1] op_sel_hi:[1,0,0]
	v_mov_b32_e32 v21, v3
	v_pk_add_f32 v[2:3], v[16:17], v[20:21]
	s_waitcnt vmcnt(11)
	v_mov_b32_e32 v16, v99
	v_pk_mul_f32 v[16:17], v[4:5], v[16:17] op_sel_hi:[1,0]
	s_waitcnt vmcnt(10)
	v_pk_fma_f32 v[18:19], v[4:5], v[98:99], v[16:17] op_sel:[0,0,1] op_sel_hi:[1,1,0] neg_lo:[0,0,1] neg_hi:[0,0,1]
	v_pk_fma_f32 v[4:5], v[4:5], v[98:99], v[16:17] op_sel:[0,0,1] op_sel_hi:[1,0,0]
	s_waitcnt vmcnt(9)
	v_mov_b32_e32 v4, v97
	v_mov_b32_e32 v19, v5
	s_waitcnt lgkmcnt(2)
	v_pk_mul_f32 v[4:5], v[6:7], v[4:5] op_sel_hi:[1,0]
	s_waitcnt vmcnt(8)
	v_pk_fma_f32 v[16:17], v[6:7], v[96:97], v[4:5] op_sel:[0,0,1] op_sel_hi:[1,1,0] neg_lo:[0,0,1] neg_hi:[0,0,1]
	v_pk_fma_f32 v[4:5], v[6:7], v[96:97], v[4:5] op_sel:[0,0,1] op_sel_hi:[1,0,0]
	s_waitcnt vmcnt(7)
	v_mov_b32_e32 v4, v95
	v_mov_b32_e32 v17, v5
	v_pk_mul_f32 v[4:5], v[8:9], v[4:5] op_sel_hi:[1,0]
	s_waitcnt vmcnt(6)
	v_pk_fma_f32 v[6:7], v[8:9], v[94:95], v[4:5] op_sel:[0,0,1] op_sel_hi:[1,1,0] neg_lo:[0,0,1] neg_hi:[0,0,1]
	v_pk_fma_f32 v[4:5], v[8:9], v[94:95], v[4:5] op_sel:[0,0,1] op_sel_hi:[1,0,0]
	v_pk_add_f32 v[2:3], v[2:3], v[18:19]
	s_waitcnt vmcnt(5)
	v_mov_b32_e32 v4, v93
	v_pk_add_f32 v[2:3], v[2:3], v[16:17]
	v_mov_b32_e32 v7, v5
	s_waitcnt lgkmcnt(1)
	v_pk_mul_f32 v[4:5], v[10:11], v[4:5] op_sel_hi:[1,0]
	v_pk_add_f32 v[2:3], v[2:3], v[6:7]
	s_waitcnt vmcnt(4)
	v_pk_fma_f32 v[6:7], v[10:11], v[92:93], v[4:5] op_sel:[0,0,1] op_sel_hi:[1,1,0] neg_lo:[0,0,1] neg_hi:[0,0,1]
	v_pk_fma_f32 v[4:5], v[10:11], v[92:93], v[4:5] op_sel:[0,0,1] op_sel_hi:[1,0,0]
	s_waitcnt vmcnt(3)
	v_mov_b32_e32 v4, v91
	v_mov_b32_e32 v7, v5
	v_pk_mul_f32 v[4:5], v[12:13], v[4:5] op_sel_hi:[1,0]
	v_pk_add_f32 v[2:3], v[2:3], v[6:7]
	s_waitcnt vmcnt(2)
	v_pk_fma_f32 v[6:7], v[12:13], v[90:91], v[4:5] op_sel:[0,0,1] op_sel_hi:[1,1,0] neg_lo:[0,0,1] neg_hi:[0,0,1]
	v_pk_fma_f32 v[4:5], v[12:13], v[90:91], v[4:5] op_sel:[0,0,1] op_sel_hi:[1,0,0]
	s_waitcnt vmcnt(1)
	v_mov_b32_e32 v4, v89
	v_mov_b32_e32 v7, v5
	s_waitcnt lgkmcnt(0)
	v_pk_mul_f32 v[4:5], v[14:15], v[4:5] op_sel_hi:[1,0]
	v_pk_add_f32 v[2:3], v[2:3], v[6:7]
	s_waitcnt vmcnt(0)
	v_pk_fma_f32 v[6:7], v[14:15], v[88:89], v[4:5] op_sel:[0,0,1] op_sel_hi:[1,1,0] neg_lo:[0,0,1] neg_hi:[0,0,1]
	v_pk_fma_f32 v[4:5], v[14:15], v[88:89], v[4:5] op_sel:[0,0,1] op_sel_hi:[1,0,0]
	v_mov_b32_e32 v7, v5
	v_pk_add_f32 v[2:3], v[2:3], v[6:7]
	v_pk_add_f32 v[2:3], v[78:79], v[2:3] neg_lo:[0,1] neg_hi:[0,1]
	buffer_store_dword v3, off, s[0:3], 0 offset:100
	buffer_store_dword v2, off, s[0:3], 0 offset:96
	s_and_saveexec_b64 s[4:5], vcc
	s_cbranch_execz .LBB121_339
; %bb.338:
	buffer_load_dword v2, off, s[0:3], 0 offset:88
	buffer_load_dword v3, off, s[0:3], 0 offset:92
	s_waitcnt vmcnt(0)
	ds_write_b64 v175, v[2:3]
	buffer_store_dword v218, off, s[0:3], 0 offset:88
	buffer_store_dword v218, off, s[0:3], 0 offset:92
.LBB121_339:
	s_or_b64 exec, exec, s[4:5]
	s_waitcnt lgkmcnt(0)
	; wave barrier
	s_waitcnt lgkmcnt(0)
	buffer_load_dword v86, off, s[0:3], 0 offset:100
	buffer_load_dword v88, off, s[0:3], 0 offset:108
	;; [unrolled: 1-line block ×32, first 2 shown]
	ds_read_b128 v[22:25], v218 offset:560
	ds_read_b128 v[18:21], v218 offset:576
	;; [unrolled: 1-line block ×6, first 2 shown]
	buffer_load_dword v133, off, s[0:3], 0 offset:216
	buffer_load_dword v134, off, s[0:3], 0 offset:220
	;; [unrolled: 1-line block ×32, first 2 shown]
	v_cmp_lt_u32_e32 vcc, 10, v0
	s_waitcnt vmcnt(62) lgkmcnt(5)
	v_mul_f32_e32 v28, v22, v86
	v_mul_f32_e32 v29, v24, v88
	s_waitcnt vmcnt(61) lgkmcnt(4)
	v_mul_f32_e32 v31, v20, v90
	s_waitcnt vmcnt(60) lgkmcnt(3)
	v_mul_f32_e32 v32, v14, v106
	s_waitcnt vmcnt(59)
	v_mul_f32_e32 v33, v16, v107
	s_waitcnt vmcnt(58)
	v_mul_f32_e32 v30, v18, v108
	s_waitcnt vmcnt(57) lgkmcnt(2)
	v_mul_f32_e32 v34, v10, v109
	s_waitcnt vmcnt(56)
	v_mul_f32_e32 v35, v12, v110
	s_waitcnt vmcnt(55) lgkmcnt(1)
	v_mul_f32_e32 v36, v6, v111
	s_waitcnt vmcnt(54)
	v_mul_f32_e32 v37, v8, v112
	s_waitcnt vmcnt(53)
	v_fmac_f32_e32 v30, v19, v113
	s_waitcnt vmcnt(52)
	v_fmac_f32_e32 v29, v25, v114
	;; [unrolled: 2-line block ×3, first 2 shown]
	v_add_f32_e32 v28, 0, v28
	v_add_f32_e32 v28, v28, v29
	;; [unrolled: 1-line block ×3, first 2 shown]
	s_waitcnt vmcnt(47)
	v_fmac_f32_e32 v31, v21, v119
	v_fmac_f32_e32 v32, v15, v118
	v_add_f32_e32 v28, v28, v31
	v_fmac_f32_e32 v33, v17, v117
	v_add_f32_e32 v28, v28, v32
	;; [unrolled: 2-line block ×3, first 2 shown]
	s_waitcnt vmcnt(43)
	v_fmac_f32_e32 v35, v13, v123
	v_add_f32_e32 v28, v28, v34
	v_fmac_f32_e32 v36, v7, v122
	v_add_f32_e32 v28, v28, v35
	;; [unrolled: 2-line block ×3, first 2 shown]
	s_waitcnt vmcnt(42) lgkmcnt(0)
	v_mul_f32_e32 v29, v2, v124
	v_add_f32_e32 v28, v28, v37
	v_fmac_f32_e32 v29, v3, v120
	v_add_f32_e32 v32, v28, v29
	ds_read_b128 v[28:31], v218 offset:656
	buffer_load_dword v165, off, s[0:3], 0 offset:344
	buffer_load_dword v166, off, s[0:3], 0 offset:348
	s_waitcnt vmcnt(43)
	v_mul_f32_e32 v33, v4, v125
	s_waitcnt vmcnt(36)
	v_fmac_f32_e32 v33, v5, v132
	v_add_f32_e32 v36, v32, v33
	ds_read_b128 v[32:35], v218 offset:672
	buffer_load_dword v167, off, s[0:3], 0 offset:352
	buffer_load_dword v168, off, s[0:3], 0 offset:356
	;; [unrolled: 1-line block ×8, first 2 shown]
	s_waitcnt lgkmcnt(1)
	v_mul_f32_e32 v37, v28, v127
	v_fmac_f32_e32 v37, v29, v126
	v_add_f32_e32 v36, v36, v37
	v_mul_f32_e32 v37, v30, v129
	v_fmac_f32_e32 v37, v31, v128
	v_add_f32_e32 v36, v36, v37
	s_waitcnt lgkmcnt(0)
	v_mul_f32_e32 v37, v32, v131
	v_fmac_f32_e32 v37, v33, v130
	v_add_f32_e32 v40, v36, v37
	buffer_load_dword v222, off, s[0:3], 0 offset:384
	buffer_load_dword v223, off, s[0:3], 0 offset:388
	;; [unrolled: 1-line block ×4, first 2 shown]
	ds_read_b128 v[36:39], v218 offset:688
	s_waitcnt vmcnt(44)
	v_mul_f32_e32 v41, v34, v134
	v_fmac_f32_e32 v41, v35, v133
	v_add_f32_e32 v44, v40, v41
	ds_read_b128 v[40:43], v218 offset:704
	s_waitcnt vmcnt(42) lgkmcnt(1)
	v_mul_f32_e32 v45, v36, v136
	v_fmac_f32_e32 v45, v37, v135
	v_add_f32_e32 v44, v44, v45
	s_waitcnt vmcnt(40)
	v_mul_f32_e32 v45, v38, v138
	v_fmac_f32_e32 v45, v39, v137
	v_add_f32_e32 v44, v44, v45
	s_waitcnt vmcnt(38) lgkmcnt(0)
	v_mul_f32_e32 v45, v40, v140
	v_fmac_f32_e32 v45, v41, v139
	v_add_f32_e32 v48, v44, v45
	ds_read_b128 v[44:47], v218 offset:720
	s_waitcnt vmcnt(36)
	v_mul_f32_e32 v49, v42, v142
	v_fmac_f32_e32 v49, v43, v141
	v_add_f32_e32 v52, v48, v49
	ds_read_b128 v[48:51], v218 offset:736
	s_waitcnt vmcnt(34) lgkmcnt(1)
	v_mul_f32_e32 v53, v44, v144
	v_fmac_f32_e32 v53, v45, v143
	v_add_f32_e32 v52, v52, v53
	s_waitcnt vmcnt(32)
	v_mul_f32_e32 v53, v46, v146
	v_fmac_f32_e32 v53, v47, v145
	v_add_f32_e32 v52, v52, v53
	s_waitcnt vmcnt(30) lgkmcnt(0)
	v_mul_f32_e32 v53, v48, v148
	v_fmac_f32_e32 v53, v49, v147
	v_add_f32_e32 v56, v52, v53
	;; [unrolled: 18-line block ×4, first 2 shown]
	ds_read_b128 v[68:71], v218 offset:816
	v_mul_f32_e32 v23, v23, v86
	v_fma_f32 v22, v22, v115, -v23
	v_mul_f32_e32 v23, v25, v88
	v_add_f32_e32 v22, 0, v22
	s_waitcnt vmcnt(12)
	v_mul_f32_e32 v73, v66, v166
	v_fmac_f32_e32 v73, v67, v165
	v_add_f32_e32 v76, v72, v73
	ds_read_b128 v[72:75], v218 offset:832
	buffer_load_dword v85, off, s[0:3], 0 offset:404
	buffer_load_dword v84, off, s[0:3], 0 offset:400
	s_waitcnt vmcnt(12) lgkmcnt(1)
	v_mul_f32_e32 v77, v68, v168
	v_fmac_f32_e32 v77, v69, v167
	v_add_f32_e32 v76, v76, v77
	s_waitcnt vmcnt(10)
	v_mul_f32_e32 v77, v70, v216
	v_fmac_f32_e32 v77, v71, v169
	v_add_f32_e32 v76, v76, v77
	s_waitcnt vmcnt(8) lgkmcnt(0)
	v_mul_f32_e32 v77, v72, v219
	v_fmac_f32_e32 v77, v73, v217
	s_waitcnt vmcnt(6)
	v_mul_f32_e32 v81, v74, v221
	v_add_f32_e32 v80, v76, v77
	v_fmac_f32_e32 v81, v75, v220
	ds_read_b128 v[76:79], v218 offset:848
	v_add_f32_e32 v87, v80, v81
	ds_read_b128 v[80:83], v218 offset:864
	buffer_load_dword v93, off, s[0:3], 0 offset:436
	buffer_load_dword v92, off, s[0:3], 0 offset:432
	;; [unrolled: 1-line block ×14, first 2 shown]
	v_fma_f32 v23, v24, v114, -v23
	v_mul_f32_e32 v19, v19, v108
	v_add_f32_e32 v22, v22, v23
	v_fma_f32 v18, v18, v113, -v19
	v_mul_f32_e32 v19, v21, v90
	v_add_f32_e32 v18, v22, v18
	;; [unrolled: 3-line block ×10, first 2 shown]
	v_fma_f32 v3, v4, v132, -v3
	v_add_f32_e32 v2, v2, v3
	v_mul_f32_e32 v3, v29, v127
	v_fma_f32 v3, v28, v126, -v3
	v_add_f32_e32 v2, v2, v3
	v_mul_f32_e32 v3, v31, v129
	;; [unrolled: 3-line block ×24, first 2 shown]
	v_fma_f32 v3, v74, v220, -v3
	s_waitcnt vmcnt(15)
	v_mov_b32_e32 v16, v85
	s_waitcnt lgkmcnt(1)
	v_mul_f32_e32 v89, v76, v223
	v_add_f32_e32 v86, v2, v3
	v_mul_f32_e32 v2, v77, v223
	s_waitcnt lgkmcnt(0)
	v_pk_mul_f32 v[16:17], v[80:81], v[16:17] op_sel_hi:[1,0]
	v_fmac_f32_e32 v89, v77, v222
	v_mul_f32_e32 v91, v78, v225
	v_fma_f32 v88, v76, v222, -v2
	v_mul_f32_e32 v2, v79, v225
	s_waitcnt vmcnt(14)
	v_pk_fma_f32 v[18:19], v[80:81], v[84:85], v[16:17] op_sel:[0,0,1] op_sel_hi:[1,1,0] neg_lo:[0,0,1] neg_hi:[0,0,1]
	v_pk_fma_f32 v[16:17], v[80:81], v[84:85], v[16:17] op_sel:[0,0,1] op_sel_hi:[1,0,0]
	v_fmac_f32_e32 v91, v79, v224
	v_fma_f32 v90, v78, v224, -v2
	v_pk_add_f32 v[14:15], v[86:87], v[88:89]
	s_waitcnt vmcnt(7)
	v_mov_b32_e32 v16, v99
	ds_read_b128 v[2:5], v218 offset:880
	ds_read_b128 v[6:9], v218 offset:896
	;; [unrolled: 1-line block ×3, first 2 shown]
	v_pk_add_f32 v[14:15], v[14:15], v[90:91]
	v_mov_b32_e32 v19, v17
	v_pk_mul_f32 v[16:17], v[82:83], v[16:17] op_sel_hi:[1,0]
	v_pk_add_f32 v[14:15], v[14:15], v[18:19]
	s_waitcnt vmcnt(6)
	v_pk_fma_f32 v[18:19], v[82:83], v[98:99], v[16:17] op_sel:[0,0,1] op_sel_hi:[1,1,0] neg_lo:[0,0,1] neg_hi:[0,0,1]
	v_pk_fma_f32 v[16:17], v[82:83], v[98:99], v[16:17] op_sel:[0,0,1] op_sel_hi:[1,0,0]
	v_mov_b32_e32 v16, v97
	v_mov_b32_e32 v19, v17
	s_waitcnt lgkmcnt(2)
	v_pk_mul_f32 v[16:17], v[2:3], v[16:17] op_sel_hi:[1,0]
	v_pk_add_f32 v[14:15], v[14:15], v[18:19]
	v_pk_fma_f32 v[18:19], v[2:3], v[96:97], v[16:17] op_sel:[0,0,1] op_sel_hi:[1,1,0] neg_lo:[0,0,1] neg_hi:[0,0,1]
	v_pk_fma_f32 v[2:3], v[2:3], v[96:97], v[16:17] op_sel:[0,0,1] op_sel_hi:[1,0,0]
	v_mov_b32_e32 v19, v3
	v_pk_add_f32 v[2:3], v[14:15], v[18:19]
	v_mov_b32_e32 v14, v95
	v_pk_mul_f32 v[14:15], v[4:5], v[14:15] op_sel_hi:[1,0]
	v_pk_fma_f32 v[16:17], v[4:5], v[94:95], v[14:15] op_sel:[0,0,1] op_sel_hi:[1,1,0] neg_lo:[0,0,1] neg_hi:[0,0,1]
	v_pk_fma_f32 v[4:5], v[4:5], v[94:95], v[14:15] op_sel:[0,0,1] op_sel_hi:[1,0,0]
	v_mov_b32_e32 v4, v93
	v_mov_b32_e32 v17, v5
	s_waitcnt lgkmcnt(1)
	v_pk_mul_f32 v[4:5], v[6:7], v[4:5] op_sel_hi:[1,0]
	v_pk_fma_f32 v[14:15], v[6:7], v[92:93], v[4:5] op_sel:[0,0,1] op_sel_hi:[1,1,0] neg_lo:[0,0,1] neg_hi:[0,0,1]
	v_pk_fma_f32 v[4:5], v[6:7], v[92:93], v[4:5] op_sel:[0,0,1] op_sel_hi:[1,0,0]
	s_waitcnt vmcnt(1)
	v_mov_b32_e32 v4, v105
	v_mov_b32_e32 v15, v5
	v_pk_mul_f32 v[4:5], v[8:9], v[4:5] op_sel_hi:[1,0]
	s_waitcnt vmcnt(0)
	v_pk_fma_f32 v[6:7], v[8:9], v[104:105], v[4:5] op_sel:[0,0,1] op_sel_hi:[1,1,0] neg_lo:[0,0,1] neg_hi:[0,0,1]
	v_pk_fma_f32 v[4:5], v[8:9], v[104:105], v[4:5] op_sel:[0,0,1] op_sel_hi:[1,0,0]
	v_pk_add_f32 v[2:3], v[2:3], v[16:17]
	v_mov_b32_e32 v4, v103
	v_pk_add_f32 v[2:3], v[2:3], v[14:15]
	v_mov_b32_e32 v7, v5
	s_waitcnt lgkmcnt(0)
	v_pk_mul_f32 v[4:5], v[10:11], v[4:5] op_sel_hi:[1,0]
	v_pk_add_f32 v[2:3], v[2:3], v[6:7]
	v_pk_fma_f32 v[6:7], v[10:11], v[102:103], v[4:5] op_sel:[0,0,1] op_sel_hi:[1,1,0] neg_lo:[0,0,1] neg_hi:[0,0,1]
	v_pk_fma_f32 v[4:5], v[10:11], v[102:103], v[4:5] op_sel:[0,0,1] op_sel_hi:[1,0,0]
	v_mov_b32_e32 v4, v101
	v_mov_b32_e32 v7, v5
	v_pk_mul_f32 v[4:5], v[12:13], v[4:5] op_sel_hi:[1,0]
	v_pk_add_f32 v[2:3], v[2:3], v[6:7]
	v_pk_fma_f32 v[6:7], v[12:13], v[100:101], v[4:5] op_sel:[0,0,1] op_sel_hi:[1,1,0] neg_lo:[0,0,1] neg_hi:[0,0,1]
	v_pk_fma_f32 v[4:5], v[12:13], v[100:101], v[4:5] op_sel:[0,0,1] op_sel_hi:[1,0,0]
	v_mov_b32_e32 v7, v5
	v_pk_add_f32 v[2:3], v[2:3], v[6:7]
	v_pk_add_f32 v[2:3], v[26:27], v[2:3] neg_lo:[0,1] neg_hi:[0,1]
	buffer_store_dword v3, off, s[0:3], 0 offset:92
	buffer_store_dword v2, off, s[0:3], 0 offset:88
	s_and_saveexec_b64 s[4:5], vcc
	s_cbranch_execz .LBB121_341
; %bb.340:
	buffer_load_dword v2, off, s[0:3], 0 offset:80
	buffer_load_dword v3, off, s[0:3], 0 offset:84
	v_mov_b32_e32 v4, 0
	buffer_store_dword v4, off, s[0:3], 0 offset:80
	buffer_store_dword v4, off, s[0:3], 0 offset:84
	s_waitcnt vmcnt(2)
	ds_write_b64 v175, v[2:3]
.LBB121_341:
	s_or_b64 exec, exec, s[4:5]
	s_waitcnt lgkmcnt(0)
	; wave barrier
	s_waitcnt lgkmcnt(0)
	buffer_load_dword v33, off, s[0:3], 0 offset:92
	buffer_load_dword v32, off, s[0:3], 0 offset:100
	;; [unrolled: 1-line block ×48, first 2 shown]
	v_mov_b32_e32 v36, 0
	ds_read2_b64 v[22:25], v36 offset0:69 offset1:70
	ds_read2_b64 v[18:21], v36 offset0:71 offset1:72
	;; [unrolled: 1-line block ×6, first 2 shown]
	buffer_load_dword v150, off, s[0:3], 0 offset:272
	buffer_load_dword v151, off, s[0:3], 0 offset:276
	;; [unrolled: 1-line block ×12, first 2 shown]
	v_cmp_lt_u32_e32 vcc, 9, v0
	s_waitcnt vmcnt(59) lgkmcnt(5)
	v_mul_f32_e32 v35, v22, v33
	s_waitcnt vmcnt(58)
	v_mul_f32_e32 v38, v24, v32
	s_waitcnt vmcnt(57) lgkmcnt(4)
	v_mul_f32_e32 v40, v20, v31
	s_waitcnt vmcnt(56) lgkmcnt(3)
	v_mul_f32_e32 v41, v14, v30
	s_waitcnt vmcnt(55)
	v_mul_f32_e32 v42, v16, v28
	s_waitcnt vmcnt(54)
	v_mul_f32_e32 v39, v18, v34
	s_waitcnt vmcnt(53) lgkmcnt(2)
	v_mul_f32_e32 v43, v10, v29
	s_waitcnt vmcnt(52)
	v_mul_f32_e32 v44, v12, v37
	s_waitcnt vmcnt(51) lgkmcnt(1)
	v_mul_f32_e32 v45, v6, v94
	s_waitcnt vmcnt(50)
	v_mul_f32_e32 v46, v8, v96
	s_waitcnt vmcnt(49)
	v_fmac_f32_e32 v39, v19, v114
	s_waitcnt vmcnt(48)
	v_fmac_f32_e32 v38, v25, v115
	;; [unrolled: 2-line block ×3, first 2 shown]
	v_add_f32_e32 v35, 0, v35
	v_add_f32_e32 v35, v35, v38
	;; [unrolled: 1-line block ×3, first 2 shown]
	s_waitcnt vmcnt(43)
	v_fmac_f32_e32 v40, v21, v120
	v_fmac_f32_e32 v41, v15, v119
	v_add_f32_e32 v35, v35, v40
	v_fmac_f32_e32 v42, v17, v118
	v_add_f32_e32 v35, v35, v41
	;; [unrolled: 2-line block ×3, first 2 shown]
	s_waitcnt vmcnt(39)
	v_fmac_f32_e32 v44, v13, v124
	v_add_f32_e32 v35, v35, v43
	v_fmac_f32_e32 v45, v7, v123
	v_add_f32_e32 v35, v35, v44
	;; [unrolled: 2-line block ×3, first 2 shown]
	s_waitcnt vmcnt(38) lgkmcnt(0)
	v_mul_f32_e32 v38, v2, v125
	v_add_f32_e32 v35, v35, v46
	v_fmac_f32_e32 v38, v3, v121
	v_add_f32_e32 v35, v35, v38
	ds_read2_b64 v[38:41], v36 offset0:81 offset1:82
	buffer_load_dword v162, off, s[0:3], 0 offset:320
	buffer_load_dword v163, off, s[0:3], 0 offset:324
	;; [unrolled: 1-line block ×4, first 2 shown]
	s_waitcnt vmcnt(35)
	v_mul_f32_e32 v42, v4, v132
	s_waitcnt vmcnt(34)
	v_fmac_f32_e32 v42, v5, v133
	v_add_f32_e32 v35, v35, v42
	ds_read2_b64 v[42:45], v36 offset0:83 offset1:84
	buffer_load_dword v166, off, s[0:3], 0 offset:336
	buffer_load_dword v167, off, s[0:3], 0 offset:340
	;; [unrolled: 1-line block ×10, first 2 shown]
	s_waitcnt lgkmcnt(1)
	v_mul_f32_e32 v46, v38, v127
	v_fmac_f32_e32 v46, v39, v126
	v_add_f32_e32 v35, v35, v46
	v_mul_f32_e32 v46, v40, v129
	v_fmac_f32_e32 v46, v41, v128
	v_add_f32_e32 v35, v35, v46
	s_waitcnt lgkmcnt(0)
	v_mul_f32_e32 v46, v42, v131
	v_fmac_f32_e32 v46, v43, v130
	v_add_f32_e32 v35, v35, v46
	buffer_load_dword v222, off, s[0:3], 0 offset:376
	buffer_load_dword v223, off, s[0:3], 0 offset:380
	;; [unrolled: 1-line block ×6, first 2 shown]
	ds_read2_b64 v[46:49], v36 offset0:85 offset1:86
	s_waitcnt vmcnt(46)
	v_mul_f32_e32 v50, v44, v135
	v_fmac_f32_e32 v50, v45, v134
	v_add_f32_e32 v35, v35, v50
	ds_read2_b64 v[50:53], v36 offset0:87 offset1:88
	s_waitcnt vmcnt(44) lgkmcnt(1)
	v_mul_f32_e32 v54, v46, v137
	v_fmac_f32_e32 v54, v47, v136
	v_add_f32_e32 v35, v35, v54
	s_waitcnt vmcnt(42)
	v_mul_f32_e32 v54, v48, v139
	v_fmac_f32_e32 v54, v49, v138
	v_add_f32_e32 v35, v35, v54
	s_waitcnt vmcnt(40) lgkmcnt(0)
	v_mul_f32_e32 v54, v50, v141
	v_fmac_f32_e32 v54, v51, v140
	v_add_f32_e32 v35, v35, v54
	ds_read2_b64 v[54:57], v36 offset0:89 offset1:90
	s_waitcnt vmcnt(38)
	v_mul_f32_e32 v58, v52, v143
	v_fmac_f32_e32 v58, v53, v142
	v_add_f32_e32 v35, v35, v58
	ds_read2_b64 v[58:61], v36 offset0:91 offset1:92
	s_waitcnt vmcnt(36) lgkmcnt(1)
	v_mul_f32_e32 v62, v54, v145
	v_fmac_f32_e32 v62, v55, v144
	v_add_f32_e32 v35, v35, v62
	s_waitcnt vmcnt(34)
	v_mul_f32_e32 v62, v56, v147
	v_fmac_f32_e32 v62, v57, v146
	v_add_f32_e32 v35, v35, v62
	s_waitcnt vmcnt(32) lgkmcnt(0)
	v_mul_f32_e32 v62, v58, v149
	v_fmac_f32_e32 v62, v59, v148
	v_add_f32_e32 v35, v35, v62
	;; [unrolled: 18-line block ×3, first 2 shown]
	ds_read2_b64 v[70:73], v36 offset0:97 offset1:98
	s_waitcnt vmcnt(22)
	v_mul_f32_e32 v74, v68, v159
	v_fmac_f32_e32 v74, v69, v158
	v_add_f32_e32 v35, v35, v74
	ds_read2_b64 v[74:77], v36 offset0:99 offset1:100
	s_waitcnt vmcnt(20) lgkmcnt(1)
	v_mul_f32_e32 v78, v70, v161
	v_fmac_f32_e32 v78, v71, v160
	v_add_f32_e32 v35, v35, v78
	v_mul_f32_e32 v23, v23, v33
	v_fma_f32 v22, v22, v116, -v23
	v_mul_f32_e32 v23, v25, v32
	v_add_f32_e32 v22, 0, v22
	v_fma_f32 v23, v24, v115, -v23
	v_mul_f32_e32 v19, v19, v34
	v_add_f32_e32 v22, v22, v23
	v_fma_f32 v18, v18, v114, -v19
	v_mul_f32_e32 v19, v21, v31
	s_waitcnt vmcnt(18)
	v_mul_f32_e32 v78, v72, v163
	v_fmac_f32_e32 v78, v73, v162
	v_add_f32_e32 v35, v35, v78
	s_waitcnt vmcnt(16) lgkmcnt(0)
	v_mul_f32_e32 v78, v74, v165
	v_fmac_f32_e32 v78, v75, v164
	v_add_f32_e32 v35, v35, v78
	ds_read2_b64 v[78:81], v36 offset0:101 offset1:102
	s_waitcnt vmcnt(14)
	v_mul_f32_e32 v82, v76, v167
	v_fmac_f32_e32 v82, v77, v166
	v_add_f32_e32 v35, v35, v82
	ds_read2_b64 v[82:85], v36 offset0:103 offset1:104
	s_waitcnt vmcnt(12) lgkmcnt(1)
	v_mul_f32_e32 v86, v78, v169
	v_fmac_f32_e32 v86, v79, v168
	v_add_f32_e32 v35, v35, v86
	s_waitcnt vmcnt(10)
	v_mul_f32_e32 v86, v80, v217
	v_fmac_f32_e32 v86, v81, v216
	v_add_f32_e32 v35, v35, v86
	s_waitcnt vmcnt(8) lgkmcnt(0)
	v_mul_f32_e32 v86, v82, v219
	v_fmac_f32_e32 v86, v83, v218
	s_waitcnt vmcnt(6)
	v_mul_f32_e32 v90, v84, v221
	v_add_f32_e32 v35, v35, v86
	v_fmac_f32_e32 v90, v85, v220
	ds_read2_b64 v[86:89], v36 offset0:105 offset1:106
	v_add_f32_e32 v35, v35, v90
	ds_read2_b64 v[90:93], v36 offset0:107 offset1:108
	buffer_load_dword v99, off, s[0:3], 0 offset:428
	buffer_load_dword v98, off, s[0:3], 0 offset:424
	;; [unrolled: 1-line block ×16, first 2 shown]
	v_add_f32_e32 v18, v22, v18
	v_fma_f32 v19, v20, v120, -v19
	v_mul_f32_e32 v15, v15, v30
	v_add_f32_e32 v18, v18, v19
	v_fma_f32 v14, v14, v119, -v15
	v_mul_f32_e32 v15, v17, v28
	;; [unrolled: 3-line block ×8, first 2 shown]
	v_add_f32_e32 v2, v6, v2
	v_fma_f32 v3, v4, v133, -v3
	v_add_f32_e32 v2, v2, v3
	v_mul_f32_e32 v3, v39, v127
	v_fma_f32 v3, v38, v126, -v3
	v_add_f32_e32 v2, v2, v3
	v_mul_f32_e32 v3, v41, v129
	;; [unrolled: 3-line block ×24, first 2 shown]
	v_fma_f32 v3, v84, v220, -v3
	v_add_f32_e32 v2, v2, v3
	s_waitcnt vmcnt(20) lgkmcnt(1)
	v_mul_f32_e32 v3, v87, v223
	v_mul_f32_e32 v95, v86, v223
	v_fma_f32 v3, v86, v222, -v3
	v_fmac_f32_e32 v95, v87, v222
	v_add_f32_e32 v34, v2, v3
	s_waitcnt vmcnt(18)
	v_mul_f32_e32 v2, v89, v225
	s_waitcnt vmcnt(9)
	v_mov_b32_e32 v18, v105
	v_add_f32_e32 v35, v35, v95
	v_mul_f32_e32 v95, v88, v225
	v_fma_f32 v94, v88, v224, -v2
	s_waitcnt lgkmcnt(0)
	v_mul_f32_e32 v2, v91, v227
	v_pk_mul_f32 v[18:19], v[92:93], v[18:19] op_sel_hi:[1,0]
	v_fmac_f32_e32 v95, v89, v224
	v_mul_f32_e32 v97, v90, v227
	v_fma_f32 v96, v90, v226, -v2
	ds_read2_b64 v[2:5], v36 offset0:109 offset1:110
	ds_read2_b64 v[6:9], v36 offset0:111 offset1:112
	;; [unrolled: 1-line block ×3, first 2 shown]
	ds_read_b64 v[14:15], v36 offset:920
	s_waitcnt vmcnt(8)
	v_pk_fma_f32 v[20:21], v[92:93], v[104:105], v[18:19] op_sel:[0,0,1] op_sel_hi:[1,1,0] neg_lo:[0,0,1] neg_hi:[0,0,1]
	v_pk_fma_f32 v[18:19], v[92:93], v[104:105], v[18:19] op_sel:[0,0,1] op_sel_hi:[1,0,0]
	v_fmac_f32_e32 v97, v91, v226
	v_pk_add_f32 v[16:17], v[34:35], v[94:95]
	v_mov_b32_e32 v18, v103
	v_pk_add_f32 v[16:17], v[16:17], v[96:97]
	v_mov_b32_e32 v21, v19
	s_waitcnt lgkmcnt(3)
	v_pk_mul_f32 v[18:19], v[2:3], v[18:19] op_sel_hi:[1,0]
	v_pk_add_f32 v[16:17], v[16:17], v[20:21]
	v_pk_fma_f32 v[20:21], v[2:3], v[102:103], v[18:19] op_sel:[0,0,1] op_sel_hi:[1,1,0] neg_lo:[0,0,1] neg_hi:[0,0,1]
	v_pk_fma_f32 v[2:3], v[2:3], v[102:103], v[18:19] op_sel:[0,0,1] op_sel_hi:[1,0,0]
	v_mov_b32_e32 v21, v3
	v_pk_add_f32 v[2:3], v[16:17], v[20:21]
	v_mov_b32_e32 v16, v101
	v_pk_mul_f32 v[16:17], v[4:5], v[16:17] op_sel_hi:[1,0]
	v_pk_fma_f32 v[18:19], v[4:5], v[100:101], v[16:17] op_sel:[0,0,1] op_sel_hi:[1,1,0] neg_lo:[0,0,1] neg_hi:[0,0,1]
	v_pk_fma_f32 v[4:5], v[4:5], v[100:101], v[16:17] op_sel:[0,0,1] op_sel_hi:[1,0,0]
	v_mov_b32_e32 v4, v99
	v_mov_b32_e32 v19, v5
	s_waitcnt lgkmcnt(2)
	v_pk_mul_f32 v[4:5], v[6:7], v[4:5] op_sel_hi:[1,0]
	v_pk_fma_f32 v[16:17], v[6:7], v[98:99], v[4:5] op_sel:[0,0,1] op_sel_hi:[1,1,0] neg_lo:[0,0,1] neg_hi:[0,0,1]
	v_pk_fma_f32 v[4:5], v[6:7], v[98:99], v[4:5] op_sel:[0,0,1] op_sel_hi:[1,0,0]
	s_waitcnt vmcnt(1)
	v_mov_b32_e32 v4, v113
	v_mov_b32_e32 v17, v5
	v_pk_mul_f32 v[4:5], v[8:9], v[4:5] op_sel_hi:[1,0]
	s_waitcnt vmcnt(0)
	v_pk_fma_f32 v[6:7], v[8:9], v[112:113], v[4:5] op_sel:[0,0,1] op_sel_hi:[1,1,0] neg_lo:[0,0,1] neg_hi:[0,0,1]
	v_pk_fma_f32 v[4:5], v[8:9], v[112:113], v[4:5] op_sel:[0,0,1] op_sel_hi:[1,0,0]
	v_pk_add_f32 v[2:3], v[2:3], v[18:19]
	v_mov_b32_e32 v4, v111
	v_pk_add_f32 v[2:3], v[2:3], v[16:17]
	v_mov_b32_e32 v7, v5
	s_waitcnt lgkmcnt(1)
	v_pk_mul_f32 v[4:5], v[10:11], v[4:5] op_sel_hi:[1,0]
	v_pk_add_f32 v[2:3], v[2:3], v[6:7]
	v_pk_fma_f32 v[6:7], v[10:11], v[110:111], v[4:5] op_sel:[0,0,1] op_sel_hi:[1,1,0] neg_lo:[0,0,1] neg_hi:[0,0,1]
	v_pk_fma_f32 v[4:5], v[10:11], v[110:111], v[4:5] op_sel:[0,0,1] op_sel_hi:[1,0,0]
	v_mov_b32_e32 v4, v109
	v_mov_b32_e32 v7, v5
	v_pk_mul_f32 v[4:5], v[12:13], v[4:5] op_sel_hi:[1,0]
	v_pk_add_f32 v[2:3], v[2:3], v[6:7]
	v_pk_fma_f32 v[6:7], v[12:13], v[108:109], v[4:5] op_sel:[0,0,1] op_sel_hi:[1,1,0] neg_lo:[0,0,1] neg_hi:[0,0,1]
	v_pk_fma_f32 v[4:5], v[12:13], v[108:109], v[4:5] op_sel:[0,0,1] op_sel_hi:[1,0,0]
	v_mov_b32_e32 v4, v107
	v_mov_b32_e32 v7, v5
	s_waitcnt lgkmcnt(0)
	v_pk_mul_f32 v[4:5], v[14:15], v[4:5] op_sel_hi:[1,0]
	v_pk_add_f32 v[2:3], v[2:3], v[6:7]
	v_pk_fma_f32 v[6:7], v[14:15], v[106:107], v[4:5] op_sel:[0,0,1] op_sel_hi:[1,1,0] neg_lo:[0,0,1] neg_hi:[0,0,1]
	v_pk_fma_f32 v[4:5], v[14:15], v[106:107], v[4:5] op_sel:[0,0,1] op_sel_hi:[1,0,0]
	v_mov_b32_e32 v7, v5
	v_pk_add_f32 v[2:3], v[2:3], v[6:7]
	v_pk_add_f32 v[2:3], v[26:27], v[2:3] neg_lo:[0,1] neg_hi:[0,1]
	buffer_store_dword v3, off, s[0:3], 0 offset:84
	buffer_store_dword v2, off, s[0:3], 0 offset:80
	s_and_saveexec_b64 s[4:5], vcc
	s_cbranch_execz .LBB121_343
; %bb.342:
	buffer_load_dword v2, off, s[0:3], 0 offset:72
	buffer_load_dword v3, off, s[0:3], 0 offset:76
	s_waitcnt vmcnt(0)
	ds_write_b64 v175, v[2:3]
	buffer_store_dword v36, off, s[0:3], 0 offset:72
	buffer_store_dword v36, off, s[0:3], 0 offset:76
.LBB121_343:
	s_or_b64 exec, exec, s[4:5]
	s_waitcnt lgkmcnt(0)
	; wave barrier
	s_waitcnt lgkmcnt(0)
	buffer_load_dword v42, off, s[0:3], 0 offset:84
	buffer_load_dword v41, off, s[0:3], 0 offset:92
	;; [unrolled: 1-line block ×32, first 2 shown]
	ds_read_b128 v[22:25], v36 offset:544
	ds_read_b128 v[18:21], v36 offset:560
	;; [unrolled: 1-line block ×6, first 2 shown]
	buffer_load_dword v134, off, s[0:3], 0 offset:200
	buffer_load_dword v135, off, s[0:3], 0 offset:204
	;; [unrolled: 1-line block ×26, first 2 shown]
	v_cmp_lt_u32_e32 vcc, 8, v0
	s_waitcnt vmcnt(57) lgkmcnt(5)
	v_mul_f32_e32 v26, v22, v42
	s_waitcnt vmcnt(56)
	v_mul_f32_e32 v27, v24, v41
	s_waitcnt vmcnt(55) lgkmcnt(4)
	v_mul_f32_e32 v29, v20, v40
	s_waitcnt vmcnt(54) lgkmcnt(3)
	v_mul_f32_e32 v30, v14, v39
	s_waitcnt vmcnt(53)
	v_mul_f32_e32 v31, v16, v37
	s_waitcnt vmcnt(52)
	v_mul_f32_e32 v28, v18, v43
	s_waitcnt vmcnt(51) lgkmcnt(2)
	v_mul_f32_e32 v32, v10, v38
	s_waitcnt vmcnt(50)
	v_mul_f32_e32 v33, v12, v44
	s_waitcnt vmcnt(49) lgkmcnt(1)
	;; [unrolled: 4-line block ×3, first 2 shown]
	v_mul_f32_e32 v47, v2, v114
	s_waitcnt vmcnt(46)
	v_fmac_f32_e32 v28, v19, v115
	s_waitcnt vmcnt(45)
	v_fmac_f32_e32 v27, v25, v116
	;; [unrolled: 2-line block ×3, first 2 shown]
	v_add_f32_e32 v26, 0, v26
	v_add_f32_e32 v26, v26, v27
	;; [unrolled: 1-line block ×3, first 2 shown]
	s_waitcnt vmcnt(40)
	v_fmac_f32_e32 v29, v21, v121
	v_fmac_f32_e32 v30, v15, v120
	v_add_f32_e32 v26, v26, v29
	v_fmac_f32_e32 v31, v17, v119
	v_add_f32_e32 v26, v26, v30
	;; [unrolled: 2-line block ×3, first 2 shown]
	s_waitcnt vmcnt(36)
	v_fmac_f32_e32 v33, v13, v125
	v_add_f32_e32 v26, v26, v32
	v_fmac_f32_e32 v45, v7, v124
	v_add_f32_e32 v26, v26, v33
	;; [unrolled: 2-line block ×4, first 2 shown]
	s_waitcnt vmcnt(30)
	v_mul_f32_e32 v27, v4, v131
	v_add_f32_e32 v26, v26, v47
	s_waitcnt vmcnt(29)
	v_fmac_f32_e32 v27, v5, v132
	v_add_f32_e32 v45, v26, v27
	ds_read_b128 v[26:29], v36 offset:640
	buffer_load_dword v160, off, s[0:3], 0 offset:304
	buffer_load_dword v161, off, s[0:3], 0 offset:308
	ds_read_b128 v[30:33], v36 offset:656
	buffer_load_dword v162, off, s[0:3], 0 offset:312
	buffer_load_dword v163, off, s[0:3], 0 offset:316
	buffer_load_dword v164, off, s[0:3], 0 offset:320
	buffer_load_dword v165, off, s[0:3], 0 offset:324
	buffer_load_dword v166, off, s[0:3], 0 offset:328
	buffer_load_dword v167, off, s[0:3], 0 offset:332
	buffer_load_dword v168, off, s[0:3], 0 offset:336
	buffer_load_dword v169, off, s[0:3], 0 offset:340
	buffer_load_dword v216, off, s[0:3], 0 offset:344
	buffer_load_dword v217, off, s[0:3], 0 offset:348
	buffer_load_dword v218, off, s[0:3], 0 offset:352
	buffer_load_dword v219, off, s[0:3], 0 offset:356
	buffer_load_dword v220, off, s[0:3], 0 offset:360
	buffer_load_dword v221, off, s[0:3], 0 offset:364
	s_waitcnt vmcnt(44) lgkmcnt(1)
	v_mul_f32_e32 v46, v26, v133
	v_fmac_f32_e32 v46, v27, v130
	v_add_f32_e32 v45, v45, v46
	v_mul_f32_e32 v46, v28, v127
	v_fmac_f32_e32 v46, v29, v126
	v_add_f32_e32 v45, v45, v46
	s_waitcnt lgkmcnt(0)
	v_mul_f32_e32 v46, v30, v129
	v_fmac_f32_e32 v46, v31, v128
	v_add_f32_e32 v45, v45, v46
	buffer_load_dword v222, off, s[0:3], 0 offset:368
	buffer_load_dword v223, off, s[0:3], 0 offset:372
	ds_read_b128 v[46:49], v36 offset:672
	s_waitcnt vmcnt(42)
	v_mul_f32_e32 v50, v32, v135
	v_fmac_f32_e32 v50, v33, v134
	buffer_load_dword v224, off, s[0:3], 0 offset:376
	buffer_load_dword v225, off, s[0:3], 0 offset:380
	v_add_f32_e32 v45, v45, v50
	buffer_load_dword v226, off, s[0:3], 0 offset:384
	buffer_load_dword v227, off, s[0:3], 0 offset:388
	ds_read_b128 v[50:53], v36 offset:688
	s_waitcnt vmcnt(44) lgkmcnt(1)
	v_mul_f32_e32 v54, v46, v137
	v_fmac_f32_e32 v54, v47, v136
	v_add_f32_e32 v45, v45, v54
	s_waitcnt vmcnt(42)
	v_mul_f32_e32 v54, v48, v139
	v_fmac_f32_e32 v54, v49, v138
	v_add_f32_e32 v45, v45, v54
	s_waitcnt vmcnt(40) lgkmcnt(0)
	v_mul_f32_e32 v54, v50, v141
	v_fmac_f32_e32 v54, v51, v140
	buffer_load_dword v228, off, s[0:3], 0 offset:392
	buffer_load_dword v229, off, s[0:3], 0 offset:396
	v_add_f32_e32 v45, v45, v54
	ds_read_b128 v[54:57], v36 offset:704
	s_waitcnt vmcnt(40)
	v_mul_f32_e32 v58, v52, v143
	v_fmac_f32_e32 v58, v53, v142
	v_add_f32_e32 v45, v45, v58
	ds_read_b128 v[58:61], v36 offset:720
	s_waitcnt vmcnt(38) lgkmcnt(1)
	v_mul_f32_e32 v62, v54, v145
	v_fmac_f32_e32 v62, v55, v144
	v_add_f32_e32 v45, v45, v62
	s_waitcnt vmcnt(36)
	v_mul_f32_e32 v62, v56, v147
	v_fmac_f32_e32 v62, v57, v146
	v_add_f32_e32 v45, v45, v62
	s_waitcnt vmcnt(34) lgkmcnt(0)
	v_mul_f32_e32 v62, v58, v149
	v_fmac_f32_e32 v62, v59, v148
	v_add_f32_e32 v45, v45, v62
	ds_read_b128 v[62:65], v36 offset:736
	s_waitcnt vmcnt(32)
	v_mul_f32_e32 v66, v60, v151
	v_fmac_f32_e32 v66, v61, v150
	v_add_f32_e32 v45, v45, v66
	ds_read_b128 v[66:69], v36 offset:752
	s_waitcnt vmcnt(30) lgkmcnt(1)
	v_mul_f32_e32 v70, v62, v153
	v_fmac_f32_e32 v70, v63, v152
	v_add_f32_e32 v45, v45, v70
	s_waitcnt vmcnt(28)
	v_mul_f32_e32 v70, v64, v155
	v_fmac_f32_e32 v70, v65, v154
	v_add_f32_e32 v45, v45, v70
	s_waitcnt vmcnt(26) lgkmcnt(0)
	v_mul_f32_e32 v70, v66, v157
	v_fmac_f32_e32 v70, v67, v156
	v_add_f32_e32 v45, v45, v70
	ds_read_b128 v[70:73], v36 offset:768
	s_waitcnt vmcnt(24)
	v_mul_f32_e32 v74, v68, v159
	v_fmac_f32_e32 v74, v69, v158
	v_add_f32_e32 v45, v45, v74
	ds_read_b128 v[74:77], v36 offset:784
	v_mul_f32_e32 v23, v23, v42
	v_fma_f32 v22, v22, v117, -v23
	v_mul_f32_e32 v23, v25, v41
	v_add_f32_e32 v22, 0, v22
	v_fma_f32 v23, v24, v116, -v23
	v_mul_f32_e32 v19, v19, v43
	v_add_f32_e32 v22, v22, v23
	;; [unrolled: 3-line block ×3, first 2 shown]
	v_fma_f32 v19, v20, v121, -v19
	s_waitcnt vmcnt(22) lgkmcnt(1)
	v_mul_f32_e32 v78, v70, v161
	v_fmac_f32_e32 v78, v71, v160
	v_add_f32_e32 v45, v45, v78
	s_waitcnt vmcnt(20)
	v_mul_f32_e32 v78, v72, v163
	v_fmac_f32_e32 v78, v73, v162
	v_add_f32_e32 v45, v45, v78
	s_waitcnt vmcnt(18) lgkmcnt(0)
	v_mul_f32_e32 v78, v74, v165
	v_fmac_f32_e32 v78, v75, v164
	v_add_f32_e32 v45, v45, v78
	ds_read_b128 v[78:81], v36 offset:800
	s_waitcnt vmcnt(16)
	v_mul_f32_e32 v82, v76, v167
	v_fmac_f32_e32 v82, v77, v166
	v_add_f32_e32 v45, v45, v82
	ds_read_b128 v[82:85], v36 offset:816
	s_waitcnt vmcnt(14) lgkmcnt(1)
	v_mul_f32_e32 v86, v78, v169
	v_fmac_f32_e32 v86, v79, v168
	v_add_f32_e32 v45, v45, v86
	s_waitcnt vmcnt(12)
	v_mul_f32_e32 v86, v80, v217
	v_fmac_f32_e32 v86, v81, v216
	v_add_f32_e32 v45, v45, v86
	s_waitcnt vmcnt(10) lgkmcnt(0)
	v_mul_f32_e32 v86, v82, v219
	v_fmac_f32_e32 v86, v83, v218
	s_waitcnt vmcnt(8)
	v_mul_f32_e32 v90, v84, v221
	v_add_f32_e32 v45, v45, v86
	v_fmac_f32_e32 v90, v85, v220
	ds_read_b128 v[86:89], v36 offset:832
	v_add_f32_e32 v45, v45, v90
	ds_read_b128 v[90:93], v36 offset:848
	buffer_load_dword v97, off, s[0:3], 0 offset:420
	buffer_load_dword v96, off, s[0:3], 0 offset:416
	;; [unrolled: 1-line block ×16, first 2 shown]
	v_mul_f32_e32 v15, v15, v39
	v_add_f32_e32 v18, v18, v19
	v_fma_f32 v14, v14, v120, -v15
	v_mul_f32_e32 v15, v17, v37
	v_add_f32_e32 v14, v18, v14
	v_fma_f32 v15, v16, v119, -v15
	;; [unrolled: 3-line block ×8, first 2 shown]
	v_add_f32_e32 v2, v2, v3
	v_mul_f32_e32 v3, v27, v133
	v_fma_f32 v3, v26, v130, -v3
	v_add_f32_e32 v2, v2, v3
	v_mul_f32_e32 v3, v29, v127
	v_fma_f32 v3, v28, v126, -v3
	v_add_f32_e32 v2, v2, v3
	v_mul_f32_e32 v3, v31, v129
	v_fma_f32 v3, v30, v128, -v3
	v_add_f32_e32 v2, v2, v3
	v_mul_f32_e32 v3, v33, v135
	v_fma_f32 v3, v32, v134, -v3
	v_add_f32_e32 v2, v2, v3
	v_mul_f32_e32 v3, v47, v137
	v_fma_f32 v3, v46, v136, -v3
	v_add_f32_e32 v2, v2, v3
	v_mul_f32_e32 v3, v49, v139
	v_fma_f32 v3, v48, v138, -v3
	v_add_f32_e32 v2, v2, v3
	v_mul_f32_e32 v3, v51, v141
	v_fma_f32 v3, v50, v140, -v3
	v_add_f32_e32 v2, v2, v3
	v_mul_f32_e32 v3, v53, v143
	v_fma_f32 v3, v52, v142, -v3
	v_add_f32_e32 v2, v2, v3
	v_mul_f32_e32 v3, v55, v145
	v_fma_f32 v3, v54, v144, -v3
	v_add_f32_e32 v2, v2, v3
	v_mul_f32_e32 v3, v57, v147
	v_fma_f32 v3, v56, v146, -v3
	v_add_f32_e32 v2, v2, v3
	v_mul_f32_e32 v3, v59, v149
	v_fma_f32 v3, v58, v148, -v3
	v_add_f32_e32 v2, v2, v3
	v_mul_f32_e32 v3, v61, v151
	v_fma_f32 v3, v60, v150, -v3
	v_add_f32_e32 v2, v2, v3
	v_mul_f32_e32 v3, v63, v153
	v_fma_f32 v3, v62, v152, -v3
	v_add_f32_e32 v2, v2, v3
	v_mul_f32_e32 v3, v65, v155
	v_fma_f32 v3, v64, v154, -v3
	v_add_f32_e32 v2, v2, v3
	v_mul_f32_e32 v3, v67, v157
	v_fma_f32 v3, v66, v156, -v3
	v_add_f32_e32 v2, v2, v3
	v_mul_f32_e32 v3, v69, v159
	v_fma_f32 v3, v68, v158, -v3
	v_add_f32_e32 v2, v2, v3
	v_mul_f32_e32 v3, v71, v161
	v_fma_f32 v3, v70, v160, -v3
	v_add_f32_e32 v2, v2, v3
	v_mul_f32_e32 v3, v73, v163
	v_fma_f32 v3, v72, v162, -v3
	v_add_f32_e32 v2, v2, v3
	v_mul_f32_e32 v3, v75, v165
	v_fma_f32 v3, v74, v164, -v3
	v_add_f32_e32 v2, v2, v3
	v_mul_f32_e32 v3, v77, v167
	v_fma_f32 v3, v76, v166, -v3
	v_add_f32_e32 v2, v2, v3
	v_mul_f32_e32 v3, v79, v169
	v_fma_f32 v3, v78, v168, -v3
	v_add_f32_e32 v2, v2, v3
	v_mul_f32_e32 v3, v81, v217
	v_fma_f32 v3, v80, v216, -v3
	v_add_f32_e32 v2, v2, v3
	v_mul_f32_e32 v3, v83, v219
	v_fma_f32 v3, v82, v218, -v3
	v_add_f32_e32 v2, v2, v3
	v_mul_f32_e32 v3, v85, v221
	v_fma_f32 v3, v84, v220, -v3
	v_add_f32_e32 v2, v2, v3
	s_waitcnt vmcnt(22) lgkmcnt(1)
	v_mul_f32_e32 v3, v87, v223
	v_fma_f32 v3, v86, v222, -v3
	v_add_f32_e32 v2, v2, v3
	s_waitcnt vmcnt(20)
	v_mul_f32_e32 v3, v89, v225
	v_mul_f32_e32 v95, v86, v223
	v_fma_f32 v3, v88, v224, -v3
	v_fmac_f32_e32 v95, v87, v222
	v_add_f32_e32 v44, v2, v3
	s_waitcnt vmcnt(18) lgkmcnt(0)
	v_mul_f32_e32 v2, v91, v227
	v_add_f32_e32 v45, v45, v95
	v_mul_f32_e32 v95, v88, v225
	v_fma_f32 v94, v90, v226, -v2
	s_waitcnt vmcnt(16)
	v_mul_f32_e32 v2, v93, v229
	v_fmac_f32_e32 v95, v89, v224
	v_fma_f32 v102, v92, v228, -v2
	ds_read_b128 v[2:5], v36 offset:864
	ds_read_b128 v[6:9], v36 offset:880
	;; [unrolled: 1-line block ×4, first 2 shown]
	v_add_f32_e32 v45, v45, v95
	v_mul_f32_e32 v95, v90, v227
	s_waitcnt vmcnt(11)
	v_mov_b32_e32 v20, v101
	v_fmac_f32_e32 v95, v91, v226
	v_mul_f32_e32 v103, v92, v229
	s_waitcnt lgkmcnt(3)
	v_pk_mul_f32 v[20:21], v[2:3], v[20:21] op_sel_hi:[1,0]
	v_fmac_f32_e32 v103, v93, v228
	v_pk_add_f32 v[18:19], v[44:45], v[94:95]
	s_waitcnt vmcnt(10)
	v_pk_fma_f32 v[22:23], v[2:3], v[100:101], v[20:21] op_sel:[0,0,1] op_sel_hi:[1,1,0] neg_lo:[0,0,1] neg_hi:[0,0,1]
	v_pk_fma_f32 v[2:3], v[2:3], v[100:101], v[20:21] op_sel:[0,0,1] op_sel_hi:[1,0,0]
	v_pk_add_f32 v[18:19], v[18:19], v[102:103]
	v_mov_b32_e32 v23, v3
	v_pk_add_f32 v[2:3], v[18:19], v[22:23]
	v_mov_b32_e32 v18, v99
	v_pk_mul_f32 v[18:19], v[4:5], v[18:19] op_sel_hi:[1,0]
	v_pk_fma_f32 v[20:21], v[4:5], v[98:99], v[18:19] op_sel:[0,0,1] op_sel_hi:[1,1,0] neg_lo:[0,0,1] neg_hi:[0,0,1]
	v_pk_fma_f32 v[4:5], v[4:5], v[98:99], v[18:19] op_sel:[0,0,1] op_sel_hi:[1,0,0]
	v_mov_b32_e32 v4, v97
	v_mov_b32_e32 v21, v5
	s_waitcnt lgkmcnt(2)
	v_pk_mul_f32 v[4:5], v[6:7], v[4:5] op_sel_hi:[1,0]
	v_pk_fma_f32 v[18:19], v[6:7], v[96:97], v[4:5] op_sel:[0,0,1] op_sel_hi:[1,1,0] neg_lo:[0,0,1] neg_hi:[0,0,1]
	v_pk_fma_f32 v[4:5], v[6:7], v[96:97], v[4:5] op_sel:[0,0,1] op_sel_hi:[1,0,0]
	s_waitcnt vmcnt(3)
	v_mov_b32_e32 v4, v111
	v_mov_b32_e32 v19, v5
	v_pk_mul_f32 v[4:5], v[8:9], v[4:5] op_sel_hi:[1,0]
	s_waitcnt vmcnt(2)
	v_pk_fma_f32 v[6:7], v[8:9], v[110:111], v[4:5] op_sel:[0,0,1] op_sel_hi:[1,1,0] neg_lo:[0,0,1] neg_hi:[0,0,1]
	v_pk_fma_f32 v[4:5], v[8:9], v[110:111], v[4:5] op_sel:[0,0,1] op_sel_hi:[1,0,0]
	v_pk_add_f32 v[2:3], v[2:3], v[20:21]
	v_mov_b32_e32 v4, v109
	v_pk_add_f32 v[2:3], v[2:3], v[18:19]
	v_mov_b32_e32 v7, v5
	s_waitcnt lgkmcnt(1)
	v_pk_mul_f32 v[4:5], v[10:11], v[4:5] op_sel_hi:[1,0]
	v_pk_add_f32 v[2:3], v[2:3], v[6:7]
	v_pk_fma_f32 v[6:7], v[10:11], v[108:109], v[4:5] op_sel:[0,0,1] op_sel_hi:[1,1,0] neg_lo:[0,0,1] neg_hi:[0,0,1]
	v_pk_fma_f32 v[4:5], v[10:11], v[108:109], v[4:5] op_sel:[0,0,1] op_sel_hi:[1,0,0]
	v_mov_b32_e32 v4, v107
	v_mov_b32_e32 v7, v5
	v_pk_mul_f32 v[4:5], v[12:13], v[4:5] op_sel_hi:[1,0]
	v_pk_add_f32 v[2:3], v[2:3], v[6:7]
	v_pk_fma_f32 v[6:7], v[12:13], v[106:107], v[4:5] op_sel:[0,0,1] op_sel_hi:[1,1,0] neg_lo:[0,0,1] neg_hi:[0,0,1]
	v_pk_fma_f32 v[4:5], v[12:13], v[106:107], v[4:5] op_sel:[0,0,1] op_sel_hi:[1,0,0]
	v_mov_b32_e32 v4, v105
	v_mov_b32_e32 v7, v5
	s_waitcnt lgkmcnt(0)
	v_pk_mul_f32 v[4:5], v[14:15], v[4:5] op_sel_hi:[1,0]
	v_pk_add_f32 v[2:3], v[2:3], v[6:7]
	v_pk_fma_f32 v[6:7], v[14:15], v[104:105], v[4:5] op_sel:[0,0,1] op_sel_hi:[1,1,0] neg_lo:[0,0,1] neg_hi:[0,0,1]
	v_pk_fma_f32 v[4:5], v[14:15], v[104:105], v[4:5] op_sel:[0,0,1] op_sel_hi:[1,0,0]
	s_waitcnt vmcnt(1)
	v_mov_b32_e32 v4, v113
	v_mov_b32_e32 v7, v5
	v_pk_mul_f32 v[4:5], v[16:17], v[4:5] op_sel_hi:[1,0]
	v_pk_add_f32 v[2:3], v[2:3], v[6:7]
	s_waitcnt vmcnt(0)
	v_pk_fma_f32 v[6:7], v[16:17], v[112:113], v[4:5] op_sel:[0,0,1] op_sel_hi:[1,1,0] neg_lo:[0,0,1] neg_hi:[0,0,1]
	v_pk_fma_f32 v[4:5], v[16:17], v[112:113], v[4:5] op_sel:[0,0,1] op_sel_hi:[1,0,0]
	v_mov_b32_e32 v7, v5
	v_pk_add_f32 v[2:3], v[2:3], v[6:7]
	v_pk_add_f32 v[2:3], v[34:35], v[2:3] neg_lo:[0,1] neg_hi:[0,1]
	buffer_store_dword v3, off, s[0:3], 0 offset:76
	buffer_store_dword v2, off, s[0:3], 0 offset:72
	s_and_saveexec_b64 s[4:5], vcc
	s_cbranch_execz .LBB121_345
; %bb.344:
	buffer_load_dword v2, off, s[0:3], 0 offset:64
	buffer_load_dword v3, off, s[0:3], 0 offset:68
	v_mov_b32_e32 v4, 0
	buffer_store_dword v4, off, s[0:3], 0 offset:64
	buffer_store_dword v4, off, s[0:3], 0 offset:68
	s_waitcnt vmcnt(2)
	ds_write_b64 v175, v[2:3]
.LBB121_345:
	s_or_b64 exec, exec, s[4:5]
	v_mov_b32_e32 v226, 0
	s_waitcnt lgkmcnt(0)
	; wave barrier
	s_waitcnt lgkmcnt(0)
	ds_read2_b64 v[2:5], v226 offset0:67 offset1:68
	buffer_load_dword v86, off, s[0:3], 0 offset:64
	buffer_load_dword v87, off, s[0:3], 0 offset:68
	;; [unrolled: 1-line block ×16, first 2 shown]
	v_cmp_lt_u32_e32 vcc, 7, v0
	s_waitcnt vmcnt(12) lgkmcnt(0)
	v_mul_f32_e32 v6, v2, v100
	v_fmac_f32_e32 v6, v3, v88
	s_waitcnt vmcnt(10)
	v_mul_f32_e32 v7, v4, v102
	v_add_f32_e32 v6, 0, v6
	v_fmac_f32_e32 v7, v5, v90
	v_add_f32_e32 v10, v6, v7
	ds_read2_b64 v[6:9], v226 offset0:69 offset1:70
	v_mul_f32_e32 v3, v3, v100
	v_fma_f32 v2, v2, v88, -v3
	v_mul_f32_e32 v3, v5, v102
	v_add_f32_e32 v2, 0, v2
	s_waitcnt vmcnt(8) lgkmcnt(0)
	v_mul_f32_e32 v11, v6, v104
	v_fmac_f32_e32 v11, v7, v94
	v_add_f32_e32 v10, v10, v11
	s_waitcnt vmcnt(6)
	v_mul_f32_e32 v11, v8, v106
	v_fmac_f32_e32 v11, v9, v101
	v_add_f32_e32 v14, v10, v11
	ds_read2_b64 v[10:13], v226 offset0:71 offset1:72
	v_fma_f32 v3, v4, v90, -v3
	v_add_f32_e32 v2, v2, v3
	v_mul_f32_e32 v3, v7, v104
	v_fma_f32 v3, v6, v94, -v3
	s_waitcnt vmcnt(4) lgkmcnt(0)
	v_mul_f32_e32 v15, v10, v108
	v_fmac_f32_e32 v15, v11, v103
	v_add_f32_e32 v14, v14, v15
	s_waitcnt vmcnt(2)
	v_mul_f32_e32 v15, v12, v109
	v_fmac_f32_e32 v15, v13, v105
	v_add_f32_e32 v18, v14, v15
	ds_read2_b64 v[14:17], v226 offset0:73 offset1:74
	buffer_load_dword v111, off, s[0:3], 0 offset:128
	buffer_load_dword v112, off, s[0:3], 0 offset:132
	v_add_f32_e32 v2, v2, v3
	v_mul_f32_e32 v3, v9, v106
	v_fma_f32 v3, v8, v101, -v3
	s_waitcnt vmcnt(2) lgkmcnt(0)
	v_mul_f32_e32 v19, v14, v110
	v_fmac_f32_e32 v19, v15, v107
	v_add_f32_e32 v18, v18, v19
	v_add_f32_e32 v2, v2, v3
	v_mul_f32_e32 v3, v11, v108
	v_fma_f32 v3, v10, v103, -v3
	v_add_f32_e32 v2, v2, v3
	v_mul_f32_e32 v3, v13, v109
	v_fma_f32 v3, v12, v105, -v3
	;; [unrolled: 3-line block ×3, first 2 shown]
	v_add_f32_e32 v2, v2, v3
	s_waitcnt vmcnt(0)
	v_mul_f32_e32 v19, v16, v112
	v_fmac_f32_e32 v19, v17, v111
	v_add_f32_e32 v22, v18, v19
	ds_read2_b64 v[18:21], v226 offset0:75 offset1:76
	buffer_load_dword v113, off, s[0:3], 0 offset:136
	buffer_load_dword v114, off, s[0:3], 0 offset:140
	;; [unrolled: 1-line block ×4, first 2 shown]
	v_mul_f32_e32 v3, v17, v112
	v_fma_f32 v3, v16, v111, -v3
	v_add_f32_e32 v2, v2, v3
	s_waitcnt vmcnt(2) lgkmcnt(0)
	v_mul_f32_e32 v23, v18, v114
	v_fmac_f32_e32 v23, v19, v113
	v_add_f32_e32 v22, v22, v23
	s_waitcnt vmcnt(0)
	v_mul_f32_e32 v23, v20, v116
	v_fmac_f32_e32 v23, v21, v115
	v_add_f32_e32 v26, v22, v23
	ds_read2_b64 v[22:25], v226 offset0:77 offset1:78
	buffer_load_dword v117, off, s[0:3], 0 offset:152
	buffer_load_dword v118, off, s[0:3], 0 offset:156
	;; [unrolled: 1-line block ×4, first 2 shown]
	v_mul_f32_e32 v3, v19, v114
	v_fma_f32 v3, v18, v113, -v3
	v_add_f32_e32 v2, v2, v3
	v_mul_f32_e32 v3, v21, v116
	v_fma_f32 v3, v20, v115, -v3
	v_add_f32_e32 v2, v2, v3
	s_waitcnt vmcnt(2) lgkmcnt(0)
	v_mul_f32_e32 v27, v22, v118
	v_fmac_f32_e32 v27, v23, v117
	v_add_f32_e32 v26, v26, v27
	s_waitcnt vmcnt(0)
	v_mul_f32_e32 v27, v24, v120
	v_fmac_f32_e32 v27, v25, v119
	v_add_f32_e32 v30, v26, v27
	ds_read2_b64 v[26:29], v226 offset0:79 offset1:80
	buffer_load_dword v121, off, s[0:3], 0 offset:168
	buffer_load_dword v122, off, s[0:3], 0 offset:172
	;; [unrolled: 1-line block ×4, first 2 shown]
	v_mul_f32_e32 v3, v23, v118
	v_fma_f32 v3, v22, v117, -v3
	v_add_f32_e32 v2, v2, v3
	v_mul_f32_e32 v3, v25, v120
	v_fma_f32 v3, v24, v119, -v3
	v_add_f32_e32 v2, v2, v3
	s_waitcnt vmcnt(2) lgkmcnt(0)
	v_mul_f32_e32 v31, v26, v122
	v_fmac_f32_e32 v31, v27, v121
	v_add_f32_e32 v30, v30, v31
	s_waitcnt vmcnt(0)
	v_mul_f32_e32 v31, v28, v124
	v_fmac_f32_e32 v31, v29, v123
	v_add_f32_e32 v34, v30, v31
	ds_read2_b64 v[30:33], v226 offset0:81 offset1:82
	buffer_load_dword v125, off, s[0:3], 0 offset:184
	buffer_load_dword v126, off, s[0:3], 0 offset:188
	buffer_load_dword v127, off, s[0:3], 0 offset:192
	buffer_load_dword v128, off, s[0:3], 0 offset:196
	ds_read2_b64 v[38:41], v226 offset0:83 offset1:84
	buffer_load_dword v129, off, s[0:3], 0 offset:200
	buffer_load_dword v130, off, s[0:3], 0 offset:204
	buffer_load_dword v131, off, s[0:3], 0 offset:208
	buffer_load_dword v227, off, s[0:3], 0 offset:212
	;; [unrolled: 5-line block ×13, first 2 shown]
	v_mul_f32_e32 v3, v27, v122
	v_fma_f32 v3, v26, v121, -v3
	v_add_f32_e32 v2, v2, v3
	v_mul_f32_e32 v3, v29, v124
	v_fma_f32 v3, v28, v123, -v3
	v_add_f32_e32 v2, v2, v3
	s_waitcnt vmcnt(50) lgkmcnt(12)
	v_mul_f32_e32 v35, v30, v126
	v_fmac_f32_e32 v35, v31, v125
	v_add_f32_e32 v34, v34, v35
	s_waitcnt vmcnt(48)
	v_mul_f32_e32 v35, v32, v128
	v_fmac_f32_e32 v35, v33, v127
	v_add_f32_e32 v34, v34, v35
	s_waitcnt vmcnt(46) lgkmcnt(11)
	v_mul_f32_e32 v35, v38, v130
	v_fmac_f32_e32 v35, v39, v129
	v_add_f32_e32 v34, v34, v35
	s_waitcnt vmcnt(44)
	v_mul_f32_e32 v35, v40, v227
	v_fmac_f32_e32 v35, v41, v131
	;; [unrolled: 8-line block ×12, first 2 shown]
	v_add_f32_e32 v34, v34, v35
	s_waitcnt vmcnt(2) lgkmcnt(0)
	v_mul_f32_e32 v35, v82, v168
	v_fmac_f32_e32 v35, v83, v167
	v_add_f32_e32 v89, v34, v35
	ds_read2_b64 v[34:37], v226 offset0:107 offset1:108
	buffer_load_dword v234, off, s[0:3], 0 offset:392
	buffer_load_dword v235, off, s[0:3], 0 offset:396
	;; [unrolled: 1-line block ×18, first 2 shown]
	v_mul_f32_e32 v3, v31, v126
	v_fma_f32 v3, v30, v125, -v3
	v_add_f32_e32 v2, v2, v3
	v_mul_f32_e32 v3, v33, v128
	v_fma_f32 v3, v32, v127, -v3
	v_add_f32_e32 v2, v2, v3
	;; [unrolled: 3-line block ×25, first 2 shown]
	s_waitcnt vmcnt(18)
	v_mul_f32_e32 v2, v85, v233
	s_waitcnt vmcnt(15)
	v_mov_b32_e32 v18, v93
	v_mul_f32_e32 v91, v84, v233
	v_fma_f32 v90, v84, v169, -v2
	s_waitcnt lgkmcnt(0)
	v_mul_f32_e32 v2, v35, v235
	v_pk_mul_f32 v[18:19], v[36:37], v[18:19] op_sel_hi:[1,0]
	v_fmac_f32_e32 v91, v85, v169
	v_mul_f32_e32 v95, v34, v235
	v_fma_f32 v94, v34, v234, -v2
	ds_read2_b64 v[2:5], v226 offset0:109 offset1:110
	ds_read2_b64 v[6:9], v226 offset0:111 offset1:112
	;; [unrolled: 1-line block ×3, first 2 shown]
	ds_read_b64 v[14:15], v226 offset:920
	s_waitcnt vmcnt(14)
	v_pk_fma_f32 v[20:21], v[36:37], v[92:93], v[18:19] op_sel:[0,0,1] op_sel_hi:[1,1,0] neg_lo:[0,0,1] neg_hi:[0,0,1]
	v_pk_fma_f32 v[18:19], v[36:37], v[92:93], v[18:19] op_sel:[0,0,1] op_sel_hi:[1,0,0]
	v_fmac_f32_e32 v95, v35, v234
	v_pk_add_f32 v[16:17], v[88:89], v[90:91]
	s_waitcnt vmcnt(13)
	v_mov_b32_e32 v18, v225
	v_pk_add_f32 v[16:17], v[16:17], v[94:95]
	v_mov_b32_e32 v21, v19
	s_waitcnt lgkmcnt(3)
	v_pk_mul_f32 v[18:19], v[2:3], v[18:19] op_sel_hi:[1,0]
	v_pk_add_f32 v[16:17], v[16:17], v[20:21]
	s_waitcnt vmcnt(12)
	v_pk_fma_f32 v[20:21], v[2:3], v[224:225], v[18:19] op_sel:[0,0,1] op_sel_hi:[1,1,0] neg_lo:[0,0,1] neg_hi:[0,0,1]
	v_pk_fma_f32 v[2:3], v[2:3], v[224:225], v[18:19] op_sel:[0,0,1] op_sel_hi:[1,0,0]
	v_mov_b32_e32 v21, v3
	v_pk_add_f32 v[2:3], v[16:17], v[20:21]
	s_waitcnt vmcnt(11)
	v_mov_b32_e32 v16, v223
	v_pk_mul_f32 v[16:17], v[4:5], v[16:17] op_sel_hi:[1,0]
	s_waitcnt vmcnt(10)
	v_pk_fma_f32 v[18:19], v[4:5], v[222:223], v[16:17] op_sel:[0,0,1] op_sel_hi:[1,1,0] neg_lo:[0,0,1] neg_hi:[0,0,1]
	v_pk_fma_f32 v[4:5], v[4:5], v[222:223], v[16:17] op_sel:[0,0,1] op_sel_hi:[1,0,0]
	s_waitcnt vmcnt(9)
	v_mov_b32_e32 v4, v221
	v_mov_b32_e32 v19, v5
	s_waitcnt lgkmcnt(2)
	v_pk_mul_f32 v[4:5], v[6:7], v[4:5] op_sel_hi:[1,0]
	s_waitcnt vmcnt(8)
	v_pk_fma_f32 v[16:17], v[6:7], v[220:221], v[4:5] op_sel:[0,0,1] op_sel_hi:[1,1,0] neg_lo:[0,0,1] neg_hi:[0,0,1]
	v_pk_fma_f32 v[4:5], v[6:7], v[220:221], v[4:5] op_sel:[0,0,1] op_sel_hi:[1,0,0]
	s_waitcnt vmcnt(7)
	v_mov_b32_e32 v4, v219
	v_mov_b32_e32 v17, v5
	v_pk_mul_f32 v[4:5], v[8:9], v[4:5] op_sel_hi:[1,0]
	s_waitcnt vmcnt(6)
	v_pk_fma_f32 v[6:7], v[8:9], v[218:219], v[4:5] op_sel:[0,0,1] op_sel_hi:[1,1,0] neg_lo:[0,0,1] neg_hi:[0,0,1]
	v_pk_fma_f32 v[4:5], v[8:9], v[218:219], v[4:5] op_sel:[0,0,1] op_sel_hi:[1,0,0]
	v_pk_add_f32 v[2:3], v[2:3], v[18:19]
	s_waitcnt vmcnt(5)
	v_mov_b32_e32 v4, v217
	v_pk_add_f32 v[2:3], v[2:3], v[16:17]
	v_mov_b32_e32 v7, v5
	s_waitcnt lgkmcnt(1)
	v_pk_mul_f32 v[4:5], v[10:11], v[4:5] op_sel_hi:[1,0]
	v_pk_add_f32 v[2:3], v[2:3], v[6:7]
	s_waitcnt vmcnt(4)
	v_pk_fma_f32 v[6:7], v[10:11], v[216:217], v[4:5] op_sel:[0,0,1] op_sel_hi:[1,1,0] neg_lo:[0,0,1] neg_hi:[0,0,1]
	v_pk_fma_f32 v[4:5], v[10:11], v[216:217], v[4:5] op_sel:[0,0,1] op_sel_hi:[1,0,0]
	s_waitcnt vmcnt(3)
	v_mov_b32_e32 v4, v99
	v_mov_b32_e32 v7, v5
	v_pk_mul_f32 v[4:5], v[12:13], v[4:5] op_sel_hi:[1,0]
	v_pk_add_f32 v[2:3], v[2:3], v[6:7]
	s_waitcnt vmcnt(2)
	v_pk_fma_f32 v[6:7], v[12:13], v[98:99], v[4:5] op_sel:[0,0,1] op_sel_hi:[1,1,0] neg_lo:[0,0,1] neg_hi:[0,0,1]
	v_pk_fma_f32 v[4:5], v[12:13], v[98:99], v[4:5] op_sel:[0,0,1] op_sel_hi:[1,0,0]
	s_waitcnt vmcnt(1)
	v_mov_b32_e32 v4, v97
	v_mov_b32_e32 v7, v5
	s_waitcnt lgkmcnt(0)
	v_pk_mul_f32 v[4:5], v[14:15], v[4:5] op_sel_hi:[1,0]
	v_pk_add_f32 v[2:3], v[2:3], v[6:7]
	s_waitcnt vmcnt(0)
	v_pk_fma_f32 v[6:7], v[14:15], v[96:97], v[4:5] op_sel:[0,0,1] op_sel_hi:[1,1,0] neg_lo:[0,0,1] neg_hi:[0,0,1]
	v_pk_fma_f32 v[4:5], v[14:15], v[96:97], v[4:5] op_sel:[0,0,1] op_sel_hi:[1,0,0]
	v_mov_b32_e32 v7, v5
	v_pk_add_f32 v[2:3], v[2:3], v[6:7]
	v_pk_add_f32 v[2:3], v[86:87], v[2:3] neg_lo:[0,1] neg_hi:[0,1]
	buffer_store_dword v3, off, s[0:3], 0 offset:68
	buffer_store_dword v2, off, s[0:3], 0 offset:64
	s_and_saveexec_b64 s[4:5], vcc
	s_cbranch_execz .LBB121_347
; %bb.346:
	buffer_load_dword v2, off, s[0:3], 0 offset:56
	buffer_load_dword v3, off, s[0:3], 0 offset:60
	s_waitcnt vmcnt(0)
	ds_write_b64 v175, v[2:3]
	buffer_store_dword v226, off, s[0:3], 0 offset:56
	buffer_store_dword v226, off, s[0:3], 0 offset:60
.LBB121_347:
	s_or_b64 exec, exec, s[4:5]
	s_waitcnt lgkmcnt(0)
	; wave barrier
	s_waitcnt lgkmcnt(0)
	buffer_load_dword v41, off, s[0:3], 0 offset:68
	buffer_load_dword v40, off, s[0:3], 0 offset:76
	;; [unrolled: 1-line block ×32, first 2 shown]
	ds_read_b128 v[22:25], v226 offset:528
	ds_read_b128 v[18:21], v226 offset:544
	;; [unrolled: 1-line block ×6, first 2 shown]
	buffer_load_dword v141, off, s[0:3], 0 offset:184
	buffer_load_dword v142, off, s[0:3], 0 offset:188
	;; [unrolled: 1-line block ×20, first 2 shown]
	v_cmp_lt_u32_e32 vcc, 6, v0
	s_waitcnt vmcnt(51) lgkmcnt(5)
	v_mul_f32_e32 v26, v22, v41
	s_waitcnt vmcnt(50)
	v_mul_f32_e32 v27, v24, v40
	s_waitcnt vmcnt(49) lgkmcnt(4)
	v_mul_f32_e32 v29, v20, v39
	s_waitcnt vmcnt(48) lgkmcnt(3)
	v_mul_f32_e32 v30, v14, v38
	s_waitcnt vmcnt(47)
	v_mul_f32_e32 v31, v16, v37
	s_waitcnt vmcnt(46) lgkmcnt(2)
	v_mul_f32_e32 v32, v10, v36
	s_waitcnt vmcnt(45)
	v_mul_f32_e32 v28, v18, v42
	s_waitcnt vmcnt(44)
	v_mul_f32_e32 v33, v12, v43
	s_waitcnt vmcnt(43) lgkmcnt(1)
	v_mul_f32_e32 v48, v6, v44
	s_waitcnt vmcnt(42)
	v_mul_f32_e32 v49, v8, v45
	s_waitcnt vmcnt(41) lgkmcnt(0)
	v_mul_f32_e32 v50, v2, v46
	s_waitcnt vmcnt(40)
	v_mul_f32_e32 v51, v4, v47
	s_waitcnt vmcnt(39)
	v_fmac_f32_e32 v28, v19, v106
	s_waitcnt vmcnt(38)
	v_fmac_f32_e32 v27, v25, v108
	;; [unrolled: 2-line block ×3, first 2 shown]
	v_add_f32_e32 v26, 0, v26
	v_add_f32_e32 v26, v26, v27
	;; [unrolled: 1-line block ×3, first 2 shown]
	s_waitcnt vmcnt(33)
	v_fmac_f32_e32 v29, v21, v129
	v_fmac_f32_e32 v30, v15, v128
	v_add_f32_e32 v26, v26, v29
	v_fmac_f32_e32 v31, v17, v127
	v_add_f32_e32 v26, v26, v30
	;; [unrolled: 2-line block ×3, first 2 shown]
	s_waitcnt vmcnt(29)
	v_fmac_f32_e32 v33, v13, v133
	v_add_f32_e32 v26, v26, v32
	v_fmac_f32_e32 v48, v7, v132
	v_add_f32_e32 v26, v26, v33
	;; [unrolled: 2-line block ×4, first 2 shown]
	v_add_f32_e32 v30, v26, v50
	ds_read_b128 v[26:29], v226 offset:624
	buffer_load_dword v161, off, s[0:3], 0 offset:264
	buffer_load_dword v162, off, s[0:3], 0 offset:268
	;; [unrolled: 1-line block ×4, first 2 shown]
	s_waitcnt vmcnt(28)
	v_fmac_f32_e32 v51, v5, v138
	v_add_f32_e32 v48, v30, v51
	ds_read_b128 v[30:33], v226 offset:640
	buffer_load_dword v165, off, s[0:3], 0 offset:280
	buffer_load_dword v166, off, s[0:3], 0 offset:284
	;; [unrolled: 1-line block ×12, first 2 shown]
	s_waitcnt vmcnt(39) lgkmcnt(1)
	v_mul_f32_e32 v49, v26, v139
	v_fmac_f32_e32 v49, v27, v137
	buffer_load_dword v223, off, s[0:3], 0 offset:328
	buffer_load_dword v224, off, s[0:3], 0 offset:332
	v_add_f32_e32 v48, v48, v49
	s_waitcnt vmcnt(40)
	v_mul_f32_e32 v49, v28, v140
	v_fmac_f32_e32 v49, v29, v136
	buffer_load_dword v225, off, s[0:3], 0 offset:336
	buffer_load_dword v227, off, s[0:3], 0 offset:340
	v_add_f32_e32 v48, v48, v49
	s_waitcnt lgkmcnt(0)
	v_mul_f32_e32 v49, v30, v135
	v_fmac_f32_e32 v49, v31, v134
	v_add_f32_e32 v52, v48, v49
	ds_read_b128 v[48:51], v226 offset:656
	buffer_load_dword v228, off, s[0:3], 0 offset:344
	buffer_load_dword v229, off, s[0:3], 0 offset:348
	s_waitcnt vmcnt(40)
	v_mul_f32_e32 v53, v32, v142
	v_fmac_f32_e32 v53, v33, v141
	v_add_f32_e32 v56, v52, v53
	ds_read_b128 v[52:55], v226 offset:672
	buffer_load_dword v230, off, s[0:3], 0 offset:352
	buffer_load_dword v231, off, s[0:3], 0 offset:356
	;; [unrolled: 1-line block ×8, first 2 shown]
	s_waitcnt vmcnt(46) lgkmcnt(1)
	v_mul_f32_e32 v57, v48, v144
	v_fmac_f32_e32 v57, v49, v143
	v_add_f32_e32 v56, v56, v57
	s_waitcnt vmcnt(44)
	v_mul_f32_e32 v57, v50, v146
	v_fmac_f32_e32 v57, v51, v145
	v_add_f32_e32 v56, v56, v57
	s_waitcnt vmcnt(42) lgkmcnt(0)
	v_mul_f32_e32 v57, v52, v148
	v_fmac_f32_e32 v57, v53, v147
	v_add_f32_e32 v60, v56, v57
	buffer_load_dword v238, off, s[0:3], 0 offset:384
	buffer_load_dword v239, off, s[0:3], 0 offset:388
	;; [unrolled: 1-line block ×4, first 2 shown]
	ds_read_b128 v[56:59], v226 offset:688
	s_waitcnt vmcnt(44)
	v_mul_f32_e32 v61, v54, v150
	v_fmac_f32_e32 v61, v55, v149
	v_add_f32_e32 v64, v60, v61
	ds_read_b128 v[60:63], v226 offset:704
	s_waitcnt vmcnt(42) lgkmcnt(1)
	v_mul_f32_e32 v65, v56, v152
	v_fmac_f32_e32 v65, v57, v151
	v_add_f32_e32 v64, v64, v65
	s_waitcnt vmcnt(40)
	v_mul_f32_e32 v65, v58, v154
	v_fmac_f32_e32 v65, v59, v153
	v_add_f32_e32 v64, v64, v65
	s_waitcnt vmcnt(38) lgkmcnt(0)
	v_mul_f32_e32 v65, v60, v156
	v_fmac_f32_e32 v65, v61, v155
	v_add_f32_e32 v68, v64, v65
	ds_read_b128 v[64:67], v226 offset:720
	s_waitcnt vmcnt(36)
	v_mul_f32_e32 v69, v62, v158
	v_fmac_f32_e32 v69, v63, v157
	v_add_f32_e32 v72, v68, v69
	ds_read_b128 v[68:71], v226 offset:736
	s_waitcnt vmcnt(34) lgkmcnt(1)
	v_mul_f32_e32 v73, v64, v160
	v_fmac_f32_e32 v73, v65, v159
	v_add_f32_e32 v72, v72, v73
	v_mul_f32_e32 v23, v23, v41
	v_fma_f32 v22, v22, v110, -v23
	v_mul_f32_e32 v23, v25, v40
	v_add_f32_e32 v22, 0, v22
	v_fma_f32 v23, v24, v108, -v23
	v_mul_f32_e32 v19, v19, v42
	v_add_f32_e32 v22, v22, v23
	v_fma_f32 v18, v18, v106, -v19
	v_mul_f32_e32 v19, v21, v39
	v_add_f32_e32 v18, v22, v18
	v_fma_f32 v19, v20, v129, -v19
	v_mul_f32_e32 v15, v15, v38
	v_add_f32_e32 v18, v18, v19
	v_fma_f32 v14, v14, v128, -v15
	v_mul_f32_e32 v15, v17, v37
	v_add_f32_e32 v14, v18, v14
	s_waitcnt vmcnt(32)
	v_mul_f32_e32 v73, v66, v162
	v_fmac_f32_e32 v73, v67, v161
	v_add_f32_e32 v72, v72, v73
	s_waitcnt vmcnt(30) lgkmcnt(0)
	v_mul_f32_e32 v73, v68, v164
	v_fmac_f32_e32 v73, v69, v163
	v_add_f32_e32 v76, v72, v73
	ds_read_b128 v[72:75], v226 offset:752
	s_waitcnt vmcnt(28)
	v_mul_f32_e32 v77, v70, v166
	v_fmac_f32_e32 v77, v71, v165
	v_add_f32_e32 v80, v76, v77
	ds_read_b128 v[76:79], v226 offset:768
	s_waitcnt vmcnt(26) lgkmcnt(1)
	v_mul_f32_e32 v81, v72, v168
	v_fmac_f32_e32 v81, v73, v167
	v_add_f32_e32 v80, v80, v81
	s_waitcnt vmcnt(24)
	v_mul_f32_e32 v81, v74, v216
	v_fmac_f32_e32 v81, v75, v169
	v_add_f32_e32 v80, v80, v81
	s_waitcnt vmcnt(22) lgkmcnt(0)
	v_mul_f32_e32 v81, v76, v218
	v_fmac_f32_e32 v81, v77, v217
	v_add_f32_e32 v84, v80, v81
	ds_read_b128 v[80:83], v226 offset:784
	s_waitcnt vmcnt(20)
	v_mul_f32_e32 v85, v78, v220
	v_fmac_f32_e32 v85, v79, v219
	v_add_f32_e32 v88, v84, v85
	ds_read_b128 v[84:87], v226 offset:800
	s_waitcnt vmcnt(18) lgkmcnt(1)
	v_mul_f32_e32 v89, v80, v222
	v_fmac_f32_e32 v89, v81, v221
	v_add_f32_e32 v88, v88, v89
	s_waitcnt vmcnt(16)
	v_mul_f32_e32 v89, v82, v224
	v_fmac_f32_e32 v89, v83, v223
	v_add_f32_e32 v88, v88, v89
	s_waitcnt vmcnt(14) lgkmcnt(0)
	v_mul_f32_e32 v89, v84, v227
	v_fmac_f32_e32 v89, v85, v225
	v_add_f32_e32 v92, v88, v89
	ds_read_b128 v[88:91], v226 offset:816
	s_waitcnt vmcnt(12)
	v_mul_f32_e32 v93, v86, v229
	v_fmac_f32_e32 v93, v87, v228
	v_add_f32_e32 v96, v92, v93
	ds_read_b128 v[92:95], v226 offset:832
	buffer_load_dword v105, off, s[0:3], 0 offset:404
	buffer_load_dword v104, off, s[0:3], 0 offset:400
	s_waitcnt vmcnt(12) lgkmcnt(1)
	v_mul_f32_e32 v97, v88, v231
	v_fmac_f32_e32 v97, v89, v230
	v_add_f32_e32 v96, v96, v97
	s_waitcnt vmcnt(10)
	v_mul_f32_e32 v97, v90, v233
	v_fmac_f32_e32 v97, v91, v232
	v_add_f32_e32 v96, v96, v97
	s_waitcnt vmcnt(8) lgkmcnt(0)
	v_mul_f32_e32 v97, v92, v235
	v_fmac_f32_e32 v97, v93, v234
	s_waitcnt vmcnt(6)
	v_mul_f32_e32 v101, v94, v237
	v_add_f32_e32 v100, v96, v97
	v_fmac_f32_e32 v101, v95, v236
	ds_read_b128 v[96:99], v226 offset:848
	v_add_f32_e32 v107, v100, v101
	ds_read_b128 v[100:103], v226 offset:864
	buffer_load_dword v113, off, s[0:3], 0 offset:436
	buffer_load_dword v112, off, s[0:3], 0 offset:432
	;; [unrolled: 1-line block ×14, first 2 shown]
	v_fma_f32 v15, v16, v127, -v15
	v_mul_f32_e32 v11, v11, v36
	v_add_f32_e32 v14, v14, v15
	v_fma_f32 v10, v10, v126, -v11
	v_mul_f32_e32 v11, v13, v43
	v_add_f32_e32 v10, v14, v10
	;; [unrolled: 3-line block ×6, first 2 shown]
	v_fma_f32 v3, v4, v138, -v3
	v_add_f32_e32 v2, v2, v3
	v_mul_f32_e32 v3, v27, v139
	v_fma_f32 v3, v26, v137, -v3
	v_add_f32_e32 v2, v2, v3
	v_mul_f32_e32 v3, v29, v140
	v_fma_f32 v3, v28, v136, -v3
	v_add_f32_e32 v2, v2, v3
	v_mul_f32_e32 v3, v31, v135
	v_fma_f32 v3, v30, v134, -v3
	v_add_f32_e32 v2, v2, v3
	v_mul_f32_e32 v3, v33, v142
	v_fma_f32 v3, v32, v141, -v3
	v_add_f32_e32 v2, v2, v3
	v_mul_f32_e32 v3, v49, v144
	v_fma_f32 v3, v48, v143, -v3
	v_add_f32_e32 v2, v2, v3
	v_mul_f32_e32 v3, v51, v146
	v_fma_f32 v3, v50, v145, -v3
	v_add_f32_e32 v2, v2, v3
	v_mul_f32_e32 v3, v53, v148
	v_fma_f32 v3, v52, v147, -v3
	v_add_f32_e32 v2, v2, v3
	v_mul_f32_e32 v3, v55, v150
	v_fma_f32 v3, v54, v149, -v3
	v_add_f32_e32 v2, v2, v3
	v_mul_f32_e32 v3, v57, v152
	v_fma_f32 v3, v56, v151, -v3
	v_add_f32_e32 v2, v2, v3
	v_mul_f32_e32 v3, v59, v154
	v_fma_f32 v3, v58, v153, -v3
	v_add_f32_e32 v2, v2, v3
	v_mul_f32_e32 v3, v61, v156
	v_fma_f32 v3, v60, v155, -v3
	v_add_f32_e32 v2, v2, v3
	v_mul_f32_e32 v3, v63, v158
	v_fma_f32 v3, v62, v157, -v3
	v_add_f32_e32 v2, v2, v3
	v_mul_f32_e32 v3, v65, v160
	v_fma_f32 v3, v64, v159, -v3
	v_add_f32_e32 v2, v2, v3
	v_mul_f32_e32 v3, v67, v162
	v_fma_f32 v3, v66, v161, -v3
	v_add_f32_e32 v2, v2, v3
	v_mul_f32_e32 v3, v69, v164
	v_fma_f32 v3, v68, v163, -v3
	v_add_f32_e32 v2, v2, v3
	v_mul_f32_e32 v3, v71, v166
	v_fma_f32 v3, v70, v165, -v3
	v_add_f32_e32 v2, v2, v3
	v_mul_f32_e32 v3, v73, v168
	v_fma_f32 v3, v72, v167, -v3
	v_add_f32_e32 v2, v2, v3
	v_mul_f32_e32 v3, v75, v216
	v_fma_f32 v3, v74, v169, -v3
	v_add_f32_e32 v2, v2, v3
	v_mul_f32_e32 v3, v77, v218
	v_fma_f32 v3, v76, v217, -v3
	v_add_f32_e32 v2, v2, v3
	v_mul_f32_e32 v3, v79, v220
	v_fma_f32 v3, v78, v219, -v3
	v_add_f32_e32 v2, v2, v3
	v_mul_f32_e32 v3, v81, v222
	v_fma_f32 v3, v80, v221, -v3
	v_add_f32_e32 v2, v2, v3
	v_mul_f32_e32 v3, v83, v224
	v_fma_f32 v3, v82, v223, -v3
	v_add_f32_e32 v2, v2, v3
	v_mul_f32_e32 v3, v85, v227
	v_fma_f32 v3, v84, v225, -v3
	v_add_f32_e32 v2, v2, v3
	v_mul_f32_e32 v3, v87, v229
	v_fma_f32 v3, v86, v228, -v3
	v_add_f32_e32 v2, v2, v3
	v_mul_f32_e32 v3, v89, v231
	v_fma_f32 v3, v88, v230, -v3
	v_add_f32_e32 v2, v2, v3
	v_mul_f32_e32 v3, v91, v233
	v_fma_f32 v3, v90, v232, -v3
	v_add_f32_e32 v2, v2, v3
	v_mul_f32_e32 v3, v93, v235
	v_fma_f32 v3, v92, v234, -v3
	v_add_f32_e32 v2, v2, v3
	v_mul_f32_e32 v3, v95, v237
	v_fma_f32 v3, v94, v236, -v3
	s_waitcnt vmcnt(15)
	v_mov_b32_e32 v16, v105
	s_waitcnt lgkmcnt(1)
	v_mul_f32_e32 v109, v96, v239
	v_add_f32_e32 v106, v2, v3
	v_mul_f32_e32 v2, v97, v239
	s_waitcnt lgkmcnt(0)
	v_pk_mul_f32 v[16:17], v[100:101], v[16:17] op_sel_hi:[1,0]
	v_fmac_f32_e32 v109, v97, v238
	v_mul_f32_e32 v111, v98, v241
	v_fma_f32 v108, v96, v238, -v2
	v_mul_f32_e32 v2, v99, v241
	s_waitcnt vmcnt(14)
	v_pk_fma_f32 v[18:19], v[100:101], v[104:105], v[16:17] op_sel:[0,0,1] op_sel_hi:[1,1,0] neg_lo:[0,0,1] neg_hi:[0,0,1]
	v_pk_fma_f32 v[16:17], v[100:101], v[104:105], v[16:17] op_sel:[0,0,1] op_sel_hi:[1,0,0]
	v_fmac_f32_e32 v111, v99, v240
	v_fma_f32 v110, v98, v240, -v2
	v_pk_add_f32 v[14:15], v[106:107], v[108:109]
	s_waitcnt vmcnt(7)
	v_mov_b32_e32 v16, v119
	ds_read_b128 v[2:5], v226 offset:880
	ds_read_b128 v[6:9], v226 offset:896
	;; [unrolled: 1-line block ×3, first 2 shown]
	v_pk_add_f32 v[14:15], v[14:15], v[110:111]
	v_mov_b32_e32 v19, v17
	v_pk_mul_f32 v[16:17], v[102:103], v[16:17] op_sel_hi:[1,0]
	v_pk_add_f32 v[14:15], v[14:15], v[18:19]
	s_waitcnt vmcnt(6)
	v_pk_fma_f32 v[18:19], v[102:103], v[118:119], v[16:17] op_sel:[0,0,1] op_sel_hi:[1,1,0] neg_lo:[0,0,1] neg_hi:[0,0,1]
	v_pk_fma_f32 v[16:17], v[102:103], v[118:119], v[16:17] op_sel:[0,0,1] op_sel_hi:[1,0,0]
	v_mov_b32_e32 v16, v117
	v_mov_b32_e32 v19, v17
	s_waitcnt lgkmcnt(2)
	v_pk_mul_f32 v[16:17], v[2:3], v[16:17] op_sel_hi:[1,0]
	v_pk_add_f32 v[14:15], v[14:15], v[18:19]
	v_pk_fma_f32 v[18:19], v[2:3], v[116:117], v[16:17] op_sel:[0,0,1] op_sel_hi:[1,1,0] neg_lo:[0,0,1] neg_hi:[0,0,1]
	v_pk_fma_f32 v[2:3], v[2:3], v[116:117], v[16:17] op_sel:[0,0,1] op_sel_hi:[1,0,0]
	v_mov_b32_e32 v19, v3
	v_pk_add_f32 v[2:3], v[14:15], v[18:19]
	v_mov_b32_e32 v14, v115
	v_pk_mul_f32 v[14:15], v[4:5], v[14:15] op_sel_hi:[1,0]
	v_pk_fma_f32 v[16:17], v[4:5], v[114:115], v[14:15] op_sel:[0,0,1] op_sel_hi:[1,1,0] neg_lo:[0,0,1] neg_hi:[0,0,1]
	v_pk_fma_f32 v[4:5], v[4:5], v[114:115], v[14:15] op_sel:[0,0,1] op_sel_hi:[1,0,0]
	v_mov_b32_e32 v4, v113
	v_mov_b32_e32 v17, v5
	s_waitcnt lgkmcnt(1)
	v_pk_mul_f32 v[4:5], v[6:7], v[4:5] op_sel_hi:[1,0]
	v_pk_fma_f32 v[14:15], v[6:7], v[112:113], v[4:5] op_sel:[0,0,1] op_sel_hi:[1,1,0] neg_lo:[0,0,1] neg_hi:[0,0,1]
	v_pk_fma_f32 v[4:5], v[6:7], v[112:113], v[4:5] op_sel:[0,0,1] op_sel_hi:[1,0,0]
	s_waitcnt vmcnt(1)
	v_mov_b32_e32 v4, v125
	v_mov_b32_e32 v15, v5
	v_pk_mul_f32 v[4:5], v[8:9], v[4:5] op_sel_hi:[1,0]
	s_waitcnt vmcnt(0)
	v_pk_fma_f32 v[6:7], v[8:9], v[124:125], v[4:5] op_sel:[0,0,1] op_sel_hi:[1,1,0] neg_lo:[0,0,1] neg_hi:[0,0,1]
	v_pk_fma_f32 v[4:5], v[8:9], v[124:125], v[4:5] op_sel:[0,0,1] op_sel_hi:[1,0,0]
	v_pk_add_f32 v[2:3], v[2:3], v[16:17]
	v_mov_b32_e32 v4, v123
	v_pk_add_f32 v[2:3], v[2:3], v[14:15]
	v_mov_b32_e32 v7, v5
	s_waitcnt lgkmcnt(0)
	v_pk_mul_f32 v[4:5], v[10:11], v[4:5] op_sel_hi:[1,0]
	v_pk_add_f32 v[2:3], v[2:3], v[6:7]
	v_pk_fma_f32 v[6:7], v[10:11], v[122:123], v[4:5] op_sel:[0,0,1] op_sel_hi:[1,1,0] neg_lo:[0,0,1] neg_hi:[0,0,1]
	v_pk_fma_f32 v[4:5], v[10:11], v[122:123], v[4:5] op_sel:[0,0,1] op_sel_hi:[1,0,0]
	v_mov_b32_e32 v4, v121
	v_mov_b32_e32 v7, v5
	v_pk_mul_f32 v[4:5], v[12:13], v[4:5] op_sel_hi:[1,0]
	v_pk_add_f32 v[2:3], v[2:3], v[6:7]
	v_pk_fma_f32 v[6:7], v[12:13], v[120:121], v[4:5] op_sel:[0,0,1] op_sel_hi:[1,1,0] neg_lo:[0,0,1] neg_hi:[0,0,1]
	v_pk_fma_f32 v[4:5], v[12:13], v[120:121], v[4:5] op_sel:[0,0,1] op_sel_hi:[1,0,0]
	v_mov_b32_e32 v7, v5
	v_pk_add_f32 v[2:3], v[2:3], v[6:7]
	v_pk_add_f32 v[2:3], v[34:35], v[2:3] neg_lo:[0,1] neg_hi:[0,1]
	buffer_store_dword v3, off, s[0:3], 0 offset:60
	buffer_store_dword v2, off, s[0:3], 0 offset:56
	s_and_saveexec_b64 s[4:5], vcc
	s_cbranch_execz .LBB121_349
; %bb.348:
	buffer_load_dword v2, off, s[0:3], 0 offset:48
	buffer_load_dword v3, off, s[0:3], 0 offset:52
	v_mov_b32_e32 v4, 0
	buffer_store_dword v4, off, s[0:3], 0 offset:48
	buffer_store_dword v4, off, s[0:3], 0 offset:52
	s_waitcnt vmcnt(2)
	ds_write_b64 v175, v[2:3]
.LBB121_349:
	s_or_b64 exec, exec, s[4:5]
	s_waitcnt lgkmcnt(0)
	; wave barrier
	s_waitcnt lgkmcnt(0)
	buffer_load_dword v46, off, s[0:3], 0 offset:60
	buffer_load_dword v45, off, s[0:3], 0 offset:68
	;; [unrolled: 1-line block ×48, first 2 shown]
	v_mov_b32_e32 v44, 0
	ds_read2_b64 v[22:25], v44 offset0:65 offset1:66
	ds_read2_b64 v[18:21], v44 offset0:67 offset1:68
	;; [unrolled: 1-line block ×6, first 2 shown]
	buffer_load_dword v158, off, s[0:3], 0 offset:240
	buffer_load_dword v159, off, s[0:3], 0 offset:244
	v_cmp_lt_u32_e32 vcc, 5, v0
	s_waitcnt vmcnt(49) lgkmcnt(5)
	v_mul_f32_e32 v26, v22, v46
	s_waitcnt vmcnt(48)
	v_mul_f32_e32 v27, v24, v45
	s_waitcnt vmcnt(47) lgkmcnt(4)
	v_mul_f32_e32 v29, v20, v43
	s_waitcnt vmcnt(46) lgkmcnt(3)
	v_mul_f32_e32 v30, v14, v42
	s_waitcnt vmcnt(45)
	v_mul_f32_e32 v31, v16, v41
	s_waitcnt vmcnt(44) lgkmcnt(2)
	v_mul_f32_e32 v32, v10, v40
	s_waitcnt vmcnt(43)
	v_mul_f32_e32 v28, v18, v47
	s_waitcnt vmcnt(42)
	v_mul_f32_e32 v33, v12, v48
	s_waitcnt vmcnt(41) lgkmcnt(1)
	v_mul_f32_e32 v34, v6, v49
	s_waitcnt vmcnt(40)
	v_mul_f32_e32 v35, v8, v50
	s_waitcnt vmcnt(39) lgkmcnt(0)
	v_mul_f32_e32 v36, v2, v51
	s_waitcnt vmcnt(38)
	v_mul_f32_e32 v37, v4, v52
	s_waitcnt vmcnt(37)
	v_fmac_f32_e32 v28, v19, v58
	s_waitcnt vmcnt(36)
	v_fmac_f32_e32 v27, v25, v61
	s_waitcnt vmcnt(35)
	v_fmac_f32_e32 v26, v23, v116
	v_add_f32_e32 v26, 0, v26
	v_add_f32_e32 v26, v26, v27
	;; [unrolled: 1-line block ×3, first 2 shown]
	s_waitcnt vmcnt(31)
	v_fmac_f32_e32 v29, v21, v63
	v_fmac_f32_e32 v30, v15, v60
	v_add_f32_e32 v26, v26, v29
	v_fmac_f32_e32 v31, v17, v57
	v_add_f32_e32 v26, v26, v30
	;; [unrolled: 2-line block ×3, first 2 shown]
	s_waitcnt vmcnt(27)
	v_fmac_f32_e32 v33, v13, v59
	v_add_f32_e32 v26, v26, v32
	v_fmac_f32_e32 v34, v7, v56
	v_add_f32_e32 v26, v26, v33
	;; [unrolled: 2-line block ×4, first 2 shown]
	s_waitcnt vmcnt(22)
	v_fmac_f32_e32 v37, v5, v139
	v_add_f32_e32 v26, v26, v36
	v_add_f32_e32 v34, v26, v37
	ds_read2_b64 v[26:29], v44 offset0:77 offset1:78
	buffer_load_dword v160, off, s[0:3], 0 offset:248
	buffer_load_dword v161, off, s[0:3], 0 offset:252
	ds_read2_b64 v[30:33], v44 offset0:79 offset1:80
	buffer_load_dword v162, off, s[0:3], 0 offset:256
	buffer_load_dword v163, off, s[0:3], 0 offset:260
	;; [unrolled: 1-line block ×12, first 2 shown]
	s_waitcnt vmcnt(35) lgkmcnt(1)
	v_mul_f32_e32 v35, v26, v140
	v_fmac_f32_e32 v35, v27, v138
	buffer_load_dword v220, off, s[0:3], 0 offset:304
	buffer_load_dword v221, off, s[0:3], 0 offset:308
	v_add_f32_e32 v34, v34, v35
	s_waitcnt vmcnt(36)
	v_mul_f32_e32 v35, v28, v141
	v_fmac_f32_e32 v35, v29, v120
	v_add_f32_e32 v34, v34, v35
	s_waitcnt lgkmcnt(0)
	v_mul_f32_e32 v35, v30, v118
	buffer_load_dword v222, off, s[0:3], 0 offset:312
	buffer_load_dword v223, off, s[0:3], 0 offset:316
	v_fmac_f32_e32 v35, v31, v62
	v_add_f32_e32 v64, v34, v35
	ds_read2_b64 v[34:37], v44 offset0:81 offset1:82
	buffer_load_dword v224, off, s[0:3], 0 offset:320
	buffer_load_dword v225, off, s[0:3], 0 offset:324
	;; [unrolled: 1-line block ×4, first 2 shown]
	s_waitcnt vmcnt(38)
	v_mul_f32_e32 v65, v32, v143
	v_fmac_f32_e32 v65, v33, v142
	v_add_f32_e32 v68, v64, v65
	ds_read2_b64 v[64:67], v44 offset0:83 offset1:84
	buffer_load_dword v228, off, s[0:3], 0 offset:336
	buffer_load_dword v229, off, s[0:3], 0 offset:340
	;; [unrolled: 1-line block ×10, first 2 shown]
	s_waitcnt vmcnt(46) lgkmcnt(1)
	v_mul_f32_e32 v69, v34, v145
	v_fmac_f32_e32 v69, v35, v144
	v_add_f32_e32 v68, v68, v69
	s_waitcnt vmcnt(44)
	v_mul_f32_e32 v69, v36, v147
	v_fmac_f32_e32 v69, v37, v146
	v_add_f32_e32 v68, v68, v69
	s_waitcnt vmcnt(42) lgkmcnt(0)
	v_mul_f32_e32 v69, v64, v149
	v_fmac_f32_e32 v69, v65, v148
	v_add_f32_e32 v72, v68, v69
	buffer_load_dword v238, off, s[0:3], 0 offset:376
	buffer_load_dword v239, off, s[0:3], 0 offset:380
	buffer_load_dword v240, off, s[0:3], 0 offset:384
	buffer_load_dword v241, off, s[0:3], 0 offset:388
	buffer_load_dword v242, off, s[0:3], 0 offset:392
	buffer_load_dword v243, off, s[0:3], 0 offset:396
	ds_read2_b64 v[68:71], v44 offset0:85 offset1:86
	s_waitcnt vmcnt(46)
	v_mul_f32_e32 v73, v66, v151
	v_fmac_f32_e32 v73, v67, v150
	v_add_f32_e32 v76, v72, v73
	ds_read2_b64 v[72:75], v44 offset0:87 offset1:88
	s_waitcnt vmcnt(44) lgkmcnt(1)
	v_mul_f32_e32 v77, v68, v153
	v_fmac_f32_e32 v77, v69, v152
	v_add_f32_e32 v76, v76, v77
	s_waitcnt vmcnt(42)
	v_mul_f32_e32 v77, v70, v155
	v_fmac_f32_e32 v77, v71, v154
	v_add_f32_e32 v76, v76, v77
	s_waitcnt vmcnt(40) lgkmcnt(0)
	v_mul_f32_e32 v77, v72, v157
	v_fmac_f32_e32 v77, v73, v156
	v_add_f32_e32 v80, v76, v77
	ds_read2_b64 v[76:79], v44 offset0:89 offset1:90
	s_waitcnt vmcnt(38)
	v_mul_f32_e32 v81, v74, v159
	v_fmac_f32_e32 v81, v75, v158
	v_add_f32_e32 v84, v80, v81
	ds_read2_b64 v[80:83], v44 offset0:91 offset1:92
	v_mul_f32_e32 v23, v23, v46
	v_fma_f32 v22, v22, v116, -v23
	v_mul_f32_e32 v23, v25, v45
	v_add_f32_e32 v22, 0, v22
	v_fma_f32 v23, v24, v61, -v23
	v_mul_f32_e32 v19, v19, v47
	v_add_f32_e32 v22, v22, v23
	;; [unrolled: 3-line block ×6, first 2 shown]
	v_fma_f32 v10, v10, v55, -v11
	s_waitcnt vmcnt(36) lgkmcnt(1)
	v_mul_f32_e32 v85, v76, v161
	v_fmac_f32_e32 v85, v77, v160
	v_add_f32_e32 v84, v84, v85
	s_waitcnt vmcnt(34)
	v_mul_f32_e32 v85, v78, v163
	v_fmac_f32_e32 v85, v79, v162
	v_add_f32_e32 v84, v84, v85
	s_waitcnt vmcnt(32) lgkmcnt(0)
	v_mul_f32_e32 v85, v80, v165
	v_fmac_f32_e32 v85, v81, v164
	v_add_f32_e32 v88, v84, v85
	ds_read2_b64 v[84:87], v44 offset0:93 offset1:94
	s_waitcnt vmcnt(30)
	v_mul_f32_e32 v89, v82, v167
	v_fmac_f32_e32 v89, v83, v166
	v_add_f32_e32 v92, v88, v89
	ds_read2_b64 v[88:91], v44 offset0:95 offset1:96
	s_waitcnt vmcnt(28) lgkmcnt(1)
	v_mul_f32_e32 v93, v84, v169
	v_fmac_f32_e32 v93, v85, v168
	v_add_f32_e32 v92, v92, v93
	s_waitcnt vmcnt(26)
	v_mul_f32_e32 v93, v86, v217
	v_fmac_f32_e32 v93, v87, v216
	v_add_f32_e32 v92, v92, v93
	s_waitcnt vmcnt(24) lgkmcnt(0)
	v_mul_f32_e32 v93, v88, v219
	v_fmac_f32_e32 v93, v89, v218
	v_add_f32_e32 v96, v92, v93
	ds_read2_b64 v[92:95], v44 offset0:97 offset1:98
	s_waitcnt vmcnt(22)
	v_mul_f32_e32 v97, v90, v221
	v_fmac_f32_e32 v97, v91, v220
	v_add_f32_e32 v100, v96, v97
	ds_read2_b64 v[96:99], v44 offset0:99 offset1:100
	;; [unrolled: 18-line block ×3, first 2 shown]
	s_waitcnt vmcnt(12) lgkmcnt(1)
	v_mul_f32_e32 v109, v100, v231
	v_fmac_f32_e32 v109, v101, v230
	v_add_f32_e32 v108, v108, v109
	s_waitcnt vmcnt(10)
	v_mul_f32_e32 v109, v102, v233
	v_fmac_f32_e32 v109, v103, v232
	v_add_f32_e32 v108, v108, v109
	s_waitcnt vmcnt(8) lgkmcnt(0)
	v_mul_f32_e32 v109, v104, v235
	v_fmac_f32_e32 v109, v105, v234
	s_waitcnt vmcnt(6)
	v_mul_f32_e32 v113, v106, v237
	v_add_f32_e32 v112, v108, v109
	v_fmac_f32_e32 v113, v107, v236
	ds_read2_b64 v[108:111], v44 offset0:105 offset1:106
	v_add_f32_e32 v117, v112, v113
	ds_read2_b64 v[112:115], v44 offset0:107 offset1:108
	buffer_load_dword v123, off, s[0:3], 0 offset:428
	buffer_load_dword v122, off, s[0:3], 0 offset:424
	buffer_load_dword v125, off, s[0:3], 0 offset:420
	buffer_load_dword v124, off, s[0:3], 0 offset:416
	buffer_load_dword v127, off, s[0:3], 0 offset:412
	buffer_load_dword v126, off, s[0:3], 0 offset:408
	buffer_load_dword v129, off, s[0:3], 0 offset:404
	buffer_load_dword v128, off, s[0:3], 0 offset:400
	buffer_load_dword v131, off, s[0:3], 0 offset:460
	buffer_load_dword v130, off, s[0:3], 0 offset:456
	buffer_load_dword v133, off, s[0:3], 0 offset:452
	buffer_load_dword v132, off, s[0:3], 0 offset:448
	buffer_load_dword v135, off, s[0:3], 0 offset:444
	buffer_load_dword v134, off, s[0:3], 0 offset:440
	buffer_load_dword v137, off, s[0:3], 0 offset:436
	buffer_load_dword v136, off, s[0:3], 0 offset:432
	v_mul_f32_e32 v11, v13, v48
	v_add_f32_e32 v10, v14, v10
	v_fma_f32 v11, v12, v59, -v11
	v_mul_f32_e32 v7, v7, v49
	v_add_f32_e32 v10, v10, v11
	v_fma_f32 v6, v6, v56, -v7
	;; [unrolled: 3-line block ×5, first 2 shown]
	v_add_f32_e32 v2, v2, v3
	v_mul_f32_e32 v3, v27, v140
	v_fma_f32 v3, v26, v138, -v3
	v_add_f32_e32 v2, v2, v3
	v_mul_f32_e32 v3, v29, v141
	v_fma_f32 v3, v28, v120, -v3
	;; [unrolled: 3-line block ×28, first 2 shown]
	v_add_f32_e32 v2, v2, v3
	s_waitcnt vmcnt(20) lgkmcnt(1)
	v_mul_f32_e32 v3, v109, v239
	v_mul_f32_e32 v119, v108, v239
	v_fma_f32 v3, v108, v238, -v3
	v_fmac_f32_e32 v119, v109, v238
	v_add_f32_e32 v116, v2, v3
	s_waitcnt vmcnt(18)
	v_mul_f32_e32 v2, v111, v241
	s_waitcnt vmcnt(9)
	v_mov_b32_e32 v18, v129
	v_add_f32_e32 v117, v117, v119
	v_mul_f32_e32 v119, v110, v241
	v_fma_f32 v118, v110, v240, -v2
	s_waitcnt lgkmcnt(0)
	v_mul_f32_e32 v2, v113, v243
	v_pk_mul_f32 v[18:19], v[114:115], v[18:19] op_sel_hi:[1,0]
	v_fmac_f32_e32 v119, v111, v240
	v_mul_f32_e32 v121, v112, v243
	v_fma_f32 v120, v112, v242, -v2
	ds_read2_b64 v[2:5], v44 offset0:109 offset1:110
	ds_read2_b64 v[6:9], v44 offset0:111 offset1:112
	;; [unrolled: 1-line block ×3, first 2 shown]
	ds_read_b64 v[14:15], v44 offset:920
	s_waitcnt vmcnt(8)
	v_pk_fma_f32 v[20:21], v[114:115], v[128:129], v[18:19] op_sel:[0,0,1] op_sel_hi:[1,1,0] neg_lo:[0,0,1] neg_hi:[0,0,1]
	v_pk_fma_f32 v[18:19], v[114:115], v[128:129], v[18:19] op_sel:[0,0,1] op_sel_hi:[1,0,0]
	v_fmac_f32_e32 v121, v113, v242
	v_pk_add_f32 v[16:17], v[116:117], v[118:119]
	v_mov_b32_e32 v18, v127
	v_pk_add_f32 v[16:17], v[16:17], v[120:121]
	v_mov_b32_e32 v21, v19
	s_waitcnt lgkmcnt(3)
	v_pk_mul_f32 v[18:19], v[2:3], v[18:19] op_sel_hi:[1,0]
	v_pk_add_f32 v[16:17], v[16:17], v[20:21]
	v_pk_fma_f32 v[20:21], v[2:3], v[126:127], v[18:19] op_sel:[0,0,1] op_sel_hi:[1,1,0] neg_lo:[0,0,1] neg_hi:[0,0,1]
	v_pk_fma_f32 v[2:3], v[2:3], v[126:127], v[18:19] op_sel:[0,0,1] op_sel_hi:[1,0,0]
	v_mov_b32_e32 v21, v3
	v_pk_add_f32 v[2:3], v[16:17], v[20:21]
	v_mov_b32_e32 v16, v125
	v_pk_mul_f32 v[16:17], v[4:5], v[16:17] op_sel_hi:[1,0]
	v_pk_fma_f32 v[18:19], v[4:5], v[124:125], v[16:17] op_sel:[0,0,1] op_sel_hi:[1,1,0] neg_lo:[0,0,1] neg_hi:[0,0,1]
	v_pk_fma_f32 v[4:5], v[4:5], v[124:125], v[16:17] op_sel:[0,0,1] op_sel_hi:[1,0,0]
	v_mov_b32_e32 v4, v123
	v_mov_b32_e32 v19, v5
	s_waitcnt lgkmcnt(2)
	v_pk_mul_f32 v[4:5], v[6:7], v[4:5] op_sel_hi:[1,0]
	v_pk_fma_f32 v[16:17], v[6:7], v[122:123], v[4:5] op_sel:[0,0,1] op_sel_hi:[1,1,0] neg_lo:[0,0,1] neg_hi:[0,0,1]
	v_pk_fma_f32 v[4:5], v[6:7], v[122:123], v[4:5] op_sel:[0,0,1] op_sel_hi:[1,0,0]
	s_waitcnt vmcnt(1)
	v_mov_b32_e32 v4, v137
	v_mov_b32_e32 v17, v5
	v_pk_mul_f32 v[4:5], v[8:9], v[4:5] op_sel_hi:[1,0]
	s_waitcnt vmcnt(0)
	v_pk_fma_f32 v[6:7], v[8:9], v[136:137], v[4:5] op_sel:[0,0,1] op_sel_hi:[1,1,0] neg_lo:[0,0,1] neg_hi:[0,0,1]
	v_pk_fma_f32 v[4:5], v[8:9], v[136:137], v[4:5] op_sel:[0,0,1] op_sel_hi:[1,0,0]
	v_pk_add_f32 v[2:3], v[2:3], v[18:19]
	v_mov_b32_e32 v4, v135
	v_pk_add_f32 v[2:3], v[2:3], v[16:17]
	v_mov_b32_e32 v7, v5
	s_waitcnt lgkmcnt(1)
	v_pk_mul_f32 v[4:5], v[10:11], v[4:5] op_sel_hi:[1,0]
	v_pk_add_f32 v[2:3], v[2:3], v[6:7]
	v_pk_fma_f32 v[6:7], v[10:11], v[134:135], v[4:5] op_sel:[0,0,1] op_sel_hi:[1,1,0] neg_lo:[0,0,1] neg_hi:[0,0,1]
	v_pk_fma_f32 v[4:5], v[10:11], v[134:135], v[4:5] op_sel:[0,0,1] op_sel_hi:[1,0,0]
	v_mov_b32_e32 v4, v133
	v_mov_b32_e32 v7, v5
	v_pk_mul_f32 v[4:5], v[12:13], v[4:5] op_sel_hi:[1,0]
	v_pk_add_f32 v[2:3], v[2:3], v[6:7]
	v_pk_fma_f32 v[6:7], v[12:13], v[132:133], v[4:5] op_sel:[0,0,1] op_sel_hi:[1,1,0] neg_lo:[0,0,1] neg_hi:[0,0,1]
	v_pk_fma_f32 v[4:5], v[12:13], v[132:133], v[4:5] op_sel:[0,0,1] op_sel_hi:[1,0,0]
	v_mov_b32_e32 v4, v131
	v_mov_b32_e32 v7, v5
	s_waitcnt lgkmcnt(0)
	v_pk_mul_f32 v[4:5], v[14:15], v[4:5] op_sel_hi:[1,0]
	v_pk_add_f32 v[2:3], v[2:3], v[6:7]
	v_pk_fma_f32 v[6:7], v[14:15], v[130:131], v[4:5] op_sel:[0,0,1] op_sel_hi:[1,1,0] neg_lo:[0,0,1] neg_hi:[0,0,1]
	v_pk_fma_f32 v[4:5], v[14:15], v[130:131], v[4:5] op_sel:[0,0,1] op_sel_hi:[1,0,0]
	v_mov_b32_e32 v7, v5
	v_pk_add_f32 v[2:3], v[2:3], v[6:7]
	v_pk_add_f32 v[2:3], v[38:39], v[2:3] neg_lo:[0,1] neg_hi:[0,1]
	buffer_store_dword v3, off, s[0:3], 0 offset:52
	buffer_store_dword v2, off, s[0:3], 0 offset:48
	s_and_saveexec_b64 s[4:5], vcc
	s_cbranch_execz .LBB121_351
; %bb.350:
	buffer_load_dword v2, off, s[0:3], 0 offset:40
	buffer_load_dword v3, off, s[0:3], 0 offset:44
	s_waitcnt vmcnt(0)
	ds_write_b64 v175, v[2:3]
	buffer_store_dword v44, off, s[0:3], 0 offset:40
	buffer_store_dword v44, off, s[0:3], 0 offset:44
.LBB121_351:
	s_or_b64 exec, exec, s[4:5]
	s_waitcnt lgkmcnt(0)
	; wave barrier
	s_waitcnt lgkmcnt(0)
	buffer_load_dword v50, off, s[0:3], 0 offset:52
	buffer_load_dword v49, off, s[0:3], 0 offset:60
	buffer_load_dword v48, off, s[0:3], 0 offset:76
	buffer_load_dword v47, off, s[0:3], 0 offset:84
	buffer_load_dword v45, off, s[0:3], 0 offset:92
	buffer_load_dword v51, off, s[0:3], 0 offset:68
	buffer_load_dword v46, off, s[0:3], 0 offset:100
	buffer_load_dword v52, off, s[0:3], 0 offset:108
	buffer_load_dword v53, off, s[0:3], 0 offset:116
	buffer_load_dword v54, off, s[0:3], 0 offset:124
	buffer_load_dword v55, off, s[0:3], 0 offset:132
	buffer_load_dword v56, off, s[0:3], 0 offset:140
	buffer_load_dword v62, off, s[0:3], 0 offset:64
	buffer_load_dword v65, off, s[0:3], 0 offset:56
	buffer_load_dword v116, off, s[0:3], 0 offset:48
	buffer_load_dword v59, off, s[0:3], 0 offset:96
	buffer_load_dword v61, off, s[0:3], 0 offset:88
	buffer_load_dword v64, off, s[0:3], 0 offset:80
	buffer_load_dword v66, off, s[0:3], 0 offset:72
	buffer_load_dword v57, off, s[0:3], 0 offset:128
	buffer_load_dword v58, off, s[0:3], 0 offset:120
	buffer_load_dword v60, off, s[0:3], 0 offset:112
	buffer_load_dword v63, off, s[0:3], 0 offset:104
	buffer_load_dword v67, off, s[0:3], 0 offset:160
	buffer_load_dword v118, off, s[0:3], 0 offset:152
	buffer_load_dword v126, off, s[0:3], 0 offset:144
	buffer_load_dword v138, off, s[0:3], 0 offset:136
	buffer_load_dword v139, off, s[0:3], 0 offset:148
	buffer_load_dword v140, off, s[0:3], 0 offset:156
	buffer_load_dword v141, off, s[0:3], 0 offset:164
	buffer_load_dword v42, off, s[0:3], 0 offset:40
	buffer_load_dword v43, off, s[0:3], 0 offset:44
	ds_read_b128 v[26:29], v44 offset:512
	ds_read_b128 v[22:25], v44 offset:528
	;; [unrolled: 1-line block ×4, first 2 shown]
	buffer_load_dword v142, off, s[0:3], 0 offset:168
	buffer_load_dword v143, off, s[0:3], 0 offset:172
	ds_read_b128 v[14:17], v44 offset:576
	ds_read_b128 v[6:9], v44 offset:592
	;; [unrolled: 1-line block ×3, first 2 shown]
	buffer_load_dword v144, off, s[0:3], 0 offset:176
	buffer_load_dword v145, off, s[0:3], 0 offset:180
	;; [unrolled: 1-line block ×16, first 2 shown]
	v_cmp_lt_u32_e32 vcc, 4, v0
	s_waitcnt vmcnt(49) lgkmcnt(6)
	v_mul_f32_e32 v30, v26, v50
	s_waitcnt vmcnt(48)
	v_mul_f32_e32 v31, v28, v49
	s_waitcnt vmcnt(47) lgkmcnt(5)
	v_mul_f32_e32 v33, v24, v48
	s_waitcnt vmcnt(46) lgkmcnt(4)
	v_mul_f32_e32 v34, v18, v47
	s_waitcnt vmcnt(45)
	v_mul_f32_e32 v35, v20, v45
	s_waitcnt vmcnt(44)
	v_mul_f32_e32 v32, v22, v51
	s_waitcnt vmcnt(43) lgkmcnt(3)
	v_mul_f32_e32 v36, v10, v46
	s_waitcnt vmcnt(42)
	v_mul_f32_e32 v37, v12, v52
	s_waitcnt vmcnt(41) lgkmcnt(2)
	;; [unrolled: 4-line block ×3, first 2 shown]
	v_mul_f32_e32 v40, v6, v55
	s_waitcnt vmcnt(38)
	v_mul_f32_e32 v41, v8, v56
	s_waitcnt vmcnt(37)
	v_fmac_f32_e32 v32, v23, v62
	s_waitcnt vmcnt(36)
	v_fmac_f32_e32 v31, v29, v65
	s_waitcnt vmcnt(35)
	v_fmac_f32_e32 v30, v27, v116
	v_add_f32_e32 v30, 0, v30
	v_add_f32_e32 v30, v30, v31
	;; [unrolled: 1-line block ×3, first 2 shown]
	s_waitcnt vmcnt(31)
	v_fmac_f32_e32 v33, v25, v66
	v_fmac_f32_e32 v34, v19, v64
	v_add_f32_e32 v30, v30, v33
	v_fmac_f32_e32 v35, v21, v61
	v_add_f32_e32 v30, v30, v34
	;; [unrolled: 2-line block ×3, first 2 shown]
	s_waitcnt vmcnt(27)
	v_fmac_f32_e32 v37, v13, v63
	v_add_f32_e32 v30, v30, v36
	v_fmac_f32_e32 v38, v15, v60
	v_add_f32_e32 v30, v30, v37
	;; [unrolled: 2-line block ×4, first 2 shown]
	s_waitcnt vmcnt(23)
	v_fmac_f32_e32 v41, v9, v138
	v_add_f32_e32 v30, v30, v40
	v_add_f32_e32 v34, v30, v41
	ds_read_b128 v[30:33], v44 offset:624
	buffer_load_dword v160, off, s[0:3], 0 offset:240
	buffer_load_dword v161, off, s[0:3], 0 offset:244
	buffer_load_dword v162, off, s[0:3], 0 offset:248
	buffer_load_dword v163, off, s[0:3], 0 offset:252
	buffer_load_dword v164, off, s[0:3], 0 offset:256
	buffer_load_dword v165, off, s[0:3], 0 offset:260
	buffer_load_dword v166, off, s[0:3], 0 offset:264
	buffer_load_dword v167, off, s[0:3], 0 offset:268
	buffer_load_dword v168, off, s[0:3], 0 offset:272
	buffer_load_dword v169, off, s[0:3], 0 offset:276
	buffer_load_dword v216, off, s[0:3], 0 offset:280
	buffer_load_dword v217, off, s[0:3], 0 offset:284
	s_waitcnt vmcnt(34) lgkmcnt(1)
	v_mul_f32_e32 v35, v2, v139
	v_fmac_f32_e32 v35, v3, v126
	buffer_load_dword v218, off, s[0:3], 0 offset:288
	buffer_load_dword v219, off, s[0:3], 0 offset:292
	v_add_f32_e32 v34, v34, v35
	s_waitcnt vmcnt(35)
	v_mul_f32_e32 v35, v4, v140
	v_fmac_f32_e32 v35, v5, v118
	v_add_f32_e32 v34, v34, v35
	s_waitcnt vmcnt(34) lgkmcnt(0)
	v_mul_f32_e32 v35, v30, v141
	v_fmac_f32_e32 v35, v31, v67
	buffer_load_dword v220, off, s[0:3], 0 offset:296
	buffer_load_dword v221, off, s[0:3], 0 offset:300
	v_add_f32_e32 v34, v34, v35
	s_waitcnt vmcnt(32)
	v_mul_f32_e32 v35, v32, v143
	v_fmac_f32_e32 v35, v33, v142
	v_add_f32_e32 v68, v34, v35
	ds_read_b128 v[34:37], v44 offset:640
	buffer_load_dword v222, off, s[0:3], 0 offset:304
	buffer_load_dword v223, off, s[0:3], 0 offset:308
	ds_read_b128 v[38:41], v44 offset:656
	buffer_load_dword v224, off, s[0:3], 0 offset:312
	buffer_load_dword v225, off, s[0:3], 0 offset:316
	;; [unrolled: 1-line block ×14, first 2 shown]
	s_waitcnt vmcnt(46) lgkmcnt(1)
	v_mul_f32_e32 v69, v34, v145
	v_fmac_f32_e32 v69, v35, v144
	v_add_f32_e32 v68, v68, v69
	s_waitcnt vmcnt(44)
	v_mul_f32_e32 v69, v36, v147
	v_fmac_f32_e32 v69, v37, v146
	v_add_f32_e32 v68, v68, v69
	s_waitcnt vmcnt(42) lgkmcnt(0)
	v_mul_f32_e32 v69, v38, v149
	v_fmac_f32_e32 v69, v39, v148
	v_add_f32_e32 v72, v68, v69
	buffer_load_dword v238, off, s[0:3], 0 offset:368
	buffer_load_dword v239, off, s[0:3], 0 offset:372
	ds_read_b128 v[68:71], v44 offset:672
	s_waitcnt vmcnt(42)
	v_mul_f32_e32 v73, v40, v151
	v_fmac_f32_e32 v73, v41, v150
	buffer_load_dword v240, off, s[0:3], 0 offset:376
	buffer_load_dword v241, off, s[0:3], 0 offset:380
	v_add_f32_e32 v76, v72, v73
	buffer_load_dword v242, off, s[0:3], 0 offset:384
	buffer_load_dword v243, off, s[0:3], 0 offset:388
	ds_read_b128 v[72:75], v44 offset:688
	s_waitcnt vmcnt(44) lgkmcnt(1)
	v_mul_f32_e32 v77, v68, v153
	v_fmac_f32_e32 v77, v69, v152
	v_add_f32_e32 v76, v76, v77
	s_waitcnt vmcnt(42)
	v_mul_f32_e32 v77, v70, v155
	v_fmac_f32_e32 v77, v71, v154
	v_add_f32_e32 v76, v76, v77
	s_waitcnt vmcnt(40) lgkmcnt(0)
	v_mul_f32_e32 v77, v72, v157
	v_fmac_f32_e32 v77, v73, v156
	buffer_load_dword v244, off, s[0:3], 0 offset:392
	buffer_load_dword v245, off, s[0:3], 0 offset:396
	v_add_f32_e32 v80, v76, v77
	ds_read_b128 v[76:79], v44 offset:704
	s_waitcnt vmcnt(40)
	v_mul_f32_e32 v81, v74, v159
	v_fmac_f32_e32 v81, v75, v158
	v_add_f32_e32 v84, v80, v81
	ds_read_b128 v[80:83], v44 offset:720
	v_mul_f32_e32 v27, v27, v50
	v_fma_f32 v26, v26, v116, -v27
	v_mul_f32_e32 v27, v29, v49
	v_add_f32_e32 v26, 0, v26
	v_fma_f32 v27, v28, v65, -v27
	v_mul_f32_e32 v23, v23, v51
	v_add_f32_e32 v26, v26, v27
	;; [unrolled: 3-line block ×5, first 2 shown]
	v_fma_f32 v19, v20, v61, -v19
	v_mul_f32_e32 v11, v11, v46
	s_waitcnt vmcnt(38) lgkmcnt(1)
	v_mul_f32_e32 v85, v76, v161
	v_fmac_f32_e32 v85, v77, v160
	v_add_f32_e32 v84, v84, v85
	s_waitcnt vmcnt(36)
	v_mul_f32_e32 v85, v78, v163
	v_fmac_f32_e32 v85, v79, v162
	v_add_f32_e32 v84, v84, v85
	s_waitcnt vmcnt(34) lgkmcnt(0)
	v_mul_f32_e32 v85, v80, v165
	v_fmac_f32_e32 v85, v81, v164
	v_add_f32_e32 v88, v84, v85
	ds_read_b128 v[84:87], v44 offset:736
	s_waitcnt vmcnt(32)
	v_mul_f32_e32 v89, v82, v167
	v_fmac_f32_e32 v89, v83, v166
	v_add_f32_e32 v92, v88, v89
	ds_read_b128 v[88:91], v44 offset:752
	s_waitcnt vmcnt(30) lgkmcnt(1)
	v_mul_f32_e32 v93, v84, v169
	v_fmac_f32_e32 v93, v85, v168
	v_add_f32_e32 v92, v92, v93
	s_waitcnt vmcnt(28)
	v_mul_f32_e32 v93, v86, v217
	v_fmac_f32_e32 v93, v87, v216
	v_add_f32_e32 v92, v92, v93
	s_waitcnt vmcnt(26) lgkmcnt(0)
	v_mul_f32_e32 v93, v88, v219
	v_fmac_f32_e32 v93, v89, v218
	v_add_f32_e32 v96, v92, v93
	ds_read_b128 v[92:95], v44 offset:768
	s_waitcnt vmcnt(24)
	v_mul_f32_e32 v97, v90, v221
	v_fmac_f32_e32 v97, v91, v220
	v_add_f32_e32 v100, v96, v97
	ds_read_b128 v[96:99], v44 offset:784
	;; [unrolled: 18-line block ×3, first 2 shown]
	s_waitcnt vmcnt(14) lgkmcnt(1)
	v_mul_f32_e32 v109, v100, v231
	v_fmac_f32_e32 v109, v101, v230
	v_add_f32_e32 v108, v108, v109
	s_waitcnt vmcnt(12)
	v_mul_f32_e32 v109, v102, v233
	v_fmac_f32_e32 v109, v103, v232
	v_add_f32_e32 v108, v108, v109
	s_waitcnt vmcnt(10) lgkmcnt(0)
	v_mul_f32_e32 v109, v104, v235
	v_fmac_f32_e32 v109, v105, v234
	s_waitcnt vmcnt(8)
	v_mul_f32_e32 v113, v106, v237
	v_add_f32_e32 v112, v108, v109
	v_fmac_f32_e32 v113, v107, v236
	ds_read_b128 v[108:111], v44 offset:832
	v_add_f32_e32 v117, v112, v113
	ds_read_b128 v[112:115], v44 offset:848
	buffer_load_dword v121, off, s[0:3], 0 offset:420
	buffer_load_dword v120, off, s[0:3], 0 offset:416
	;; [unrolled: 1-line block ×6, first 2 shown]
	v_add_f32_e32 v18, v18, v19
	v_fma_f32 v10, v10, v59, -v11
	v_mul_f32_e32 v11, v13, v52
	v_add_f32_e32 v10, v18, v10
	v_fma_f32 v11, v12, v63, -v11
	buffer_load_dword v129, off, s[0:3], 0 offset:452
	buffer_load_dword v128, off, s[0:3], 0 offset:448
	;; [unrolled: 1-line block ×10, first 2 shown]
	v_add_f32_e32 v10, v10, v11
	v_mul_f32_e32 v11, v15, v53
	v_fma_f32 v11, v14, v60, -v11
	v_add_f32_e32 v10, v10, v11
	v_mul_f32_e32 v11, v17, v54
	v_fma_f32 v11, v16, v58, -v11
	v_mul_f32_e32 v7, v7, v55
	v_add_f32_e32 v10, v10, v11
	v_fma_f32 v6, v6, v57, -v7
	v_mul_f32_e32 v7, v9, v56
	v_add_f32_e32 v6, v10, v6
	;; [unrolled: 3-line block ×4, first 2 shown]
	v_fma_f32 v3, v4, v118, -v3
	v_add_f32_e32 v2, v2, v3
	v_mul_f32_e32 v3, v31, v141
	v_fma_f32 v3, v30, v67, -v3
	v_add_f32_e32 v2, v2, v3
	v_mul_f32_e32 v3, v33, v143
	;; [unrolled: 3-line block ×26, first 2 shown]
	v_fma_f32 v3, v106, v236, -v3
	v_add_f32_e32 v2, v2, v3
	s_waitcnt vmcnt(22) lgkmcnt(1)
	v_mul_f32_e32 v3, v109, v239
	v_fma_f32 v3, v108, v238, -v3
	v_add_f32_e32 v2, v2, v3
	s_waitcnt vmcnt(20)
	v_mul_f32_e32 v3, v111, v241
	v_mul_f32_e32 v119, v108, v239
	v_fma_f32 v3, v110, v240, -v3
	v_fmac_f32_e32 v119, v109, v238
	v_add_f32_e32 v116, v2, v3
	s_waitcnt vmcnt(18) lgkmcnt(0)
	v_mul_f32_e32 v2, v113, v243
	v_add_f32_e32 v117, v117, v119
	v_mul_f32_e32 v119, v110, v241
	v_fma_f32 v118, v112, v242, -v2
	s_waitcnt vmcnt(16)
	v_mul_f32_e32 v2, v115, v245
	v_fmac_f32_e32 v119, v111, v240
	v_fma_f32 v126, v114, v244, -v2
	ds_read_b128 v[2:5], v44 offset:864
	ds_read_b128 v[6:9], v44 offset:880
	;; [unrolled: 1-line block ×4, first 2 shown]
	v_add_f32_e32 v117, v117, v119
	v_mul_f32_e32 v119, v112, v243
	s_waitcnt vmcnt(11)
	v_mov_b32_e32 v20, v125
	v_fmac_f32_e32 v119, v113, v242
	v_mul_f32_e32 v127, v114, v245
	s_waitcnt lgkmcnt(3)
	v_pk_mul_f32 v[20:21], v[2:3], v[20:21] op_sel_hi:[1,0]
	v_fmac_f32_e32 v127, v115, v244
	v_pk_add_f32 v[18:19], v[116:117], v[118:119]
	s_waitcnt vmcnt(10)
	v_pk_fma_f32 v[22:23], v[2:3], v[124:125], v[20:21] op_sel:[0,0,1] op_sel_hi:[1,1,0] neg_lo:[0,0,1] neg_hi:[0,0,1]
	v_pk_fma_f32 v[2:3], v[2:3], v[124:125], v[20:21] op_sel:[0,0,1] op_sel_hi:[1,0,0]
	v_pk_add_f32 v[18:19], v[18:19], v[126:127]
	v_mov_b32_e32 v23, v3
	v_pk_add_f32 v[2:3], v[18:19], v[22:23]
	v_mov_b32_e32 v18, v123
	v_pk_mul_f32 v[18:19], v[4:5], v[18:19] op_sel_hi:[1,0]
	v_pk_fma_f32 v[20:21], v[4:5], v[122:123], v[18:19] op_sel:[0,0,1] op_sel_hi:[1,1,0] neg_lo:[0,0,1] neg_hi:[0,0,1]
	v_pk_fma_f32 v[4:5], v[4:5], v[122:123], v[18:19] op_sel:[0,0,1] op_sel_hi:[1,0,0]
	v_mov_b32_e32 v4, v121
	v_mov_b32_e32 v21, v5
	s_waitcnt lgkmcnt(2)
	v_pk_mul_f32 v[4:5], v[6:7], v[4:5] op_sel_hi:[1,0]
	v_pk_fma_f32 v[18:19], v[6:7], v[120:121], v[4:5] op_sel:[0,0,1] op_sel_hi:[1,1,0] neg_lo:[0,0,1] neg_hi:[0,0,1]
	v_pk_fma_f32 v[4:5], v[6:7], v[120:121], v[4:5] op_sel:[0,0,1] op_sel_hi:[1,0,0]
	s_waitcnt vmcnt(3)
	v_mov_b32_e32 v4, v135
	v_mov_b32_e32 v19, v5
	v_pk_mul_f32 v[4:5], v[8:9], v[4:5] op_sel_hi:[1,0]
	s_waitcnt vmcnt(2)
	v_pk_fma_f32 v[6:7], v[8:9], v[134:135], v[4:5] op_sel:[0,0,1] op_sel_hi:[1,1,0] neg_lo:[0,0,1] neg_hi:[0,0,1]
	v_pk_fma_f32 v[4:5], v[8:9], v[134:135], v[4:5] op_sel:[0,0,1] op_sel_hi:[1,0,0]
	v_pk_add_f32 v[2:3], v[2:3], v[20:21]
	v_mov_b32_e32 v4, v133
	v_pk_add_f32 v[2:3], v[2:3], v[18:19]
	v_mov_b32_e32 v7, v5
	s_waitcnt lgkmcnt(1)
	v_pk_mul_f32 v[4:5], v[10:11], v[4:5] op_sel_hi:[1,0]
	v_pk_add_f32 v[2:3], v[2:3], v[6:7]
	v_pk_fma_f32 v[6:7], v[10:11], v[132:133], v[4:5] op_sel:[0,0,1] op_sel_hi:[1,1,0] neg_lo:[0,0,1] neg_hi:[0,0,1]
	v_pk_fma_f32 v[4:5], v[10:11], v[132:133], v[4:5] op_sel:[0,0,1] op_sel_hi:[1,0,0]
	v_mov_b32_e32 v4, v131
	v_mov_b32_e32 v7, v5
	v_pk_mul_f32 v[4:5], v[12:13], v[4:5] op_sel_hi:[1,0]
	v_pk_add_f32 v[2:3], v[2:3], v[6:7]
	v_pk_fma_f32 v[6:7], v[12:13], v[130:131], v[4:5] op_sel:[0,0,1] op_sel_hi:[1,1,0] neg_lo:[0,0,1] neg_hi:[0,0,1]
	v_pk_fma_f32 v[4:5], v[12:13], v[130:131], v[4:5] op_sel:[0,0,1] op_sel_hi:[1,0,0]
	v_mov_b32_e32 v4, v129
	v_mov_b32_e32 v7, v5
	s_waitcnt lgkmcnt(0)
	v_pk_mul_f32 v[4:5], v[14:15], v[4:5] op_sel_hi:[1,0]
	v_pk_add_f32 v[2:3], v[2:3], v[6:7]
	v_pk_fma_f32 v[6:7], v[14:15], v[128:129], v[4:5] op_sel:[0,0,1] op_sel_hi:[1,1,0] neg_lo:[0,0,1] neg_hi:[0,0,1]
	v_pk_fma_f32 v[4:5], v[14:15], v[128:129], v[4:5] op_sel:[0,0,1] op_sel_hi:[1,0,0]
	s_waitcnt vmcnt(1)
	v_mov_b32_e32 v4, v137
	v_mov_b32_e32 v7, v5
	v_pk_mul_f32 v[4:5], v[16:17], v[4:5] op_sel_hi:[1,0]
	v_pk_add_f32 v[2:3], v[2:3], v[6:7]
	s_waitcnt vmcnt(0)
	v_pk_fma_f32 v[6:7], v[16:17], v[136:137], v[4:5] op_sel:[0,0,1] op_sel_hi:[1,1,0] neg_lo:[0,0,1] neg_hi:[0,0,1]
	v_pk_fma_f32 v[4:5], v[16:17], v[136:137], v[4:5] op_sel:[0,0,1] op_sel_hi:[1,0,0]
	v_mov_b32_e32 v7, v5
	v_pk_add_f32 v[2:3], v[2:3], v[6:7]
	v_pk_add_f32 v[2:3], v[42:43], v[2:3] neg_lo:[0,1] neg_hi:[0,1]
	buffer_store_dword v3, off, s[0:3], 0 offset:44
	buffer_store_dword v2, off, s[0:3], 0 offset:40
	s_and_saveexec_b64 s[4:5], vcc
	s_cbranch_execz .LBB121_353
; %bb.352:
	buffer_load_dword v2, off, s[0:3], 0 offset:32
	buffer_load_dword v3, off, s[0:3], 0 offset:36
	v_mov_b32_e32 v4, 0
	buffer_store_dword v4, off, s[0:3], 0 offset:32
	buffer_store_dword v4, off, s[0:3], 0 offset:36
	s_waitcnt vmcnt(2)
	ds_write_b64 v175, v[2:3]
.LBB121_353:
	s_or_b64 exec, exec, s[4:5]
	v_mov_b32_e32 v234, 0
	s_waitcnt lgkmcnt(0)
	; wave barrier
	s_waitcnt lgkmcnt(0)
	ds_read2_b64 v[2:5], v234 offset0:63 offset1:64
	buffer_load_dword v94, off, s[0:3], 0 offset:32
	buffer_load_dword v95, off, s[0:3], 0 offset:36
	;; [unrolled: 1-line block ×16, first 2 shown]
	v_cmp_lt_u32_e32 vcc, 3, v0
	s_waitcnt vmcnt(12) lgkmcnt(0)
	v_mul_f32_e32 v6, v2, v235
	v_fmac_f32_e32 v6, v3, v96
	s_waitcnt vmcnt(10)
	v_mul_f32_e32 v7, v4, v237
	v_add_f32_e32 v6, 0, v6
	v_fmac_f32_e32 v7, v5, v98
	v_add_f32_e32 v10, v6, v7
	ds_read2_b64 v[6:9], v234 offset0:65 offset1:66
	v_mul_f32_e32 v3, v3, v235
	v_fma_f32 v2, v2, v96, -v3
	v_mul_f32_e32 v3, v5, v237
	v_add_f32_e32 v2, 0, v2
	s_waitcnt vmcnt(8) lgkmcnt(0)
	v_mul_f32_e32 v11, v6, v239
	v_fmac_f32_e32 v11, v7, v218
	v_add_f32_e32 v10, v10, v11
	s_waitcnt vmcnt(6)
	v_mul_f32_e32 v11, v8, v241
	v_fmac_f32_e32 v11, v9, v236
	v_add_f32_e32 v14, v10, v11
	ds_read2_b64 v[10:13], v234 offset0:67 offset1:68
	v_fma_f32 v3, v4, v98, -v3
	v_add_f32_e32 v2, v2, v3
	v_mul_f32_e32 v3, v7, v239
	v_fma_f32 v3, v6, v218, -v3
	s_waitcnt vmcnt(4) lgkmcnt(0)
	v_mul_f32_e32 v15, v10, v243
	v_fmac_f32_e32 v15, v11, v238
	v_add_f32_e32 v14, v14, v15
	s_waitcnt vmcnt(2)
	v_mul_f32_e32 v15, v12, v244
	v_fmac_f32_e32 v15, v13, v240
	v_add_f32_e32 v18, v14, v15
	ds_read2_b64 v[14:17], v234 offset0:69 offset1:70
	buffer_load_dword v100, off, s[0:3], 0 offset:96
	buffer_load_dword v101, off, s[0:3], 0 offset:100
	v_add_f32_e32 v2, v2, v3
	v_mul_f32_e32 v3, v9, v241
	v_fma_f32 v3, v8, v236, -v3
	s_waitcnt vmcnt(2) lgkmcnt(0)
	v_mul_f32_e32 v19, v14, v245
	v_fmac_f32_e32 v19, v15, v242
	v_add_f32_e32 v18, v18, v19
	v_add_f32_e32 v2, v2, v3
	v_mul_f32_e32 v3, v11, v243
	v_fma_f32 v3, v10, v238, -v3
	v_add_f32_e32 v2, v2, v3
	v_mul_f32_e32 v3, v13, v244
	v_fma_f32 v3, v12, v240, -v3
	;; [unrolled: 3-line block ×3, first 2 shown]
	v_add_f32_e32 v2, v2, v3
	s_waitcnt vmcnt(0)
	v_mul_f32_e32 v19, v16, v101
	v_fmac_f32_e32 v19, v17, v100
	v_add_f32_e32 v22, v18, v19
	ds_read2_b64 v[18:21], v234 offset0:71 offset1:72
	buffer_load_dword v102, off, s[0:3], 0 offset:104
	buffer_load_dword v103, off, s[0:3], 0 offset:108
	;; [unrolled: 1-line block ×4, first 2 shown]
	v_mul_f32_e32 v3, v17, v101
	v_fma_f32 v3, v16, v100, -v3
	v_add_f32_e32 v2, v2, v3
	s_waitcnt vmcnt(2) lgkmcnt(0)
	v_mul_f32_e32 v23, v18, v103
	v_fmac_f32_e32 v23, v19, v102
	v_add_f32_e32 v22, v22, v23
	s_waitcnt vmcnt(0)
	v_mul_f32_e32 v23, v20, v105
	v_fmac_f32_e32 v23, v21, v104
	v_add_f32_e32 v26, v22, v23
	ds_read2_b64 v[22:25], v234 offset0:73 offset1:74
	buffer_load_dword v106, off, s[0:3], 0 offset:120
	buffer_load_dword v107, off, s[0:3], 0 offset:124
	buffer_load_dword v108, off, s[0:3], 0 offset:128
	buffer_load_dword v109, off, s[0:3], 0 offset:132
	v_mul_f32_e32 v3, v19, v103
	v_fma_f32 v3, v18, v102, -v3
	v_add_f32_e32 v2, v2, v3
	v_mul_f32_e32 v3, v21, v105
	v_fma_f32 v3, v20, v104, -v3
	v_add_f32_e32 v2, v2, v3
	s_waitcnt vmcnt(2) lgkmcnt(0)
	v_mul_f32_e32 v27, v22, v107
	v_fmac_f32_e32 v27, v23, v106
	v_add_f32_e32 v26, v26, v27
	s_waitcnt vmcnt(0)
	v_mul_f32_e32 v27, v24, v109
	v_fmac_f32_e32 v27, v25, v108
	v_add_f32_e32 v30, v26, v27
	ds_read2_b64 v[26:29], v234 offset0:75 offset1:76
	buffer_load_dword v110, off, s[0:3], 0 offset:136
	buffer_load_dword v111, off, s[0:3], 0 offset:140
	buffer_load_dword v112, off, s[0:3], 0 offset:144
	buffer_load_dword v113, off, s[0:3], 0 offset:148
	v_mul_f32_e32 v3, v23, v107
	v_fma_f32 v3, v22, v106, -v3
	v_add_f32_e32 v2, v2, v3
	;; [unrolled: 19-line block ×4, first 2 shown]
	v_mul_f32_e32 v3, v33, v117
	v_fma_f32 v3, v32, v116, -v3
	v_add_f32_e32 v2, v2, v3
	s_waitcnt vmcnt(2) lgkmcnt(0)
	v_mul_f32_e32 v39, v34, v119
	v_fmac_f32_e32 v39, v35, v118
	v_add_f32_e32 v38, v38, v39
	s_waitcnt vmcnt(0)
	v_mul_f32_e32 v39, v36, v121
	v_fmac_f32_e32 v39, v37, v120
	v_add_f32_e32 v42, v38, v39
	ds_read2_b64 v[38:41], v234 offset0:81 offset1:82
	buffer_load_dword v122, off, s[0:3], 0 offset:184
	buffer_load_dword v123, off, s[0:3], 0 offset:188
	buffer_load_dword v124, off, s[0:3], 0 offset:192
	buffer_load_dword v125, off, s[0:3], 0 offset:196
	ds_read2_b64 v[46:49], v234 offset0:83 offset1:84
	buffer_load_dword v126, off, s[0:3], 0 offset:200
	buffer_load_dword v127, off, s[0:3], 0 offset:204
	buffer_load_dword v128, off, s[0:3], 0 offset:208
	buffer_load_dword v129, off, s[0:3], 0 offset:212
	;; [unrolled: 5-line block ×13, first 2 shown]
	v_mul_f32_e32 v3, v35, v119
	v_fma_f32 v3, v34, v118, -v3
	v_add_f32_e32 v2, v2, v3
	v_mul_f32_e32 v3, v37, v121
	v_fma_f32 v3, v36, v120, -v3
	v_add_f32_e32 v2, v2, v3
	s_waitcnt vmcnt(50) lgkmcnt(12)
	v_mul_f32_e32 v43, v38, v123
	v_fmac_f32_e32 v43, v39, v122
	v_add_f32_e32 v42, v42, v43
	s_waitcnt vmcnt(48)
	v_mul_f32_e32 v43, v40, v125
	v_fmac_f32_e32 v43, v41, v124
	v_add_f32_e32 v42, v42, v43
	s_waitcnt vmcnt(46) lgkmcnt(11)
	v_mul_f32_e32 v43, v46, v127
	v_fmac_f32_e32 v43, v47, v126
	v_add_f32_e32 v42, v42, v43
	s_waitcnt vmcnt(44)
	v_mul_f32_e32 v43, v48, v129
	v_fmac_f32_e32 v43, v49, v128
	;; [unrolled: 8-line block ×12, first 2 shown]
	v_add_f32_e32 v42, v42, v43
	s_waitcnt vmcnt(2) lgkmcnt(0)
	v_mul_f32_e32 v43, v90, v247
	v_fmac_f32_e32 v43, v91, v169
	v_add_f32_e32 v97, v42, v43
	ds_read2_b64 v[42:45], v234 offset0:107 offset1:108
	buffer_load_dword v250, off, s[0:3], 0 offset:392
	buffer_load_dword v251, off, s[0:3], 0 offset:396
	;; [unrolled: 1-line block ×18, first 2 shown]
	v_mul_f32_e32 v3, v39, v123
	v_fma_f32 v3, v38, v122, -v3
	v_add_f32_e32 v2, v2, v3
	v_mul_f32_e32 v3, v41, v125
	v_fma_f32 v3, v40, v124, -v3
	v_add_f32_e32 v2, v2, v3
	;; [unrolled: 3-line block ×25, first 2 shown]
	s_waitcnt vmcnt(18)
	v_mul_f32_e32 v2, v93, v249
	s_waitcnt vmcnt(15)
	v_mov_b32_e32 v18, v217
	v_mul_f32_e32 v99, v92, v249
	v_fma_f32 v98, v92, v248, -v2
	s_waitcnt lgkmcnt(0)
	v_mul_f32_e32 v2, v43, v251
	v_pk_mul_f32 v[18:19], v[44:45], v[18:19] op_sel_hi:[1,0]
	v_fmac_f32_e32 v99, v93, v248
	v_mul_f32_e32 v219, v42, v251
	v_fma_f32 v218, v42, v250, -v2
	ds_read2_b64 v[2:5], v234 offset0:109 offset1:110
	ds_read2_b64 v[6:9], v234 offset0:111 offset1:112
	;; [unrolled: 1-line block ×3, first 2 shown]
	ds_read_b64 v[14:15], v234 offset:920
	s_waitcnt vmcnt(14)
	v_pk_fma_f32 v[20:21], v[44:45], v[216:217], v[18:19] op_sel:[0,0,1] op_sel_hi:[1,1,0] neg_lo:[0,0,1] neg_hi:[0,0,1]
	v_pk_fma_f32 v[18:19], v[44:45], v[216:217], v[18:19] op_sel:[0,0,1] op_sel_hi:[1,0,0]
	v_fmac_f32_e32 v219, v43, v250
	v_pk_add_f32 v[16:17], v[96:97], v[98:99]
	s_waitcnt vmcnt(13)
	v_mov_b32_e32 v18, v233
	v_pk_add_f32 v[16:17], v[16:17], v[218:219]
	v_mov_b32_e32 v21, v19
	s_waitcnt lgkmcnt(3)
	v_pk_mul_f32 v[18:19], v[2:3], v[18:19] op_sel_hi:[1,0]
	v_pk_add_f32 v[16:17], v[16:17], v[20:21]
	s_waitcnt vmcnt(12)
	v_pk_fma_f32 v[20:21], v[2:3], v[232:233], v[18:19] op_sel:[0,0,1] op_sel_hi:[1,1,0] neg_lo:[0,0,1] neg_hi:[0,0,1]
	v_pk_fma_f32 v[2:3], v[2:3], v[232:233], v[18:19] op_sel:[0,0,1] op_sel_hi:[1,0,0]
	v_mov_b32_e32 v21, v3
	v_pk_add_f32 v[2:3], v[16:17], v[20:21]
	s_waitcnt vmcnt(11)
	v_mov_b32_e32 v16, v231
	v_pk_mul_f32 v[16:17], v[4:5], v[16:17] op_sel_hi:[1,0]
	s_waitcnt vmcnt(10)
	v_pk_fma_f32 v[18:19], v[4:5], v[230:231], v[16:17] op_sel:[0,0,1] op_sel_hi:[1,1,0] neg_lo:[0,0,1] neg_hi:[0,0,1]
	v_pk_fma_f32 v[4:5], v[4:5], v[230:231], v[16:17] op_sel:[0,0,1] op_sel_hi:[1,0,0]
	s_waitcnt vmcnt(9)
	v_mov_b32_e32 v4, v229
	v_mov_b32_e32 v19, v5
	s_waitcnt lgkmcnt(2)
	v_pk_mul_f32 v[4:5], v[6:7], v[4:5] op_sel_hi:[1,0]
	s_waitcnt vmcnt(8)
	v_pk_fma_f32 v[16:17], v[6:7], v[228:229], v[4:5] op_sel:[0,0,1] op_sel_hi:[1,1,0] neg_lo:[0,0,1] neg_hi:[0,0,1]
	v_pk_fma_f32 v[4:5], v[6:7], v[228:229], v[4:5] op_sel:[0,0,1] op_sel_hi:[1,0,0]
	s_waitcnt vmcnt(7)
	v_mov_b32_e32 v4, v227
	v_mov_b32_e32 v17, v5
	v_pk_mul_f32 v[4:5], v[8:9], v[4:5] op_sel_hi:[1,0]
	s_waitcnt vmcnt(6)
	v_pk_fma_f32 v[6:7], v[8:9], v[226:227], v[4:5] op_sel:[0,0,1] op_sel_hi:[1,1,0] neg_lo:[0,0,1] neg_hi:[0,0,1]
	v_pk_fma_f32 v[4:5], v[8:9], v[226:227], v[4:5] op_sel:[0,0,1] op_sel_hi:[1,0,0]
	v_pk_add_f32 v[2:3], v[2:3], v[18:19]
	s_waitcnt vmcnt(5)
	v_mov_b32_e32 v4, v225
	v_pk_add_f32 v[2:3], v[2:3], v[16:17]
	v_mov_b32_e32 v7, v5
	s_waitcnt lgkmcnt(1)
	v_pk_mul_f32 v[4:5], v[10:11], v[4:5] op_sel_hi:[1,0]
	v_pk_add_f32 v[2:3], v[2:3], v[6:7]
	s_waitcnt vmcnt(4)
	v_pk_fma_f32 v[6:7], v[10:11], v[224:225], v[4:5] op_sel:[0,0,1] op_sel_hi:[1,1,0] neg_lo:[0,0,1] neg_hi:[0,0,1]
	v_pk_fma_f32 v[4:5], v[10:11], v[224:225], v[4:5] op_sel:[0,0,1] op_sel_hi:[1,0,0]
	s_waitcnt vmcnt(3)
	v_mov_b32_e32 v4, v223
	v_mov_b32_e32 v7, v5
	v_pk_mul_f32 v[4:5], v[12:13], v[4:5] op_sel_hi:[1,0]
	v_pk_add_f32 v[2:3], v[2:3], v[6:7]
	s_waitcnt vmcnt(2)
	v_pk_fma_f32 v[6:7], v[12:13], v[222:223], v[4:5] op_sel:[0,0,1] op_sel_hi:[1,1,0] neg_lo:[0,0,1] neg_hi:[0,0,1]
	v_pk_fma_f32 v[4:5], v[12:13], v[222:223], v[4:5] op_sel:[0,0,1] op_sel_hi:[1,0,0]
	s_waitcnt vmcnt(1)
	v_mov_b32_e32 v4, v221
	v_mov_b32_e32 v7, v5
	s_waitcnt lgkmcnt(0)
	v_pk_mul_f32 v[4:5], v[14:15], v[4:5] op_sel_hi:[1,0]
	v_pk_add_f32 v[2:3], v[2:3], v[6:7]
	s_waitcnt vmcnt(0)
	v_pk_fma_f32 v[6:7], v[14:15], v[220:221], v[4:5] op_sel:[0,0,1] op_sel_hi:[1,1,0] neg_lo:[0,0,1] neg_hi:[0,0,1]
	v_pk_fma_f32 v[4:5], v[14:15], v[220:221], v[4:5] op_sel:[0,0,1] op_sel_hi:[1,0,0]
	v_mov_b32_e32 v7, v5
	v_pk_add_f32 v[2:3], v[2:3], v[6:7]
	v_pk_add_f32 v[2:3], v[94:95], v[2:3] neg_lo:[0,1] neg_hi:[0,1]
	buffer_store_dword v3, off, s[0:3], 0 offset:36
	buffer_store_dword v2, off, s[0:3], 0 offset:32
	s_and_saveexec_b64 s[4:5], vcc
	s_cbranch_execz .LBB121_355
; %bb.354:
	buffer_load_dword v2, off, s[0:3], 0 offset:24
	buffer_load_dword v3, off, s[0:3], 0 offset:28
	s_waitcnt vmcnt(0)
	ds_write_b64 v175, v[2:3]
	buffer_store_dword v234, off, s[0:3], 0 offset:24
	buffer_store_dword v234, off, s[0:3], 0 offset:28
.LBB121_355:
	s_or_b64 exec, exec, s[4:5]
	s_waitcnt lgkmcnt(0)
	; wave barrier
	s_waitcnt lgkmcnt(0)
	buffer_load_dword v49, off, s[0:3], 0 offset:36
	buffer_load_dword v48, off, s[0:3], 0 offset:44
	;; [unrolled: 1-line block ×34, first 2 shown]
	ds_read_b128 v[30:33], v234 offset:496
	ds_read_b128 v[26:29], v234 offset:512
	ds_read_b128 v[22:25], v234 offset:528
	ds_read_b128 v[18:21], v234 offset:544
	ds_read_b128 v[14:17], v234 offset:560
	ds_read_b128 v[6:9], v234 offset:576
	buffer_load_dword v151, off, s[0:3], 0 offset:160
	buffer_load_dword v152, off, s[0:3], 0 offset:164
	ds_read_b128 v[10:13], v234 offset:592
	ds_read_b128 v[2:5], v234 offset:608
	buffer_load_dword v153, off, s[0:3], 0 offset:168
	buffer_load_dword v154, off, s[0:3], 0 offset:172
	;; [unrolled: 1-line block ×24, first 2 shown]
	v_cmp_lt_u32_e32 vcc, 2, v0
	s_waitcnt vmcnt(59) lgkmcnt(7)
	v_mul_f32_e32 v34, v30, v49
	s_waitcnt vmcnt(58)
	v_mul_f32_e32 v35, v32, v48
	s_waitcnt vmcnt(57) lgkmcnt(6)
	v_mul_f32_e32 v37, v28, v47
	s_waitcnt vmcnt(56) lgkmcnt(5)
	v_mul_f32_e32 v38, v22, v46
	s_waitcnt vmcnt(55)
	v_mul_f32_e32 v39, v24, v44
	s_waitcnt vmcnt(54)
	v_mul_f32_e32 v36, v26, v50
	s_waitcnt vmcnt(53) lgkmcnt(4)
	v_mul_f32_e32 v40, v18, v45
	s_waitcnt vmcnt(52)
	v_mul_f32_e32 v41, v20, v110
	s_waitcnt vmcnt(51) lgkmcnt(3)
	;; [unrolled: 4-line block ×3, first 2 shown]
	v_mul_f32_e32 v53, v6, v129
	s_waitcnt vmcnt(48)
	v_mul_f32_e32 v54, v8, v130
	s_waitcnt vmcnt(47)
	v_fmac_f32_e32 v36, v27, v131
	s_waitcnt vmcnt(46)
	v_fmac_f32_e32 v35, v33, v132
	s_waitcnt vmcnt(45)
	v_fmac_f32_e32 v34, v31, v133
	v_add_f32_e32 v34, 0, v34
	v_add_f32_e32 v34, v34, v35
	;; [unrolled: 1-line block ×3, first 2 shown]
	s_waitcnt vmcnt(41)
	v_fmac_f32_e32 v37, v29, v137
	v_fmac_f32_e32 v38, v23, v136
	v_add_f32_e32 v34, v34, v37
	v_fmac_f32_e32 v39, v25, v135
	v_add_f32_e32 v34, v34, v38
	;; [unrolled: 2-line block ×3, first 2 shown]
	s_waitcnt vmcnt(37)
	v_fmac_f32_e32 v41, v21, v141
	v_add_f32_e32 v34, v34, v40
	v_fmac_f32_e32 v51, v15, v140
	v_add_f32_e32 v34, v34, v41
	;; [unrolled: 2-line block ×4, first 2 shown]
	s_waitcnt vmcnt(33)
	v_fmac_f32_e32 v54, v9, v145
	v_add_f32_e32 v34, v34, v53
	s_waitcnt vmcnt(32) lgkmcnt(1)
	v_mul_f32_e32 v35, v10, v146
	v_add_f32_e32 v34, v34, v54
	v_fmac_f32_e32 v35, v11, v144
	v_add_f32_e32 v34, v34, v35
	s_waitcnt vmcnt(31)
	v_mul_f32_e32 v35, v12, v147
	v_fmac_f32_e32 v35, v13, v143
	v_add_f32_e32 v34, v34, v35
	s_waitcnt vmcnt(30) lgkmcnt(0)
	v_mul_f32_e32 v35, v2, v148
	v_fmac_f32_e32 v35, v3, v142
	v_add_f32_e32 v38, v34, v35
	ds_read_b128 v[34:37], v234 offset:624
	buffer_load_dword v223, off, s[0:3], 0 offset:264
	buffer_load_dword v224, off, s[0:3], 0 offset:268
	;; [unrolled: 1-line block ×4, first 2 shown]
	s_waitcnt vmcnt(32)
	v_mul_f32_e32 v39, v4, v150
	v_fmac_f32_e32 v39, v5, v149
	v_add_f32_e32 v51, v38, v39
	ds_read_b128 v[38:41], v234 offset:640
	buffer_load_dword v227, off, s[0:3], 0 offset:280
	buffer_load_dword v228, off, s[0:3], 0 offset:284
	;; [unrolled: 1-line block ×12, first 2 shown]
	s_waitcnt vmcnt(40) lgkmcnt(1)
	v_mul_f32_e32 v52, v34, v152
	v_fmac_f32_e32 v52, v35, v151
	buffer_load_dword v240, off, s[0:3], 0 offset:328
	buffer_load_dword v241, off, s[0:3], 0 offset:332
	v_add_f32_e32 v51, v51, v52
	s_waitcnt vmcnt(40)
	v_mul_f32_e32 v52, v36, v154
	v_fmac_f32_e32 v52, v37, v153
	buffer_load_dword v242, off, s[0:3], 0 offset:336
	buffer_load_dword v243, off, s[0:3], 0 offset:340
	v_add_f32_e32 v51, v51, v52
	s_waitcnt vmcnt(40) lgkmcnt(0)
	v_mul_f32_e32 v52, v38, v156
	v_fmac_f32_e32 v52, v39, v155
	v_add_f32_e32 v51, v51, v52
	ds_read_b128 v[52:55], v234 offset:656
	buffer_load_dword v244, off, s[0:3], 0 offset:344
	buffer_load_dword v245, off, s[0:3], 0 offset:348
	s_waitcnt vmcnt(40)
	v_mul_f32_e32 v56, v40, v158
	v_fmac_f32_e32 v56, v41, v157
	v_add_f32_e32 v51, v51, v56
	ds_read_b128 v[56:59], v234 offset:672
	buffer_load_dword v246, off, s[0:3], 0 offset:352
	buffer_load_dword v247, off, s[0:3], 0 offset:356
	;; [unrolled: 1-line block ×8, first 2 shown]
	s_waitcnt vmcnt(46) lgkmcnt(1)
	v_mul_f32_e32 v60, v52, v160
	v_fmac_f32_e32 v60, v53, v159
	v_add_f32_e32 v51, v51, v60
	s_waitcnt vmcnt(44)
	v_mul_f32_e32 v60, v54, v162
	v_fmac_f32_e32 v60, v55, v161
	v_add_f32_e32 v51, v51, v60
	s_waitcnt vmcnt(42) lgkmcnt(0)
	v_mul_f32_e32 v60, v56, v164
	v_fmac_f32_e32 v60, v57, v163
	v_add_f32_e32 v51, v51, v60
	buffer_load_dword v254, off, s[0:3], 0 offset:384
	buffer_load_dword v255, off, s[0:3], 0 offset:388
	;; [unrolled: 1-line block ×4, first 2 shown]
	ds_read_b128 v[60:63], v234 offset:688
	s_waitcnt vmcnt(44)
	v_mul_f32_e32 v64, v58, v166
	v_fmac_f32_e32 v64, v59, v165
	v_add_f32_e32 v51, v51, v64
	ds_read_b128 v[64:67], v234 offset:704
	s_waitcnt vmcnt(42) lgkmcnt(1)
	v_mul_f32_e32 v68, v60, v168
	v_fmac_f32_e32 v68, v61, v167
	v_add_f32_e32 v51, v51, v68
	s_waitcnt vmcnt(40)
	v_mul_f32_e32 v68, v62, v216
	v_fmac_f32_e32 v68, v63, v169
	v_add_f32_e32 v51, v51, v68
	s_waitcnt vmcnt(38) lgkmcnt(0)
	v_mul_f32_e32 v68, v64, v218
	v_fmac_f32_e32 v68, v65, v217
	v_add_f32_e32 v51, v51, v68
	ds_read_b128 v[68:71], v234 offset:720
	s_waitcnt vmcnt(36)
	v_mul_f32_e32 v72, v66, v220
	v_fmac_f32_e32 v72, v67, v219
	v_add_f32_e32 v51, v51, v72
	ds_read_b128 v[72:75], v234 offset:736
	s_waitcnt vmcnt(34) lgkmcnt(1)
	v_mul_f32_e32 v76, v68, v222
	v_fmac_f32_e32 v76, v69, v221
	v_add_f32_e32 v51, v51, v76
	v_mul_f32_e32 v31, v31, v49
	v_fma_f32 v30, v30, v133, -v31
	v_mul_f32_e32 v31, v33, v48
	v_add_f32_e32 v30, 0, v30
	v_fma_f32 v31, v32, v132, -v31
	v_mul_f32_e32 v27, v27, v50
	v_add_f32_e32 v30, v30, v31
	;; [unrolled: 3-line block ×4, first 2 shown]
	v_fma_f32 v22, v22, v136, -v23
	v_mul_f32_e32 v23, v25, v44
	s_waitcnt vmcnt(32)
	v_mul_f32_e32 v76, v70, v224
	v_fmac_f32_e32 v76, v71, v223
	v_add_f32_e32 v51, v51, v76
	s_waitcnt vmcnt(30) lgkmcnt(0)
	v_mul_f32_e32 v76, v72, v226
	v_fmac_f32_e32 v76, v73, v225
	v_add_f32_e32 v51, v51, v76
	ds_read_b128 v[76:79], v234 offset:752
	s_waitcnt vmcnt(28)
	v_mul_f32_e32 v80, v74, v228
	v_fmac_f32_e32 v80, v75, v227
	v_add_f32_e32 v51, v51, v80
	ds_read_b128 v[80:83], v234 offset:768
	s_waitcnt vmcnt(26) lgkmcnt(1)
	v_mul_f32_e32 v84, v76, v230
	v_fmac_f32_e32 v84, v77, v229
	v_add_f32_e32 v51, v51, v84
	s_waitcnt vmcnt(24)
	v_mul_f32_e32 v84, v78, v232
	v_fmac_f32_e32 v84, v79, v231
	v_add_f32_e32 v51, v51, v84
	s_waitcnt vmcnt(22) lgkmcnt(0)
	v_mul_f32_e32 v84, v80, v235
	v_fmac_f32_e32 v84, v81, v233
	v_add_f32_e32 v51, v51, v84
	ds_read_b128 v[84:87], v234 offset:784
	s_waitcnt vmcnt(20)
	v_mul_f32_e32 v88, v82, v237
	v_fmac_f32_e32 v88, v83, v236
	v_add_f32_e32 v51, v51, v88
	ds_read_b128 v[88:91], v234 offset:800
	s_waitcnt vmcnt(18) lgkmcnt(1)
	v_mul_f32_e32 v92, v84, v239
	v_fmac_f32_e32 v92, v85, v238
	v_add_f32_e32 v51, v51, v92
	s_waitcnt vmcnt(16)
	v_mul_f32_e32 v92, v86, v241
	v_fmac_f32_e32 v92, v87, v240
	v_add_f32_e32 v51, v51, v92
	s_waitcnt vmcnt(14) lgkmcnt(0)
	v_mul_f32_e32 v92, v88, v243
	v_fmac_f32_e32 v92, v89, v242
	v_add_f32_e32 v51, v51, v92
	ds_read_b128 v[92:95], v234 offset:816
	s_waitcnt vmcnt(12)
	v_mul_f32_e32 v96, v90, v245
	v_fmac_f32_e32 v96, v91, v244
	v_add_f32_e32 v51, v51, v96
	ds_read_b128 v[96:99], v234 offset:832
	buffer_load_dword v109, off, s[0:3], 0 offset:404
	buffer_load_dword v108, off, s[0:3], 0 offset:400
	s_waitcnt vmcnt(12) lgkmcnt(1)
	v_mul_f32_e32 v100, v92, v247
	v_fmac_f32_e32 v100, v93, v246
	v_add_f32_e32 v51, v51, v100
	s_waitcnt vmcnt(10)
	v_mul_f32_e32 v100, v94, v249
	v_fmac_f32_e32 v100, v95, v248
	v_add_f32_e32 v51, v51, v100
	s_waitcnt vmcnt(8) lgkmcnt(0)
	v_mul_f32_e32 v100, v96, v251
	v_fmac_f32_e32 v100, v97, v250
	s_waitcnt vmcnt(6)
	v_mul_f32_e32 v104, v98, v253
	v_add_f32_e32 v51, v51, v100
	v_fmac_f32_e32 v104, v99, v252
	ds_read_b128 v[100:103], v234 offset:848
	v_add_f32_e32 v51, v51, v104
	ds_read_b128 v[104:107], v234 offset:864
	buffer_load_dword v115, off, s[0:3], 0 offset:436
	buffer_load_dword v114, off, s[0:3], 0 offset:432
	;; [unrolled: 1-line block ×14, first 2 shown]
	v_add_f32_e32 v22, v26, v22
	v_fma_f32 v23, v24, v135, -v23
	v_mul_f32_e32 v19, v19, v45
	v_add_f32_e32 v22, v22, v23
	v_fma_f32 v18, v18, v134, -v19
	v_mul_f32_e32 v19, v21, v110
	;; [unrolled: 3-line block ×6, first 2 shown]
	v_add_f32_e32 v6, v14, v6
	v_fma_f32 v7, v8, v145, -v7
	v_add_f32_e32 v6, v6, v7
	v_mul_f32_e32 v7, v11, v146
	v_fma_f32 v7, v10, v144, -v7
	v_add_f32_e32 v6, v6, v7
	v_mul_f32_e32 v7, v13, v147
	v_fma_f32 v7, v12, v143, -v7
	v_mul_f32_e32 v3, v3, v148
	v_add_f32_e32 v6, v6, v7
	v_fma_f32 v2, v2, v142, -v3
	v_mul_f32_e32 v3, v5, v150
	v_add_f32_e32 v2, v6, v2
	v_fma_f32 v3, v4, v149, -v3
	v_add_f32_e32 v2, v2, v3
	v_mul_f32_e32 v3, v35, v152
	v_fma_f32 v3, v34, v151, -v3
	v_add_f32_e32 v2, v2, v3
	v_mul_f32_e32 v3, v37, v154
	v_fma_f32 v3, v36, v153, -v3
	v_add_f32_e32 v2, v2, v3
	v_mul_f32_e32 v3, v39, v156
	v_fma_f32 v3, v38, v155, -v3
	v_add_f32_e32 v2, v2, v3
	v_mul_f32_e32 v3, v41, v158
	v_fma_f32 v3, v40, v157, -v3
	v_add_f32_e32 v2, v2, v3
	v_mul_f32_e32 v3, v53, v160
	v_fma_f32 v3, v52, v159, -v3
	v_add_f32_e32 v2, v2, v3
	v_mul_f32_e32 v3, v55, v162
	v_fma_f32 v3, v54, v161, -v3
	v_add_f32_e32 v2, v2, v3
	v_mul_f32_e32 v3, v57, v164
	v_fma_f32 v3, v56, v163, -v3
	v_add_f32_e32 v2, v2, v3
	v_mul_f32_e32 v3, v59, v166
	v_fma_f32 v3, v58, v165, -v3
	v_add_f32_e32 v2, v2, v3
	v_mul_f32_e32 v3, v61, v168
	v_fma_f32 v3, v60, v167, -v3
	v_add_f32_e32 v2, v2, v3
	v_mul_f32_e32 v3, v63, v216
	v_fma_f32 v3, v62, v169, -v3
	v_add_f32_e32 v2, v2, v3
	v_mul_f32_e32 v3, v65, v218
	v_fma_f32 v3, v64, v217, -v3
	v_add_f32_e32 v2, v2, v3
	v_mul_f32_e32 v3, v67, v220
	v_fma_f32 v3, v66, v219, -v3
	v_add_f32_e32 v2, v2, v3
	v_mul_f32_e32 v3, v69, v222
	v_fma_f32 v3, v68, v221, -v3
	v_add_f32_e32 v2, v2, v3
	v_mul_f32_e32 v3, v71, v224
	v_fma_f32 v3, v70, v223, -v3
	v_add_f32_e32 v2, v2, v3
	v_mul_f32_e32 v3, v73, v226
	v_fma_f32 v3, v72, v225, -v3
	v_add_f32_e32 v2, v2, v3
	v_mul_f32_e32 v3, v75, v228
	v_fma_f32 v3, v74, v227, -v3
	v_add_f32_e32 v2, v2, v3
	v_mul_f32_e32 v3, v77, v230
	v_fma_f32 v3, v76, v229, -v3
	v_add_f32_e32 v2, v2, v3
	v_mul_f32_e32 v3, v79, v232
	v_fma_f32 v3, v78, v231, -v3
	v_add_f32_e32 v2, v2, v3
	v_mul_f32_e32 v3, v81, v235
	v_fma_f32 v3, v80, v233, -v3
	v_add_f32_e32 v2, v2, v3
	v_mul_f32_e32 v3, v83, v237
	v_fma_f32 v3, v82, v236, -v3
	v_add_f32_e32 v2, v2, v3
	v_mul_f32_e32 v3, v85, v239
	v_fma_f32 v3, v84, v238, -v3
	v_add_f32_e32 v2, v2, v3
	v_mul_f32_e32 v3, v87, v241
	v_fma_f32 v3, v86, v240, -v3
	v_add_f32_e32 v2, v2, v3
	v_mul_f32_e32 v3, v89, v243
	v_fma_f32 v3, v88, v242, -v3
	v_add_f32_e32 v2, v2, v3
	v_mul_f32_e32 v3, v91, v245
	v_fma_f32 v3, v90, v244, -v3
	v_add_f32_e32 v2, v2, v3
	v_mul_f32_e32 v3, v93, v247
	v_fma_f32 v3, v92, v246, -v3
	v_add_f32_e32 v2, v2, v3
	v_mul_f32_e32 v3, v95, v249
	v_fma_f32 v3, v94, v248, -v3
	v_add_f32_e32 v2, v2, v3
	v_mul_f32_e32 v3, v97, v251
	v_fma_f32 v3, v96, v250, -v3
	v_add_f32_e32 v2, v2, v3
	v_mul_f32_e32 v3, v99, v253
	v_fma_f32 v3, v98, v252, -v3
	s_waitcnt vmcnt(15)
	v_mov_b32_e32 v16, v109
	s_waitcnt lgkmcnt(1)
	v_mul_f32_e32 v111, v100, v255
	v_add_f32_e32 v50, v2, v3
	v_mul_f32_e32 v2, v101, v255
	s_waitcnt lgkmcnt(0)
	v_pk_mul_f32 v[16:17], v[104:105], v[16:17] op_sel_hi:[1,0]
	v_fmac_f32_e32 v111, v101, v254
	v_mul_f32_e32 v113, v102, v170
	v_fma_f32 v110, v100, v254, -v2
	v_mul_f32_e32 v2, v103, v170
	s_waitcnt vmcnt(14)
	v_pk_fma_f32 v[18:19], v[104:105], v[108:109], v[16:17] op_sel:[0,0,1] op_sel_hi:[1,1,0] neg_lo:[0,0,1] neg_hi:[0,0,1]
	v_pk_fma_f32 v[16:17], v[104:105], v[108:109], v[16:17] op_sel:[0,0,1] op_sel_hi:[1,0,0]
	v_fmac_f32_e32 v113, v103, v1
	v_fma_f32 v112, v102, v1, -v2
	v_pk_add_f32 v[14:15], v[50:51], v[110:111]
	s_waitcnt vmcnt(7)
	v_mov_b32_e32 v16, v121
	ds_read_b128 v[2:5], v234 offset:880
	ds_read_b128 v[6:9], v234 offset:896
	;; [unrolled: 1-line block ×3, first 2 shown]
	v_pk_add_f32 v[14:15], v[14:15], v[112:113]
	v_mov_b32_e32 v19, v17
	v_pk_mul_f32 v[16:17], v[106:107], v[16:17] op_sel_hi:[1,0]
	v_pk_add_f32 v[14:15], v[14:15], v[18:19]
	s_waitcnt vmcnt(6)
	v_pk_fma_f32 v[18:19], v[106:107], v[120:121], v[16:17] op_sel:[0,0,1] op_sel_hi:[1,1,0] neg_lo:[0,0,1] neg_hi:[0,0,1]
	v_pk_fma_f32 v[16:17], v[106:107], v[120:121], v[16:17] op_sel:[0,0,1] op_sel_hi:[1,0,0]
	v_mov_b32_e32 v16, v119
	v_mov_b32_e32 v19, v17
	s_waitcnt lgkmcnt(2)
	v_pk_mul_f32 v[16:17], v[2:3], v[16:17] op_sel_hi:[1,0]
	v_pk_add_f32 v[14:15], v[14:15], v[18:19]
	v_pk_fma_f32 v[18:19], v[2:3], v[118:119], v[16:17] op_sel:[0,0,1] op_sel_hi:[1,1,0] neg_lo:[0,0,1] neg_hi:[0,0,1]
	v_pk_fma_f32 v[2:3], v[2:3], v[118:119], v[16:17] op_sel:[0,0,1] op_sel_hi:[1,0,0]
	v_mov_b32_e32 v19, v3
	v_pk_add_f32 v[2:3], v[14:15], v[18:19]
	v_mov_b32_e32 v14, v117
	v_pk_mul_f32 v[14:15], v[4:5], v[14:15] op_sel_hi:[1,0]
	v_pk_fma_f32 v[16:17], v[4:5], v[116:117], v[14:15] op_sel:[0,0,1] op_sel_hi:[1,1,0] neg_lo:[0,0,1] neg_hi:[0,0,1]
	v_pk_fma_f32 v[4:5], v[4:5], v[116:117], v[14:15] op_sel:[0,0,1] op_sel_hi:[1,0,0]
	v_mov_b32_e32 v4, v115
	v_mov_b32_e32 v17, v5
	s_waitcnt lgkmcnt(1)
	v_pk_mul_f32 v[4:5], v[6:7], v[4:5] op_sel_hi:[1,0]
	v_pk_fma_f32 v[14:15], v[6:7], v[114:115], v[4:5] op_sel:[0,0,1] op_sel_hi:[1,1,0] neg_lo:[0,0,1] neg_hi:[0,0,1]
	v_pk_fma_f32 v[4:5], v[6:7], v[114:115], v[4:5] op_sel:[0,0,1] op_sel_hi:[1,0,0]
	s_waitcnt vmcnt(1)
	v_mov_b32_e32 v4, v127
	v_mov_b32_e32 v15, v5
	v_pk_mul_f32 v[4:5], v[8:9], v[4:5] op_sel_hi:[1,0]
	s_waitcnt vmcnt(0)
	v_pk_fma_f32 v[6:7], v[8:9], v[126:127], v[4:5] op_sel:[0,0,1] op_sel_hi:[1,1,0] neg_lo:[0,0,1] neg_hi:[0,0,1]
	v_pk_fma_f32 v[4:5], v[8:9], v[126:127], v[4:5] op_sel:[0,0,1] op_sel_hi:[1,0,0]
	v_pk_add_f32 v[2:3], v[2:3], v[16:17]
	v_mov_b32_e32 v4, v125
	v_pk_add_f32 v[2:3], v[2:3], v[14:15]
	v_mov_b32_e32 v7, v5
	s_waitcnt lgkmcnt(0)
	v_pk_mul_f32 v[4:5], v[10:11], v[4:5] op_sel_hi:[1,0]
	v_pk_add_f32 v[2:3], v[2:3], v[6:7]
	v_pk_fma_f32 v[6:7], v[10:11], v[124:125], v[4:5] op_sel:[0,0,1] op_sel_hi:[1,1,0] neg_lo:[0,0,1] neg_hi:[0,0,1]
	v_pk_fma_f32 v[4:5], v[10:11], v[124:125], v[4:5] op_sel:[0,0,1] op_sel_hi:[1,0,0]
	v_mov_b32_e32 v4, v123
	v_mov_b32_e32 v7, v5
	v_pk_mul_f32 v[4:5], v[12:13], v[4:5] op_sel_hi:[1,0]
	v_pk_add_f32 v[2:3], v[2:3], v[6:7]
	v_pk_fma_f32 v[6:7], v[12:13], v[122:123], v[4:5] op_sel:[0,0,1] op_sel_hi:[1,1,0] neg_lo:[0,0,1] neg_hi:[0,0,1]
	v_pk_fma_f32 v[4:5], v[12:13], v[122:123], v[4:5] op_sel:[0,0,1] op_sel_hi:[1,0,0]
	v_mov_b32_e32 v7, v5
	v_pk_add_f32 v[2:3], v[2:3], v[6:7]
	v_pk_add_f32 v[2:3], v[42:43], v[2:3] neg_lo:[0,1] neg_hi:[0,1]
	buffer_store_dword v3, off, s[0:3], 0 offset:28
	buffer_store_dword v2, off, s[0:3], 0 offset:24
	s_and_saveexec_b64 s[4:5], vcc
	s_cbranch_execz .LBB121_357
; %bb.356:
	buffer_load_dword v2, off, s[0:3], 0 offset:16
	buffer_load_dword v3, off, s[0:3], 0 offset:20
	v_mov_b32_e32 v1, 0
	buffer_store_dword v1, off, s[0:3], 0 offset:16
	buffer_store_dword v1, off, s[0:3], 0 offset:20
	s_waitcnt vmcnt(2)
	ds_write_b64 v175, v[2:3]
.LBB121_357:
	s_or_b64 exec, exec, s[4:5]
	s_waitcnt lgkmcnt(0)
	; wave barrier
	s_waitcnt lgkmcnt(0)
	buffer_load_dword v58, off, s[0:3], 0 offset:28
	buffer_load_dword v57, off, s[0:3], 0 offset:36
	;; [unrolled: 1-line block ×48, first 2 shown]
	v_mov_b32_e32 v52, 0
	ds_read2_b64 v[22:25], v52 offset0:61 offset1:62
	ds_read2_b64 v[18:21], v52 offset0:63 offset1:64
	;; [unrolled: 1-line block ×6, first 2 shown]
	v_cmp_lt_u32_e32 vcc, 1, v0
	s_waitcnt vmcnt(47) lgkmcnt(5)
	v_mul_f32_e32 v26, v22, v58
	s_waitcnt vmcnt(46)
	v_mul_f32_e32 v27, v24, v57
	s_waitcnt vmcnt(45) lgkmcnt(4)
	v_mul_f32_e32 v29, v20, v56
	s_waitcnt vmcnt(44) lgkmcnt(3)
	v_mul_f32_e32 v30, v14, v55
	s_waitcnt vmcnt(43)
	v_mul_f32_e32 v31, v16, v53
	s_waitcnt vmcnt(42)
	v_mul_f32_e32 v28, v18, v59
	s_waitcnt vmcnt(41) lgkmcnt(2)
	v_mul_f32_e32 v32, v10, v54
	s_waitcnt vmcnt(40)
	v_mul_f32_e32 v33, v12, v60
	s_waitcnt vmcnt(39) lgkmcnt(1)
	v_mul_f32_e32 v34, v6, v61
	s_waitcnt vmcnt(38)
	v_mul_f32_e32 v35, v8, v62
	s_waitcnt vmcnt(37) lgkmcnt(0)
	v_mul_f32_e32 v36, v2, v63
	s_waitcnt vmcnt(36)
	v_mul_f32_e32 v37, v4, v64
	s_waitcnt vmcnt(35)
	v_fmac_f32_e32 v28, v19, v70
	s_waitcnt vmcnt(34)
	v_fmac_f32_e32 v27, v25, v73
	;; [unrolled: 2-line block ×3, first 2 shown]
	v_add_f32_e32 v26, 0, v26
	v_add_f32_e32 v26, v26, v27
	;; [unrolled: 1-line block ×3, first 2 shown]
	s_waitcnt vmcnt(29)
	v_fmac_f32_e32 v29, v21, v75
	v_fmac_f32_e32 v30, v15, v72
	v_add_f32_e32 v26, v26, v29
	v_fmac_f32_e32 v31, v17, v69
	v_add_f32_e32 v26, v26, v30
	;; [unrolled: 2-line block ×3, first 2 shown]
	s_waitcnt vmcnt(25)
	v_fmac_f32_e32 v33, v13, v71
	v_add_f32_e32 v26, v26, v32
	v_fmac_f32_e32 v34, v7, v68
	v_add_f32_e32 v26, v26, v33
	;; [unrolled: 2-line block ×4, first 2 shown]
	s_waitcnt vmcnt(21)
	v_fmac_f32_e32 v37, v5, v82
	v_add_f32_e32 v30, v30, v36
	ds_read2_b64 v[26:29], v52 offset0:73 offset1:74
	v_add_f32_e32 v34, v30, v37
	ds_read2_b64 v[30:33], v52 offset0:75 offset1:76
	buffer_load_dword v165, off, s[0:3], 0 offset:208
	buffer_load_dword v166, off, s[0:3], 0 offset:212
	;; [unrolled: 1-line block ×6, first 2 shown]
	s_waitcnt vmcnt(26) lgkmcnt(1)
	v_mul_f32_e32 v35, v26, v81
	v_fmac_f32_e32 v35, v27, v79
	buffer_load_dword v171, off, s[0:3], 0 offset:232
	buffer_load_dword v216, off, s[0:3], 0 offset:236
	v_add_f32_e32 v34, v34, v35
	s_waitcnt vmcnt(27)
	v_mul_f32_e32 v35, v28, v80
	v_fmac_f32_e32 v35, v29, v77
	v_add_f32_e32 v34, v34, v35
	s_waitcnt vmcnt(26) lgkmcnt(0)
	v_mul_f32_e32 v35, v30, v78
	v_fmac_f32_e32 v35, v31, v74
	buffer_load_dword v217, off, s[0:3], 0 offset:240
	buffer_load_dword v218, off, s[0:3], 0 offset:244
	v_add_f32_e32 v34, v34, v35
	s_waitcnt vmcnt(21)
	v_mul_f32_e32 v35, v32, v1
	s_waitcnt vmcnt(20)
	v_fmac_f32_e32 v35, v33, v138
	v_add_f32_e32 v42, v34, v35
	ds_read2_b64 v[34:37], v52 offset0:77 offset1:78
	buffer_load_dword v219, off, s[0:3], 0 offset:248
	buffer_load_dword v220, off, s[0:3], 0 offset:252
	ds_read2_b64 v[38:41], v52 offset0:79 offset1:80
	buffer_load_dword v221, off, s[0:3], 0 offset:256
	buffer_load_dword v222, off, s[0:3], 0 offset:260
	;; [unrolled: 1-line block ×12, first 2 shown]
	s_waitcnt lgkmcnt(1)
	v_mul_f32_e32 v43, v34, v84
	v_fmac_f32_e32 v43, v35, v83
	buffer_load_dword v233, off, s[0:3], 0 offset:304
	buffer_load_dword v234, off, s[0:3], 0 offset:308
	v_add_f32_e32 v42, v42, v43
	v_mul_f32_e32 v43, v36, v86
	v_fmac_f32_e32 v43, v37, v85
	v_add_f32_e32 v42, v42, v43
	s_waitcnt lgkmcnt(0)
	v_mul_f32_e32 v43, v38, v88
	buffer_load_dword v235, off, s[0:3], 0 offset:312
	buffer_load_dword v236, off, s[0:3], 0 offset:316
	v_fmac_f32_e32 v43, v39, v87
	v_add_f32_e32 v46, v42, v43
	ds_read2_b64 v[42:45], v52 offset0:81 offset1:82
	buffer_load_dword v237, off, s[0:3], 0 offset:320
	buffer_load_dword v238, off, s[0:3], 0 offset:324
	;; [unrolled: 1-line block ×4, first 2 shown]
	s_waitcnt vmcnt(38)
	v_mul_f32_e32 v47, v40, v140
	v_fmac_f32_e32 v47, v41, v89
	v_add_f32_e32 v90, v46, v47
	ds_read2_b64 v[46:49], v52 offset0:83 offset1:84
	buffer_load_dword v241, off, s[0:3], 0 offset:336
	buffer_load_dword v242, off, s[0:3], 0 offset:340
	buffer_load_dword v243, off, s[0:3], 0 offset:344
	buffer_load_dword v244, off, s[0:3], 0 offset:348
	buffer_load_dword v245, off, s[0:3], 0 offset:352
	buffer_load_dword v246, off, s[0:3], 0 offset:356
	buffer_load_dword v247, off, s[0:3], 0 offset:360
	buffer_load_dword v248, off, s[0:3], 0 offset:364
	buffer_load_dword v249, off, s[0:3], 0 offset:368
	buffer_load_dword v250, off, s[0:3], 0 offset:372
	s_waitcnt vmcnt(46) lgkmcnt(1)
	v_mul_f32_e32 v91, v42, v160
	v_fmac_f32_e32 v91, v43, v142
	v_add_f32_e32 v90, v90, v91
	s_waitcnt vmcnt(44)
	v_mul_f32_e32 v91, v44, v162
	v_fmac_f32_e32 v91, v45, v161
	v_add_f32_e32 v90, v90, v91
	s_waitcnt vmcnt(42) lgkmcnt(0)
	v_mul_f32_e32 v91, v46, v164
	v_fmac_f32_e32 v91, v47, v163
	v_add_f32_e32 v94, v90, v91
	buffer_load_dword v251, off, s[0:3], 0 offset:376
	buffer_load_dword v252, off, s[0:3], 0 offset:380
	;; [unrolled: 1-line block ×6, first 2 shown]
	ds_read2_b64 v[90:93], v52 offset0:85 offset1:86
	v_mul_f32_e32 v23, v23, v58
	v_fma_f32 v22, v22, v76, -v23
	v_mul_f32_e32 v23, v25, v57
	v_add_f32_e32 v22, 0, v22
	v_fma_f32 v23, v24, v73, -v23
	v_mul_f32_e32 v19, v19, v59
	v_add_f32_e32 v22, v22, v23
	v_fma_f32 v18, v18, v70, -v19
	v_mul_f32_e32 v19, v21, v56
	v_add_f32_e32 v18, v22, v18
	v_fma_f32 v19, v20, v75, -v19
	v_mul_f32_e32 v15, v15, v55
	v_add_f32_e32 v18, v18, v19
	v_fma_f32 v14, v14, v72, -v15
	v_mul_f32_e32 v15, v17, v53
	v_add_f32_e32 v14, v18, v14
	v_fma_f32 v15, v16, v69, -v15
	v_mul_f32_e32 v11, v11, v54
	v_add_f32_e32 v14, v14, v15
	v_fma_f32 v10, v10, v67, -v11
	s_waitcnt vmcnt(46)
	v_mul_f32_e32 v95, v48, v166
	v_fmac_f32_e32 v95, v49, v165
	v_add_f32_e32 v98, v94, v95
	ds_read2_b64 v[94:97], v52 offset0:87 offset1:88
	s_waitcnt vmcnt(44) lgkmcnt(1)
	v_mul_f32_e32 v99, v90, v168
	v_fmac_f32_e32 v99, v91, v167
	v_add_f32_e32 v98, v98, v99
	s_waitcnt vmcnt(42)
	v_mul_f32_e32 v99, v92, v170
	v_fmac_f32_e32 v99, v93, v169
	v_add_f32_e32 v98, v98, v99
	s_waitcnt vmcnt(40) lgkmcnt(0)
	v_mul_f32_e32 v99, v94, v216
	v_fmac_f32_e32 v99, v95, v171
	v_add_f32_e32 v102, v98, v99
	ds_read2_b64 v[98:101], v52 offset0:89 offset1:90
	s_waitcnt vmcnt(38)
	v_mul_f32_e32 v103, v96, v218
	v_fmac_f32_e32 v103, v97, v217
	v_add_f32_e32 v106, v102, v103
	ds_read2_b64 v[102:105], v52 offset0:91 offset1:92
	s_waitcnt vmcnt(36) lgkmcnt(1)
	v_mul_f32_e32 v107, v98, v220
	v_fmac_f32_e32 v107, v99, v219
	v_add_f32_e32 v106, v106, v107
	s_waitcnt vmcnt(34)
	v_mul_f32_e32 v107, v100, v222
	v_fmac_f32_e32 v107, v101, v221
	v_add_f32_e32 v106, v106, v107
	s_waitcnt vmcnt(32) lgkmcnt(0)
	v_mul_f32_e32 v107, v102, v224
	v_fmac_f32_e32 v107, v103, v223
	v_add_f32_e32 v110, v106, v107
	ds_read2_b64 v[106:109], v52 offset0:93 offset1:94
	;; [unrolled: 18-line block ×4, first 2 shown]
	s_waitcnt vmcnt(14)
	v_mul_f32_e32 v127, v120, v242
	v_fmac_f32_e32 v127, v121, v241
	v_add_f32_e32 v130, v126, v127
	ds_read2_b64 v[126:129], v52 offset0:103 offset1:104
	s_waitcnt vmcnt(12) lgkmcnt(1)
	v_mul_f32_e32 v131, v122, v244
	v_fmac_f32_e32 v131, v123, v243
	v_add_f32_e32 v130, v130, v131
	s_waitcnt vmcnt(10)
	v_mul_f32_e32 v131, v124, v246
	v_fmac_f32_e32 v131, v125, v245
	v_add_f32_e32 v130, v130, v131
	s_waitcnt vmcnt(8) lgkmcnt(0)
	v_mul_f32_e32 v131, v126, v248
	v_fmac_f32_e32 v131, v127, v247
	s_waitcnt vmcnt(6)
	v_mul_f32_e32 v135, v128, v250
	v_add_f32_e32 v134, v130, v131
	v_fmac_f32_e32 v135, v129, v249
	ds_read2_b64 v[130:133], v52 offset0:105 offset1:106
	v_add_f32_e32 v139, v134, v135
	ds_read2_b64 v[134:137], v52 offset0:107 offset1:108
	buffer_load_dword v145, off, s[0:3], 0 offset:428
	buffer_load_dword v144, off, s[0:3], 0 offset:424
	;; [unrolled: 1-line block ×16, first 2 shown]
	v_mul_f32_e32 v11, v13, v60
	v_add_f32_e32 v10, v14, v10
	v_fma_f32 v11, v12, v71, -v11
	v_mul_f32_e32 v7, v7, v61
	v_add_f32_e32 v10, v10, v11
	v_fma_f32 v6, v6, v68, -v7
	;; [unrolled: 3-line block ×5, first 2 shown]
	v_add_f32_e32 v2, v2, v3
	v_mul_f32_e32 v3, v27, v81
	v_fma_f32 v3, v26, v79, -v3
	v_add_f32_e32 v2, v2, v3
	v_mul_f32_e32 v3, v29, v80
	v_fma_f32 v3, v28, v77, -v3
	;; [unrolled: 3-line block ×3, first 2 shown]
	v_mul_f32_e32 v1, v33, v1
	v_add_f32_e32 v2, v2, v3
	v_fma_f32 v1, v32, v138, -v1
	v_add_f32_e32 v1, v2, v1
	v_mul_f32_e32 v2, v35, v84
	v_fma_f32 v2, v34, v83, -v2
	v_add_f32_e32 v1, v1, v2
	v_mul_f32_e32 v2, v37, v86
	v_fma_f32 v2, v36, v85, -v2
	v_add_f32_e32 v1, v1, v2
	v_mul_f32_e32 v2, v39, v88
	v_fma_f32 v2, v38, v87, -v2
	v_add_f32_e32 v1, v1, v2
	v_mul_f32_e32 v2, v41, v140
	v_fma_f32 v2, v40, v89, -v2
	v_add_f32_e32 v1, v1, v2
	v_mul_f32_e32 v2, v43, v160
	v_fma_f32 v2, v42, v142, -v2
	v_add_f32_e32 v1, v1, v2
	v_mul_f32_e32 v2, v45, v162
	v_fma_f32 v2, v44, v161, -v2
	v_add_f32_e32 v1, v1, v2
	v_mul_f32_e32 v2, v47, v164
	v_fma_f32 v2, v46, v163, -v2
	v_add_f32_e32 v1, v1, v2
	v_mul_f32_e32 v2, v49, v166
	v_fma_f32 v2, v48, v165, -v2
	v_add_f32_e32 v1, v1, v2
	v_mul_f32_e32 v2, v91, v168
	v_fma_f32 v2, v90, v167, -v2
	v_add_f32_e32 v1, v1, v2
	v_mul_f32_e32 v2, v93, v170
	v_fma_f32 v2, v92, v169, -v2
	v_add_f32_e32 v1, v1, v2
	v_mul_f32_e32 v2, v95, v216
	v_fma_f32 v2, v94, v171, -v2
	v_add_f32_e32 v1, v1, v2
	v_mul_f32_e32 v2, v97, v218
	v_fma_f32 v2, v96, v217, -v2
	v_add_f32_e32 v1, v1, v2
	v_mul_f32_e32 v2, v99, v220
	v_fma_f32 v2, v98, v219, -v2
	v_add_f32_e32 v1, v1, v2
	v_mul_f32_e32 v2, v101, v222
	v_fma_f32 v2, v100, v221, -v2
	v_add_f32_e32 v1, v1, v2
	v_mul_f32_e32 v2, v103, v224
	v_fma_f32 v2, v102, v223, -v2
	v_add_f32_e32 v1, v1, v2
	v_mul_f32_e32 v2, v105, v226
	v_fma_f32 v2, v104, v225, -v2
	v_add_f32_e32 v1, v1, v2
	v_mul_f32_e32 v2, v107, v228
	v_fma_f32 v2, v106, v227, -v2
	v_add_f32_e32 v1, v1, v2
	v_mul_f32_e32 v2, v109, v230
	v_fma_f32 v2, v108, v229, -v2
	v_add_f32_e32 v1, v1, v2
	v_mul_f32_e32 v2, v111, v232
	v_fma_f32 v2, v110, v231, -v2
	v_add_f32_e32 v1, v1, v2
	v_mul_f32_e32 v2, v113, v234
	v_fma_f32 v2, v112, v233, -v2
	v_add_f32_e32 v1, v1, v2
	v_mul_f32_e32 v2, v115, v236
	v_fma_f32 v2, v114, v235, -v2
	v_add_f32_e32 v1, v1, v2
	v_mul_f32_e32 v2, v117, v238
	v_fma_f32 v2, v116, v237, -v2
	v_add_f32_e32 v1, v1, v2
	v_mul_f32_e32 v2, v119, v240
	v_fma_f32 v2, v118, v239, -v2
	v_add_f32_e32 v1, v1, v2
	v_mul_f32_e32 v2, v121, v242
	v_fma_f32 v2, v120, v241, -v2
	v_add_f32_e32 v1, v1, v2
	v_mul_f32_e32 v2, v123, v244
	v_fma_f32 v2, v122, v243, -v2
	v_add_f32_e32 v1, v1, v2
	v_mul_f32_e32 v2, v125, v246
	v_fma_f32 v2, v124, v245, -v2
	v_add_f32_e32 v1, v1, v2
	v_mul_f32_e32 v2, v127, v248
	v_fma_f32 v2, v126, v247, -v2
	v_add_f32_e32 v1, v1, v2
	v_mul_f32_e32 v2, v129, v250
	v_fma_f32 v2, v128, v249, -v2
	s_waitcnt vmcnt(20) lgkmcnt(1)
	v_mul_f32_e32 v141, v130, v252
	v_add_f32_e32 v1, v1, v2
	v_mul_f32_e32 v2, v131, v252
	v_fmac_f32_e32 v141, v131, v251
	v_fma_f32 v2, v130, v251, -v2
	s_waitcnt vmcnt(9)
	v_mov_b32_e32 v18, v151
	v_add_f32_e32 v139, v139, v141
	v_mul_f32_e32 v141, v132, v254
	v_add_f32_e32 v138, v1, v2
	v_mul_f32_e32 v1, v133, v254
	s_waitcnt lgkmcnt(0)
	v_pk_mul_f32 v[18:19], v[136:137], v[18:19] op_sel_hi:[1,0]
	v_fmac_f32_e32 v141, v133, v253
	v_mul_f32_e32 v143, v134, v172
	v_fma_f32 v140, v132, v253, -v1
	v_mul_f32_e32 v1, v135, v172
	ds_read2_b64 v[2:5], v52 offset0:109 offset1:110
	ds_read2_b64 v[6:9], v52 offset0:111 offset1:112
	;; [unrolled: 1-line block ×3, first 2 shown]
	ds_read_b64 v[14:15], v52 offset:920
	s_waitcnt vmcnt(8)
	v_pk_fma_f32 v[20:21], v[136:137], v[150:151], v[18:19] op_sel:[0,0,1] op_sel_hi:[1,1,0] neg_lo:[0,0,1] neg_hi:[0,0,1]
	v_pk_fma_f32 v[18:19], v[136:137], v[150:151], v[18:19] op_sel:[0,0,1] op_sel_hi:[1,0,0]
	v_fmac_f32_e32 v143, v135, v255
	v_fma_f32 v142, v134, v255, -v1
	v_pk_add_f32 v[16:17], v[138:139], v[140:141]
	v_mov_b32_e32 v18, v149
	v_pk_add_f32 v[16:17], v[16:17], v[142:143]
	v_mov_b32_e32 v21, v19
	s_waitcnt lgkmcnt(3)
	v_pk_mul_f32 v[18:19], v[2:3], v[18:19] op_sel_hi:[1,0]
	v_pk_add_f32 v[16:17], v[16:17], v[20:21]
	v_pk_fma_f32 v[20:21], v[2:3], v[148:149], v[18:19] op_sel:[0,0,1] op_sel_hi:[1,1,0] neg_lo:[0,0,1] neg_hi:[0,0,1]
	v_pk_fma_f32 v[2:3], v[2:3], v[148:149], v[18:19] op_sel:[0,0,1] op_sel_hi:[1,0,0]
	v_mov_b32_e32 v21, v3
	v_pk_add_f32 v[2:3], v[16:17], v[20:21]
	v_mov_b32_e32 v16, v147
	v_pk_mul_f32 v[16:17], v[4:5], v[16:17] op_sel_hi:[1,0]
	v_pk_fma_f32 v[18:19], v[4:5], v[146:147], v[16:17] op_sel:[0,0,1] op_sel_hi:[1,1,0] neg_lo:[0,0,1] neg_hi:[0,0,1]
	v_pk_fma_f32 v[4:5], v[4:5], v[146:147], v[16:17] op_sel:[0,0,1] op_sel_hi:[1,0,0]
	v_mov_b32_e32 v4, v145
	v_mov_b32_e32 v19, v5
	s_waitcnt lgkmcnt(2)
	v_pk_mul_f32 v[4:5], v[6:7], v[4:5] op_sel_hi:[1,0]
	v_pk_fma_f32 v[16:17], v[6:7], v[144:145], v[4:5] op_sel:[0,0,1] op_sel_hi:[1,1,0] neg_lo:[0,0,1] neg_hi:[0,0,1]
	v_pk_fma_f32 v[4:5], v[6:7], v[144:145], v[4:5] op_sel:[0,0,1] op_sel_hi:[1,0,0]
	s_waitcnt vmcnt(1)
	v_mov_b32_e32 v4, v159
	v_mov_b32_e32 v17, v5
	v_pk_mul_f32 v[4:5], v[8:9], v[4:5] op_sel_hi:[1,0]
	s_waitcnt vmcnt(0)
	v_pk_fma_f32 v[6:7], v[8:9], v[158:159], v[4:5] op_sel:[0,0,1] op_sel_hi:[1,1,0] neg_lo:[0,0,1] neg_hi:[0,0,1]
	v_pk_fma_f32 v[4:5], v[8:9], v[158:159], v[4:5] op_sel:[0,0,1] op_sel_hi:[1,0,0]
	v_pk_add_f32 v[2:3], v[2:3], v[18:19]
	v_mov_b32_e32 v4, v157
	v_pk_add_f32 v[2:3], v[2:3], v[16:17]
	v_mov_b32_e32 v7, v5
	s_waitcnt lgkmcnt(1)
	v_pk_mul_f32 v[4:5], v[10:11], v[4:5] op_sel_hi:[1,0]
	v_pk_add_f32 v[2:3], v[2:3], v[6:7]
	v_pk_fma_f32 v[6:7], v[10:11], v[156:157], v[4:5] op_sel:[0,0,1] op_sel_hi:[1,1,0] neg_lo:[0,0,1] neg_hi:[0,0,1]
	v_pk_fma_f32 v[4:5], v[10:11], v[156:157], v[4:5] op_sel:[0,0,1] op_sel_hi:[1,0,0]
	v_mov_b32_e32 v4, v155
	v_mov_b32_e32 v7, v5
	v_pk_mul_f32 v[4:5], v[12:13], v[4:5] op_sel_hi:[1,0]
	v_pk_add_f32 v[2:3], v[2:3], v[6:7]
	v_pk_fma_f32 v[6:7], v[12:13], v[154:155], v[4:5] op_sel:[0,0,1] op_sel_hi:[1,1,0] neg_lo:[0,0,1] neg_hi:[0,0,1]
	v_pk_fma_f32 v[4:5], v[12:13], v[154:155], v[4:5] op_sel:[0,0,1] op_sel_hi:[1,0,0]
	v_mov_b32_e32 v4, v153
	v_mov_b32_e32 v7, v5
	s_waitcnt lgkmcnt(0)
	v_pk_mul_f32 v[4:5], v[14:15], v[4:5] op_sel_hi:[1,0]
	v_pk_add_f32 v[2:3], v[2:3], v[6:7]
	v_pk_fma_f32 v[6:7], v[14:15], v[152:153], v[4:5] op_sel:[0,0,1] op_sel_hi:[1,1,0] neg_lo:[0,0,1] neg_hi:[0,0,1]
	v_pk_fma_f32 v[4:5], v[14:15], v[152:153], v[4:5] op_sel:[0,0,1] op_sel_hi:[1,0,0]
	v_mov_b32_e32 v7, v5
	v_pk_add_f32 v[2:3], v[2:3], v[6:7]
	v_pk_add_f32 v[2:3], v[50:51], v[2:3] neg_lo:[0,1] neg_hi:[0,1]
	buffer_store_dword v3, off, s[0:3], 0 offset:20
	buffer_store_dword v2, off, s[0:3], 0 offset:16
	s_and_saveexec_b64 s[4:5], vcc
	s_cbranch_execz .LBB121_359
; %bb.358:
	buffer_load_dword v2, off, s[0:3], 0 offset:8
	buffer_load_dword v3, off, s[0:3], 0 offset:12
	s_waitcnt vmcnt(0)
	ds_write_b64 v175, v[2:3]
	buffer_store_dword v52, off, s[0:3], 0 offset:8
	buffer_store_dword v52, off, s[0:3], 0 offset:12
.LBB121_359:
	s_or_b64 exec, exec, s[4:5]
	s_waitcnt lgkmcnt(0)
	; wave barrier
	s_waitcnt lgkmcnt(0)
	buffer_load_dword v58, off, s[0:3], 0 offset:20
	buffer_load_dword v57, off, s[0:3], 0 offset:28
	;; [unrolled: 1-line block ×40, first 2 shown]
	ds_read_b128 v[26:29], v52 offset:480
	ds_read_b128 v[22:25], v52 offset:496
	;; [unrolled: 1-line block ×7, first 2 shown]
	buffer_load_dword v91, off, s[0:3], 0 offset:168
	buffer_load_dword v92, off, s[0:3], 0 offset:172
	;; [unrolled: 1-line block ×10, first 2 shown]
	v_cmp_ne_u32_e32 vcc, 0, v0
	s_waitcnt vmcnt(49) lgkmcnt(6)
	v_mul_f32_e32 v30, v26, v58
	s_waitcnt vmcnt(48)
	v_mul_f32_e32 v31, v28, v57
	s_waitcnt vmcnt(47) lgkmcnt(5)
	v_mul_f32_e32 v33, v24, v56
	s_waitcnt vmcnt(46) lgkmcnt(4)
	v_mul_f32_e32 v34, v18, v55
	s_waitcnt vmcnt(45)
	v_mul_f32_e32 v35, v20, v53
	s_waitcnt vmcnt(44)
	v_mul_f32_e32 v32, v22, v59
	s_waitcnt vmcnt(43) lgkmcnt(3)
	v_mul_f32_e32 v36, v14, v54
	s_waitcnt vmcnt(42)
	v_mul_f32_e32 v37, v16, v60
	s_waitcnt vmcnt(41) lgkmcnt(2)
	;; [unrolled: 4-line block ×3, first 2 shown]
	v_mul_f32_e32 v40, v6, v63
	s_waitcnt vmcnt(38)
	v_mul_f32_e32 v41, v8, v64
	s_waitcnt vmcnt(37)
	v_fmac_f32_e32 v32, v23, v70
	s_waitcnt vmcnt(36)
	v_fmac_f32_e32 v31, v29, v73
	;; [unrolled: 2-line block ×3, first 2 shown]
	v_add_f32_e32 v30, 0, v30
	v_add_f32_e32 v30, v30, v31
	;; [unrolled: 1-line block ×3, first 2 shown]
	s_waitcnt vmcnt(31)
	v_fmac_f32_e32 v33, v25, v75
	v_fmac_f32_e32 v34, v19, v72
	v_add_f32_e32 v30, v30, v33
	v_fmac_f32_e32 v35, v21, v69
	v_add_f32_e32 v30, v30, v34
	;; [unrolled: 2-line block ×3, first 2 shown]
	s_waitcnt vmcnt(27)
	v_fmac_f32_e32 v37, v17, v71
	v_add_f32_e32 v30, v30, v36
	v_fmac_f32_e32 v38, v11, v68
	v_add_f32_e32 v30, v30, v37
	;; [unrolled: 2-line block ×4, first 2 shown]
	s_waitcnt vmcnt(23)
	v_fmac_f32_e32 v41, v9, v82
	v_add_f32_e32 v30, v30, v40
	v_add_f32_e32 v34, v30, v41
	ds_read_b128 v[30:33], v52 offset:592
	buffer_load_dword v167, off, s[0:3], 0 offset:208
	buffer_load_dword v168, off, s[0:3], 0 offset:212
	s_waitcnt vmcnt(24) lgkmcnt(1)
	v_mul_f32_e32 v35, v2, v81
	buffer_load_dword v169, off, s[0:3], 0 offset:216
	buffer_load_dword v170, off, s[0:3], 0 offset:220
	v_fmac_f32_e32 v35, v3, v79
	v_add_f32_e32 v34, v34, v35
	s_waitcnt vmcnt(25)
	v_mul_f32_e32 v35, v4, v80
	buffer_load_dword v171, off, s[0:3], 0 offset:224
	buffer_load_dword v172, off, s[0:3], 0 offset:228
	v_fmac_f32_e32 v35, v5, v77
	v_add_f32_e32 v34, v34, v35
	s_waitcnt vmcnt(26) lgkmcnt(0)
	v_mul_f32_e32 v35, v30, v78
	v_fmac_f32_e32 v35, v31, v74
	v_add_f32_e32 v38, v34, v35
	ds_read_b128 v[34:37], v52 offset:608
	buffer_load_dword v173, off, s[0:3], 0 offset:232
	buffer_load_dword v216, off, s[0:3], 0 offset:236
	s_waitcnt vmcnt(21)
	v_mul_f32_e32 v39, v32, v90
	s_waitcnt vmcnt(20)
	v_fmac_f32_e32 v39, v33, v89
	v_add_f32_e32 v42, v38, v39
	ds_read_b128 v[38:41], v52 offset:624
	buffer_load_dword v217, off, s[0:3], 0 offset:240
	buffer_load_dword v218, off, s[0:3], 0 offset:244
	;; [unrolled: 1-line block ×12, first 2 shown]
	s_waitcnt lgkmcnt(1)
	v_mul_f32_e32 v43, v34, v84
	v_fmac_f32_e32 v43, v35, v83
	buffer_load_dword v229, off, s[0:3], 0 offset:288
	buffer_load_dword v230, off, s[0:3], 0 offset:292
	v_add_f32_e32 v42, v42, v43
	v_mul_f32_e32 v43, v36, v86
	v_fmac_f32_e32 v43, v37, v85
	v_add_f32_e32 v42, v42, v43
	s_waitcnt lgkmcnt(0)
	v_mul_f32_e32 v43, v38, v88
	v_fmac_f32_e32 v43, v39, v87
	buffer_load_dword v231, off, s[0:3], 0 offset:296
	buffer_load_dword v232, off, s[0:3], 0 offset:300
	v_add_f32_e32 v42, v42, v43
	s_waitcnt vmcnt(32)
	v_mul_f32_e32 v43, v40, v92
	v_fmac_f32_e32 v43, v41, v91
	v_add_f32_e32 v96, v42, v43
	ds_read_b128 v[42:45], v52 offset:640
	buffer_load_dword v233, off, s[0:3], 0 offset:304
	buffer_load_dword v234, off, s[0:3], 0 offset:308
	ds_read_b128 v[46:49], v52 offset:656
	buffer_load_dword v235, off, s[0:3], 0 offset:312
	buffer_load_dword v236, off, s[0:3], 0 offset:316
	;; [unrolled: 1-line block ×14, first 2 shown]
	s_waitcnt vmcnt(46) lgkmcnt(1)
	v_mul_f32_e32 v97, v42, v94
	v_fmac_f32_e32 v97, v43, v93
	v_add_f32_e32 v96, v96, v97
	s_waitcnt vmcnt(44)
	v_mul_f32_e32 v97, v44, v1
	v_fmac_f32_e32 v97, v45, v95
	v_add_f32_e32 v96, v96, v97
	s_waitcnt vmcnt(42) lgkmcnt(0)
	v_mul_f32_e32 v97, v46, v146
	v_fmac_f32_e32 v97, v47, v144
	v_add_f32_e32 v100, v96, v97
	buffer_load_dword v249, off, s[0:3], 0 offset:368
	buffer_load_dword v250, off, s[0:3], 0 offset:372
	ds_read_b128 v[96:99], v52 offset:672
	s_waitcnt vmcnt(42)
	v_mul_f32_e32 v101, v48, v166
	v_fmac_f32_e32 v101, v49, v154
	buffer_load_dword v251, off, s[0:3], 0 offset:376
	buffer_load_dword v252, off, s[0:3], 0 offset:380
	v_add_f32_e32 v104, v100, v101
	buffer_load_dword v253, off, s[0:3], 0 offset:384
	buffer_load_dword v254, off, s[0:3], 0 offset:388
	ds_read_b128 v[100:103], v52 offset:688
	buffer_load_dword v255, off, s[0:3], 0 offset:392
	buffer_load_dword v174, off, s[0:3], 0 offset:396
	v_mul_f32_e32 v27, v27, v58
	v_fma_f32 v26, v26, v76, -v27
	v_mul_f32_e32 v27, v29, v57
	v_add_f32_e32 v26, 0, v26
	v_fma_f32 v27, v28, v73, -v27
	v_mul_f32_e32 v23, v23, v59
	v_add_f32_e32 v26, v26, v27
	;; [unrolled: 3-line block ×4, first 2 shown]
	v_fma_f32 v18, v18, v72, -v19
	s_waitcnt vmcnt(46) lgkmcnt(1)
	v_mul_f32_e32 v105, v96, v168
	v_fmac_f32_e32 v105, v97, v167
	v_add_f32_e32 v104, v104, v105
	s_waitcnt vmcnt(44)
	v_mul_f32_e32 v105, v98, v170
	v_fmac_f32_e32 v105, v99, v169
	v_add_f32_e32 v104, v104, v105
	s_waitcnt vmcnt(42) lgkmcnt(0)
	v_mul_f32_e32 v105, v100, v172
	v_fmac_f32_e32 v105, v101, v171
	v_add_f32_e32 v108, v104, v105
	ds_read_b128 v[104:107], v52 offset:704
	v_mul_f32_e32 v19, v21, v53
	v_add_f32_e32 v18, v22, v18
	v_fma_f32 v19, v20, v69, -v19
	s_waitcnt vmcnt(40)
	v_mul_f32_e32 v109, v102, v216
	v_fmac_f32_e32 v109, v103, v173
	v_add_f32_e32 v112, v108, v109
	ds_read_b128 v[108:111], v52 offset:720
	v_mul_f32_e32 v15, v15, v54
	s_waitcnt vmcnt(38) lgkmcnt(1)
	v_mul_f32_e32 v113, v104, v218
	v_fmac_f32_e32 v113, v105, v217
	v_add_f32_e32 v112, v112, v113
	s_waitcnt vmcnt(36)
	v_mul_f32_e32 v113, v106, v220
	v_fmac_f32_e32 v113, v107, v219
	v_add_f32_e32 v112, v112, v113
	s_waitcnt vmcnt(34) lgkmcnt(0)
	v_mul_f32_e32 v113, v108, v222
	v_fmac_f32_e32 v113, v109, v221
	v_add_f32_e32 v116, v112, v113
	ds_read_b128 v[112:115], v52 offset:736
	s_waitcnt vmcnt(32)
	v_mul_f32_e32 v117, v110, v224
	v_fmac_f32_e32 v117, v111, v223
	v_add_f32_e32 v120, v116, v117
	ds_read_b128 v[116:119], v52 offset:752
	s_waitcnt vmcnt(30) lgkmcnt(1)
	v_mul_f32_e32 v121, v112, v226
	v_fmac_f32_e32 v121, v113, v225
	v_add_f32_e32 v120, v120, v121
	s_waitcnt vmcnt(28)
	v_mul_f32_e32 v121, v114, v228
	v_fmac_f32_e32 v121, v115, v227
	v_add_f32_e32 v120, v120, v121
	s_waitcnt vmcnt(26) lgkmcnt(0)
	v_mul_f32_e32 v121, v116, v230
	v_fmac_f32_e32 v121, v117, v229
	v_add_f32_e32 v124, v120, v121
	ds_read_b128 v[120:123], v52 offset:768
	s_waitcnt vmcnt(24)
	v_mul_f32_e32 v125, v118, v232
	v_fmac_f32_e32 v125, v119, v231
	v_add_f32_e32 v128, v124, v125
	ds_read_b128 v[124:127], v52 offset:784
	;; [unrolled: 18-line block ×3, first 2 shown]
	s_waitcnt vmcnt(14) lgkmcnt(1)
	v_mul_f32_e32 v137, v128, v242
	v_fmac_f32_e32 v137, v129, v241
	v_add_f32_e32 v136, v136, v137
	s_waitcnt vmcnt(12)
	v_mul_f32_e32 v137, v130, v244
	v_fmac_f32_e32 v137, v131, v243
	v_add_f32_e32 v136, v136, v137
	s_waitcnt vmcnt(10) lgkmcnt(0)
	v_mul_f32_e32 v137, v132, v246
	v_fmac_f32_e32 v137, v133, v245
	s_waitcnt vmcnt(8)
	v_mul_f32_e32 v141, v134, v248
	v_add_f32_e32 v140, v136, v137
	v_fmac_f32_e32 v141, v135, v247
	ds_read_b128 v[136:139], v52 offset:832
	v_add_f32_e32 v145, v140, v141
	ds_read_b128 v[140:143], v52 offset:848
	buffer_load_dword v149, off, s[0:3], 0 offset:420
	buffer_load_dword v148, off, s[0:3], 0 offset:416
	;; [unrolled: 1-line block ×6, first 2 shown]
	v_add_f32_e32 v18, v18, v19
	v_fma_f32 v14, v14, v67, -v15
	v_mul_f32_e32 v15, v17, v60
	v_add_f32_e32 v14, v18, v14
	v_fma_f32 v15, v16, v71, -v15
	v_mul_f32_e32 v11, v11, v61
	;; [unrolled: 3-line block ×5, first 2 shown]
	buffer_load_dword v157, off, s[0:3], 0 offset:452
	buffer_load_dword v156, off, s[0:3], 0 offset:448
	;; [unrolled: 1-line block ×10, first 2 shown]
	v_add_f32_e32 v6, v10, v6
	v_fma_f32 v7, v8, v82, -v7
	v_mul_f32_e32 v3, v3, v81
	v_add_f32_e32 v6, v6, v7
	v_fma_f32 v2, v2, v79, -v3
	v_mul_f32_e32 v3, v5, v80
	v_add_f32_e32 v2, v6, v2
	v_fma_f32 v3, v4, v77, -v3
	v_add_f32_e32 v2, v2, v3
	v_mul_f32_e32 v3, v31, v78
	v_fma_f32 v3, v30, v74, -v3
	v_add_f32_e32 v2, v2, v3
	v_mul_f32_e32 v3, v33, v90
	;; [unrolled: 3-line block ×7, first 2 shown]
	v_fma_f32 v3, v42, v93, -v3
	v_mul_f32_e32 v1, v45, v1
	v_add_f32_e32 v2, v2, v3
	v_fma_f32 v1, v44, v95, -v1
	v_add_f32_e32 v1, v2, v1
	v_mul_f32_e32 v2, v47, v146
	v_fma_f32 v2, v46, v144, -v2
	v_add_f32_e32 v1, v1, v2
	v_mul_f32_e32 v2, v49, v166
	;; [unrolled: 3-line block ×22, first 2 shown]
	v_fma_f32 v2, v134, v247, -v2
	v_add_f32_e32 v1, v1, v2
	s_waitcnt vmcnt(22) lgkmcnt(1)
	v_mul_f32_e32 v2, v137, v250
	v_mul_f32_e32 v147, v136, v250
	v_fma_f32 v2, v136, v249, -v2
	v_fmac_f32_e32 v147, v137, v249
	v_add_f32_e32 v1, v1, v2
	s_waitcnt vmcnt(20)
	v_mul_f32_e32 v2, v139, v252
	v_add_f32_e32 v145, v145, v147
	v_mul_f32_e32 v147, v138, v252
	v_fma_f32 v2, v138, v251, -v2
	v_fmac_f32_e32 v147, v139, v251
	v_add_f32_e32 v144, v1, v2
	ds_read_b128 v[2:5], v52 offset:864
	ds_read_b128 v[6:9], v52 offset:880
	;; [unrolled: 1-line block ×4, first 2 shown]
	v_add_f32_e32 v145, v145, v147
	s_waitcnt vmcnt(18) lgkmcnt(4)
	v_mul_f32_e32 v147, v140, v254
	v_mul_f32_e32 v1, v141, v254
	s_waitcnt vmcnt(11)
	v_mov_b32_e32 v20, v153
	v_fmac_f32_e32 v147, v141, v253
	v_mul_f32_e32 v155, v142, v174
	v_fma_f32 v146, v140, v253, -v1
	v_mul_f32_e32 v1, v143, v174
	s_waitcnt lgkmcnt(3)
	v_pk_mul_f32 v[20:21], v[2:3], v[20:21] op_sel_hi:[1,0]
	v_fmac_f32_e32 v155, v143, v255
	v_fma_f32 v154, v142, v255, -v1
	v_pk_add_f32 v[18:19], v[144:145], v[146:147]
	s_waitcnt vmcnt(10)
	v_pk_fma_f32 v[22:23], v[2:3], v[152:153], v[20:21] op_sel:[0,0,1] op_sel_hi:[1,1,0] neg_lo:[0,0,1] neg_hi:[0,0,1]
	v_pk_fma_f32 v[2:3], v[2:3], v[152:153], v[20:21] op_sel:[0,0,1] op_sel_hi:[1,0,0]
	v_pk_add_f32 v[18:19], v[18:19], v[154:155]
	v_mov_b32_e32 v23, v3
	v_pk_add_f32 v[2:3], v[18:19], v[22:23]
	v_mov_b32_e32 v18, v151
	v_pk_mul_f32 v[18:19], v[4:5], v[18:19] op_sel_hi:[1,0]
	v_pk_fma_f32 v[20:21], v[4:5], v[150:151], v[18:19] op_sel:[0,0,1] op_sel_hi:[1,1,0] neg_lo:[0,0,1] neg_hi:[0,0,1]
	v_pk_fma_f32 v[4:5], v[4:5], v[150:151], v[18:19] op_sel:[0,0,1] op_sel_hi:[1,0,0]
	v_mov_b32_e32 v4, v149
	v_mov_b32_e32 v21, v5
	s_waitcnt lgkmcnt(2)
	v_pk_mul_f32 v[4:5], v[6:7], v[4:5] op_sel_hi:[1,0]
	v_pk_fma_f32 v[18:19], v[6:7], v[148:149], v[4:5] op_sel:[0,0,1] op_sel_hi:[1,1,0] neg_lo:[0,0,1] neg_hi:[0,0,1]
	v_pk_fma_f32 v[4:5], v[6:7], v[148:149], v[4:5] op_sel:[0,0,1] op_sel_hi:[1,0,0]
	s_waitcnt vmcnt(3)
	v_mov_b32_e32 v4, v163
	v_mov_b32_e32 v19, v5
	v_pk_mul_f32 v[4:5], v[8:9], v[4:5] op_sel_hi:[1,0]
	s_waitcnt vmcnt(2)
	v_pk_fma_f32 v[6:7], v[8:9], v[162:163], v[4:5] op_sel:[0,0,1] op_sel_hi:[1,1,0] neg_lo:[0,0,1] neg_hi:[0,0,1]
	v_pk_fma_f32 v[4:5], v[8:9], v[162:163], v[4:5] op_sel:[0,0,1] op_sel_hi:[1,0,0]
	v_pk_add_f32 v[2:3], v[2:3], v[20:21]
	v_mov_b32_e32 v4, v161
	v_pk_add_f32 v[2:3], v[2:3], v[18:19]
	v_mov_b32_e32 v7, v5
	s_waitcnt lgkmcnt(1)
	v_pk_mul_f32 v[4:5], v[10:11], v[4:5] op_sel_hi:[1,0]
	v_pk_add_f32 v[2:3], v[2:3], v[6:7]
	v_pk_fma_f32 v[6:7], v[10:11], v[160:161], v[4:5] op_sel:[0,0,1] op_sel_hi:[1,1,0] neg_lo:[0,0,1] neg_hi:[0,0,1]
	v_pk_fma_f32 v[4:5], v[10:11], v[160:161], v[4:5] op_sel:[0,0,1] op_sel_hi:[1,0,0]
	v_mov_b32_e32 v4, v159
	v_mov_b32_e32 v7, v5
	v_pk_mul_f32 v[4:5], v[12:13], v[4:5] op_sel_hi:[1,0]
	v_pk_add_f32 v[2:3], v[2:3], v[6:7]
	v_pk_fma_f32 v[6:7], v[12:13], v[158:159], v[4:5] op_sel:[0,0,1] op_sel_hi:[1,1,0] neg_lo:[0,0,1] neg_hi:[0,0,1]
	v_pk_fma_f32 v[4:5], v[12:13], v[158:159], v[4:5] op_sel:[0,0,1] op_sel_hi:[1,0,0]
	v_mov_b32_e32 v4, v157
	v_mov_b32_e32 v7, v5
	s_waitcnt lgkmcnt(0)
	v_pk_mul_f32 v[4:5], v[14:15], v[4:5] op_sel_hi:[1,0]
	v_pk_add_f32 v[2:3], v[2:3], v[6:7]
	v_pk_fma_f32 v[6:7], v[14:15], v[156:157], v[4:5] op_sel:[0,0,1] op_sel_hi:[1,1,0] neg_lo:[0,0,1] neg_hi:[0,0,1]
	v_pk_fma_f32 v[4:5], v[14:15], v[156:157], v[4:5] op_sel:[0,0,1] op_sel_hi:[1,0,0]
	s_waitcnt vmcnt(1)
	v_mov_b32_e32 v4, v165
	v_mov_b32_e32 v7, v5
	v_pk_mul_f32 v[4:5], v[16:17], v[4:5] op_sel_hi:[1,0]
	v_pk_add_f32 v[2:3], v[2:3], v[6:7]
	s_waitcnt vmcnt(0)
	v_pk_fma_f32 v[6:7], v[16:17], v[164:165], v[4:5] op_sel:[0,0,1] op_sel_hi:[1,1,0] neg_lo:[0,0,1] neg_hi:[0,0,1]
	v_pk_fma_f32 v[4:5], v[16:17], v[164:165], v[4:5] op_sel:[0,0,1] op_sel_hi:[1,0,0]
	v_mov_b32_e32 v7, v5
	v_pk_add_f32 v[2:3], v[2:3], v[6:7]
	v_pk_add_f32 v[2:3], v[50:51], v[2:3] neg_lo:[0,1] neg_hi:[0,1]
	buffer_store_dword v3, off, s[0:3], 0 offset:12
	buffer_store_dword v2, off, s[0:3], 0 offset:8
	s_and_saveexec_b64 s[4:5], vcc
	s_cbranch_execz .LBB121_361
; %bb.360:
	buffer_load_dword v2, off, s[0:3], 0
	buffer_load_dword v3, off, s[0:3], 0 offset:4
	v_mov_b32_e32 v0, 0
	buffer_store_dword v0, off, s[0:3], 0
	buffer_store_dword v0, off, s[0:3], 0 offset:4
	s_waitcnt vmcnt(2)
	ds_write_b64 v175, v[2:3]
.LBB121_361:
	s_or_b64 exec, exec, s[4:5]
	v_mov_b32_e32 v240, 0
	s_waitcnt lgkmcnt(0)
	; wave barrier
	s_waitcnt lgkmcnt(0)
	ds_read2_b64 v[0:3], v240 offset0:59 offset1:60
	buffer_load_dword v216, off, s[0:3], 0
	buffer_load_dword v217, off, s[0:3], 0 offset:4
	buffer_load_dword v218, off, s[0:3], 0 offset:8
	;; [unrolled: 1-line block ×15, first 2 shown]
	s_and_b64 vcc, exec, s[16:17]
	s_waitcnt vmcnt(12) lgkmcnt(0)
	v_mul_f32_e32 v4, v0, v241
	v_fmac_f32_e32 v4, v1, v218
	s_waitcnt vmcnt(10)
	v_mul_f32_e32 v5, v2, v243
	v_add_f32_e32 v4, 0, v4
	v_fmac_f32_e32 v5, v3, v220
	v_add_f32_e32 v8, v4, v5
	ds_read2_b64 v[4:7], v240 offset0:61 offset1:62
	v_mul_f32_e32 v1, v1, v241
	v_fma_f32 v0, v0, v218, -v1
	v_mul_f32_e32 v1, v3, v243
	v_add_f32_e32 v0, 0, v0
	s_waitcnt vmcnt(8) lgkmcnt(0)
	v_mul_f32_e32 v9, v4, v245
	v_fmac_f32_e32 v9, v5, v224
	v_add_f32_e32 v8, v8, v9
	s_waitcnt vmcnt(6)
	v_mul_f32_e32 v9, v6, v247
	v_fmac_f32_e32 v9, v7, v242
	v_add_f32_e32 v12, v8, v9
	ds_read2_b64 v[8:11], v240 offset0:63 offset1:64
	v_fma_f32 v1, v2, v220, -v1
	v_add_f32_e32 v0, v0, v1
	v_mul_f32_e32 v1, v5, v245
	v_fma_f32 v1, v4, v224, -v1
	s_waitcnt vmcnt(4) lgkmcnt(0)
	v_mul_f32_e32 v13, v8, v249
	v_fmac_f32_e32 v13, v9, v244
	v_add_f32_e32 v12, v12, v13
	s_waitcnt vmcnt(2)
	v_mul_f32_e32 v13, v10, v250
	v_fmac_f32_e32 v13, v11, v246
	v_add_f32_e32 v16, v12, v13
	ds_read2_b64 v[12:15], v240 offset0:65 offset1:66
	buffer_load_dword v252, off, s[0:3], 0 offset:64
	buffer_load_dword v253, off, s[0:3], 0 offset:68
	v_add_f32_e32 v0, v0, v1
	v_mul_f32_e32 v1, v7, v247
	v_fma_f32 v1, v6, v242, -v1
	s_waitcnt vmcnt(2) lgkmcnt(0)
	v_mul_f32_e32 v17, v12, v251
	v_fmac_f32_e32 v17, v13, v248
	v_add_f32_e32 v16, v16, v17
	v_add_f32_e32 v0, v0, v1
	v_mul_f32_e32 v1, v9, v249
	v_fma_f32 v1, v8, v244, -v1
	v_add_f32_e32 v0, v0, v1
	v_mul_f32_e32 v1, v11, v250
	v_fma_f32 v1, v10, v246, -v1
	;; [unrolled: 3-line block ×3, first 2 shown]
	v_add_f32_e32 v0, v0, v1
	s_waitcnt vmcnt(0)
	v_mul_f32_e32 v17, v14, v253
	v_fmac_f32_e32 v17, v15, v252
	v_add_f32_e32 v20, v16, v17
	ds_read2_b64 v[16:19], v240 offset0:67 offset1:68
	buffer_load_dword v254, off, s[0:3], 0 offset:72
	buffer_load_dword v255, off, s[0:3], 0 offset:76
	;; [unrolled: 1-line block ×4, first 2 shown]
	v_mul_f32_e32 v1, v15, v253
	v_fma_f32 v1, v14, v252, -v1
	v_add_f32_e32 v0, v0, v1
	s_waitcnt vmcnt(2) lgkmcnt(0)
	v_mul_f32_e32 v21, v16, v255
	v_fmac_f32_e32 v21, v17, v254
	v_add_f32_e32 v20, v20, v21
	s_waitcnt vmcnt(0)
	v_mul_f32_e32 v21, v18, v101
	v_fmac_f32_e32 v21, v19, v100
	v_add_f32_e32 v24, v20, v21
	ds_read2_b64 v[20:23], v240 offset0:69 offset1:70
	buffer_load_dword v102, off, s[0:3], 0 offset:88
	buffer_load_dword v103, off, s[0:3], 0 offset:92
	buffer_load_dword v104, off, s[0:3], 0 offset:96
	buffer_load_dword v105, off, s[0:3], 0 offset:100
	v_mul_f32_e32 v1, v17, v255
	v_fma_f32 v1, v16, v254, -v1
	v_add_f32_e32 v0, v0, v1
	v_mul_f32_e32 v1, v19, v101
	v_fma_f32 v1, v18, v100, -v1
	v_add_f32_e32 v0, v0, v1
	s_waitcnt vmcnt(2) lgkmcnt(0)
	v_mul_f32_e32 v25, v20, v103
	v_fmac_f32_e32 v25, v21, v102
	v_add_f32_e32 v24, v24, v25
	s_waitcnt vmcnt(0)
	v_mul_f32_e32 v25, v22, v105
	v_fmac_f32_e32 v25, v23, v104
	v_add_f32_e32 v28, v24, v25
	ds_read2_b64 v[24:27], v240 offset0:71 offset1:72
	buffer_load_dword v106, off, s[0:3], 0 offset:104
	buffer_load_dword v107, off, s[0:3], 0 offset:108
	buffer_load_dword v108, off, s[0:3], 0 offset:112
	buffer_load_dword v109, off, s[0:3], 0 offset:116
	v_mul_f32_e32 v1, v21, v103
	v_fma_f32 v1, v20, v102, -v1
	v_add_f32_e32 v0, v0, v1
	;; [unrolled: 19-line block ×6, first 2 shown]
	v_mul_f32_e32 v1, v39, v121
	v_fma_f32 v1, v38, v120, -v1
	v_add_f32_e32 v0, v0, v1
	s_waitcnt vmcnt(2) lgkmcnt(0)
	v_mul_f32_e32 v45, v40, v123
	v_fmac_f32_e32 v45, v41, v122
	v_add_f32_e32 v44, v44, v45
	s_waitcnt vmcnt(0)
	v_mul_f32_e32 v45, v42, v125
	v_fmac_f32_e32 v45, v43, v124
	v_add_f32_e32 v48, v44, v45
	ds_read2_b64 v[44:47], v240 offset0:81 offset1:82
	buffer_load_dword v126, off, s[0:3], 0 offset:184
	buffer_load_dword v127, off, s[0:3], 0 offset:188
	buffer_load_dword v128, off, s[0:3], 0 offset:192
	buffer_load_dword v129, off, s[0:3], 0 offset:196
	ds_read2_b64 v[52:55], v240 offset0:83 offset1:84
	buffer_load_dword v130, off, s[0:3], 0 offset:200
	buffer_load_dword v131, off, s[0:3], 0 offset:204
	buffer_load_dword v132, off, s[0:3], 0 offset:208
	buffer_load_dword v133, off, s[0:3], 0 offset:212
	;; [unrolled: 5-line block ×13, first 2 shown]
	v_mul_f32_e32 v1, v41, v123
	v_fma_f32 v1, v40, v122, -v1
	v_add_f32_e32 v0, v0, v1
	v_mul_f32_e32 v1, v43, v125
	v_fma_f32 v1, v42, v124, -v1
	v_add_f32_e32 v0, v0, v1
	s_waitcnt vmcnt(50) lgkmcnt(12)
	v_mul_f32_e32 v49, v44, v127
	v_fmac_f32_e32 v49, v45, v126
	v_add_f32_e32 v48, v48, v49
	s_waitcnt vmcnt(48)
	v_mul_f32_e32 v49, v46, v129
	v_fmac_f32_e32 v49, v47, v128
	v_add_f32_e32 v48, v48, v49
	s_waitcnt vmcnt(46) lgkmcnt(11)
	v_mul_f32_e32 v49, v52, v131
	v_fmac_f32_e32 v49, v53, v130
	v_add_f32_e32 v48, v48, v49
	s_waitcnt vmcnt(44)
	v_mul_f32_e32 v49, v54, v133
	v_fmac_f32_e32 v49, v55, v132
	;; [unrolled: 8-line block ×12, first 2 shown]
	v_add_f32_e32 v48, v48, v49
	s_waitcnt vmcnt(2) lgkmcnt(0)
	v_mul_f32_e32 v49, v96, v175
	v_fmac_f32_e32 v49, v97, v174
	v_add_f32_e32 v219, v48, v49
	ds_read2_b64 v[48:51], v240 offset0:107 offset1:108
	buffer_load_dword v178, off, s[0:3], 0 offset:392
	buffer_load_dword v179, off, s[0:3], 0 offset:396
	;; [unrolled: 1-line block ×18, first 2 shown]
	v_mul_f32_e32 v1, v45, v127
	v_fma_f32 v1, v44, v126, -v1
	v_add_f32_e32 v0, v0, v1
	v_mul_f32_e32 v1, v47, v129
	v_fma_f32 v1, v46, v128, -v1
	v_add_f32_e32 v0, v0, v1
	;; [unrolled: 3-line block ×25, first 2 shown]
	s_waitcnt vmcnt(18)
	v_mul_f32_e32 v0, v99, v177
	s_waitcnt vmcnt(15)
	v_mov_b32_e32 v16, v223
	v_mul_f32_e32 v221, v98, v177
	v_fma_f32 v220, v98, v176, -v0
	s_waitcnt lgkmcnt(0)
	v_mul_f32_e32 v0, v49, v179
	v_pk_mul_f32 v[16:17], v[50:51], v[16:17] op_sel_hi:[1,0]
	v_fmac_f32_e32 v221, v99, v176
	v_mul_f32_e32 v225, v48, v179
	v_fma_f32 v224, v48, v178, -v0
	ds_read2_b64 v[0:3], v240 offset0:109 offset1:110
	ds_read2_b64 v[4:7], v240 offset0:111 offset1:112
	;; [unrolled: 1-line block ×3, first 2 shown]
	ds_read_b64 v[12:13], v240 offset:920
	s_waitcnt vmcnt(14)
	v_pk_fma_f32 v[18:19], v[50:51], v[222:223], v[16:17] op_sel:[0,0,1] op_sel_hi:[1,1,0] neg_lo:[0,0,1] neg_hi:[0,0,1]
	v_pk_fma_f32 v[16:17], v[50:51], v[222:223], v[16:17] op_sel:[0,0,1] op_sel_hi:[1,0,0]
	v_fmac_f32_e32 v225, v49, v178
	v_pk_add_f32 v[14:15], v[218:219], v[220:221]
	s_waitcnt vmcnt(13)
	v_mov_b32_e32 v16, v239
	v_pk_add_f32 v[14:15], v[14:15], v[224:225]
	v_mov_b32_e32 v19, v17
	s_waitcnt lgkmcnt(3)
	v_pk_mul_f32 v[16:17], v[0:1], v[16:17] op_sel_hi:[1,0]
	v_pk_add_f32 v[14:15], v[14:15], v[18:19]
	s_waitcnt vmcnt(12)
	v_pk_fma_f32 v[18:19], v[0:1], v[238:239], v[16:17] op_sel:[0,0,1] op_sel_hi:[1,1,0] neg_lo:[0,0,1] neg_hi:[0,0,1]
	v_pk_fma_f32 v[0:1], v[0:1], v[238:239], v[16:17] op_sel:[0,0,1] op_sel_hi:[1,0,0]
	v_mov_b32_e32 v19, v1
	v_pk_add_f32 v[0:1], v[14:15], v[18:19]
	s_waitcnt vmcnt(11)
	v_mov_b32_e32 v14, v237
	v_pk_mul_f32 v[14:15], v[2:3], v[14:15] op_sel_hi:[1,0]
	s_waitcnt vmcnt(10)
	v_pk_fma_f32 v[16:17], v[2:3], v[236:237], v[14:15] op_sel:[0,0,1] op_sel_hi:[1,1,0] neg_lo:[0,0,1] neg_hi:[0,0,1]
	v_pk_fma_f32 v[2:3], v[2:3], v[236:237], v[14:15] op_sel:[0,0,1] op_sel_hi:[1,0,0]
	s_waitcnt vmcnt(9)
	v_mov_b32_e32 v2, v235
	v_mov_b32_e32 v17, v3
	s_waitcnt lgkmcnt(2)
	v_pk_mul_f32 v[2:3], v[4:5], v[2:3] op_sel_hi:[1,0]
	s_waitcnt vmcnt(8)
	v_pk_fma_f32 v[14:15], v[4:5], v[234:235], v[2:3] op_sel:[0,0,1] op_sel_hi:[1,1,0] neg_lo:[0,0,1] neg_hi:[0,0,1]
	v_pk_fma_f32 v[2:3], v[4:5], v[234:235], v[2:3] op_sel:[0,0,1] op_sel_hi:[1,0,0]
	s_waitcnt vmcnt(7)
	v_mov_b32_e32 v2, v233
	v_mov_b32_e32 v15, v3
	v_pk_mul_f32 v[2:3], v[6:7], v[2:3] op_sel_hi:[1,0]
	s_waitcnt vmcnt(6)
	v_pk_fma_f32 v[4:5], v[6:7], v[232:233], v[2:3] op_sel:[0,0,1] op_sel_hi:[1,1,0] neg_lo:[0,0,1] neg_hi:[0,0,1]
	v_pk_fma_f32 v[2:3], v[6:7], v[232:233], v[2:3] op_sel:[0,0,1] op_sel_hi:[1,0,0]
	v_pk_add_f32 v[0:1], v[0:1], v[16:17]
	s_waitcnt vmcnt(5)
	v_mov_b32_e32 v2, v231
	v_pk_add_f32 v[0:1], v[0:1], v[14:15]
	v_mov_b32_e32 v5, v3
	s_waitcnt lgkmcnt(1)
	v_pk_mul_f32 v[2:3], v[8:9], v[2:3] op_sel_hi:[1,0]
	v_pk_add_f32 v[0:1], v[0:1], v[4:5]
	s_waitcnt vmcnt(4)
	v_pk_fma_f32 v[4:5], v[8:9], v[230:231], v[2:3] op_sel:[0,0,1] op_sel_hi:[1,1,0] neg_lo:[0,0,1] neg_hi:[0,0,1]
	v_pk_fma_f32 v[2:3], v[8:9], v[230:231], v[2:3] op_sel:[0,0,1] op_sel_hi:[1,0,0]
	s_waitcnt vmcnt(3)
	v_mov_b32_e32 v2, v229
	v_mov_b32_e32 v5, v3
	v_pk_mul_f32 v[2:3], v[10:11], v[2:3] op_sel_hi:[1,0]
	v_pk_add_f32 v[0:1], v[0:1], v[4:5]
	s_waitcnt vmcnt(2)
	v_pk_fma_f32 v[4:5], v[10:11], v[228:229], v[2:3] op_sel:[0,0,1] op_sel_hi:[1,1,0] neg_lo:[0,0,1] neg_hi:[0,0,1]
	v_pk_fma_f32 v[2:3], v[10:11], v[228:229], v[2:3] op_sel:[0,0,1] op_sel_hi:[1,0,0]
	s_waitcnt vmcnt(1)
	v_mov_b32_e32 v2, v227
	v_mov_b32_e32 v5, v3
	s_waitcnt lgkmcnt(0)
	v_pk_mul_f32 v[2:3], v[12:13], v[2:3] op_sel_hi:[1,0]
	v_pk_add_f32 v[0:1], v[0:1], v[4:5]
	s_waitcnt vmcnt(0)
	v_pk_fma_f32 v[4:5], v[12:13], v[226:227], v[2:3] op_sel:[0,0,1] op_sel_hi:[1,1,0] neg_lo:[0,0,1] neg_hi:[0,0,1]
	v_pk_fma_f32 v[2:3], v[12:13], v[226:227], v[2:3] op_sel:[0,0,1] op_sel_hi:[1,0,0]
	v_mov_b32_e32 v5, v3
	v_pk_add_f32 v[0:1], v[0:1], v[4:5]
	v_pk_add_f32 v[0:1], v[216:217], v[0:1] neg_lo:[0,1] neg_hi:[0,1]
	buffer_store_dword v1, off, s[0:3], 0 offset:4
	buffer_store_dword v0, off, s[0:3], 0
	s_cbranch_vccz .LBB121_477
; %bb.362:
	v_pk_mov_b32 v[0:1], s[10:11], s[10:11] op_sel:[0,1]
	flat_load_dword v0, v[0:1] offset:224
	s_waitcnt vmcnt(0) lgkmcnt(0)
	v_add_u32_e32 v0, -1, v0
	v_cmp_ne_u32_e32 vcc, 56, v0
	s_and_saveexec_b64 s[4:5], vcc
	s_cbranch_execz .LBB121_364
; %bb.363:
	v_mov_b32_e32 v1, 0
	v_lshl_add_u32 v0, v0, 3, v1
	buffer_load_dword v1, v0, s[0:3], 0 offen
	buffer_load_dword v2, v0, s[0:3], 0 offen offset:4
	buffer_load_dword v3, off, s[0:3], 0 offset:452
	buffer_load_dword v4, off, s[0:3], 0 offset:448
	s_waitcnt vmcnt(3)
	buffer_store_dword v1, off, s[0:3], 0 offset:448
	s_waitcnt vmcnt(3)
	buffer_store_dword v2, off, s[0:3], 0 offset:452
	s_waitcnt vmcnt(3)
	buffer_store_dword v3, v0, s[0:3], 0 offen offset:4
	s_waitcnt vmcnt(3)
	buffer_store_dword v4, v0, s[0:3], 0 offen
.LBB121_364:
	s_or_b64 exec, exec, s[4:5]
	v_pk_mov_b32 v[0:1], s[10:11], s[10:11] op_sel:[0,1]
	flat_load_dword v0, v[0:1] offset:220
	s_waitcnt vmcnt(0) lgkmcnt(0)
	v_add_u32_e32 v0, -1, v0
	v_cmp_ne_u32_e32 vcc, 55, v0
	s_and_saveexec_b64 s[4:5], vcc
	s_cbranch_execz .LBB121_366
; %bb.365:
	v_mov_b32_e32 v1, 0
	v_lshl_add_u32 v0, v0, 3, v1
	buffer_load_dword v1, v0, s[0:3], 0 offen
	buffer_load_dword v2, v0, s[0:3], 0 offen offset:4
	buffer_load_dword v3, off, s[0:3], 0 offset:440
	buffer_load_dword v4, off, s[0:3], 0 offset:444
	s_waitcnt vmcnt(3)
	buffer_store_dword v1, off, s[0:3], 0 offset:440
	s_waitcnt vmcnt(3)
	buffer_store_dword v2, off, s[0:3], 0 offset:444
	s_waitcnt vmcnt(3)
	buffer_store_dword v3, v0, s[0:3], 0 offen
	s_waitcnt vmcnt(3)
	buffer_store_dword v4, v0, s[0:3], 0 offen offset:4
.LBB121_366:
	s_or_b64 exec, exec, s[4:5]
	v_pk_mov_b32 v[0:1], s[10:11], s[10:11] op_sel:[0,1]
	flat_load_dword v0, v[0:1] offset:216
	s_waitcnt vmcnt(0) lgkmcnt(0)
	v_add_u32_e32 v0, -1, v0
	v_cmp_ne_u32_e32 vcc, 54, v0
	s_and_saveexec_b64 s[4:5], vcc
	s_cbranch_execz .LBB121_368
; %bb.367:
	v_mov_b32_e32 v1, 0
	v_lshl_add_u32 v0, v0, 3, v1
	buffer_load_dword v1, v0, s[0:3], 0 offen
	buffer_load_dword v2, v0, s[0:3], 0 offen offset:4
	buffer_load_dword v3, off, s[0:3], 0 offset:436
	buffer_load_dword v4, off, s[0:3], 0 offset:432
	s_waitcnt vmcnt(3)
	buffer_store_dword v1, off, s[0:3], 0 offset:432
	s_waitcnt vmcnt(3)
	buffer_store_dword v2, off, s[0:3], 0 offset:436
	s_waitcnt vmcnt(3)
	buffer_store_dword v3, v0, s[0:3], 0 offen offset:4
	s_waitcnt vmcnt(3)
	buffer_store_dword v4, v0, s[0:3], 0 offen
.LBB121_368:
	s_or_b64 exec, exec, s[4:5]
	v_pk_mov_b32 v[0:1], s[10:11], s[10:11] op_sel:[0,1]
	flat_load_dword v0, v[0:1] offset:212
	s_waitcnt vmcnt(0) lgkmcnt(0)
	v_add_u32_e32 v0, -1, v0
	v_cmp_ne_u32_e32 vcc, 53, v0
	s_and_saveexec_b64 s[4:5], vcc
	s_cbranch_execz .LBB121_370
; %bb.369:
	v_mov_b32_e32 v1, 0
	v_lshl_add_u32 v0, v0, 3, v1
	buffer_load_dword v1, v0, s[0:3], 0 offen
	buffer_load_dword v2, v0, s[0:3], 0 offen offset:4
	buffer_load_dword v3, off, s[0:3], 0 offset:424
	buffer_load_dword v4, off, s[0:3], 0 offset:428
	s_waitcnt vmcnt(3)
	buffer_store_dword v1, off, s[0:3], 0 offset:424
	s_waitcnt vmcnt(3)
	buffer_store_dword v2, off, s[0:3], 0 offset:428
	s_waitcnt vmcnt(3)
	buffer_store_dword v3, v0, s[0:3], 0 offen
	s_waitcnt vmcnt(3)
	buffer_store_dword v4, v0, s[0:3], 0 offen offset:4
.LBB121_370:
	s_or_b64 exec, exec, s[4:5]
	;; [unrolled: 48-line block ×28, first 2 shown]
	v_pk_mov_b32 v[0:1], s[10:11], s[10:11] op_sel:[0,1]
	flat_load_dword v2, v[0:1]
	s_nop 0
	buffer_load_dword v0, off, s[0:3], 0
	buffer_load_dword v1, off, s[0:3], 0 offset:4
	s_waitcnt vmcnt(0) lgkmcnt(0)
	v_add_u32_e32 v2, -1, v2
	v_cmp_ne_u32_e32 vcc, 0, v2
	s_and_saveexec_b64 s[4:5], vcc
	s_cbranch_execz .LBB121_476
; %bb.475:
	v_mov_b32_e32 v3, 0
	v_lshl_add_u32 v2, v2, 3, v3
	buffer_load_dword v3, v2, s[0:3], 0 offen offset:4
	buffer_load_dword v4, v2, s[0:3], 0 offen
	s_waitcnt vmcnt(1)
	buffer_store_dword v3, off, s[0:3], 0 offset:4
	s_waitcnt vmcnt(1)
	buffer_store_dword v4, off, s[0:3], 0
	buffer_store_dword v1, v2, s[0:3], 0 offen offset:4
	buffer_store_dword v0, v2, s[0:3], 0 offen
	buffer_load_dword v0, off, s[0:3], 0
	s_nop 0
	buffer_load_dword v1, off, s[0:3], 0 offset:4
.LBB121_476:
	s_or_b64 exec, exec, s[4:5]
.LBB121_477:
	buffer_load_dword v2, off, s[0:3], 0 offset:8
	buffer_load_dword v3, off, s[0:3], 0 offset:12
	;; [unrolled: 1-line block ×114, first 2 shown]
	s_waitcnt vmcnt(62)
	global_store_dwordx2 v[206:207], v[0:1], off
	global_store_dwordx2 v[208:209], v[2:3], off
	v_accvgpr_read_b32 v0, a0
	v_accvgpr_read_b32 v1, a1
	global_store_dwordx2 v[0:1], v[4:5], off
	v_accvgpr_read_b32 v0, a2
	v_accvgpr_read_b32 v1, a3
	;; [unrolled: 3-line block ×26, first 2 shown]
	s_waitcnt vmcnt(62)
	global_store_dwordx2 v[0:1], v[54:55], off
	v_accvgpr_read_b32 v0, a52
	v_accvgpr_read_b32 v1, a53
	global_store_dwordx2 v[0:1], v[56:57], off
	v_accvgpr_read_b32 v0, a54
	v_accvgpr_read_b32 v1, a55
	;; [unrolled: 3-line block ×13, first 2 shown]
	s_waitcnt vmcnt(62)
	global_store_dwordx2 v[0:1], v[80:81], off
	v_accvgpr_read_b32 v0, a78
	v_accvgpr_read_b32 v1, a79
	global_store_dwordx2 v[0:1], v[82:83], off
	global_store_dwordx2 v[180:181], v[84:85], off
	;; [unrolled: 1-line block ×6, first 2 shown]
	s_waitcnt vmcnt(62)
	global_store_dwordx2 v[190:191], v[94:95], off
	global_store_dwordx2 v[192:193], v[96:97], off
	;; [unrolled: 1-line block ×3, first 2 shown]
	s_waitcnt vmcnt(62)
	global_store_dwordx2 v[196:197], v[100:101], off
	global_store_dwordx2 v[198:199], v[102:103], off
	s_waitcnt vmcnt(62)
	global_store_dwordx2 v[200:201], v[104:105], off
	s_waitcnt vmcnt(61)
	;; [unrolled: 2-line block ×6, first 2 shown]
	global_store_dwordx2 v[214:215], v[114:115], off
	s_endpgm
	.section	.rodata,"a",@progbits
	.p2align	6, 0x0
	.amdhsa_kernel _ZN9rocsolver6v33100L18getri_kernel_smallILi58E19rocblas_complex_numIfEPKPS3_EEvT1_iilPiilS8_bb
		.amdhsa_group_segment_fixed_size 932
		.amdhsa_private_segment_fixed_size 480
		.amdhsa_kernarg_size 60
		.amdhsa_user_sgpr_count 8
		.amdhsa_user_sgpr_private_segment_buffer 1
		.amdhsa_user_sgpr_dispatch_ptr 0
		.amdhsa_user_sgpr_queue_ptr 0
		.amdhsa_user_sgpr_kernarg_segment_ptr 1
		.amdhsa_user_sgpr_dispatch_id 0
		.amdhsa_user_sgpr_flat_scratch_init 1
		.amdhsa_user_sgpr_kernarg_preload_length 0
		.amdhsa_user_sgpr_kernarg_preload_offset 0
		.amdhsa_user_sgpr_private_segment_size 0
		.amdhsa_uses_dynamic_stack 0
		.amdhsa_system_sgpr_private_segment_wavefront_offset 1
		.amdhsa_system_sgpr_workgroup_id_x 1
		.amdhsa_system_sgpr_workgroup_id_y 0
		.amdhsa_system_sgpr_workgroup_id_z 0
		.amdhsa_system_sgpr_workgroup_info 0
		.amdhsa_system_vgpr_workitem_id 0
		.amdhsa_next_free_vgpr 336
		.amdhsa_next_free_sgpr 22
		.amdhsa_accum_offset 256
		.amdhsa_reserve_vcc 1
		.amdhsa_reserve_flat_scratch 1
		.amdhsa_float_round_mode_32 0
		.amdhsa_float_round_mode_16_64 0
		.amdhsa_float_denorm_mode_32 3
		.amdhsa_float_denorm_mode_16_64 3
		.amdhsa_dx10_clamp 1
		.amdhsa_ieee_mode 1
		.amdhsa_fp16_overflow 0
		.amdhsa_tg_split 0
		.amdhsa_exception_fp_ieee_invalid_op 0
		.amdhsa_exception_fp_denorm_src 0
		.amdhsa_exception_fp_ieee_div_zero 0
		.amdhsa_exception_fp_ieee_overflow 0
		.amdhsa_exception_fp_ieee_underflow 0
		.amdhsa_exception_fp_ieee_inexact 0
		.amdhsa_exception_int_div_zero 0
	.end_amdhsa_kernel
	.section	.text._ZN9rocsolver6v33100L18getri_kernel_smallILi58E19rocblas_complex_numIfEPKPS3_EEvT1_iilPiilS8_bb,"axG",@progbits,_ZN9rocsolver6v33100L18getri_kernel_smallILi58E19rocblas_complex_numIfEPKPS3_EEvT1_iilPiilS8_bb,comdat
.Lfunc_end121:
	.size	_ZN9rocsolver6v33100L18getri_kernel_smallILi58E19rocblas_complex_numIfEPKPS3_EEvT1_iilPiilS8_bb, .Lfunc_end121-_ZN9rocsolver6v33100L18getri_kernel_smallILi58E19rocblas_complex_numIfEPKPS3_EEvT1_iilPiilS8_bb
                                        ; -- End function
	.section	.AMDGPU.csdata,"",@progbits
; Kernel info:
; codeLenInByte = 126968
; NumSgprs: 28
; NumVgprs: 256
; NumAgprs: 80
; TotalNumVgprs: 336
; ScratchSize: 480
; MemoryBound: 0
; FloatMode: 240
; IeeeMode: 1
; LDSByteSize: 932 bytes/workgroup (compile time only)
; SGPRBlocks: 3
; VGPRBlocks: 41
; NumSGPRsForWavesPerEU: 28
; NumVGPRsForWavesPerEU: 336
; AccumOffset: 256
; Occupancy: 1
; WaveLimiterHint : 1
; COMPUTE_PGM_RSRC2:SCRATCH_EN: 1
; COMPUTE_PGM_RSRC2:USER_SGPR: 8
; COMPUTE_PGM_RSRC2:TRAP_HANDLER: 0
; COMPUTE_PGM_RSRC2:TGID_X_EN: 1
; COMPUTE_PGM_RSRC2:TGID_Y_EN: 0
; COMPUTE_PGM_RSRC2:TGID_Z_EN: 0
; COMPUTE_PGM_RSRC2:TIDIG_COMP_CNT: 0
; COMPUTE_PGM_RSRC3_GFX90A:ACCUM_OFFSET: 63
; COMPUTE_PGM_RSRC3_GFX90A:TG_SPLIT: 0
	.section	.text._ZN9rocsolver6v33100L18getri_kernel_smallILi59E19rocblas_complex_numIfEPKPS3_EEvT1_iilPiilS8_bb,"axG",@progbits,_ZN9rocsolver6v33100L18getri_kernel_smallILi59E19rocblas_complex_numIfEPKPS3_EEvT1_iilPiilS8_bb,comdat
	.globl	_ZN9rocsolver6v33100L18getri_kernel_smallILi59E19rocblas_complex_numIfEPKPS3_EEvT1_iilPiilS8_bb ; -- Begin function _ZN9rocsolver6v33100L18getri_kernel_smallILi59E19rocblas_complex_numIfEPKPS3_EEvT1_iilPiilS8_bb
	.p2align	8
	.type	_ZN9rocsolver6v33100L18getri_kernel_smallILi59E19rocblas_complex_numIfEPKPS3_EEvT1_iilPiilS8_bb,@function
_ZN9rocsolver6v33100L18getri_kernel_smallILi59E19rocblas_complex_numIfEPKPS3_EEvT1_iilPiilS8_bb: ; @_ZN9rocsolver6v33100L18getri_kernel_smallILi59E19rocblas_complex_numIfEPKPS3_EEvT1_iilPiilS8_bb
; %bb.0:
	s_add_u32 flat_scratch_lo, s6, s9
	s_addc_u32 flat_scratch_hi, s7, 0
	s_add_u32 s0, s0, s9
	s_addc_u32 s1, s1, 0
	v_cmp_gt_u32_e32 vcc, 59, v0
	s_and_saveexec_b64 s[6:7], vcc
	s_cbranch_execz .LBB122_250
; %bb.1:
	s_load_dword s20, s[4:5], 0x38
	s_load_dwordx2 s[6:7], s[4:5], 0x0
	s_load_dwordx4 s[12:15], s[4:5], 0x28
	s_waitcnt lgkmcnt(0)
	s_bitcmp1_b32 s20, 8
	s_cselect_b64 s[16:17], -1, 0
	s_ashr_i32 s9, s8, 31
	s_lshl_b64 s[10:11], s[8:9], 3
	s_add_u32 s6, s6, s10
	s_addc_u32 s7, s7, s11
	s_load_dwordx2 s[18:19], s[6:7], 0x0
	s_bfe_u32 s6, s20, 0x10008
	s_cmp_eq_u32 s6, 0
                                        ; implicit-def: $sgpr10_sgpr11
	s_cbranch_scc1 .LBB122_3
; %bb.2:
	s_load_dword s6, s[4:5], 0x20
	s_load_dwordx2 s[10:11], s[4:5], 0x18
	s_mul_i32 s7, s8, s13
	s_mul_hi_u32 s13, s8, s12
	s_add_i32 s13, s13, s7
	s_mul_i32 s21, s9, s12
	s_add_i32 s13, s13, s21
	s_mul_i32 s12, s8, s12
	s_waitcnt lgkmcnt(0)
	s_ashr_i32 s7, s6, 31
	s_lshl_b64 s[12:13], s[12:13], 2
	s_add_u32 s10, s10, s12
	s_addc_u32 s11, s11, s13
	s_lshl_b64 s[6:7], s[6:7], 2
	s_add_u32 s10, s10, s6
	s_addc_u32 s11, s11, s7
.LBB122_3:
	s_load_dwordx2 s[6:7], s[4:5], 0x8
	v_lshlrev_b32_e32 v222, 3, v0
	s_waitcnt lgkmcnt(0)
	s_ashr_i32 s5, s6, 31
	s_mov_b32 s4, s6
	s_lshl_b64 s[4:5], s[4:5], 3
	s_add_u32 s4, s18, s4
	s_addc_u32 s5, s19, s5
	v_mov_b32_e32 v1, s5
	v_add_co_u32_e32 v102, vcc, s4, v222
	s_ashr_i32 s13, s7, 31
	s_mov_b32 s12, s7
	s_add_i32 s6, s7, s7
	v_addc_co_u32_e32 v103, vcc, 0, v1, vcc
	s_lshl_b64 s[12:13], s[12:13], 3
	v_add_u32_e32 v4, s6, v0
	v_mov_b32_e32 v1, s13
	v_add_co_u32_e32 v8, vcc, s12, v102
	v_ashrrev_i32_e32 v5, 31, v4
	v_addc_co_u32_e32 v9, vcc, v103, v1, vcc
	v_lshlrev_b64 v[6:7], 3, v[4:5]
	v_add_u32_e32 v4, s7, v4
	v_mov_b32_e32 v1, s5
	v_add_co_u32_e32 v10, vcc, s4, v6
	v_ashrrev_i32_e32 v5, 31, v4
	v_addc_co_u32_e32 v11, vcc, v1, v7, vcc
	v_lshlrev_b64 v[6:7], 3, v[4:5]
	v_add_u32_e32 v4, s7, v4
	v_add_co_u32_e32 v14, vcc, s4, v6
	v_ashrrev_i32_e32 v5, 31, v4
	global_load_dwordx2 v[2:3], v222, s[4:5]
	v_addc_co_u32_e32 v15, vcc, v1, v7, vcc
	v_lshlrev_b64 v[6:7], 3, v[4:5]
	v_add_co_u32_e32 v6, vcc, s4, v6
	v_add_u32_e32 v4, s7, v4
	v_addc_co_u32_e32 v7, vcc, v1, v7, vcc
	v_accvgpr_write_b32 a0, v8
	global_load_dwordx2 v[12:13], v[8:9], off
	v_accvgpr_write_b32 a2, v10
	v_accvgpr_write_b32 a4, v14
	;; [unrolled: 1-line block ×3, first 2 shown]
	v_ashrrev_i32_e32 v5, 31, v4
	v_accvgpr_write_b32 a1, v9
	v_accvgpr_write_b32 a3, v11
	global_load_dwordx2 v[10:11], v[10:11], off
	v_accvgpr_write_b32 a5, v15
	v_accvgpr_write_b32 a7, v7
	global_load_dwordx2 v[6:7], v[6:7], off
	s_bitcmp0_b32 s20, 0
	global_load_dwordx2 v[8:9], v[14:15], off
	v_lshlrev_b64 v[14:15], 3, v[4:5]
	v_add_u32_e32 v4, s7, v4
	v_add_co_u32_e32 v16, vcc, s4, v14
	v_ashrrev_i32_e32 v5, 31, v4
	v_addc_co_u32_e32 v17, vcc, v1, v15, vcc
	v_lshlrev_b64 v[14:15], 3, v[4:5]
	v_add_u32_e32 v4, s7, v4
	v_add_co_u32_e32 v18, vcc, s4, v14
	v_ashrrev_i32_e32 v5, 31, v4
	v_addc_co_u32_e32 v19, vcc, v1, v15, vcc
	;; [unrolled: 5-line block ×3, first 2 shown]
	v_lshlrev_b64 v[14:15], 3, v[4:5]
	v_add_co_u32_e32 v14, vcc, s4, v14
	global_load_dwordx2 v[20:21], v[16:17], off
	v_add_u32_e32 v4, s7, v4
	v_addc_co_u32_e32 v15, vcc, v1, v15, vcc
	v_accvgpr_write_b32 a8, v16
	v_accvgpr_write_b32 a10, v18
	;; [unrolled: 1-line block ×4, first 2 shown]
	v_ashrrev_i32_e32 v5, 31, v4
	v_accvgpr_write_b32 a9, v17
	v_accvgpr_write_b32 a11, v19
	global_load_dwordx2 v[18:19], v[18:19], off
	v_accvgpr_write_b32 a13, v23
	v_accvgpr_write_b32 a15, v15
	global_load_dwordx2 v[14:15], v[14:15], off
	s_nop 0
	global_load_dwordx2 v[16:17], v[22:23], off
	v_lshlrev_b64 v[22:23], 3, v[4:5]
	v_add_u32_e32 v4, s7, v4
	v_add_co_u32_e32 v24, vcc, s4, v22
	v_ashrrev_i32_e32 v5, 31, v4
	v_addc_co_u32_e32 v25, vcc, v1, v23, vcc
	v_lshlrev_b64 v[22:23], 3, v[4:5]
	v_add_u32_e32 v4, s7, v4
	v_add_co_u32_e32 v26, vcc, s4, v22
	v_ashrrev_i32_e32 v5, 31, v4
	v_addc_co_u32_e32 v27, vcc, v1, v23, vcc
	;; [unrolled: 5-line block ×3, first 2 shown]
	v_lshlrev_b64 v[22:23], 3, v[4:5]
	global_load_dwordx2 v[28:29], v[24:25], off
	v_add_co_u32_e32 v22, vcc, s4, v22
	v_accvgpr_write_b32 a18, v26
	v_add_u32_e32 v4, s7, v4
	v_addc_co_u32_e32 v23, vcc, v1, v23, vcc
	v_accvgpr_write_b32 a16, v24
	v_accvgpr_write_b32 a19, v27
	global_load_dwordx2 v[26:27], v[26:27], off
	v_accvgpr_write_b32 a20, v30
	v_accvgpr_write_b32 a22, v22
	v_ashrrev_i32_e32 v5, 31, v4
	v_accvgpr_write_b32 a17, v25
	v_accvgpr_write_b32 a21, v31
	;; [unrolled: 1-line block ×3, first 2 shown]
	global_load_dwordx2 v[22:23], v[22:23], off
	s_nop 0
	global_load_dwordx2 v[24:25], v[30:31], off
	v_lshlrev_b64 v[30:31], 3, v[4:5]
	v_add_u32_e32 v4, s7, v4
	v_add_co_u32_e32 v32, vcc, s4, v30
	v_ashrrev_i32_e32 v5, 31, v4
	v_addc_co_u32_e32 v33, vcc, v1, v31, vcc
	v_lshlrev_b64 v[30:31], 3, v[4:5]
	v_add_u32_e32 v4, s7, v4
	v_add_co_u32_e32 v38, vcc, s4, v30
	v_ashrrev_i32_e32 v5, 31, v4
	v_addc_co_u32_e32 v39, vcc, v1, v31, vcc
	v_lshlrev_b64 v[30:31], 3, v[4:5]
	v_add_co_u32_e32 v30, vcc, s4, v30
	v_add_u32_e32 v36, s7, v4
	global_load_dwordx2 v[34:35], v[32:33], off
	v_addc_co_u32_e32 v31, vcc, v1, v31, vcc
	v_ashrrev_i32_e32 v37, 31, v36
	v_accvgpr_write_b32 a24, v32
	v_accvgpr_write_b32 a28, v30
	v_lshlrev_b64 v[4:5], 3, v[36:37]
	v_accvgpr_write_b32 a25, v33
	v_accvgpr_write_b32 a29, v31
	global_load_dwordx2 v[30:31], v[30:31], off
	v_add_co_u32_e32 v4, vcc, s4, v4
	global_load_dwordx2 v[32:33], v[38:39], off
	v_addc_co_u32_e32 v5, vcc, v1, v5, vcc
	v_accvgpr_write_b32 a31, v5
	v_accvgpr_write_b32 a30, v4
	global_load_dwordx2 v[4:5], v[4:5], off
	v_accvgpr_write_b32 a26, v38
	v_add_u32_e32 v36, s7, v36
	v_accvgpr_write_b32 a27, v39
	v_add_u32_e32 v38, s7, v36
	v_add_u32_e32 v40, s7, v38
	v_add_u32_e32 v42, s7, v40
	v_add_u32_e32 v44, s7, v42
	v_add_u32_e32 v46, s7, v44
	v_add_u32_e32 v48, s7, v46
	v_add_u32_e32 v50, s7, v48
	v_add_u32_e32 v52, s7, v50
	v_add_u32_e32 v54, s7, v52
	v_add_u32_e32 v56, s7, v54
	v_add_u32_e32 v58, s7, v56
	v_add_u32_e32 v60, s7, v58
	v_add_u32_e32 v62, s7, v60
	v_add_u32_e32 v64, s7, v62
	v_add_u32_e32 v66, s7, v64
	v_add_u32_e32 v68, s7, v66
	v_add_u32_e32 v70, s7, v68
	v_add_u32_e32 v72, s7, v70
	v_add_u32_e32 v74, s7, v72
	v_add_u32_e32 v76, s7, v74
	v_add_u32_e32 v78, s7, v76
	v_add_u32_e32 v80, s7, v78
	v_add_u32_e32 v82, s7, v80
	v_add_u32_e32 v86, s7, v82
	v_add_u32_e32 v88, s7, v86
	v_add_u32_e32 v90, s7, v88
	v_add_u32_e32 v92, s7, v90
	v_add_u32_e32 v94, s7, v92
	v_add_u32_e32 v96, s7, v94
	v_add_u32_e32 v98, s7, v96
	v_add_u32_e32 v100, s7, v98
	v_add_u32_e32 v204, s7, v100
	v_add_u32_e32 v206, s7, v204
	v_add_u32_e32 v208, s7, v206
	v_add_u32_e32 v210, s7, v208
	v_add_u32_e32 v212, s7, v210
	v_add_u32_e32 v214, s7, v212
	v_add_u32_e32 v216, s7, v214
	v_add_u32_e32 v218, s7, v216
	v_add_u32_e32 v84, s7, v218
	v_ashrrev_i32_e32 v85, 31, v84
	v_lshlrev_b64 v[104:105], 3, v[84:85]
	v_add_u32_e32 v84, s7, v84
	v_add_co_u32_e32 v104, vcc, s4, v104
	v_ashrrev_i32_e32 v85, 31, v84
	v_addc_co_u32_e32 v105, vcc, v1, v105, vcc
	v_lshlrev_b64 v[84:85], 3, v[84:85]
	v_add_co_u32_e32 v84, vcc, s4, v84
	v_addc_co_u32_e32 v85, vcc, v1, v85, vcc
	v_accvgpr_write_b32 a34, v84
	v_ashrrev_i32_e32 v37, 31, v36
	global_load_dwordx2 v[220:221], v[104:105], off
	v_accvgpr_write_b32 a35, v85
	global_load_dwordx2 v[84:85], v[84:85], off
	s_waitcnt vmcnt(18)
	buffer_store_dword v3, off, s[0:3], 0 offset:4
	buffer_store_dword v2, off, s[0:3], 0
	s_waitcnt vmcnt(19)
	buffer_store_dword v13, off, s[0:3], 0 offset:12
	buffer_store_dword v12, off, s[0:3], 0 offset:8
	s_waitcnt vmcnt(20)
	buffer_store_dword v11, off, s[0:3], 0 offset:20
	buffer_store_dword v10, off, s[0:3], 0 offset:16
	s_waitcnt vmcnt(20)
	buffer_store_dword v9, off, s[0:3], 0 offset:28
	buffer_store_dword v8, off, s[0:3], 0 offset:24
	buffer_store_dword v7, off, s[0:3], 0 offset:36
	buffer_store_dword v6, off, s[0:3], 0 offset:32
	s_waitcnt vmcnt(23)
	buffer_store_dword v21, off, s[0:3], 0 offset:44
	buffer_store_dword v20, off, s[0:3], 0 offset:40
	s_waitcnt vmcnt(24)
	buffer_store_dword v19, off, s[0:3], 0 offset:52
	buffer_store_dword v18, off, s[0:3], 0 offset:48
	s_waitcnt vmcnt(24)
	buffer_store_dword v17, off, s[0:3], 0 offset:60
	buffer_store_dword v16, off, s[0:3], 0 offset:56
	buffer_store_dword v15, off, s[0:3], 0 offset:68
	buffer_store_dword v14, off, s[0:3], 0 offset:64
	;; [unrolled: 11-line block ×3, first 2 shown]
	s_waitcnt vmcnt(31)
	buffer_store_dword v34, off, s[0:3], 0 offset:104
	buffer_store_dword v35, off, s[0:3], 0 offset:108
	s_waitcnt vmcnt(31)
	buffer_store_dword v33, off, s[0:3], 0 offset:116
	buffer_store_dword v32, off, s[0:3], 0 offset:112
	buffer_store_dword v30, off, s[0:3], 0 offset:120
	buffer_store_dword v31, off, s[0:3], 0 offset:124
	s_waitcnt vmcnt(34)
	buffer_store_dword v4, off, s[0:3], 0 offset:128
	v_lshlrev_b64 v[2:3], 3, v[36:37]
	v_add_co_u32_e32 v6, vcc, s4, v2
	v_ashrrev_i32_e32 v39, 31, v38
	v_addc_co_u32_e32 v7, vcc, v1, v3, vcc
	v_lshlrev_b64 v[2:3], 3, v[38:39]
	v_add_co_u32_e32 v8, vcc, s4, v2
	v_ashrrev_i32_e32 v41, 31, v40
	v_addc_co_u32_e32 v9, vcc, v1, v3, vcc
	v_lshlrev_b64 v[2:3], 3, v[40:41]
	v_add_co_u32_e32 v10, vcc, s4, v2
	v_ashrrev_i32_e32 v43, 31, v42
	v_addc_co_u32_e32 v11, vcc, v1, v3, vcc
	v_lshlrev_b64 v[2:3], 3, v[42:43]
	v_add_co_u32_e32 v12, vcc, s4, v2
	v_addc_co_u32_e32 v13, vcc, v1, v3, vcc
	v_accvgpr_write_b32 a37, v7
	v_accvgpr_write_b32 a39, v9
	v_accvgpr_write_b32 a41, v11
	v_accvgpr_write_b32 a43, v13
	v_ashrrev_i32_e32 v45, 31, v44
	v_accvgpr_write_b32 a36, v6
	global_load_dwordx2 v[2:3], v[6:7], off
	v_accvgpr_write_b32 a38, v8
	global_load_dwordx2 v[6:7], v[8:9], off
	v_accvgpr_write_b32 a40, v10
	global_load_dwordx2 v[8:9], v[10:11], off
	v_accvgpr_write_b32 a42, v12
	global_load_dwordx2 v[10:11], v[12:13], off
	v_lshlrev_b64 v[12:13], 3, v[44:45]
	v_add_co_u32_e32 v14, vcc, s4, v12
	v_ashrrev_i32_e32 v47, 31, v46
	v_addc_co_u32_e32 v15, vcc, v1, v13, vcc
	v_lshlrev_b64 v[12:13], 3, v[46:47]
	v_add_co_u32_e32 v16, vcc, s4, v12
	v_ashrrev_i32_e32 v49, 31, v48
	v_addc_co_u32_e32 v17, vcc, v1, v13, vcc
	v_lshlrev_b64 v[12:13], 3, v[48:49]
	v_add_co_u32_e32 v18, vcc, s4, v12
	v_ashrrev_i32_e32 v51, 31, v50
	v_addc_co_u32_e32 v19, vcc, v1, v13, vcc
	v_lshlrev_b64 v[12:13], 3, v[50:51]
	v_add_co_u32_e32 v20, vcc, s4, v12
	v_addc_co_u32_e32 v21, vcc, v1, v13, vcc
	v_accvgpr_write_b32 a45, v15
	v_accvgpr_write_b32 a47, v17
	v_accvgpr_write_b32 a49, v19
	v_accvgpr_write_b32 a51, v21
	v_ashrrev_i32_e32 v53, 31, v52
	v_accvgpr_write_b32 a44, v14
	global_load_dwordx2 v[12:13], v[14:15], off
	v_accvgpr_write_b32 a46, v16
	global_load_dwordx2 v[14:15], v[16:17], off
	v_accvgpr_write_b32 a48, v18
	global_load_dwordx2 v[16:17], v[18:19], off
	v_accvgpr_write_b32 a50, v20
	global_load_dwordx2 v[18:19], v[20:21], off
	;; [unrolled: 28-line block ×6, first 2 shown]
	v_lshlrev_b64 v[52:53], 3, v[86:87]
	v_add_co_u32_e32 v54, vcc, s4, v52
	v_ashrrev_i32_e32 v89, 31, v88
	v_addc_co_u32_e32 v55, vcc, v1, v53, vcc
	v_lshlrev_b64 v[52:53], 3, v[88:89]
	v_add_co_u32_e32 v56, vcc, s4, v52
	v_ashrrev_i32_e32 v91, 31, v90
	v_addc_co_u32_e32 v57, vcc, v1, v53, vcc
	;; [unrolled: 4-line block ×14, first 2 shown]
	v_lshlrev_b64 v[76:77], 3, v[216:217]
	v_accvgpr_write_b32 a85, v55
	v_accvgpr_write_b32 a87, v57
	v_add_co_u32_e32 v216, vcc, s4, v76
	v_accvgpr_write_b32 a84, v54
	global_load_dwordx2 v[52:53], v[54:55], off
	v_accvgpr_write_b32 a86, v56
	global_load_dwordx2 v[54:55], v[56:57], off
	s_nop 0
	global_load_dwordx2 v[56:57], v[192:193], off
	global_load_dwordx2 v[58:59], v[194:195], off
	;; [unrolled: 1-line block ×10, first 2 shown]
	v_addc_co_u32_e32 v217, vcc, v1, v77, vcc
	global_load_dwordx2 v[76:77], v[212:213], off
	global_load_dwordx2 v[78:79], v[214:215], off
	;; [unrolled: 1-line block ×3, first 2 shown]
	v_ashrrev_i32_e32 v219, 31, v218
	v_lshlrev_b64 v[82:83], 3, v[218:219]
	v_add_co_u32_e32 v218, vcc, s4, v82
	v_accvgpr_write_b32 a32, v104
	v_addc_co_u32_e32 v219, vcc, v1, v83, vcc
	v_accvgpr_write_b32 a33, v105
	global_load_dwordx2 v[82:83], v[218:219], off
	s_mov_b64 s[6:7], -1
	buffer_store_dword v5, off, s[0:3], 0 offset:132
	s_waitcnt vmcnt(40)
	buffer_store_dword v2, off, s[0:3], 0 offset:136
	buffer_store_dword v3, off, s[0:3], 0 offset:140
	s_waitcnt vmcnt(41)
	buffer_store_dword v6, off, s[0:3], 0 offset:144
	;; [unrolled: 3-line block ×24, first 2 shown]
	buffer_store_dword v51, off, s[0:3], 0 offset:324
	buffer_store_dword v52, off, s[0:3], 0 offset:328
	buffer_store_dword v53, off, s[0:3], 0 offset:332
	s_waitcnt vmcnt(62)
	buffer_store_dword v54, off, s[0:3], 0 offset:336
	buffer_store_dword v55, off, s[0:3], 0 offset:340
	;; [unrolled: 1-line block ×8, first 2 shown]
	s_waitcnt vmcnt(62)
	buffer_store_dword v62, off, s[0:3], 0 offset:368
	buffer_store_dword v63, off, s[0:3], 0 offset:372
	;; [unrolled: 1-line block ×16, first 2 shown]
	s_waitcnt vmcnt(62)
	buffer_store_dword v78, off, s[0:3], 0 offset:432
	buffer_store_dword v79, off, s[0:3], 0 offset:436
	;; [unrolled: 1-line block ×10, first 2 shown]
	s_cbranch_scc1 .LBB122_248
; %bb.4:
	v_cmp_eq_u32_e64 s[4:5], 0, v0
	s_and_saveexec_b64 s[6:7], s[4:5]
	s_cbranch_execz .LBB122_6
; %bb.5:
	v_mov_b32_e32 v1, 0
	ds_write_b32 v1, v1 offset:472
.LBB122_6:
	s_or_b64 exec, exec, s[6:7]
	v_mov_b32_e32 v1, 0
	v_lshl_add_u32 v6, v0, 3, v1
	s_waitcnt lgkmcnt(0)
	; wave barrier
	s_waitcnt lgkmcnt(0)
	buffer_load_dword v1, v6, s[0:3], 0 offen
	buffer_load_dword v2, v6, s[0:3], 0 offen offset:4
	s_waitcnt vmcnt(1)
	v_cmp_eq_f32_e32 vcc, 0, v1
	s_waitcnt vmcnt(0)
	v_cmp_eq_f32_e64 s[6:7], 0, v2
	s_and_b64 s[6:7], vcc, s[6:7]
	s_and_saveexec_b64 s[12:13], s[6:7]
	s_cbranch_execz .LBB122_10
; %bb.7:
	v_mov_b32_e32 v1, 0
	ds_read_b32 v3, v1 offset:472
	v_add_u32_e32 v2, 1, v0
	s_waitcnt lgkmcnt(0)
	v_readfirstlane_b32 s6, v3
	s_cmp_eq_u32 s6, 0
	s_cselect_b64 s[18:19], -1, 0
	v_cmp_gt_i32_e32 vcc, s6, v2
	s_or_b64 s[18:19], s[18:19], vcc
	s_and_b64 exec, exec, s[18:19]
	s_cbranch_execz .LBB122_10
; %bb.8:
	s_mov_b64 s[18:19], 0
	v_mov_b32_e32 v3, s6
.LBB122_9:                              ; =>This Inner Loop Header: Depth=1
	ds_cmpst_rtn_b32 v3, v1, v3, v2 offset:472
	s_waitcnt lgkmcnt(0)
	v_cmp_ne_u32_e32 vcc, 0, v3
	v_cmp_le_i32_e64 s[6:7], v3, v2
	s_and_b64 s[6:7], vcc, s[6:7]
	s_and_b64 s[6:7], exec, s[6:7]
	s_or_b64 s[18:19], s[6:7], s[18:19]
	s_andn2_b64 exec, exec, s[18:19]
	s_cbranch_execnz .LBB122_9
.LBB122_10:
	s_or_b64 exec, exec, s[12:13]
	v_mov_b32_e32 v2, 0
	s_waitcnt lgkmcnt(0)
	; wave barrier
	ds_read_b32 v1, v2 offset:472
	s_and_saveexec_b64 s[6:7], s[4:5]
	s_cbranch_execz .LBB122_12
; %bb.11:
	s_lshl_b64 s[12:13], s[8:9], 2
	s_add_u32 s12, s14, s12
	s_addc_u32 s13, s15, s13
	s_waitcnt lgkmcnt(0)
	global_store_dword v2, v1, s[12:13]
.LBB122_12:
	s_or_b64 exec, exec, s[6:7]
	s_waitcnt lgkmcnt(0)
	v_cmp_ne_u32_e32 vcc, 0, v1
	s_mov_b64 s[6:7], 0
	s_cbranch_vccnz .LBB122_248
; %bb.13:
	buffer_load_dword v7, v6, s[0:3], 0 offen offset:4
	buffer_load_dword v3, v6, s[0:3], 0 offen
	s_waitcnt vmcnt(1)
	v_cmp_gt_f32_e32 vcc, 0, v7
	v_cndmask_b32_e64 v1, v7, -v7, vcc
	s_waitcnt vmcnt(0)
	v_cmp_gt_f32_e32 vcc, 0, v3
	v_cndmask_b32_e64 v2, v3, -v3, vcc
	v_cmp_ngt_f32_e32 vcc, v2, v1
                                        ; implicit-def: $vgpr1
                                        ; implicit-def: $vgpr2
	s_and_saveexec_b64 s[6:7], vcc
	s_xor_b64 s[6:7], exec, s[6:7]
                                        ; implicit-def: $vgpr4_vgpr5
	s_cbranch_execz .LBB122_15
; %bb.14:
	v_div_scale_f32 v1, s[12:13], v7, v7, v3
	v_rcp_f32_e32 v2, v1
	v_div_scale_f32 v4, vcc, v3, v7, v3
	v_fma_f32 v5, -v1, v2, 1.0
	v_fmac_f32_e32 v2, v5, v2
	v_mul_f32_e32 v5, v4, v2
	v_fma_f32 v8, -v1, v5, v4
	v_fmac_f32_e32 v5, v8, v2
	v_fma_f32 v1, -v1, v5, v4
	v_div_fmas_f32 v1, v1, v2, v5
	v_div_fixup_f32 v2, v1, v7, v3
	v_fmac_f32_e32 v7, v3, v2
	v_div_scale_f32 v1, s[12:13], v7, v7, -1.0
	v_rcp_f32_e32 v3, v1
	v_fma_f32 v4, -v1, v3, 1.0
	v_fmac_f32_e32 v3, v4, v3
	v_div_scale_f32 v4, vcc, -1.0, v7, -1.0
	v_mul_f32_e32 v5, v4, v3
	v_fma_f32 v8, -v1, v5, v4
	v_fmac_f32_e32 v5, v8, v3
	v_fma_f32 v1, -v1, v5, v4
	v_div_fmas_f32 v1, v1, v3, v5
	v_div_fixup_f32 v1, v1, v7, -1.0
	v_mul_f32_e32 v2, v2, v1
	v_xor_b32_e32 v4, 0x80000000, v2
                                        ; implicit-def: $vgpr3
                                        ; implicit-def: $vgpr7
.LBB122_15:
	s_andn2_saveexec_b64 s[6:7], s[6:7]
	s_cbranch_execz .LBB122_17
; %bb.16:
	v_div_scale_f32 v1, s[12:13], v3, v3, v7
	v_rcp_f32_e32 v2, v1
	v_div_scale_f32 v4, vcc, v7, v3, v7
	v_fma_f32 v5, -v1, v2, 1.0
	v_fmac_f32_e32 v2, v5, v2
	v_mul_f32_e32 v5, v4, v2
	v_fma_f32 v8, -v1, v5, v4
	v_fmac_f32_e32 v5, v8, v2
	v_fma_f32 v1, -v1, v5, v4
	v_div_fmas_f32 v1, v1, v2, v5
	v_div_fixup_f32 v1, v1, v3, v7
	v_fmac_f32_e32 v3, v7, v1
	v_div_scale_f32 v2, s[12:13], v3, v3, 1.0
	v_rcp_f32_e32 v4, v2
	v_fma_f32 v5, -v2, v4, 1.0
	v_fmac_f32_e32 v4, v5, v4
	v_div_scale_f32 v5, vcc, 1.0, v3, 1.0
	v_mul_f32_e32 v7, v5, v4
	v_fma_f32 v8, -v2, v7, v5
	v_fmac_f32_e32 v7, v8, v4
	v_fma_f32 v2, -v2, v7, v5
	v_div_fmas_f32 v2, v2, v4, v7
	v_div_fixup_f32 v4, v2, v3, 1.0
	v_xor_b32_e32 v2, 0x80000000, v4
	v_mul_f32_e64 v1, v1, -v4
.LBB122_17:
	s_or_b64 exec, exec, s[6:7]
	buffer_store_dword v1, v6, s[0:3], 0 offen offset:4
	buffer_store_dword v4, v6, s[0:3], 0 offen
	buffer_load_dword v5, off, s[0:3], 0 offset:12
	s_nop 0
	buffer_load_dword v4, off, s[0:3], 0 offset:8
	v_xor_b32_e32 v3, 0x80000000, v1
	v_add_u32_e32 v1, 0x1e0, v222
	s_waitcnt vmcnt(0)
	ds_write2_b64 v222, v[2:3], v[4:5] offset1:60
	s_waitcnt lgkmcnt(0)
	; wave barrier
	s_waitcnt lgkmcnt(0)
	s_and_saveexec_b64 s[6:7], s[4:5]
	s_cbranch_execz .LBB122_19
; %bb.18:
	buffer_load_dword v4, v6, s[0:3], 0 offen
	buffer_load_dword v5, v6, s[0:3], 0 offen offset:4
	ds_read_b64 v[2:3], v1
	s_waitcnt vmcnt(0) lgkmcnt(0)
	v_mul_f32_e32 v7, v3, v5
	v_fma_f32 v7, v2, v4, -v7
	v_mul_f32_e32 v2, v2, v5
	v_fmac_f32_e32 v2, v3, v4
	v_add_f32_e32 v5, 0, v2
	v_mov_b32_e32 v2, 0
	ds_read_b64 v[2:3], v2 offset:8
	v_add_f32_e32 v4, 0, v7
	s_waitcnt lgkmcnt(0)
	v_mul_f32_e32 v7, v5, v3
	v_fma_f32 v7, v4, v2, -v7
	v_mul_f32_e32 v3, v4, v3
	v_fmac_f32_e32 v3, v5, v2
	buffer_store_dword v7, off, s[0:3], 0 offset:8
	buffer_store_dword v3, off, s[0:3], 0 offset:12
.LBB122_19:
	s_or_b64 exec, exec, s[6:7]
	s_waitcnt lgkmcnt(0)
	; wave barrier
	buffer_load_dword v2, off, s[0:3], 0 offset:16
	buffer_load_dword v3, off, s[0:3], 0 offset:20
	v_cmp_gt_u32_e32 vcc, 2, v0
	s_waitcnt vmcnt(0)
	ds_write_b64 v1, v[2:3]
	s_waitcnt lgkmcnt(0)
	; wave barrier
	s_waitcnt lgkmcnt(0)
	s_and_saveexec_b64 s[6:7], vcc
	s_cbranch_execz .LBB122_23
; %bb.20:
	buffer_load_dword v4, v6, s[0:3], 0 offen offset:4
	buffer_load_dword v5, v6, s[0:3], 0 offen
	ds_read_b64 v[2:3], v1
	s_waitcnt vmcnt(1) lgkmcnt(0)
	v_mul_f32_e32 v6, v3, v4
	v_mul_f32_e32 v4, v2, v4
	s_waitcnt vmcnt(0)
	v_fma_f32 v2, v2, v5, -v6
	v_fmac_f32_e32 v4, v3, v5
	v_add_f32_e32 v3, 0, v2
	v_add_f32_e32 v2, 0, v4
	s_and_saveexec_b64 s[12:13], s[4:5]
	s_cbranch_execz .LBB122_22
; %bb.21:
	v_mov_b32_e32 v4, 0
	ds_read_b64 v[4:5], v4 offset:488
	buffer_load_dword v6, off, s[0:3], 0 offset:8
	buffer_load_dword v7, off, s[0:3], 0 offset:12
	s_waitcnt vmcnt(0) lgkmcnt(0)
	v_mul_f32_e32 v8, v4, v7
	v_fmac_f32_e32 v8, v5, v6
	v_mul_f32_e32 v5, v5, v7
	v_fma_f32 v4, v4, v6, -v5
	v_add_f32_e32 v2, v2, v8
	v_add_f32_e32 v3, v3, v4
.LBB122_22:
	s_or_b64 exec, exec, s[12:13]
	v_mov_b32_e32 v4, 0
	ds_read_b64 v[4:5], v4 offset:16
	s_waitcnt lgkmcnt(0)
	v_mul_f32_e32 v6, v2, v5
	v_mul_f32_e32 v5, v3, v5
	v_fma_f32 v3, v3, v4, -v6
	v_fmac_f32_e32 v5, v2, v4
	buffer_store_dword v3, off, s[0:3], 0 offset:16
	buffer_store_dword v5, off, s[0:3], 0 offset:20
.LBB122_23:
	s_or_b64 exec, exec, s[6:7]
	s_waitcnt lgkmcnt(0)
	; wave barrier
	buffer_load_dword v2, off, s[0:3], 0 offset:24
	buffer_load_dword v3, off, s[0:3], 0 offset:28
	v_cmp_gt_u32_e32 vcc, 3, v0
	s_waitcnt vmcnt(0)
	ds_write_b64 v1, v[2:3]
	v_add_u32_e32 v2, -1, v0
	s_waitcnt lgkmcnt(0)
	; wave barrier
	s_waitcnt lgkmcnt(0)
	s_and_saveexec_b64 s[4:5], vcc
	s_cbranch_execz .LBB122_27
; %bb.24:
	v_add_u32_e32 v4, -1, v0
	v_add_u32_e32 v5, 0x1e0, v222
	v_add_u32_e32 v6, 0, v222
	s_mov_b64 s[6:7], 0
	v_mov_b32_e32 v3, 0
	v_mov_b32_e32 v7, 0
.LBB122_25:                             ; =>This Inner Loop Header: Depth=1
	buffer_load_dword v10, v6, s[0:3], 0 offen offset:4
	buffer_load_dword v11, v6, s[0:3], 0 offen
	ds_read_b64 v[8:9], v5
	v_add_u32_e32 v4, 1, v4
	v_cmp_lt_u32_e32 vcc, 1, v4
	v_add_u32_e32 v5, 8, v5
	v_add_u32_e32 v6, 8, v6
	s_or_b64 s[6:7], vcc, s[6:7]
	s_waitcnt vmcnt(1) lgkmcnt(0)
	v_mul_f32_e32 v12, v9, v10
	v_mul_f32_e32 v10, v8, v10
	s_waitcnt vmcnt(0)
	v_fma_f32 v8, v8, v11, -v12
	v_fmac_f32_e32 v10, v9, v11
	v_add_f32_e32 v7, v7, v8
	v_add_f32_e32 v3, v3, v10
	s_andn2_b64 exec, exec, s[6:7]
	s_cbranch_execnz .LBB122_25
; %bb.26:
	s_or_b64 exec, exec, s[6:7]
	v_mov_b32_e32 v4, 0
	ds_read_b64 v[4:5], v4 offset:24
	s_waitcnt lgkmcnt(0)
	v_mul_f32_e32 v6, v3, v5
	v_mul_f32_e32 v5, v7, v5
	v_fma_f32 v6, v7, v4, -v6
	v_fmac_f32_e32 v5, v3, v4
	buffer_store_dword v6, off, s[0:3], 0 offset:24
	buffer_store_dword v5, off, s[0:3], 0 offset:28
.LBB122_27:
	s_or_b64 exec, exec, s[4:5]
	s_waitcnt lgkmcnt(0)
	; wave barrier
	buffer_load_dword v4, off, s[0:3], 0 offset:32
	buffer_load_dword v5, off, s[0:3], 0 offset:36
	v_cmp_gt_u32_e32 vcc, 4, v0
	s_waitcnt vmcnt(0)
	ds_write_b64 v1, v[4:5]
	s_waitcnt lgkmcnt(0)
	; wave barrier
	s_waitcnt lgkmcnt(0)
	s_and_saveexec_b64 s[4:5], vcc
	s_cbranch_execz .LBB122_31
; %bb.28:
	v_add_u32_e32 v4, -1, v0
	v_add_u32_e32 v5, 0x1e0, v222
	v_add_u32_e32 v6, 0, v222
	s_mov_b64 s[6:7], 0
	v_mov_b32_e32 v3, 0
	v_mov_b32_e32 v7, 0
.LBB122_29:                             ; =>This Inner Loop Header: Depth=1
	buffer_load_dword v10, v6, s[0:3], 0 offen offset:4
	buffer_load_dword v11, v6, s[0:3], 0 offen
	ds_read_b64 v[8:9], v5
	v_add_u32_e32 v4, 1, v4
	v_cmp_lt_u32_e32 vcc, 2, v4
	v_add_u32_e32 v5, 8, v5
	v_add_u32_e32 v6, 8, v6
	s_or_b64 s[6:7], vcc, s[6:7]
	s_waitcnt vmcnt(1) lgkmcnt(0)
	v_mul_f32_e32 v12, v9, v10
	v_mul_f32_e32 v10, v8, v10
	s_waitcnt vmcnt(0)
	v_fma_f32 v8, v8, v11, -v12
	v_fmac_f32_e32 v10, v9, v11
	v_add_f32_e32 v7, v7, v8
	v_add_f32_e32 v3, v3, v10
	s_andn2_b64 exec, exec, s[6:7]
	s_cbranch_execnz .LBB122_29
; %bb.30:
	s_or_b64 exec, exec, s[6:7]
	v_mov_b32_e32 v4, 0
	ds_read_b64 v[4:5], v4 offset:32
	s_waitcnt lgkmcnt(0)
	v_mul_f32_e32 v6, v3, v5
	v_mul_f32_e32 v5, v7, v5
	v_fma_f32 v6, v7, v4, -v6
	v_fmac_f32_e32 v5, v3, v4
	buffer_store_dword v6, off, s[0:3], 0 offset:32
	buffer_store_dword v5, off, s[0:3], 0 offset:36
.LBB122_31:
	s_or_b64 exec, exec, s[4:5]
	s_waitcnt lgkmcnt(0)
	; wave barrier
	buffer_load_dword v4, off, s[0:3], 0 offset:40
	buffer_load_dword v5, off, s[0:3], 0 offset:44
	v_cmp_gt_u32_e32 vcc, 5, v0
	s_waitcnt vmcnt(0)
	ds_write_b64 v1, v[4:5]
	s_waitcnt lgkmcnt(0)
	; wave barrier
	s_waitcnt lgkmcnt(0)
	s_and_saveexec_b64 s[4:5], vcc
	s_cbranch_execz .LBB122_35
; %bb.32:
	v_add_u32_e32 v4, -1, v0
	v_add_u32_e32 v5, 0x1e0, v222
	v_add_u32_e32 v6, 0, v222
	s_mov_b64 s[6:7], 0
	v_mov_b32_e32 v3, 0
	v_mov_b32_e32 v7, 0
.LBB122_33:                             ; =>This Inner Loop Header: Depth=1
	buffer_load_dword v10, v6, s[0:3], 0 offen offset:4
	buffer_load_dword v11, v6, s[0:3], 0 offen
	ds_read_b64 v[8:9], v5
	v_add_u32_e32 v4, 1, v4
	v_cmp_lt_u32_e32 vcc, 3, v4
	v_add_u32_e32 v5, 8, v5
	v_add_u32_e32 v6, 8, v6
	s_or_b64 s[6:7], vcc, s[6:7]
	s_waitcnt vmcnt(1) lgkmcnt(0)
	v_mul_f32_e32 v12, v9, v10
	v_mul_f32_e32 v10, v8, v10
	s_waitcnt vmcnt(0)
	v_fma_f32 v8, v8, v11, -v12
	v_fmac_f32_e32 v10, v9, v11
	v_add_f32_e32 v7, v7, v8
	v_add_f32_e32 v3, v3, v10
	s_andn2_b64 exec, exec, s[6:7]
	s_cbranch_execnz .LBB122_33
; %bb.34:
	s_or_b64 exec, exec, s[6:7]
	v_mov_b32_e32 v4, 0
	ds_read_b64 v[4:5], v4 offset:40
	s_waitcnt lgkmcnt(0)
	v_mul_f32_e32 v6, v3, v5
	v_mul_f32_e32 v5, v7, v5
	v_fma_f32 v6, v7, v4, -v6
	v_fmac_f32_e32 v5, v3, v4
	buffer_store_dword v6, off, s[0:3], 0 offset:40
	buffer_store_dword v5, off, s[0:3], 0 offset:44
.LBB122_35:
	s_or_b64 exec, exec, s[4:5]
	s_waitcnt lgkmcnt(0)
	; wave barrier
	buffer_load_dword v4, off, s[0:3], 0 offset:48
	buffer_load_dword v5, off, s[0:3], 0 offset:52
	v_cmp_gt_u32_e32 vcc, 6, v0
	s_waitcnt vmcnt(0)
	ds_write_b64 v1, v[4:5]
	s_waitcnt lgkmcnt(0)
	; wave barrier
	s_waitcnt lgkmcnt(0)
	s_and_saveexec_b64 s[4:5], vcc
	s_cbranch_execz .LBB122_39
; %bb.36:
	v_add_u32_e32 v4, -1, v0
	v_add_u32_e32 v5, 0x1e0, v222
	v_add_u32_e32 v6, 0, v222
	s_mov_b64 s[6:7], 0
	v_mov_b32_e32 v3, 0
	v_mov_b32_e32 v7, 0
.LBB122_37:                             ; =>This Inner Loop Header: Depth=1
	buffer_load_dword v10, v6, s[0:3], 0 offen offset:4
	buffer_load_dword v11, v6, s[0:3], 0 offen
	ds_read_b64 v[8:9], v5
	v_add_u32_e32 v4, 1, v4
	v_cmp_lt_u32_e32 vcc, 4, v4
	v_add_u32_e32 v5, 8, v5
	v_add_u32_e32 v6, 8, v6
	s_or_b64 s[6:7], vcc, s[6:7]
	s_waitcnt vmcnt(1) lgkmcnt(0)
	v_mul_f32_e32 v12, v9, v10
	v_mul_f32_e32 v10, v8, v10
	s_waitcnt vmcnt(0)
	v_fma_f32 v8, v8, v11, -v12
	v_fmac_f32_e32 v10, v9, v11
	v_add_f32_e32 v7, v7, v8
	v_add_f32_e32 v3, v3, v10
	s_andn2_b64 exec, exec, s[6:7]
	s_cbranch_execnz .LBB122_37
; %bb.38:
	s_or_b64 exec, exec, s[6:7]
	v_mov_b32_e32 v4, 0
	ds_read_b64 v[4:5], v4 offset:48
	s_waitcnt lgkmcnt(0)
	v_mul_f32_e32 v6, v3, v5
	v_mul_f32_e32 v5, v7, v5
	v_fma_f32 v6, v7, v4, -v6
	v_fmac_f32_e32 v5, v3, v4
	buffer_store_dword v6, off, s[0:3], 0 offset:48
	buffer_store_dword v5, off, s[0:3], 0 offset:52
.LBB122_39:
	s_or_b64 exec, exec, s[4:5]
	s_waitcnt lgkmcnt(0)
	; wave barrier
	buffer_load_dword v4, off, s[0:3], 0 offset:56
	buffer_load_dword v5, off, s[0:3], 0 offset:60
	v_cmp_gt_u32_e32 vcc, 7, v0
	s_waitcnt vmcnt(0)
	ds_write_b64 v1, v[4:5]
	s_waitcnt lgkmcnt(0)
	; wave barrier
	s_waitcnt lgkmcnt(0)
	s_and_saveexec_b64 s[4:5], vcc
	s_cbranch_execz .LBB122_43
; %bb.40:
	v_add_u32_e32 v4, -1, v0
	v_add_u32_e32 v5, 0x1e0, v222
	v_add_u32_e32 v6, 0, v222
	s_mov_b64 s[6:7], 0
	v_mov_b32_e32 v3, 0
	v_mov_b32_e32 v7, 0
.LBB122_41:                             ; =>This Inner Loop Header: Depth=1
	buffer_load_dword v10, v6, s[0:3], 0 offen offset:4
	buffer_load_dword v11, v6, s[0:3], 0 offen
	ds_read_b64 v[8:9], v5
	v_add_u32_e32 v4, 1, v4
	v_cmp_lt_u32_e32 vcc, 5, v4
	v_add_u32_e32 v5, 8, v5
	v_add_u32_e32 v6, 8, v6
	s_or_b64 s[6:7], vcc, s[6:7]
	s_waitcnt vmcnt(1) lgkmcnt(0)
	v_mul_f32_e32 v12, v9, v10
	v_mul_f32_e32 v10, v8, v10
	s_waitcnt vmcnt(0)
	v_fma_f32 v8, v8, v11, -v12
	v_fmac_f32_e32 v10, v9, v11
	v_add_f32_e32 v7, v7, v8
	v_add_f32_e32 v3, v3, v10
	s_andn2_b64 exec, exec, s[6:7]
	s_cbranch_execnz .LBB122_41
; %bb.42:
	s_or_b64 exec, exec, s[6:7]
	v_mov_b32_e32 v4, 0
	ds_read_b64 v[4:5], v4 offset:56
	s_waitcnt lgkmcnt(0)
	v_mul_f32_e32 v6, v3, v5
	v_mul_f32_e32 v5, v7, v5
	v_fma_f32 v6, v7, v4, -v6
	v_fmac_f32_e32 v5, v3, v4
	buffer_store_dword v6, off, s[0:3], 0 offset:56
	buffer_store_dword v5, off, s[0:3], 0 offset:60
.LBB122_43:
	s_or_b64 exec, exec, s[4:5]
	s_waitcnt lgkmcnt(0)
	; wave barrier
	buffer_load_dword v4, off, s[0:3], 0 offset:64
	buffer_load_dword v5, off, s[0:3], 0 offset:68
	v_cmp_gt_u32_e32 vcc, 8, v0
	s_waitcnt vmcnt(0)
	ds_write_b64 v1, v[4:5]
	s_waitcnt lgkmcnt(0)
	; wave barrier
	s_waitcnt lgkmcnt(0)
	s_and_saveexec_b64 s[4:5], vcc
	s_cbranch_execz .LBB122_47
; %bb.44:
	v_add_u32_e32 v4, -1, v0
	v_add_u32_e32 v5, 0x1e0, v222
	v_add_u32_e32 v6, 0, v222
	s_mov_b64 s[6:7], 0
	v_mov_b32_e32 v3, 0
	v_mov_b32_e32 v7, 0
.LBB122_45:                             ; =>This Inner Loop Header: Depth=1
	buffer_load_dword v10, v6, s[0:3], 0 offen offset:4
	buffer_load_dword v11, v6, s[0:3], 0 offen
	ds_read_b64 v[8:9], v5
	v_add_u32_e32 v4, 1, v4
	v_cmp_lt_u32_e32 vcc, 6, v4
	v_add_u32_e32 v5, 8, v5
	v_add_u32_e32 v6, 8, v6
	s_or_b64 s[6:7], vcc, s[6:7]
	s_waitcnt vmcnt(1) lgkmcnt(0)
	v_mul_f32_e32 v12, v9, v10
	v_mul_f32_e32 v10, v8, v10
	s_waitcnt vmcnt(0)
	v_fma_f32 v8, v8, v11, -v12
	v_fmac_f32_e32 v10, v9, v11
	v_add_f32_e32 v7, v7, v8
	v_add_f32_e32 v3, v3, v10
	s_andn2_b64 exec, exec, s[6:7]
	s_cbranch_execnz .LBB122_45
; %bb.46:
	s_or_b64 exec, exec, s[6:7]
	v_mov_b32_e32 v4, 0
	ds_read_b64 v[4:5], v4 offset:64
	s_waitcnt lgkmcnt(0)
	v_mul_f32_e32 v6, v3, v5
	v_mul_f32_e32 v5, v7, v5
	v_fma_f32 v6, v7, v4, -v6
	v_fmac_f32_e32 v5, v3, v4
	buffer_store_dword v6, off, s[0:3], 0 offset:64
	buffer_store_dword v5, off, s[0:3], 0 offset:68
.LBB122_47:
	s_or_b64 exec, exec, s[4:5]
	s_waitcnt lgkmcnt(0)
	; wave barrier
	buffer_load_dword v4, off, s[0:3], 0 offset:72
	buffer_load_dword v5, off, s[0:3], 0 offset:76
	v_cmp_gt_u32_e32 vcc, 9, v0
	s_waitcnt vmcnt(0)
	ds_write_b64 v1, v[4:5]
	s_waitcnt lgkmcnt(0)
	; wave barrier
	s_waitcnt lgkmcnt(0)
	s_and_saveexec_b64 s[4:5], vcc
	s_cbranch_execz .LBB122_51
; %bb.48:
	v_add_u32_e32 v4, -1, v0
	v_add_u32_e32 v5, 0x1e0, v222
	v_add_u32_e32 v6, 0, v222
	s_mov_b64 s[6:7], 0
	v_mov_b32_e32 v3, 0
	v_mov_b32_e32 v7, 0
.LBB122_49:                             ; =>This Inner Loop Header: Depth=1
	buffer_load_dword v10, v6, s[0:3], 0 offen offset:4
	buffer_load_dword v11, v6, s[0:3], 0 offen
	ds_read_b64 v[8:9], v5
	v_add_u32_e32 v4, 1, v4
	v_cmp_lt_u32_e32 vcc, 7, v4
	v_add_u32_e32 v5, 8, v5
	v_add_u32_e32 v6, 8, v6
	s_or_b64 s[6:7], vcc, s[6:7]
	s_waitcnt vmcnt(1) lgkmcnt(0)
	v_mul_f32_e32 v12, v9, v10
	v_mul_f32_e32 v10, v8, v10
	s_waitcnt vmcnt(0)
	v_fma_f32 v8, v8, v11, -v12
	v_fmac_f32_e32 v10, v9, v11
	v_add_f32_e32 v7, v7, v8
	v_add_f32_e32 v3, v3, v10
	s_andn2_b64 exec, exec, s[6:7]
	s_cbranch_execnz .LBB122_49
; %bb.50:
	s_or_b64 exec, exec, s[6:7]
	v_mov_b32_e32 v4, 0
	ds_read_b64 v[4:5], v4 offset:72
	s_waitcnt lgkmcnt(0)
	v_mul_f32_e32 v6, v3, v5
	v_mul_f32_e32 v5, v7, v5
	v_fma_f32 v6, v7, v4, -v6
	v_fmac_f32_e32 v5, v3, v4
	buffer_store_dword v6, off, s[0:3], 0 offset:72
	buffer_store_dword v5, off, s[0:3], 0 offset:76
.LBB122_51:
	s_or_b64 exec, exec, s[4:5]
	s_waitcnt lgkmcnt(0)
	; wave barrier
	buffer_load_dword v4, off, s[0:3], 0 offset:80
	buffer_load_dword v5, off, s[0:3], 0 offset:84
	v_cmp_gt_u32_e32 vcc, 10, v0
	s_waitcnt vmcnt(0)
	ds_write_b64 v1, v[4:5]
	s_waitcnt lgkmcnt(0)
	; wave barrier
	s_waitcnt lgkmcnt(0)
	s_and_saveexec_b64 s[4:5], vcc
	s_cbranch_execz .LBB122_55
; %bb.52:
	v_add_u32_e32 v4, -1, v0
	v_add_u32_e32 v5, 0x1e0, v222
	v_add_u32_e32 v6, 0, v222
	s_mov_b64 s[6:7], 0
	v_mov_b32_e32 v3, 0
	v_mov_b32_e32 v7, 0
.LBB122_53:                             ; =>This Inner Loop Header: Depth=1
	buffer_load_dword v10, v6, s[0:3], 0 offen offset:4
	buffer_load_dword v11, v6, s[0:3], 0 offen
	ds_read_b64 v[8:9], v5
	v_add_u32_e32 v4, 1, v4
	v_cmp_lt_u32_e32 vcc, 8, v4
	v_add_u32_e32 v5, 8, v5
	v_add_u32_e32 v6, 8, v6
	s_or_b64 s[6:7], vcc, s[6:7]
	s_waitcnt vmcnt(1) lgkmcnt(0)
	v_mul_f32_e32 v12, v9, v10
	v_mul_f32_e32 v10, v8, v10
	s_waitcnt vmcnt(0)
	v_fma_f32 v8, v8, v11, -v12
	v_fmac_f32_e32 v10, v9, v11
	v_add_f32_e32 v7, v7, v8
	v_add_f32_e32 v3, v3, v10
	s_andn2_b64 exec, exec, s[6:7]
	s_cbranch_execnz .LBB122_53
; %bb.54:
	s_or_b64 exec, exec, s[6:7]
	v_mov_b32_e32 v4, 0
	ds_read_b64 v[4:5], v4 offset:80
	s_waitcnt lgkmcnt(0)
	v_mul_f32_e32 v6, v3, v5
	v_mul_f32_e32 v5, v7, v5
	v_fma_f32 v6, v7, v4, -v6
	v_fmac_f32_e32 v5, v3, v4
	buffer_store_dword v6, off, s[0:3], 0 offset:80
	buffer_store_dword v5, off, s[0:3], 0 offset:84
.LBB122_55:
	s_or_b64 exec, exec, s[4:5]
	s_waitcnt lgkmcnt(0)
	; wave barrier
	buffer_load_dword v4, off, s[0:3], 0 offset:88
	buffer_load_dword v5, off, s[0:3], 0 offset:92
	v_cmp_gt_u32_e32 vcc, 11, v0
	s_waitcnt vmcnt(0)
	ds_write_b64 v1, v[4:5]
	s_waitcnt lgkmcnt(0)
	; wave barrier
	s_waitcnt lgkmcnt(0)
	s_and_saveexec_b64 s[4:5], vcc
	s_cbranch_execz .LBB122_59
; %bb.56:
	v_add_u32_e32 v4, -1, v0
	v_add_u32_e32 v5, 0x1e0, v222
	v_add_u32_e32 v6, 0, v222
	s_mov_b64 s[6:7], 0
	v_mov_b32_e32 v3, 0
	v_mov_b32_e32 v7, 0
.LBB122_57:                             ; =>This Inner Loop Header: Depth=1
	buffer_load_dword v10, v6, s[0:3], 0 offen offset:4
	buffer_load_dword v11, v6, s[0:3], 0 offen
	ds_read_b64 v[8:9], v5
	v_add_u32_e32 v4, 1, v4
	v_cmp_lt_u32_e32 vcc, 9, v4
	v_add_u32_e32 v5, 8, v5
	v_add_u32_e32 v6, 8, v6
	s_or_b64 s[6:7], vcc, s[6:7]
	s_waitcnt vmcnt(1) lgkmcnt(0)
	v_mul_f32_e32 v12, v9, v10
	v_mul_f32_e32 v10, v8, v10
	s_waitcnt vmcnt(0)
	v_fma_f32 v8, v8, v11, -v12
	v_fmac_f32_e32 v10, v9, v11
	v_add_f32_e32 v7, v7, v8
	v_add_f32_e32 v3, v3, v10
	s_andn2_b64 exec, exec, s[6:7]
	s_cbranch_execnz .LBB122_57
; %bb.58:
	s_or_b64 exec, exec, s[6:7]
	v_mov_b32_e32 v4, 0
	ds_read_b64 v[4:5], v4 offset:88
	s_waitcnt lgkmcnt(0)
	v_mul_f32_e32 v6, v3, v5
	v_mul_f32_e32 v5, v7, v5
	v_fma_f32 v6, v7, v4, -v6
	v_fmac_f32_e32 v5, v3, v4
	buffer_store_dword v6, off, s[0:3], 0 offset:88
	buffer_store_dword v5, off, s[0:3], 0 offset:92
.LBB122_59:
	s_or_b64 exec, exec, s[4:5]
	s_waitcnt lgkmcnt(0)
	; wave barrier
	buffer_load_dword v4, off, s[0:3], 0 offset:96
	buffer_load_dword v5, off, s[0:3], 0 offset:100
	v_cmp_gt_u32_e32 vcc, 12, v0
	s_waitcnt vmcnt(0)
	ds_write_b64 v1, v[4:5]
	s_waitcnt lgkmcnt(0)
	; wave barrier
	s_waitcnt lgkmcnt(0)
	s_and_saveexec_b64 s[4:5], vcc
	s_cbranch_execz .LBB122_63
; %bb.60:
	v_add_u32_e32 v4, -1, v0
	v_add_u32_e32 v5, 0x1e0, v222
	v_add_u32_e32 v6, 0, v222
	s_mov_b64 s[6:7], 0
	v_mov_b32_e32 v3, 0
	v_mov_b32_e32 v7, 0
.LBB122_61:                             ; =>This Inner Loop Header: Depth=1
	buffer_load_dword v10, v6, s[0:3], 0 offen offset:4
	buffer_load_dword v11, v6, s[0:3], 0 offen
	ds_read_b64 v[8:9], v5
	v_add_u32_e32 v4, 1, v4
	v_cmp_lt_u32_e32 vcc, 10, v4
	v_add_u32_e32 v5, 8, v5
	v_add_u32_e32 v6, 8, v6
	s_or_b64 s[6:7], vcc, s[6:7]
	s_waitcnt vmcnt(1) lgkmcnt(0)
	v_mul_f32_e32 v12, v9, v10
	v_mul_f32_e32 v10, v8, v10
	s_waitcnt vmcnt(0)
	v_fma_f32 v8, v8, v11, -v12
	v_fmac_f32_e32 v10, v9, v11
	v_add_f32_e32 v7, v7, v8
	v_add_f32_e32 v3, v3, v10
	s_andn2_b64 exec, exec, s[6:7]
	s_cbranch_execnz .LBB122_61
; %bb.62:
	s_or_b64 exec, exec, s[6:7]
	v_mov_b32_e32 v4, 0
	ds_read_b64 v[4:5], v4 offset:96
	s_waitcnt lgkmcnt(0)
	v_mul_f32_e32 v6, v3, v5
	v_mul_f32_e32 v5, v7, v5
	v_fma_f32 v6, v7, v4, -v6
	v_fmac_f32_e32 v5, v3, v4
	buffer_store_dword v6, off, s[0:3], 0 offset:96
	buffer_store_dword v5, off, s[0:3], 0 offset:100
.LBB122_63:
	s_or_b64 exec, exec, s[4:5]
	s_waitcnt lgkmcnt(0)
	; wave barrier
	buffer_load_dword v4, off, s[0:3], 0 offset:104
	buffer_load_dword v5, off, s[0:3], 0 offset:108
	v_cmp_gt_u32_e32 vcc, 13, v0
	s_waitcnt vmcnt(0)
	ds_write_b64 v1, v[4:5]
	s_waitcnt lgkmcnt(0)
	; wave barrier
	s_waitcnt lgkmcnt(0)
	s_and_saveexec_b64 s[4:5], vcc
	s_cbranch_execz .LBB122_67
; %bb.64:
	v_add_u32_e32 v4, -1, v0
	v_add_u32_e32 v5, 0x1e0, v222
	v_add_u32_e32 v6, 0, v222
	s_mov_b64 s[6:7], 0
	v_mov_b32_e32 v3, 0
	v_mov_b32_e32 v7, 0
.LBB122_65:                             ; =>This Inner Loop Header: Depth=1
	buffer_load_dword v10, v6, s[0:3], 0 offen offset:4
	buffer_load_dword v11, v6, s[0:3], 0 offen
	ds_read_b64 v[8:9], v5
	v_add_u32_e32 v4, 1, v4
	v_cmp_lt_u32_e32 vcc, 11, v4
	v_add_u32_e32 v5, 8, v5
	v_add_u32_e32 v6, 8, v6
	s_or_b64 s[6:7], vcc, s[6:7]
	s_waitcnt vmcnt(1) lgkmcnt(0)
	v_mul_f32_e32 v12, v9, v10
	v_mul_f32_e32 v10, v8, v10
	s_waitcnt vmcnt(0)
	v_fma_f32 v8, v8, v11, -v12
	v_fmac_f32_e32 v10, v9, v11
	v_add_f32_e32 v7, v7, v8
	v_add_f32_e32 v3, v3, v10
	s_andn2_b64 exec, exec, s[6:7]
	s_cbranch_execnz .LBB122_65
; %bb.66:
	s_or_b64 exec, exec, s[6:7]
	v_mov_b32_e32 v4, 0
	ds_read_b64 v[4:5], v4 offset:104
	s_waitcnt lgkmcnt(0)
	v_mul_f32_e32 v6, v3, v5
	v_mul_f32_e32 v5, v7, v5
	v_fma_f32 v6, v7, v4, -v6
	v_fmac_f32_e32 v5, v3, v4
	buffer_store_dword v6, off, s[0:3], 0 offset:104
	buffer_store_dword v5, off, s[0:3], 0 offset:108
.LBB122_67:
	s_or_b64 exec, exec, s[4:5]
	s_waitcnt lgkmcnt(0)
	; wave barrier
	buffer_load_dword v4, off, s[0:3], 0 offset:112
	buffer_load_dword v5, off, s[0:3], 0 offset:116
	v_cmp_gt_u32_e32 vcc, 14, v0
	s_waitcnt vmcnt(0)
	ds_write_b64 v1, v[4:5]
	s_waitcnt lgkmcnt(0)
	; wave barrier
	s_waitcnt lgkmcnt(0)
	s_and_saveexec_b64 s[4:5], vcc
	s_cbranch_execz .LBB122_71
; %bb.68:
	v_add_u32_e32 v4, -1, v0
	v_add_u32_e32 v5, 0x1e0, v222
	v_add_u32_e32 v6, 0, v222
	s_mov_b64 s[6:7], 0
	v_mov_b32_e32 v3, 0
	v_mov_b32_e32 v7, 0
.LBB122_69:                             ; =>This Inner Loop Header: Depth=1
	buffer_load_dword v10, v6, s[0:3], 0 offen offset:4
	buffer_load_dword v11, v6, s[0:3], 0 offen
	ds_read_b64 v[8:9], v5
	v_add_u32_e32 v4, 1, v4
	v_cmp_lt_u32_e32 vcc, 12, v4
	v_add_u32_e32 v5, 8, v5
	v_add_u32_e32 v6, 8, v6
	s_or_b64 s[6:7], vcc, s[6:7]
	s_waitcnt vmcnt(1) lgkmcnt(0)
	v_mul_f32_e32 v12, v9, v10
	v_mul_f32_e32 v10, v8, v10
	s_waitcnt vmcnt(0)
	v_fma_f32 v8, v8, v11, -v12
	v_fmac_f32_e32 v10, v9, v11
	v_add_f32_e32 v7, v7, v8
	v_add_f32_e32 v3, v3, v10
	s_andn2_b64 exec, exec, s[6:7]
	s_cbranch_execnz .LBB122_69
; %bb.70:
	s_or_b64 exec, exec, s[6:7]
	v_mov_b32_e32 v4, 0
	ds_read_b64 v[4:5], v4 offset:112
	s_waitcnt lgkmcnt(0)
	v_mul_f32_e32 v6, v3, v5
	v_mul_f32_e32 v5, v7, v5
	v_fma_f32 v6, v7, v4, -v6
	v_fmac_f32_e32 v5, v3, v4
	buffer_store_dword v6, off, s[0:3], 0 offset:112
	buffer_store_dword v5, off, s[0:3], 0 offset:116
.LBB122_71:
	s_or_b64 exec, exec, s[4:5]
	s_waitcnt lgkmcnt(0)
	; wave barrier
	buffer_load_dword v4, off, s[0:3], 0 offset:120
	buffer_load_dword v5, off, s[0:3], 0 offset:124
	v_cmp_gt_u32_e32 vcc, 15, v0
	s_waitcnt vmcnt(0)
	ds_write_b64 v1, v[4:5]
	s_waitcnt lgkmcnt(0)
	; wave barrier
	s_waitcnt lgkmcnt(0)
	s_and_saveexec_b64 s[4:5], vcc
	s_cbranch_execz .LBB122_75
; %bb.72:
	v_add_u32_e32 v4, -1, v0
	v_add_u32_e32 v5, 0x1e0, v222
	v_add_u32_e32 v6, 0, v222
	s_mov_b64 s[6:7], 0
	v_mov_b32_e32 v3, 0
	v_mov_b32_e32 v7, 0
.LBB122_73:                             ; =>This Inner Loop Header: Depth=1
	buffer_load_dword v10, v6, s[0:3], 0 offen offset:4
	buffer_load_dword v11, v6, s[0:3], 0 offen
	ds_read_b64 v[8:9], v5
	v_add_u32_e32 v4, 1, v4
	v_cmp_lt_u32_e32 vcc, 13, v4
	v_add_u32_e32 v5, 8, v5
	v_add_u32_e32 v6, 8, v6
	s_or_b64 s[6:7], vcc, s[6:7]
	s_waitcnt vmcnt(1) lgkmcnt(0)
	v_mul_f32_e32 v12, v9, v10
	v_mul_f32_e32 v10, v8, v10
	s_waitcnt vmcnt(0)
	v_fma_f32 v8, v8, v11, -v12
	v_fmac_f32_e32 v10, v9, v11
	v_add_f32_e32 v7, v7, v8
	v_add_f32_e32 v3, v3, v10
	s_andn2_b64 exec, exec, s[6:7]
	s_cbranch_execnz .LBB122_73
; %bb.74:
	s_or_b64 exec, exec, s[6:7]
	v_mov_b32_e32 v4, 0
	ds_read_b64 v[4:5], v4 offset:120
	s_waitcnt lgkmcnt(0)
	v_mul_f32_e32 v6, v3, v5
	v_mul_f32_e32 v5, v7, v5
	v_fma_f32 v6, v7, v4, -v6
	v_fmac_f32_e32 v5, v3, v4
	buffer_store_dword v6, off, s[0:3], 0 offset:120
	buffer_store_dword v5, off, s[0:3], 0 offset:124
.LBB122_75:
	s_or_b64 exec, exec, s[4:5]
	s_waitcnt lgkmcnt(0)
	; wave barrier
	buffer_load_dword v4, off, s[0:3], 0 offset:128
	buffer_load_dword v5, off, s[0:3], 0 offset:132
	v_cmp_gt_u32_e32 vcc, 16, v0
	s_waitcnt vmcnt(0)
	ds_write_b64 v1, v[4:5]
	s_waitcnt lgkmcnt(0)
	; wave barrier
	s_waitcnt lgkmcnt(0)
	s_and_saveexec_b64 s[4:5], vcc
	s_cbranch_execz .LBB122_79
; %bb.76:
	v_add_u32_e32 v4, -1, v0
	v_add_u32_e32 v5, 0x1e0, v222
	v_add_u32_e32 v6, 0, v222
	s_mov_b64 s[6:7], 0
	v_mov_b32_e32 v3, 0
	v_mov_b32_e32 v7, 0
.LBB122_77:                             ; =>This Inner Loop Header: Depth=1
	buffer_load_dword v10, v6, s[0:3], 0 offen offset:4
	buffer_load_dword v11, v6, s[0:3], 0 offen
	ds_read_b64 v[8:9], v5
	v_add_u32_e32 v4, 1, v4
	v_cmp_lt_u32_e32 vcc, 14, v4
	v_add_u32_e32 v5, 8, v5
	v_add_u32_e32 v6, 8, v6
	s_or_b64 s[6:7], vcc, s[6:7]
	s_waitcnt vmcnt(1) lgkmcnt(0)
	v_mul_f32_e32 v12, v9, v10
	v_mul_f32_e32 v10, v8, v10
	s_waitcnt vmcnt(0)
	v_fma_f32 v8, v8, v11, -v12
	v_fmac_f32_e32 v10, v9, v11
	v_add_f32_e32 v7, v7, v8
	v_add_f32_e32 v3, v3, v10
	s_andn2_b64 exec, exec, s[6:7]
	s_cbranch_execnz .LBB122_77
; %bb.78:
	s_or_b64 exec, exec, s[6:7]
	v_mov_b32_e32 v4, 0
	ds_read_b64 v[4:5], v4 offset:128
	s_waitcnt lgkmcnt(0)
	v_mul_f32_e32 v6, v3, v5
	v_mul_f32_e32 v5, v7, v5
	v_fma_f32 v6, v7, v4, -v6
	v_fmac_f32_e32 v5, v3, v4
	buffer_store_dword v6, off, s[0:3], 0 offset:128
	buffer_store_dword v5, off, s[0:3], 0 offset:132
.LBB122_79:
	s_or_b64 exec, exec, s[4:5]
	s_waitcnt lgkmcnt(0)
	; wave barrier
	buffer_load_dword v4, off, s[0:3], 0 offset:136
	buffer_load_dword v5, off, s[0:3], 0 offset:140
	v_cmp_gt_u32_e32 vcc, 17, v0
	s_waitcnt vmcnt(0)
	ds_write_b64 v1, v[4:5]
	s_waitcnt lgkmcnt(0)
	; wave barrier
	s_waitcnt lgkmcnt(0)
	s_and_saveexec_b64 s[4:5], vcc
	s_cbranch_execz .LBB122_83
; %bb.80:
	v_add_u32_e32 v4, -1, v0
	v_add_u32_e32 v5, 0x1e0, v222
	v_add_u32_e32 v6, 0, v222
	s_mov_b64 s[6:7], 0
	v_mov_b32_e32 v3, 0
	v_mov_b32_e32 v7, 0
.LBB122_81:                             ; =>This Inner Loop Header: Depth=1
	buffer_load_dword v10, v6, s[0:3], 0 offen offset:4
	buffer_load_dword v11, v6, s[0:3], 0 offen
	ds_read_b64 v[8:9], v5
	v_add_u32_e32 v4, 1, v4
	v_cmp_lt_u32_e32 vcc, 15, v4
	v_add_u32_e32 v5, 8, v5
	v_add_u32_e32 v6, 8, v6
	s_or_b64 s[6:7], vcc, s[6:7]
	s_waitcnt vmcnt(1) lgkmcnt(0)
	v_mul_f32_e32 v12, v9, v10
	v_mul_f32_e32 v10, v8, v10
	s_waitcnt vmcnt(0)
	v_fma_f32 v8, v8, v11, -v12
	v_fmac_f32_e32 v10, v9, v11
	v_add_f32_e32 v7, v7, v8
	v_add_f32_e32 v3, v3, v10
	s_andn2_b64 exec, exec, s[6:7]
	s_cbranch_execnz .LBB122_81
; %bb.82:
	s_or_b64 exec, exec, s[6:7]
	v_mov_b32_e32 v4, 0
	ds_read_b64 v[4:5], v4 offset:136
	s_waitcnt lgkmcnt(0)
	v_mul_f32_e32 v6, v3, v5
	v_mul_f32_e32 v5, v7, v5
	v_fma_f32 v6, v7, v4, -v6
	v_fmac_f32_e32 v5, v3, v4
	buffer_store_dword v6, off, s[0:3], 0 offset:136
	buffer_store_dword v5, off, s[0:3], 0 offset:140
.LBB122_83:
	s_or_b64 exec, exec, s[4:5]
	s_waitcnt lgkmcnt(0)
	; wave barrier
	buffer_load_dword v4, off, s[0:3], 0 offset:144
	buffer_load_dword v5, off, s[0:3], 0 offset:148
	v_cmp_gt_u32_e32 vcc, 18, v0
	s_waitcnt vmcnt(0)
	ds_write_b64 v1, v[4:5]
	s_waitcnt lgkmcnt(0)
	; wave barrier
	s_waitcnt lgkmcnt(0)
	s_and_saveexec_b64 s[4:5], vcc
	s_cbranch_execz .LBB122_87
; %bb.84:
	v_add_u32_e32 v4, -1, v0
	v_add_u32_e32 v5, 0x1e0, v222
	v_add_u32_e32 v6, 0, v222
	s_mov_b64 s[6:7], 0
	v_mov_b32_e32 v3, 0
	v_mov_b32_e32 v7, 0
.LBB122_85:                             ; =>This Inner Loop Header: Depth=1
	buffer_load_dword v10, v6, s[0:3], 0 offen offset:4
	buffer_load_dword v11, v6, s[0:3], 0 offen
	ds_read_b64 v[8:9], v5
	v_add_u32_e32 v4, 1, v4
	v_cmp_lt_u32_e32 vcc, 16, v4
	v_add_u32_e32 v5, 8, v5
	v_add_u32_e32 v6, 8, v6
	s_or_b64 s[6:7], vcc, s[6:7]
	s_waitcnt vmcnt(1) lgkmcnt(0)
	v_mul_f32_e32 v12, v9, v10
	v_mul_f32_e32 v10, v8, v10
	s_waitcnt vmcnt(0)
	v_fma_f32 v8, v8, v11, -v12
	v_fmac_f32_e32 v10, v9, v11
	v_add_f32_e32 v7, v7, v8
	v_add_f32_e32 v3, v3, v10
	s_andn2_b64 exec, exec, s[6:7]
	s_cbranch_execnz .LBB122_85
; %bb.86:
	s_or_b64 exec, exec, s[6:7]
	v_mov_b32_e32 v4, 0
	ds_read_b64 v[4:5], v4 offset:144
	s_waitcnt lgkmcnt(0)
	v_mul_f32_e32 v6, v3, v5
	v_mul_f32_e32 v5, v7, v5
	v_fma_f32 v6, v7, v4, -v6
	v_fmac_f32_e32 v5, v3, v4
	buffer_store_dword v6, off, s[0:3], 0 offset:144
	buffer_store_dword v5, off, s[0:3], 0 offset:148
.LBB122_87:
	s_or_b64 exec, exec, s[4:5]
	s_waitcnt lgkmcnt(0)
	; wave barrier
	buffer_load_dword v4, off, s[0:3], 0 offset:152
	buffer_load_dword v5, off, s[0:3], 0 offset:156
	v_cmp_gt_u32_e32 vcc, 19, v0
	s_waitcnt vmcnt(0)
	ds_write_b64 v1, v[4:5]
	s_waitcnt lgkmcnt(0)
	; wave barrier
	s_waitcnt lgkmcnt(0)
	s_and_saveexec_b64 s[4:5], vcc
	s_cbranch_execz .LBB122_91
; %bb.88:
	v_add_u32_e32 v4, -1, v0
	v_add_u32_e32 v5, 0x1e0, v222
	v_add_u32_e32 v6, 0, v222
	s_mov_b64 s[6:7], 0
	v_mov_b32_e32 v3, 0
	v_mov_b32_e32 v7, 0
.LBB122_89:                             ; =>This Inner Loop Header: Depth=1
	buffer_load_dword v10, v6, s[0:3], 0 offen offset:4
	buffer_load_dword v11, v6, s[0:3], 0 offen
	ds_read_b64 v[8:9], v5
	v_add_u32_e32 v4, 1, v4
	v_cmp_lt_u32_e32 vcc, 17, v4
	v_add_u32_e32 v5, 8, v5
	v_add_u32_e32 v6, 8, v6
	s_or_b64 s[6:7], vcc, s[6:7]
	s_waitcnt vmcnt(1) lgkmcnt(0)
	v_mul_f32_e32 v12, v9, v10
	v_mul_f32_e32 v10, v8, v10
	s_waitcnt vmcnt(0)
	v_fma_f32 v8, v8, v11, -v12
	v_fmac_f32_e32 v10, v9, v11
	v_add_f32_e32 v7, v7, v8
	v_add_f32_e32 v3, v3, v10
	s_andn2_b64 exec, exec, s[6:7]
	s_cbranch_execnz .LBB122_89
; %bb.90:
	s_or_b64 exec, exec, s[6:7]
	v_mov_b32_e32 v4, 0
	ds_read_b64 v[4:5], v4 offset:152
	s_waitcnt lgkmcnt(0)
	v_mul_f32_e32 v6, v3, v5
	v_mul_f32_e32 v5, v7, v5
	v_fma_f32 v6, v7, v4, -v6
	v_fmac_f32_e32 v5, v3, v4
	buffer_store_dword v6, off, s[0:3], 0 offset:152
	buffer_store_dword v5, off, s[0:3], 0 offset:156
.LBB122_91:
	s_or_b64 exec, exec, s[4:5]
	s_waitcnt lgkmcnt(0)
	; wave barrier
	buffer_load_dword v4, off, s[0:3], 0 offset:160
	buffer_load_dword v5, off, s[0:3], 0 offset:164
	v_cmp_gt_u32_e32 vcc, 20, v0
	s_waitcnt vmcnt(0)
	ds_write_b64 v1, v[4:5]
	s_waitcnt lgkmcnt(0)
	; wave barrier
	s_waitcnt lgkmcnt(0)
	s_and_saveexec_b64 s[4:5], vcc
	s_cbranch_execz .LBB122_95
; %bb.92:
	v_add_u32_e32 v4, -1, v0
	v_add_u32_e32 v5, 0x1e0, v222
	v_add_u32_e32 v6, 0, v222
	s_mov_b64 s[6:7], 0
	v_mov_b32_e32 v3, 0
	v_mov_b32_e32 v7, 0
.LBB122_93:                             ; =>This Inner Loop Header: Depth=1
	buffer_load_dword v10, v6, s[0:3], 0 offen offset:4
	buffer_load_dword v11, v6, s[0:3], 0 offen
	ds_read_b64 v[8:9], v5
	v_add_u32_e32 v4, 1, v4
	v_cmp_lt_u32_e32 vcc, 18, v4
	v_add_u32_e32 v5, 8, v5
	v_add_u32_e32 v6, 8, v6
	s_or_b64 s[6:7], vcc, s[6:7]
	s_waitcnt vmcnt(1) lgkmcnt(0)
	v_mul_f32_e32 v12, v9, v10
	v_mul_f32_e32 v10, v8, v10
	s_waitcnt vmcnt(0)
	v_fma_f32 v8, v8, v11, -v12
	v_fmac_f32_e32 v10, v9, v11
	v_add_f32_e32 v7, v7, v8
	v_add_f32_e32 v3, v3, v10
	s_andn2_b64 exec, exec, s[6:7]
	s_cbranch_execnz .LBB122_93
; %bb.94:
	s_or_b64 exec, exec, s[6:7]
	v_mov_b32_e32 v4, 0
	ds_read_b64 v[4:5], v4 offset:160
	s_waitcnt lgkmcnt(0)
	v_mul_f32_e32 v6, v3, v5
	v_mul_f32_e32 v5, v7, v5
	v_fma_f32 v6, v7, v4, -v6
	v_fmac_f32_e32 v5, v3, v4
	buffer_store_dword v6, off, s[0:3], 0 offset:160
	buffer_store_dword v5, off, s[0:3], 0 offset:164
.LBB122_95:
	s_or_b64 exec, exec, s[4:5]
	s_waitcnt lgkmcnt(0)
	; wave barrier
	buffer_load_dword v4, off, s[0:3], 0 offset:168
	buffer_load_dword v5, off, s[0:3], 0 offset:172
	v_cmp_gt_u32_e32 vcc, 21, v0
	s_waitcnt vmcnt(0)
	ds_write_b64 v1, v[4:5]
	s_waitcnt lgkmcnt(0)
	; wave barrier
	s_waitcnt lgkmcnt(0)
	s_and_saveexec_b64 s[4:5], vcc
	s_cbranch_execz .LBB122_99
; %bb.96:
	v_add_u32_e32 v4, -1, v0
	v_add_u32_e32 v5, 0x1e0, v222
	v_add_u32_e32 v6, 0, v222
	s_mov_b64 s[6:7], 0
	v_mov_b32_e32 v3, 0
	v_mov_b32_e32 v7, 0
.LBB122_97:                             ; =>This Inner Loop Header: Depth=1
	buffer_load_dword v10, v6, s[0:3], 0 offen offset:4
	buffer_load_dword v11, v6, s[0:3], 0 offen
	ds_read_b64 v[8:9], v5
	v_add_u32_e32 v4, 1, v4
	v_cmp_lt_u32_e32 vcc, 19, v4
	v_add_u32_e32 v5, 8, v5
	v_add_u32_e32 v6, 8, v6
	s_or_b64 s[6:7], vcc, s[6:7]
	s_waitcnt vmcnt(1) lgkmcnt(0)
	v_mul_f32_e32 v12, v9, v10
	v_mul_f32_e32 v10, v8, v10
	s_waitcnt vmcnt(0)
	v_fma_f32 v8, v8, v11, -v12
	v_fmac_f32_e32 v10, v9, v11
	v_add_f32_e32 v7, v7, v8
	v_add_f32_e32 v3, v3, v10
	s_andn2_b64 exec, exec, s[6:7]
	s_cbranch_execnz .LBB122_97
; %bb.98:
	s_or_b64 exec, exec, s[6:7]
	v_mov_b32_e32 v4, 0
	ds_read_b64 v[4:5], v4 offset:168
	s_waitcnt lgkmcnt(0)
	v_mul_f32_e32 v6, v3, v5
	v_mul_f32_e32 v5, v7, v5
	v_fma_f32 v6, v7, v4, -v6
	v_fmac_f32_e32 v5, v3, v4
	buffer_store_dword v6, off, s[0:3], 0 offset:168
	buffer_store_dword v5, off, s[0:3], 0 offset:172
.LBB122_99:
	s_or_b64 exec, exec, s[4:5]
	s_waitcnt lgkmcnt(0)
	; wave barrier
	buffer_load_dword v4, off, s[0:3], 0 offset:176
	buffer_load_dword v5, off, s[0:3], 0 offset:180
	v_cmp_gt_u32_e32 vcc, 22, v0
	s_waitcnt vmcnt(0)
	ds_write_b64 v1, v[4:5]
	s_waitcnt lgkmcnt(0)
	; wave barrier
	s_waitcnt lgkmcnt(0)
	s_and_saveexec_b64 s[4:5], vcc
	s_cbranch_execz .LBB122_103
; %bb.100:
	v_add_u32_e32 v4, -1, v0
	v_add_u32_e32 v5, 0x1e0, v222
	v_add_u32_e32 v6, 0, v222
	s_mov_b64 s[6:7], 0
	v_mov_b32_e32 v3, 0
	v_mov_b32_e32 v7, 0
.LBB122_101:                            ; =>This Inner Loop Header: Depth=1
	buffer_load_dword v10, v6, s[0:3], 0 offen offset:4
	buffer_load_dword v11, v6, s[0:3], 0 offen
	ds_read_b64 v[8:9], v5
	v_add_u32_e32 v4, 1, v4
	v_cmp_lt_u32_e32 vcc, 20, v4
	v_add_u32_e32 v5, 8, v5
	v_add_u32_e32 v6, 8, v6
	s_or_b64 s[6:7], vcc, s[6:7]
	s_waitcnt vmcnt(1) lgkmcnt(0)
	v_mul_f32_e32 v12, v9, v10
	v_mul_f32_e32 v10, v8, v10
	s_waitcnt vmcnt(0)
	v_fma_f32 v8, v8, v11, -v12
	v_fmac_f32_e32 v10, v9, v11
	v_add_f32_e32 v7, v7, v8
	v_add_f32_e32 v3, v3, v10
	s_andn2_b64 exec, exec, s[6:7]
	s_cbranch_execnz .LBB122_101
; %bb.102:
	s_or_b64 exec, exec, s[6:7]
	v_mov_b32_e32 v4, 0
	ds_read_b64 v[4:5], v4 offset:176
	s_waitcnt lgkmcnt(0)
	v_mul_f32_e32 v6, v3, v5
	v_mul_f32_e32 v5, v7, v5
	v_fma_f32 v6, v7, v4, -v6
	v_fmac_f32_e32 v5, v3, v4
	buffer_store_dword v6, off, s[0:3], 0 offset:176
	buffer_store_dword v5, off, s[0:3], 0 offset:180
.LBB122_103:
	s_or_b64 exec, exec, s[4:5]
	s_waitcnt lgkmcnt(0)
	; wave barrier
	buffer_load_dword v4, off, s[0:3], 0 offset:184
	buffer_load_dword v5, off, s[0:3], 0 offset:188
	v_cmp_gt_u32_e32 vcc, 23, v0
	s_waitcnt vmcnt(0)
	ds_write_b64 v1, v[4:5]
	s_waitcnt lgkmcnt(0)
	; wave barrier
	s_waitcnt lgkmcnt(0)
	s_and_saveexec_b64 s[4:5], vcc
	s_cbranch_execz .LBB122_107
; %bb.104:
	v_add_u32_e32 v4, -1, v0
	v_add_u32_e32 v5, 0x1e0, v222
	v_add_u32_e32 v6, 0, v222
	s_mov_b64 s[6:7], 0
	v_mov_b32_e32 v3, 0
	v_mov_b32_e32 v7, 0
.LBB122_105:                            ; =>This Inner Loop Header: Depth=1
	buffer_load_dword v10, v6, s[0:3], 0 offen offset:4
	buffer_load_dword v11, v6, s[0:3], 0 offen
	ds_read_b64 v[8:9], v5
	v_add_u32_e32 v4, 1, v4
	v_cmp_lt_u32_e32 vcc, 21, v4
	v_add_u32_e32 v5, 8, v5
	v_add_u32_e32 v6, 8, v6
	s_or_b64 s[6:7], vcc, s[6:7]
	s_waitcnt vmcnt(1) lgkmcnt(0)
	v_mul_f32_e32 v12, v9, v10
	v_mul_f32_e32 v10, v8, v10
	s_waitcnt vmcnt(0)
	v_fma_f32 v8, v8, v11, -v12
	v_fmac_f32_e32 v10, v9, v11
	v_add_f32_e32 v7, v7, v8
	v_add_f32_e32 v3, v3, v10
	s_andn2_b64 exec, exec, s[6:7]
	s_cbranch_execnz .LBB122_105
; %bb.106:
	s_or_b64 exec, exec, s[6:7]
	v_mov_b32_e32 v4, 0
	ds_read_b64 v[4:5], v4 offset:184
	s_waitcnt lgkmcnt(0)
	v_mul_f32_e32 v6, v3, v5
	v_mul_f32_e32 v5, v7, v5
	v_fma_f32 v6, v7, v4, -v6
	v_fmac_f32_e32 v5, v3, v4
	buffer_store_dword v6, off, s[0:3], 0 offset:184
	buffer_store_dword v5, off, s[0:3], 0 offset:188
.LBB122_107:
	s_or_b64 exec, exec, s[4:5]
	s_waitcnt lgkmcnt(0)
	; wave barrier
	buffer_load_dword v4, off, s[0:3], 0 offset:192
	buffer_load_dword v5, off, s[0:3], 0 offset:196
	v_cmp_gt_u32_e32 vcc, 24, v0
	s_waitcnt vmcnt(0)
	ds_write_b64 v1, v[4:5]
	;; [unrolled: 51-line block ×35, first 2 shown]
	s_waitcnt lgkmcnt(0)
	; wave barrier
	s_waitcnt lgkmcnt(0)
	s_and_saveexec_b64 s[4:5], vcc
	s_cbranch_execz .LBB122_243
; %bb.240:
	v_add_u32_e32 v4, -1, v0
	v_add_u32_e32 v5, 0x1e0, v222
	v_add_u32_e32 v6, 0, v222
	s_mov_b64 s[6:7], 0
	v_mov_b32_e32 v3, 0
	v_mov_b32_e32 v7, 0
.LBB122_241:                            ; =>This Inner Loop Header: Depth=1
	buffer_load_dword v10, v6, s[0:3], 0 offen offset:4
	buffer_load_dword v11, v6, s[0:3], 0 offen
	ds_read_b64 v[8:9], v5
	v_add_u32_e32 v4, 1, v4
	v_cmp_lt_u32_e32 vcc, 55, v4
	v_add_u32_e32 v5, 8, v5
	v_add_u32_e32 v6, 8, v6
	s_or_b64 s[6:7], vcc, s[6:7]
	s_waitcnt vmcnt(1) lgkmcnt(0)
	v_mul_f32_e32 v12, v9, v10
	v_mul_f32_e32 v10, v8, v10
	s_waitcnt vmcnt(0)
	v_fma_f32 v8, v8, v11, -v12
	v_fmac_f32_e32 v10, v9, v11
	v_add_f32_e32 v7, v7, v8
	v_add_f32_e32 v3, v3, v10
	s_andn2_b64 exec, exec, s[6:7]
	s_cbranch_execnz .LBB122_241
; %bb.242:
	s_or_b64 exec, exec, s[6:7]
	v_mov_b32_e32 v4, 0
	ds_read_b64 v[4:5], v4 offset:456
	s_waitcnt lgkmcnt(0)
	v_mul_f32_e32 v6, v3, v5
	v_mul_f32_e32 v5, v7, v5
	v_fma_f32 v6, v7, v4, -v6
	v_fmac_f32_e32 v5, v3, v4
	buffer_store_dword v6, off, s[0:3], 0 offset:456
	buffer_store_dword v5, off, s[0:3], 0 offset:460
.LBB122_243:
	s_or_b64 exec, exec, s[4:5]
	s_waitcnt lgkmcnt(0)
	; wave barrier
	buffer_load_dword v4, off, s[0:3], 0 offset:464
	buffer_load_dword v5, off, s[0:3], 0 offset:468
	v_cmp_ne_u32_e32 vcc, 58, v0
	s_waitcnt vmcnt(0)
	ds_write_b64 v1, v[4:5]
	s_waitcnt lgkmcnt(0)
	; wave barrier
	s_waitcnt lgkmcnt(0)
	s_and_saveexec_b64 s[4:5], vcc
	s_cbranch_execz .LBB122_247
; %bb.244:
	v_add_u32_e32 v3, 0x1e0, v222
	v_add_u32_e32 v4, 0, v222
	s_mov_b64 s[6:7], 0
	v_mov_b32_e32 v1, 0
	v_mov_b32_e32 v5, 0
.LBB122_245:                            ; =>This Inner Loop Header: Depth=1
	buffer_load_dword v8, v4, s[0:3], 0 offen offset:4
	buffer_load_dword v9, v4, s[0:3], 0 offen
	ds_read_b64 v[6:7], v3
	v_add_u32_e32 v2, 1, v2
	v_cmp_lt_u32_e32 vcc, 56, v2
	v_add_u32_e32 v3, 8, v3
	v_add_u32_e32 v4, 8, v4
	s_or_b64 s[6:7], vcc, s[6:7]
	s_waitcnt vmcnt(1) lgkmcnt(0)
	v_mul_f32_e32 v10, v7, v8
	v_mul_f32_e32 v8, v6, v8
	s_waitcnt vmcnt(0)
	v_fma_f32 v6, v6, v9, -v10
	v_fmac_f32_e32 v8, v7, v9
	v_add_f32_e32 v5, v5, v6
	v_add_f32_e32 v1, v1, v8
	s_andn2_b64 exec, exec, s[6:7]
	s_cbranch_execnz .LBB122_245
; %bb.246:
	s_or_b64 exec, exec, s[6:7]
	v_mov_b32_e32 v2, 0
	ds_read_b64 v[2:3], v2 offset:464
	s_waitcnt lgkmcnt(0)
	v_mul_f32_e32 v4, v1, v3
	v_mul_f32_e32 v3, v5, v3
	v_fma_f32 v4, v5, v2, -v4
	v_fmac_f32_e32 v3, v1, v2
	buffer_store_dword v4, off, s[0:3], 0 offset:464
	buffer_store_dword v3, off, s[0:3], 0 offset:468
.LBB122_247:
	s_or_b64 exec, exec, s[4:5]
	s_mov_b64 s[6:7], -1
	s_waitcnt lgkmcnt(0)
	; wave barrier
.LBB122_248:
	s_and_b64 vcc, exec, s[6:7]
	s_cbranch_vccz .LBB122_250
; %bb.249:
	s_lshl_b64 s[4:5], s[8:9], 2
	s_add_u32 s4, s14, s4
	s_addc_u32 s5, s15, s5
	v_mov_b32_e32 v1, 0
	global_load_dword v1, v1, s[4:5]
	s_waitcnt vmcnt(0)
	v_cmp_ne_u32_e32 vcc, 0, v1
	s_cbranch_vccz .LBB122_251
.LBB122_250:
	s_endpgm
.LBB122_251:
	v_mov_b32_e32 v1, 0x1e0
	v_lshl_add_u32 v187, v0, 3, v1
	v_cmp_eq_u32_e32 vcc, 58, v0
	s_and_saveexec_b64 s[4:5], vcc
	s_cbranch_execz .LBB122_253
; %bb.252:
	buffer_load_dword v2, off, s[0:3], 0 offset:456
	buffer_load_dword v3, off, s[0:3], 0 offset:460
	v_mov_b32_e32 v1, 0
	buffer_store_dword v1, off, s[0:3], 0 offset:456
	buffer_store_dword v1, off, s[0:3], 0 offset:460
	s_waitcnt vmcnt(2)
	ds_write_b64 v187, v[2:3]
.LBB122_253:
	s_or_b64 exec, exec, s[4:5]
	s_waitcnt lgkmcnt(0)
	; wave barrier
	s_waitcnt lgkmcnt(0)
	buffer_load_dword v3, off, s[0:3], 0 offset:468
	buffer_load_dword v2, off, s[0:3], 0 offset:464
	;; [unrolled: 1-line block ×4, first 2 shown]
	v_mov_b32_e32 v1, 0
	ds_read_b64 v[6:7], v1 offset:944
	v_cmp_lt_u32_e32 vcc, 56, v0
	s_waitcnt vmcnt(3)
	v_mov_b32_e32 v8, v3
	s_waitcnt lgkmcnt(0)
	v_pk_mul_f32 v[8:9], v[6:7], v[8:9] op_sel_hi:[1,0]
	s_waitcnt vmcnt(2)
	v_pk_fma_f32 v[10:11], v[6:7], v[2:3], v[8:9] op_sel:[0,0,1] op_sel_hi:[1,1,0] neg_lo:[0,0,1] neg_hi:[0,0,1]
	v_pk_fma_f32 v[2:3], v[6:7], v[2:3], v[8:9] op_sel:[0,0,1] op_sel_hi:[1,0,0]
	v_mov_b32_e32 v11, v3
	v_pk_add_f32 v[2:3], v[10:11], 0 op_sel_hi:[1,0]
	s_waitcnt vmcnt(0)
	v_pk_add_f32 v[2:3], v[4:5], v[2:3] neg_lo:[0,1] neg_hi:[0,1]
	buffer_store_dword v2, off, s[0:3], 0 offset:456
	buffer_store_dword v3, off, s[0:3], 0 offset:460
	s_and_saveexec_b64 s[4:5], vcc
	s_cbranch_execz .LBB122_255
; %bb.254:
	buffer_load_dword v2, off, s[0:3], 0 offset:448
	buffer_load_dword v3, off, s[0:3], 0 offset:452
	s_waitcnt vmcnt(0)
	ds_write_b64 v187, v[2:3]
	buffer_store_dword v1, off, s[0:3], 0 offset:448
	buffer_store_dword v1, off, s[0:3], 0 offset:452
.LBB122_255:
	s_or_b64 exec, exec, s[4:5]
	s_waitcnt lgkmcnt(0)
	; wave barrier
	s_waitcnt lgkmcnt(0)
	buffer_load_dword v7, off, s[0:3], 0 offset:460
	buffer_load_dword v9, off, s[0:3], 0 offset:468
	;; [unrolled: 1-line block ×6, first 2 shown]
	ds_read2_b64 v[2:5], v1 offset0:117 offset1:118
	v_cmp_lt_u32_e32 vcc, 55, v0
	s_waitcnt vmcnt(5)
	v_mov_b32_e32 v12, v7
	s_waitcnt vmcnt(4)
	v_mov_b32_e32 v14, v9
	s_waitcnt lgkmcnt(0)
	v_pk_mul_f32 v[12:13], v[2:3], v[12:13] op_sel_hi:[1,0]
	v_pk_mul_f32 v[14:15], v[4:5], v[14:15] op_sel_hi:[1,0]
	s_waitcnt vmcnt(3)
	v_pk_fma_f32 v[16:17], v[2:3], v[6:7], v[12:13] op_sel:[0,0,1] op_sel_hi:[1,1,0] neg_lo:[0,0,1] neg_hi:[0,0,1]
	v_pk_fma_f32 v[2:3], v[2:3], v[6:7], v[12:13] op_sel:[0,0,1] op_sel_hi:[1,0,0]
	s_waitcnt vmcnt(2)
	v_pk_fma_f32 v[6:7], v[4:5], v[8:9], v[14:15] op_sel:[0,0,1] op_sel_hi:[1,1,0] neg_lo:[0,0,1] neg_hi:[0,0,1]
	v_pk_fma_f32 v[4:5], v[4:5], v[8:9], v[14:15] op_sel:[0,0,1] op_sel_hi:[1,0,0]
	v_mov_b32_e32 v17, v3
	v_mov_b32_e32 v7, v5
	v_pk_add_f32 v[2:3], v[16:17], 0 op_sel_hi:[1,0]
	v_pk_add_f32 v[2:3], v[2:3], v[6:7]
	s_waitcnt vmcnt(0)
	v_pk_add_f32 v[2:3], v[10:11], v[2:3] neg_lo:[0,1] neg_hi:[0,1]
	buffer_store_dword v2, off, s[0:3], 0 offset:448
	buffer_store_dword v3, off, s[0:3], 0 offset:452
	s_and_saveexec_b64 s[4:5], vcc
	s_cbranch_execz .LBB122_257
; %bb.256:
	buffer_load_dword v2, off, s[0:3], 0 offset:440
	buffer_load_dword v3, off, s[0:3], 0 offset:444
	v_mov_b32_e32 v1, 0
	buffer_store_dword v1, off, s[0:3], 0 offset:440
	buffer_store_dword v1, off, s[0:3], 0 offset:444
	s_waitcnt vmcnt(2)
	ds_write_b64 v187, v[2:3]
.LBB122_257:
	s_or_b64 exec, exec, s[4:5]
	s_waitcnt lgkmcnt(0)
	; wave barrier
	s_waitcnt lgkmcnt(0)
	buffer_load_dword v7, off, s[0:3], 0 offset:452
	buffer_load_dword v9, off, s[0:3], 0 offset:460
	;; [unrolled: 1-line block ×8, first 2 shown]
	v_mov_b32_e32 v1, 0
	ds_read_b128 v[2:5], v1 offset:928
	ds_read_b64 v[14:15], v1 offset:944
	v_cmp_lt_u32_e32 vcc, 54, v0
	s_waitcnt vmcnt(7)
	v_mov_b32_e32 v16, v7
	s_waitcnt vmcnt(6)
	v_mov_b32_e32 v18, v9
	s_waitcnt lgkmcnt(1)
	v_pk_mul_f32 v[16:17], v[2:3], v[16:17] op_sel_hi:[1,0]
	s_waitcnt vmcnt(5)
	v_mov_b32_e32 v20, v11
	v_pk_mul_f32 v[18:19], v[4:5], v[18:19] op_sel_hi:[1,0]
	s_waitcnt vmcnt(4)
	v_pk_fma_f32 v[22:23], v[2:3], v[6:7], v[16:17] op_sel:[0,0,1] op_sel_hi:[1,1,0] neg_lo:[0,0,1] neg_hi:[0,0,1]
	v_pk_fma_f32 v[2:3], v[2:3], v[6:7], v[16:17] op_sel:[0,0,1] op_sel_hi:[1,0,0]
	s_waitcnt lgkmcnt(0)
	v_pk_mul_f32 v[20:21], v[14:15], v[20:21] op_sel_hi:[1,0]
	s_waitcnt vmcnt(3)
	v_pk_fma_f32 v[6:7], v[4:5], v[8:9], v[18:19] op_sel:[0,0,1] op_sel_hi:[1,1,0] neg_lo:[0,0,1] neg_hi:[0,0,1]
	v_pk_fma_f32 v[4:5], v[4:5], v[8:9], v[18:19] op_sel:[0,0,1] op_sel_hi:[1,0,0]
	v_mov_b32_e32 v23, v3
	s_waitcnt vmcnt(2)
	v_pk_fma_f32 v[8:9], v[14:15], v[10:11], v[20:21] op_sel:[0,0,1] op_sel_hi:[1,1,0] neg_lo:[0,0,1] neg_hi:[0,0,1]
	v_pk_fma_f32 v[10:11], v[14:15], v[10:11], v[20:21] op_sel:[0,0,1] op_sel_hi:[1,0,0]
	v_mov_b32_e32 v7, v5
	v_pk_add_f32 v[2:3], v[22:23], 0 op_sel_hi:[1,0]
	v_mov_b32_e32 v9, v11
	v_pk_add_f32 v[2:3], v[2:3], v[6:7]
	v_pk_add_f32 v[2:3], v[2:3], v[8:9]
	s_waitcnt vmcnt(0)
	v_pk_add_f32 v[2:3], v[12:13], v[2:3] neg_lo:[0,1] neg_hi:[0,1]
	buffer_store_dword v2, off, s[0:3], 0 offset:440
	buffer_store_dword v3, off, s[0:3], 0 offset:444
	s_and_saveexec_b64 s[4:5], vcc
	s_cbranch_execz .LBB122_259
; %bb.258:
	buffer_load_dword v2, off, s[0:3], 0 offset:432
	buffer_load_dword v3, off, s[0:3], 0 offset:436
	s_waitcnt vmcnt(0)
	ds_write_b64 v187, v[2:3]
	buffer_store_dword v1, off, s[0:3], 0 offset:432
	buffer_store_dword v1, off, s[0:3], 0 offset:436
.LBB122_259:
	s_or_b64 exec, exec, s[4:5]
	s_waitcnt lgkmcnt(0)
	; wave barrier
	s_waitcnt lgkmcnt(0)
	buffer_load_dword v11, off, s[0:3], 0 offset:444
	buffer_load_dword v13, off, s[0:3], 0 offset:452
	;; [unrolled: 1-line block ×10, first 2 shown]
	ds_read2_b64 v[2:5], v1 offset0:115 offset1:116
	ds_read2_b64 v[6:9], v1 offset0:117 offset1:118
	v_cmp_lt_u32_e32 vcc, 53, v0
	s_waitcnt vmcnt(9)
	v_mov_b32_e32 v20, v11
	s_waitcnt vmcnt(8)
	v_mov_b32_e32 v22, v13
	s_waitcnt lgkmcnt(1)
	v_pk_mul_f32 v[20:21], v[2:3], v[20:21] op_sel_hi:[1,0]
	s_waitcnt vmcnt(7)
	v_mov_b32_e32 v24, v15
	v_pk_mul_f32 v[22:23], v[4:5], v[22:23] op_sel_hi:[1,0]
	s_waitcnt vmcnt(5)
	v_pk_fma_f32 v[28:29], v[2:3], v[10:11], v[20:21] op_sel:[0,0,1] op_sel_hi:[1,1,0] neg_lo:[0,0,1] neg_hi:[0,0,1]
	v_pk_fma_f32 v[2:3], v[2:3], v[10:11], v[20:21] op_sel:[0,0,1] op_sel_hi:[1,0,0]
	v_mov_b32_e32 v26, v17
	s_waitcnt lgkmcnt(0)
	v_pk_mul_f32 v[24:25], v[6:7], v[24:25] op_sel_hi:[1,0]
	s_waitcnt vmcnt(4)
	v_pk_fma_f32 v[10:11], v[4:5], v[12:13], v[22:23] op_sel:[0,0,1] op_sel_hi:[1,1,0] neg_lo:[0,0,1] neg_hi:[0,0,1]
	v_pk_fma_f32 v[4:5], v[4:5], v[12:13], v[22:23] op_sel:[0,0,1] op_sel_hi:[1,0,0]
	v_mov_b32_e32 v29, v3
	v_pk_mul_f32 v[26:27], v[8:9], v[26:27] op_sel_hi:[1,0]
	s_waitcnt vmcnt(3)
	v_pk_fma_f32 v[12:13], v[6:7], v[14:15], v[24:25] op_sel:[0,0,1] op_sel_hi:[1,1,0] neg_lo:[0,0,1] neg_hi:[0,0,1]
	v_pk_fma_f32 v[6:7], v[6:7], v[14:15], v[24:25] op_sel:[0,0,1] op_sel_hi:[1,0,0]
	v_mov_b32_e32 v11, v5
	v_pk_add_f32 v[2:3], v[28:29], 0 op_sel_hi:[1,0]
	s_waitcnt vmcnt(2)
	v_pk_fma_f32 v[14:15], v[8:9], v[16:17], v[26:27] op_sel:[0,0,1] op_sel_hi:[1,1,0] neg_lo:[0,0,1] neg_hi:[0,0,1]
	v_pk_fma_f32 v[8:9], v[8:9], v[16:17], v[26:27] op_sel:[0,0,1] op_sel_hi:[1,0,0]
	v_mov_b32_e32 v13, v7
	v_pk_add_f32 v[2:3], v[2:3], v[10:11]
	v_mov_b32_e32 v15, v9
	v_pk_add_f32 v[2:3], v[2:3], v[12:13]
	v_pk_add_f32 v[2:3], v[2:3], v[14:15]
	s_waitcnt vmcnt(0)
	v_pk_add_f32 v[2:3], v[18:19], v[2:3] neg_lo:[0,1] neg_hi:[0,1]
	buffer_store_dword v2, off, s[0:3], 0 offset:432
	buffer_store_dword v3, off, s[0:3], 0 offset:436
	s_and_saveexec_b64 s[4:5], vcc
	s_cbranch_execz .LBB122_261
; %bb.260:
	buffer_load_dword v2, off, s[0:3], 0 offset:424
	buffer_load_dword v3, off, s[0:3], 0 offset:428
	v_mov_b32_e32 v1, 0
	buffer_store_dword v1, off, s[0:3], 0 offset:424
	buffer_store_dword v1, off, s[0:3], 0 offset:428
	s_waitcnt vmcnt(2)
	ds_write_b64 v187, v[2:3]
.LBB122_261:
	s_or_b64 exec, exec, s[4:5]
	s_waitcnt lgkmcnt(0)
	; wave barrier
	s_waitcnt lgkmcnt(0)
	buffer_load_dword v11, off, s[0:3], 0 offset:436
	buffer_load_dword v13, off, s[0:3], 0 offset:444
	;; [unrolled: 1-line block ×12, first 2 shown]
	v_mov_b32_e32 v1, 0
	ds_read_b128 v[2:5], v1 offset:912
	ds_read_b128 v[6:9], v1 offset:928
	ds_read_b64 v[22:23], v1 offset:944
	v_cmp_lt_u32_e32 vcc, 52, v0
	s_waitcnt vmcnt(11)
	v_mov_b32_e32 v24, v11
	s_waitcnt vmcnt(10)
	v_mov_b32_e32 v26, v13
	s_waitcnt lgkmcnt(2)
	v_pk_mul_f32 v[24:25], v[2:3], v[24:25] op_sel_hi:[1,0]
	s_waitcnt vmcnt(9)
	v_mov_b32_e32 v28, v15
	v_pk_mul_f32 v[26:27], v[4:5], v[26:27] op_sel_hi:[1,0]
	s_waitcnt vmcnt(6)
	v_pk_fma_f32 v[34:35], v[2:3], v[10:11], v[24:25] op_sel:[0,0,1] op_sel_hi:[1,1,0] neg_lo:[0,0,1] neg_hi:[0,0,1]
	v_pk_fma_f32 v[2:3], v[2:3], v[10:11], v[24:25] op_sel:[0,0,1] op_sel_hi:[1,0,0]
	v_mov_b32_e32 v30, v17
	s_waitcnt lgkmcnt(1)
	v_pk_mul_f32 v[28:29], v[6:7], v[28:29] op_sel_hi:[1,0]
	s_waitcnt vmcnt(5)
	v_pk_fma_f32 v[10:11], v[4:5], v[12:13], v[26:27] op_sel:[0,0,1] op_sel_hi:[1,1,0] neg_lo:[0,0,1] neg_hi:[0,0,1]
	v_pk_fma_f32 v[4:5], v[4:5], v[12:13], v[26:27] op_sel:[0,0,1] op_sel_hi:[1,0,0]
	v_mov_b32_e32 v35, v3
	v_mov_b32_e32 v32, v19
	v_pk_mul_f32 v[30:31], v[8:9], v[30:31] op_sel_hi:[1,0]
	s_waitcnt vmcnt(4)
	v_pk_fma_f32 v[12:13], v[6:7], v[14:15], v[28:29] op_sel:[0,0,1] op_sel_hi:[1,1,0] neg_lo:[0,0,1] neg_hi:[0,0,1]
	v_pk_fma_f32 v[6:7], v[6:7], v[14:15], v[28:29] op_sel:[0,0,1] op_sel_hi:[1,0,0]
	v_mov_b32_e32 v11, v5
	v_pk_add_f32 v[2:3], v[34:35], 0 op_sel_hi:[1,0]
	s_waitcnt lgkmcnt(0)
	v_pk_mul_f32 v[32:33], v[22:23], v[32:33] op_sel_hi:[1,0]
	s_waitcnt vmcnt(3)
	v_pk_fma_f32 v[14:15], v[8:9], v[16:17], v[30:31] op_sel:[0,0,1] op_sel_hi:[1,1,0] neg_lo:[0,0,1] neg_hi:[0,0,1]
	v_pk_fma_f32 v[8:9], v[8:9], v[16:17], v[30:31] op_sel:[0,0,1] op_sel_hi:[1,0,0]
	v_mov_b32_e32 v13, v7
	v_pk_add_f32 v[2:3], v[2:3], v[10:11]
	s_waitcnt vmcnt(2)
	v_pk_fma_f32 v[16:17], v[22:23], v[18:19], v[32:33] op_sel:[0,0,1] op_sel_hi:[1,1,0] neg_lo:[0,0,1] neg_hi:[0,0,1]
	v_pk_fma_f32 v[18:19], v[22:23], v[18:19], v[32:33] op_sel:[0,0,1] op_sel_hi:[1,0,0]
	v_mov_b32_e32 v15, v9
	v_pk_add_f32 v[2:3], v[2:3], v[12:13]
	v_mov_b32_e32 v17, v19
	v_pk_add_f32 v[2:3], v[2:3], v[14:15]
	v_pk_add_f32 v[2:3], v[2:3], v[16:17]
	s_waitcnt vmcnt(0)
	v_pk_add_f32 v[2:3], v[20:21], v[2:3] neg_lo:[0,1] neg_hi:[0,1]
	buffer_store_dword v2, off, s[0:3], 0 offset:424
	buffer_store_dword v3, off, s[0:3], 0 offset:428
	s_and_saveexec_b64 s[4:5], vcc
	s_cbranch_execz .LBB122_263
; %bb.262:
	buffer_load_dword v2, off, s[0:3], 0 offset:416
	buffer_load_dword v3, off, s[0:3], 0 offset:420
	s_waitcnt vmcnt(0)
	ds_write_b64 v187, v[2:3]
	buffer_store_dword v1, off, s[0:3], 0 offset:416
	buffer_store_dword v1, off, s[0:3], 0 offset:420
.LBB122_263:
	s_or_b64 exec, exec, s[4:5]
	s_waitcnt lgkmcnt(0)
	; wave barrier
	s_waitcnt lgkmcnt(0)
	buffer_load_dword v15, off, s[0:3], 0 offset:428
	buffer_load_dword v17, off, s[0:3], 0 offset:436
	;; [unrolled: 1-line block ×14, first 2 shown]
	ds_read2_b64 v[2:5], v1 offset0:113 offset1:114
	ds_read2_b64 v[6:9], v1 offset0:115 offset1:116
	;; [unrolled: 1-line block ×3, first 2 shown]
	v_cmp_lt_u32_e32 vcc, 51, v0
	s_waitcnt vmcnt(13)
	v_mov_b32_e32 v28, v15
	s_waitcnt vmcnt(12)
	v_mov_b32_e32 v30, v17
	s_waitcnt lgkmcnt(2)
	v_pk_mul_f32 v[28:29], v[2:3], v[28:29] op_sel_hi:[1,0]
	s_waitcnt vmcnt(11)
	v_mov_b32_e32 v32, v19
	v_pk_mul_f32 v[30:31], v[4:5], v[30:31] op_sel_hi:[1,0]
	s_waitcnt vmcnt(10)
	v_mov_b32_e32 v34, v21
	s_waitcnt vmcnt(7)
	v_pk_fma_f32 v[40:41], v[2:3], v[14:15], v[28:29] op_sel:[0,0,1] op_sel_hi:[1,1,0] neg_lo:[0,0,1] neg_hi:[0,0,1]
	v_pk_fma_f32 v[2:3], v[2:3], v[14:15], v[28:29] op_sel:[0,0,1] op_sel_hi:[1,0,0]
	s_waitcnt lgkmcnt(1)
	v_pk_mul_f32 v[32:33], v[6:7], v[32:33] op_sel_hi:[1,0]
	s_waitcnt vmcnt(6)
	v_pk_fma_f32 v[14:15], v[4:5], v[16:17], v[30:31] op_sel:[0,0,1] op_sel_hi:[1,1,0] neg_lo:[0,0,1] neg_hi:[0,0,1]
	v_pk_fma_f32 v[4:5], v[4:5], v[16:17], v[30:31] op_sel:[0,0,1] op_sel_hi:[1,0,0]
	v_mov_b32_e32 v41, v3
	v_mov_b32_e32 v36, v23
	v_pk_mul_f32 v[34:35], v[8:9], v[34:35] op_sel_hi:[1,0]
	s_waitcnt vmcnt(5)
	v_pk_fma_f32 v[16:17], v[6:7], v[18:19], v[32:33] op_sel:[0,0,1] op_sel_hi:[1,1,0] neg_lo:[0,0,1] neg_hi:[0,0,1]
	v_pk_fma_f32 v[6:7], v[6:7], v[18:19], v[32:33] op_sel:[0,0,1] op_sel_hi:[1,0,0]
	v_mov_b32_e32 v15, v5
	v_pk_add_f32 v[2:3], v[40:41], 0 op_sel_hi:[1,0]
	v_mov_b32_e32 v38, v25
	s_waitcnt lgkmcnt(0)
	v_pk_mul_f32 v[36:37], v[10:11], v[36:37] op_sel_hi:[1,0]
	s_waitcnt vmcnt(4)
	v_pk_fma_f32 v[18:19], v[8:9], v[20:21], v[34:35] op_sel:[0,0,1] op_sel_hi:[1,1,0] neg_lo:[0,0,1] neg_hi:[0,0,1]
	v_pk_fma_f32 v[8:9], v[8:9], v[20:21], v[34:35] op_sel:[0,0,1] op_sel_hi:[1,0,0]
	v_mov_b32_e32 v17, v7
	v_pk_add_f32 v[2:3], v[2:3], v[14:15]
	v_pk_mul_f32 v[38:39], v[12:13], v[38:39] op_sel_hi:[1,0]
	s_waitcnt vmcnt(3)
	v_pk_fma_f32 v[20:21], v[10:11], v[22:23], v[36:37] op_sel:[0,0,1] op_sel_hi:[1,1,0] neg_lo:[0,0,1] neg_hi:[0,0,1]
	v_pk_fma_f32 v[10:11], v[10:11], v[22:23], v[36:37] op_sel:[0,0,1] op_sel_hi:[1,0,0]
	v_mov_b32_e32 v19, v9
	v_pk_add_f32 v[2:3], v[2:3], v[16:17]
	s_waitcnt vmcnt(2)
	v_pk_fma_f32 v[22:23], v[12:13], v[24:25], v[38:39] op_sel:[0,0,1] op_sel_hi:[1,1,0] neg_lo:[0,0,1] neg_hi:[0,0,1]
	v_pk_fma_f32 v[12:13], v[12:13], v[24:25], v[38:39] op_sel:[0,0,1] op_sel_hi:[1,0,0]
	v_mov_b32_e32 v21, v11
	v_pk_add_f32 v[2:3], v[2:3], v[18:19]
	v_mov_b32_e32 v23, v13
	v_pk_add_f32 v[2:3], v[2:3], v[20:21]
	v_pk_add_f32 v[2:3], v[2:3], v[22:23]
	s_waitcnt vmcnt(0)
	v_pk_add_f32 v[2:3], v[26:27], v[2:3] neg_lo:[0,1] neg_hi:[0,1]
	buffer_store_dword v2, off, s[0:3], 0 offset:416
	buffer_store_dword v3, off, s[0:3], 0 offset:420
	s_and_saveexec_b64 s[4:5], vcc
	s_cbranch_execz .LBB122_265
; %bb.264:
	buffer_load_dword v2, off, s[0:3], 0 offset:408
	buffer_load_dword v3, off, s[0:3], 0 offset:412
	v_mov_b32_e32 v1, 0
	buffer_store_dword v1, off, s[0:3], 0 offset:408
	buffer_store_dword v1, off, s[0:3], 0 offset:412
	s_waitcnt vmcnt(2)
	ds_write_b64 v187, v[2:3]
.LBB122_265:
	s_or_b64 exec, exec, s[4:5]
	s_waitcnt lgkmcnt(0)
	; wave barrier
	s_waitcnt lgkmcnt(0)
	buffer_load_dword v15, off, s[0:3], 0 offset:420
	buffer_load_dword v17, off, s[0:3], 0 offset:428
	;; [unrolled: 1-line block ×16, first 2 shown]
	v_mov_b32_e32 v1, 0
	ds_read_b128 v[2:5], v1 offset:896
	ds_read_b128 v[6:9], v1 offset:912
	;; [unrolled: 1-line block ×3, first 2 shown]
	ds_read_b64 v[30:31], v1 offset:944
	v_cmp_lt_u32_e32 vcc, 50, v0
	s_waitcnt vmcnt(15)
	v_mov_b32_e32 v32, v15
	s_waitcnt vmcnt(14)
	v_mov_b32_e32 v34, v17
	s_waitcnt lgkmcnt(3)
	v_pk_mul_f32 v[32:33], v[2:3], v[32:33] op_sel_hi:[1,0]
	s_waitcnt vmcnt(13)
	v_mov_b32_e32 v36, v19
	v_pk_mul_f32 v[34:35], v[4:5], v[34:35] op_sel_hi:[1,0]
	s_waitcnt vmcnt(12)
	v_mov_b32_e32 v38, v21
	s_waitcnt lgkmcnt(2)
	v_pk_mul_f32 v[36:37], v[6:7], v[36:37] op_sel_hi:[1,0]
	s_waitcnt vmcnt(8)
	v_pk_fma_f32 v[46:47], v[2:3], v[14:15], v[32:33] op_sel:[0,0,1] op_sel_hi:[1,1,0] neg_lo:[0,0,1] neg_hi:[0,0,1]
	v_pk_fma_f32 v[2:3], v[2:3], v[14:15], v[32:33] op_sel:[0,0,1] op_sel_hi:[1,0,0]
	s_waitcnt vmcnt(7)
	v_pk_fma_f32 v[14:15], v[4:5], v[16:17], v[34:35] op_sel:[0,0,1] op_sel_hi:[1,1,0] neg_lo:[0,0,1] neg_hi:[0,0,1]
	v_pk_fma_f32 v[4:5], v[4:5], v[16:17], v[34:35] op_sel:[0,0,1] op_sel_hi:[1,0,0]
	v_mov_b32_e32 v47, v3
	v_mov_b32_e32 v40, v23
	v_pk_mul_f32 v[38:39], v[8:9], v[38:39] op_sel_hi:[1,0]
	s_waitcnt vmcnt(6)
	v_pk_fma_f32 v[16:17], v[6:7], v[18:19], v[36:37] op_sel:[0,0,1] op_sel_hi:[1,1,0] neg_lo:[0,0,1] neg_hi:[0,0,1]
	v_pk_fma_f32 v[6:7], v[6:7], v[18:19], v[36:37] op_sel:[0,0,1] op_sel_hi:[1,0,0]
	v_mov_b32_e32 v15, v5
	v_pk_add_f32 v[2:3], v[46:47], 0 op_sel_hi:[1,0]
	v_mov_b32_e32 v42, v25
	s_waitcnt lgkmcnt(1)
	v_pk_mul_f32 v[40:41], v[10:11], v[40:41] op_sel_hi:[1,0]
	s_waitcnt vmcnt(5)
	v_pk_fma_f32 v[18:19], v[8:9], v[20:21], v[38:39] op_sel:[0,0,1] op_sel_hi:[1,1,0] neg_lo:[0,0,1] neg_hi:[0,0,1]
	v_pk_fma_f32 v[8:9], v[8:9], v[20:21], v[38:39] op_sel:[0,0,1] op_sel_hi:[1,0,0]
	v_mov_b32_e32 v17, v7
	v_pk_add_f32 v[2:3], v[2:3], v[14:15]
	v_mov_b32_e32 v44, v27
	v_pk_mul_f32 v[42:43], v[12:13], v[42:43] op_sel_hi:[1,0]
	s_waitcnt vmcnt(4)
	v_pk_fma_f32 v[20:21], v[10:11], v[22:23], v[40:41] op_sel:[0,0,1] op_sel_hi:[1,1,0] neg_lo:[0,0,1] neg_hi:[0,0,1]
	v_pk_fma_f32 v[10:11], v[10:11], v[22:23], v[40:41] op_sel:[0,0,1] op_sel_hi:[1,0,0]
	v_mov_b32_e32 v19, v9
	v_pk_add_f32 v[2:3], v[2:3], v[16:17]
	s_waitcnt lgkmcnt(0)
	v_pk_mul_f32 v[44:45], v[30:31], v[44:45] op_sel_hi:[1,0]
	s_waitcnt vmcnt(3)
	v_pk_fma_f32 v[22:23], v[12:13], v[24:25], v[42:43] op_sel:[0,0,1] op_sel_hi:[1,1,0] neg_lo:[0,0,1] neg_hi:[0,0,1]
	v_pk_fma_f32 v[12:13], v[12:13], v[24:25], v[42:43] op_sel:[0,0,1] op_sel_hi:[1,0,0]
	v_mov_b32_e32 v21, v11
	v_pk_add_f32 v[2:3], v[2:3], v[18:19]
	s_waitcnt vmcnt(2)
	v_pk_fma_f32 v[24:25], v[30:31], v[26:27], v[44:45] op_sel:[0,0,1] op_sel_hi:[1,1,0] neg_lo:[0,0,1] neg_hi:[0,0,1]
	v_pk_fma_f32 v[26:27], v[30:31], v[26:27], v[44:45] op_sel:[0,0,1] op_sel_hi:[1,0,0]
	v_mov_b32_e32 v23, v13
	v_pk_add_f32 v[2:3], v[2:3], v[20:21]
	v_mov_b32_e32 v25, v27
	v_pk_add_f32 v[2:3], v[2:3], v[22:23]
	v_pk_add_f32 v[2:3], v[2:3], v[24:25]
	s_waitcnt vmcnt(0)
	v_pk_add_f32 v[2:3], v[28:29], v[2:3] neg_lo:[0,1] neg_hi:[0,1]
	buffer_store_dword v2, off, s[0:3], 0 offset:408
	buffer_store_dword v3, off, s[0:3], 0 offset:412
	s_and_saveexec_b64 s[4:5], vcc
	s_cbranch_execz .LBB122_267
; %bb.266:
	buffer_load_dword v2, off, s[0:3], 0 offset:400
	buffer_load_dword v3, off, s[0:3], 0 offset:404
	s_waitcnt vmcnt(0)
	ds_write_b64 v187, v[2:3]
	buffer_store_dword v1, off, s[0:3], 0 offset:400
	buffer_store_dword v1, off, s[0:3], 0 offset:404
.LBB122_267:
	s_or_b64 exec, exec, s[4:5]
	s_waitcnt lgkmcnt(0)
	; wave barrier
	s_waitcnt lgkmcnt(0)
	buffer_load_dword v18, off, s[0:3], 0 offset:400
	buffer_load_dword v19, off, s[0:3], 0 offset:404
	;; [unrolled: 1-line block ×16, first 2 shown]
	ds_read2_b64 v[2:5], v1 offset0:111 offset1:112
	buffer_load_dword v35, off, s[0:3], 0 offset:468
	buffer_load_dword v34, off, s[0:3], 0 offset:464
	ds_read2_b64 v[6:9], v1 offset0:113 offset1:114
	ds_read2_b64 v[10:13], v1 offset0:115 offset1:116
	;; [unrolled: 1-line block ×3, first 2 shown]
	v_cmp_lt_u32_e32 vcc, 49, v0
	s_waitcnt vmcnt(14)
	v_mov_b32_e32 v36, v21
	s_waitcnt lgkmcnt(3)
	v_pk_mul_f32 v[36:37], v[2:3], v[36:37] op_sel_hi:[1,0]
	v_pk_fma_f32 v[38:39], v[2:3], v[20:21], v[36:37] op_sel:[0,0,1] op_sel_hi:[1,1,0] neg_lo:[0,0,1] neg_hi:[0,0,1]
	v_pk_fma_f32 v[2:3], v[2:3], v[20:21], v[36:37] op_sel:[0,0,1] op_sel_hi:[1,0,0]
	s_waitcnt vmcnt(12)
	v_mov_b32_e32 v20, v23
	v_pk_mul_f32 v[20:21], v[4:5], v[20:21] op_sel_hi:[1,0]
	v_pk_fma_f32 v[36:37], v[4:5], v[22:23], v[20:21] op_sel:[0,0,1] op_sel_hi:[1,1,0] neg_lo:[0,0,1] neg_hi:[0,0,1]
	v_pk_fma_f32 v[4:5], v[4:5], v[22:23], v[20:21] op_sel:[0,0,1] op_sel_hi:[1,0,0]
	s_waitcnt vmcnt(10)
	v_mov_b32_e32 v4, v25
	v_mov_b32_e32 v37, v5
	s_waitcnt lgkmcnt(2)
	v_pk_mul_f32 v[4:5], v[6:7], v[4:5] op_sel_hi:[1,0]
	v_pk_fma_f32 v[20:21], v[6:7], v[24:25], v[4:5] op_sel:[0,0,1] op_sel_hi:[1,1,0] neg_lo:[0,0,1] neg_hi:[0,0,1]
	v_pk_fma_f32 v[4:5], v[6:7], v[24:25], v[4:5] op_sel:[0,0,1] op_sel_hi:[1,0,0]
	s_waitcnt vmcnt(8)
	v_mov_b32_e32 v4, v27
	v_mov_b32_e32 v39, v3
	;; [unrolled: 1-line block ×3, first 2 shown]
	v_pk_mul_f32 v[4:5], v[8:9], v[4:5] op_sel_hi:[1,0]
	v_pk_add_f32 v[2:3], v[38:39], 0 op_sel_hi:[1,0]
	v_pk_fma_f32 v[6:7], v[8:9], v[26:27], v[4:5] op_sel:[0,0,1] op_sel_hi:[1,1,0] neg_lo:[0,0,1] neg_hi:[0,0,1]
	v_pk_fma_f32 v[4:5], v[8:9], v[26:27], v[4:5] op_sel:[0,0,1] op_sel_hi:[1,0,0]
	v_pk_add_f32 v[2:3], v[2:3], v[36:37]
	s_waitcnt vmcnt(6)
	v_mov_b32_e32 v4, v29
	v_pk_add_f32 v[2:3], v[2:3], v[20:21]
	v_mov_b32_e32 v7, v5
	s_waitcnt lgkmcnt(1)
	v_pk_mul_f32 v[4:5], v[10:11], v[4:5] op_sel_hi:[1,0]
	v_pk_add_f32 v[2:3], v[2:3], v[6:7]
	v_pk_fma_f32 v[6:7], v[10:11], v[28:29], v[4:5] op_sel:[0,0,1] op_sel_hi:[1,1,0] neg_lo:[0,0,1] neg_hi:[0,0,1]
	v_pk_fma_f32 v[4:5], v[10:11], v[28:29], v[4:5] op_sel:[0,0,1] op_sel_hi:[1,0,0]
	s_waitcnt vmcnt(4)
	v_mov_b32_e32 v4, v31
	v_mov_b32_e32 v7, v5
	v_pk_mul_f32 v[4:5], v[12:13], v[4:5] op_sel_hi:[1,0]
	v_pk_add_f32 v[2:3], v[2:3], v[6:7]
	v_pk_fma_f32 v[6:7], v[12:13], v[30:31], v[4:5] op_sel:[0,0,1] op_sel_hi:[1,1,0] neg_lo:[0,0,1] neg_hi:[0,0,1]
	v_pk_fma_f32 v[4:5], v[12:13], v[30:31], v[4:5] op_sel:[0,0,1] op_sel_hi:[1,0,0]
	s_waitcnt vmcnt(2)
	v_mov_b32_e32 v4, v33
	v_mov_b32_e32 v7, v5
	s_waitcnt lgkmcnt(0)
	v_pk_mul_f32 v[4:5], v[14:15], v[4:5] op_sel_hi:[1,0]
	v_pk_add_f32 v[2:3], v[2:3], v[6:7]
	v_pk_fma_f32 v[6:7], v[14:15], v[32:33], v[4:5] op_sel:[0,0,1] op_sel_hi:[1,1,0] neg_lo:[0,0,1] neg_hi:[0,0,1]
	v_pk_fma_f32 v[4:5], v[14:15], v[32:33], v[4:5] op_sel:[0,0,1] op_sel_hi:[1,0,0]
	s_waitcnt vmcnt(1)
	v_mov_b32_e32 v4, v35
	v_mov_b32_e32 v7, v5
	v_pk_mul_f32 v[4:5], v[16:17], v[4:5] op_sel_hi:[1,0]
	v_pk_add_f32 v[2:3], v[2:3], v[6:7]
	s_waitcnt vmcnt(0)
	v_pk_fma_f32 v[6:7], v[16:17], v[34:35], v[4:5] op_sel:[0,0,1] op_sel_hi:[1,1,0] neg_lo:[0,0,1] neg_hi:[0,0,1]
	v_pk_fma_f32 v[4:5], v[16:17], v[34:35], v[4:5] op_sel:[0,0,1] op_sel_hi:[1,0,0]
	v_mov_b32_e32 v7, v5
	v_pk_add_f32 v[2:3], v[2:3], v[6:7]
	v_pk_add_f32 v[2:3], v[18:19], v[2:3] neg_lo:[0,1] neg_hi:[0,1]
	buffer_store_dword v2, off, s[0:3], 0 offset:400
	buffer_store_dword v3, off, s[0:3], 0 offset:404
	s_and_saveexec_b64 s[4:5], vcc
	s_cbranch_execz .LBB122_269
; %bb.268:
	buffer_load_dword v2, off, s[0:3], 0 offset:392
	buffer_load_dword v3, off, s[0:3], 0 offset:396
	v_mov_b32_e32 v1, 0
	buffer_store_dword v1, off, s[0:3], 0 offset:392
	buffer_store_dword v1, off, s[0:3], 0 offset:396
	s_waitcnt vmcnt(2)
	ds_write_b64 v187, v[2:3]
.LBB122_269:
	s_or_b64 exec, exec, s[4:5]
	v_mov_b32_e32 v1, 0
	s_waitcnt lgkmcnt(0)
	; wave barrier
	s_waitcnt lgkmcnt(0)
	ds_read_b128 v[2:5], v1 offset:880
	ds_read_b128 v[6:9], v1 offset:896
	;; [unrolled: 1-line block ×4, first 2 shown]
	buffer_load_dword v18, off, s[0:3], 0 offset:392
	buffer_load_dword v19, off, s[0:3], 0 offset:396
	buffer_load_dword v32, off, s[0:3], 0 offset:400
	buffer_load_dword v38, off, s[0:3], 0 offset:404
	buffer_load_dword v20, off, s[0:3], 0 offset:408
	buffer_load_dword v21, off, s[0:3], 0 offset:412
	buffer_load_dword v22, off, s[0:3], 0 offset:416
	buffer_load_dword v23, off, s[0:3], 0 offset:420
	buffer_load_dword v24, off, s[0:3], 0 offset:424
	buffer_load_dword v25, off, s[0:3], 0 offset:428
	buffer_load_dword v26, off, s[0:3], 0 offset:432
	buffer_load_dword v27, off, s[0:3], 0 offset:436
	buffer_load_dword v28, off, s[0:3], 0 offset:440
	buffer_load_dword v29, off, s[0:3], 0 offset:444
	buffer_load_dword v30, off, s[0:3], 0 offset:448
	buffer_load_dword v31, off, s[0:3], 0 offset:452
	buffer_load_dword v35, off, s[0:3], 0 offset:460
	buffer_load_dword v34, off, s[0:3], 0 offset:456
	buffer_load_dword v37, off, s[0:3], 0 offset:468
	buffer_load_dword v36, off, s[0:3], 0 offset:464
	v_cmp_lt_u32_e32 vcc, 48, v0
	s_waitcnt vmcnt(16) lgkmcnt(3)
	v_mul_f32_e32 v33, v2, v38
	v_fmac_f32_e32 v33, v3, v32
	v_mul_f32_e32 v3, v3, v38
	s_waitcnt vmcnt(14)
	v_mov_b32_e32 v38, v21
	v_pk_mul_f32 v[38:39], v[4:5], v[38:39] op_sel_hi:[1,0]
	v_fma_f32 v32, v2, v32, -v3
	v_pk_fma_f32 v[40:41], v[4:5], v[20:21], v[38:39] op_sel:[0,0,1] op_sel_hi:[1,1,0] neg_lo:[0,0,1] neg_hi:[0,0,1]
	v_pk_fma_f32 v[4:5], v[4:5], v[20:21], v[38:39] op_sel:[0,0,1] op_sel_hi:[1,0,0]
	s_waitcnt vmcnt(12)
	v_mov_b32_e32 v20, v23
	v_pk_add_f32 v[32:33], v[32:33], 0 op_sel_hi:[1,0]
	v_mov_b32_e32 v41, v5
	s_waitcnt lgkmcnt(2)
	v_pk_mul_f32 v[20:21], v[6:7], v[20:21] op_sel_hi:[1,0]
	v_pk_add_f32 v[4:5], v[32:33], v[40:41]
	v_pk_fma_f32 v[32:33], v[6:7], v[22:23], v[20:21] op_sel:[0,0,1] op_sel_hi:[1,1,0] neg_lo:[0,0,1] neg_hi:[0,0,1]
	v_pk_fma_f32 v[6:7], v[6:7], v[22:23], v[20:21] op_sel:[0,0,1] op_sel_hi:[1,0,0]
	s_waitcnt vmcnt(10)
	v_mov_b32_e32 v6, v25
	v_mov_b32_e32 v33, v7
	v_pk_mul_f32 v[6:7], v[8:9], v[6:7] op_sel_hi:[1,0]
	v_pk_fma_f32 v[20:21], v[8:9], v[24:25], v[6:7] op_sel:[0,0,1] op_sel_hi:[1,1,0] neg_lo:[0,0,1] neg_hi:[0,0,1]
	v_pk_fma_f32 v[6:7], v[8:9], v[24:25], v[6:7] op_sel:[0,0,1] op_sel_hi:[1,0,0]
	s_waitcnt vmcnt(8)
	v_mov_b32_e32 v6, v27
	v_mov_b32_e32 v21, v7
	s_waitcnt lgkmcnt(1)
	v_pk_mul_f32 v[6:7], v[10:11], v[6:7] op_sel_hi:[1,0]
	v_pk_fma_f32 v[8:9], v[10:11], v[26:27], v[6:7] op_sel:[0,0,1] op_sel_hi:[1,1,0] neg_lo:[0,0,1] neg_hi:[0,0,1]
	v_pk_fma_f32 v[6:7], v[10:11], v[26:27], v[6:7] op_sel:[0,0,1] op_sel_hi:[1,0,0]
	v_pk_add_f32 v[4:5], v[4:5], v[32:33]
	s_waitcnt vmcnt(6)
	v_mov_b32_e32 v6, v29
	v_pk_add_f32 v[4:5], v[4:5], v[20:21]
	v_mov_b32_e32 v9, v7
	v_pk_mul_f32 v[6:7], v[12:13], v[6:7] op_sel_hi:[1,0]
	v_pk_add_f32 v[4:5], v[4:5], v[8:9]
	v_pk_fma_f32 v[8:9], v[12:13], v[28:29], v[6:7] op_sel:[0,0,1] op_sel_hi:[1,1,0] neg_lo:[0,0,1] neg_hi:[0,0,1]
	v_pk_fma_f32 v[6:7], v[12:13], v[28:29], v[6:7] op_sel:[0,0,1] op_sel_hi:[1,0,0]
	s_waitcnt vmcnt(4)
	v_mov_b32_e32 v6, v31
	v_mov_b32_e32 v9, v7
	s_waitcnt lgkmcnt(0)
	v_pk_mul_f32 v[6:7], v[14:15], v[6:7] op_sel_hi:[1,0]
	ds_read_b64 v[2:3], v1 offset:944
	v_pk_add_f32 v[4:5], v[4:5], v[8:9]
	v_pk_fma_f32 v[8:9], v[14:15], v[30:31], v[6:7] op_sel:[0,0,1] op_sel_hi:[1,1,0] neg_lo:[0,0,1] neg_hi:[0,0,1]
	v_pk_fma_f32 v[6:7], v[14:15], v[30:31], v[6:7] op_sel:[0,0,1] op_sel_hi:[1,0,0]
	s_waitcnt vmcnt(3)
	v_mov_b32_e32 v6, v35
	v_mov_b32_e32 v9, v7
	v_pk_mul_f32 v[6:7], v[16:17], v[6:7] op_sel_hi:[1,0]
	v_pk_add_f32 v[4:5], v[4:5], v[8:9]
	s_waitcnt vmcnt(2)
	v_pk_fma_f32 v[8:9], v[16:17], v[34:35], v[6:7] op_sel:[0,0,1] op_sel_hi:[1,1,0] neg_lo:[0,0,1] neg_hi:[0,0,1]
	v_pk_fma_f32 v[6:7], v[16:17], v[34:35], v[6:7] op_sel:[0,0,1] op_sel_hi:[1,0,0]
	s_waitcnt vmcnt(1)
	v_mov_b32_e32 v6, v37
	v_mov_b32_e32 v9, v7
	s_waitcnt lgkmcnt(0)
	v_pk_mul_f32 v[6:7], v[2:3], v[6:7] op_sel_hi:[1,0]
	v_pk_add_f32 v[4:5], v[4:5], v[8:9]
	s_waitcnt vmcnt(0)
	v_pk_fma_f32 v[8:9], v[2:3], v[36:37], v[6:7] op_sel:[0,0,1] op_sel_hi:[1,1,0] neg_lo:[0,0,1] neg_hi:[0,0,1]
	v_pk_fma_f32 v[2:3], v[2:3], v[36:37], v[6:7] op_sel:[0,0,1] op_sel_hi:[1,0,0]
	v_mov_b32_e32 v9, v3
	v_pk_add_f32 v[2:3], v[4:5], v[8:9]
	v_pk_add_f32 v[2:3], v[18:19], v[2:3] neg_lo:[0,1] neg_hi:[0,1]
	buffer_store_dword v2, off, s[0:3], 0 offset:392
	buffer_store_dword v3, off, s[0:3], 0 offset:396
	s_and_saveexec_b64 s[4:5], vcc
	s_cbranch_execz .LBB122_271
; %bb.270:
	buffer_load_dword v2, off, s[0:3], 0 offset:384
	buffer_load_dword v3, off, s[0:3], 0 offset:388
	s_waitcnt vmcnt(0)
	ds_write_b64 v187, v[2:3]
	buffer_store_dword v1, off, s[0:3], 0 offset:384
	buffer_store_dword v1, off, s[0:3], 0 offset:388
.LBB122_271:
	s_or_b64 exec, exec, s[4:5]
	s_waitcnt lgkmcnt(0)
	; wave barrier
	s_waitcnt lgkmcnt(0)
	ds_read2_b64 v[2:5], v1 offset0:109 offset1:110
	buffer_load_dword v18, off, s[0:3], 0 offset:384
	buffer_load_dword v19, off, s[0:3], 0 offset:388
	;; [unrolled: 1-line block ×16, first 2 shown]
	ds_read2_b64 v[6:9], v1 offset0:111 offset1:112
	buffer_load_dword v35, off, s[0:3], 0 offset:452
	buffer_load_dword v34, off, s[0:3], 0 offset:448
	;; [unrolled: 1-line block ×6, first 2 shown]
	v_cmp_lt_u32_e32 vcc, 47, v0
	s_waitcnt vmcnt(18) lgkmcnt(1)
	v_mul_f32_e32 v31, v2, v11
	v_fmac_f32_e32 v31, v3, v10
	v_mul_f32_e32 v3, v3, v11
	s_waitcnt vmcnt(16)
	v_mul_f32_e32 v33, v4, v13
	v_fma_f32 v30, v2, v10, -v3
	v_mul_f32_e32 v2, v5, v13
	v_fmac_f32_e32 v33, v5, v12
	v_fma_f32 v32, v4, v12, -v2
	v_pk_add_f32 v[30:31], v[30:31], 0 op_sel_hi:[1,0]
	v_pk_add_f32 v[30:31], v[30:31], v[32:33]
	s_waitcnt vmcnt(14)
	v_mov_b32_e32 v32, v21
	s_waitcnt lgkmcnt(0)
	v_pk_mul_f32 v[32:33], v[6:7], v[32:33] op_sel_hi:[1,0]
	v_pk_fma_f32 v[40:41], v[6:7], v[20:21], v[32:33] op_sel:[0,0,1] op_sel_hi:[1,1,0] neg_lo:[0,0,1] neg_hi:[0,0,1]
	v_pk_fma_f32 v[6:7], v[6:7], v[20:21], v[32:33] op_sel:[0,0,1] op_sel_hi:[1,0,0]
	s_waitcnt vmcnt(12)
	v_mov_b32_e32 v20, v23
	ds_read2_b64 v[2:5], v1 offset0:113 offset1:114
	ds_read2_b64 v[10:13], v1 offset0:115 offset1:116
	;; [unrolled: 1-line block ×3, first 2 shown]
	v_mov_b32_e32 v41, v7
	v_pk_mul_f32 v[20:21], v[8:9], v[20:21] op_sel_hi:[1,0]
	v_pk_add_f32 v[6:7], v[30:31], v[40:41]
	v_pk_fma_f32 v[30:31], v[8:9], v[22:23], v[20:21] op_sel:[0,0,1] op_sel_hi:[1,1,0] neg_lo:[0,0,1] neg_hi:[0,0,1]
	v_pk_fma_f32 v[8:9], v[8:9], v[22:23], v[20:21] op_sel:[0,0,1] op_sel_hi:[1,0,0]
	s_waitcnt vmcnt(10)
	v_mov_b32_e32 v8, v25
	v_mov_b32_e32 v31, v9
	s_waitcnt lgkmcnt(2)
	v_pk_mul_f32 v[8:9], v[2:3], v[8:9] op_sel_hi:[1,0]
	v_pk_fma_f32 v[20:21], v[2:3], v[24:25], v[8:9] op_sel:[0,0,1] op_sel_hi:[1,1,0] neg_lo:[0,0,1] neg_hi:[0,0,1]
	v_pk_fma_f32 v[2:3], v[2:3], v[24:25], v[8:9] op_sel:[0,0,1] op_sel_hi:[1,0,0]
	v_pk_add_f32 v[6:7], v[6:7], v[30:31]
	v_mov_b32_e32 v21, v3
	v_pk_add_f32 v[2:3], v[6:7], v[20:21]
	s_waitcnt vmcnt(8)
	v_mov_b32_e32 v6, v27
	v_pk_mul_f32 v[6:7], v[4:5], v[6:7] op_sel_hi:[1,0]
	v_pk_fma_f32 v[8:9], v[4:5], v[26:27], v[6:7] op_sel:[0,0,1] op_sel_hi:[1,1,0] neg_lo:[0,0,1] neg_hi:[0,0,1]
	v_pk_fma_f32 v[4:5], v[4:5], v[26:27], v[6:7] op_sel:[0,0,1] op_sel_hi:[1,0,0]
	s_waitcnt vmcnt(6)
	v_mov_b32_e32 v4, v29
	v_mov_b32_e32 v9, v5
	s_waitcnt lgkmcnt(1)
	v_pk_mul_f32 v[4:5], v[10:11], v[4:5] op_sel_hi:[1,0]
	v_pk_fma_f32 v[6:7], v[10:11], v[28:29], v[4:5] op_sel:[0,0,1] op_sel_hi:[1,1,0] neg_lo:[0,0,1] neg_hi:[0,0,1]
	v_pk_fma_f32 v[4:5], v[10:11], v[28:29], v[4:5] op_sel:[0,0,1] op_sel_hi:[1,0,0]
	s_waitcnt vmcnt(5)
	v_mov_b32_e32 v4, v35
	v_pk_add_f32 v[2:3], v[2:3], v[8:9]
	v_mov_b32_e32 v7, v5
	v_pk_mul_f32 v[4:5], v[12:13], v[4:5] op_sel_hi:[1,0]
	v_pk_add_f32 v[2:3], v[2:3], v[6:7]
	s_waitcnt vmcnt(4)
	v_pk_fma_f32 v[6:7], v[12:13], v[34:35], v[4:5] op_sel:[0,0,1] op_sel_hi:[1,1,0] neg_lo:[0,0,1] neg_hi:[0,0,1]
	v_pk_fma_f32 v[4:5], v[12:13], v[34:35], v[4:5] op_sel:[0,0,1] op_sel_hi:[1,0,0]
	s_waitcnt vmcnt(3)
	v_mov_b32_e32 v4, v37
	v_mov_b32_e32 v7, v5
	s_waitcnt lgkmcnt(0)
	v_pk_mul_f32 v[4:5], v[14:15], v[4:5] op_sel_hi:[1,0]
	v_pk_add_f32 v[2:3], v[2:3], v[6:7]
	s_waitcnt vmcnt(2)
	v_pk_fma_f32 v[6:7], v[14:15], v[36:37], v[4:5] op_sel:[0,0,1] op_sel_hi:[1,1,0] neg_lo:[0,0,1] neg_hi:[0,0,1]
	v_pk_fma_f32 v[4:5], v[14:15], v[36:37], v[4:5] op_sel:[0,0,1] op_sel_hi:[1,0,0]
	s_waitcnt vmcnt(1)
	v_mov_b32_e32 v4, v39
	v_mov_b32_e32 v7, v5
	v_pk_mul_f32 v[4:5], v[16:17], v[4:5] op_sel_hi:[1,0]
	v_pk_add_f32 v[2:3], v[2:3], v[6:7]
	s_waitcnt vmcnt(0)
	v_pk_fma_f32 v[6:7], v[16:17], v[38:39], v[4:5] op_sel:[0,0,1] op_sel_hi:[1,1,0] neg_lo:[0,0,1] neg_hi:[0,0,1]
	v_pk_fma_f32 v[4:5], v[16:17], v[38:39], v[4:5] op_sel:[0,0,1] op_sel_hi:[1,0,0]
	v_mov_b32_e32 v7, v5
	v_pk_add_f32 v[2:3], v[2:3], v[6:7]
	v_pk_add_f32 v[2:3], v[18:19], v[2:3] neg_lo:[0,1] neg_hi:[0,1]
	buffer_store_dword v2, off, s[0:3], 0 offset:384
	buffer_store_dword v3, off, s[0:3], 0 offset:388
	s_and_saveexec_b64 s[4:5], vcc
	s_cbranch_execz .LBB122_273
; %bb.272:
	buffer_load_dword v2, off, s[0:3], 0 offset:376
	buffer_load_dword v3, off, s[0:3], 0 offset:380
	v_mov_b32_e32 v1, 0
	buffer_store_dword v1, off, s[0:3], 0 offset:376
	buffer_store_dword v1, off, s[0:3], 0 offset:380
	s_waitcnt vmcnt(2)
	ds_write_b64 v187, v[2:3]
.LBB122_273:
	s_or_b64 exec, exec, s[4:5]
	v_mov_b32_e32 v1, 0
	s_waitcnt lgkmcnt(0)
	; wave barrier
	s_waitcnt lgkmcnt(0)
	ds_read_b128 v[4:7], v1 offset:864
	ds_read_b128 v[8:11], v1 offset:880
	;; [unrolled: 1-line block ×4, first 2 shown]
	buffer_load_dword v2, off, s[0:3], 0 offset:376
	buffer_load_dword v3, off, s[0:3], 0 offset:380
	buffer_load_dword v28, off, s[0:3], 0 offset:384
	buffer_load_dword v30, off, s[0:3], 0 offset:388
	buffer_load_dword v32, off, s[0:3], 0 offset:392
	buffer_load_dword v42, off, s[0:3], 0 offset:396
	buffer_load_dword v43, off, s[0:3], 0 offset:400
	buffer_load_dword v44, off, s[0:3], 0 offset:404
	buffer_load_dword v20, off, s[0:3], 0 offset:408
	buffer_load_dword v21, off, s[0:3], 0 offset:412
	buffer_load_dword v22, off, s[0:3], 0 offset:416
	buffer_load_dword v23, off, s[0:3], 0 offset:420
	buffer_load_dword v24, off, s[0:3], 0 offset:424
	buffer_load_dword v25, off, s[0:3], 0 offset:428
	buffer_load_dword v26, off, s[0:3], 0 offset:432
	buffer_load_dword v27, off, s[0:3], 0 offset:436
	buffer_load_dword v35, off, s[0:3], 0 offset:444
	buffer_load_dword v34, off, s[0:3], 0 offset:440
	buffer_load_dword v37, off, s[0:3], 0 offset:452
	buffer_load_dword v36, off, s[0:3], 0 offset:448
	buffer_load_dword v39, off, s[0:3], 0 offset:460
	buffer_load_dword v38, off, s[0:3], 0 offset:456
	buffer_load_dword v41, off, s[0:3], 0 offset:468
	buffer_load_dword v40, off, s[0:3], 0 offset:464
	v_cmp_lt_u32_e32 vcc, 46, v0
	s_waitcnt vmcnt(20) lgkmcnt(3)
	v_mul_f32_e32 v29, v4, v30
	v_fmac_f32_e32 v29, v5, v28
	v_mul_f32_e32 v5, v5, v30
	v_fma_f32 v4, v4, v28, -v5
	s_waitcnt vmcnt(18)
	v_mul_f32_e32 v31, v6, v42
	v_add_f32_e32 v28, 0, v4
	v_mul_f32_e32 v4, v7, v42
	v_add_f32_e32 v29, 0, v29
	v_fmac_f32_e32 v31, v7, v32
	v_fma_f32 v30, v6, v32, -v4
	s_waitcnt vmcnt(16) lgkmcnt(2)
	v_mul_f32_e32 v33, v8, v44
	v_mul_f32_e32 v4, v9, v44
	v_pk_add_f32 v[28:29], v[28:29], v[30:31]
	s_waitcnt vmcnt(14)
	v_mov_b32_e32 v30, v21
	v_fmac_f32_e32 v33, v9, v43
	v_fma_f32 v32, v8, v43, -v4
	v_pk_mul_f32 v[30:31], v[10:11], v[30:31] op_sel_hi:[1,0]
	v_pk_add_f32 v[28:29], v[28:29], v[32:33]
	v_pk_fma_f32 v[32:33], v[10:11], v[20:21], v[30:31] op_sel:[0,0,1] op_sel_hi:[1,1,0] neg_lo:[0,0,1] neg_hi:[0,0,1]
	v_pk_fma_f32 v[10:11], v[10:11], v[20:21], v[30:31] op_sel:[0,0,1] op_sel_hi:[1,0,0]
	s_waitcnt vmcnt(12)
	v_mov_b32_e32 v20, v23
	v_mov_b32_e32 v33, v11
	s_waitcnt lgkmcnt(1)
	v_pk_mul_f32 v[20:21], v[12:13], v[20:21] op_sel_hi:[1,0]
	v_pk_add_f32 v[10:11], v[28:29], v[32:33]
	v_pk_fma_f32 v[28:29], v[12:13], v[22:23], v[20:21] op_sel:[0,0,1] op_sel_hi:[1,1,0] neg_lo:[0,0,1] neg_hi:[0,0,1]
	v_pk_fma_f32 v[12:13], v[12:13], v[22:23], v[20:21] op_sel:[0,0,1] op_sel_hi:[1,0,0]
	s_waitcnt vmcnt(10)
	v_mov_b32_e32 v12, v25
	v_mov_b32_e32 v29, v13
	v_pk_mul_f32 v[12:13], v[14:15], v[12:13] op_sel_hi:[1,0]
	v_pk_fma_f32 v[20:21], v[14:15], v[24:25], v[12:13] op_sel:[0,0,1] op_sel_hi:[1,1,0] neg_lo:[0,0,1] neg_hi:[0,0,1]
	v_pk_fma_f32 v[12:13], v[14:15], v[24:25], v[12:13] op_sel:[0,0,1] op_sel_hi:[1,0,0]
	s_waitcnt vmcnt(8)
	v_mov_b32_e32 v12, v27
	v_mov_b32_e32 v21, v13
	s_waitcnt lgkmcnt(0)
	v_pk_mul_f32 v[12:13], v[16:17], v[12:13] op_sel_hi:[1,0]
	v_pk_fma_f32 v[14:15], v[16:17], v[26:27], v[12:13] op_sel:[0,0,1] op_sel_hi:[1,1,0] neg_lo:[0,0,1] neg_hi:[0,0,1]
	v_pk_fma_f32 v[12:13], v[16:17], v[26:27], v[12:13] op_sel:[0,0,1] op_sel_hi:[1,0,0]
	ds_read_b128 v[4:7], v1 offset:928
	ds_read_b64 v[8:9], v1 offset:944
	v_pk_add_f32 v[10:11], v[10:11], v[28:29]
	s_waitcnt vmcnt(7)
	v_mov_b32_e32 v12, v35
	v_pk_add_f32 v[10:11], v[10:11], v[20:21]
	v_mov_b32_e32 v15, v13
	v_pk_mul_f32 v[12:13], v[18:19], v[12:13] op_sel_hi:[1,0]
	v_pk_add_f32 v[10:11], v[10:11], v[14:15]
	s_waitcnt vmcnt(6)
	v_pk_fma_f32 v[14:15], v[18:19], v[34:35], v[12:13] op_sel:[0,0,1] op_sel_hi:[1,1,0] neg_lo:[0,0,1] neg_hi:[0,0,1]
	v_pk_fma_f32 v[12:13], v[18:19], v[34:35], v[12:13] op_sel:[0,0,1] op_sel_hi:[1,0,0]
	s_waitcnt vmcnt(5)
	v_mov_b32_e32 v12, v37
	v_mov_b32_e32 v15, v13
	s_waitcnt lgkmcnt(1)
	v_pk_mul_f32 v[12:13], v[4:5], v[12:13] op_sel_hi:[1,0]
	v_pk_add_f32 v[10:11], v[10:11], v[14:15]
	s_waitcnt vmcnt(4)
	v_pk_fma_f32 v[14:15], v[4:5], v[36:37], v[12:13] op_sel:[0,0,1] op_sel_hi:[1,1,0] neg_lo:[0,0,1] neg_hi:[0,0,1]
	v_pk_fma_f32 v[4:5], v[4:5], v[36:37], v[12:13] op_sel:[0,0,1] op_sel_hi:[1,0,0]
	v_mov_b32_e32 v15, v5
	v_pk_add_f32 v[4:5], v[10:11], v[14:15]
	s_waitcnt vmcnt(3)
	v_mov_b32_e32 v10, v39
	v_pk_mul_f32 v[10:11], v[6:7], v[10:11] op_sel_hi:[1,0]
	s_waitcnt vmcnt(2)
	v_pk_fma_f32 v[12:13], v[6:7], v[38:39], v[10:11] op_sel:[0,0,1] op_sel_hi:[1,1,0] neg_lo:[0,0,1] neg_hi:[0,0,1]
	v_pk_fma_f32 v[6:7], v[6:7], v[38:39], v[10:11] op_sel:[0,0,1] op_sel_hi:[1,0,0]
	s_waitcnt vmcnt(1)
	v_mov_b32_e32 v6, v41
	v_mov_b32_e32 v13, v7
	s_waitcnt lgkmcnt(0)
	v_pk_mul_f32 v[6:7], v[8:9], v[6:7] op_sel_hi:[1,0]
	s_waitcnt vmcnt(0)
	v_pk_fma_f32 v[10:11], v[8:9], v[40:41], v[6:7] op_sel:[0,0,1] op_sel_hi:[1,1,0] neg_lo:[0,0,1] neg_hi:[0,0,1]
	v_pk_fma_f32 v[6:7], v[8:9], v[40:41], v[6:7] op_sel:[0,0,1] op_sel_hi:[1,0,0]
	v_pk_add_f32 v[4:5], v[4:5], v[12:13]
	v_mov_b32_e32 v11, v7
	v_pk_add_f32 v[4:5], v[4:5], v[10:11]
	v_pk_add_f32 v[2:3], v[2:3], v[4:5] neg_lo:[0,1] neg_hi:[0,1]
	buffer_store_dword v3, off, s[0:3], 0 offset:380
	buffer_store_dword v2, off, s[0:3], 0 offset:376
	s_and_saveexec_b64 s[4:5], vcc
	s_cbranch_execz .LBB122_275
; %bb.274:
	buffer_load_dword v2, off, s[0:3], 0 offset:368
	buffer_load_dword v3, off, s[0:3], 0 offset:372
	s_waitcnt vmcnt(0)
	ds_write_b64 v187, v[2:3]
	buffer_store_dword v1, off, s[0:3], 0 offset:368
	buffer_store_dword v1, off, s[0:3], 0 offset:372
.LBB122_275:
	s_or_b64 exec, exec, s[4:5]
	s_waitcnt lgkmcnt(0)
	; wave barrier
	s_waitcnt lgkmcnt(0)
	ds_read2_b64 v[4:7], v1 offset0:107 offset1:108
	buffer_load_dword v2, off, s[0:3], 0 offset:368
	buffer_load_dword v3, off, s[0:3], 0 offset:372
	;; [unrolled: 1-line block ×16, first 2 shown]
	v_cmp_lt_u32_e32 vcc, 45, v0
	ds_read2_b64 v[12:15], v1 offset0:111 offset1:112
	s_waitcnt vmcnt(12) lgkmcnt(1)
	v_mul_f32_e32 v8, v4, v17
	v_fmac_f32_e32 v8, v5, v16
	s_waitcnt vmcnt(10)
	v_mul_f32_e32 v9, v6, v19
	v_add_f32_e32 v8, 0, v8
	v_fmac_f32_e32 v9, v7, v18
	v_add_f32_e32 v27, v8, v9
	ds_read2_b64 v[8:11], v1 offset0:109 offset1:110
	buffer_load_dword v33, off, s[0:3], 0 offset:436
	buffer_load_dword v32, off, s[0:3], 0 offset:432
	;; [unrolled: 1-line block ×10, first 2 shown]
	v_mul_f32_e32 v5, v5, v17
	v_fma_f32 v4, v4, v16, -v5
	v_mul_f32_e32 v5, v7, v19
	v_add_f32_e32 v4, 0, v4
	v_fma_f32 v5, v6, v18, -v5
	s_waitcnt vmcnt(18) lgkmcnt(0)
	v_mul_f32_e32 v29, v8, v30
	v_add_f32_e32 v26, v4, v5
	v_mul_f32_e32 v4, v9, v30
	v_fmac_f32_e32 v29, v9, v28
	v_fma_f32 v28, v8, v28, -v4
	s_waitcnt vmcnt(16)
	v_mul_f32_e32 v31, v10, v43
	v_mul_f32_e32 v4, v11, v43
	v_pk_add_f32 v[26:27], v[26:27], v[28:29]
	s_waitcnt vmcnt(14)
	v_mov_b32_e32 v28, v21
	v_fmac_f32_e32 v31, v11, v42
	v_fma_f32 v30, v10, v42, -v4
	v_pk_mul_f32 v[28:29], v[12:13], v[28:29] op_sel_hi:[1,0]
	v_pk_add_f32 v[26:27], v[26:27], v[30:31]
	v_pk_fma_f32 v[30:31], v[12:13], v[20:21], v[28:29] op_sel:[0,0,1] op_sel_hi:[1,1,0] neg_lo:[0,0,1] neg_hi:[0,0,1]
	v_pk_fma_f32 v[12:13], v[12:13], v[20:21], v[28:29] op_sel:[0,0,1] op_sel_hi:[1,0,0]
	s_waitcnt vmcnt(12)
	v_mov_b32_e32 v20, v23
	ds_read2_b64 v[4:7], v1 offset0:113 offset1:114
	ds_read2_b64 v[8:11], v1 offset0:115 offset1:116
	;; [unrolled: 1-line block ×3, first 2 shown]
	v_mov_b32_e32 v31, v13
	v_pk_mul_f32 v[20:21], v[14:15], v[20:21] op_sel_hi:[1,0]
	v_pk_add_f32 v[12:13], v[26:27], v[30:31]
	v_pk_fma_f32 v[26:27], v[14:15], v[22:23], v[20:21] op_sel:[0,0,1] op_sel_hi:[1,1,0] neg_lo:[0,0,1] neg_hi:[0,0,1]
	v_pk_fma_f32 v[14:15], v[14:15], v[22:23], v[20:21] op_sel:[0,0,1] op_sel_hi:[1,0,0]
	s_waitcnt vmcnt(10)
	v_mov_b32_e32 v14, v25
	v_mov_b32_e32 v27, v15
	s_waitcnt lgkmcnt(2)
	v_pk_mul_f32 v[14:15], v[4:5], v[14:15] op_sel_hi:[1,0]
	v_pk_fma_f32 v[20:21], v[4:5], v[24:25], v[14:15] op_sel:[0,0,1] op_sel_hi:[1,1,0] neg_lo:[0,0,1] neg_hi:[0,0,1]
	v_pk_fma_f32 v[4:5], v[4:5], v[24:25], v[14:15] op_sel:[0,0,1] op_sel_hi:[1,0,0]
	v_pk_add_f32 v[12:13], v[12:13], v[26:27]
	v_mov_b32_e32 v21, v5
	v_pk_add_f32 v[4:5], v[12:13], v[20:21]
	s_waitcnt vmcnt(9)
	v_mov_b32_e32 v12, v33
	v_pk_mul_f32 v[12:13], v[6:7], v[12:13] op_sel_hi:[1,0]
	s_waitcnt vmcnt(8)
	v_pk_fma_f32 v[14:15], v[6:7], v[32:33], v[12:13] op_sel:[0,0,1] op_sel_hi:[1,1,0] neg_lo:[0,0,1] neg_hi:[0,0,1]
	v_pk_fma_f32 v[6:7], v[6:7], v[32:33], v[12:13] op_sel:[0,0,1] op_sel_hi:[1,0,0]
	s_waitcnt vmcnt(7)
	v_mov_b32_e32 v6, v35
	v_mov_b32_e32 v15, v7
	s_waitcnt lgkmcnt(1)
	v_pk_mul_f32 v[6:7], v[8:9], v[6:7] op_sel_hi:[1,0]
	s_waitcnt vmcnt(6)
	v_pk_fma_f32 v[12:13], v[8:9], v[34:35], v[6:7] op_sel:[0,0,1] op_sel_hi:[1,1,0] neg_lo:[0,0,1] neg_hi:[0,0,1]
	v_pk_fma_f32 v[6:7], v[8:9], v[34:35], v[6:7] op_sel:[0,0,1] op_sel_hi:[1,0,0]
	s_waitcnt vmcnt(5)
	v_mov_b32_e32 v6, v37
	v_mov_b32_e32 v13, v7
	v_pk_mul_f32 v[6:7], v[10:11], v[6:7] op_sel_hi:[1,0]
	s_waitcnt vmcnt(4)
	v_pk_fma_f32 v[8:9], v[10:11], v[36:37], v[6:7] op_sel:[0,0,1] op_sel_hi:[1,1,0] neg_lo:[0,0,1] neg_hi:[0,0,1]
	v_pk_fma_f32 v[6:7], v[10:11], v[36:37], v[6:7] op_sel:[0,0,1] op_sel_hi:[1,0,0]
	v_pk_add_f32 v[4:5], v[4:5], v[14:15]
	s_waitcnt vmcnt(3)
	v_mov_b32_e32 v6, v39
	v_pk_add_f32 v[4:5], v[4:5], v[12:13]
	v_mov_b32_e32 v9, v7
	s_waitcnt lgkmcnt(0)
	v_pk_mul_f32 v[6:7], v[16:17], v[6:7] op_sel_hi:[1,0]
	v_pk_add_f32 v[4:5], v[4:5], v[8:9]
	s_waitcnt vmcnt(2)
	v_pk_fma_f32 v[8:9], v[16:17], v[38:39], v[6:7] op_sel:[0,0,1] op_sel_hi:[1,1,0] neg_lo:[0,0,1] neg_hi:[0,0,1]
	v_pk_fma_f32 v[6:7], v[16:17], v[38:39], v[6:7] op_sel:[0,0,1] op_sel_hi:[1,0,0]
	s_waitcnt vmcnt(1)
	v_mov_b32_e32 v6, v41
	v_mov_b32_e32 v9, v7
	v_pk_mul_f32 v[6:7], v[18:19], v[6:7] op_sel_hi:[1,0]
	v_pk_add_f32 v[4:5], v[4:5], v[8:9]
	s_waitcnt vmcnt(0)
	v_pk_fma_f32 v[8:9], v[18:19], v[40:41], v[6:7] op_sel:[0,0,1] op_sel_hi:[1,1,0] neg_lo:[0,0,1] neg_hi:[0,0,1]
	v_pk_fma_f32 v[6:7], v[18:19], v[40:41], v[6:7] op_sel:[0,0,1] op_sel_hi:[1,0,0]
	v_mov_b32_e32 v9, v7
	v_pk_add_f32 v[4:5], v[4:5], v[8:9]
	v_pk_add_f32 v[2:3], v[2:3], v[4:5] neg_lo:[0,1] neg_hi:[0,1]
	buffer_store_dword v3, off, s[0:3], 0 offset:372
	buffer_store_dword v2, off, s[0:3], 0 offset:368
	s_and_saveexec_b64 s[4:5], vcc
	s_cbranch_execz .LBB122_277
; %bb.276:
	buffer_load_dword v2, off, s[0:3], 0 offset:360
	buffer_load_dword v3, off, s[0:3], 0 offset:364
	v_mov_b32_e32 v1, 0
	buffer_store_dword v1, off, s[0:3], 0 offset:360
	buffer_store_dword v1, off, s[0:3], 0 offset:364
	s_waitcnt vmcnt(2)
	ds_write_b64 v187, v[2:3]
.LBB122_277:
	s_or_b64 exec, exec, s[4:5]
	s_waitcnt lgkmcnt(0)
	; wave barrier
	s_waitcnt lgkmcnt(0)
	buffer_load_dword v46, off, s[0:3], 0 offset:372
	buffer_load_dword v48, off, s[0:3], 0 offset:380
	;; [unrolled: 1-line block ×28, first 2 shown]
	v_mov_b32_e32 v1, 0
	ds_read_b128 v[2:5], v1 offset:848
	ds_read_b128 v[6:9], v1 offset:864
	;; [unrolled: 1-line block ×6, first 2 shown]
	ds_read_b64 v[44:45], v1 offset:944
	v_cmp_lt_u32_e32 vcc, 44, v0
	s_waitcnt vmcnt(27) lgkmcnt(6)
	v_mul_f32_e32 v61, v2, v46
	s_waitcnt vmcnt(26)
	v_mul_f32_e32 v62, v4, v48
	v_mul_f32_e32 v46, v3, v46
	;; [unrolled: 1-line block ×3, first 2 shown]
	s_waitcnt vmcnt(23) lgkmcnt(4)
	v_mul_f32_e32 v49, v10, v52
	v_mul_f32_e32 v63, v6, v50
	;; [unrolled: 1-line block ×6, first 2 shown]
	s_waitcnt vmcnt(22)
	v_mov_b32_e32 v50, v27
	s_waitcnt vmcnt(21)
	v_mov_b32_e32 v52, v29
	s_waitcnt vmcnt(17)
	v_fmac_f32_e32 v61, v3, v53
	s_waitcnt vmcnt(16)
	v_fmac_f32_e32 v62, v5, v55
	;; [unrolled: 2-line block ×3, first 2 shown]
	v_fma_f32 v11, v2, v53, -v46
	v_fma_f32 v53, v4, v55, -v48
	v_pk_mul_f32 v[2:3], v[12:13], v[50:51] op_sel_hi:[1,0]
	s_waitcnt lgkmcnt(3)
	v_pk_mul_f32 v[4:5], v[14:15], v[52:53] op_sel_hi:[1,0]
	v_fma_f32 v46, v8, v59, -v51
	v_fma_f32 v48, v10, v60, -v65
	v_add_f32_e32 v50, 0, v61
	v_add_f32_e32 v51, 0, v11
	s_waitcnt vmcnt(12)
	v_pk_fma_f32 v[10:11], v[12:13], v[26:27], v[2:3] op_sel:[0,0,1] op_sel_hi:[1,1,0] neg_lo:[0,0,1] neg_hi:[0,0,1]
	v_pk_fma_f32 v[2:3], v[12:13], v[26:27], v[2:3] op_sel:[0,0,1] op_sel_hi:[1,0,0]
	s_waitcnt vmcnt(11)
	v_pk_fma_f32 v[12:13], v[14:15], v[28:29], v[4:5] op_sel:[0,0,1] op_sel_hi:[1,1,0] neg_lo:[0,0,1] neg_hi:[0,0,1]
	v_pk_fma_f32 v[4:5], v[14:15], v[28:29], v[4:5] op_sel:[0,0,1] op_sel_hi:[1,0,0]
	v_fmac_f32_e32 v63, v7, v57
	v_fma_f32 v55, v6, v57, -v64
	v_add_f32_e32 v2, v50, v62
	v_add_f32_e32 v4, v51, v53
	v_fmac_f32_e32 v47, v9, v59
	v_mov_b32_e32 v11, v3
	v_add_f32_e32 v3, v2, v63
	v_add_f32_e32 v2, v4, v55
	v_mov_b32_e32 v54, v31
	v_pk_add_f32 v[2:3], v[2:3], v[46:47]
	v_mov_b32_e32 v56, v33
	v_mov_b32_e32 v58, v35
	v_pk_mul_f32 v[6:7], v[16:17], v[54:55] op_sel_hi:[1,0]
	v_pk_add_f32 v[2:3], v[2:3], v[48:49]
	s_waitcnt lgkmcnt(2)
	v_pk_mul_f32 v[8:9], v[18:19], v[56:57] op_sel_hi:[1,0]
	s_waitcnt vmcnt(7)
	v_pk_fma_f32 v[14:15], v[16:17], v[30:31], v[6:7] op_sel:[0,0,1] op_sel_hi:[1,1,0] neg_lo:[0,0,1] neg_hi:[0,0,1]
	v_pk_fma_f32 v[6:7], v[16:17], v[30:31], v[6:7] op_sel:[0,0,1] op_sel_hi:[1,0,0]
	v_mov_b32_e32 v13, v5
	v_pk_add_f32 v[2:3], v[2:3], v[10:11]
	v_pk_mul_f32 v[4:5], v[20:21], v[58:59] op_sel_hi:[1,0]
	v_pk_fma_f32 v[16:17], v[18:19], v[32:33], v[8:9] op_sel:[0,0,1] op_sel_hi:[1,1,0] neg_lo:[0,0,1] neg_hi:[0,0,1]
	v_pk_fma_f32 v[8:9], v[18:19], v[32:33], v[8:9] op_sel:[0,0,1] op_sel_hi:[1,0,0]
	v_mov_b32_e32 v15, v7
	v_pk_add_f32 v[2:3], v[2:3], v[12:13]
	v_pk_fma_f32 v[6:7], v[20:21], v[34:35], v[4:5] op_sel:[0,0,1] op_sel_hi:[1,1,0] neg_lo:[0,0,1] neg_hi:[0,0,1]
	v_pk_fma_f32 v[4:5], v[20:21], v[34:35], v[4:5] op_sel:[0,0,1] op_sel_hi:[1,0,0]
	v_mov_b32_e32 v17, v9
	v_pk_add_f32 v[2:3], v[2:3], v[14:15]
	s_waitcnt vmcnt(6)
	v_mov_b32_e32 v4, v37
	v_pk_add_f32 v[2:3], v[2:3], v[16:17]
	v_mov_b32_e32 v7, v5
	s_waitcnt lgkmcnt(1)
	v_pk_mul_f32 v[4:5], v[22:23], v[4:5] op_sel_hi:[1,0]
	v_pk_add_f32 v[2:3], v[2:3], v[6:7]
	v_pk_fma_f32 v[6:7], v[22:23], v[36:37], v[4:5] op_sel:[0,0,1] op_sel_hi:[1,1,0] neg_lo:[0,0,1] neg_hi:[0,0,1]
	v_pk_fma_f32 v[4:5], v[22:23], v[36:37], v[4:5] op_sel:[0,0,1] op_sel_hi:[1,0,0]
	s_waitcnt vmcnt(5)
	v_mov_b32_e32 v4, v39
	v_mov_b32_e32 v7, v5
	v_pk_mul_f32 v[4:5], v[24:25], v[4:5] op_sel_hi:[1,0]
	v_pk_add_f32 v[2:3], v[2:3], v[6:7]
	s_waitcnt vmcnt(3)
	v_pk_fma_f32 v[6:7], v[24:25], v[38:39], v[4:5] op_sel:[0,0,1] op_sel_hi:[1,1,0] neg_lo:[0,0,1] neg_hi:[0,0,1]
	v_pk_fma_f32 v[4:5], v[24:25], v[38:39], v[4:5] op_sel:[0,0,1] op_sel_hi:[1,0,0]
	s_waitcnt vmcnt(2)
	v_mov_b32_e32 v4, v41
	v_mov_b32_e32 v7, v5
	s_waitcnt lgkmcnt(0)
	v_pk_mul_f32 v[4:5], v[44:45], v[4:5] op_sel_hi:[1,0]
	v_pk_add_f32 v[2:3], v[2:3], v[6:7]
	v_pk_fma_f32 v[6:7], v[44:45], v[40:41], v[4:5] op_sel:[0,0,1] op_sel_hi:[1,1,0] neg_lo:[0,0,1] neg_hi:[0,0,1]
	v_pk_fma_f32 v[4:5], v[44:45], v[40:41], v[4:5] op_sel:[0,0,1] op_sel_hi:[1,0,0]
	v_mov_b32_e32 v7, v5
	v_pk_add_f32 v[2:3], v[2:3], v[6:7]
	s_waitcnt vmcnt(0)
	v_pk_add_f32 v[2:3], v[42:43], v[2:3] neg_lo:[0,1] neg_hi:[0,1]
	buffer_store_dword v3, off, s[0:3], 0 offset:364
	buffer_store_dword v2, off, s[0:3], 0 offset:360
	s_and_saveexec_b64 s[4:5], vcc
	s_cbranch_execz .LBB122_279
; %bb.278:
	buffer_load_dword v2, off, s[0:3], 0 offset:352
	buffer_load_dword v3, off, s[0:3], 0 offset:356
	s_waitcnt vmcnt(0)
	ds_write_b64 v187, v[2:3]
	buffer_store_dword v1, off, s[0:3], 0 offset:352
	buffer_store_dword v1, off, s[0:3], 0 offset:356
.LBB122_279:
	s_or_b64 exec, exec, s[4:5]
	s_waitcnt lgkmcnt(0)
	; wave barrier
	s_waitcnt lgkmcnt(0)
	buffer_load_dword v48, off, s[0:3], 0 offset:364
	buffer_load_dword v50, off, s[0:3], 0 offset:372
	;; [unrolled: 1-line block ×30, first 2 shown]
	ds_read2_b64 v[2:5], v1 offset0:105 offset1:106
	ds_read2_b64 v[6:9], v1 offset0:107 offset1:108
	ds_read2_b64 v[10:13], v1 offset0:109 offset1:110
	ds_read2_b64 v[14:17], v1 offset0:111 offset1:112
	ds_read2_b64 v[18:21], v1 offset0:113 offset1:114
	ds_read2_b64 v[22:25], v1 offset0:115 offset1:116
	ds_read2_b64 v[26:29], v1 offset0:117 offset1:118
	v_cmp_lt_u32_e32 vcc, 43, v0
	s_waitcnt vmcnt(29) lgkmcnt(6)
	v_mul_f32_e32 v1, v2, v48
	v_mul_f32_e32 v48, v3, v48
	s_waitcnt vmcnt(27) lgkmcnt(5)
	v_mul_f32_e32 v64, v6, v52
	s_waitcnt vmcnt(26)
	v_mul_f32_e32 v65, v8, v53
	v_mul_f32_e32 v53, v9, v53
	;; [unrolled: 1-line block ×3, first 2 shown]
	s_waitcnt vmcnt(23)
	v_mov_b32_e32 v52, v31
	v_mul_f32_e32 v63, v4, v50
	v_mul_f32_e32 v50, v5, v50
	s_waitcnt vmcnt(20)
	v_fmac_f32_e32 v1, v3, v57
	s_waitcnt vmcnt(19)
	v_fmac_f32_e32 v63, v5, v58
	v_add_f32_e32 v1, 0, v1
	s_waitcnt vmcnt(17)
	v_fma_f32 v53, v8, v60, -v53
	v_fmac_f32_e32 v65, v9, v60
	v_fma_f32 v9, v2, v57, -v48
	s_waitcnt lgkmcnt(3)
	v_pk_mul_f32 v[2:3], v[14:15], v[52:53] op_sel_hi:[1,0]
	v_fma_f32 v57, v4, v58, -v50
	v_add_f32_e32 v52, 0, v9
	s_waitcnt vmcnt(14)
	v_pk_fma_f32 v[8:9], v[14:15], v[30:31], v[2:3] op_sel:[0,0,1] op_sel_hi:[1,1,0] neg_lo:[0,0,1] neg_hi:[0,0,1]
	v_pk_fma_f32 v[2:3], v[14:15], v[30:31], v[2:3] op_sel:[0,0,1] op_sel_hi:[1,0,0]
	v_mul_f32_e32 v49, v10, v54
	v_mul_f32_e32 v51, v12, v55
	;; [unrolled: 1-line block ×4, first 2 shown]
	v_mov_b32_e32 v54, v33
	v_fmac_f32_e32 v64, v7, v59
	v_fma_f32 v58, v6, v59, -v66
	v_add_f32_e32 v1, v1, v63
	v_add_f32_e32 v2, v52, v57
	v_pk_mul_f32 v[4:5], v[16:17], v[54:55] op_sel_hi:[1,0]
	v_add_f32_e32 v1, v1, v64
	v_add_f32_e32 v2, v2, v58
	v_mov_b32_e32 v56, v35
	v_fmac_f32_e32 v49, v11, v61
	v_fma_f32 v48, v10, v61, -v67
	s_waitcnt vmcnt(10)
	v_pk_fma_f32 v[10:11], v[16:17], v[32:33], v[4:5] op_sel:[0,0,1] op_sel_hi:[1,1,0] neg_lo:[0,0,1] neg_hi:[0,0,1]
	v_pk_fma_f32 v[4:5], v[16:17], v[32:33], v[4:5] op_sel:[0,0,1] op_sel_hi:[1,0,0]
	v_mov_b32_e32 v9, v3
	v_add_f32_e32 v3, v1, v65
	v_add_f32_e32 v2, v2, v53
	v_fmac_f32_e32 v51, v13, v62
	v_fma_f32 v50, v12, v62, -v55
	s_waitcnt lgkmcnt(2)
	v_pk_mul_f32 v[6:7], v[18:19], v[56:57] op_sel_hi:[1,0]
	v_pk_add_f32 v[2:3], v[2:3], v[48:49]
	s_waitcnt vmcnt(9)
	v_mov_b32_e32 v4, v39
	v_pk_fma_f32 v[12:13], v[18:19], v[34:35], v[6:7] op_sel:[0,0,1] op_sel_hi:[1,1,0] neg_lo:[0,0,1] neg_hi:[0,0,1]
	v_pk_fma_f32 v[6:7], v[18:19], v[34:35], v[6:7] op_sel:[0,0,1] op_sel_hi:[1,0,0]
	v_mov_b32_e32 v11, v5
	v_pk_add_f32 v[2:3], v[2:3], v[50:51]
	v_pk_mul_f32 v[4:5], v[20:21], v[4:5] op_sel_hi:[1,0]
	v_mov_b32_e32 v13, v7
	v_pk_add_f32 v[2:3], v[2:3], v[8:9]
	v_pk_fma_f32 v[6:7], v[20:21], v[38:39], v[4:5] op_sel:[0,0,1] op_sel_hi:[1,1,0] neg_lo:[0,0,1] neg_hi:[0,0,1]
	v_pk_fma_f32 v[4:5], v[20:21], v[38:39], v[4:5] op_sel:[0,0,1] op_sel_hi:[1,0,0]
	v_pk_add_f32 v[2:3], v[2:3], v[10:11]
	s_waitcnt vmcnt(8)
	v_mov_b32_e32 v4, v37
	v_pk_add_f32 v[2:3], v[2:3], v[12:13]
	v_mov_b32_e32 v7, v5
	s_waitcnt lgkmcnt(1)
	v_pk_mul_f32 v[4:5], v[22:23], v[4:5] op_sel_hi:[1,0]
	v_pk_add_f32 v[2:3], v[2:3], v[6:7]
	v_pk_fma_f32 v[6:7], v[22:23], v[36:37], v[4:5] op_sel:[0,0,1] op_sel_hi:[1,1,0] neg_lo:[0,0,1] neg_hi:[0,0,1]
	v_pk_fma_f32 v[4:5], v[22:23], v[36:37], v[4:5] op_sel:[0,0,1] op_sel_hi:[1,0,0]
	s_waitcnt vmcnt(7)
	v_mov_b32_e32 v4, v41
	v_mov_b32_e32 v7, v5
	v_pk_mul_f32 v[4:5], v[24:25], v[4:5] op_sel_hi:[1,0]
	v_pk_add_f32 v[2:3], v[2:3], v[6:7]
	s_waitcnt vmcnt(4)
	v_pk_fma_f32 v[6:7], v[24:25], v[40:41], v[4:5] op_sel:[0,0,1] op_sel_hi:[1,1,0] neg_lo:[0,0,1] neg_hi:[0,0,1]
	v_pk_fma_f32 v[4:5], v[24:25], v[40:41], v[4:5] op_sel:[0,0,1] op_sel_hi:[1,0,0]
	s_waitcnt vmcnt(3)
	v_mov_b32_e32 v4, v45
	v_mov_b32_e32 v7, v5
	s_waitcnt lgkmcnt(0)
	v_pk_mul_f32 v[4:5], v[26:27], v[4:5] op_sel_hi:[1,0]
	v_pk_add_f32 v[2:3], v[2:3], v[6:7]
	v_pk_fma_f32 v[6:7], v[26:27], v[44:45], v[4:5] op_sel:[0,0,1] op_sel_hi:[1,1,0] neg_lo:[0,0,1] neg_hi:[0,0,1]
	v_pk_fma_f32 v[4:5], v[26:27], v[44:45], v[4:5] op_sel:[0,0,1] op_sel_hi:[1,0,0]
	s_waitcnt vmcnt(0)
	v_mov_b32_e32 v4, v43
	v_mov_b32_e32 v7, v5
	v_pk_mul_f32 v[4:5], v[28:29], v[4:5] op_sel_hi:[1,0]
	v_pk_add_f32 v[2:3], v[2:3], v[6:7]
	v_pk_fma_f32 v[6:7], v[28:29], v[42:43], v[4:5] op_sel:[0,0,1] op_sel_hi:[1,1,0] neg_lo:[0,0,1] neg_hi:[0,0,1]
	v_pk_fma_f32 v[4:5], v[28:29], v[42:43], v[4:5] op_sel:[0,0,1] op_sel_hi:[1,0,0]
	v_mov_b32_e32 v7, v5
	v_pk_add_f32 v[2:3], v[2:3], v[6:7]
	v_pk_add_f32 v[2:3], v[46:47], v[2:3] neg_lo:[0,1] neg_hi:[0,1]
	buffer_store_dword v3, off, s[0:3], 0 offset:356
	buffer_store_dword v2, off, s[0:3], 0 offset:352
	s_and_saveexec_b64 s[4:5], vcc
	s_cbranch_execz .LBB122_281
; %bb.280:
	buffer_load_dword v2, off, s[0:3], 0 offset:344
	buffer_load_dword v3, off, s[0:3], 0 offset:348
	v_mov_b32_e32 v1, 0
	buffer_store_dword v1, off, s[0:3], 0 offset:344
	buffer_store_dword v1, off, s[0:3], 0 offset:348
	s_waitcnt vmcnt(2)
	ds_write_b64 v187, v[2:3]
.LBB122_281:
	s_or_b64 exec, exec, s[4:5]
	s_waitcnt lgkmcnt(0)
	; wave barrier
	s_waitcnt lgkmcnt(0)
	buffer_load_dword v50, off, s[0:3], 0 offset:356
	buffer_load_dword v52, off, s[0:3], 0 offset:364
	;; [unrolled: 1-line block ×32, first 2 shown]
	v_mov_b32_e32 v1, 0
	ds_read_b128 v[2:5], v1 offset:832
	ds_read_b128 v[6:9], v1 offset:848
	;; [unrolled: 1-line block ×7, first 2 shown]
	ds_read_b64 v[48:49], v1 offset:944
	v_cmp_lt_u32_e32 vcc, 42, v0
	s_waitcnt vmcnt(31) lgkmcnt(7)
	v_mul_f32_e32 v66, v2, v50
	s_waitcnt vmcnt(30)
	v_mul_f32_e32 v67, v4, v52
	s_waitcnt vmcnt(29) lgkmcnt(6)
	v_mul_f32_e32 v68, v6, v54
	s_waitcnt vmcnt(28)
	v_mul_f32_e32 v69, v8, v55
	v_mul_f32_e32 v50, v3, v50
	;; [unrolled: 1-line block ×4, first 2 shown]
	s_waitcnt vmcnt(24)
	v_mov_b32_e32 v54, v31
	s_waitcnt lgkmcnt(5)
	v_mul_f32_e32 v70, v10, v56
	v_mul_f32_e32 v52, v5, v52
	;; [unrolled: 1-line block ×3, first 2 shown]
	s_waitcnt vmcnt(22)
	v_fmac_f32_e32 v66, v3, v59
	s_waitcnt vmcnt(21)
	v_fmac_f32_e32 v67, v5, v60
	v_fma_f32 v5, v2, v59, -v50
	s_waitcnt lgkmcnt(4)
	v_pk_mul_f32 v[2:3], v[16:17], v[54:55] op_sel_hi:[1,0]
	s_waitcnt vmcnt(20)
	v_fmac_f32_e32 v68, v7, v61
	s_waitcnt vmcnt(19)
	v_fmac_f32_e32 v69, v9, v62
	;; [unrolled: 2-line block ×3, first 2 shown]
	v_fma_f32 v7, v4, v60, -v52
	v_fma_f32 v9, v10, v63, -v72
	v_add_f32_e32 v10, 0, v66
	v_add_f32_e32 v11, 0, v5
	s_waitcnt vmcnt(12)
	v_pk_fma_f32 v[4:5], v[16:17], v[30:31], v[2:3] op_sel:[0,0,1] op_sel_hi:[1,1,0] neg_lo:[0,0,1] neg_hi:[0,0,1]
	v_pk_fma_f32 v[2:3], v[16:17], v[30:31], v[2:3] op_sel:[0,0,1] op_sel_hi:[1,0,0]
	v_fma_f32 v6, v6, v61, -v71
	v_add_f32_e32 v2, v10, v67
	v_add_f32_e32 v7, v11, v7
	v_fma_f32 v8, v8, v62, -v55
	v_mov_b32_e32 v5, v3
	v_add_f32_e32 v2, v2, v68
	v_add_f32_e32 v3, v7, v6
	v_mul_f32_e32 v51, v12, v57
	v_mul_f32_e32 v57, v13, v57
	v_add_f32_e32 v2, v2, v69
	v_add_f32_e32 v6, v3, v8
	v_mul_f32_e32 v53, v14, v58
	v_mul_f32_e32 v58, v15, v58
	v_fmac_f32_e32 v51, v13, v64
	v_fma_f32 v50, v12, v64, -v57
	v_add_f32_e32 v3, v2, v70
	v_add_f32_e32 v2, v6, v9
	v_fmac_f32_e32 v53, v15, v65
	v_fma_f32 v52, v14, v65, -v58
	v_pk_add_f32 v[2:3], v[2:3], v[50:51]
	v_mov_b32_e32 v56, v33
	v_pk_add_f32 v[2:3], v[2:3], v[52:53]
	v_pk_add_f32 v[2:3], v[2:3], v[4:5]
	s_waitcnt lgkmcnt(3)
	v_pk_mul_f32 v[4:5], v[18:19], v[56:57] op_sel_hi:[1,0]
	v_pk_fma_f32 v[6:7], v[18:19], v[32:33], v[4:5] op_sel:[0,0,1] op_sel_hi:[1,1,0] neg_lo:[0,0,1] neg_hi:[0,0,1]
	v_pk_fma_f32 v[4:5], v[18:19], v[32:33], v[4:5] op_sel:[0,0,1] op_sel_hi:[1,0,0]
	s_waitcnt vmcnt(11)
	v_mov_b32_e32 v4, v37
	v_mov_b32_e32 v7, v5
	v_pk_mul_f32 v[4:5], v[20:21], v[4:5] op_sel_hi:[1,0]
	v_pk_add_f32 v[2:3], v[2:3], v[6:7]
	v_pk_fma_f32 v[6:7], v[20:21], v[36:37], v[4:5] op_sel:[0,0,1] op_sel_hi:[1,1,0] neg_lo:[0,0,1] neg_hi:[0,0,1]
	v_pk_fma_f32 v[4:5], v[20:21], v[36:37], v[4:5] op_sel:[0,0,1] op_sel_hi:[1,0,0]
	s_waitcnt vmcnt(10)
	v_mov_b32_e32 v4, v35
	v_mov_b32_e32 v7, v5
	s_waitcnt lgkmcnt(2)
	v_pk_mul_f32 v[4:5], v[22:23], v[4:5] op_sel_hi:[1,0]
	v_pk_add_f32 v[2:3], v[2:3], v[6:7]
	v_pk_fma_f32 v[6:7], v[22:23], v[34:35], v[4:5] op_sel:[0,0,1] op_sel_hi:[1,1,0] neg_lo:[0,0,1] neg_hi:[0,0,1]
	v_pk_fma_f32 v[4:5], v[22:23], v[34:35], v[4:5] op_sel:[0,0,1] op_sel_hi:[1,0,0]
	s_waitcnt vmcnt(9)
	v_mov_b32_e32 v4, v39
	v_mov_b32_e32 v7, v5
	v_pk_mul_f32 v[4:5], v[24:25], v[4:5] op_sel_hi:[1,0]
	v_pk_add_f32 v[2:3], v[2:3], v[6:7]
	s_waitcnt vmcnt(4)
	v_pk_fma_f32 v[6:7], v[24:25], v[38:39], v[4:5] op_sel:[0,0,1] op_sel_hi:[1,1,0] neg_lo:[0,0,1] neg_hi:[0,0,1]
	v_pk_fma_f32 v[4:5], v[24:25], v[38:39], v[4:5] op_sel:[0,0,1] op_sel_hi:[1,0,0]
	v_mov_b32_e32 v4, v45
	v_mov_b32_e32 v7, v5
	s_waitcnt lgkmcnt(1)
	v_pk_mul_f32 v[4:5], v[26:27], v[4:5] op_sel_hi:[1,0]
	v_pk_add_f32 v[2:3], v[2:3], v[6:7]
	v_pk_fma_f32 v[6:7], v[26:27], v[44:45], v[4:5] op_sel:[0,0,1] op_sel_hi:[1,1,0] neg_lo:[0,0,1] neg_hi:[0,0,1]
	v_pk_fma_f32 v[4:5], v[26:27], v[44:45], v[4:5] op_sel:[0,0,1] op_sel_hi:[1,0,0]
	s_waitcnt vmcnt(3)
	v_mov_b32_e32 v4, v43
	v_mov_b32_e32 v7, v5
	v_pk_mul_f32 v[4:5], v[28:29], v[4:5] op_sel_hi:[1,0]
	v_pk_add_f32 v[2:3], v[2:3], v[6:7]
	v_pk_fma_f32 v[6:7], v[28:29], v[42:43], v[4:5] op_sel:[0,0,1] op_sel_hi:[1,1,0] neg_lo:[0,0,1] neg_hi:[0,0,1]
	v_pk_fma_f32 v[4:5], v[28:29], v[42:43], v[4:5] op_sel:[0,0,1] op_sel_hi:[1,0,0]
	s_waitcnt vmcnt(0)
	v_mov_b32_e32 v4, v41
	v_mov_b32_e32 v7, v5
	s_waitcnt lgkmcnt(0)
	v_pk_mul_f32 v[4:5], v[48:49], v[4:5] op_sel_hi:[1,0]
	v_pk_add_f32 v[2:3], v[2:3], v[6:7]
	v_pk_fma_f32 v[6:7], v[48:49], v[40:41], v[4:5] op_sel:[0,0,1] op_sel_hi:[1,1,0] neg_lo:[0,0,1] neg_hi:[0,0,1]
	v_pk_fma_f32 v[4:5], v[48:49], v[40:41], v[4:5] op_sel:[0,0,1] op_sel_hi:[1,0,0]
	v_mov_b32_e32 v7, v5
	v_pk_add_f32 v[2:3], v[2:3], v[6:7]
	v_pk_add_f32 v[2:3], v[46:47], v[2:3] neg_lo:[0,1] neg_hi:[0,1]
	buffer_store_dword v3, off, s[0:3], 0 offset:348
	buffer_store_dword v2, off, s[0:3], 0 offset:344
	s_and_saveexec_b64 s[4:5], vcc
	s_cbranch_execz .LBB122_283
; %bb.282:
	buffer_load_dword v2, off, s[0:3], 0 offset:336
	buffer_load_dword v3, off, s[0:3], 0 offset:340
	s_waitcnt vmcnt(0)
	ds_write_b64 v187, v[2:3]
	buffer_store_dword v1, off, s[0:3], 0 offset:336
	buffer_store_dword v1, off, s[0:3], 0 offset:340
.LBB122_283:
	s_or_b64 exec, exec, s[4:5]
	s_waitcnt lgkmcnt(0)
	; wave barrier
	s_waitcnt lgkmcnt(0)
	buffer_load_dword v52, off, s[0:3], 0 offset:348
	buffer_load_dword v54, off, s[0:3], 0 offset:356
	buffer_load_dword v56, off, s[0:3], 0 offset:364
	buffer_load_dword v57, off, s[0:3], 0 offset:372
	buffer_load_dword v58, off, s[0:3], 0 offset:380
	buffer_load_dword v59, off, s[0:3], 0 offset:388
	buffer_load_dword v60, off, s[0:3], 0 offset:396
	buffer_load_dword v61, off, s[0:3], 0 offset:404
	buffer_load_dword v62, off, s[0:3], 0 offset:344
	buffer_load_dword v63, off, s[0:3], 0 offset:352
	buffer_load_dword v64, off, s[0:3], 0 offset:360
	buffer_load_dword v65, off, s[0:3], 0 offset:368
	buffer_load_dword v66, off, s[0:3], 0 offset:376
	buffer_load_dword v67, off, s[0:3], 0 offset:384
	buffer_load_dword v68, off, s[0:3], 0 offset:392
	buffer_load_dword v69, off, s[0:3], 0 offset:400
	buffer_load_dword v35, off, s[0:3], 0 offset:412
	buffer_load_dword v36, off, s[0:3], 0 offset:424
	buffer_load_dword v38, off, s[0:3], 0 offset:416
	buffer_load_dword v34, off, s[0:3], 0 offset:408
	buffer_load_dword v39, off, s[0:3], 0 offset:420
	buffer_load_dword v37, off, s[0:3], 0 offset:428
	buffer_load_dword v41, off, s[0:3], 0 offset:436
	buffer_load_dword v42, off, s[0:3], 0 offset:456
	buffer_load_dword v45, off, s[0:3], 0 offset:452
	buffer_load_dword v44, off, s[0:3], 0 offset:448
	buffer_load_dword v47, off, s[0:3], 0 offset:444
	buffer_load_dword v46, off, s[0:3], 0 offset:440
	buffer_load_dword v40, off, s[0:3], 0 offset:432
	buffer_load_dword v48, off, s[0:3], 0 offset:336
	buffer_load_dword v49, off, s[0:3], 0 offset:340
	buffer_load_dword v43, off, s[0:3], 0 offset:460
	ds_read2_b64 v[2:5], v1 offset0:103 offset1:104
	ds_read2_b64 v[6:9], v1 offset0:105 offset1:106
	;; [unrolled: 1-line block ×4, first 2 shown]
	buffer_load_dword v51, off, s[0:3], 0 offset:468
	buffer_load_dword v50, off, s[0:3], 0 offset:464
	ds_read2_b64 v[18:21], v1 offset0:111 offset1:112
	ds_read2_b64 v[22:25], v1 offset0:113 offset1:114
	ds_read2_b64 v[26:29], v1 offset0:115 offset1:116
	ds_read2_b64 v[30:33], v1 offset0:117 offset1:118
	v_cmp_lt_u32_e32 vcc, 41, v0
	s_waitcnt vmcnt(33) lgkmcnt(7)
	v_mul_f32_e32 v1, v2, v52
	v_mul_f32_e32 v52, v3, v52
	s_waitcnt vmcnt(32)
	v_mul_f32_e32 v70, v4, v54
	v_mul_f32_e32 v54, v5, v54
	s_waitcnt vmcnt(31) lgkmcnt(6)
	v_mul_f32_e32 v71, v6, v56
	v_mul_f32_e32 v56, v7, v56
	s_waitcnt vmcnt(30)
	v_mul_f32_e32 v72, v8, v57
	v_mul_f32_e32 v57, v9, v57
	s_waitcnt vmcnt(25)
	v_fmac_f32_e32 v1, v3, v62
	v_fma_f32 v2, v2, v62, -v52
	s_waitcnt vmcnt(24)
	v_fmac_f32_e32 v70, v5, v63
	v_fma_f32 v3, v4, v63, -v54
	v_add_f32_e32 v1, 0, v1
	v_add_f32_e32 v2, 0, v2
	s_waitcnt vmcnt(23)
	v_fmac_f32_e32 v71, v7, v64
	v_fma_f32 v4, v6, v64, -v56
	v_add_f32_e32 v1, v1, v70
	v_add_f32_e32 v2, v2, v3
	s_waitcnt lgkmcnt(5)
	v_mul_f32_e32 v73, v10, v58
	v_mul_f32_e32 v58, v11, v58
	s_waitcnt vmcnt(22)
	v_fmac_f32_e32 v72, v9, v65
	v_fma_f32 v5, v8, v65, -v57
	v_add_f32_e32 v1, v1, v71
	v_add_f32_e32 v2, v2, v4
	v_mul_f32_e32 v74, v12, v59
	v_mul_f32_e32 v59, v13, v59
	s_waitcnt vmcnt(21)
	v_fmac_f32_e32 v73, v11, v66
	v_fma_f32 v6, v10, v66, -v58
	v_add_f32_e32 v1, v1, v72
	v_add_f32_e32 v2, v2, v5
	s_waitcnt vmcnt(17)
	v_mov_b32_e32 v4, v35
	s_waitcnt lgkmcnt(4)
	v_mul_f32_e32 v53, v14, v60
	v_mul_f32_e32 v60, v15, v60
	v_fmac_f32_e32 v74, v13, v67
	v_fma_f32 v7, v12, v67, -v59
	v_add_f32_e32 v1, v1, v73
	v_add_f32_e32 v2, v2, v6
	s_waitcnt lgkmcnt(3)
	v_pk_mul_f32 v[4:5], v[18:19], v[4:5] op_sel_hi:[1,0]
	v_mul_f32_e32 v55, v16, v61
	v_mul_f32_e32 v61, v17, v61
	v_fmac_f32_e32 v53, v15, v68
	v_fma_f32 v52, v14, v68, -v60
	v_add_f32_e32 v3, v1, v74
	v_add_f32_e32 v2, v2, v7
	s_waitcnt vmcnt(14)
	v_pk_fma_f32 v[6:7], v[18:19], v[34:35], v[4:5] op_sel:[0,0,1] op_sel_hi:[1,1,0] neg_lo:[0,0,1] neg_hi:[0,0,1]
	v_pk_fma_f32 v[4:5], v[18:19], v[34:35], v[4:5] op_sel:[0,0,1] op_sel_hi:[1,0,0]
	v_fmac_f32_e32 v55, v17, v69
	v_fma_f32 v54, v16, v69, -v61
	v_pk_add_f32 v[2:3], v[2:3], v[52:53]
	s_waitcnt vmcnt(13)
	v_mov_b32_e32 v4, v39
	v_pk_add_f32 v[2:3], v[2:3], v[54:55]
	v_mov_b32_e32 v7, v5
	v_pk_mul_f32 v[4:5], v[20:21], v[4:5] op_sel_hi:[1,0]
	v_pk_add_f32 v[2:3], v[2:3], v[6:7]
	v_pk_fma_f32 v[6:7], v[20:21], v[38:39], v[4:5] op_sel:[0,0,1] op_sel_hi:[1,1,0] neg_lo:[0,0,1] neg_hi:[0,0,1]
	v_pk_fma_f32 v[4:5], v[20:21], v[38:39], v[4:5] op_sel:[0,0,1] op_sel_hi:[1,0,0]
	s_waitcnt vmcnt(12)
	v_mov_b32_e32 v4, v37
	v_mov_b32_e32 v7, v5
	s_waitcnt lgkmcnt(2)
	v_pk_mul_f32 v[4:5], v[22:23], v[4:5] op_sel_hi:[1,0]
	v_pk_add_f32 v[2:3], v[2:3], v[6:7]
	v_pk_fma_f32 v[6:7], v[22:23], v[36:37], v[4:5] op_sel:[0,0,1] op_sel_hi:[1,1,0] neg_lo:[0,0,1] neg_hi:[0,0,1]
	v_pk_fma_f32 v[4:5], v[22:23], v[36:37], v[4:5] op_sel:[0,0,1] op_sel_hi:[1,0,0]
	s_waitcnt vmcnt(11)
	v_mov_b32_e32 v4, v41
	v_mov_b32_e32 v7, v5
	v_pk_mul_f32 v[4:5], v[24:25], v[4:5] op_sel_hi:[1,0]
	v_pk_add_f32 v[2:3], v[2:3], v[6:7]
	s_waitcnt vmcnt(5)
	v_pk_fma_f32 v[6:7], v[24:25], v[40:41], v[4:5] op_sel:[0,0,1] op_sel_hi:[1,1,0] neg_lo:[0,0,1] neg_hi:[0,0,1]
	v_pk_fma_f32 v[4:5], v[24:25], v[40:41], v[4:5] op_sel:[0,0,1] op_sel_hi:[1,0,0]
	v_mov_b32_e32 v4, v47
	v_mov_b32_e32 v7, v5
	s_waitcnt lgkmcnt(1)
	v_pk_mul_f32 v[4:5], v[26:27], v[4:5] op_sel_hi:[1,0]
	v_pk_add_f32 v[2:3], v[2:3], v[6:7]
	v_pk_fma_f32 v[6:7], v[26:27], v[46:47], v[4:5] op_sel:[0,0,1] op_sel_hi:[1,1,0] neg_lo:[0,0,1] neg_hi:[0,0,1]
	v_pk_fma_f32 v[4:5], v[26:27], v[46:47], v[4:5] op_sel:[0,0,1] op_sel_hi:[1,0,0]
	v_mov_b32_e32 v4, v45
	v_mov_b32_e32 v7, v5
	v_pk_mul_f32 v[4:5], v[28:29], v[4:5] op_sel_hi:[1,0]
	v_pk_add_f32 v[2:3], v[2:3], v[6:7]
	v_pk_fma_f32 v[6:7], v[28:29], v[44:45], v[4:5] op_sel:[0,0,1] op_sel_hi:[1,1,0] neg_lo:[0,0,1] neg_hi:[0,0,1]
	v_pk_fma_f32 v[4:5], v[28:29], v[44:45], v[4:5] op_sel:[0,0,1] op_sel_hi:[1,0,0]
	s_waitcnt vmcnt(2)
	v_mov_b32_e32 v4, v43
	v_mov_b32_e32 v7, v5
	s_waitcnt lgkmcnt(0)
	v_pk_mul_f32 v[4:5], v[30:31], v[4:5] op_sel_hi:[1,0]
	v_pk_add_f32 v[2:3], v[2:3], v[6:7]
	v_pk_fma_f32 v[6:7], v[30:31], v[42:43], v[4:5] op_sel:[0,0,1] op_sel_hi:[1,1,0] neg_lo:[0,0,1] neg_hi:[0,0,1]
	v_pk_fma_f32 v[4:5], v[30:31], v[42:43], v[4:5] op_sel:[0,0,1] op_sel_hi:[1,0,0]
	s_waitcnt vmcnt(1)
	v_mov_b32_e32 v4, v51
	v_mov_b32_e32 v7, v5
	v_pk_mul_f32 v[4:5], v[32:33], v[4:5] op_sel_hi:[1,0]
	v_pk_add_f32 v[2:3], v[2:3], v[6:7]
	s_waitcnt vmcnt(0)
	v_pk_fma_f32 v[6:7], v[32:33], v[50:51], v[4:5] op_sel:[0,0,1] op_sel_hi:[1,1,0] neg_lo:[0,0,1] neg_hi:[0,0,1]
	v_pk_fma_f32 v[4:5], v[32:33], v[50:51], v[4:5] op_sel:[0,0,1] op_sel_hi:[1,0,0]
	v_mov_b32_e32 v7, v5
	v_pk_add_f32 v[2:3], v[2:3], v[6:7]
	v_pk_add_f32 v[2:3], v[48:49], v[2:3] neg_lo:[0,1] neg_hi:[0,1]
	buffer_store_dword v3, off, s[0:3], 0 offset:340
	buffer_store_dword v2, off, s[0:3], 0 offset:336
	s_and_saveexec_b64 s[4:5], vcc
	s_cbranch_execz .LBB122_285
; %bb.284:
	buffer_load_dword v2, off, s[0:3], 0 offset:328
	buffer_load_dword v3, off, s[0:3], 0 offset:332
	v_mov_b32_e32 v1, 0
	buffer_store_dword v1, off, s[0:3], 0 offset:328
	buffer_store_dword v1, off, s[0:3], 0 offset:332
	s_waitcnt vmcnt(2)
	ds_write_b64 v187, v[2:3]
.LBB122_285:
	s_or_b64 exec, exec, s[4:5]
	s_waitcnt lgkmcnt(0)
	; wave barrier
	s_waitcnt lgkmcnt(0)
	buffer_load_dword v44, off, s[0:3], 0 offset:340
	buffer_load_dword v46, off, s[0:3], 0 offset:348
	;; [unrolled: 1-line block ×36, first 2 shown]
	v_mov_b32_e32 v1, 0
	ds_read_b128 v[2:5], v1 offset:816
	ds_read_b128 v[6:9], v1 offset:832
	;; [unrolled: 1-line block ×6, first 2 shown]
	v_cmp_lt_u32_e32 vcc, 40, v0
	s_waitcnt vmcnt(35) lgkmcnt(5)
	v_mul_f32_e32 v64, v2, v44
	s_waitcnt vmcnt(34)
	v_mul_f32_e32 v65, v4, v46
	v_mul_f32_e32 v44, v3, v44
	s_waitcnt vmcnt(32) lgkmcnt(4)
	v_mul_f32_e32 v67, v8, v49
	v_mul_f32_e32 v49, v9, v49
	;; [unrolled: 1-line block ×5, first 2 shown]
	s_waitcnt vmcnt(31) lgkmcnt(3)
	v_mul_f32_e32 v68, v10, v50
	s_waitcnt vmcnt(26)
	v_fmac_f32_e32 v64, v3, v55
	s_waitcnt vmcnt(25)
	v_fmac_f32_e32 v65, v5, v56
	v_fma_f32 v2, v2, v55, -v44
	s_waitcnt vmcnt(23)
	v_fma_f32 v5, v8, v58, -v49
	v_add_f32_e32 v8, 0, v64
	v_fmac_f32_e32 v66, v7, v57
	v_fma_f32 v3, v4, v56, -v46
	v_add_f32_e32 v2, 0, v2
	v_add_f32_e32 v8, v8, v65
	v_fmac_f32_e32 v67, v9, v58
	v_fma_f32 v4, v6, v57, -v48
	v_add_f32_e32 v2, v2, v3
	v_add_f32_e32 v3, v8, v66
	v_mul_f32_e32 v69, v12, v51
	v_mul_f32_e32 v50, v11, v50
	s_waitcnt vmcnt(22)
	v_fmac_f32_e32 v68, v11, v59
	v_add_f32_e32 v2, v2, v4
	v_add_f32_e32 v3, v3, v67
	s_waitcnt lgkmcnt(2)
	v_mul_f32_e32 v70, v14, v52
	v_mul_f32_e32 v51, v13, v51
	s_waitcnt vmcnt(21)
	v_fmac_f32_e32 v69, v13, v60
	v_fma_f32 v6, v10, v59, -v50
	v_add_f32_e32 v2, v2, v5
	v_add_f32_e32 v3, v3, v68
	v_mul_f32_e32 v52, v15, v52
	s_waitcnt vmcnt(20)
	v_fmac_f32_e32 v70, v15, v61
	v_fma_f32 v7, v12, v60, -v51
	v_add_f32_e32 v2, v2, v6
	v_add_f32_e32 v3, v3, v69
	;; [unrolled: 1-line block ×4, first 2 shown]
	v_fma_f32 v3, v14, v61, -v52
	s_waitcnt vmcnt(17)
	v_mov_b32_e32 v14, v27
	v_mul_f32_e32 v45, v16, v53
	v_add_f32_e32 v10, v2, v3
	v_mul_f32_e32 v2, v17, v53
	s_waitcnt lgkmcnt(1)
	v_pk_mul_f32 v[14:15], v[20:21], v[14:15] op_sel_hi:[1,0]
	v_mul_f32_e32 v47, v18, v54
	v_fmac_f32_e32 v45, v17, v62
	v_fma_f32 v44, v16, v62, -v2
	v_mul_f32_e32 v2, v19, v54
	s_waitcnt vmcnt(15)
	v_pk_fma_f32 v[16:17], v[20:21], v[26:27], v[14:15] op_sel:[0,0,1] op_sel_hi:[1,1,0] neg_lo:[0,0,1] neg_hi:[0,0,1]
	v_pk_fma_f32 v[14:15], v[20:21], v[26:27], v[14:15] op_sel:[0,0,1] op_sel_hi:[1,0,0]
	v_fmac_f32_e32 v47, v19, v63
	v_fma_f32 v46, v18, v63, -v2
	v_pk_add_f32 v[10:11], v[10:11], v[44:45]
	s_waitcnt vmcnt(12)
	v_mov_b32_e32 v14, v29
	v_pk_add_f32 v[10:11], v[10:11], v[46:47]
	v_mov_b32_e32 v17, v15
	s_waitcnt lgkmcnt(0)
	v_pk_mul_f32 v[14:15], v[22:23], v[14:15] op_sel_hi:[1,0]
	v_pk_add_f32 v[10:11], v[10:11], v[16:17]
	v_pk_fma_f32 v[16:17], v[22:23], v[28:29], v[14:15] op_sel:[0,0,1] op_sel_hi:[1,1,0] neg_lo:[0,0,1] neg_hi:[0,0,1]
	v_pk_fma_f32 v[14:15], v[22:23], v[28:29], v[14:15] op_sel:[0,0,1] op_sel_hi:[1,0,0]
	s_waitcnt vmcnt(11)
	v_mov_b32_e32 v14, v33
	ds_read_b128 v[2:5], v1 offset:912
	ds_read_b128 v[6:9], v1 offset:928
	ds_read_b64 v[12:13], v1 offset:944
	v_mov_b32_e32 v17, v15
	v_pk_mul_f32 v[14:15], v[24:25], v[14:15] op_sel_hi:[1,0]
	v_pk_add_f32 v[10:11], v[10:11], v[16:17]
	s_waitcnt vmcnt(4)
	v_pk_fma_f32 v[16:17], v[24:25], v[32:33], v[14:15] op_sel:[0,0,1] op_sel_hi:[1,1,0] neg_lo:[0,0,1] neg_hi:[0,0,1]
	v_pk_fma_f32 v[14:15], v[24:25], v[32:33], v[14:15] op_sel:[0,0,1] op_sel_hi:[1,0,0]
	v_mov_b32_e32 v14, v39
	v_mov_b32_e32 v17, v15
	s_waitcnt lgkmcnt(2)
	v_pk_mul_f32 v[14:15], v[2:3], v[14:15] op_sel_hi:[1,0]
	v_pk_add_f32 v[10:11], v[10:11], v[16:17]
	v_pk_fma_f32 v[16:17], v[2:3], v[38:39], v[14:15] op_sel:[0,0,1] op_sel_hi:[1,1,0] neg_lo:[0,0,1] neg_hi:[0,0,1]
	v_pk_fma_f32 v[2:3], v[2:3], v[38:39], v[14:15] op_sel:[0,0,1] op_sel_hi:[1,0,0]
	v_mov_b32_e32 v17, v3
	v_pk_add_f32 v[2:3], v[10:11], v[16:17]
	v_mov_b32_e32 v10, v37
	v_pk_mul_f32 v[10:11], v[4:5], v[10:11] op_sel_hi:[1,0]
	v_pk_fma_f32 v[14:15], v[4:5], v[36:37], v[10:11] op_sel:[0,0,1] op_sel_hi:[1,1,0] neg_lo:[0,0,1] neg_hi:[0,0,1]
	v_pk_fma_f32 v[4:5], v[4:5], v[36:37], v[10:11] op_sel:[0,0,1] op_sel_hi:[1,0,0]
	v_mov_b32_e32 v4, v35
	v_mov_b32_e32 v15, v5
	s_waitcnt lgkmcnt(1)
	v_pk_mul_f32 v[4:5], v[6:7], v[4:5] op_sel_hi:[1,0]
	v_pk_fma_f32 v[10:11], v[6:7], v[34:35], v[4:5] op_sel:[0,0,1] op_sel_hi:[1,1,0] neg_lo:[0,0,1] neg_hi:[0,0,1]
	v_pk_fma_f32 v[4:5], v[6:7], v[34:35], v[4:5] op_sel:[0,0,1] op_sel_hi:[1,0,0]
	s_waitcnt vmcnt(1)
	v_mov_b32_e32 v4, v43
	v_mov_b32_e32 v11, v5
	v_pk_mul_f32 v[4:5], v[8:9], v[4:5] op_sel_hi:[1,0]
	s_waitcnt vmcnt(0)
	v_pk_fma_f32 v[6:7], v[8:9], v[42:43], v[4:5] op_sel:[0,0,1] op_sel_hi:[1,1,0] neg_lo:[0,0,1] neg_hi:[0,0,1]
	v_pk_fma_f32 v[4:5], v[8:9], v[42:43], v[4:5] op_sel:[0,0,1] op_sel_hi:[1,0,0]
	v_pk_add_f32 v[2:3], v[2:3], v[14:15]
	v_mov_b32_e32 v4, v41
	v_pk_add_f32 v[2:3], v[2:3], v[10:11]
	v_mov_b32_e32 v7, v5
	s_waitcnt lgkmcnt(0)
	v_pk_mul_f32 v[4:5], v[12:13], v[4:5] op_sel_hi:[1,0]
	v_pk_add_f32 v[2:3], v[2:3], v[6:7]
	v_pk_fma_f32 v[6:7], v[12:13], v[40:41], v[4:5] op_sel:[0,0,1] op_sel_hi:[1,1,0] neg_lo:[0,0,1] neg_hi:[0,0,1]
	v_pk_fma_f32 v[4:5], v[12:13], v[40:41], v[4:5] op_sel:[0,0,1] op_sel_hi:[1,0,0]
	v_mov_b32_e32 v7, v5
	v_pk_add_f32 v[2:3], v[2:3], v[6:7]
	v_pk_add_f32 v[2:3], v[30:31], v[2:3] neg_lo:[0,1] neg_hi:[0,1]
	buffer_store_dword v3, off, s[0:3], 0 offset:332
	buffer_store_dword v2, off, s[0:3], 0 offset:328
	s_and_saveexec_b64 s[4:5], vcc
	s_cbranch_execz .LBB122_287
; %bb.286:
	buffer_load_dword v2, off, s[0:3], 0 offset:320
	buffer_load_dword v3, off, s[0:3], 0 offset:324
	s_waitcnt vmcnt(0)
	ds_write_b64 v187, v[2:3]
	buffer_store_dword v1, off, s[0:3], 0 offset:320
	buffer_store_dword v1, off, s[0:3], 0 offset:324
.LBB122_287:
	s_or_b64 exec, exec, s[4:5]
	s_waitcnt lgkmcnt(0)
	; wave barrier
	s_waitcnt lgkmcnt(0)
	buffer_load_dword v44, off, s[0:3], 0 offset:332
	buffer_load_dword v46, off, s[0:3], 0 offset:340
	;; [unrolled: 1-line block ×22, first 2 shown]
	ds_read2_b64 v[2:5], v1 offset0:101 offset1:102
	ds_read2_b64 v[6:9], v1 offset0:103 offset1:104
	buffer_load_dword v29, off, s[0:3], 0 offset:412
	buffer_load_dword v28, off, s[0:3], 0 offset:408
	;; [unrolled: 1-line block ×10, first 2 shown]
	ds_read2_b64 v[10:13], v1 offset0:105 offset1:106
	ds_read2_b64 v[14:17], v1 offset0:107 offset1:108
	;; [unrolled: 1-line block ×4, first 2 shown]
	buffer_load_dword v39, off, s[0:3], 0 offset:468
	buffer_load_dword v38, off, s[0:3], 0 offset:464
	;; [unrolled: 1-line block ×6, first 2 shown]
	v_cmp_lt_u32_e32 vcc, 39, v0
	s_waitcnt vmcnt(37) lgkmcnt(5)
	v_mul_f32_e32 v66, v2, v44
	s_waitcnt vmcnt(36)
	v_mul_f32_e32 v67, v4, v46
	s_waitcnt vmcnt(35) lgkmcnt(4)
	v_mul_f32_e32 v68, v6, v48
	v_mul_f32_e32 v44, v3, v44
	;; [unrolled: 1-line block ×4, first 2 shown]
	s_waitcnt vmcnt(34)
	v_mul_f32_e32 v69, v8, v49
	s_waitcnt vmcnt(33) lgkmcnt(3)
	v_mul_f32_e32 v70, v10, v50
	s_waitcnt vmcnt(32)
	v_mul_f32_e32 v71, v12, v51
	s_waitcnt vmcnt(31) lgkmcnt(2)
	v_mul_f32_e32 v72, v14, v52
	s_waitcnt vmcnt(27)
	v_fmac_f32_e32 v66, v3, v56
	s_waitcnt vmcnt(26)
	v_fmac_f32_e32 v67, v5, v57
	;; [unrolled: 2-line block ×3, first 2 shown]
	v_fma_f32 v2, v2, v56, -v44
	v_add_f32_e32 v7, 0, v66
	v_fma_f32 v3, v4, v57, -v46
	v_add_f32_e32 v2, 0, v2
	v_add_f32_e32 v7, v7, v67
	s_waitcnt vmcnt(24)
	v_fmac_f32_e32 v69, v9, v59
	v_add_f32_e32 v2, v2, v3
	v_add_f32_e32 v3, v7, v68
	s_waitcnt vmcnt(23)
	v_fmac_f32_e32 v70, v11, v60
	v_add_f32_e32 v3, v3, v69
	v_mul_f32_e32 v49, v9, v49
	s_waitcnt vmcnt(22)
	v_fmac_f32_e32 v71, v13, v61
	v_fma_f32 v4, v6, v58, -v48
	v_add_f32_e32 v3, v3, v70
	v_mul_f32_e32 v73, v16, v53
	v_mul_f32_e32 v50, v11, v50
	s_waitcnt vmcnt(21)
	v_fmac_f32_e32 v72, v15, v62
	v_fma_f32 v5, v8, v59, -v49
	v_add_f32_e32 v2, v2, v4
	v_add_f32_e32 v3, v3, v71
	v_mul_f32_e32 v51, v13, v51
	s_waitcnt vmcnt(20)
	v_fmac_f32_e32 v73, v17, v63
	v_fma_f32 v6, v10, v60, -v50
	v_add_f32_e32 v2, v2, v5
	v_add_f32_e32 v3, v3, v72
	v_add_f32_e32 v2, v2, v6
	v_add_f32_e32 v49, v3, v73
	v_fma_f32 v3, v12, v61, -v51
	v_add_f32_e32 v2, v2, v3
	v_mul_f32_e32 v3, v15, v52
	v_fma_f32 v3, v14, v62, -v3
	v_add_f32_e32 v2, v2, v3
	v_mul_f32_e32 v3, v17, v53
	v_fma_f32 v3, v16, v63, -v3
	s_waitcnt vmcnt(15)
	v_mov_b32_e32 v16, v29
	s_waitcnt lgkmcnt(1)
	v_mul_f32_e32 v45, v18, v54
	v_add_f32_e32 v48, v2, v3
	v_mul_f32_e32 v2, v19, v54
	s_waitcnt lgkmcnt(0)
	v_pk_mul_f32 v[16:17], v[22:23], v[16:17] op_sel_hi:[1,0]
	v_mul_f32_e32 v47, v20, v55
	v_fmac_f32_e32 v45, v19, v64
	v_fma_f32 v44, v18, v64, -v2
	v_mul_f32_e32 v2, v21, v55
	s_waitcnt vmcnt(14)
	v_pk_fma_f32 v[18:19], v[22:23], v[28:29], v[16:17] op_sel:[0,0,1] op_sel_hi:[1,1,0] neg_lo:[0,0,1] neg_hi:[0,0,1]
	v_pk_fma_f32 v[16:17], v[22:23], v[28:29], v[16:17] op_sel:[0,0,1] op_sel_hi:[1,0,0]
	v_fmac_f32_e32 v47, v21, v65
	v_fma_f32 v46, v20, v65, -v2
	v_pk_add_f32 v[14:15], v[48:49], v[44:45]
	s_waitcnt vmcnt(13)
	v_mov_b32_e32 v16, v31
	ds_read2_b64 v[2:5], v1 offset0:113 offset1:114
	ds_read2_b64 v[6:9], v1 offset0:115 offset1:116
	;; [unrolled: 1-line block ×3, first 2 shown]
	v_pk_add_f32 v[14:15], v[14:15], v[46:47]
	v_mov_b32_e32 v19, v17
	v_pk_mul_f32 v[16:17], v[24:25], v[16:17] op_sel_hi:[1,0]
	v_pk_add_f32 v[14:15], v[14:15], v[18:19]
	s_waitcnt vmcnt(6)
	v_pk_fma_f32 v[18:19], v[24:25], v[30:31], v[16:17] op_sel:[0,0,1] op_sel_hi:[1,1,0] neg_lo:[0,0,1] neg_hi:[0,0,1]
	v_pk_fma_f32 v[16:17], v[24:25], v[30:31], v[16:17] op_sel:[0,0,1] op_sel_hi:[1,0,0]
	v_mov_b32_e32 v16, v37
	v_mov_b32_e32 v19, v17
	s_waitcnt lgkmcnt(2)
	v_pk_mul_f32 v[16:17], v[2:3], v[16:17] op_sel_hi:[1,0]
	v_pk_add_f32 v[14:15], v[14:15], v[18:19]
	v_pk_fma_f32 v[18:19], v[2:3], v[36:37], v[16:17] op_sel:[0,0,1] op_sel_hi:[1,1,0] neg_lo:[0,0,1] neg_hi:[0,0,1]
	v_pk_fma_f32 v[2:3], v[2:3], v[36:37], v[16:17] op_sel:[0,0,1] op_sel_hi:[1,0,0]
	v_mov_b32_e32 v19, v3
	v_pk_add_f32 v[2:3], v[14:15], v[18:19]
	v_mov_b32_e32 v14, v35
	v_pk_mul_f32 v[14:15], v[4:5], v[14:15] op_sel_hi:[1,0]
	v_pk_fma_f32 v[16:17], v[4:5], v[34:35], v[14:15] op_sel:[0,0,1] op_sel_hi:[1,1,0] neg_lo:[0,0,1] neg_hi:[0,0,1]
	v_pk_fma_f32 v[4:5], v[4:5], v[34:35], v[14:15] op_sel:[0,0,1] op_sel_hi:[1,0,0]
	v_mov_b32_e32 v4, v33
	v_mov_b32_e32 v17, v5
	s_waitcnt lgkmcnt(1)
	v_pk_mul_f32 v[4:5], v[6:7], v[4:5] op_sel_hi:[1,0]
	v_pk_fma_f32 v[14:15], v[6:7], v[32:33], v[4:5] op_sel:[0,0,1] op_sel_hi:[1,1,0] neg_lo:[0,0,1] neg_hi:[0,0,1]
	v_pk_fma_f32 v[4:5], v[6:7], v[32:33], v[4:5] op_sel:[0,0,1] op_sel_hi:[1,0,0]
	s_waitcnt vmcnt(1)
	v_mov_b32_e32 v4, v43
	v_mov_b32_e32 v15, v5
	v_pk_mul_f32 v[4:5], v[8:9], v[4:5] op_sel_hi:[1,0]
	s_waitcnt vmcnt(0)
	v_pk_fma_f32 v[6:7], v[8:9], v[42:43], v[4:5] op_sel:[0,0,1] op_sel_hi:[1,1,0] neg_lo:[0,0,1] neg_hi:[0,0,1]
	v_pk_fma_f32 v[4:5], v[8:9], v[42:43], v[4:5] op_sel:[0,0,1] op_sel_hi:[1,0,0]
	v_pk_add_f32 v[2:3], v[2:3], v[16:17]
	v_mov_b32_e32 v4, v41
	v_pk_add_f32 v[2:3], v[2:3], v[14:15]
	v_mov_b32_e32 v7, v5
	s_waitcnt lgkmcnt(0)
	v_pk_mul_f32 v[4:5], v[10:11], v[4:5] op_sel_hi:[1,0]
	v_pk_add_f32 v[2:3], v[2:3], v[6:7]
	v_pk_fma_f32 v[6:7], v[10:11], v[40:41], v[4:5] op_sel:[0,0,1] op_sel_hi:[1,1,0] neg_lo:[0,0,1] neg_hi:[0,0,1]
	v_pk_fma_f32 v[4:5], v[10:11], v[40:41], v[4:5] op_sel:[0,0,1] op_sel_hi:[1,0,0]
	v_mov_b32_e32 v4, v39
	v_mov_b32_e32 v7, v5
	v_pk_mul_f32 v[4:5], v[12:13], v[4:5] op_sel_hi:[1,0]
	v_pk_add_f32 v[2:3], v[2:3], v[6:7]
	v_pk_fma_f32 v[6:7], v[12:13], v[38:39], v[4:5] op_sel:[0,0,1] op_sel_hi:[1,1,0] neg_lo:[0,0,1] neg_hi:[0,0,1]
	v_pk_fma_f32 v[4:5], v[12:13], v[38:39], v[4:5] op_sel:[0,0,1] op_sel_hi:[1,0,0]
	v_mov_b32_e32 v7, v5
	v_pk_add_f32 v[2:3], v[2:3], v[6:7]
	v_pk_add_f32 v[2:3], v[26:27], v[2:3] neg_lo:[0,1] neg_hi:[0,1]
	buffer_store_dword v3, off, s[0:3], 0 offset:324
	buffer_store_dword v2, off, s[0:3], 0 offset:320
	s_and_saveexec_b64 s[4:5], vcc
	s_cbranch_execz .LBB122_289
; %bb.288:
	buffer_load_dword v2, off, s[0:3], 0 offset:312
	buffer_load_dword v3, off, s[0:3], 0 offset:316
	v_mov_b32_e32 v1, 0
	buffer_store_dword v1, off, s[0:3], 0 offset:312
	buffer_store_dword v1, off, s[0:3], 0 offset:316
	s_waitcnt vmcnt(2)
	ds_write_b64 v187, v[2:3]
.LBB122_289:
	s_or_b64 exec, exec, s[4:5]
	s_waitcnt lgkmcnt(0)
	; wave barrier
	s_waitcnt lgkmcnt(0)
	buffer_load_dword v44, off, s[0:3], 0 offset:324
	buffer_load_dword v46, off, s[0:3], 0 offset:332
	;; [unrolled: 1-line block ×40, first 2 shown]
	v_mov_b32_e32 v1, 0
	ds_read_b128 v[2:5], v1 offset:800
	ds_read_b128 v[6:9], v1 offset:816
	;; [unrolled: 1-line block ×6, first 2 shown]
	v_cmp_lt_u32_e32 vcc, 38, v0
	s_waitcnt vmcnt(39) lgkmcnt(5)
	v_mul_f32_e32 v68, v2, v44
	s_waitcnt vmcnt(38)
	v_mul_f32_e32 v69, v4, v46
	s_waitcnt vmcnt(37) lgkmcnt(4)
	v_mul_f32_e32 v70, v6, v48
	v_mul_f32_e32 v44, v3, v44
	;; [unrolled: 1-line block ×4, first 2 shown]
	s_waitcnt vmcnt(36)
	v_mul_f32_e32 v71, v8, v49
	s_waitcnt vmcnt(35) lgkmcnt(3)
	v_mul_f32_e32 v72, v10, v50
	s_waitcnt vmcnt(34)
	v_mul_f32_e32 v73, v12, v51
	s_waitcnt vmcnt(33) lgkmcnt(2)
	v_mul_f32_e32 v74, v14, v52
	s_waitcnt vmcnt(32)
	v_mul_f32_e32 v75, v16, v53
	s_waitcnt vmcnt(28)
	v_fmac_f32_e32 v68, v3, v57
	s_waitcnt vmcnt(27)
	v_fmac_f32_e32 v69, v5, v58
	v_fma_f32 v2, v2, v57, -v44
	v_fma_f32 v3, v4, v58, -v46
	s_waitcnt vmcnt(26)
	v_fma_f32 v4, v6, v59, -v48
	v_add_f32_e32 v6, 0, v68
	v_fmac_f32_e32 v70, v7, v59
	v_add_f32_e32 v2, 0, v2
	v_add_f32_e32 v6, v6, v69
	s_waitcnt vmcnt(25)
	v_fmac_f32_e32 v71, v9, v60
	v_add_f32_e32 v2, v2, v3
	v_add_f32_e32 v3, v6, v70
	s_waitcnt vmcnt(24)
	v_fmac_f32_e32 v72, v11, v61
	v_add_f32_e32 v3, v3, v71
	s_waitcnt vmcnt(23)
	v_fmac_f32_e32 v73, v13, v62
	;; [unrolled: 3-line block ×3, first 2 shown]
	v_add_f32_e32 v3, v3, v73
	s_waitcnt lgkmcnt(1)
	v_mul_f32_e32 v76, v18, v54
	s_waitcnt vmcnt(21)
	v_fmac_f32_e32 v75, v17, v64
	v_add_f32_e32 v3, v3, v74
	v_mul_f32_e32 v49, v9, v49
	s_waitcnt vmcnt(20)
	v_fmac_f32_e32 v76, v19, v65
	v_add_f32_e32 v3, v3, v75
	v_fma_f32 v5, v8, v60, -v49
	v_add_f32_e32 v2, v2, v4
	v_add_f32_e32 v49, v3, v76
	v_mul_f32_e32 v3, v11, v50
	v_add_f32_e32 v2, v2, v5
	v_fma_f32 v3, v10, v61, -v3
	v_add_f32_e32 v2, v2, v3
	v_mul_f32_e32 v3, v13, v51
	v_fma_f32 v3, v12, v62, -v3
	v_add_f32_e32 v2, v2, v3
	v_mul_f32_e32 v3, v15, v52
	;; [unrolled: 3-line block ×5, first 2 shown]
	s_waitcnt vmcnt(9)
	v_mov_b32_e32 v18, v35
	v_mul_f32_e32 v45, v20, v55
	v_fma_f32 v44, v20, v66, -v2
	s_waitcnt lgkmcnt(0)
	v_mul_f32_e32 v2, v23, v56
	v_pk_mul_f32 v[18:19], v[24:25], v[18:19] op_sel_hi:[1,0]
	v_mul_f32_e32 v47, v22, v56
	v_fmac_f32_e32 v45, v21, v66
	v_fma_f32 v46, v22, v67, -v2
	ds_read_b128 v[2:5], v1 offset:896
	ds_read_b128 v[6:9], v1 offset:912
	;; [unrolled: 1-line block ×3, first 2 shown]
	ds_read_b64 v[14:15], v1 offset:944
	s_waitcnt vmcnt(8)
	v_pk_fma_f32 v[20:21], v[24:25], v[34:35], v[18:19] op_sel:[0,0,1] op_sel_hi:[1,1,0] neg_lo:[0,0,1] neg_hi:[0,0,1]
	v_pk_fma_f32 v[18:19], v[24:25], v[34:35], v[18:19] op_sel:[0,0,1] op_sel_hi:[1,0,0]
	v_fmac_f32_e32 v47, v23, v67
	v_pk_add_f32 v[16:17], v[48:49], v[44:45]
	v_mov_b32_e32 v18, v33
	v_pk_add_f32 v[16:17], v[16:17], v[46:47]
	v_mov_b32_e32 v21, v19
	s_waitcnt lgkmcnt(3)
	v_pk_mul_f32 v[18:19], v[2:3], v[18:19] op_sel_hi:[1,0]
	v_pk_add_f32 v[16:17], v[16:17], v[20:21]
	v_pk_fma_f32 v[20:21], v[2:3], v[32:33], v[18:19] op_sel:[0,0,1] op_sel_hi:[1,1,0] neg_lo:[0,0,1] neg_hi:[0,0,1]
	v_pk_fma_f32 v[2:3], v[2:3], v[32:33], v[18:19] op_sel:[0,0,1] op_sel_hi:[1,0,0]
	v_mov_b32_e32 v21, v3
	v_pk_add_f32 v[2:3], v[16:17], v[20:21]
	v_mov_b32_e32 v16, v31
	v_pk_mul_f32 v[16:17], v[4:5], v[16:17] op_sel_hi:[1,0]
	v_pk_fma_f32 v[18:19], v[4:5], v[30:31], v[16:17] op_sel:[0,0,1] op_sel_hi:[1,1,0] neg_lo:[0,0,1] neg_hi:[0,0,1]
	v_pk_fma_f32 v[4:5], v[4:5], v[30:31], v[16:17] op_sel:[0,0,1] op_sel_hi:[1,0,0]
	v_mov_b32_e32 v4, v29
	v_mov_b32_e32 v19, v5
	s_waitcnt lgkmcnt(2)
	v_pk_mul_f32 v[4:5], v[6:7], v[4:5] op_sel_hi:[1,0]
	v_pk_fma_f32 v[16:17], v[6:7], v[28:29], v[4:5] op_sel:[0,0,1] op_sel_hi:[1,1,0] neg_lo:[0,0,1] neg_hi:[0,0,1]
	v_pk_fma_f32 v[4:5], v[6:7], v[28:29], v[4:5] op_sel:[0,0,1] op_sel_hi:[1,0,0]
	s_waitcnt vmcnt(1)
	v_mov_b32_e32 v4, v43
	v_mov_b32_e32 v17, v5
	v_pk_mul_f32 v[4:5], v[8:9], v[4:5] op_sel_hi:[1,0]
	s_waitcnt vmcnt(0)
	v_pk_fma_f32 v[6:7], v[8:9], v[42:43], v[4:5] op_sel:[0,0,1] op_sel_hi:[1,1,0] neg_lo:[0,0,1] neg_hi:[0,0,1]
	v_pk_fma_f32 v[4:5], v[8:9], v[42:43], v[4:5] op_sel:[0,0,1] op_sel_hi:[1,0,0]
	v_pk_add_f32 v[2:3], v[2:3], v[18:19]
	v_mov_b32_e32 v4, v41
	v_pk_add_f32 v[2:3], v[2:3], v[16:17]
	v_mov_b32_e32 v7, v5
	s_waitcnt lgkmcnt(1)
	v_pk_mul_f32 v[4:5], v[10:11], v[4:5] op_sel_hi:[1,0]
	v_pk_add_f32 v[2:3], v[2:3], v[6:7]
	v_pk_fma_f32 v[6:7], v[10:11], v[40:41], v[4:5] op_sel:[0,0,1] op_sel_hi:[1,1,0] neg_lo:[0,0,1] neg_hi:[0,0,1]
	v_pk_fma_f32 v[4:5], v[10:11], v[40:41], v[4:5] op_sel:[0,0,1] op_sel_hi:[1,0,0]
	v_mov_b32_e32 v4, v39
	v_mov_b32_e32 v7, v5
	v_pk_mul_f32 v[4:5], v[12:13], v[4:5] op_sel_hi:[1,0]
	v_pk_add_f32 v[2:3], v[2:3], v[6:7]
	v_pk_fma_f32 v[6:7], v[12:13], v[38:39], v[4:5] op_sel:[0,0,1] op_sel_hi:[1,1,0] neg_lo:[0,0,1] neg_hi:[0,0,1]
	v_pk_fma_f32 v[4:5], v[12:13], v[38:39], v[4:5] op_sel:[0,0,1] op_sel_hi:[1,0,0]
	v_mov_b32_e32 v4, v37
	v_mov_b32_e32 v7, v5
	s_waitcnt lgkmcnt(0)
	v_pk_mul_f32 v[4:5], v[14:15], v[4:5] op_sel_hi:[1,0]
	v_pk_add_f32 v[2:3], v[2:3], v[6:7]
	v_pk_fma_f32 v[6:7], v[14:15], v[36:37], v[4:5] op_sel:[0,0,1] op_sel_hi:[1,1,0] neg_lo:[0,0,1] neg_hi:[0,0,1]
	v_pk_fma_f32 v[4:5], v[14:15], v[36:37], v[4:5] op_sel:[0,0,1] op_sel_hi:[1,0,0]
	v_mov_b32_e32 v7, v5
	v_pk_add_f32 v[2:3], v[2:3], v[6:7]
	v_pk_add_f32 v[2:3], v[26:27], v[2:3] neg_lo:[0,1] neg_hi:[0,1]
	buffer_store_dword v3, off, s[0:3], 0 offset:316
	buffer_store_dword v2, off, s[0:3], 0 offset:312
	s_and_saveexec_b64 s[4:5], vcc
	s_cbranch_execz .LBB122_291
; %bb.290:
	buffer_load_dword v2, off, s[0:3], 0 offset:304
	buffer_load_dword v3, off, s[0:3], 0 offset:308
	s_waitcnt vmcnt(0)
	ds_write_b64 v187, v[2:3]
	buffer_store_dword v1, off, s[0:3], 0 offset:304
	buffer_store_dword v1, off, s[0:3], 0 offset:308
.LBB122_291:
	s_or_b64 exec, exec, s[4:5]
	s_waitcnt lgkmcnt(0)
	; wave barrier
	s_waitcnt lgkmcnt(0)
	buffer_load_dword v44, off, s[0:3], 0 offset:316
	buffer_load_dword v46, off, s[0:3], 0 offset:324
	;; [unrolled: 1-line block ×26, first 2 shown]
	ds_read2_b64 v[2:5], v1 offset0:99 offset1:100
	ds_read2_b64 v[6:9], v1 offset0:101 offset1:102
	ds_read2_b64 v[10:13], v1 offset0:103 offset1:104
	ds_read2_b64 v[14:17], v1 offset0:105 offset1:106
	ds_read2_b64 v[18:21], v1 offset0:107 offset1:108
	ds_read2_b64 v[22:25], v1 offset0:109 offset1:110
	buffer_load_dword v29, off, s[0:3], 0 offset:428
	buffer_load_dword v28, off, s[0:3], 0 offset:424
	;; [unrolled: 1-line block ×16, first 2 shown]
	v_cmp_lt_u32_e32 vcc, 37, v0
	s_waitcnt vmcnt(41) lgkmcnt(5)
	v_mul_f32_e32 v70, v2, v44
	s_waitcnt vmcnt(40)
	v_mul_f32_e32 v71, v4, v46
	v_mul_f32_e32 v44, v3, v44
	s_waitcnt vmcnt(39) lgkmcnt(4)
	v_mul_f32_e32 v72, v6, v48
	v_mul_f32_e32 v46, v5, v46
	s_waitcnt vmcnt(38)
	v_mul_f32_e32 v73, v8, v50
	s_waitcnt vmcnt(37) lgkmcnt(3)
	v_mul_f32_e32 v74, v10, v51
	s_waitcnt vmcnt(36)
	v_mul_f32_e32 v75, v12, v52
	s_waitcnt vmcnt(35) lgkmcnt(2)
	;; [unrolled: 4-line block ×3, first 2 shown]
	v_mul_f32_e32 v78, v18, v55
	s_waitcnt vmcnt(32)
	v_mul_f32_e32 v79, v20, v56
	s_waitcnt vmcnt(29)
	v_fmac_f32_e32 v70, v3, v49
	s_waitcnt vmcnt(28)
	v_fmac_f32_e32 v71, v5, v59
	v_fma_f32 v2, v2, v49, -v44
	v_add_f32_e32 v5, 0, v70
	s_waitcnt vmcnt(27)
	v_fmac_f32_e32 v72, v7, v60
	v_fma_f32 v3, v4, v59, -v46
	v_add_f32_e32 v2, 0, v2
	v_add_f32_e32 v5, v5, v71
	s_waitcnt vmcnt(26)
	v_fmac_f32_e32 v73, v9, v61
	v_add_f32_e32 v2, v2, v3
	v_add_f32_e32 v3, v5, v72
	s_waitcnt vmcnt(25)
	v_fmac_f32_e32 v74, v11, v62
	v_add_f32_e32 v3, v3, v73
	s_waitcnt vmcnt(24)
	v_fmac_f32_e32 v75, v13, v63
	;; [unrolled: 3-line block ×5, first 2 shown]
	v_add_f32_e32 v3, v3, v77
	v_mul_f32_e32 v48, v7, v48
	s_waitcnt vmcnt(20)
	v_fmac_f32_e32 v79, v21, v67
	v_add_f32_e32 v3, v3, v78
	v_fma_f32 v4, v6, v60, -v48
	v_add_f32_e32 v49, v3, v79
	v_mul_f32_e32 v3, v9, v50
	v_add_f32_e32 v2, v2, v4
	v_fma_f32 v3, v8, v61, -v3
	v_add_f32_e32 v2, v2, v3
	v_mul_f32_e32 v3, v11, v51
	v_fma_f32 v3, v10, v62, -v3
	v_add_f32_e32 v2, v2, v3
	v_mul_f32_e32 v3, v13, v52
	;; [unrolled: 3-line block ×6, first 2 shown]
	v_fma_f32 v3, v20, v67, -v3
	v_add_f32_e32 v48, v2, v3
	s_waitcnt lgkmcnt(0)
	v_mul_f32_e32 v2, v23, v57
	s_waitcnt vmcnt(19)
	v_fma_f32 v44, v22, v68, -v2
	v_mul_f32_e32 v2, v25, v58
	s_waitcnt vmcnt(18)
	v_fma_f32 v46, v24, v69, -v2
	ds_read2_b64 v[2:5], v1 offset0:111 offset1:112
	ds_read2_b64 v[6:9], v1 offset0:113 offset1:114
	;; [unrolled: 1-line block ×4, first 2 shown]
	v_mul_f32_e32 v45, v22, v57
	s_waitcnt vmcnt(11)
	v_mov_b32_e32 v20, v33
	v_mul_f32_e32 v47, v24, v58
	v_fmac_f32_e32 v45, v23, v68
	s_waitcnt lgkmcnt(3)
	v_pk_mul_f32 v[20:21], v[2:3], v[20:21] op_sel_hi:[1,0]
	v_fmac_f32_e32 v47, v25, v69
	v_pk_add_f32 v[18:19], v[48:49], v[44:45]
	s_waitcnt vmcnt(10)
	v_pk_fma_f32 v[22:23], v[2:3], v[32:33], v[20:21] op_sel:[0,0,1] op_sel_hi:[1,1,0] neg_lo:[0,0,1] neg_hi:[0,0,1]
	v_pk_fma_f32 v[2:3], v[2:3], v[32:33], v[20:21] op_sel:[0,0,1] op_sel_hi:[1,0,0]
	v_pk_add_f32 v[18:19], v[18:19], v[46:47]
	v_mov_b32_e32 v23, v3
	v_pk_add_f32 v[2:3], v[18:19], v[22:23]
	v_mov_b32_e32 v18, v31
	v_pk_mul_f32 v[18:19], v[4:5], v[18:19] op_sel_hi:[1,0]
	v_pk_fma_f32 v[20:21], v[4:5], v[30:31], v[18:19] op_sel:[0,0,1] op_sel_hi:[1,1,0] neg_lo:[0,0,1] neg_hi:[0,0,1]
	v_pk_fma_f32 v[4:5], v[4:5], v[30:31], v[18:19] op_sel:[0,0,1] op_sel_hi:[1,0,0]
	v_mov_b32_e32 v4, v29
	v_mov_b32_e32 v21, v5
	s_waitcnt lgkmcnt(2)
	v_pk_mul_f32 v[4:5], v[6:7], v[4:5] op_sel_hi:[1,0]
	v_pk_fma_f32 v[18:19], v[6:7], v[28:29], v[4:5] op_sel:[0,0,1] op_sel_hi:[1,1,0] neg_lo:[0,0,1] neg_hi:[0,0,1]
	v_pk_fma_f32 v[4:5], v[6:7], v[28:29], v[4:5] op_sel:[0,0,1] op_sel_hi:[1,0,0]
	s_waitcnt vmcnt(3)
	v_mov_b32_e32 v4, v41
	v_mov_b32_e32 v19, v5
	v_pk_mul_f32 v[4:5], v[8:9], v[4:5] op_sel_hi:[1,0]
	s_waitcnt vmcnt(2)
	v_pk_fma_f32 v[6:7], v[8:9], v[40:41], v[4:5] op_sel:[0,0,1] op_sel_hi:[1,1,0] neg_lo:[0,0,1] neg_hi:[0,0,1]
	v_pk_fma_f32 v[4:5], v[8:9], v[40:41], v[4:5] op_sel:[0,0,1] op_sel_hi:[1,0,0]
	v_pk_add_f32 v[2:3], v[2:3], v[20:21]
	v_mov_b32_e32 v4, v39
	v_pk_add_f32 v[2:3], v[2:3], v[18:19]
	v_mov_b32_e32 v7, v5
	s_waitcnt lgkmcnt(1)
	v_pk_mul_f32 v[4:5], v[10:11], v[4:5] op_sel_hi:[1,0]
	v_pk_add_f32 v[2:3], v[2:3], v[6:7]
	v_pk_fma_f32 v[6:7], v[10:11], v[38:39], v[4:5] op_sel:[0,0,1] op_sel_hi:[1,1,0] neg_lo:[0,0,1] neg_hi:[0,0,1]
	v_pk_fma_f32 v[4:5], v[10:11], v[38:39], v[4:5] op_sel:[0,0,1] op_sel_hi:[1,0,0]
	v_mov_b32_e32 v4, v37
	v_mov_b32_e32 v7, v5
	v_pk_mul_f32 v[4:5], v[12:13], v[4:5] op_sel_hi:[1,0]
	v_pk_add_f32 v[2:3], v[2:3], v[6:7]
	v_pk_fma_f32 v[6:7], v[12:13], v[36:37], v[4:5] op_sel:[0,0,1] op_sel_hi:[1,1,0] neg_lo:[0,0,1] neg_hi:[0,0,1]
	v_pk_fma_f32 v[4:5], v[12:13], v[36:37], v[4:5] op_sel:[0,0,1] op_sel_hi:[1,0,0]
	v_mov_b32_e32 v4, v35
	v_mov_b32_e32 v7, v5
	s_waitcnt lgkmcnt(0)
	v_pk_mul_f32 v[4:5], v[14:15], v[4:5] op_sel_hi:[1,0]
	v_pk_add_f32 v[2:3], v[2:3], v[6:7]
	v_pk_fma_f32 v[6:7], v[14:15], v[34:35], v[4:5] op_sel:[0,0,1] op_sel_hi:[1,1,0] neg_lo:[0,0,1] neg_hi:[0,0,1]
	v_pk_fma_f32 v[4:5], v[14:15], v[34:35], v[4:5] op_sel:[0,0,1] op_sel_hi:[1,0,0]
	s_waitcnt vmcnt(1)
	v_mov_b32_e32 v4, v43
	v_mov_b32_e32 v7, v5
	v_pk_mul_f32 v[4:5], v[16:17], v[4:5] op_sel_hi:[1,0]
	v_pk_add_f32 v[2:3], v[2:3], v[6:7]
	s_waitcnt vmcnt(0)
	v_pk_fma_f32 v[6:7], v[16:17], v[42:43], v[4:5] op_sel:[0,0,1] op_sel_hi:[1,1,0] neg_lo:[0,0,1] neg_hi:[0,0,1]
	v_pk_fma_f32 v[4:5], v[16:17], v[42:43], v[4:5] op_sel:[0,0,1] op_sel_hi:[1,0,0]
	v_mov_b32_e32 v7, v5
	v_pk_add_f32 v[2:3], v[2:3], v[6:7]
	v_pk_add_f32 v[2:3], v[26:27], v[2:3] neg_lo:[0,1] neg_hi:[0,1]
	buffer_store_dword v3, off, s[0:3], 0 offset:308
	buffer_store_dword v2, off, s[0:3], 0 offset:304
	s_and_saveexec_b64 s[4:5], vcc
	s_cbranch_execz .LBB122_293
; %bb.292:
	buffer_load_dword v2, off, s[0:3], 0 offset:296
	buffer_load_dword v3, off, s[0:3], 0 offset:300
	v_mov_b32_e32 v1, 0
	buffer_store_dword v1, off, s[0:3], 0 offset:296
	buffer_store_dword v1, off, s[0:3], 0 offset:300
	s_waitcnt vmcnt(2)
	ds_write_b64 v187, v[2:3]
.LBB122_293:
	s_or_b64 exec, exec, s[4:5]
	s_waitcnt lgkmcnt(0)
	; wave barrier
	s_waitcnt lgkmcnt(0)
	buffer_load_dword v52, off, s[0:3], 0 offset:308
	buffer_load_dword v54, off, s[0:3], 0 offset:316
	;; [unrolled: 1-line block ×44, first 2 shown]
	v_mov_b32_e32 v1, 0
	ds_read_b128 v[2:5], v1 offset:784
	ds_read_b128 v[6:9], v1 offset:800
	;; [unrolled: 1-line block ×8, first 2 shown]
	v_cmp_lt_u32_e32 vcc, 36, v0
	s_waitcnt vmcnt(43) lgkmcnt(7)
	v_mul_f32_e32 v57, v2, v52
	s_waitcnt vmcnt(42)
	v_mul_f32_e32 v81, v4, v54
	s_waitcnt vmcnt(41) lgkmcnt(6)
	v_mul_f32_e32 v82, v6, v56
	v_mul_f32_e32 v52, v3, v52
	s_waitcnt vmcnt(40)
	v_mul_f32_e32 v83, v8, v58
	s_waitcnt vmcnt(39) lgkmcnt(5)
	v_mul_f32_e32 v84, v10, v59
	s_waitcnt vmcnt(38)
	v_mul_f32_e32 v85, v12, v60
	s_waitcnt vmcnt(37) lgkmcnt(4)
	;; [unrolled: 4-line block ×4, first 2 shown]
	v_mul_f32_e32 v90, v22, v65
	s_waitcnt vmcnt(32)
	v_mul_f32_e32 v53, v24, v66
	s_waitcnt vmcnt(30)
	v_fmac_f32_e32 v57, v3, v68
	s_waitcnt vmcnt(29)
	v_fmac_f32_e32 v81, v5, v69
	v_add_f32_e32 v3, 0, v57
	s_waitcnt vmcnt(28)
	v_fmac_f32_e32 v82, v7, v70
	v_add_f32_e32 v3, v3, v81
	;; [unrolled: 3-line block ×10, first 2 shown]
	v_add_f32_e32 v57, v3, v90
	v_fma_f32 v2, v2, v68, -v52
	v_mul_f32_e32 v3, v5, v54
	v_add_f32_e32 v2, 0, v2
	v_fma_f32 v3, v4, v69, -v3
	v_add_f32_e32 v2, v2, v3
	v_mul_f32_e32 v3, v7, v56
	v_fma_f32 v3, v6, v70, -v3
	v_add_f32_e32 v2, v2, v3
	v_mul_f32_e32 v3, v9, v58
	;; [unrolled: 3-line block ×9, first 2 shown]
	v_fma_f32 v3, v22, v78, -v3
	s_waitcnt vmcnt(13)
	v_mov_b32_e32 v14, v39
	v_add_f32_e32 v56, v2, v3
	v_mul_f32_e32 v2, v25, v66
	s_waitcnt lgkmcnt(1)
	v_pk_mul_f32 v[14:15], v[28:29], v[14:15] op_sel_hi:[1,0]
	v_mul_f32_e32 v55, v26, v67
	v_fmac_f32_e32 v53, v25, v79
	v_fma_f32 v52, v24, v79, -v2
	v_mul_f32_e32 v2, v27, v67
	s_waitcnt vmcnt(12)
	v_pk_fma_f32 v[16:17], v[28:29], v[38:39], v[14:15] op_sel:[0,0,1] op_sel_hi:[1,1,0] neg_lo:[0,0,1] neg_hi:[0,0,1]
	v_pk_fma_f32 v[14:15], v[28:29], v[38:39], v[14:15] op_sel:[0,0,1] op_sel_hi:[1,0,0]
	v_fmac_f32_e32 v55, v27, v80
	v_fma_f32 v54, v26, v80, -v2
	v_pk_add_f32 v[12:13], v[56:57], v[52:53]
	v_mov_b32_e32 v14, v37
	v_pk_add_f32 v[12:13], v[12:13], v[54:55]
	v_mov_b32_e32 v17, v15
	s_waitcnt lgkmcnt(0)
	v_pk_mul_f32 v[14:15], v[30:31], v[14:15] op_sel_hi:[1,0]
	v_pk_add_f32 v[12:13], v[12:13], v[16:17]
	v_pk_fma_f32 v[16:17], v[30:31], v[36:37], v[14:15] op_sel:[0,0,1] op_sel_hi:[1,1,0] neg_lo:[0,0,1] neg_hi:[0,0,1]
	v_pk_fma_f32 v[14:15], v[30:31], v[36:37], v[14:15] op_sel:[0,0,1] op_sel_hi:[1,0,0]
	s_waitcnt vmcnt(5)
	v_mov_b32_e32 v14, v47
	ds_read_b128 v[2:5], v1 offset:912
	ds_read_b128 v[6:9], v1 offset:928
	ds_read_b64 v[10:11], v1 offset:944
	v_mov_b32_e32 v17, v15
	v_pk_mul_f32 v[14:15], v[32:33], v[14:15] op_sel_hi:[1,0]
	v_pk_add_f32 v[12:13], v[12:13], v[16:17]
	s_waitcnt vmcnt(4)
	v_pk_fma_f32 v[16:17], v[32:33], v[46:47], v[14:15] op_sel:[0,0,1] op_sel_hi:[1,1,0] neg_lo:[0,0,1] neg_hi:[0,0,1]
	v_pk_fma_f32 v[14:15], v[32:33], v[46:47], v[14:15] op_sel:[0,0,1] op_sel_hi:[1,0,0]
	v_mov_b32_e32 v14, v45
	v_mov_b32_e32 v17, v15
	s_waitcnt lgkmcnt(2)
	v_pk_mul_f32 v[14:15], v[2:3], v[14:15] op_sel_hi:[1,0]
	v_pk_add_f32 v[12:13], v[12:13], v[16:17]
	v_pk_fma_f32 v[16:17], v[2:3], v[44:45], v[14:15] op_sel:[0,0,1] op_sel_hi:[1,1,0] neg_lo:[0,0,1] neg_hi:[0,0,1]
	v_pk_fma_f32 v[2:3], v[2:3], v[44:45], v[14:15] op_sel:[0,0,1] op_sel_hi:[1,0,0]
	v_mov_b32_e32 v17, v3
	v_pk_add_f32 v[2:3], v[12:13], v[16:17]
	v_mov_b32_e32 v12, v43
	v_pk_mul_f32 v[12:13], v[4:5], v[12:13] op_sel_hi:[1,0]
	v_pk_fma_f32 v[14:15], v[4:5], v[42:43], v[12:13] op_sel:[0,0,1] op_sel_hi:[1,1,0] neg_lo:[0,0,1] neg_hi:[0,0,1]
	v_pk_fma_f32 v[4:5], v[4:5], v[42:43], v[12:13] op_sel:[0,0,1] op_sel_hi:[1,0,0]
	v_mov_b32_e32 v4, v41
	v_mov_b32_e32 v15, v5
	s_waitcnt lgkmcnt(1)
	v_pk_mul_f32 v[4:5], v[6:7], v[4:5] op_sel_hi:[1,0]
	v_pk_fma_f32 v[12:13], v[6:7], v[40:41], v[4:5] op_sel:[0,0,1] op_sel_hi:[1,1,0] neg_lo:[0,0,1] neg_hi:[0,0,1]
	v_pk_fma_f32 v[4:5], v[6:7], v[40:41], v[4:5] op_sel:[0,0,1] op_sel_hi:[1,0,0]
	s_waitcnt vmcnt(1)
	v_mov_b32_e32 v4, v51
	v_mov_b32_e32 v13, v5
	v_pk_mul_f32 v[4:5], v[8:9], v[4:5] op_sel_hi:[1,0]
	s_waitcnt vmcnt(0)
	v_pk_fma_f32 v[6:7], v[8:9], v[50:51], v[4:5] op_sel:[0,0,1] op_sel_hi:[1,1,0] neg_lo:[0,0,1] neg_hi:[0,0,1]
	v_pk_fma_f32 v[4:5], v[8:9], v[50:51], v[4:5] op_sel:[0,0,1] op_sel_hi:[1,0,0]
	v_pk_add_f32 v[2:3], v[2:3], v[14:15]
	v_mov_b32_e32 v4, v49
	v_pk_add_f32 v[2:3], v[2:3], v[12:13]
	v_mov_b32_e32 v7, v5
	s_waitcnt lgkmcnt(0)
	v_pk_mul_f32 v[4:5], v[10:11], v[4:5] op_sel_hi:[1,0]
	v_pk_add_f32 v[2:3], v[2:3], v[6:7]
	v_pk_fma_f32 v[6:7], v[10:11], v[48:49], v[4:5] op_sel:[0,0,1] op_sel_hi:[1,1,0] neg_lo:[0,0,1] neg_hi:[0,0,1]
	v_pk_fma_f32 v[4:5], v[10:11], v[48:49], v[4:5] op_sel:[0,0,1] op_sel_hi:[1,0,0]
	v_mov_b32_e32 v7, v5
	v_pk_add_f32 v[2:3], v[2:3], v[6:7]
	v_pk_add_f32 v[2:3], v[34:35], v[2:3] neg_lo:[0,1] neg_hi:[0,1]
	buffer_store_dword v3, off, s[0:3], 0 offset:300
	buffer_store_dword v2, off, s[0:3], 0 offset:296
	s_and_saveexec_b64 s[4:5], vcc
	s_cbranch_execz .LBB122_295
; %bb.294:
	buffer_load_dword v2, off, s[0:3], 0 offset:288
	buffer_load_dword v3, off, s[0:3], 0 offset:292
	s_waitcnt vmcnt(0)
	ds_write_b64 v187, v[2:3]
	buffer_store_dword v1, off, s[0:3], 0 offset:288
	buffer_store_dword v1, off, s[0:3], 0 offset:292
.LBB122_295:
	s_or_b64 exec, exec, s[4:5]
	s_waitcnt lgkmcnt(0)
	; wave barrier
	s_waitcnt lgkmcnt(0)
	buffer_load_dword v52, off, s[0:3], 0 offset:300
	buffer_load_dword v54, off, s[0:3], 0 offset:308
	buffer_load_dword v56, off, s[0:3], 0 offset:316
	buffer_load_dword v58, off, s[0:3], 0 offset:324
	buffer_load_dword v59, off, s[0:3], 0 offset:332
	buffer_load_dword v60, off, s[0:3], 0 offset:340
	buffer_load_dword v61, off, s[0:3], 0 offset:348
	buffer_load_dword v62, off, s[0:3], 0 offset:356
	buffer_load_dword v63, off, s[0:3], 0 offset:364
	buffer_load_dword v64, off, s[0:3], 0 offset:372
	buffer_load_dword v65, off, s[0:3], 0 offset:380
	buffer_load_dword v66, off, s[0:3], 0 offset:388
	buffer_load_dword v67, off, s[0:3], 0 offset:396
	buffer_load_dword v68, off, s[0:3], 0 offset:296
	buffer_load_dword v69, off, s[0:3], 0 offset:304
	buffer_load_dword v70, off, s[0:3], 0 offset:312
	buffer_load_dword v71, off, s[0:3], 0 offset:320
	buffer_load_dword v72, off, s[0:3], 0 offset:328
	buffer_load_dword v73, off, s[0:3], 0 offset:336
	buffer_load_dword v74, off, s[0:3], 0 offset:344
	buffer_load_dword v75, off, s[0:3], 0 offset:352
	buffer_load_dword v76, off, s[0:3], 0 offset:360
	buffer_load_dword v77, off, s[0:3], 0 offset:368
	buffer_load_dword v78, off, s[0:3], 0 offset:376
	buffer_load_dword v79, off, s[0:3], 0 offset:384
	buffer_load_dword v80, off, s[0:3], 0 offset:392
	buffer_load_dword v81, off, s[0:3], 0 offset:404
	buffer_load_dword v82, off, s[0:3], 0 offset:400
	buffer_load_dword v34, off, s[0:3], 0 offset:288
	buffer_load_dword v35, off, s[0:3], 0 offset:292
	ds_read2_b64 v[2:5], v1 offset0:97 offset1:98
	ds_read2_b64 v[6:9], v1 offset0:99 offset1:100
	;; [unrolled: 1-line block ×6, first 2 shown]
	buffer_load_dword v37, off, s[0:3], 0 offset:412
	buffer_load_dword v36, off, s[0:3], 0 offset:408
	ds_read2_b64 v[26:29], v1 offset0:109 offset1:110
	ds_read2_b64 v[30:33], v1 offset0:111 offset1:112
	buffer_load_dword v39, off, s[0:3], 0 offset:444
	buffer_load_dword v38, off, s[0:3], 0 offset:440
	;; [unrolled: 1-line block ×14, first 2 shown]
	v_cmp_lt_u32_e32 vcc, 35, v0
	s_waitcnt vmcnt(45) lgkmcnt(7)
	v_mul_f32_e32 v55, v2, v52
	s_waitcnt vmcnt(44)
	v_mul_f32_e32 v57, v4, v54
	s_waitcnt vmcnt(43) lgkmcnt(6)
	v_mul_f32_e32 v83, v6, v56
	s_waitcnt vmcnt(42)
	v_mul_f32_e32 v84, v8, v58
	;; [unrolled: 4-line block ×6, first 2 shown]
	s_waitcnt vmcnt(33) lgkmcnt(1)
	v_mul_f32_e32 v53, v26, v67
	s_waitcnt vmcnt(32)
	v_fmac_f32_e32 v55, v3, v68
	v_mul_f32_e32 v3, v3, v52
	v_fma_f32 v2, v2, v68, -v3
	v_mul_f32_e32 v3, v5, v54
	v_add_f32_e32 v2, 0, v2
	s_waitcnt vmcnt(31)
	v_fma_f32 v3, v4, v69, -v3
	v_add_f32_e32 v2, v2, v3
	v_mul_f32_e32 v3, v7, v56
	s_waitcnt vmcnt(30)
	v_fma_f32 v3, v6, v70, -v3
	v_add_f32_e32 v2, v2, v3
	v_mul_f32_e32 v3, v9, v58
	;; [unrolled: 4-line block ×5, first 2 shown]
	s_waitcnt vmcnt(26)
	v_fma_f32 v3, v14, v74, -v3
	v_fmac_f32_e32 v57, v5, v69
	v_add_f32_e32 v55, 0, v55
	v_add_f32_e32 v2, v2, v3
	v_mul_f32_e32 v3, v17, v62
	v_fmac_f32_e32 v83, v7, v70
	v_add_f32_e32 v55, v55, v57
	s_waitcnt vmcnt(25)
	v_fma_f32 v3, v16, v75, -v3
	v_fmac_f32_e32 v84, v9, v71
	v_add_f32_e32 v55, v55, v83
	v_add_f32_e32 v2, v2, v3
	v_mul_f32_e32 v3, v19, v63
	v_fmac_f32_e32 v85, v11, v72
	v_add_f32_e32 v55, v55, v84
	;; [unrolled: 8-line block ×5, first 2 shown]
	s_waitcnt vmcnt(21)
	v_fma_f32 v3, v24, v79, -v3
	s_waitcnt vmcnt(15)
	v_mov_b32_e32 v16, v37
	v_fmac_f32_e32 v92, v25, v79
	v_add_f32_e32 v55, v55, v91
	v_add_f32_e32 v54, v2, v3
	v_mul_f32_e32 v2, v27, v67
	s_waitcnt lgkmcnt(0)
	v_pk_mul_f32 v[16:17], v[30:31], v[16:17] op_sel_hi:[1,0]
	v_fmac_f32_e32 v53, v27, v80
	v_add_f32_e32 v55, v55, v92
	v_mul_f32_e32 v57, v28, v81
	v_fma_f32 v52, v26, v80, -v2
	v_mul_f32_e32 v2, v29, v81
	s_waitcnt vmcnt(14)
	v_pk_fma_f32 v[18:19], v[30:31], v[36:37], v[16:17] op_sel:[0,0,1] op_sel_hi:[1,1,0] neg_lo:[0,0,1] neg_hi:[0,0,1]
	v_pk_fma_f32 v[16:17], v[30:31], v[36:37], v[16:17] op_sel:[0,0,1] op_sel_hi:[1,0,0]
	v_fmac_f32_e32 v57, v29, v82
	v_fma_f32 v56, v28, v82, -v2
	v_pk_add_f32 v[14:15], v[54:55], v[52:53]
	s_waitcnt vmcnt(7)
	v_mov_b32_e32 v16, v45
	ds_read2_b64 v[2:5], v1 offset0:113 offset1:114
	ds_read2_b64 v[6:9], v1 offset0:115 offset1:116
	;; [unrolled: 1-line block ×3, first 2 shown]
	v_pk_add_f32 v[14:15], v[14:15], v[56:57]
	v_mov_b32_e32 v19, v17
	v_pk_mul_f32 v[16:17], v[32:33], v[16:17] op_sel_hi:[1,0]
	v_pk_add_f32 v[14:15], v[14:15], v[18:19]
	s_waitcnt vmcnt(6)
	v_pk_fma_f32 v[18:19], v[32:33], v[44:45], v[16:17] op_sel:[0,0,1] op_sel_hi:[1,1,0] neg_lo:[0,0,1] neg_hi:[0,0,1]
	v_pk_fma_f32 v[16:17], v[32:33], v[44:45], v[16:17] op_sel:[0,0,1] op_sel_hi:[1,0,0]
	v_mov_b32_e32 v16, v43
	v_mov_b32_e32 v19, v17
	s_waitcnt lgkmcnt(2)
	v_pk_mul_f32 v[16:17], v[2:3], v[16:17] op_sel_hi:[1,0]
	v_pk_add_f32 v[14:15], v[14:15], v[18:19]
	v_pk_fma_f32 v[18:19], v[2:3], v[42:43], v[16:17] op_sel:[0,0,1] op_sel_hi:[1,1,0] neg_lo:[0,0,1] neg_hi:[0,0,1]
	v_pk_fma_f32 v[2:3], v[2:3], v[42:43], v[16:17] op_sel:[0,0,1] op_sel_hi:[1,0,0]
	v_mov_b32_e32 v19, v3
	v_pk_add_f32 v[2:3], v[14:15], v[18:19]
	v_mov_b32_e32 v14, v41
	v_pk_mul_f32 v[14:15], v[4:5], v[14:15] op_sel_hi:[1,0]
	v_pk_fma_f32 v[16:17], v[4:5], v[40:41], v[14:15] op_sel:[0,0,1] op_sel_hi:[1,1,0] neg_lo:[0,0,1] neg_hi:[0,0,1]
	v_pk_fma_f32 v[4:5], v[4:5], v[40:41], v[14:15] op_sel:[0,0,1] op_sel_hi:[1,0,0]
	v_mov_b32_e32 v4, v39
	v_mov_b32_e32 v17, v5
	s_waitcnt lgkmcnt(1)
	v_pk_mul_f32 v[4:5], v[6:7], v[4:5] op_sel_hi:[1,0]
	v_pk_fma_f32 v[14:15], v[6:7], v[38:39], v[4:5] op_sel:[0,0,1] op_sel_hi:[1,1,0] neg_lo:[0,0,1] neg_hi:[0,0,1]
	v_pk_fma_f32 v[4:5], v[6:7], v[38:39], v[4:5] op_sel:[0,0,1] op_sel_hi:[1,0,0]
	s_waitcnt vmcnt(1)
	v_mov_b32_e32 v4, v51
	v_mov_b32_e32 v15, v5
	v_pk_mul_f32 v[4:5], v[8:9], v[4:5] op_sel_hi:[1,0]
	s_waitcnt vmcnt(0)
	v_pk_fma_f32 v[6:7], v[8:9], v[50:51], v[4:5] op_sel:[0,0,1] op_sel_hi:[1,1,0] neg_lo:[0,0,1] neg_hi:[0,0,1]
	v_pk_fma_f32 v[4:5], v[8:9], v[50:51], v[4:5] op_sel:[0,0,1] op_sel_hi:[1,0,0]
	v_pk_add_f32 v[2:3], v[2:3], v[16:17]
	v_mov_b32_e32 v4, v49
	v_pk_add_f32 v[2:3], v[2:3], v[14:15]
	v_mov_b32_e32 v7, v5
	s_waitcnt lgkmcnt(0)
	v_pk_mul_f32 v[4:5], v[10:11], v[4:5] op_sel_hi:[1,0]
	v_pk_add_f32 v[2:3], v[2:3], v[6:7]
	v_pk_fma_f32 v[6:7], v[10:11], v[48:49], v[4:5] op_sel:[0,0,1] op_sel_hi:[1,1,0] neg_lo:[0,0,1] neg_hi:[0,0,1]
	v_pk_fma_f32 v[4:5], v[10:11], v[48:49], v[4:5] op_sel:[0,0,1] op_sel_hi:[1,0,0]
	v_mov_b32_e32 v4, v47
	v_mov_b32_e32 v7, v5
	v_pk_mul_f32 v[4:5], v[12:13], v[4:5] op_sel_hi:[1,0]
	v_pk_add_f32 v[2:3], v[2:3], v[6:7]
	v_pk_fma_f32 v[6:7], v[12:13], v[46:47], v[4:5] op_sel:[0,0,1] op_sel_hi:[1,1,0] neg_lo:[0,0,1] neg_hi:[0,0,1]
	v_pk_fma_f32 v[4:5], v[12:13], v[46:47], v[4:5] op_sel:[0,0,1] op_sel_hi:[1,0,0]
	v_mov_b32_e32 v7, v5
	v_pk_add_f32 v[2:3], v[2:3], v[6:7]
	v_pk_add_f32 v[2:3], v[34:35], v[2:3] neg_lo:[0,1] neg_hi:[0,1]
	buffer_store_dword v3, off, s[0:3], 0 offset:292
	buffer_store_dword v2, off, s[0:3], 0 offset:288
	s_and_saveexec_b64 s[4:5], vcc
	s_cbranch_execz .LBB122_297
; %bb.296:
	buffer_load_dword v2, off, s[0:3], 0 offset:280
	buffer_load_dword v3, off, s[0:3], 0 offset:284
	v_mov_b32_e32 v1, 0
	buffer_store_dword v1, off, s[0:3], 0 offset:280
	buffer_store_dword v1, off, s[0:3], 0 offset:284
	s_waitcnt vmcnt(2)
	ds_write_b64 v187, v[2:3]
.LBB122_297:
	s_or_b64 exec, exec, s[4:5]
	s_waitcnt lgkmcnt(0)
	; wave barrier
	s_waitcnt lgkmcnt(0)
	buffer_load_dword v50, off, s[0:3], 0 offset:292
	buffer_load_dword v54, off, s[0:3], 0 offset:300
	;; [unrolled: 1-line block ×32, first 2 shown]
	v_mov_b32_e32 v1, 0
	buffer_load_dword v37, off, s[0:3], 0 offset:436
	buffer_load_dword v36, off, s[0:3], 0 offset:432
	;; [unrolled: 1-line block ×13, first 2 shown]
	ds_read_b128 v[2:5], v1 offset:768
	ds_read_b128 v[6:9], v1 offset:784
	;; [unrolled: 1-line block ×8, first 2 shown]
	v_cmp_lt_u32_e32 vcc, 34, v0
	s_waitcnt vmcnt(44) lgkmcnt(7)
	v_mul_f32_e32 v44, v2, v50
	s_waitcnt vmcnt(43)
	v_mul_f32_e32 v51, v4, v54
	s_waitcnt vmcnt(42) lgkmcnt(6)
	v_mul_f32_e32 v52, v6, v56
	s_waitcnt vmcnt(41)
	v_mul_f32_e32 v53, v8, v58
	;; [unrolled: 4-line block ×6, first 2 shown]
	s_waitcnt vmcnt(32) lgkmcnt(1)
	v_mul_f32_e32 v91, v26, v67
	s_waitcnt vmcnt(31)
	v_fmac_f32_e32 v44, v3, v68
	s_waitcnt vmcnt(30)
	v_fmac_f32_e32 v51, v5, v69
	v_add_f32_e32 v44, 0, v44
	s_waitcnt vmcnt(29)
	v_fmac_f32_e32 v52, v7, v70
	v_add_f32_e32 v44, v44, v51
	;; [unrolled: 3-line block ×12, first 2 shown]
	v_add_f32_e32 v51, v44, v91
	buffer_load_dword v53, off, s[0:3], 0 offset:452
	buffer_load_dword v52, off, s[0:3], 0 offset:448
	;; [unrolled: 1-line block ×3, first 2 shown]
	v_mul_f32_e32 v3, v3, v50
	v_fma_f32 v2, v2, v68, -v3
	v_mul_f32_e32 v3, v5, v54
	v_add_f32_e32 v2, 0, v2
	v_fma_f32 v3, v4, v69, -v3
	v_add_f32_e32 v2, v2, v3
	v_mul_f32_e32 v3, v7, v56
	v_fma_f32 v3, v6, v70, -v3
	v_add_f32_e32 v2, v2, v3
	v_mul_f32_e32 v3, v9, v58
	v_fma_f32 v3, v8, v71, -v3
	v_add_f32_e32 v2, v2, v3
	v_mul_f32_e32 v3, v11, v59
	v_fma_f32 v3, v10, v72, -v3
	v_add_f32_e32 v2, v2, v3
	v_mul_f32_e32 v3, v13, v60
	v_fma_f32 v3, v12, v73, -v3
	v_add_f32_e32 v2, v2, v3
	v_mul_f32_e32 v3, v15, v61
	v_fma_f32 v3, v14, v74, -v3
	v_add_f32_e32 v2, v2, v3
	v_mul_f32_e32 v3, v17, v62
	v_fma_f32 v3, v16, v75, -v3
	v_add_f32_e32 v2, v2, v3
	v_mul_f32_e32 v3, v19, v63
	v_fma_f32 v3, v18, v76, -v3
	v_add_f32_e32 v2, v2, v3
	v_mul_f32_e32 v3, v21, v64
	v_fma_f32 v3, v20, v77, -v3
	v_add_f32_e32 v2, v2, v3
	v_mul_f32_e32 v3, v23, v65
	v_fma_f32 v3, v22, v78, -v3
	v_add_f32_e32 v2, v2, v3
	v_mul_f32_e32 v3, v25, v66
	v_fma_f32 v3, v24, v79, -v3
	v_add_f32_e32 v2, v2, v3
	v_mul_f32_e32 v3, v27, v67
	v_fma_f32 v3, v26, v80, -v3
	v_add_f32_e32 v50, v2, v3
	s_waitcnt vmcnt(21)
	v_mul_f32_e32 v2, v29, v81
	s_waitcnt vmcnt(9)
	v_mov_b32_e32 v18, v43
	v_mul_f32_e32 v55, v28, v81
	v_fma_f32 v54, v28, v82, -v2
	s_waitcnt lgkmcnt(0)
	v_mul_f32_e32 v2, v31, v83
	v_pk_mul_f32 v[18:19], v[32:33], v[18:19] op_sel_hi:[1,0]
	v_fmac_f32_e32 v55, v29, v82
	v_mul_f32_e32 v57, v30, v83
	v_fma_f32 v56, v30, v84, -v2
	ds_read_b128 v[2:5], v1 offset:896
	ds_read_b128 v[6:9], v1 offset:912
	;; [unrolled: 1-line block ×3, first 2 shown]
	ds_read_b64 v[14:15], v1 offset:944
	s_waitcnt vmcnt(8)
	v_pk_fma_f32 v[20:21], v[32:33], v[42:43], v[18:19] op_sel:[0,0,1] op_sel_hi:[1,1,0] neg_lo:[0,0,1] neg_hi:[0,0,1]
	v_pk_fma_f32 v[18:19], v[32:33], v[42:43], v[18:19] op_sel:[0,0,1] op_sel_hi:[1,0,0]
	v_fmac_f32_e32 v57, v31, v84
	v_pk_add_f32 v[16:17], v[50:51], v[54:55]
	v_mov_b32_e32 v18, v41
	v_pk_add_f32 v[16:17], v[16:17], v[56:57]
	v_mov_b32_e32 v21, v19
	s_waitcnt lgkmcnt(3)
	v_pk_mul_f32 v[18:19], v[2:3], v[18:19] op_sel_hi:[1,0]
	v_pk_add_f32 v[16:17], v[16:17], v[20:21]
	v_pk_fma_f32 v[20:21], v[2:3], v[40:41], v[18:19] op_sel:[0,0,1] op_sel_hi:[1,1,0] neg_lo:[0,0,1] neg_hi:[0,0,1]
	v_pk_fma_f32 v[2:3], v[2:3], v[40:41], v[18:19] op_sel:[0,0,1] op_sel_hi:[1,0,0]
	v_mov_b32_e32 v21, v3
	v_pk_add_f32 v[2:3], v[16:17], v[20:21]
	v_mov_b32_e32 v16, v39
	v_pk_mul_f32 v[16:17], v[4:5], v[16:17] op_sel_hi:[1,0]
	v_pk_fma_f32 v[18:19], v[4:5], v[38:39], v[16:17] op_sel:[0,0,1] op_sel_hi:[1,1,0] neg_lo:[0,0,1] neg_hi:[0,0,1]
	v_pk_fma_f32 v[4:5], v[4:5], v[38:39], v[16:17] op_sel:[0,0,1] op_sel_hi:[1,0,0]
	v_mov_b32_e32 v4, v37
	v_mov_b32_e32 v19, v5
	s_waitcnt lgkmcnt(2)
	v_pk_mul_f32 v[4:5], v[6:7], v[4:5] op_sel_hi:[1,0]
	v_pk_fma_f32 v[16:17], v[6:7], v[36:37], v[4:5] op_sel:[0,0,1] op_sel_hi:[1,1,0] neg_lo:[0,0,1] neg_hi:[0,0,1]
	v_pk_fma_f32 v[4:5], v[6:7], v[36:37], v[4:5] op_sel:[0,0,1] op_sel_hi:[1,0,0]
	s_waitcnt vmcnt(7)
	v_mov_b32_e32 v4, v45
	v_mov_b32_e32 v17, v5
	v_pk_mul_f32 v[4:5], v[8:9], v[4:5] op_sel_hi:[1,0]
	v_pk_add_f32 v[2:3], v[2:3], v[18:19]
	v_pk_add_f32 v[2:3], v[2:3], v[16:17]
	s_waitcnt vmcnt(0)
	v_pk_fma_f32 v[6:7], v[8:9], v[44:45], v[4:5] op_sel:[0,0,1] op_sel_hi:[1,1,0] neg_lo:[0,0,1] neg_hi:[0,0,1]
	v_pk_fma_f32 v[4:5], v[8:9], v[44:45], v[4:5] op_sel:[0,0,1] op_sel_hi:[1,0,0]
	v_mov_b32_e32 v4, v53
	v_mov_b32_e32 v7, v5
	s_waitcnt lgkmcnt(1)
	v_pk_mul_f32 v[4:5], v[10:11], v[4:5] op_sel_hi:[1,0]
	v_pk_add_f32 v[2:3], v[2:3], v[6:7]
	v_pk_fma_f32 v[6:7], v[10:11], v[52:53], v[4:5] op_sel:[0,0,1] op_sel_hi:[1,1,0] neg_lo:[0,0,1] neg_hi:[0,0,1]
	v_pk_fma_f32 v[4:5], v[10:11], v[52:53], v[4:5] op_sel:[0,0,1] op_sel_hi:[1,0,0]
	v_mov_b32_e32 v4, v49
	v_mov_b32_e32 v7, v5
	v_pk_mul_f32 v[4:5], v[12:13], v[4:5] op_sel_hi:[1,0]
	v_pk_add_f32 v[2:3], v[2:3], v[6:7]
	v_pk_fma_f32 v[6:7], v[12:13], v[48:49], v[4:5] op_sel:[0,0,1] op_sel_hi:[1,1,0] neg_lo:[0,0,1] neg_hi:[0,0,1]
	v_pk_fma_f32 v[4:5], v[12:13], v[48:49], v[4:5] op_sel:[0,0,1] op_sel_hi:[1,0,0]
	v_mov_b32_e32 v4, v47
	v_mov_b32_e32 v7, v5
	s_waitcnt lgkmcnt(0)
	v_pk_mul_f32 v[4:5], v[14:15], v[4:5] op_sel_hi:[1,0]
	v_pk_add_f32 v[2:3], v[2:3], v[6:7]
	v_pk_fma_f32 v[6:7], v[14:15], v[46:47], v[4:5] op_sel:[0,0,1] op_sel_hi:[1,1,0] neg_lo:[0,0,1] neg_hi:[0,0,1]
	v_pk_fma_f32 v[4:5], v[14:15], v[46:47], v[4:5] op_sel:[0,0,1] op_sel_hi:[1,0,0]
	v_mov_b32_e32 v7, v5
	v_pk_add_f32 v[2:3], v[2:3], v[6:7]
	v_pk_add_f32 v[2:3], v[34:35], v[2:3] neg_lo:[0,1] neg_hi:[0,1]
	buffer_store_dword v3, off, s[0:3], 0 offset:284
	buffer_store_dword v2, off, s[0:3], 0 offset:280
	s_and_saveexec_b64 s[4:5], vcc
	s_cbranch_execz .LBB122_299
; %bb.298:
	buffer_load_dword v2, off, s[0:3], 0 offset:272
	buffer_load_dword v3, off, s[0:3], 0 offset:276
	s_waitcnt vmcnt(0)
	ds_write_b64 v187, v[2:3]
	buffer_store_dword v1, off, s[0:3], 0 offset:272
	buffer_store_dword v1, off, s[0:3], 0 offset:276
.LBB122_299:
	s_or_b64 exec, exec, s[4:5]
	s_waitcnt lgkmcnt(0)
	; wave barrier
	s_waitcnt lgkmcnt(0)
	buffer_load_dword v50, off, s[0:3], 0 offset:284
	buffer_load_dword v52, off, s[0:3], 0 offset:292
	;; [unrolled: 1-line block ×34, first 2 shown]
	ds_read2_b64 v[2:5], v1 offset0:95 offset1:96
	ds_read2_b64 v[6:9], v1 offset0:97 offset1:98
	;; [unrolled: 1-line block ×8, first 2 shown]
	buffer_load_dword v37, off, s[0:3], 0 offset:428
	buffer_load_dword v36, off, s[0:3], 0 offset:424
	;; [unrolled: 1-line block ×9, first 2 shown]
	v_cmp_lt_u32_e32 vcc, 33, v0
	s_waitcnt vmcnt(42) lgkmcnt(7)
	v_mul_f32_e32 v42, v2, v50
	s_waitcnt vmcnt(41)
	v_mul_f32_e32 v46, v4, v52
	s_waitcnt vmcnt(40) lgkmcnt(6)
	v_mul_f32_e32 v47, v6, v54
	s_waitcnt vmcnt(39)
	v_mul_f32_e32 v48, v8, v58
	;; [unrolled: 4-line block ×7, first 2 shown]
	s_waitcnt vmcnt(28)
	v_fmac_f32_e32 v42, v3, v69
	s_waitcnt vmcnt(27)
	v_fmac_f32_e32 v46, v5, v70
	v_add_f32_e32 v42, 0, v42
	s_waitcnt vmcnt(26)
	v_fmac_f32_e32 v47, v7, v71
	v_add_f32_e32 v42, v42, v46
	;; [unrolled: 3-line block ×12, first 2 shown]
	v_add_f32_e32 v51, v42, v89
	buffer_load_dword v47, off, s[0:3], 0 offset:452
	buffer_load_dword v46, off, s[0:3], 0 offset:448
	;; [unrolled: 1-line block ×7, first 2 shown]
	v_mul_f32_e32 v3, v3, v50
	v_fma_f32 v2, v2, v69, -v3
	v_mul_f32_e32 v3, v5, v52
	v_add_f32_e32 v2, 0, v2
	v_fma_f32 v3, v4, v70, -v3
	v_add_f32_e32 v2, v2, v3
	v_mul_f32_e32 v3, v7, v54
	v_fma_f32 v3, v6, v71, -v3
	v_add_f32_e32 v2, v2, v3
	v_mul_f32_e32 v3, v9, v58
	;; [unrolled: 3-line block ×12, first 2 shown]
	s_waitcnt vmcnt(22)
	v_fma_f32 v3, v28, v82, -v3
	v_add_f32_e32 v50, v2, v3
	s_waitcnt vmcnt(21) lgkmcnt(0)
	v_mul_f32_e32 v2, v31, v83
	s_waitcnt vmcnt(20)
	v_fma_f32 v52, v30, v84, -v2
	s_waitcnt vmcnt(19)
	v_mul_f32_e32 v2, v33, v85
	s_waitcnt vmcnt(18)
	v_fma_f32 v54, v32, v86, -v2
	ds_read2_b64 v[2:5], v1 offset0:111 offset1:112
	ds_read2_b64 v[6:9], v1 offset0:113 offset1:114
	;; [unrolled: 1-line block ×4, first 2 shown]
	v_fmac_f32_e32 v90, v29, v82
	v_mul_f32_e32 v53, v30, v83
	s_waitcnt vmcnt(11)
	v_mov_b32_e32 v20, v41
	v_add_f32_e32 v51, v51, v90
	v_fmac_f32_e32 v53, v31, v84
	v_mul_f32_e32 v55, v32, v85
	s_waitcnt lgkmcnt(3)
	v_pk_mul_f32 v[20:21], v[2:3], v[20:21] op_sel_hi:[1,0]
	v_fmac_f32_e32 v55, v33, v86
	v_pk_add_f32 v[18:19], v[50:51], v[52:53]
	s_waitcnt vmcnt(10)
	v_pk_fma_f32 v[22:23], v[2:3], v[40:41], v[20:21] op_sel:[0,0,1] op_sel_hi:[1,1,0] neg_lo:[0,0,1] neg_hi:[0,0,1]
	v_pk_fma_f32 v[2:3], v[2:3], v[40:41], v[20:21] op_sel:[0,0,1] op_sel_hi:[1,0,0]
	v_pk_add_f32 v[18:19], v[18:19], v[54:55]
	v_mov_b32_e32 v23, v3
	v_pk_add_f32 v[2:3], v[18:19], v[22:23]
	v_mov_b32_e32 v18, v39
	v_pk_mul_f32 v[18:19], v[4:5], v[18:19] op_sel_hi:[1,0]
	v_pk_fma_f32 v[20:21], v[4:5], v[38:39], v[18:19] op_sel:[0,0,1] op_sel_hi:[1,1,0] neg_lo:[0,0,1] neg_hi:[0,0,1]
	v_pk_fma_f32 v[4:5], v[4:5], v[38:39], v[18:19] op_sel:[0,0,1] op_sel_hi:[1,0,0]
	v_mov_b32_e32 v4, v37
	v_mov_b32_e32 v21, v5
	s_waitcnt lgkmcnt(2)
	v_pk_mul_f32 v[4:5], v[6:7], v[4:5] op_sel_hi:[1,0]
	v_pk_fma_f32 v[18:19], v[6:7], v[36:37], v[4:5] op_sel:[0,0,1] op_sel_hi:[1,1,0] neg_lo:[0,0,1] neg_hi:[0,0,1]
	v_pk_fma_f32 v[4:5], v[6:7], v[36:37], v[4:5] op_sel:[0,0,1] op_sel_hi:[1,0,0]
	s_waitcnt vmcnt(9)
	v_mov_b32_e32 v4, v43
	v_mov_b32_e32 v19, v5
	v_pk_mul_f32 v[4:5], v[8:9], v[4:5] op_sel_hi:[1,0]
	v_pk_add_f32 v[2:3], v[2:3], v[20:21]
	v_pk_add_f32 v[2:3], v[2:3], v[18:19]
	s_waitcnt vmcnt(2)
	v_pk_fma_f32 v[6:7], v[8:9], v[42:43], v[4:5] op_sel:[0,0,1] op_sel_hi:[1,1,0] neg_lo:[0,0,1] neg_hi:[0,0,1]
	v_pk_fma_f32 v[4:5], v[8:9], v[42:43], v[4:5] op_sel:[0,0,1] op_sel_hi:[1,0,0]
	v_mov_b32_e32 v4, v49
	v_mov_b32_e32 v7, v5
	s_waitcnt lgkmcnt(1)
	v_pk_mul_f32 v[4:5], v[10:11], v[4:5] op_sel_hi:[1,0]
	v_pk_add_f32 v[2:3], v[2:3], v[6:7]
	v_pk_fma_f32 v[6:7], v[10:11], v[48:49], v[4:5] op_sel:[0,0,1] op_sel_hi:[1,1,0] neg_lo:[0,0,1] neg_hi:[0,0,1]
	v_pk_fma_f32 v[4:5], v[10:11], v[48:49], v[4:5] op_sel:[0,0,1] op_sel_hi:[1,0,0]
	v_mov_b32_e32 v4, v47
	v_mov_b32_e32 v7, v5
	v_pk_mul_f32 v[4:5], v[12:13], v[4:5] op_sel_hi:[1,0]
	v_pk_add_f32 v[2:3], v[2:3], v[6:7]
	v_pk_fma_f32 v[6:7], v[12:13], v[46:47], v[4:5] op_sel:[0,0,1] op_sel_hi:[1,1,0] neg_lo:[0,0,1] neg_hi:[0,0,1]
	v_pk_fma_f32 v[4:5], v[12:13], v[46:47], v[4:5] op_sel:[0,0,1] op_sel_hi:[1,0,0]
	v_mov_b32_e32 v4, v45
	v_mov_b32_e32 v7, v5
	s_waitcnt lgkmcnt(0)
	v_pk_mul_f32 v[4:5], v[14:15], v[4:5] op_sel_hi:[1,0]
	v_pk_add_f32 v[2:3], v[2:3], v[6:7]
	v_pk_fma_f32 v[6:7], v[14:15], v[44:45], v[4:5] op_sel:[0,0,1] op_sel_hi:[1,1,0] neg_lo:[0,0,1] neg_hi:[0,0,1]
	v_pk_fma_f32 v[4:5], v[14:15], v[44:45], v[4:5] op_sel:[0,0,1] op_sel_hi:[1,0,0]
	s_waitcnt vmcnt(1)
	v_mov_b32_e32 v4, v57
	v_mov_b32_e32 v7, v5
	v_pk_mul_f32 v[4:5], v[16:17], v[4:5] op_sel_hi:[1,0]
	v_pk_add_f32 v[2:3], v[2:3], v[6:7]
	s_waitcnt vmcnt(0)
	v_pk_fma_f32 v[6:7], v[16:17], v[56:57], v[4:5] op_sel:[0,0,1] op_sel_hi:[1,1,0] neg_lo:[0,0,1] neg_hi:[0,0,1]
	v_pk_fma_f32 v[4:5], v[16:17], v[56:57], v[4:5] op_sel:[0,0,1] op_sel_hi:[1,0,0]
	v_mov_b32_e32 v7, v5
	v_pk_add_f32 v[2:3], v[2:3], v[6:7]
	v_pk_add_f32 v[2:3], v[34:35], v[2:3] neg_lo:[0,1] neg_hi:[0,1]
	buffer_store_dword v3, off, s[0:3], 0 offset:276
	buffer_store_dword v2, off, s[0:3], 0 offset:272
	s_and_saveexec_b64 s[4:5], vcc
	s_cbranch_execz .LBB122_301
; %bb.300:
	buffer_load_dword v2, off, s[0:3], 0 offset:264
	buffer_load_dword v3, off, s[0:3], 0 offset:268
	v_mov_b32_e32 v1, 0
	buffer_store_dword v1, off, s[0:3], 0 offset:264
	buffer_store_dword v1, off, s[0:3], 0 offset:268
	s_waitcnt vmcnt(2)
	ds_write_b64 v187, v[2:3]
.LBB122_301:
	s_or_b64 exec, exec, s[4:5]
	s_waitcnt lgkmcnt(0)
	; wave barrier
	s_waitcnt lgkmcnt(0)
	buffer_load_dword v56, off, s[0:3], 0 offset:276
	buffer_load_dword v58, off, s[0:3], 0 offset:284
	;; [unrolled: 1-line block ×36, first 2 shown]
	v_mov_b32_e32 v1, 0
	buffer_load_dword v45, off, s[0:3], 0 offset:420
	buffer_load_dword v44, off, s[0:3], 0 offset:416
	;; [unrolled: 1-line block ×5, first 2 shown]
	ds_read_b128 v[4:7], v1 offset:752
	ds_read_b128 v[8:11], v1 offset:768
	;; [unrolled: 1-line block ×8, first 2 shown]
	v_cmp_lt_u32_e32 vcc, 32, v0
	s_waitcnt vmcnt(40) lgkmcnt(7)
	v_mul_f32_e32 v36, v4, v56
	s_waitcnt vmcnt(39)
	v_mul_f32_e32 v37, v6, v58
	s_waitcnt vmcnt(38) lgkmcnt(6)
	v_mul_f32_e32 v38, v8, v60
	s_waitcnt vmcnt(37)
	v_mul_f32_e32 v39, v10, v66
	;; [unrolled: 4-line block ×7, first 2 shown]
	s_waitcnt vmcnt(26) lgkmcnt(0)
	v_mul_f32_e32 v57, v32, v77
	s_waitcnt vmcnt(25)
	v_fmac_f32_e32 v36, v5, v78
	s_waitcnt vmcnt(24)
	v_fmac_f32_e32 v37, v7, v79
	v_add_f32_e32 v36, 0, v36
	s_waitcnt vmcnt(23)
	v_fmac_f32_e32 v38, v9, v80
	v_add_f32_e32 v36, v36, v37
	;; [unrolled: 3-line block ×13, first 2 shown]
	v_add_f32_e32 v40, v36, v54
	buffer_load_dword v51, off, s[0:3], 0 offset:452
	buffer_load_dword v50, off, s[0:3], 0 offset:448
	buffer_load_dword v53, off, s[0:3], 0 offset:444
	buffer_load_dword v52, off, s[0:3], 0 offset:440
	buffer_load_dword v55, off, s[0:3], 0 offset:436
	buffer_load_dword v54, off, s[0:3], 0 offset:432
	buffer_load_dword v48, off, s[0:3], 0 offset:424
	s_waitcnt vmcnt(18)
	v_fmac_f32_e32 v57, v33, v92
	ds_read_b128 v[36:39], v1 offset:880
	v_add_f32_e32 v57, v40, v57
	ds_read_b128 v[40:43], v1 offset:896
	buffer_load_dword v63, off, s[0:3], 0 offset:468
	buffer_load_dword v62, off, s[0:3], 0 offset:464
	buffer_load_dword v65, off, s[0:3], 0 offset:460
	buffer_load_dword v64, off, s[0:3], 0 offset:456
	v_mul_f32_e32 v5, v5, v56
	v_fma_f32 v4, v4, v78, -v5
	v_mul_f32_e32 v5, v7, v58
	v_add_f32_e32 v4, 0, v4
	v_fma_f32 v5, v6, v79, -v5
	v_add_f32_e32 v4, v4, v5
	v_mul_f32_e32 v5, v9, v60
	v_fma_f32 v5, v8, v80, -v5
	v_add_f32_e32 v4, v4, v5
	v_mul_f32_e32 v5, v11, v66
	;; [unrolled: 3-line block ×13, first 2 shown]
	v_fma_f32 v5, v32, v92, -v5
	s_waitcnt vmcnt(13)
	v_mov_b32_e32 v16, v47
	v_mul_f32_e32 v59, v34, v93
	v_add_f32_e32 v56, v4, v5
	v_mul_f32_e32 v4, v35, v93
	s_waitcnt lgkmcnt(1)
	v_pk_mul_f32 v[16:17], v[38:39], v[16:17] op_sel_hi:[1,0]
	v_fmac_f32_e32 v59, v35, v94
	v_mul_f32_e32 v61, v36, v95
	v_fma_f32 v58, v34, v94, -v4
	v_mul_f32_e32 v4, v37, v95
	s_waitcnt vmcnt(12)
	v_pk_fma_f32 v[18:19], v[38:39], v[46:47], v[16:17] op_sel:[0,0,1] op_sel_hi:[1,1,0] neg_lo:[0,0,1] neg_hi:[0,0,1]
	v_pk_fma_f32 v[16:17], v[38:39], v[46:47], v[16:17] op_sel:[0,0,1] op_sel_hi:[1,0,0]
	v_fmac_f32_e32 v61, v37, v96
	v_fma_f32 v60, v36, v96, -v4
	v_pk_add_f32 v[14:15], v[56:57], v[58:59]
	v_mov_b32_e32 v16, v45
	v_pk_add_f32 v[14:15], v[14:15], v[60:61]
	v_mov_b32_e32 v19, v17
	s_waitcnt lgkmcnt(0)
	v_pk_mul_f32 v[16:17], v[40:41], v[16:17] op_sel_hi:[1,0]
	v_pk_add_f32 v[14:15], v[14:15], v[18:19]
	v_pk_fma_f32 v[18:19], v[40:41], v[44:45], v[16:17] op_sel:[0,0,1] op_sel_hi:[1,1,0] neg_lo:[0,0,1] neg_hi:[0,0,1]
	v_pk_fma_f32 v[16:17], v[40:41], v[44:45], v[16:17] op_sel:[0,0,1] op_sel_hi:[1,0,0]
	s_waitcnt vmcnt(11)
	v_mov_b32_e32 v16, v49
	ds_read_b128 v[4:7], v1 offset:912
	ds_read_b128 v[8:11], v1 offset:928
	ds_read_b64 v[12:13], v1 offset:944
	v_mov_b32_e32 v19, v17
	v_pk_mul_f32 v[16:17], v[42:43], v[16:17] op_sel_hi:[1,0]
	v_pk_add_f32 v[14:15], v[14:15], v[18:19]
	s_waitcnt vmcnt(4)
	v_pk_fma_f32 v[18:19], v[42:43], v[48:49], v[16:17] op_sel:[0,0,1] op_sel_hi:[1,1,0] neg_lo:[0,0,1] neg_hi:[0,0,1]
	v_pk_fma_f32 v[16:17], v[42:43], v[48:49], v[16:17] op_sel:[0,0,1] op_sel_hi:[1,0,0]
	v_mov_b32_e32 v16, v55
	v_mov_b32_e32 v19, v17
	s_waitcnt lgkmcnt(2)
	v_pk_mul_f32 v[16:17], v[4:5], v[16:17] op_sel_hi:[1,0]
	v_pk_add_f32 v[14:15], v[14:15], v[18:19]
	v_pk_fma_f32 v[18:19], v[4:5], v[54:55], v[16:17] op_sel:[0,0,1] op_sel_hi:[1,1,0] neg_lo:[0,0,1] neg_hi:[0,0,1]
	v_pk_fma_f32 v[4:5], v[4:5], v[54:55], v[16:17] op_sel:[0,0,1] op_sel_hi:[1,0,0]
	v_mov_b32_e32 v19, v5
	v_pk_add_f32 v[4:5], v[14:15], v[18:19]
	v_mov_b32_e32 v14, v53
	v_pk_mul_f32 v[14:15], v[6:7], v[14:15] op_sel_hi:[1,0]
	v_pk_fma_f32 v[16:17], v[6:7], v[52:53], v[14:15] op_sel:[0,0,1] op_sel_hi:[1,1,0] neg_lo:[0,0,1] neg_hi:[0,0,1]
	v_pk_fma_f32 v[6:7], v[6:7], v[52:53], v[14:15] op_sel:[0,0,1] op_sel_hi:[1,0,0]
	v_mov_b32_e32 v6, v51
	v_mov_b32_e32 v17, v7
	s_waitcnt lgkmcnt(1)
	v_pk_mul_f32 v[6:7], v[8:9], v[6:7] op_sel_hi:[1,0]
	v_pk_fma_f32 v[14:15], v[8:9], v[50:51], v[6:7] op_sel:[0,0,1] op_sel_hi:[1,1,0] neg_lo:[0,0,1] neg_hi:[0,0,1]
	v_pk_fma_f32 v[6:7], v[8:9], v[50:51], v[6:7] op_sel:[0,0,1] op_sel_hi:[1,0,0]
	s_waitcnt vmcnt(1)
	v_mov_b32_e32 v6, v65
	v_mov_b32_e32 v15, v7
	v_pk_mul_f32 v[6:7], v[10:11], v[6:7] op_sel_hi:[1,0]
	s_waitcnt vmcnt(0)
	v_pk_fma_f32 v[8:9], v[10:11], v[64:65], v[6:7] op_sel:[0,0,1] op_sel_hi:[1,1,0] neg_lo:[0,0,1] neg_hi:[0,0,1]
	v_pk_fma_f32 v[6:7], v[10:11], v[64:65], v[6:7] op_sel:[0,0,1] op_sel_hi:[1,0,0]
	v_pk_add_f32 v[4:5], v[4:5], v[16:17]
	v_mov_b32_e32 v6, v63
	v_pk_add_f32 v[4:5], v[4:5], v[14:15]
	v_mov_b32_e32 v9, v7
	s_waitcnt lgkmcnt(0)
	v_pk_mul_f32 v[6:7], v[12:13], v[6:7] op_sel_hi:[1,0]
	v_pk_add_f32 v[4:5], v[4:5], v[8:9]
	v_pk_fma_f32 v[8:9], v[12:13], v[62:63], v[6:7] op_sel:[0,0,1] op_sel_hi:[1,1,0] neg_lo:[0,0,1] neg_hi:[0,0,1]
	v_pk_fma_f32 v[6:7], v[12:13], v[62:63], v[6:7] op_sel:[0,0,1] op_sel_hi:[1,0,0]
	v_mov_b32_e32 v9, v7
	v_pk_add_f32 v[4:5], v[4:5], v[8:9]
	v_pk_add_f32 v[2:3], v[2:3], v[4:5] neg_lo:[0,1] neg_hi:[0,1]
	buffer_store_dword v3, off, s[0:3], 0 offset:268
	buffer_store_dword v2, off, s[0:3], 0 offset:264
	s_and_saveexec_b64 s[4:5], vcc
	s_cbranch_execz .LBB122_303
; %bb.302:
	buffer_load_dword v2, off, s[0:3], 0 offset:256
	buffer_load_dword v3, off, s[0:3], 0 offset:260
	s_waitcnt vmcnt(0)
	ds_write_b64 v187, v[2:3]
	buffer_store_dword v1, off, s[0:3], 0 offset:256
	buffer_store_dword v1, off, s[0:3], 0 offset:260
.LBB122_303:
	s_or_b64 exec, exec, s[4:5]
	s_waitcnt lgkmcnt(0)
	; wave barrier
	s_waitcnt lgkmcnt(0)
	buffer_load_dword v54, off, s[0:3], 0 offset:268
	buffer_load_dword v56, off, s[0:3], 0 offset:276
	;; [unrolled: 1-line block ×38, first 2 shown]
	ds_read2_b64 v[2:5], v1 offset0:93 offset1:94
	ds_read2_b64 v[6:9], v1 offset0:95 offset1:96
	;; [unrolled: 1-line block ×8, first 2 shown]
	buffer_load_dword v45, off, s[0:3], 0 offset:412
	buffer_load_dword v44, off, s[0:3], 0 offset:408
	;; [unrolled: 1-line block ×4, first 2 shown]
	v_cmp_lt_u32_e32 vcc, 31, v0
	s_waitcnt vmcnt(41) lgkmcnt(7)
	v_mul_f32_e32 v34, v2, v54
	s_waitcnt vmcnt(40)
	v_mul_f32_e32 v35, v4, v56
	s_waitcnt vmcnt(39) lgkmcnt(6)
	v_mul_f32_e32 v36, v6, v58
	s_waitcnt vmcnt(38)
	v_mul_f32_e32 v37, v8, v66
	;; [unrolled: 4-line block ×7, first 2 shown]
	s_waitcnt vmcnt(27) lgkmcnt(0)
	v_mul_f32_e32 v55, v30, v77
	s_waitcnt vmcnt(26)
	v_fmac_f32_e32 v34, v3, v78
	s_waitcnt vmcnt(25)
	v_fmac_f32_e32 v35, v5, v79
	v_add_f32_e32 v34, 0, v34
	s_waitcnt vmcnt(24)
	v_fmac_f32_e32 v36, v7, v80
	v_add_f32_e32 v34, v34, v35
	;; [unrolled: 3-line block ×13, first 2 shown]
	v_add_f32_e32 v34, v34, v53
	buffer_load_dword v49, off, s[0:3], 0 offset:436
	buffer_load_dword v48, off, s[0:3], 0 offset:432
	buffer_load_dword v51, off, s[0:3], 0 offset:428
	buffer_load_dword v50, off, s[0:3], 0 offset:424
	buffer_load_dword v53, off, s[0:3], 0 offset:420
	buffer_load_dword v52, off, s[0:3], 0 offset:416
	s_waitcnt vmcnt(18)
	v_fmac_f32_e32 v55, v31, v92
	s_waitcnt vmcnt(17)
	v_mul_f32_e32 v39, v32, v93
	v_add_f32_e32 v38, v34, v55
	s_waitcnt vmcnt(16)
	v_fmac_f32_e32 v39, v33, v94
	ds_read2_b64 v[34:37], v1 offset0:109 offset1:110
	v_add_f32_e32 v55, v38, v39
	ds_read2_b64 v[38:41], v1 offset0:111 offset1:112
	buffer_load_dword v61, off, s[0:3], 0 offset:468
	buffer_load_dword v60, off, s[0:3], 0 offset:464
	;; [unrolled: 1-line block ×6, first 2 shown]
	v_mul_f32_e32 v3, v3, v54
	v_fma_f32 v2, v2, v78, -v3
	v_mul_f32_e32 v3, v5, v56
	v_add_f32_e32 v2, 0, v2
	v_fma_f32 v3, v4, v79, -v3
	v_add_f32_e32 v2, v2, v3
	v_mul_f32_e32 v3, v7, v58
	v_fma_f32 v3, v6, v80, -v3
	v_add_f32_e32 v2, v2, v3
	v_mul_f32_e32 v3, v9, v66
	;; [unrolled: 3-line block ×14, first 2 shown]
	v_fma_f32 v3, v32, v94, -v3
	s_waitcnt vmcnt(15)
	v_mov_b32_e32 v16, v45
	s_waitcnt lgkmcnt(1)
	v_mul_f32_e32 v57, v34, v95
	v_add_f32_e32 v54, v2, v3
	v_mul_f32_e32 v2, v35, v95
	s_waitcnt lgkmcnt(0)
	v_pk_mul_f32 v[16:17], v[38:39], v[16:17] op_sel_hi:[1,0]
	v_fmac_f32_e32 v57, v35, v96
	v_mul_f32_e32 v59, v36, v97
	v_fma_f32 v56, v34, v96, -v2
	v_mul_f32_e32 v2, v37, v97
	s_waitcnt vmcnt(14)
	v_pk_fma_f32 v[18:19], v[38:39], v[44:45], v[16:17] op_sel:[0,0,1] op_sel_hi:[1,1,0] neg_lo:[0,0,1] neg_hi:[0,0,1]
	v_pk_fma_f32 v[16:17], v[38:39], v[44:45], v[16:17] op_sel:[0,0,1] op_sel_hi:[1,0,0]
	v_fmac_f32_e32 v59, v37, v98
	v_fma_f32 v58, v36, v98, -v2
	v_pk_add_f32 v[14:15], v[54:55], v[56:57]
	ds_read2_b64 v[2:5], v1 offset0:113 offset1:114
	ds_read2_b64 v[6:9], v1 offset0:115 offset1:116
	ds_read2_b64 v[10:13], v1 offset0:117 offset1:118
	v_pk_add_f32 v[14:15], v[14:15], v[58:59]
	v_mov_b32_e32 v19, v17
	v_pk_add_f32 v[14:15], v[14:15], v[18:19]
	s_waitcnt vmcnt(7)
	v_mov_b32_e32 v16, v53
	v_pk_mul_f32 v[16:17], v[40:41], v[16:17] op_sel_hi:[1,0]
	s_waitcnt vmcnt(6)
	v_pk_fma_f32 v[18:19], v[40:41], v[52:53], v[16:17] op_sel:[0,0,1] op_sel_hi:[1,1,0] neg_lo:[0,0,1] neg_hi:[0,0,1]
	v_pk_fma_f32 v[16:17], v[40:41], v[52:53], v[16:17] op_sel:[0,0,1] op_sel_hi:[1,0,0]
	v_mov_b32_e32 v16, v51
	v_mov_b32_e32 v19, v17
	s_waitcnt lgkmcnt(2)
	v_pk_mul_f32 v[16:17], v[2:3], v[16:17] op_sel_hi:[1,0]
	v_pk_add_f32 v[14:15], v[14:15], v[18:19]
	v_pk_fma_f32 v[18:19], v[2:3], v[50:51], v[16:17] op_sel:[0,0,1] op_sel_hi:[1,1,0] neg_lo:[0,0,1] neg_hi:[0,0,1]
	v_pk_fma_f32 v[2:3], v[2:3], v[50:51], v[16:17] op_sel:[0,0,1] op_sel_hi:[1,0,0]
	v_mov_b32_e32 v19, v3
	v_pk_add_f32 v[2:3], v[14:15], v[18:19]
	v_mov_b32_e32 v14, v49
	v_pk_mul_f32 v[14:15], v[4:5], v[14:15] op_sel_hi:[1,0]
	v_pk_fma_f32 v[16:17], v[4:5], v[48:49], v[14:15] op_sel:[0,0,1] op_sel_hi:[1,1,0] neg_lo:[0,0,1] neg_hi:[0,0,1]
	v_pk_fma_f32 v[4:5], v[4:5], v[48:49], v[14:15] op_sel:[0,0,1] op_sel_hi:[1,0,0]
	v_mov_b32_e32 v4, v47
	v_mov_b32_e32 v17, v5
	s_waitcnt lgkmcnt(1)
	v_pk_mul_f32 v[4:5], v[6:7], v[4:5] op_sel_hi:[1,0]
	v_pk_fma_f32 v[14:15], v[6:7], v[46:47], v[4:5] op_sel:[0,0,1] op_sel_hi:[1,1,0] neg_lo:[0,0,1] neg_hi:[0,0,1]
	v_pk_fma_f32 v[4:5], v[6:7], v[46:47], v[4:5] op_sel:[0,0,1] op_sel_hi:[1,0,0]
	s_waitcnt vmcnt(1)
	v_mov_b32_e32 v4, v65
	v_mov_b32_e32 v15, v5
	v_pk_mul_f32 v[4:5], v[8:9], v[4:5] op_sel_hi:[1,0]
	s_waitcnt vmcnt(0)
	v_pk_fma_f32 v[6:7], v[8:9], v[64:65], v[4:5] op_sel:[0,0,1] op_sel_hi:[1,1,0] neg_lo:[0,0,1] neg_hi:[0,0,1]
	v_pk_fma_f32 v[4:5], v[8:9], v[64:65], v[4:5] op_sel:[0,0,1] op_sel_hi:[1,0,0]
	v_pk_add_f32 v[2:3], v[2:3], v[16:17]
	v_mov_b32_e32 v4, v63
	v_pk_add_f32 v[2:3], v[2:3], v[14:15]
	v_mov_b32_e32 v7, v5
	s_waitcnt lgkmcnt(0)
	v_pk_mul_f32 v[4:5], v[10:11], v[4:5] op_sel_hi:[1,0]
	v_pk_add_f32 v[2:3], v[2:3], v[6:7]
	v_pk_fma_f32 v[6:7], v[10:11], v[62:63], v[4:5] op_sel:[0,0,1] op_sel_hi:[1,1,0] neg_lo:[0,0,1] neg_hi:[0,0,1]
	v_pk_fma_f32 v[4:5], v[10:11], v[62:63], v[4:5] op_sel:[0,0,1] op_sel_hi:[1,0,0]
	v_mov_b32_e32 v4, v61
	v_mov_b32_e32 v7, v5
	v_pk_mul_f32 v[4:5], v[12:13], v[4:5] op_sel_hi:[1,0]
	v_pk_add_f32 v[2:3], v[2:3], v[6:7]
	v_pk_fma_f32 v[6:7], v[12:13], v[60:61], v[4:5] op_sel:[0,0,1] op_sel_hi:[1,1,0] neg_lo:[0,0,1] neg_hi:[0,0,1]
	v_pk_fma_f32 v[4:5], v[12:13], v[60:61], v[4:5] op_sel:[0,0,1] op_sel_hi:[1,0,0]
	v_mov_b32_e32 v7, v5
	v_pk_add_f32 v[2:3], v[2:3], v[6:7]
	v_pk_add_f32 v[2:3], v[42:43], v[2:3] neg_lo:[0,1] neg_hi:[0,1]
	buffer_store_dword v3, off, s[0:3], 0 offset:260
	buffer_store_dword v2, off, s[0:3], 0 offset:256
	s_and_saveexec_b64 s[4:5], vcc
	s_cbranch_execz .LBB122_305
; %bb.304:
	buffer_load_dword v2, off, s[0:3], 0 offset:248
	buffer_load_dword v3, off, s[0:3], 0 offset:252
	v_mov_b32_e32 v1, 0
	buffer_store_dword v1, off, s[0:3], 0 offset:248
	buffer_store_dword v1, off, s[0:3], 0 offset:252
	s_waitcnt vmcnt(2)
	ds_write_b64 v187, v[2:3]
.LBB122_305:
	s_or_b64 exec, exec, s[4:5]
	s_waitcnt lgkmcnt(0)
	; wave barrier
	s_waitcnt lgkmcnt(0)
	buffer_load_dword v52, off, s[0:3], 0 offset:260
	buffer_load_dword v54, off, s[0:3], 0 offset:268
	;; [unrolled: 1-line block ×40, first 2 shown]
	v_mov_b32_e32 v1, 0
	ds_read_b128 v[4:7], v1 offset:736
	ds_read_b128 v[8:11], v1 offset:752
	;; [unrolled: 1-line block ×8, first 2 shown]
	v_cmp_lt_u32_e32 vcc, 30, v0
	s_waitcnt vmcnt(39) lgkmcnt(7)
	v_mul_f32_e32 v36, v4, v52
	s_waitcnt vmcnt(38)
	v_mul_f32_e32 v37, v6, v54
	s_waitcnt vmcnt(37) lgkmcnt(6)
	v_mul_f32_e32 v38, v8, v56
	s_waitcnt vmcnt(36)
	v_mul_f32_e32 v39, v10, v66
	;; [unrolled: 4-line block ×8, first 2 shown]
	s_waitcnt vmcnt(23)
	v_fmac_f32_e32 v36, v5, v79
	s_waitcnt vmcnt(22)
	v_fmac_f32_e32 v37, v7, v80
	v_add_f32_e32 v36, 0, v36
	s_waitcnt vmcnt(21)
	v_fmac_f32_e32 v38, v9, v81
	v_add_f32_e32 v36, v36, v37
	s_waitcnt vmcnt(20)
	v_fmac_f32_e32 v39, v11, v82
	v_add_f32_e32 v36, v36, v38
	s_waitcnt vmcnt(19)
	v_fmac_f32_e32 v40, v13, v83
	v_add_f32_e32 v36, v36, v39
	s_waitcnt vmcnt(18)
	v_fmac_f32_e32 v41, v15, v84
	v_add_f32_e32 v36, v36, v40
	s_waitcnt vmcnt(17)
	v_fmac_f32_e32 v42, v17, v85
	v_add_f32_e32 v36, v36, v41
	s_waitcnt vmcnt(16)
	v_fmac_f32_e32 v43, v19, v86
	v_add_f32_e32 v36, v36, v42
	s_waitcnt vmcnt(15)
	v_fmac_f32_e32 v44, v21, v87
	v_add_f32_e32 v36, v36, v43
	s_waitcnt vmcnt(14)
	v_fmac_f32_e32 v45, v23, v88
	v_add_f32_e32 v36, v36, v44
	s_waitcnt vmcnt(13)
	v_fmac_f32_e32 v46, v25, v89
	v_add_f32_e32 v36, v36, v45
	s_waitcnt vmcnt(12)
	v_fmac_f32_e32 v47, v27, v90
	v_add_f32_e32 v36, v36, v46
	s_waitcnt vmcnt(11)
	v_fmac_f32_e32 v48, v29, v91
	v_add_f32_e32 v36, v36, v47
	s_waitcnt vmcnt(10)
	v_fmac_f32_e32 v49, v31, v92
	v_add_f32_e32 v36, v36, v48
	s_waitcnt vmcnt(9)
	v_fmac_f32_e32 v50, v33, v93
	v_add_f32_e32 v36, v36, v49
	v_add_f32_e32 v36, v36, v50
	s_waitcnt vmcnt(8)
	v_fmac_f32_e32 v51, v35, v94
	v_add_f32_e32 v53, v36, v51
	ds_read_b128 v[36:39], v1 offset:864
	buffer_load_dword v45, off, s[0:3], 0 offset:412
	buffer_load_dword v47, off, s[0:3], 0 offset:436
	;; [unrolled: 1-line block ×8, first 2 shown]
	ds_read_b128 v[40:43], v1 offset:880
	buffer_load_dword v59, off, s[0:3], 0 offset:468
	buffer_load_dword v58, off, s[0:3], 0 offset:464
	;; [unrolled: 1-line block ×8, first 2 shown]
	v_mul_f32_e32 v5, v5, v52
	v_fma_f32 v4, v4, v79, -v5
	v_mul_f32_e32 v5, v7, v54
	v_add_f32_e32 v4, 0, v4
	v_fma_f32 v5, v6, v80, -v5
	v_add_f32_e32 v4, v4, v5
	v_mul_f32_e32 v5, v9, v56
	v_fma_f32 v5, v8, v81, -v5
	v_add_f32_e32 v4, v4, v5
	v_mul_f32_e32 v5, v11, v66
	;; [unrolled: 3-line block ×14, first 2 shown]
	v_fma_f32 v5, v34, v94, -v5
	v_add_f32_e32 v4, v4, v5
	s_waitcnt vmcnt(23) lgkmcnt(1)
	v_mul_f32_e32 v5, v37, v95
	v_mul_f32_e32 v55, v36, v95
	s_waitcnt vmcnt(22)
	v_fma_f32 v5, v36, v96, -v5
	v_fmac_f32_e32 v55, v37, v96
	v_add_f32_e32 v52, v4, v5
	s_waitcnt vmcnt(21)
	v_mul_f32_e32 v4, v39, v97
	v_add_f32_e32 v53, v53, v55
	v_mul_f32_e32 v55, v38, v97
	s_waitcnt vmcnt(20)
	v_fma_f32 v54, v38, v98, -v4
	s_waitcnt vmcnt(19) lgkmcnt(0)
	v_mul_f32_e32 v4, v41, v99
	v_fmac_f32_e32 v55, v39, v98
	v_mul_f32_e32 v57, v40, v99
	s_waitcnt vmcnt(18)
	v_fma_f32 v56, v40, v100, -v4
	ds_read_b128 v[4:7], v1 offset:896
	ds_read_b128 v[8:11], v1 offset:912
	;; [unrolled: 1-line block ×3, first 2 shown]
	ds_read_b64 v[16:17], v1 offset:944
	v_fmac_f32_e32 v57, v41, v100
	v_pk_add_f32 v[18:19], v[52:53], v[54:55]
	v_pk_add_f32 v[18:19], v[18:19], v[56:57]
	s_waitcnt vmcnt(15)
	v_mov_b32_e32 v20, v45
	v_pk_mul_f32 v[20:21], v[42:43], v[20:21] op_sel_hi:[1,0]
	s_waitcnt vmcnt(8)
	v_pk_fma_f32 v[22:23], v[42:43], v[44:45], v[20:21] op_sel:[0,0,1] op_sel_hi:[1,1,0] neg_lo:[0,0,1] neg_hi:[0,0,1]
	v_pk_fma_f32 v[20:21], v[42:43], v[44:45], v[20:21] op_sel:[0,0,1] op_sel_hi:[1,0,0]
	v_mov_b32_e32 v20, v51
	v_mov_b32_e32 v23, v21
	s_waitcnt lgkmcnt(3)
	v_pk_mul_f32 v[20:21], v[4:5], v[20:21] op_sel_hi:[1,0]
	v_pk_add_f32 v[18:19], v[18:19], v[22:23]
	v_pk_fma_f32 v[22:23], v[4:5], v[50:51], v[20:21] op_sel:[0,0,1] op_sel_hi:[1,1,0] neg_lo:[0,0,1] neg_hi:[0,0,1]
	v_pk_fma_f32 v[4:5], v[4:5], v[50:51], v[20:21] op_sel:[0,0,1] op_sel_hi:[1,0,0]
	v_mov_b32_e32 v23, v5
	v_pk_add_f32 v[4:5], v[18:19], v[22:23]
	v_mov_b32_e32 v18, v49
	v_pk_mul_f32 v[18:19], v[6:7], v[18:19] op_sel_hi:[1,0]
	v_pk_fma_f32 v[20:21], v[6:7], v[48:49], v[18:19] op_sel:[0,0,1] op_sel_hi:[1,1,0] neg_lo:[0,0,1] neg_hi:[0,0,1]
	v_pk_fma_f32 v[6:7], v[6:7], v[48:49], v[18:19] op_sel:[0,0,1] op_sel_hi:[1,0,0]
	v_mov_b32_e32 v6, v47
	v_mov_b32_e32 v21, v7
	s_waitcnt lgkmcnt(2)
	v_pk_mul_f32 v[6:7], v[8:9], v[6:7] op_sel_hi:[1,0]
	v_pk_fma_f32 v[18:19], v[8:9], v[46:47], v[6:7] op_sel:[0,0,1] op_sel_hi:[1,1,0] neg_lo:[0,0,1] neg_hi:[0,0,1]
	v_pk_fma_f32 v[6:7], v[8:9], v[46:47], v[6:7] op_sel:[0,0,1] op_sel_hi:[1,0,0]
	s_waitcnt vmcnt(1)
	v_mov_b32_e32 v6, v65
	v_mov_b32_e32 v19, v7
	v_pk_mul_f32 v[6:7], v[10:11], v[6:7] op_sel_hi:[1,0]
	s_waitcnt vmcnt(0)
	v_pk_fma_f32 v[8:9], v[10:11], v[64:65], v[6:7] op_sel:[0,0,1] op_sel_hi:[1,1,0] neg_lo:[0,0,1] neg_hi:[0,0,1]
	v_pk_fma_f32 v[6:7], v[10:11], v[64:65], v[6:7] op_sel:[0,0,1] op_sel_hi:[1,0,0]
	v_pk_add_f32 v[4:5], v[4:5], v[20:21]
	v_mov_b32_e32 v6, v63
	v_pk_add_f32 v[4:5], v[4:5], v[18:19]
	v_mov_b32_e32 v9, v7
	s_waitcnt lgkmcnt(1)
	v_pk_mul_f32 v[6:7], v[12:13], v[6:7] op_sel_hi:[1,0]
	v_pk_add_f32 v[4:5], v[4:5], v[8:9]
	v_pk_fma_f32 v[8:9], v[12:13], v[62:63], v[6:7] op_sel:[0,0,1] op_sel_hi:[1,1,0] neg_lo:[0,0,1] neg_hi:[0,0,1]
	v_pk_fma_f32 v[6:7], v[12:13], v[62:63], v[6:7] op_sel:[0,0,1] op_sel_hi:[1,0,0]
	v_mov_b32_e32 v6, v61
	v_mov_b32_e32 v9, v7
	v_pk_mul_f32 v[6:7], v[14:15], v[6:7] op_sel_hi:[1,0]
	v_pk_add_f32 v[4:5], v[4:5], v[8:9]
	v_pk_fma_f32 v[8:9], v[14:15], v[60:61], v[6:7] op_sel:[0,0,1] op_sel_hi:[1,1,0] neg_lo:[0,0,1] neg_hi:[0,0,1]
	v_pk_fma_f32 v[6:7], v[14:15], v[60:61], v[6:7] op_sel:[0,0,1] op_sel_hi:[1,0,0]
	v_mov_b32_e32 v6, v59
	v_mov_b32_e32 v9, v7
	s_waitcnt lgkmcnt(0)
	v_pk_mul_f32 v[6:7], v[16:17], v[6:7] op_sel_hi:[1,0]
	v_pk_add_f32 v[4:5], v[4:5], v[8:9]
	v_pk_fma_f32 v[8:9], v[16:17], v[58:59], v[6:7] op_sel:[0,0,1] op_sel_hi:[1,1,0] neg_lo:[0,0,1] neg_hi:[0,0,1]
	v_pk_fma_f32 v[6:7], v[16:17], v[58:59], v[6:7] op_sel:[0,0,1] op_sel_hi:[1,0,0]
	v_mov_b32_e32 v9, v7
	v_pk_add_f32 v[4:5], v[4:5], v[8:9]
	v_pk_add_f32 v[2:3], v[2:3], v[4:5] neg_lo:[0,1] neg_hi:[0,1]
	buffer_store_dword v3, off, s[0:3], 0 offset:252
	buffer_store_dword v2, off, s[0:3], 0 offset:248
	s_and_saveexec_b64 s[4:5], vcc
	s_cbranch_execz .LBB122_307
; %bb.306:
	buffer_load_dword v2, off, s[0:3], 0 offset:240
	buffer_load_dword v3, off, s[0:3], 0 offset:244
	s_waitcnt vmcnt(0)
	ds_write_b64 v187, v[2:3]
	buffer_store_dword v1, off, s[0:3], 0 offset:240
	buffer_store_dword v1, off, s[0:3], 0 offset:244
.LBB122_307:
	s_or_b64 exec, exec, s[4:5]
	s_waitcnt lgkmcnt(0)
	; wave barrier
	s_waitcnt lgkmcnt(0)
	buffer_load_dword v44, off, s[0:3], 0 offset:252
	buffer_load_dword v46, off, s[0:3], 0 offset:260
	;; [unrolled: 1-line block ×42, first 2 shown]
	ds_read2_b64 v[4:7], v1 offset0:91 offset1:92
	ds_read2_b64 v[8:11], v1 offset0:93 offset1:94
	ds_read2_b64 v[12:15], v1 offset0:95 offset1:96
	ds_read2_b64 v[16:19], v1 offset0:97 offset1:98
	ds_read2_b64 v[20:23], v1 offset0:99 offset1:100
	ds_read2_b64 v[24:27], v1 offset0:101 offset1:102
	ds_read2_b64 v[28:31], v1 offset0:103 offset1:104
	ds_read2_b64 v[32:35], v1 offset0:105 offset1:106
	v_cmp_lt_u32_e32 vcc, 29, v0
	s_waitcnt vmcnt(41) lgkmcnt(7)
	v_mul_f32_e32 v36, v4, v44
	s_waitcnt vmcnt(40)
	v_mul_f32_e32 v37, v6, v46
	s_waitcnt vmcnt(39) lgkmcnt(6)
	v_mul_f32_e32 v38, v8, v54
	s_waitcnt vmcnt(38)
	v_mul_f32_e32 v39, v10, v66
	;; [unrolled: 4-line block ×7, first 2 shown]
	s_waitcnt vmcnt(27) lgkmcnt(0)
	v_mul_f32_e32 v52, v32, v77
	s_waitcnt vmcnt(26)
	v_fmac_f32_e32 v36, v5, v78
	s_waitcnt vmcnt(25)
	v_fmac_f32_e32 v37, v7, v79
	v_add_f32_e32 v36, 0, v36
	s_waitcnt vmcnt(24)
	v_fmac_f32_e32 v38, v9, v80
	v_add_f32_e32 v36, v36, v37
	;; [unrolled: 3-line block ×14, first 2 shown]
	s_waitcnt vmcnt(11)
	v_mul_f32_e32 v41, v34, v93
	v_add_f32_e32 v40, v36, v52
	s_waitcnt vmcnt(10)
	v_fmac_f32_e32 v41, v35, v94
	ds_read2_b64 v[36:39], v1 offset0:107 offset1:108
	v_add_f32_e32 v45, v40, v41
	ds_read2_b64 v[40:43], v1 offset0:109 offset1:110
	buffer_load_dword v49, off, s[0:3], 0 offset:412
	buffer_load_dword v51, off, s[0:3], 0 offset:428
	;; [unrolled: 1-line block ×16, first 2 shown]
	v_mul_f32_e32 v5, v5, v44
	v_fma_f32 v4, v4, v78, -v5
	v_mul_f32_e32 v5, v7, v46
	v_add_f32_e32 v4, 0, v4
	v_fma_f32 v5, v6, v79, -v5
	v_add_f32_e32 v4, v4, v5
	v_mul_f32_e32 v5, v9, v54
	v_fma_f32 v5, v8, v80, -v5
	v_add_f32_e32 v4, v4, v5
	v_mul_f32_e32 v5, v11, v66
	;; [unrolled: 3-line block ×14, first 2 shown]
	v_fma_f32 v5, v34, v94, -v5
	v_add_f32_e32 v4, v4, v5
	s_waitcnt vmcnt(25) lgkmcnt(1)
	v_mul_f32_e32 v5, v37, v95
	s_waitcnt vmcnt(24)
	v_fma_f32 v5, v36, v96, -v5
	v_add_f32_e32 v4, v4, v5
	s_waitcnt vmcnt(23)
	v_mul_f32_e32 v5, v39, v97
	v_mul_f32_e32 v47, v36, v95
	s_waitcnt vmcnt(22)
	v_fma_f32 v5, v38, v98, -v5
	v_fmac_f32_e32 v47, v37, v96
	v_add_f32_e32 v44, v4, v5
	s_waitcnt vmcnt(21) lgkmcnt(0)
	v_mul_f32_e32 v4, v41, v99
	v_add_f32_e32 v45, v45, v47
	v_mul_f32_e32 v47, v38, v97
	s_waitcnt vmcnt(20)
	v_fma_f32 v46, v40, v100, -v4
	s_waitcnt vmcnt(19)
	v_mul_f32_e32 v4, v43, v101
	v_fmac_f32_e32 v47, v39, v98
	s_waitcnt vmcnt(18)
	v_fma_f32 v54, v42, v104, -v4
	ds_read2_b64 v[4:7], v1 offset0:111 offset1:112
	ds_read2_b64 v[8:11], v1 offset0:113 offset1:114
	;; [unrolled: 1-line block ×4, first 2 shown]
	v_add_f32_e32 v45, v45, v47
	v_mul_f32_e32 v47, v40, v99
	v_fmac_f32_e32 v47, v41, v100
	v_mul_f32_e32 v55, v42, v101
	v_fmac_f32_e32 v55, v43, v104
	v_pk_add_f32 v[20:21], v[44:45], v[46:47]
	v_pk_add_f32 v[20:21], v[20:21], v[54:55]
	s_waitcnt vmcnt(15)
	v_mov_b32_e32 v22, v49
	s_waitcnt lgkmcnt(3)
	v_pk_mul_f32 v[22:23], v[4:5], v[22:23] op_sel_hi:[1,0]
	s_waitcnt vmcnt(10)
	v_pk_fma_f32 v[24:25], v[4:5], v[48:49], v[22:23] op_sel:[0,0,1] op_sel_hi:[1,1,0] neg_lo:[0,0,1] neg_hi:[0,0,1]
	v_pk_fma_f32 v[4:5], v[4:5], v[48:49], v[22:23] op_sel:[0,0,1] op_sel_hi:[1,0,0]
	v_mov_b32_e32 v25, v5
	v_pk_add_f32 v[4:5], v[20:21], v[24:25]
	v_mov_b32_e32 v20, v53
	v_pk_mul_f32 v[20:21], v[6:7], v[20:21] op_sel_hi:[1,0]
	v_pk_fma_f32 v[22:23], v[6:7], v[52:53], v[20:21] op_sel:[0,0,1] op_sel_hi:[1,1,0] neg_lo:[0,0,1] neg_hi:[0,0,1]
	v_pk_fma_f32 v[6:7], v[6:7], v[52:53], v[20:21] op_sel:[0,0,1] op_sel_hi:[1,0,0]
	v_mov_b32_e32 v6, v51
	v_mov_b32_e32 v23, v7
	s_waitcnt lgkmcnt(2)
	v_pk_mul_f32 v[6:7], v[8:9], v[6:7] op_sel_hi:[1,0]
	v_pk_fma_f32 v[20:21], v[8:9], v[50:51], v[6:7] op_sel:[0,0,1] op_sel_hi:[1,1,0] neg_lo:[0,0,1] neg_hi:[0,0,1]
	v_pk_fma_f32 v[6:7], v[8:9], v[50:51], v[6:7] op_sel:[0,0,1] op_sel_hi:[1,0,0]
	s_waitcnt vmcnt(3)
	v_mov_b32_e32 v6, v63
	v_mov_b32_e32 v21, v7
	v_pk_mul_f32 v[6:7], v[10:11], v[6:7] op_sel_hi:[1,0]
	s_waitcnt vmcnt(2)
	v_pk_fma_f32 v[8:9], v[10:11], v[62:63], v[6:7] op_sel:[0,0,1] op_sel_hi:[1,1,0] neg_lo:[0,0,1] neg_hi:[0,0,1]
	v_pk_fma_f32 v[6:7], v[10:11], v[62:63], v[6:7] op_sel:[0,0,1] op_sel_hi:[1,0,0]
	v_pk_add_f32 v[4:5], v[4:5], v[22:23]
	v_mov_b32_e32 v6, v61
	v_pk_add_f32 v[4:5], v[4:5], v[20:21]
	v_mov_b32_e32 v9, v7
	s_waitcnt lgkmcnt(1)
	v_pk_mul_f32 v[6:7], v[12:13], v[6:7] op_sel_hi:[1,0]
	v_pk_add_f32 v[4:5], v[4:5], v[8:9]
	v_pk_fma_f32 v[8:9], v[12:13], v[60:61], v[6:7] op_sel:[0,0,1] op_sel_hi:[1,1,0] neg_lo:[0,0,1] neg_hi:[0,0,1]
	v_pk_fma_f32 v[6:7], v[12:13], v[60:61], v[6:7] op_sel:[0,0,1] op_sel_hi:[1,0,0]
	v_mov_b32_e32 v6, v59
	v_mov_b32_e32 v9, v7
	v_pk_mul_f32 v[6:7], v[14:15], v[6:7] op_sel_hi:[1,0]
	v_pk_add_f32 v[4:5], v[4:5], v[8:9]
	v_pk_fma_f32 v[8:9], v[14:15], v[58:59], v[6:7] op_sel:[0,0,1] op_sel_hi:[1,1,0] neg_lo:[0,0,1] neg_hi:[0,0,1]
	v_pk_fma_f32 v[6:7], v[14:15], v[58:59], v[6:7] op_sel:[0,0,1] op_sel_hi:[1,0,0]
	v_mov_b32_e32 v6, v57
	v_mov_b32_e32 v9, v7
	s_waitcnt lgkmcnt(0)
	v_pk_mul_f32 v[6:7], v[16:17], v[6:7] op_sel_hi:[1,0]
	v_pk_add_f32 v[4:5], v[4:5], v[8:9]
	v_pk_fma_f32 v[8:9], v[16:17], v[56:57], v[6:7] op_sel:[0,0,1] op_sel_hi:[1,1,0] neg_lo:[0,0,1] neg_hi:[0,0,1]
	v_pk_fma_f32 v[6:7], v[16:17], v[56:57], v[6:7] op_sel:[0,0,1] op_sel_hi:[1,0,0]
	s_waitcnt vmcnt(1)
	v_mov_b32_e32 v6, v65
	v_mov_b32_e32 v9, v7
	v_pk_mul_f32 v[6:7], v[18:19], v[6:7] op_sel_hi:[1,0]
	v_pk_add_f32 v[4:5], v[4:5], v[8:9]
	s_waitcnt vmcnt(0)
	v_pk_fma_f32 v[8:9], v[18:19], v[64:65], v[6:7] op_sel:[0,0,1] op_sel_hi:[1,1,0] neg_lo:[0,0,1] neg_hi:[0,0,1]
	v_pk_fma_f32 v[6:7], v[18:19], v[64:65], v[6:7] op_sel:[0,0,1] op_sel_hi:[1,0,0]
	v_mov_b32_e32 v9, v7
	v_pk_add_f32 v[4:5], v[4:5], v[8:9]
	v_pk_add_f32 v[2:3], v[2:3], v[4:5] neg_lo:[0,1] neg_hi:[0,1]
	buffer_store_dword v3, off, s[0:3], 0 offset:244
	buffer_store_dword v2, off, s[0:3], 0 offset:240
	s_and_saveexec_b64 s[4:5], vcc
	s_cbranch_execz .LBB122_309
; %bb.308:
	buffer_load_dword v2, off, s[0:3], 0 offset:232
	buffer_load_dword v3, off, s[0:3], 0 offset:236
	v_mov_b32_e32 v1, 0
	buffer_store_dword v1, off, s[0:3], 0 offset:232
	buffer_store_dword v1, off, s[0:3], 0 offset:236
	s_waitcnt vmcnt(2)
	ds_write_b64 v187, v[2:3]
.LBB122_309:
	s_or_b64 exec, exec, s[4:5]
	s_waitcnt lgkmcnt(0)
	; wave barrier
	s_waitcnt lgkmcnt(0)
	buffer_load_dword v52, off, s[0:3], 0 offset:244
	buffer_load_dword v58, off, s[0:3], 0 offset:252
	;; [unrolled: 1-line block ×44, first 2 shown]
	v_mov_b32_e32 v1, 0
	ds_read_b128 v[4:7], v1 offset:720
	ds_read_b128 v[8:11], v1 offset:736
	;; [unrolled: 1-line block ×8, first 2 shown]
	v_cmp_lt_u32_e32 vcc, 28, v0
	s_waitcnt vmcnt(43) lgkmcnt(7)
	v_mul_f32_e32 v36, v4, v52
	s_waitcnt vmcnt(42)
	v_mul_f32_e32 v37, v6, v58
	s_waitcnt vmcnt(41) lgkmcnt(6)
	v_mul_f32_e32 v38, v8, v60
	s_waitcnt vmcnt(40)
	v_mul_f32_e32 v39, v10, v74
	;; [unrolled: 4-line block ×7, first 2 shown]
	s_waitcnt vmcnt(29)
	v_fmac_f32_e32 v36, v5, v85
	s_waitcnt vmcnt(28)
	v_fmac_f32_e32 v37, v7, v86
	v_add_f32_e32 v36, 0, v36
	s_waitcnt vmcnt(27)
	v_fmac_f32_e32 v38, v9, v87
	v_add_f32_e32 v36, v36, v37
	;; [unrolled: 3-line block ×12, first 2 shown]
	v_add_f32_e32 v36, v36, v48
	s_waitcnt vmcnt(16)
	v_fmac_f32_e32 v49, v31, v98
	s_waitcnt vmcnt(15) lgkmcnt(0)
	v_mul_f32_e32 v37, v32, v99
	v_add_f32_e32 v36, v36, v49
	s_waitcnt vmcnt(14)
	v_fmac_f32_e32 v37, v33, v100
	v_add_f32_e32 v40, v36, v37
	ds_read_b128 v[36:39], v1 offset:848
	s_waitcnt vmcnt(13)
	v_mul_f32_e32 v41, v34, v101
	s_waitcnt vmcnt(12)
	v_fmac_f32_e32 v41, v35, v104
	v_add_f32_e32 v44, v40, v41
	ds_read_b128 v[40:43], v1 offset:864
	s_waitcnt vmcnt(11) lgkmcnt(1)
	v_mul_f32_e32 v45, v36, v105
	s_waitcnt vmcnt(10)
	v_fmac_f32_e32 v45, v37, v106
	v_add_f32_e32 v44, v44, v45
	s_waitcnt vmcnt(9)
	v_mul_f32_e32 v45, v38, v107
	s_waitcnt vmcnt(8)
	v_fmac_f32_e32 v45, v39, v108
	v_add_f32_e32 v44, v44, v45
	s_waitcnt vmcnt(7) lgkmcnt(0)
	v_mul_f32_e32 v45, v40, v109
	s_waitcnt vmcnt(6)
	v_fmac_f32_e32 v45, v41, v110
	v_add_f32_e32 v53, v44, v45
	ds_read_b128 v[44:47], v1 offset:880
	buffer_load_dword v55, off, s[0:3], 0 offset:420
	buffer_load_dword v54, off, s[0:3], 0 offset:416
	;; [unrolled: 1-line block ×4, first 2 shown]
	ds_read_b128 v[48:51], v1 offset:896
	buffer_load_dword v63, off, s[0:3], 0 offset:452
	buffer_load_dword v62, off, s[0:3], 0 offset:448
	;; [unrolled: 1-line block ×12, first 2 shown]
	v_mul_f32_e32 v5, v5, v52
	v_fma_f32 v4, v4, v85, -v5
	v_mul_f32_e32 v5, v7, v58
	v_add_f32_e32 v4, 0, v4
	v_fma_f32 v5, v6, v86, -v5
	v_add_f32_e32 v4, v4, v5
	v_mul_f32_e32 v5, v9, v60
	v_fma_f32 v5, v8, v87, -v5
	v_add_f32_e32 v4, v4, v5
	v_mul_f32_e32 v5, v11, v74
	;; [unrolled: 3-line block ×17, first 2 shown]
	v_fma_f32 v5, v40, v110, -v5
	s_waitcnt vmcnt(21)
	v_mul_f32_e32 v59, v42, v111
	v_add_f32_e32 v52, v4, v5
	v_mul_f32_e32 v4, v43, v111
	s_waitcnt vmcnt(20)
	v_fmac_f32_e32 v59, v43, v112
	s_waitcnt vmcnt(19) lgkmcnt(1)
	v_mul_f32_e32 v61, v44, v113
	v_fma_f32 v58, v42, v112, -v4
	v_mul_f32_e32 v4, v45, v113
	s_waitcnt vmcnt(18)
	v_fmac_f32_e32 v61, v45, v114
	v_fma_f32 v60, v44, v114, -v4
	v_pk_add_f32 v[14:15], v[52:53], v[58:59]
	v_pk_add_f32 v[14:15], v[14:15], v[60:61]
	ds_read_b128 v[4:7], v1 offset:912
	ds_read_b128 v[8:11], v1 offset:928
	ds_read_b64 v[12:13], v1 offset:944
	s_waitcnt vmcnt(13)
	v_mov_b32_e32 v16, v57
	v_pk_mul_f32 v[16:17], v[46:47], v[16:17] op_sel_hi:[1,0]
	s_waitcnt vmcnt(12)
	v_pk_fma_f32 v[18:19], v[46:47], v[56:57], v[16:17] op_sel:[0,0,1] op_sel_hi:[1,1,0] neg_lo:[0,0,1] neg_hi:[0,0,1]
	v_pk_fma_f32 v[16:17], v[46:47], v[56:57], v[16:17] op_sel:[0,0,1] op_sel_hi:[1,0,0]
	v_mov_b32_e32 v16, v55
	v_mov_b32_e32 v19, v17
	s_waitcnt lgkmcnt(3)
	v_pk_mul_f32 v[16:17], v[48:49], v[16:17] op_sel_hi:[1,0]
	v_pk_add_f32 v[14:15], v[14:15], v[18:19]
	v_pk_fma_f32 v[18:19], v[48:49], v[54:55], v[16:17] op_sel:[0,0,1] op_sel_hi:[1,1,0] neg_lo:[0,0,1] neg_hi:[0,0,1]
	v_pk_fma_f32 v[16:17], v[48:49], v[54:55], v[16:17] op_sel:[0,0,1] op_sel_hi:[1,0,0]
	s_waitcnt vmcnt(5)
	v_mov_b32_e32 v16, v69
	v_mov_b32_e32 v19, v17
	v_pk_mul_f32 v[16:17], v[50:51], v[16:17] op_sel_hi:[1,0]
	v_pk_add_f32 v[14:15], v[14:15], v[18:19]
	s_waitcnt vmcnt(4)
	v_pk_fma_f32 v[18:19], v[50:51], v[68:69], v[16:17] op_sel:[0,0,1] op_sel_hi:[1,1,0] neg_lo:[0,0,1] neg_hi:[0,0,1]
	v_pk_fma_f32 v[16:17], v[50:51], v[68:69], v[16:17] op_sel:[0,0,1] op_sel_hi:[1,0,0]
	v_mov_b32_e32 v16, v67
	v_mov_b32_e32 v19, v17
	s_waitcnt lgkmcnt(2)
	v_pk_mul_f32 v[16:17], v[4:5], v[16:17] op_sel_hi:[1,0]
	v_pk_add_f32 v[14:15], v[14:15], v[18:19]
	v_pk_fma_f32 v[18:19], v[4:5], v[66:67], v[16:17] op_sel:[0,0,1] op_sel_hi:[1,1,0] neg_lo:[0,0,1] neg_hi:[0,0,1]
	v_pk_fma_f32 v[4:5], v[4:5], v[66:67], v[16:17] op_sel:[0,0,1] op_sel_hi:[1,0,0]
	v_mov_b32_e32 v19, v5
	v_pk_add_f32 v[4:5], v[14:15], v[18:19]
	v_mov_b32_e32 v14, v65
	v_pk_mul_f32 v[14:15], v[6:7], v[14:15] op_sel_hi:[1,0]
	v_pk_fma_f32 v[16:17], v[6:7], v[64:65], v[14:15] op_sel:[0,0,1] op_sel_hi:[1,1,0] neg_lo:[0,0,1] neg_hi:[0,0,1]
	v_pk_fma_f32 v[6:7], v[6:7], v[64:65], v[14:15] op_sel:[0,0,1] op_sel_hi:[1,0,0]
	v_mov_b32_e32 v6, v63
	v_mov_b32_e32 v17, v7
	s_waitcnt lgkmcnt(1)
	v_pk_mul_f32 v[6:7], v[8:9], v[6:7] op_sel_hi:[1,0]
	v_pk_fma_f32 v[14:15], v[8:9], v[62:63], v[6:7] op_sel:[0,0,1] op_sel_hi:[1,1,0] neg_lo:[0,0,1] neg_hi:[0,0,1]
	v_pk_fma_f32 v[6:7], v[8:9], v[62:63], v[6:7] op_sel:[0,0,1] op_sel_hi:[1,0,0]
	s_waitcnt vmcnt(1)
	v_mov_b32_e32 v6, v73
	v_mov_b32_e32 v15, v7
	v_pk_mul_f32 v[6:7], v[10:11], v[6:7] op_sel_hi:[1,0]
	s_waitcnt vmcnt(0)
	v_pk_fma_f32 v[8:9], v[10:11], v[72:73], v[6:7] op_sel:[0,0,1] op_sel_hi:[1,1,0] neg_lo:[0,0,1] neg_hi:[0,0,1]
	v_pk_fma_f32 v[6:7], v[10:11], v[72:73], v[6:7] op_sel:[0,0,1] op_sel_hi:[1,0,0]
	v_pk_add_f32 v[4:5], v[4:5], v[16:17]
	v_mov_b32_e32 v6, v71
	v_pk_add_f32 v[4:5], v[4:5], v[14:15]
	v_mov_b32_e32 v9, v7
	s_waitcnt lgkmcnt(0)
	v_pk_mul_f32 v[6:7], v[12:13], v[6:7] op_sel_hi:[1,0]
	v_pk_add_f32 v[4:5], v[4:5], v[8:9]
	v_pk_fma_f32 v[8:9], v[12:13], v[70:71], v[6:7] op_sel:[0,0,1] op_sel_hi:[1,1,0] neg_lo:[0,0,1] neg_hi:[0,0,1]
	v_pk_fma_f32 v[6:7], v[12:13], v[70:71], v[6:7] op_sel:[0,0,1] op_sel_hi:[1,0,0]
	v_mov_b32_e32 v9, v7
	v_pk_add_f32 v[4:5], v[4:5], v[8:9]
	v_pk_add_f32 v[2:3], v[2:3], v[4:5] neg_lo:[0,1] neg_hi:[0,1]
	buffer_store_dword v3, off, s[0:3], 0 offset:236
	buffer_store_dword v2, off, s[0:3], 0 offset:232
	s_and_saveexec_b64 s[4:5], vcc
	s_cbranch_execz .LBB122_311
; %bb.310:
	buffer_load_dword v2, off, s[0:3], 0 offset:224
	buffer_load_dword v3, off, s[0:3], 0 offset:228
	s_waitcnt vmcnt(0)
	ds_write_b64 v187, v[2:3]
	buffer_store_dword v1, off, s[0:3], 0 offset:224
	buffer_store_dword v1, off, s[0:3], 0 offset:228
.LBB122_311:
	s_or_b64 exec, exec, s[4:5]
	s_waitcnt lgkmcnt(0)
	; wave barrier
	s_waitcnt lgkmcnt(0)
	buffer_load_dword v54, off, s[0:3], 0 offset:236
	buffer_load_dword v56, off, s[0:3], 0 offset:244
	;; [unrolled: 1-line block ×46, first 2 shown]
	ds_read2_b64 v[4:7], v1 offset0:89 offset1:90
	ds_read2_b64 v[8:11], v1 offset0:91 offset1:92
	;; [unrolled: 1-line block ×8, first 2 shown]
	v_cmp_lt_u32_e32 vcc, 27, v0
	s_waitcnt vmcnt(45) lgkmcnt(7)
	v_mul_f32_e32 v36, v4, v54
	s_waitcnt vmcnt(44)
	v_mul_f32_e32 v37, v6, v56
	s_waitcnt vmcnt(43) lgkmcnt(6)
	v_mul_f32_e32 v38, v8, v58
	s_waitcnt vmcnt(42)
	v_mul_f32_e32 v39, v10, v74
	;; [unrolled: 4-line block ×6, first 2 shown]
	s_waitcnt vmcnt(33) lgkmcnt(1)
	v_mul_f32_e32 v48, v28, v83
	s_waitcnt vmcnt(32)
	v_fmac_f32_e32 v36, v5, v84
	s_waitcnt vmcnt(31)
	v_fmac_f32_e32 v37, v7, v85
	v_add_f32_e32 v36, 0, v36
	s_waitcnt vmcnt(30)
	v_fmac_f32_e32 v38, v9, v86
	v_add_f32_e32 v36, v36, v37
	;; [unrolled: 3-line block ×12, first 2 shown]
	s_waitcnt vmcnt(19)
	v_mul_f32_e32 v37, v30, v97
	v_add_f32_e32 v36, v36, v48
	s_waitcnt vmcnt(18)
	v_fmac_f32_e32 v37, v31, v98
	v_add_f32_e32 v36, v36, v37
	s_waitcnt vmcnt(17) lgkmcnt(0)
	v_mul_f32_e32 v37, v32, v99
	s_waitcnt vmcnt(16)
	v_fmac_f32_e32 v37, v33, v100
	v_add_f32_e32 v40, v36, v37
	ds_read2_b64 v[36:39], v1 offset0:105 offset1:106
	s_waitcnt vmcnt(15)
	v_mul_f32_e32 v41, v34, v101
	s_waitcnt vmcnt(14)
	v_fmac_f32_e32 v41, v35, v104
	v_add_f32_e32 v44, v40, v41
	ds_read2_b64 v[40:43], v1 offset0:107 offset1:108
	buffer_load_dword v53, off, s[0:3], 0 offset:412
	buffer_load_dword v52, off, s[0:3], 0 offset:408
	s_waitcnt vmcnt(15) lgkmcnt(1)
	v_mul_f32_e32 v45, v36, v105
	s_waitcnt vmcnt(14)
	v_fmac_f32_e32 v45, v37, v106
	v_add_f32_e32 v44, v44, v45
	s_waitcnt vmcnt(13)
	v_mul_f32_e32 v45, v38, v107
	s_waitcnt vmcnt(12)
	v_fmac_f32_e32 v45, v39, v108
	v_add_f32_e32 v44, v44, v45
	s_waitcnt vmcnt(11) lgkmcnt(0)
	v_mul_f32_e32 v45, v40, v109
	s_waitcnt vmcnt(10)
	v_fmac_f32_e32 v45, v41, v110
	s_waitcnt vmcnt(9)
	v_mul_f32_e32 v49, v42, v111
	v_add_f32_e32 v48, v44, v45
	s_waitcnt vmcnt(8)
	v_fmac_f32_e32 v49, v43, v112
	ds_read2_b64 v[44:47], v1 offset0:109 offset1:110
	v_add_f32_e32 v55, v48, v49
	ds_read2_b64 v[48:51], v1 offset0:111 offset1:112
	buffer_load_dword v61, off, s[0:3], 0 offset:444
	buffer_load_dword v60, off, s[0:3], 0 offset:440
	;; [unrolled: 1-line block ×14, first 2 shown]
	v_mul_f32_e32 v5, v5, v54
	v_fma_f32 v4, v4, v84, -v5
	v_mul_f32_e32 v5, v7, v56
	v_add_f32_e32 v4, 0, v4
	v_fma_f32 v5, v6, v85, -v5
	v_add_f32_e32 v4, v4, v5
	v_mul_f32_e32 v5, v9, v58
	v_fma_f32 v5, v8, v86, -v5
	v_add_f32_e32 v4, v4, v5
	v_mul_f32_e32 v5, v11, v74
	;; [unrolled: 3-line block ×18, first 2 shown]
	v_fma_f32 v5, v42, v112, -v5
	s_waitcnt vmcnt(21) lgkmcnt(1)
	v_mul_f32_e32 v57, v44, v113
	v_add_f32_e32 v54, v4, v5
	v_mul_f32_e32 v4, v45, v113
	s_waitcnt vmcnt(20)
	v_fmac_f32_e32 v57, v45, v114
	s_waitcnt vmcnt(15)
	v_mov_b32_e32 v18, v53
	s_waitcnt lgkmcnt(0)
	v_pk_mul_f32 v[18:19], v[48:49], v[18:19] op_sel_hi:[1,0]
	v_mul_f32_e32 v59, v46, v115
	v_fma_f32 v56, v44, v114, -v4
	v_mul_f32_e32 v4, v47, v115
	s_waitcnt vmcnt(14)
	v_pk_fma_f32 v[20:21], v[48:49], v[52:53], v[18:19] op_sel:[0,0,1] op_sel_hi:[1,1,0] neg_lo:[0,0,1] neg_hi:[0,0,1]
	v_pk_fma_f32 v[18:19], v[48:49], v[52:53], v[18:19] op_sel:[0,0,1] op_sel_hi:[1,0,0]
	v_fmac_f32_e32 v59, v47, v116
	v_fma_f32 v58, v46, v116, -v4
	v_pk_add_f32 v[16:17], v[54:55], v[56:57]
	s_waitcnt vmcnt(7)
	v_mov_b32_e32 v18, v67
	ds_read2_b64 v[4:7], v1 offset0:113 offset1:114
	ds_read2_b64 v[8:11], v1 offset0:115 offset1:116
	;; [unrolled: 1-line block ×3, first 2 shown]
	v_pk_add_f32 v[16:17], v[16:17], v[58:59]
	v_mov_b32_e32 v21, v19
	v_pk_mul_f32 v[18:19], v[50:51], v[18:19] op_sel_hi:[1,0]
	v_pk_add_f32 v[16:17], v[16:17], v[20:21]
	s_waitcnt vmcnt(6)
	v_pk_fma_f32 v[20:21], v[50:51], v[66:67], v[18:19] op_sel:[0,0,1] op_sel_hi:[1,1,0] neg_lo:[0,0,1] neg_hi:[0,0,1]
	v_pk_fma_f32 v[18:19], v[50:51], v[66:67], v[18:19] op_sel:[0,0,1] op_sel_hi:[1,0,0]
	v_mov_b32_e32 v18, v65
	v_mov_b32_e32 v21, v19
	s_waitcnt lgkmcnt(2)
	v_pk_mul_f32 v[18:19], v[4:5], v[18:19] op_sel_hi:[1,0]
	v_pk_add_f32 v[16:17], v[16:17], v[20:21]
	v_pk_fma_f32 v[20:21], v[4:5], v[64:65], v[18:19] op_sel:[0,0,1] op_sel_hi:[1,1,0] neg_lo:[0,0,1] neg_hi:[0,0,1]
	v_pk_fma_f32 v[4:5], v[4:5], v[64:65], v[18:19] op_sel:[0,0,1] op_sel_hi:[1,0,0]
	v_mov_b32_e32 v21, v5
	v_pk_add_f32 v[4:5], v[16:17], v[20:21]
	v_mov_b32_e32 v16, v63
	v_pk_mul_f32 v[16:17], v[6:7], v[16:17] op_sel_hi:[1,0]
	v_pk_fma_f32 v[18:19], v[6:7], v[62:63], v[16:17] op_sel:[0,0,1] op_sel_hi:[1,1,0] neg_lo:[0,0,1] neg_hi:[0,0,1]
	v_pk_fma_f32 v[6:7], v[6:7], v[62:63], v[16:17] op_sel:[0,0,1] op_sel_hi:[1,0,0]
	v_mov_b32_e32 v6, v61
	v_mov_b32_e32 v19, v7
	s_waitcnt lgkmcnt(1)
	v_pk_mul_f32 v[6:7], v[8:9], v[6:7] op_sel_hi:[1,0]
	v_pk_fma_f32 v[16:17], v[8:9], v[60:61], v[6:7] op_sel:[0,0,1] op_sel_hi:[1,1,0] neg_lo:[0,0,1] neg_hi:[0,0,1]
	v_pk_fma_f32 v[6:7], v[8:9], v[60:61], v[6:7] op_sel:[0,0,1] op_sel_hi:[1,0,0]
	s_waitcnt vmcnt(1)
	v_mov_b32_e32 v6, v73
	v_mov_b32_e32 v17, v7
	v_pk_mul_f32 v[6:7], v[10:11], v[6:7] op_sel_hi:[1,0]
	s_waitcnt vmcnt(0)
	v_pk_fma_f32 v[8:9], v[10:11], v[72:73], v[6:7] op_sel:[0,0,1] op_sel_hi:[1,1,0] neg_lo:[0,0,1] neg_hi:[0,0,1]
	v_pk_fma_f32 v[6:7], v[10:11], v[72:73], v[6:7] op_sel:[0,0,1] op_sel_hi:[1,0,0]
	v_pk_add_f32 v[4:5], v[4:5], v[18:19]
	v_mov_b32_e32 v6, v71
	v_pk_add_f32 v[4:5], v[4:5], v[16:17]
	v_mov_b32_e32 v9, v7
	s_waitcnt lgkmcnt(0)
	v_pk_mul_f32 v[6:7], v[12:13], v[6:7] op_sel_hi:[1,0]
	v_pk_add_f32 v[4:5], v[4:5], v[8:9]
	v_pk_fma_f32 v[8:9], v[12:13], v[70:71], v[6:7] op_sel:[0,0,1] op_sel_hi:[1,1,0] neg_lo:[0,0,1] neg_hi:[0,0,1]
	v_pk_fma_f32 v[6:7], v[12:13], v[70:71], v[6:7] op_sel:[0,0,1] op_sel_hi:[1,0,0]
	v_mov_b32_e32 v6, v69
	v_mov_b32_e32 v9, v7
	v_pk_mul_f32 v[6:7], v[14:15], v[6:7] op_sel_hi:[1,0]
	v_pk_add_f32 v[4:5], v[4:5], v[8:9]
	v_pk_fma_f32 v[8:9], v[14:15], v[68:69], v[6:7] op_sel:[0,0,1] op_sel_hi:[1,1,0] neg_lo:[0,0,1] neg_hi:[0,0,1]
	v_pk_fma_f32 v[6:7], v[14:15], v[68:69], v[6:7] op_sel:[0,0,1] op_sel_hi:[1,0,0]
	v_mov_b32_e32 v9, v7
	v_pk_add_f32 v[4:5], v[4:5], v[8:9]
	v_pk_add_f32 v[2:3], v[2:3], v[4:5] neg_lo:[0,1] neg_hi:[0,1]
	buffer_store_dword v3, off, s[0:3], 0 offset:228
	buffer_store_dword v2, off, s[0:3], 0 offset:224
	s_and_saveexec_b64 s[4:5], vcc
	s_cbranch_execz .LBB122_313
; %bb.312:
	buffer_load_dword v2, off, s[0:3], 0 offset:216
	buffer_load_dword v3, off, s[0:3], 0 offset:220
	v_mov_b32_e32 v1, 0
	buffer_store_dword v1, off, s[0:3], 0 offset:216
	buffer_store_dword v1, off, s[0:3], 0 offset:220
	s_waitcnt vmcnt(2)
	ds_write_b64 v187, v[2:3]
.LBB122_313:
	s_or_b64 exec, exec, s[4:5]
	s_waitcnt lgkmcnt(0)
	; wave barrier
	s_waitcnt lgkmcnt(0)
	buffer_load_dword v52, off, s[0:3], 0 offset:228
	buffer_load_dword v54, off, s[0:3], 0 offset:236
	buffer_load_dword v56, off, s[0:3], 0 offset:244
	buffer_load_dword v74, off, s[0:3], 0 offset:252
	buffer_load_dword v75, off, s[0:3], 0 offset:260
	buffer_load_dword v76, off, s[0:3], 0 offset:268
	buffer_load_dword v77, off, s[0:3], 0 offset:276
	buffer_load_dword v78, off, s[0:3], 0 offset:284
	buffer_load_dword v79, off, s[0:3], 0 offset:292
	buffer_load_dword v80, off, s[0:3], 0 offset:300
	buffer_load_dword v81, off, s[0:3], 0 offset:308
	buffer_load_dword v82, off, s[0:3], 0 offset:316
	buffer_load_dword v83, off, s[0:3], 0 offset:224
	buffer_load_dword v84, off, s[0:3], 0 offset:232
	buffer_load_dword v85, off, s[0:3], 0 offset:240
	buffer_load_dword v86, off, s[0:3], 0 offset:248
	buffer_load_dword v87, off, s[0:3], 0 offset:256
	buffer_load_dword v88, off, s[0:3], 0 offset:264
	buffer_load_dword v89, off, s[0:3], 0 offset:272
	buffer_load_dword v90, off, s[0:3], 0 offset:280
	buffer_load_dword v91, off, s[0:3], 0 offset:288
	buffer_load_dword v92, off, s[0:3], 0 offset:296
	buffer_load_dword v93, off, s[0:3], 0 offset:304
	buffer_load_dword v94, off, s[0:3], 0 offset:312
	buffer_load_dword v95, off, s[0:3], 0 offset:324
	buffer_load_dword v96, off, s[0:3], 0 offset:320
	buffer_load_dword v97, off, s[0:3], 0 offset:332
	buffer_load_dword v98, off, s[0:3], 0 offset:328
	buffer_load_dword v99, off, s[0:3], 0 offset:340
	buffer_load_dword v100, off, s[0:3], 0 offset:336
	buffer_load_dword v101, off, s[0:3], 0 offset:348
	buffer_load_dword v104, off, s[0:3], 0 offset:344
	buffer_load_dword v105, off, s[0:3], 0 offset:356
	buffer_load_dword v106, off, s[0:3], 0 offset:352
	buffer_load_dword v107, off, s[0:3], 0 offset:364
	buffer_load_dword v108, off, s[0:3], 0 offset:360
	buffer_load_dword v109, off, s[0:3], 0 offset:372
	buffer_load_dword v110, off, s[0:3], 0 offset:368
	buffer_load_dword v111, off, s[0:3], 0 offset:380
	buffer_load_dword v112, off, s[0:3], 0 offset:376
	buffer_load_dword v113, off, s[0:3], 0 offset:384
	buffer_load_dword v114, off, s[0:3], 0 offset:388
	buffer_load_dword v2, off, s[0:3], 0 offset:216
	buffer_load_dword v3, off, s[0:3], 0 offset:220
	buffer_load_dword v115, off, s[0:3], 0 offset:396
	buffer_load_dword v116, off, s[0:3], 0 offset:392
	buffer_load_dword v117, off, s[0:3], 0 offset:404
	buffer_load_dword v118, off, s[0:3], 0 offset:400
	v_mov_b32_e32 v1, 0
	ds_read_b128 v[4:7], v1 offset:704
	ds_read_b128 v[8:11], v1 offset:720
	;; [unrolled: 1-line block ×6, first 2 shown]
	v_cmp_lt_u32_e32 vcc, 26, v0
	s_waitcnt vmcnt(47) lgkmcnt(5)
	v_mul_f32_e32 v28, v4, v52
	s_waitcnt vmcnt(46)
	v_mul_f32_e32 v29, v6, v54
	s_waitcnt vmcnt(45) lgkmcnt(4)
	v_mul_f32_e32 v30, v8, v56
	s_waitcnt vmcnt(44)
	v_mul_f32_e32 v31, v10, v74
	;; [unrolled: 4-line block ×6, first 2 shown]
	s_waitcnt vmcnt(35)
	v_fmac_f32_e32 v28, v5, v83
	s_waitcnt vmcnt(34)
	v_fmac_f32_e32 v29, v7, v84
	v_add_f32_e32 v28, 0, v28
	s_waitcnt vmcnt(33)
	v_fmac_f32_e32 v30, v9, v85
	v_add_f32_e32 v28, v28, v29
	;; [unrolled: 3-line block ×8, first 2 shown]
	v_add_f32_e32 v32, v28, v36
	ds_read_b128 v[28:31], v1 offset:800
	s_waitcnt vmcnt(26)
	v_fmac_f32_e32 v37, v23, v92
	s_waitcnt vmcnt(25)
	v_fmac_f32_e32 v38, v25, v93
	v_add_f32_e32 v32, v32, v37
	s_waitcnt vmcnt(24)
	v_fmac_f32_e32 v39, v27, v94
	v_add_f32_e32 v32, v32, v38
	v_add_f32_e32 v36, v32, v39
	ds_read_b128 v[32:35], v1 offset:816
	s_waitcnt vmcnt(23) lgkmcnt(1)
	v_mul_f32_e32 v37, v28, v95
	s_waitcnt vmcnt(22)
	v_fmac_f32_e32 v37, v29, v96
	v_add_f32_e32 v36, v36, v37
	s_waitcnt vmcnt(21)
	v_mul_f32_e32 v37, v30, v97
	s_waitcnt vmcnt(20)
	v_fmac_f32_e32 v37, v31, v98
	v_add_f32_e32 v36, v36, v37
	s_waitcnt vmcnt(19) lgkmcnt(0)
	v_mul_f32_e32 v37, v32, v99
	s_waitcnt vmcnt(18)
	v_fmac_f32_e32 v37, v33, v100
	v_add_f32_e32 v40, v36, v37
	ds_read_b128 v[36:39], v1 offset:832
	s_waitcnt vmcnt(17)
	v_mul_f32_e32 v41, v34, v101
	s_waitcnt vmcnt(16)
	v_fmac_f32_e32 v41, v35, v104
	v_add_f32_e32 v44, v40, v41
	ds_read_b128 v[40:43], v1 offset:848
	s_waitcnt vmcnt(15) lgkmcnt(1)
	v_mul_f32_e32 v45, v36, v105
	s_waitcnt vmcnt(14)
	v_fmac_f32_e32 v45, v37, v106
	v_add_f32_e32 v44, v44, v45
	s_waitcnt vmcnt(13)
	v_mul_f32_e32 v45, v38, v107
	s_waitcnt vmcnt(12)
	v_fmac_f32_e32 v45, v39, v108
	v_add_f32_e32 v44, v44, v45
	s_waitcnt vmcnt(11) lgkmcnt(0)
	v_mul_f32_e32 v45, v40, v109
	s_waitcnt vmcnt(10)
	v_fmac_f32_e32 v45, v41, v110
	s_waitcnt vmcnt(9)
	v_mul_f32_e32 v49, v42, v111
	v_add_f32_e32 v48, v44, v45
	s_waitcnt vmcnt(8)
	v_fmac_f32_e32 v49, v43, v112
	ds_read_b128 v[44:47], v1 offset:864
	v_add_f32_e32 v53, v48, v49
	ds_read_b128 v[48:51], v1 offset:880
	buffer_load_dword v59, off, s[0:3], 0 offset:436
	buffer_load_dword v58, off, s[0:3], 0 offset:432
	;; [unrolled: 1-line block ×16, first 2 shown]
	v_mul_f32_e32 v5, v5, v52
	v_fma_f32 v4, v4, v83, -v5
	v_mul_f32_e32 v5, v7, v54
	v_add_f32_e32 v4, 0, v4
	v_fma_f32 v5, v6, v84, -v5
	v_add_f32_e32 v4, v4, v5
	v_mul_f32_e32 v5, v9, v56
	v_fma_f32 v5, v8, v85, -v5
	v_add_f32_e32 v4, v4, v5
	v_mul_f32_e32 v5, v11, v74
	;; [unrolled: 3-line block ×18, first 2 shown]
	v_fma_f32 v5, v42, v112, -v5
	v_add_f32_e32 v4, v4, v5
	s_waitcnt vmcnt(22) lgkmcnt(1)
	v_mul_f32_e32 v5, v45, v114
	v_mul_f32_e32 v55, v44, v114
	v_fma_f32 v5, v44, v113, -v5
	v_fmac_f32_e32 v55, v45, v113
	v_add_f32_e32 v52, v4, v5
	s_waitcnt vmcnt(19)
	v_mul_f32_e32 v4, v47, v115
	v_add_f32_e32 v53, v53, v55
	v_mul_f32_e32 v55, v46, v115
	s_waitcnt vmcnt(18)
	v_fma_f32 v54, v46, v116, -v4
	s_waitcnt vmcnt(17) lgkmcnt(0)
	v_mul_f32_e32 v4, v49, v117
	s_waitcnt vmcnt(9)
	v_mov_b32_e32 v20, v65
	v_pk_mul_f32 v[20:21], v[50:51], v[20:21] op_sel_hi:[1,0]
	v_fmac_f32_e32 v55, v47, v116
	v_mul_f32_e32 v57, v48, v117
	v_fma_f32 v56, v48, v118, -v4
	ds_read_b128 v[4:7], v1 offset:896
	ds_read_b128 v[8:11], v1 offset:912
	;; [unrolled: 1-line block ×3, first 2 shown]
	ds_read_b64 v[16:17], v1 offset:944
	s_waitcnt vmcnt(8)
	v_pk_fma_f32 v[22:23], v[50:51], v[64:65], v[20:21] op_sel:[0,0,1] op_sel_hi:[1,1,0] neg_lo:[0,0,1] neg_hi:[0,0,1]
	v_pk_fma_f32 v[20:21], v[50:51], v[64:65], v[20:21] op_sel:[0,0,1] op_sel_hi:[1,0,0]
	v_fmac_f32_e32 v57, v49, v118
	v_pk_add_f32 v[18:19], v[52:53], v[54:55]
	v_mov_b32_e32 v20, v63
	v_pk_add_f32 v[18:19], v[18:19], v[56:57]
	v_mov_b32_e32 v23, v21
	s_waitcnt lgkmcnt(3)
	v_pk_mul_f32 v[20:21], v[4:5], v[20:21] op_sel_hi:[1,0]
	v_pk_add_f32 v[18:19], v[18:19], v[22:23]
	v_pk_fma_f32 v[22:23], v[4:5], v[62:63], v[20:21] op_sel:[0,0,1] op_sel_hi:[1,1,0] neg_lo:[0,0,1] neg_hi:[0,0,1]
	v_pk_fma_f32 v[4:5], v[4:5], v[62:63], v[20:21] op_sel:[0,0,1] op_sel_hi:[1,0,0]
	v_mov_b32_e32 v23, v5
	v_pk_add_f32 v[4:5], v[18:19], v[22:23]
	v_mov_b32_e32 v18, v61
	v_pk_mul_f32 v[18:19], v[6:7], v[18:19] op_sel_hi:[1,0]
	v_pk_fma_f32 v[20:21], v[6:7], v[60:61], v[18:19] op_sel:[0,0,1] op_sel_hi:[1,1,0] neg_lo:[0,0,1] neg_hi:[0,0,1]
	v_pk_fma_f32 v[6:7], v[6:7], v[60:61], v[18:19] op_sel:[0,0,1] op_sel_hi:[1,0,0]
	v_mov_b32_e32 v6, v59
	v_mov_b32_e32 v21, v7
	s_waitcnt lgkmcnt(2)
	v_pk_mul_f32 v[6:7], v[8:9], v[6:7] op_sel_hi:[1,0]
	v_pk_fma_f32 v[18:19], v[8:9], v[58:59], v[6:7] op_sel:[0,0,1] op_sel_hi:[1,1,0] neg_lo:[0,0,1] neg_hi:[0,0,1]
	v_pk_fma_f32 v[6:7], v[8:9], v[58:59], v[6:7] op_sel:[0,0,1] op_sel_hi:[1,0,0]
	s_waitcnt vmcnt(1)
	v_mov_b32_e32 v6, v73
	v_mov_b32_e32 v19, v7
	v_pk_mul_f32 v[6:7], v[10:11], v[6:7] op_sel_hi:[1,0]
	s_waitcnt vmcnt(0)
	v_pk_fma_f32 v[8:9], v[10:11], v[72:73], v[6:7] op_sel:[0,0,1] op_sel_hi:[1,1,0] neg_lo:[0,0,1] neg_hi:[0,0,1]
	v_pk_fma_f32 v[6:7], v[10:11], v[72:73], v[6:7] op_sel:[0,0,1] op_sel_hi:[1,0,0]
	v_pk_add_f32 v[4:5], v[4:5], v[20:21]
	v_mov_b32_e32 v6, v71
	v_pk_add_f32 v[4:5], v[4:5], v[18:19]
	v_mov_b32_e32 v9, v7
	s_waitcnt lgkmcnt(1)
	v_pk_mul_f32 v[6:7], v[12:13], v[6:7] op_sel_hi:[1,0]
	v_pk_add_f32 v[4:5], v[4:5], v[8:9]
	v_pk_fma_f32 v[8:9], v[12:13], v[70:71], v[6:7] op_sel:[0,0,1] op_sel_hi:[1,1,0] neg_lo:[0,0,1] neg_hi:[0,0,1]
	v_pk_fma_f32 v[6:7], v[12:13], v[70:71], v[6:7] op_sel:[0,0,1] op_sel_hi:[1,0,0]
	v_mov_b32_e32 v6, v69
	v_mov_b32_e32 v9, v7
	v_pk_mul_f32 v[6:7], v[14:15], v[6:7] op_sel_hi:[1,0]
	v_pk_add_f32 v[4:5], v[4:5], v[8:9]
	v_pk_fma_f32 v[8:9], v[14:15], v[68:69], v[6:7] op_sel:[0,0,1] op_sel_hi:[1,1,0] neg_lo:[0,0,1] neg_hi:[0,0,1]
	v_pk_fma_f32 v[6:7], v[14:15], v[68:69], v[6:7] op_sel:[0,0,1] op_sel_hi:[1,0,0]
	v_mov_b32_e32 v6, v67
	v_mov_b32_e32 v9, v7
	s_waitcnt lgkmcnt(0)
	v_pk_mul_f32 v[6:7], v[16:17], v[6:7] op_sel_hi:[1,0]
	v_pk_add_f32 v[4:5], v[4:5], v[8:9]
	v_pk_fma_f32 v[8:9], v[16:17], v[66:67], v[6:7] op_sel:[0,0,1] op_sel_hi:[1,1,0] neg_lo:[0,0,1] neg_hi:[0,0,1]
	v_pk_fma_f32 v[6:7], v[16:17], v[66:67], v[6:7] op_sel:[0,0,1] op_sel_hi:[1,0,0]
	v_mov_b32_e32 v9, v7
	v_pk_add_f32 v[4:5], v[4:5], v[8:9]
	v_pk_add_f32 v[2:3], v[2:3], v[4:5] neg_lo:[0,1] neg_hi:[0,1]
	buffer_store_dword v3, off, s[0:3], 0 offset:220
	buffer_store_dword v2, off, s[0:3], 0 offset:216
	s_and_saveexec_b64 s[4:5], vcc
	s_cbranch_execz .LBB122_315
; %bb.314:
	buffer_load_dword v2, off, s[0:3], 0 offset:208
	buffer_load_dword v3, off, s[0:3], 0 offset:212
	s_waitcnt vmcnt(0)
	ds_write_b64 v187, v[2:3]
	buffer_store_dword v1, off, s[0:3], 0 offset:208
	buffer_store_dword v1, off, s[0:3], 0 offset:212
.LBB122_315:
	s_or_b64 exec, exec, s[4:5]
	s_waitcnt lgkmcnt(0)
	; wave barrier
	s_waitcnt lgkmcnt(0)
	buffer_load_dword v52, off, s[0:3], 0 offset:220
	buffer_load_dword v54, off, s[0:3], 0 offset:228
	;; [unrolled: 1-line block ×48, first 2 shown]
	ds_read2_b64 v[4:7], v1 offset0:87 offset1:88
	ds_read2_b64 v[8:11], v1 offset0:89 offset1:90
	;; [unrolled: 1-line block ×6, first 2 shown]
	buffer_load_dword v119, off, s[0:3], 0 offset:400
	buffer_load_dword v120, off, s[0:3], 0 offset:404
	v_cmp_lt_u32_e32 vcc, 25, v0
	s_waitcnt vmcnt(49) lgkmcnt(5)
	v_mul_f32_e32 v28, v4, v52
	s_waitcnt vmcnt(48)
	v_mul_f32_e32 v29, v6, v54
	s_waitcnt vmcnt(47) lgkmcnt(4)
	v_mul_f32_e32 v30, v8, v62
	s_waitcnt vmcnt(46)
	v_mul_f32_e32 v31, v10, v74
	;; [unrolled: 4-line block ×6, first 2 shown]
	s_waitcnt vmcnt(37)
	v_fmac_f32_e32 v28, v5, v83
	s_waitcnt vmcnt(36)
	v_fmac_f32_e32 v29, v7, v84
	v_add_f32_e32 v28, 0, v28
	s_waitcnt vmcnt(35)
	v_fmac_f32_e32 v30, v9, v85
	v_add_f32_e32 v28, v28, v29
	s_waitcnt vmcnt(34)
	v_fmac_f32_e32 v31, v11, v86
	v_add_f32_e32 v28, v28, v30
	s_waitcnt vmcnt(33)
	v_fmac_f32_e32 v32, v13, v87
	v_add_f32_e32 v28, v28, v31
	s_waitcnt vmcnt(32)
	v_fmac_f32_e32 v33, v15, v88
	v_add_f32_e32 v28, v28, v32
	s_waitcnt vmcnt(31)
	v_fmac_f32_e32 v34, v17, v89
	v_add_f32_e32 v28, v28, v33
	s_waitcnt vmcnt(30)
	v_fmac_f32_e32 v35, v19, v90
	v_add_f32_e32 v28, v28, v34
	s_waitcnt vmcnt(29)
	v_fmac_f32_e32 v36, v21, v91
	v_add_f32_e32 v28, v28, v35
	s_waitcnt vmcnt(28)
	v_fmac_f32_e32 v37, v23, v92
	v_add_f32_e32 v28, v28, v36
	v_add_f32_e32 v32, v28, v37
	ds_read2_b64 v[28:31], v1 offset0:99 offset1:100
	s_waitcnt vmcnt(27)
	v_fmac_f32_e32 v38, v25, v93
	v_add_f32_e32 v32, v32, v38
	s_waitcnt vmcnt(26)
	v_fmac_f32_e32 v39, v27, v94
	v_add_f32_e32 v36, v32, v39
	ds_read2_b64 v[32:35], v1 offset0:101 offset1:102
	s_waitcnt vmcnt(25) lgkmcnt(1)
	v_mul_f32_e32 v37, v28, v95
	s_waitcnt vmcnt(24)
	v_fmac_f32_e32 v37, v29, v96
	v_add_f32_e32 v36, v36, v37
	s_waitcnt vmcnt(23)
	v_mul_f32_e32 v37, v30, v97
	s_waitcnt vmcnt(22)
	v_fmac_f32_e32 v37, v31, v98
	v_add_f32_e32 v36, v36, v37
	s_waitcnt vmcnt(21) lgkmcnt(0)
	v_mul_f32_e32 v37, v32, v99
	s_waitcnt vmcnt(20)
	v_fmac_f32_e32 v37, v33, v100
	v_add_f32_e32 v40, v36, v37
	ds_read2_b64 v[36:39], v1 offset0:103 offset1:104
	s_waitcnt vmcnt(19)
	v_mul_f32_e32 v41, v34, v101
	s_waitcnt vmcnt(18)
	v_fmac_f32_e32 v41, v35, v104
	v_add_f32_e32 v44, v40, v41
	ds_read2_b64 v[40:43], v1 offset0:105 offset1:106
	s_waitcnt vmcnt(17) lgkmcnt(1)
	v_mul_f32_e32 v45, v36, v105
	s_waitcnt vmcnt(16)
	v_fmac_f32_e32 v45, v37, v106
	v_add_f32_e32 v44, v44, v45
	s_waitcnt vmcnt(15)
	v_mul_f32_e32 v45, v38, v107
	s_waitcnt vmcnt(14)
	v_fmac_f32_e32 v45, v39, v108
	v_add_f32_e32 v44, v44, v45
	s_waitcnt vmcnt(13) lgkmcnt(0)
	v_mul_f32_e32 v45, v40, v109
	s_waitcnt vmcnt(12)
	v_fmac_f32_e32 v45, v41, v110
	s_waitcnt vmcnt(11)
	v_mul_f32_e32 v49, v42, v111
	v_add_f32_e32 v48, v44, v45
	s_waitcnt vmcnt(10)
	v_fmac_f32_e32 v49, v43, v112
	ds_read2_b64 v[44:47], v1 offset0:107 offset1:108
	v_add_f32_e32 v53, v48, v49
	ds_read2_b64 v[48:51], v1 offset0:109 offset1:110
	buffer_load_dword v57, off, s[0:3], 0 offset:428
	buffer_load_dword v56, off, s[0:3], 0 offset:424
	;; [unrolled: 1-line block ×16, first 2 shown]
	v_mul_f32_e32 v5, v5, v52
	v_fma_f32 v4, v4, v83, -v5
	v_mul_f32_e32 v5, v7, v54
	v_add_f32_e32 v4, 0, v4
	v_fma_f32 v5, v6, v84, -v5
	v_add_f32_e32 v4, v4, v5
	v_mul_f32_e32 v5, v9, v62
	v_fma_f32 v5, v8, v85, -v5
	v_add_f32_e32 v4, v4, v5
	v_mul_f32_e32 v5, v11, v74
	;; [unrolled: 3-line block ×18, first 2 shown]
	v_fma_f32 v5, v42, v112, -v5
	v_add_f32_e32 v4, v4, v5
	s_waitcnt vmcnt(23) lgkmcnt(1)
	v_mul_f32_e32 v5, v45, v113
	s_waitcnt vmcnt(22)
	v_fma_f32 v5, v44, v114, -v5
	v_add_f32_e32 v4, v4, v5
	s_waitcnt vmcnt(20)
	v_mul_f32_e32 v5, v47, v116
	v_mul_f32_e32 v55, v44, v113
	v_fma_f32 v5, v46, v115, -v5
	v_fmac_f32_e32 v55, v45, v114
	v_add_f32_e32 v52, v4, v5
	s_waitcnt vmcnt(18) lgkmcnt(0)
	v_mul_f32_e32 v4, v49, v118
	v_add_f32_e32 v53, v53, v55
	v_mul_f32_e32 v55, v46, v116
	v_fma_f32 v54, v48, v117, -v4
	s_waitcnt vmcnt(16)
	v_mul_f32_e32 v4, v51, v120
	v_fmac_f32_e32 v55, v47, v115
	v_fma_f32 v62, v50, v119, -v4
	ds_read2_b64 v[4:7], v1 offset0:111 offset1:112
	ds_read2_b64 v[8:11], v1 offset0:113 offset1:114
	;; [unrolled: 1-line block ×4, first 2 shown]
	v_add_f32_e32 v53, v53, v55
	v_mul_f32_e32 v55, v48, v118
	s_waitcnt vmcnt(11)
	v_mov_b32_e32 v22, v61
	v_fmac_f32_e32 v55, v49, v117
	v_mul_f32_e32 v63, v50, v120
	s_waitcnt lgkmcnt(3)
	v_pk_mul_f32 v[22:23], v[4:5], v[22:23] op_sel_hi:[1,0]
	v_fmac_f32_e32 v63, v51, v119
	v_pk_add_f32 v[20:21], v[52:53], v[54:55]
	s_waitcnt vmcnt(10)
	v_pk_fma_f32 v[24:25], v[4:5], v[60:61], v[22:23] op_sel:[0,0,1] op_sel_hi:[1,1,0] neg_lo:[0,0,1] neg_hi:[0,0,1]
	v_pk_fma_f32 v[4:5], v[4:5], v[60:61], v[22:23] op_sel:[0,0,1] op_sel_hi:[1,0,0]
	v_pk_add_f32 v[20:21], v[20:21], v[62:63]
	v_mov_b32_e32 v25, v5
	v_pk_add_f32 v[4:5], v[20:21], v[24:25]
	v_mov_b32_e32 v20, v59
	v_pk_mul_f32 v[20:21], v[6:7], v[20:21] op_sel_hi:[1,0]
	v_pk_fma_f32 v[22:23], v[6:7], v[58:59], v[20:21] op_sel:[0,0,1] op_sel_hi:[1,1,0] neg_lo:[0,0,1] neg_hi:[0,0,1]
	v_pk_fma_f32 v[6:7], v[6:7], v[58:59], v[20:21] op_sel:[0,0,1] op_sel_hi:[1,0,0]
	v_mov_b32_e32 v6, v57
	v_mov_b32_e32 v23, v7
	s_waitcnt lgkmcnt(2)
	v_pk_mul_f32 v[6:7], v[8:9], v[6:7] op_sel_hi:[1,0]
	v_pk_fma_f32 v[20:21], v[8:9], v[56:57], v[6:7] op_sel:[0,0,1] op_sel_hi:[1,1,0] neg_lo:[0,0,1] neg_hi:[0,0,1]
	v_pk_fma_f32 v[6:7], v[8:9], v[56:57], v[6:7] op_sel:[0,0,1] op_sel_hi:[1,0,0]
	s_waitcnt vmcnt(3)
	v_mov_b32_e32 v6, v71
	v_mov_b32_e32 v21, v7
	v_pk_mul_f32 v[6:7], v[10:11], v[6:7] op_sel_hi:[1,0]
	s_waitcnt vmcnt(2)
	v_pk_fma_f32 v[8:9], v[10:11], v[70:71], v[6:7] op_sel:[0,0,1] op_sel_hi:[1,1,0] neg_lo:[0,0,1] neg_hi:[0,0,1]
	v_pk_fma_f32 v[6:7], v[10:11], v[70:71], v[6:7] op_sel:[0,0,1] op_sel_hi:[1,0,0]
	v_pk_add_f32 v[4:5], v[4:5], v[22:23]
	v_mov_b32_e32 v6, v69
	v_pk_add_f32 v[4:5], v[4:5], v[20:21]
	v_mov_b32_e32 v9, v7
	s_waitcnt lgkmcnt(1)
	v_pk_mul_f32 v[6:7], v[12:13], v[6:7] op_sel_hi:[1,0]
	v_pk_add_f32 v[4:5], v[4:5], v[8:9]
	v_pk_fma_f32 v[8:9], v[12:13], v[68:69], v[6:7] op_sel:[0,0,1] op_sel_hi:[1,1,0] neg_lo:[0,0,1] neg_hi:[0,0,1]
	v_pk_fma_f32 v[6:7], v[12:13], v[68:69], v[6:7] op_sel:[0,0,1] op_sel_hi:[1,0,0]
	v_mov_b32_e32 v6, v67
	v_mov_b32_e32 v9, v7
	v_pk_mul_f32 v[6:7], v[14:15], v[6:7] op_sel_hi:[1,0]
	v_pk_add_f32 v[4:5], v[4:5], v[8:9]
	v_pk_fma_f32 v[8:9], v[14:15], v[66:67], v[6:7] op_sel:[0,0,1] op_sel_hi:[1,1,0] neg_lo:[0,0,1] neg_hi:[0,0,1]
	v_pk_fma_f32 v[6:7], v[14:15], v[66:67], v[6:7] op_sel:[0,0,1] op_sel_hi:[1,0,0]
	v_mov_b32_e32 v6, v65
	v_mov_b32_e32 v9, v7
	s_waitcnt lgkmcnt(0)
	v_pk_mul_f32 v[6:7], v[16:17], v[6:7] op_sel_hi:[1,0]
	v_pk_add_f32 v[4:5], v[4:5], v[8:9]
	v_pk_fma_f32 v[8:9], v[16:17], v[64:65], v[6:7] op_sel:[0,0,1] op_sel_hi:[1,1,0] neg_lo:[0,0,1] neg_hi:[0,0,1]
	v_pk_fma_f32 v[6:7], v[16:17], v[64:65], v[6:7] op_sel:[0,0,1] op_sel_hi:[1,0,0]
	s_waitcnt vmcnt(1)
	v_mov_b32_e32 v6, v73
	v_mov_b32_e32 v9, v7
	v_pk_mul_f32 v[6:7], v[18:19], v[6:7] op_sel_hi:[1,0]
	v_pk_add_f32 v[4:5], v[4:5], v[8:9]
	s_waitcnt vmcnt(0)
	v_pk_fma_f32 v[8:9], v[18:19], v[72:73], v[6:7] op_sel:[0,0,1] op_sel_hi:[1,1,0] neg_lo:[0,0,1] neg_hi:[0,0,1]
	v_pk_fma_f32 v[6:7], v[18:19], v[72:73], v[6:7] op_sel:[0,0,1] op_sel_hi:[1,0,0]
	v_mov_b32_e32 v9, v7
	v_pk_add_f32 v[4:5], v[4:5], v[8:9]
	v_pk_add_f32 v[2:3], v[2:3], v[4:5] neg_lo:[0,1] neg_hi:[0,1]
	buffer_store_dword v3, off, s[0:3], 0 offset:212
	buffer_store_dword v2, off, s[0:3], 0 offset:208
	s_and_saveexec_b64 s[4:5], vcc
	s_cbranch_execz .LBB122_317
; %bb.316:
	buffer_load_dword v2, off, s[0:3], 0 offset:200
	buffer_load_dword v3, off, s[0:3], 0 offset:204
	v_mov_b32_e32 v1, 0
	buffer_store_dword v1, off, s[0:3], 0 offset:200
	buffer_store_dword v1, off, s[0:3], 0 offset:204
	s_waitcnt vmcnt(2)
	ds_write_b64 v187, v[2:3]
.LBB122_317:
	s_or_b64 exec, exec, s[4:5]
	s_waitcnt lgkmcnt(0)
	; wave barrier
	s_waitcnt lgkmcnt(0)
	buffer_load_dword v60, off, s[0:3], 0 offset:212
	buffer_load_dword v66, off, s[0:3], 0 offset:220
	;; [unrolled: 1-line block ×52, first 2 shown]
	v_mov_b32_e32 v1, 0
	ds_read_b128 v[4:7], v1 offset:688
	ds_read_b128 v[8:11], v1 offset:704
	ds_read_b128 v[12:15], v1 offset:720
	ds_read_b128 v[16:19], v1 offset:736
	ds_read_b128 v[20:23], v1 offset:752
	ds_read_b128 v[24:27], v1 offset:768
	v_cmp_lt_u32_e32 vcc, 24, v0
	s_waitcnt vmcnt(51) lgkmcnt(5)
	v_mul_f32_e32 v28, v4, v60
	s_waitcnt vmcnt(50)
	v_mul_f32_e32 v29, v6, v66
	s_waitcnt vmcnt(49) lgkmcnt(4)
	v_mul_f32_e32 v30, v8, v68
	s_waitcnt vmcnt(48)
	v_mul_f32_e32 v31, v10, v82
	;; [unrolled: 4-line block ×5, first 2 shown]
	s_waitcnt vmcnt(41) lgkmcnt(0)
	v_mul_f32_e32 v38, v24, v89
	s_waitcnt vmcnt(40)
	v_fmac_f32_e32 v28, v5, v90
	s_waitcnt vmcnt(39)
	v_fmac_f32_e32 v29, v7, v91
	v_add_f32_e32 v28, 0, v28
	s_waitcnt vmcnt(38)
	v_fmac_f32_e32 v30, v9, v92
	v_add_f32_e32 v28, v28, v29
	;; [unrolled: 3-line block ×9, first 2 shown]
	v_add_f32_e32 v28, v28, v37
	s_waitcnt vmcnt(30)
	v_fmac_f32_e32 v38, v25, v100
	v_add_f32_e32 v32, v28, v38
	ds_read_b128 v[28:31], v1 offset:784
	s_waitcnt vmcnt(29)
	v_mul_f32_e32 v33, v26, v101
	s_waitcnt vmcnt(28)
	v_fmac_f32_e32 v33, v27, v104
	v_add_f32_e32 v36, v32, v33
	ds_read_b128 v[32:35], v1 offset:800
	s_waitcnt vmcnt(27) lgkmcnt(1)
	v_mul_f32_e32 v37, v28, v105
	s_waitcnt vmcnt(26)
	v_fmac_f32_e32 v37, v29, v106
	v_add_f32_e32 v36, v36, v37
	s_waitcnt vmcnt(25)
	v_mul_f32_e32 v37, v30, v107
	s_waitcnt vmcnt(24)
	v_fmac_f32_e32 v37, v31, v108
	v_add_f32_e32 v36, v36, v37
	s_waitcnt vmcnt(23) lgkmcnt(0)
	v_mul_f32_e32 v37, v32, v109
	s_waitcnt vmcnt(22)
	v_fmac_f32_e32 v37, v33, v110
	v_add_f32_e32 v40, v36, v37
	ds_read_b128 v[36:39], v1 offset:816
	s_waitcnt vmcnt(21)
	v_mul_f32_e32 v41, v34, v111
	s_waitcnt vmcnt(20)
	v_fmac_f32_e32 v41, v35, v112
	v_add_f32_e32 v44, v40, v41
	ds_read_b128 v[40:43], v1 offset:832
	s_waitcnt vmcnt(19) lgkmcnt(1)
	v_mul_f32_e32 v45, v36, v113
	s_waitcnt vmcnt(18)
	v_fmac_f32_e32 v45, v37, v114
	v_add_f32_e32 v44, v44, v45
	s_waitcnt vmcnt(17)
	v_mul_f32_e32 v45, v38, v115
	s_waitcnt vmcnt(16)
	v_fmac_f32_e32 v45, v39, v116
	v_add_f32_e32 v44, v44, v45
	s_waitcnt vmcnt(14) lgkmcnt(0)
	v_mul_f32_e32 v45, v40, v118
	v_fmac_f32_e32 v45, v41, v117
	v_add_f32_e32 v48, v44, v45
	ds_read_b128 v[44:47], v1 offset:848
	s_waitcnt vmcnt(10)
	v_mul_f32_e32 v49, v42, v120
	v_fmac_f32_e32 v49, v43, v119
	v_add_f32_e32 v52, v48, v49
	ds_read_b128 v[48:51], v1 offset:864
	s_waitcnt vmcnt(8) lgkmcnt(1)
	v_mul_f32_e32 v53, v44, v122
	v_fmac_f32_e32 v53, v45, v121
	v_add_f32_e32 v52, v52, v53
	s_waitcnt vmcnt(6)
	v_mul_f32_e32 v53, v46, v124
	v_fmac_f32_e32 v53, v47, v123
	v_add_f32_e32 v52, v52, v53
	s_waitcnt vmcnt(4) lgkmcnt(0)
	v_mul_f32_e32 v53, v48, v126
	v_fmac_f32_e32 v53, v49, v125
	v_add_f32_e32 v61, v52, v53
	ds_read_b128 v[52:55], v1 offset:880
	buffer_load_dword v63, off, s[0:3], 0 offset:420
	buffer_load_dword v62, off, s[0:3], 0 offset:416
	;; [unrolled: 1-line block ×4, first 2 shown]
	ds_read_b128 v[56:59], v1 offset:896
	buffer_load_dword v71, off, s[0:3], 0 offset:452
	buffer_load_dword v70, off, s[0:3], 0 offset:448
	;; [unrolled: 1-line block ×12, first 2 shown]
	v_mul_f32_e32 v5, v5, v60
	v_fma_f32 v4, v4, v90, -v5
	v_mul_f32_e32 v5, v7, v66
	v_add_f32_e32 v4, 0, v4
	v_fma_f32 v5, v6, v91, -v5
	v_add_f32_e32 v4, v4, v5
	v_mul_f32_e32 v5, v9, v68
	v_fma_f32 v5, v8, v92, -v5
	v_add_f32_e32 v4, v4, v5
	v_mul_f32_e32 v5, v11, v82
	;; [unrolled: 3-line block ×21, first 2 shown]
	v_fma_f32 v5, v48, v125, -v5
	s_waitcnt vmcnt(18)
	v_mul_f32_e32 v67, v50, v128
	v_add_f32_e32 v60, v4, v5
	v_mul_f32_e32 v4, v51, v128
	v_fmac_f32_e32 v67, v51, v127
	s_waitcnt vmcnt(16) lgkmcnt(1)
	v_mul_f32_e32 v69, v52, v130
	v_fma_f32 v66, v50, v127, -v4
	v_mul_f32_e32 v4, v53, v130
	v_fmac_f32_e32 v69, v53, v129
	s_waitcnt vmcnt(13)
	v_mov_b32_e32 v16, v65
	v_pk_mul_f32 v[16:17], v[54:55], v[16:17] op_sel_hi:[1,0]
	s_waitcnt vmcnt(12)
	v_pk_fma_f32 v[18:19], v[54:55], v[64:65], v[16:17] op_sel:[0,0,1] op_sel_hi:[1,1,0] neg_lo:[0,0,1] neg_hi:[0,0,1]
	v_pk_fma_f32 v[16:17], v[54:55], v[64:65], v[16:17] op_sel:[0,0,1] op_sel_hi:[1,0,0]
	v_fma_f32 v68, v52, v129, -v4
	v_pk_add_f32 v[14:15], v[60:61], v[66:67]
	v_mov_b32_e32 v16, v63
	v_pk_add_f32 v[14:15], v[14:15], v[68:69]
	v_mov_b32_e32 v19, v17
	s_waitcnt lgkmcnt(0)
	v_pk_mul_f32 v[16:17], v[56:57], v[16:17] op_sel_hi:[1,0]
	v_pk_add_f32 v[14:15], v[14:15], v[18:19]
	v_pk_fma_f32 v[18:19], v[56:57], v[62:63], v[16:17] op_sel:[0,0,1] op_sel_hi:[1,1,0] neg_lo:[0,0,1] neg_hi:[0,0,1]
	v_pk_fma_f32 v[16:17], v[56:57], v[62:63], v[16:17] op_sel:[0,0,1] op_sel_hi:[1,0,0]
	s_waitcnt vmcnt(5)
	v_mov_b32_e32 v16, v77
	ds_read_b128 v[4:7], v1 offset:912
	ds_read_b128 v[8:11], v1 offset:928
	ds_read_b64 v[12:13], v1 offset:944
	v_mov_b32_e32 v19, v17
	v_pk_mul_f32 v[16:17], v[58:59], v[16:17] op_sel_hi:[1,0]
	v_pk_add_f32 v[14:15], v[14:15], v[18:19]
	s_waitcnt vmcnt(4)
	v_pk_fma_f32 v[18:19], v[58:59], v[76:77], v[16:17] op_sel:[0,0,1] op_sel_hi:[1,1,0] neg_lo:[0,0,1] neg_hi:[0,0,1]
	v_pk_fma_f32 v[16:17], v[58:59], v[76:77], v[16:17] op_sel:[0,0,1] op_sel_hi:[1,0,0]
	v_mov_b32_e32 v16, v75
	v_mov_b32_e32 v19, v17
	s_waitcnt lgkmcnt(2)
	v_pk_mul_f32 v[16:17], v[4:5], v[16:17] op_sel_hi:[1,0]
	v_pk_add_f32 v[14:15], v[14:15], v[18:19]
	v_pk_fma_f32 v[18:19], v[4:5], v[74:75], v[16:17] op_sel:[0,0,1] op_sel_hi:[1,1,0] neg_lo:[0,0,1] neg_hi:[0,0,1]
	v_pk_fma_f32 v[4:5], v[4:5], v[74:75], v[16:17] op_sel:[0,0,1] op_sel_hi:[1,0,0]
	v_mov_b32_e32 v19, v5
	v_pk_add_f32 v[4:5], v[14:15], v[18:19]
	v_mov_b32_e32 v14, v73
	v_pk_mul_f32 v[14:15], v[6:7], v[14:15] op_sel_hi:[1,0]
	v_pk_fma_f32 v[16:17], v[6:7], v[72:73], v[14:15] op_sel:[0,0,1] op_sel_hi:[1,1,0] neg_lo:[0,0,1] neg_hi:[0,0,1]
	v_pk_fma_f32 v[6:7], v[6:7], v[72:73], v[14:15] op_sel:[0,0,1] op_sel_hi:[1,0,0]
	v_mov_b32_e32 v6, v71
	v_mov_b32_e32 v17, v7
	s_waitcnt lgkmcnt(1)
	v_pk_mul_f32 v[6:7], v[8:9], v[6:7] op_sel_hi:[1,0]
	v_pk_fma_f32 v[14:15], v[8:9], v[70:71], v[6:7] op_sel:[0,0,1] op_sel_hi:[1,1,0] neg_lo:[0,0,1] neg_hi:[0,0,1]
	v_pk_fma_f32 v[6:7], v[8:9], v[70:71], v[6:7] op_sel:[0,0,1] op_sel_hi:[1,0,0]
	s_waitcnt vmcnt(1)
	v_mov_b32_e32 v6, v81
	v_mov_b32_e32 v15, v7
	v_pk_mul_f32 v[6:7], v[10:11], v[6:7] op_sel_hi:[1,0]
	s_waitcnt vmcnt(0)
	v_pk_fma_f32 v[8:9], v[10:11], v[80:81], v[6:7] op_sel:[0,0,1] op_sel_hi:[1,1,0] neg_lo:[0,0,1] neg_hi:[0,0,1]
	v_pk_fma_f32 v[6:7], v[10:11], v[80:81], v[6:7] op_sel:[0,0,1] op_sel_hi:[1,0,0]
	v_pk_add_f32 v[4:5], v[4:5], v[16:17]
	v_mov_b32_e32 v6, v79
	v_pk_add_f32 v[4:5], v[4:5], v[14:15]
	v_mov_b32_e32 v9, v7
	s_waitcnt lgkmcnt(0)
	v_pk_mul_f32 v[6:7], v[12:13], v[6:7] op_sel_hi:[1,0]
	v_pk_add_f32 v[4:5], v[4:5], v[8:9]
	v_pk_fma_f32 v[8:9], v[12:13], v[78:79], v[6:7] op_sel:[0,0,1] op_sel_hi:[1,1,0] neg_lo:[0,0,1] neg_hi:[0,0,1]
	v_pk_fma_f32 v[6:7], v[12:13], v[78:79], v[6:7] op_sel:[0,0,1] op_sel_hi:[1,0,0]
	v_mov_b32_e32 v9, v7
	v_pk_add_f32 v[4:5], v[4:5], v[8:9]
	v_pk_add_f32 v[2:3], v[2:3], v[4:5] neg_lo:[0,1] neg_hi:[0,1]
	buffer_store_dword v3, off, s[0:3], 0 offset:204
	buffer_store_dword v2, off, s[0:3], 0 offset:200
	s_and_saveexec_b64 s[4:5], vcc
	s_cbranch_execz .LBB122_319
; %bb.318:
	buffer_load_dword v2, off, s[0:3], 0 offset:192
	buffer_load_dword v3, off, s[0:3], 0 offset:196
	s_waitcnt vmcnt(0)
	ds_write_b64 v187, v[2:3]
	buffer_store_dword v1, off, s[0:3], 0 offset:192
	buffer_store_dword v1, off, s[0:3], 0 offset:196
.LBB122_319:
	s_or_b64 exec, exec, s[4:5]
	s_waitcnt lgkmcnt(0)
	; wave barrier
	s_waitcnt lgkmcnt(0)
	buffer_load_dword v62, off, s[0:3], 0 offset:204
	buffer_load_dword v64, off, s[0:3], 0 offset:212
	;; [unrolled: 1-line block ×42, first 2 shown]
	ds_read2_b64 v[4:7], v1 offset0:85 offset1:86
	ds_read2_b64 v[8:11], v1 offset0:87 offset1:88
	buffer_load_dword v121, off, s[0:3], 0 offset:360
	buffer_load_dword v122, off, s[0:3], 0 offset:364
	ds_read2_b64 v[12:15], v1 offset0:89 offset1:90
	ds_read2_b64 v[16:19], v1 offset0:91 offset1:92
	buffer_load_dword v123, off, s[0:3], 0 offset:368
	buffer_load_dword v124, off, s[0:3], 0 offset:372
	;; [unrolled: 1-line block ×4, first 2 shown]
	ds_read2_b64 v[20:23], v1 offset0:93 offset1:94
	ds_read2_b64 v[24:27], v1 offset0:95 offset1:96
	buffer_load_dword v127, off, s[0:3], 0 offset:384
	buffer_load_dword v128, off, s[0:3], 0 offset:388
	;; [unrolled: 1-line block ×6, first 2 shown]
	v_cmp_lt_u32_e32 vcc, 23, v0
	s_waitcnt vmcnt(53) lgkmcnt(5)
	v_mul_f32_e32 v28, v4, v62
	s_waitcnt vmcnt(52)
	v_mul_f32_e32 v29, v6, v64
	s_waitcnt vmcnt(51) lgkmcnt(4)
	v_mul_f32_e32 v30, v8, v66
	s_waitcnt vmcnt(50)
	v_mul_f32_e32 v31, v10, v82
	;; [unrolled: 4-line block ×5, first 2 shown]
	s_waitcnt vmcnt(43)
	v_fmac_f32_e32 v28, v5, v89
	s_waitcnt vmcnt(42)
	v_fmac_f32_e32 v29, v7, v90
	v_add_f32_e32 v28, 0, v28
	s_waitcnt vmcnt(41)
	v_fmac_f32_e32 v30, v9, v91
	v_add_f32_e32 v28, v28, v29
	;; [unrolled: 3-line block ×9, first 2 shown]
	s_waitcnt vmcnt(33) lgkmcnt(0)
	v_mul_f32_e32 v29, v24, v99
	v_add_f32_e32 v28, v28, v37
	s_waitcnt vmcnt(32)
	v_fmac_f32_e32 v29, v25, v100
	v_add_f32_e32 v32, v28, v29
	ds_read2_b64 v[28:31], v1 offset0:97 offset1:98
	s_waitcnt vmcnt(31)
	v_mul_f32_e32 v33, v26, v101
	s_waitcnt vmcnt(30)
	v_fmac_f32_e32 v33, v27, v104
	v_add_f32_e32 v36, v32, v33
	ds_read2_b64 v[32:35], v1 offset0:99 offset1:100
	s_waitcnt vmcnt(29) lgkmcnt(1)
	v_mul_f32_e32 v37, v28, v105
	s_waitcnt vmcnt(28)
	v_fmac_f32_e32 v37, v29, v106
	v_add_f32_e32 v36, v36, v37
	s_waitcnt vmcnt(27)
	v_mul_f32_e32 v37, v30, v107
	s_waitcnt vmcnt(26)
	v_fmac_f32_e32 v37, v31, v108
	v_add_f32_e32 v36, v36, v37
	s_waitcnt vmcnt(25) lgkmcnt(0)
	v_mul_f32_e32 v37, v32, v109
	s_waitcnt vmcnt(24)
	v_fmac_f32_e32 v37, v33, v110
	v_add_f32_e32 v40, v36, v37
	ds_read2_b64 v[36:39], v1 offset0:101 offset1:102
	s_waitcnt vmcnt(23)
	v_mul_f32_e32 v41, v34, v111
	s_waitcnt vmcnt(22)
	v_fmac_f32_e32 v41, v35, v112
	v_add_f32_e32 v44, v40, v41
	ds_read2_b64 v[40:43], v1 offset0:103 offset1:104
	s_waitcnt vmcnt(21) lgkmcnt(1)
	v_mul_f32_e32 v45, v36, v113
	s_waitcnt vmcnt(20)
	v_fmac_f32_e32 v45, v37, v114
	v_add_f32_e32 v44, v44, v45
	s_waitcnt vmcnt(18)
	v_mul_f32_e32 v45, v38, v116
	v_fmac_f32_e32 v45, v39, v115
	v_add_f32_e32 v44, v44, v45
	s_waitcnt vmcnt(15) lgkmcnt(0)
	v_mul_f32_e32 v45, v40, v117
	s_waitcnt vmcnt(14)
	v_fmac_f32_e32 v45, v41, v118
	v_add_f32_e32 v48, v44, v45
	ds_read2_b64 v[44:47], v1 offset0:105 offset1:106
	s_waitcnt vmcnt(12)
	v_mul_f32_e32 v49, v42, v120
	v_fmac_f32_e32 v49, v43, v119
	v_add_f32_e32 v52, v48, v49
	ds_read2_b64 v[48:51], v1 offset0:107 offset1:108
	buffer_load_dword v61, off, s[0:3], 0 offset:412
	buffer_load_dword v60, off, s[0:3], 0 offset:408
	s_waitcnt vmcnt(12) lgkmcnt(1)
	v_mul_f32_e32 v53, v44, v122
	v_fmac_f32_e32 v53, v45, v121
	v_add_f32_e32 v52, v52, v53
	s_waitcnt vmcnt(10)
	v_mul_f32_e32 v53, v46, v124
	v_fmac_f32_e32 v53, v47, v123
	v_add_f32_e32 v52, v52, v53
	s_waitcnt vmcnt(8) lgkmcnt(0)
	v_mul_f32_e32 v53, v48, v126
	v_fmac_f32_e32 v53, v49, v125
	s_waitcnt vmcnt(6)
	v_mul_f32_e32 v57, v50, v128
	v_add_f32_e32 v56, v52, v53
	v_fmac_f32_e32 v57, v51, v127
	ds_read2_b64 v[52:55], v1 offset0:109 offset1:110
	v_add_f32_e32 v63, v56, v57
	ds_read2_b64 v[56:59], v1 offset0:111 offset1:112
	buffer_load_dword v69, off, s[0:3], 0 offset:444
	buffer_load_dword v68, off, s[0:3], 0 offset:440
	;; [unrolled: 1-line block ×14, first 2 shown]
	v_mul_f32_e32 v5, v5, v62
	v_fma_f32 v4, v4, v89, -v5
	v_mul_f32_e32 v5, v7, v64
	v_add_f32_e32 v4, 0, v4
	v_fma_f32 v5, v6, v90, -v5
	v_add_f32_e32 v4, v4, v5
	v_mul_f32_e32 v5, v9, v66
	v_fma_f32 v5, v8, v91, -v5
	v_add_f32_e32 v4, v4, v5
	v_mul_f32_e32 v5, v11, v82
	;; [unrolled: 3-line block ×22, first 2 shown]
	v_fma_f32 v5, v50, v127, -v5
	s_waitcnt vmcnt(15)
	v_mov_b32_e32 v18, v61
	s_waitcnt lgkmcnt(1)
	v_mul_f32_e32 v65, v52, v130
	v_add_f32_e32 v62, v4, v5
	v_mul_f32_e32 v4, v53, v130
	s_waitcnt lgkmcnt(0)
	v_pk_mul_f32 v[18:19], v[56:57], v[18:19] op_sel_hi:[1,0]
	v_fmac_f32_e32 v65, v53, v129
	v_mul_f32_e32 v67, v54, v132
	v_fma_f32 v64, v52, v129, -v4
	v_mul_f32_e32 v4, v55, v132
	s_waitcnt vmcnt(14)
	v_pk_fma_f32 v[20:21], v[56:57], v[60:61], v[18:19] op_sel:[0,0,1] op_sel_hi:[1,1,0] neg_lo:[0,0,1] neg_hi:[0,0,1]
	v_pk_fma_f32 v[18:19], v[56:57], v[60:61], v[18:19] op_sel:[0,0,1] op_sel_hi:[1,0,0]
	v_fmac_f32_e32 v67, v55, v131
	v_fma_f32 v66, v54, v131, -v4
	v_pk_add_f32 v[16:17], v[62:63], v[64:65]
	s_waitcnt vmcnt(7)
	v_mov_b32_e32 v18, v75
	ds_read2_b64 v[4:7], v1 offset0:113 offset1:114
	ds_read2_b64 v[8:11], v1 offset0:115 offset1:116
	;; [unrolled: 1-line block ×3, first 2 shown]
	v_pk_add_f32 v[16:17], v[16:17], v[66:67]
	v_mov_b32_e32 v21, v19
	v_pk_mul_f32 v[18:19], v[58:59], v[18:19] op_sel_hi:[1,0]
	v_pk_add_f32 v[16:17], v[16:17], v[20:21]
	s_waitcnt vmcnt(6)
	v_pk_fma_f32 v[20:21], v[58:59], v[74:75], v[18:19] op_sel:[0,0,1] op_sel_hi:[1,1,0] neg_lo:[0,0,1] neg_hi:[0,0,1]
	v_pk_fma_f32 v[18:19], v[58:59], v[74:75], v[18:19] op_sel:[0,0,1] op_sel_hi:[1,0,0]
	v_mov_b32_e32 v18, v73
	v_mov_b32_e32 v21, v19
	s_waitcnt lgkmcnt(2)
	v_pk_mul_f32 v[18:19], v[4:5], v[18:19] op_sel_hi:[1,0]
	v_pk_add_f32 v[16:17], v[16:17], v[20:21]
	v_pk_fma_f32 v[20:21], v[4:5], v[72:73], v[18:19] op_sel:[0,0,1] op_sel_hi:[1,1,0] neg_lo:[0,0,1] neg_hi:[0,0,1]
	v_pk_fma_f32 v[4:5], v[4:5], v[72:73], v[18:19] op_sel:[0,0,1] op_sel_hi:[1,0,0]
	v_mov_b32_e32 v21, v5
	v_pk_add_f32 v[4:5], v[16:17], v[20:21]
	v_mov_b32_e32 v16, v71
	v_pk_mul_f32 v[16:17], v[6:7], v[16:17] op_sel_hi:[1,0]
	v_pk_fma_f32 v[18:19], v[6:7], v[70:71], v[16:17] op_sel:[0,0,1] op_sel_hi:[1,1,0] neg_lo:[0,0,1] neg_hi:[0,0,1]
	v_pk_fma_f32 v[6:7], v[6:7], v[70:71], v[16:17] op_sel:[0,0,1] op_sel_hi:[1,0,0]
	v_mov_b32_e32 v6, v69
	v_mov_b32_e32 v19, v7
	s_waitcnt lgkmcnt(1)
	v_pk_mul_f32 v[6:7], v[8:9], v[6:7] op_sel_hi:[1,0]
	v_pk_fma_f32 v[16:17], v[8:9], v[68:69], v[6:7] op_sel:[0,0,1] op_sel_hi:[1,1,0] neg_lo:[0,0,1] neg_hi:[0,0,1]
	v_pk_fma_f32 v[6:7], v[8:9], v[68:69], v[6:7] op_sel:[0,0,1] op_sel_hi:[1,0,0]
	s_waitcnt vmcnt(1)
	v_mov_b32_e32 v6, v81
	v_mov_b32_e32 v17, v7
	v_pk_mul_f32 v[6:7], v[10:11], v[6:7] op_sel_hi:[1,0]
	s_waitcnt vmcnt(0)
	v_pk_fma_f32 v[8:9], v[10:11], v[80:81], v[6:7] op_sel:[0,0,1] op_sel_hi:[1,1,0] neg_lo:[0,0,1] neg_hi:[0,0,1]
	v_pk_fma_f32 v[6:7], v[10:11], v[80:81], v[6:7] op_sel:[0,0,1] op_sel_hi:[1,0,0]
	v_pk_add_f32 v[4:5], v[4:5], v[18:19]
	v_mov_b32_e32 v6, v79
	v_pk_add_f32 v[4:5], v[4:5], v[16:17]
	v_mov_b32_e32 v9, v7
	s_waitcnt lgkmcnt(0)
	v_pk_mul_f32 v[6:7], v[12:13], v[6:7] op_sel_hi:[1,0]
	v_pk_add_f32 v[4:5], v[4:5], v[8:9]
	v_pk_fma_f32 v[8:9], v[12:13], v[78:79], v[6:7] op_sel:[0,0,1] op_sel_hi:[1,1,0] neg_lo:[0,0,1] neg_hi:[0,0,1]
	v_pk_fma_f32 v[6:7], v[12:13], v[78:79], v[6:7] op_sel:[0,0,1] op_sel_hi:[1,0,0]
	v_mov_b32_e32 v6, v77
	v_mov_b32_e32 v9, v7
	v_pk_mul_f32 v[6:7], v[14:15], v[6:7] op_sel_hi:[1,0]
	v_pk_add_f32 v[4:5], v[4:5], v[8:9]
	v_pk_fma_f32 v[8:9], v[14:15], v[76:77], v[6:7] op_sel:[0,0,1] op_sel_hi:[1,1,0] neg_lo:[0,0,1] neg_hi:[0,0,1]
	v_pk_fma_f32 v[6:7], v[14:15], v[76:77], v[6:7] op_sel:[0,0,1] op_sel_hi:[1,0,0]
	v_mov_b32_e32 v9, v7
	v_pk_add_f32 v[4:5], v[4:5], v[8:9]
	v_pk_add_f32 v[2:3], v[2:3], v[4:5] neg_lo:[0,1] neg_hi:[0,1]
	buffer_store_dword v3, off, s[0:3], 0 offset:196
	buffer_store_dword v2, off, s[0:3], 0 offset:192
	s_and_saveexec_b64 s[4:5], vcc
	s_cbranch_execz .LBB122_321
; %bb.320:
	buffer_load_dword v2, off, s[0:3], 0 offset:184
	buffer_load_dword v3, off, s[0:3], 0 offset:188
	v_mov_b32_e32 v1, 0
	buffer_store_dword v1, off, s[0:3], 0 offset:184
	buffer_store_dword v1, off, s[0:3], 0 offset:188
	s_waitcnt vmcnt(2)
	ds_write_b64 v187, v[2:3]
.LBB122_321:
	s_or_b64 exec, exec, s[4:5]
	s_waitcnt lgkmcnt(0)
	; wave barrier
	s_waitcnt lgkmcnt(0)
	buffer_load_dword v60, off, s[0:3], 0 offset:196
	buffer_load_dword v62, off, s[0:3], 0 offset:204
	buffer_load_dword v64, off, s[0:3], 0 offset:212
	buffer_load_dword v82, off, s[0:3], 0 offset:220
	buffer_load_dword v83, off, s[0:3], 0 offset:228
	buffer_load_dword v84, off, s[0:3], 0 offset:236
	buffer_load_dword v85, off, s[0:3], 0 offset:244
	buffer_load_dword v86, off, s[0:3], 0 offset:252
	buffer_load_dword v87, off, s[0:3], 0 offset:260
	buffer_load_dword v88, off, s[0:3], 0 offset:192
	buffer_load_dword v89, off, s[0:3], 0 offset:200
	buffer_load_dword v90, off, s[0:3], 0 offset:208
	buffer_load_dword v91, off, s[0:3], 0 offset:216
	buffer_load_dword v92, off, s[0:3], 0 offset:224
	buffer_load_dword v93, off, s[0:3], 0 offset:232
	buffer_load_dword v94, off, s[0:3], 0 offset:240
	buffer_load_dword v95, off, s[0:3], 0 offset:248
	buffer_load_dword v96, off, s[0:3], 0 offset:256
	buffer_load_dword v97, off, s[0:3], 0 offset:268
	buffer_load_dword v98, off, s[0:3], 0 offset:264
	buffer_load_dword v99, off, s[0:3], 0 offset:276
	buffer_load_dword v100, off, s[0:3], 0 offset:272
	buffer_load_dword v101, off, s[0:3], 0 offset:284
	buffer_load_dword v104, off, s[0:3], 0 offset:280
	buffer_load_dword v105, off, s[0:3], 0 offset:292
	buffer_load_dword v106, off, s[0:3], 0 offset:288
	buffer_load_dword v107, off, s[0:3], 0 offset:300
	buffer_load_dword v108, off, s[0:3], 0 offset:296
	buffer_load_dword v109, off, s[0:3], 0 offset:308
	buffer_load_dword v110, off, s[0:3], 0 offset:304
	buffer_load_dword v111, off, s[0:3], 0 offset:312
	buffer_load_dword v112, off, s[0:3], 0 offset:316
	buffer_load_dword v2, off, s[0:3], 0 offset:184
	buffer_load_dword v3, off, s[0:3], 0 offset:188
	buffer_load_dword v113, off, s[0:3], 0 offset:320
	buffer_load_dword v114, off, s[0:3], 0 offset:324
	buffer_load_dword v115, off, s[0:3], 0 offset:328
	buffer_load_dword v116, off, s[0:3], 0 offset:332
	buffer_load_dword v117, off, s[0:3], 0 offset:336
	buffer_load_dword v118, off, s[0:3], 0 offset:340
	buffer_load_dword v119, off, s[0:3], 0 offset:344
	buffer_load_dword v120, off, s[0:3], 0 offset:348
	buffer_load_dword v121, off, s[0:3], 0 offset:352
	buffer_load_dword v122, off, s[0:3], 0 offset:356
	buffer_load_dword v123, off, s[0:3], 0 offset:360
	buffer_load_dword v124, off, s[0:3], 0 offset:364
	buffer_load_dword v125, off, s[0:3], 0 offset:368
	buffer_load_dword v126, off, s[0:3], 0 offset:372
	buffer_load_dword v127, off, s[0:3], 0 offset:376
	buffer_load_dword v128, off, s[0:3], 0 offset:380
	buffer_load_dword v129, off, s[0:3], 0 offset:384
	buffer_load_dword v130, off, s[0:3], 0 offset:388
	buffer_load_dword v131, off, s[0:3], 0 offset:392
	buffer_load_dword v132, off, s[0:3], 0 offset:396
	buffer_load_dword v133, off, s[0:3], 0 offset:400
	buffer_load_dword v134, off, s[0:3], 0 offset:404
	v_mov_b32_e32 v1, 0
	ds_read_b128 v[4:7], v1 offset:672
	ds_read_b128 v[8:11], v1 offset:688
	;; [unrolled: 1-line block ×6, first 2 shown]
	v_cmp_lt_u32_e32 vcc, 22, v0
	s_waitcnt vmcnt(55) lgkmcnt(5)
	v_mul_f32_e32 v28, v4, v60
	s_waitcnt vmcnt(54)
	v_mul_f32_e32 v29, v6, v62
	s_waitcnt vmcnt(53) lgkmcnt(4)
	v_mul_f32_e32 v30, v8, v64
	s_waitcnt vmcnt(52)
	v_mul_f32_e32 v31, v10, v82
	;; [unrolled: 4-line block ×4, first 2 shown]
	s_waitcnt vmcnt(47) lgkmcnt(1)
	v_mul_f32_e32 v36, v20, v87
	s_waitcnt vmcnt(46)
	v_fmac_f32_e32 v28, v5, v88
	s_waitcnt vmcnt(45)
	v_fmac_f32_e32 v29, v7, v89
	v_add_f32_e32 v28, 0, v28
	s_waitcnt vmcnt(44)
	v_fmac_f32_e32 v30, v9, v90
	v_add_f32_e32 v28, v28, v29
	;; [unrolled: 3-line block ×7, first 2 shown]
	v_add_f32_e32 v28, v28, v35
	s_waitcnt vmcnt(38)
	v_fmac_f32_e32 v36, v21, v96
	s_waitcnt vmcnt(37)
	v_mul_f32_e32 v29, v22, v97
	v_add_f32_e32 v28, v28, v36
	s_waitcnt vmcnt(36)
	v_fmac_f32_e32 v29, v23, v98
	v_add_f32_e32 v28, v28, v29
	s_waitcnt vmcnt(35) lgkmcnt(0)
	v_mul_f32_e32 v29, v24, v99
	s_waitcnt vmcnt(34)
	v_fmac_f32_e32 v29, v25, v100
	v_add_f32_e32 v32, v28, v29
	ds_read_b128 v[28:31], v1 offset:768
	s_waitcnt vmcnt(33)
	v_mul_f32_e32 v33, v26, v101
	s_waitcnt vmcnt(32)
	v_fmac_f32_e32 v33, v27, v104
	v_add_f32_e32 v36, v32, v33
	ds_read_b128 v[32:35], v1 offset:784
	s_waitcnt vmcnt(31) lgkmcnt(1)
	v_mul_f32_e32 v37, v28, v105
	s_waitcnt vmcnt(30)
	v_fmac_f32_e32 v37, v29, v106
	v_add_f32_e32 v36, v36, v37
	s_waitcnt vmcnt(29)
	v_mul_f32_e32 v37, v30, v107
	s_waitcnt vmcnt(28)
	v_fmac_f32_e32 v37, v31, v108
	v_add_f32_e32 v36, v36, v37
	s_waitcnt vmcnt(27) lgkmcnt(0)
	v_mul_f32_e32 v37, v32, v109
	s_waitcnt vmcnt(26)
	v_fmac_f32_e32 v37, v33, v110
	v_add_f32_e32 v40, v36, v37
	ds_read_b128 v[36:39], v1 offset:800
	s_waitcnt vmcnt(24)
	v_mul_f32_e32 v41, v34, v112
	v_fmac_f32_e32 v41, v35, v111
	v_add_f32_e32 v44, v40, v41
	ds_read_b128 v[40:43], v1 offset:816
	s_waitcnt vmcnt(20) lgkmcnt(1)
	v_mul_f32_e32 v45, v36, v114
	v_fmac_f32_e32 v45, v37, v113
	v_add_f32_e32 v44, v44, v45
	s_waitcnt vmcnt(18)
	v_mul_f32_e32 v45, v38, v116
	v_fmac_f32_e32 v45, v39, v115
	v_add_f32_e32 v44, v44, v45
	s_waitcnt vmcnt(16) lgkmcnt(0)
	v_mul_f32_e32 v45, v40, v118
	v_fmac_f32_e32 v45, v41, v117
	v_add_f32_e32 v48, v44, v45
	ds_read_b128 v[44:47], v1 offset:832
	s_waitcnt vmcnt(14)
	v_mul_f32_e32 v49, v42, v120
	v_fmac_f32_e32 v49, v43, v119
	v_add_f32_e32 v52, v48, v49
	ds_read_b128 v[48:51], v1 offset:848
	s_waitcnt vmcnt(12) lgkmcnt(1)
	v_mul_f32_e32 v53, v44, v122
	v_fmac_f32_e32 v53, v45, v121
	v_add_f32_e32 v52, v52, v53
	s_waitcnt vmcnt(10)
	v_mul_f32_e32 v53, v46, v124
	v_fmac_f32_e32 v53, v47, v123
	v_add_f32_e32 v52, v52, v53
	s_waitcnt vmcnt(8) lgkmcnt(0)
	v_mul_f32_e32 v53, v48, v126
	v_fmac_f32_e32 v53, v49, v125
	s_waitcnt vmcnt(6)
	v_mul_f32_e32 v57, v50, v128
	v_add_f32_e32 v56, v52, v53
	v_fmac_f32_e32 v57, v51, v127
	ds_read_b128 v[52:55], v1 offset:864
	v_add_f32_e32 v61, v56, v57
	ds_read_b128 v[56:59], v1 offset:880
	buffer_load_dword v67, off, s[0:3], 0 offset:436
	buffer_load_dword v66, off, s[0:3], 0 offset:432
	;; [unrolled: 1-line block ×16, first 2 shown]
	v_mul_f32_e32 v5, v5, v60
	v_fma_f32 v4, v4, v88, -v5
	v_mul_f32_e32 v5, v7, v62
	v_add_f32_e32 v4, 0, v4
	v_fma_f32 v5, v6, v89, -v5
	v_add_f32_e32 v4, v4, v5
	v_mul_f32_e32 v5, v9, v64
	v_fma_f32 v5, v8, v90, -v5
	v_add_f32_e32 v4, v4, v5
	v_mul_f32_e32 v5, v11, v82
	;; [unrolled: 3-line block ×22, first 2 shown]
	v_fma_f32 v5, v50, v127, -v5
	v_add_f32_e32 v4, v4, v5
	s_waitcnt vmcnt(20) lgkmcnt(1)
	v_mul_f32_e32 v5, v53, v130
	v_mul_f32_e32 v63, v52, v130
	v_fma_f32 v5, v52, v129, -v5
	v_fmac_f32_e32 v63, v53, v129
	v_add_f32_e32 v60, v4, v5
	s_waitcnt vmcnt(18)
	v_mul_f32_e32 v4, v55, v132
	s_waitcnt vmcnt(9)
	v_mov_b32_e32 v20, v73
	v_add_f32_e32 v61, v61, v63
	v_mul_f32_e32 v63, v54, v132
	v_fma_f32 v62, v54, v131, -v4
	s_waitcnt lgkmcnt(0)
	v_mul_f32_e32 v4, v57, v134
	v_pk_mul_f32 v[20:21], v[58:59], v[20:21] op_sel_hi:[1,0]
	v_fmac_f32_e32 v63, v55, v131
	v_mul_f32_e32 v65, v56, v134
	v_fma_f32 v64, v56, v133, -v4
	ds_read_b128 v[4:7], v1 offset:896
	ds_read_b128 v[8:11], v1 offset:912
	;; [unrolled: 1-line block ×3, first 2 shown]
	ds_read_b64 v[16:17], v1 offset:944
	s_waitcnt vmcnt(8)
	v_pk_fma_f32 v[22:23], v[58:59], v[72:73], v[20:21] op_sel:[0,0,1] op_sel_hi:[1,1,0] neg_lo:[0,0,1] neg_hi:[0,0,1]
	v_pk_fma_f32 v[20:21], v[58:59], v[72:73], v[20:21] op_sel:[0,0,1] op_sel_hi:[1,0,0]
	v_fmac_f32_e32 v65, v57, v133
	v_pk_add_f32 v[18:19], v[60:61], v[62:63]
	v_mov_b32_e32 v20, v71
	v_pk_add_f32 v[18:19], v[18:19], v[64:65]
	v_mov_b32_e32 v23, v21
	s_waitcnt lgkmcnt(3)
	v_pk_mul_f32 v[20:21], v[4:5], v[20:21] op_sel_hi:[1,0]
	v_pk_add_f32 v[18:19], v[18:19], v[22:23]
	v_pk_fma_f32 v[22:23], v[4:5], v[70:71], v[20:21] op_sel:[0,0,1] op_sel_hi:[1,1,0] neg_lo:[0,0,1] neg_hi:[0,0,1]
	v_pk_fma_f32 v[4:5], v[4:5], v[70:71], v[20:21] op_sel:[0,0,1] op_sel_hi:[1,0,0]
	v_mov_b32_e32 v23, v5
	v_pk_add_f32 v[4:5], v[18:19], v[22:23]
	v_mov_b32_e32 v18, v69
	v_pk_mul_f32 v[18:19], v[6:7], v[18:19] op_sel_hi:[1,0]
	v_pk_fma_f32 v[20:21], v[6:7], v[68:69], v[18:19] op_sel:[0,0,1] op_sel_hi:[1,1,0] neg_lo:[0,0,1] neg_hi:[0,0,1]
	v_pk_fma_f32 v[6:7], v[6:7], v[68:69], v[18:19] op_sel:[0,0,1] op_sel_hi:[1,0,0]
	v_mov_b32_e32 v6, v67
	v_mov_b32_e32 v21, v7
	s_waitcnt lgkmcnt(2)
	v_pk_mul_f32 v[6:7], v[8:9], v[6:7] op_sel_hi:[1,0]
	v_pk_fma_f32 v[18:19], v[8:9], v[66:67], v[6:7] op_sel:[0,0,1] op_sel_hi:[1,1,0] neg_lo:[0,0,1] neg_hi:[0,0,1]
	v_pk_fma_f32 v[6:7], v[8:9], v[66:67], v[6:7] op_sel:[0,0,1] op_sel_hi:[1,0,0]
	s_waitcnt vmcnt(1)
	v_mov_b32_e32 v6, v81
	v_mov_b32_e32 v19, v7
	v_pk_mul_f32 v[6:7], v[10:11], v[6:7] op_sel_hi:[1,0]
	s_waitcnt vmcnt(0)
	v_pk_fma_f32 v[8:9], v[10:11], v[80:81], v[6:7] op_sel:[0,0,1] op_sel_hi:[1,1,0] neg_lo:[0,0,1] neg_hi:[0,0,1]
	v_pk_fma_f32 v[6:7], v[10:11], v[80:81], v[6:7] op_sel:[0,0,1] op_sel_hi:[1,0,0]
	v_pk_add_f32 v[4:5], v[4:5], v[20:21]
	v_mov_b32_e32 v6, v79
	v_pk_add_f32 v[4:5], v[4:5], v[18:19]
	v_mov_b32_e32 v9, v7
	s_waitcnt lgkmcnt(1)
	v_pk_mul_f32 v[6:7], v[12:13], v[6:7] op_sel_hi:[1,0]
	v_pk_add_f32 v[4:5], v[4:5], v[8:9]
	v_pk_fma_f32 v[8:9], v[12:13], v[78:79], v[6:7] op_sel:[0,0,1] op_sel_hi:[1,1,0] neg_lo:[0,0,1] neg_hi:[0,0,1]
	v_pk_fma_f32 v[6:7], v[12:13], v[78:79], v[6:7] op_sel:[0,0,1] op_sel_hi:[1,0,0]
	v_mov_b32_e32 v6, v77
	v_mov_b32_e32 v9, v7
	v_pk_mul_f32 v[6:7], v[14:15], v[6:7] op_sel_hi:[1,0]
	v_pk_add_f32 v[4:5], v[4:5], v[8:9]
	v_pk_fma_f32 v[8:9], v[14:15], v[76:77], v[6:7] op_sel:[0,0,1] op_sel_hi:[1,1,0] neg_lo:[0,0,1] neg_hi:[0,0,1]
	v_pk_fma_f32 v[6:7], v[14:15], v[76:77], v[6:7] op_sel:[0,0,1] op_sel_hi:[1,0,0]
	v_mov_b32_e32 v6, v75
	v_mov_b32_e32 v9, v7
	s_waitcnt lgkmcnt(0)
	v_pk_mul_f32 v[6:7], v[16:17], v[6:7] op_sel_hi:[1,0]
	v_pk_add_f32 v[4:5], v[4:5], v[8:9]
	v_pk_fma_f32 v[8:9], v[16:17], v[74:75], v[6:7] op_sel:[0,0,1] op_sel_hi:[1,1,0] neg_lo:[0,0,1] neg_hi:[0,0,1]
	v_pk_fma_f32 v[6:7], v[16:17], v[74:75], v[6:7] op_sel:[0,0,1] op_sel_hi:[1,0,0]
	v_mov_b32_e32 v9, v7
	v_pk_add_f32 v[4:5], v[4:5], v[8:9]
	v_pk_add_f32 v[2:3], v[2:3], v[4:5] neg_lo:[0,1] neg_hi:[0,1]
	buffer_store_dword v3, off, s[0:3], 0 offset:188
	buffer_store_dword v2, off, s[0:3], 0 offset:184
	s_and_saveexec_b64 s[4:5], vcc
	s_cbranch_execz .LBB122_323
; %bb.322:
	buffer_load_dword v2, off, s[0:3], 0 offset:176
	buffer_load_dword v3, off, s[0:3], 0 offset:180
	s_waitcnt vmcnt(0)
	ds_write_b64 v187, v[2:3]
	buffer_store_dword v1, off, s[0:3], 0 offset:176
	buffer_store_dword v1, off, s[0:3], 0 offset:180
.LBB122_323:
	s_or_b64 exec, exec, s[4:5]
	s_waitcnt lgkmcnt(0)
	; wave barrier
	s_waitcnt lgkmcnt(0)
	buffer_load_dword v60, off, s[0:3], 0 offset:188
	buffer_load_dword v62, off, s[0:3], 0 offset:196
	;; [unrolled: 1-line block ×36, first 2 shown]
	ds_read2_b64 v[4:7], v1 offset0:83 offset1:84
	ds_read2_b64 v[8:11], v1 offset0:85 offset1:86
	buffer_load_dword v115, off, s[0:3], 0 offset:320
	buffer_load_dword v116, off, s[0:3], 0 offset:324
	;; [unrolled: 1-line block ×4, first 2 shown]
	ds_read2_b64 v[12:15], v1 offset0:87 offset1:88
	ds_read2_b64 v[16:19], v1 offset0:89 offset1:90
	buffer_load_dword v119, off, s[0:3], 0 offset:336
	buffer_load_dword v120, off, s[0:3], 0 offset:340
	ds_read2_b64 v[20:23], v1 offset0:91 offset1:92
	ds_read2_b64 v[24:27], v1 offset0:93 offset1:94
	buffer_load_dword v121, off, s[0:3], 0 offset:344
	buffer_load_dword v122, off, s[0:3], 0 offset:348
	;; [unrolled: 1-line block ×16, first 2 shown]
	v_cmp_lt_u32_e32 vcc, 21, v0
	s_waitcnt vmcnt(57) lgkmcnt(5)
	v_mul_f32_e32 v28, v4, v60
	s_waitcnt vmcnt(56)
	v_mul_f32_e32 v29, v6, v62
	s_waitcnt vmcnt(55) lgkmcnt(4)
	v_mul_f32_e32 v30, v8, v70
	s_waitcnt vmcnt(54)
	v_mul_f32_e32 v31, v10, v82
	s_waitcnt vmcnt(53) lgkmcnt(3)
	v_mul_f32_e32 v32, v12, v83
	s_waitcnt vmcnt(52)
	v_mul_f32_e32 v33, v14, v84
	s_waitcnt vmcnt(51) lgkmcnt(2)
	v_mul_f32_e32 v34, v16, v85
	s_waitcnt vmcnt(50)
	v_mul_f32_e32 v35, v18, v86
	s_waitcnt vmcnt(49)
	v_fmac_f32_e32 v28, v5, v87
	s_waitcnt vmcnt(48)
	v_fmac_f32_e32 v29, v7, v88
	v_add_f32_e32 v28, 0, v28
	s_waitcnt vmcnt(47)
	v_fmac_f32_e32 v30, v9, v89
	v_add_f32_e32 v28, v28, v29
	;; [unrolled: 3-line block ×7, first 2 shown]
	s_waitcnt vmcnt(41) lgkmcnt(1)
	v_mul_f32_e32 v29, v20, v95
	v_add_f32_e32 v28, v28, v35
	s_waitcnt vmcnt(40)
	v_fmac_f32_e32 v29, v21, v96
	v_add_f32_e32 v28, v28, v29
	s_waitcnt vmcnt(39)
	v_mul_f32_e32 v29, v22, v97
	s_waitcnt vmcnt(38)
	v_fmac_f32_e32 v29, v23, v98
	v_add_f32_e32 v28, v28, v29
	s_waitcnt vmcnt(37) lgkmcnt(0)
	v_mul_f32_e32 v29, v24, v99
	s_waitcnt vmcnt(36)
	v_fmac_f32_e32 v29, v25, v100
	v_add_f32_e32 v32, v28, v29
	ds_read2_b64 v[28:31], v1 offset0:95 offset1:96
	s_waitcnt vmcnt(35)
	v_mul_f32_e32 v33, v26, v101
	s_waitcnt vmcnt(34)
	v_fmac_f32_e32 v33, v27, v104
	v_add_f32_e32 v36, v32, v33
	ds_read2_b64 v[32:35], v1 offset0:97 offset1:98
	s_waitcnt vmcnt(33) lgkmcnt(1)
	v_mul_f32_e32 v37, v28, v105
	s_waitcnt vmcnt(32)
	v_fmac_f32_e32 v37, v29, v106
	v_add_f32_e32 v36, v36, v37
	s_waitcnt vmcnt(31)
	v_mul_f32_e32 v37, v30, v107
	s_waitcnt vmcnt(30)
	v_fmac_f32_e32 v37, v31, v108
	v_add_f32_e32 v36, v36, v37
	s_waitcnt vmcnt(29) lgkmcnt(0)
	v_mul_f32_e32 v37, v32, v109
	s_waitcnt vmcnt(28)
	v_fmac_f32_e32 v37, v33, v110
	v_add_f32_e32 v40, v36, v37
	ds_read2_b64 v[36:39], v1 offset0:99 offset1:100
	s_waitcnt vmcnt(25)
	v_mul_f32_e32 v41, v34, v111
	s_waitcnt vmcnt(24)
	v_fmac_f32_e32 v41, v35, v112
	v_add_f32_e32 v44, v40, v41
	ds_read2_b64 v[40:43], v1 offset0:101 offset1:102
	s_waitcnt vmcnt(22) lgkmcnt(1)
	v_mul_f32_e32 v45, v36, v114
	v_fmac_f32_e32 v45, v37, v113
	v_add_f32_e32 v44, v44, v45
	s_waitcnt vmcnt(20)
	v_mul_f32_e32 v45, v38, v116
	v_fmac_f32_e32 v45, v39, v115
	v_add_f32_e32 v44, v44, v45
	s_waitcnt vmcnt(18) lgkmcnt(0)
	v_mul_f32_e32 v45, v40, v118
	v_fmac_f32_e32 v45, v41, v117
	v_add_f32_e32 v48, v44, v45
	ds_read2_b64 v[44:47], v1 offset0:103 offset1:104
	s_waitcnt vmcnt(16)
	v_mul_f32_e32 v49, v42, v120
	v_fmac_f32_e32 v49, v43, v119
	v_add_f32_e32 v52, v48, v49
	ds_read2_b64 v[48:51], v1 offset0:105 offset1:106
	s_waitcnt vmcnt(14) lgkmcnt(1)
	v_mul_f32_e32 v53, v44, v122
	v_fmac_f32_e32 v53, v45, v121
	v_add_f32_e32 v52, v52, v53
	s_waitcnt vmcnt(12)
	v_mul_f32_e32 v53, v46, v124
	v_fmac_f32_e32 v53, v47, v123
	v_add_f32_e32 v52, v52, v53
	s_waitcnt vmcnt(10) lgkmcnt(0)
	v_mul_f32_e32 v53, v48, v126
	v_fmac_f32_e32 v53, v49, v125
	s_waitcnt vmcnt(8)
	v_mul_f32_e32 v57, v50, v128
	v_add_f32_e32 v56, v52, v53
	v_fmac_f32_e32 v57, v51, v127
	ds_read2_b64 v[52:55], v1 offset0:107 offset1:108
	v_add_f32_e32 v61, v56, v57
	ds_read2_b64 v[56:59], v1 offset0:109 offset1:110
	buffer_load_dword v65, off, s[0:3], 0 offset:428
	buffer_load_dword v64, off, s[0:3], 0 offset:424
	;; [unrolled: 1-line block ×16, first 2 shown]
	v_mul_f32_e32 v5, v5, v60
	v_fma_f32 v4, v4, v87, -v5
	v_mul_f32_e32 v5, v7, v62
	v_add_f32_e32 v4, 0, v4
	v_fma_f32 v5, v6, v88, -v5
	v_add_f32_e32 v4, v4, v5
	v_mul_f32_e32 v5, v9, v70
	v_fma_f32 v5, v8, v89, -v5
	v_add_f32_e32 v4, v4, v5
	v_mul_f32_e32 v5, v11, v82
	;; [unrolled: 3-line block ×22, first 2 shown]
	v_fma_f32 v5, v50, v127, -v5
	v_add_f32_e32 v4, v4, v5
	s_waitcnt vmcnt(22) lgkmcnt(1)
	v_mul_f32_e32 v5, v53, v130
	v_fma_f32 v5, v52, v129, -v5
	v_add_f32_e32 v4, v4, v5
	s_waitcnt vmcnt(20)
	v_mul_f32_e32 v5, v55, v132
	v_mul_f32_e32 v63, v52, v130
	v_fma_f32 v5, v54, v131, -v5
	v_fmac_f32_e32 v63, v53, v129
	v_add_f32_e32 v60, v4, v5
	s_waitcnt vmcnt(18) lgkmcnt(0)
	v_mul_f32_e32 v4, v57, v134
	v_add_f32_e32 v61, v61, v63
	v_mul_f32_e32 v63, v54, v132
	v_fma_f32 v62, v56, v133, -v4
	s_waitcnt vmcnt(16)
	v_mul_f32_e32 v4, v59, v136
	v_fmac_f32_e32 v63, v55, v131
	v_fma_f32 v70, v58, v135, -v4
	ds_read2_b64 v[4:7], v1 offset0:111 offset1:112
	ds_read2_b64 v[8:11], v1 offset0:113 offset1:114
	;; [unrolled: 1-line block ×4, first 2 shown]
	v_add_f32_e32 v61, v61, v63
	v_mul_f32_e32 v63, v56, v134
	s_waitcnt vmcnt(11)
	v_mov_b32_e32 v22, v69
	v_fmac_f32_e32 v63, v57, v133
	v_mul_f32_e32 v71, v58, v136
	s_waitcnt lgkmcnt(3)
	v_pk_mul_f32 v[22:23], v[4:5], v[22:23] op_sel_hi:[1,0]
	v_fmac_f32_e32 v71, v59, v135
	v_pk_add_f32 v[20:21], v[60:61], v[62:63]
	s_waitcnt vmcnt(10)
	v_pk_fma_f32 v[24:25], v[4:5], v[68:69], v[22:23] op_sel:[0,0,1] op_sel_hi:[1,1,0] neg_lo:[0,0,1] neg_hi:[0,0,1]
	v_pk_fma_f32 v[4:5], v[4:5], v[68:69], v[22:23] op_sel:[0,0,1] op_sel_hi:[1,0,0]
	v_pk_add_f32 v[20:21], v[20:21], v[70:71]
	v_mov_b32_e32 v25, v5
	v_pk_add_f32 v[4:5], v[20:21], v[24:25]
	v_mov_b32_e32 v20, v67
	v_pk_mul_f32 v[20:21], v[6:7], v[20:21] op_sel_hi:[1,0]
	v_pk_fma_f32 v[22:23], v[6:7], v[66:67], v[20:21] op_sel:[0,0,1] op_sel_hi:[1,1,0] neg_lo:[0,0,1] neg_hi:[0,0,1]
	v_pk_fma_f32 v[6:7], v[6:7], v[66:67], v[20:21] op_sel:[0,0,1] op_sel_hi:[1,0,0]
	v_mov_b32_e32 v6, v65
	v_mov_b32_e32 v23, v7
	s_waitcnt lgkmcnt(2)
	v_pk_mul_f32 v[6:7], v[8:9], v[6:7] op_sel_hi:[1,0]
	v_pk_fma_f32 v[20:21], v[8:9], v[64:65], v[6:7] op_sel:[0,0,1] op_sel_hi:[1,1,0] neg_lo:[0,0,1] neg_hi:[0,0,1]
	v_pk_fma_f32 v[6:7], v[8:9], v[64:65], v[6:7] op_sel:[0,0,1] op_sel_hi:[1,0,0]
	s_waitcnt vmcnt(3)
	v_mov_b32_e32 v6, v79
	v_mov_b32_e32 v21, v7
	v_pk_mul_f32 v[6:7], v[10:11], v[6:7] op_sel_hi:[1,0]
	s_waitcnt vmcnt(2)
	v_pk_fma_f32 v[8:9], v[10:11], v[78:79], v[6:7] op_sel:[0,0,1] op_sel_hi:[1,1,0] neg_lo:[0,0,1] neg_hi:[0,0,1]
	v_pk_fma_f32 v[6:7], v[10:11], v[78:79], v[6:7] op_sel:[0,0,1] op_sel_hi:[1,0,0]
	v_pk_add_f32 v[4:5], v[4:5], v[22:23]
	v_mov_b32_e32 v6, v77
	v_pk_add_f32 v[4:5], v[4:5], v[20:21]
	v_mov_b32_e32 v9, v7
	s_waitcnt lgkmcnt(1)
	v_pk_mul_f32 v[6:7], v[12:13], v[6:7] op_sel_hi:[1,0]
	v_pk_add_f32 v[4:5], v[4:5], v[8:9]
	v_pk_fma_f32 v[8:9], v[12:13], v[76:77], v[6:7] op_sel:[0,0,1] op_sel_hi:[1,1,0] neg_lo:[0,0,1] neg_hi:[0,0,1]
	v_pk_fma_f32 v[6:7], v[12:13], v[76:77], v[6:7] op_sel:[0,0,1] op_sel_hi:[1,0,0]
	v_mov_b32_e32 v6, v75
	v_mov_b32_e32 v9, v7
	v_pk_mul_f32 v[6:7], v[14:15], v[6:7] op_sel_hi:[1,0]
	v_pk_add_f32 v[4:5], v[4:5], v[8:9]
	v_pk_fma_f32 v[8:9], v[14:15], v[74:75], v[6:7] op_sel:[0,0,1] op_sel_hi:[1,1,0] neg_lo:[0,0,1] neg_hi:[0,0,1]
	v_pk_fma_f32 v[6:7], v[14:15], v[74:75], v[6:7] op_sel:[0,0,1] op_sel_hi:[1,0,0]
	v_mov_b32_e32 v6, v73
	v_mov_b32_e32 v9, v7
	s_waitcnt lgkmcnt(0)
	v_pk_mul_f32 v[6:7], v[16:17], v[6:7] op_sel_hi:[1,0]
	v_pk_add_f32 v[4:5], v[4:5], v[8:9]
	v_pk_fma_f32 v[8:9], v[16:17], v[72:73], v[6:7] op_sel:[0,0,1] op_sel_hi:[1,1,0] neg_lo:[0,0,1] neg_hi:[0,0,1]
	v_pk_fma_f32 v[6:7], v[16:17], v[72:73], v[6:7] op_sel:[0,0,1] op_sel_hi:[1,0,0]
	s_waitcnt vmcnt(1)
	v_mov_b32_e32 v6, v81
	v_mov_b32_e32 v9, v7
	v_pk_mul_f32 v[6:7], v[18:19], v[6:7] op_sel_hi:[1,0]
	v_pk_add_f32 v[4:5], v[4:5], v[8:9]
	s_waitcnt vmcnt(0)
	v_pk_fma_f32 v[8:9], v[18:19], v[80:81], v[6:7] op_sel:[0,0,1] op_sel_hi:[1,1,0] neg_lo:[0,0,1] neg_hi:[0,0,1]
	v_pk_fma_f32 v[6:7], v[18:19], v[80:81], v[6:7] op_sel:[0,0,1] op_sel_hi:[1,0,0]
	v_mov_b32_e32 v9, v7
	v_pk_add_f32 v[4:5], v[4:5], v[8:9]
	v_pk_add_f32 v[2:3], v[2:3], v[4:5] neg_lo:[0,1] neg_hi:[0,1]
	buffer_store_dword v3, off, s[0:3], 0 offset:180
	buffer_store_dword v2, off, s[0:3], 0 offset:176
	s_and_saveexec_b64 s[4:5], vcc
	s_cbranch_execz .LBB122_325
; %bb.324:
	buffer_load_dword v2, off, s[0:3], 0 offset:168
	buffer_load_dword v3, off, s[0:3], 0 offset:172
	v_mov_b32_e32 v1, 0
	buffer_store_dword v1, off, s[0:3], 0 offset:168
	buffer_store_dword v1, off, s[0:3], 0 offset:172
	s_waitcnt vmcnt(2)
	ds_write_b64 v187, v[2:3]
.LBB122_325:
	s_or_b64 exec, exec, s[4:5]
	v_mov_b32_e32 v86, 0
	s_waitcnt lgkmcnt(0)
	; wave barrier
	s_waitcnt lgkmcnt(0)
	ds_read_b128 v[14:17], v86 offset:656
	ds_read_b128 v[10:13], v86 offset:672
	;; [unrolled: 1-line block ×4, first 2 shown]
	buffer_load_dword v62, off, s[0:3], 0 offset:168
	buffer_load_dword v63, off, s[0:3], 0 offset:172
	;; [unrolled: 1-line block ×18, first 2 shown]
	ds_read_b128 v[22:25], v86 offset:720
	buffer_load_dword v99, off, s[0:3], 0 offset:240
	buffer_load_dword v100, off, s[0:3], 0 offset:244
	buffer_load_dword v101, off, s[0:3], 0 offset:248
	buffer_load_dword v104, off, s[0:3], 0 offset:252
	ds_read_b128 v[26:29], v86 offset:736
	buffer_load_dword v105, off, s[0:3], 0 offset:256
	buffer_load_dword v106, off, s[0:3], 0 offset:260
	buffer_load_dword v107, off, s[0:3], 0 offset:264
	buffer_load_dword v108, off, s[0:3], 0 offset:268
	ds_read_b128 v[30:33], v86 offset:752
	buffer_load_dword v109, off, s[0:3], 0 offset:272
	buffer_load_dword v110, off, s[0:3], 0 offset:276
	buffer_load_dword v111, off, s[0:3], 0 offset:280
	buffer_load_dword v112, off, s[0:3], 0 offset:284
	ds_read_b128 v[34:37], v86 offset:768
	buffer_load_dword v113, off, s[0:3], 0 offset:288
	buffer_load_dword v114, off, s[0:3], 0 offset:292
	buffer_load_dword v115, off, s[0:3], 0 offset:296
	buffer_load_dword v116, off, s[0:3], 0 offset:300
	ds_read_b128 v[38:41], v86 offset:784
	buffer_load_dword v117, off, s[0:3], 0 offset:304
	buffer_load_dword v118, off, s[0:3], 0 offset:308
	buffer_load_dword v119, off, s[0:3], 0 offset:312
	buffer_load_dword v120, off, s[0:3], 0 offset:316
	ds_read_b128 v[42:45], v86 offset:800
	buffer_load_dword v121, off, s[0:3], 0 offset:320
	buffer_load_dword v122, off, s[0:3], 0 offset:324
	buffer_load_dword v123, off, s[0:3], 0 offset:328
	buffer_load_dword v124, off, s[0:3], 0 offset:332
	ds_read_b128 v[46:49], v86 offset:816
	buffer_load_dword v125, off, s[0:3], 0 offset:336
	buffer_load_dword v126, off, s[0:3], 0 offset:340
	buffer_load_dword v127, off, s[0:3], 0 offset:344
	buffer_load_dword v128, off, s[0:3], 0 offset:348
	ds_read_b128 v[50:53], v86 offset:832
	buffer_load_dword v129, off, s[0:3], 0 offset:352
	buffer_load_dword v130, off, s[0:3], 0 offset:356
	buffer_load_dword v131, off, s[0:3], 0 offset:360
	buffer_load_dword v132, off, s[0:3], 0 offset:364
	ds_read_b128 v[54:57], v86 offset:848
	buffer_load_dword v133, off, s[0:3], 0 offset:368
	buffer_load_dword v134, off, s[0:3], 0 offset:372
	buffer_load_dword v135, off, s[0:3], 0 offset:376
	buffer_load_dword v136, off, s[0:3], 0 offset:380
	ds_read_b128 v[58:61], v86 offset:864
	buffer_load_dword v137, off, s[0:3], 0 offset:384
	buffer_load_dword v138, off, s[0:3], 0 offset:388
	buffer_load_dword v139, off, s[0:3], 0 offset:392
	buffer_load_dword v140, off, s[0:3], 0 offset:396
	v_cmp_lt_u32_e32 vcc, 20, v0
	s_waitcnt vmcnt(54) lgkmcnt(13)
	v_mul_f32_e32 v18, v14, v70
	v_fmac_f32_e32 v18, v15, v1
	s_waitcnt vmcnt(52)
	v_mul_f32_e32 v19, v16, v88
	v_add_f32_e32 v18, 0, v18
	v_fmac_f32_e32 v19, v17, v64
	v_add_f32_e32 v18, v18, v19
	s_waitcnt vmcnt(50) lgkmcnt(12)
	v_mul_f32_e32 v19, v10, v90
	v_fmac_f32_e32 v19, v11, v66
	v_add_f32_e32 v18, v18, v19
	s_waitcnt vmcnt(48)
	v_mul_f32_e32 v19, v12, v92
	v_fmac_f32_e32 v19, v13, v87
	v_add_f32_e32 v18, v18, v19
	s_waitcnt vmcnt(46) lgkmcnt(11)
	v_mul_f32_e32 v19, v6, v94
	v_fmac_f32_e32 v19, v7, v89
	v_add_f32_e32 v18, v18, v19
	s_waitcnt vmcnt(44)
	v_mul_f32_e32 v19, v8, v95
	v_fmac_f32_e32 v19, v9, v91
	v_add_f32_e32 v18, v18, v19
	s_waitcnt vmcnt(42) lgkmcnt(10)
	v_mul_f32_e32 v19, v2, v96
	v_fmac_f32_e32 v19, v3, v93
	v_add_f32_e32 v18, v18, v19
	s_waitcnt vmcnt(40)
	v_mul_f32_e32 v19, v4, v98
	v_fmac_f32_e32 v19, v5, v97
	v_add_f32_e32 v18, v18, v19
	s_waitcnt vmcnt(38) lgkmcnt(9)
	v_mul_f32_e32 v19, v22, v100
	v_fmac_f32_e32 v19, v23, v99
	v_add_f32_e32 v18, v18, v19
	s_waitcnt vmcnt(36)
	v_mul_f32_e32 v19, v24, v104
	v_fmac_f32_e32 v19, v25, v101
	v_add_f32_e32 v18, v18, v19
	s_waitcnt vmcnt(34) lgkmcnt(8)
	v_mul_f32_e32 v19, v26, v106
	v_fmac_f32_e32 v19, v27, v105
	v_add_f32_e32 v18, v18, v19
	s_waitcnt vmcnt(32)
	v_mul_f32_e32 v19, v28, v108
	v_fmac_f32_e32 v19, v29, v107
	v_add_f32_e32 v18, v18, v19
	s_waitcnt vmcnt(30) lgkmcnt(7)
	v_mul_f32_e32 v19, v30, v110
	v_fmac_f32_e32 v19, v31, v109
	v_add_f32_e32 v18, v18, v19
	s_waitcnt vmcnt(28)
	v_mul_f32_e32 v19, v32, v112
	v_fmac_f32_e32 v19, v33, v111
	v_add_f32_e32 v18, v18, v19
	s_waitcnt vmcnt(26) lgkmcnt(6)
	v_mul_f32_e32 v19, v34, v114
	v_fmac_f32_e32 v19, v35, v113
	v_add_f32_e32 v18, v18, v19
	s_waitcnt vmcnt(24)
	v_mul_f32_e32 v19, v36, v116
	v_fmac_f32_e32 v19, v37, v115
	v_add_f32_e32 v18, v18, v19
	s_waitcnt vmcnt(22) lgkmcnt(5)
	v_mul_f32_e32 v19, v38, v118
	v_fmac_f32_e32 v19, v39, v117
	v_add_f32_e32 v18, v18, v19
	s_waitcnt vmcnt(20)
	v_mul_f32_e32 v19, v40, v120
	v_fmac_f32_e32 v19, v41, v119
	v_add_f32_e32 v18, v18, v19
	s_waitcnt vmcnt(18) lgkmcnt(4)
	v_mul_f32_e32 v19, v42, v122
	v_fmac_f32_e32 v19, v43, v121
	v_add_f32_e32 v18, v18, v19
	s_waitcnt vmcnt(16)
	v_mul_f32_e32 v19, v44, v124
	v_fmac_f32_e32 v19, v45, v123
	v_add_f32_e32 v18, v18, v19
	s_waitcnt vmcnt(14) lgkmcnt(3)
	v_mul_f32_e32 v19, v46, v126
	v_fmac_f32_e32 v19, v47, v125
	v_add_f32_e32 v18, v18, v19
	s_waitcnt vmcnt(12)
	v_mul_f32_e32 v19, v48, v128
	v_fmac_f32_e32 v19, v49, v127
	v_add_f32_e32 v18, v18, v19
	s_waitcnt vmcnt(10) lgkmcnt(2)
	v_mul_f32_e32 v19, v50, v130
	v_fmac_f32_e32 v19, v51, v129
	v_add_f32_e32 v18, v18, v19
	s_waitcnt vmcnt(8)
	v_mul_f32_e32 v19, v52, v132
	v_fmac_f32_e32 v19, v53, v131
	v_add_f32_e32 v18, v18, v19
	s_waitcnt vmcnt(6) lgkmcnt(1)
	v_mul_f32_e32 v19, v54, v134
	v_fmac_f32_e32 v19, v55, v133
	v_add_f32_e32 v18, v18, v19
	s_waitcnt vmcnt(4)
	v_mul_f32_e32 v19, v56, v136
	v_fmac_f32_e32 v19, v57, v135
	v_add_f32_e32 v18, v18, v19
	s_waitcnt vmcnt(2) lgkmcnt(0)
	v_mul_f32_e32 v19, v58, v138
	v_fmac_f32_e32 v19, v59, v137
	v_add_f32_e32 v65, v18, v19
	ds_read_b128 v[18:21], v86 offset:880
	buffer_load_dword v141, off, s[0:3], 0 offset:400
	buffer_load_dword v142, off, s[0:3], 0 offset:404
	;; [unrolled: 1-line block ×18, first 2 shown]
	v_mul_f32_e32 v15, v15, v70
	v_fma_f32 v1, v14, v1, -v15
	v_mul_f32_e32 v14, v17, v88
	v_add_f32_e32 v1, 0, v1
	v_fma_f32 v14, v16, v64, -v14
	v_mul_f32_e32 v11, v11, v90
	v_add_f32_e32 v1, v1, v14
	v_fma_f32 v10, v10, v66, -v11
	v_add_f32_e32 v1, v1, v10
	v_mul_f32_e32 v10, v13, v92
	v_fma_f32 v10, v12, v87, -v10
	v_mul_f32_e32 v7, v7, v94
	v_add_f32_e32 v1, v1, v10
	v_fma_f32 v6, v6, v89, -v7
	v_add_f32_e32 v1, v1, v6
	v_mul_f32_e32 v6, v9, v95
	;; [unrolled: 6-line block ×3, first 2 shown]
	v_fma_f32 v2, v4, v97, -v2
	v_add_f32_e32 v1, v1, v2
	v_mul_f32_e32 v2, v23, v100
	v_fma_f32 v2, v22, v99, -v2
	v_add_f32_e32 v1, v1, v2
	v_mul_f32_e32 v2, v25, v104
	;; [unrolled: 3-line block ×19, first 2 shown]
	v_fma_f32 v2, v58, v137, -v2
	v_add_f32_e32 v64, v1, v2
	s_waitcnt vmcnt(18)
	v_mul_f32_e32 v1, v61, v140
	v_fma_f32 v66, v60, v139, -v1
	s_waitcnt vmcnt(16) lgkmcnt(0)
	v_mul_f32_e32 v1, v19, v142
	v_mul_f32_e32 v71, v18, v142
	v_fma_f32 v70, v18, v141, -v1
	s_waitcnt vmcnt(15)
	v_mov_b32_e32 v18, v69
	v_fmac_f32_e32 v71, v19, v141
	v_pk_mul_f32 v[18:19], v[20:21], v[18:19] op_sel_hi:[1,0]
	v_mul_f32_e32 v67, v60, v140
	ds_read_b128 v[2:5], v86 offset:896
	ds_read_b128 v[6:9], v86 offset:912
	;; [unrolled: 1-line block ×3, first 2 shown]
	ds_read_b64 v[14:15], v86 offset:944
	s_waitcnt vmcnt(14)
	v_pk_fma_f32 v[22:23], v[20:21], v[68:69], v[18:19] op_sel:[0,0,1] op_sel_hi:[1,1,0] neg_lo:[0,0,1] neg_hi:[0,0,1]
	v_pk_fma_f32 v[18:19], v[20:21], v[68:69], v[18:19] op_sel:[0,0,1] op_sel_hi:[1,0,0]
	v_fmac_f32_e32 v67, v61, v139
	s_waitcnt vmcnt(13)
	v_mov_b32_e32 v18, v85
	v_pk_add_f32 v[16:17], v[64:65], v[66:67]
	v_mov_b32_e32 v23, v19
	s_waitcnt lgkmcnt(3)
	v_pk_mul_f32 v[18:19], v[2:3], v[18:19] op_sel_hi:[1,0]
	v_pk_add_f32 v[16:17], v[16:17], v[70:71]
	s_waitcnt vmcnt(12)
	v_pk_fma_f32 v[20:21], v[2:3], v[84:85], v[18:19] op_sel:[0,0,1] op_sel_hi:[1,1,0] neg_lo:[0,0,1] neg_hi:[0,0,1]
	v_pk_fma_f32 v[2:3], v[2:3], v[84:85], v[18:19] op_sel:[0,0,1] op_sel_hi:[1,0,0]
	v_pk_add_f32 v[16:17], v[16:17], v[22:23]
	v_mov_b32_e32 v21, v3
	v_pk_add_f32 v[2:3], v[16:17], v[20:21]
	s_waitcnt vmcnt(11)
	v_mov_b32_e32 v16, v83
	v_pk_mul_f32 v[16:17], v[4:5], v[16:17] op_sel_hi:[1,0]
	s_waitcnt vmcnt(10)
	v_pk_fma_f32 v[18:19], v[4:5], v[82:83], v[16:17] op_sel:[0,0,1] op_sel_hi:[1,1,0] neg_lo:[0,0,1] neg_hi:[0,0,1]
	v_pk_fma_f32 v[4:5], v[4:5], v[82:83], v[16:17] op_sel:[0,0,1] op_sel_hi:[1,0,0]
	s_waitcnt vmcnt(9)
	v_mov_b32_e32 v4, v81
	v_mov_b32_e32 v19, v5
	s_waitcnt lgkmcnt(2)
	v_pk_mul_f32 v[4:5], v[6:7], v[4:5] op_sel_hi:[1,0]
	s_waitcnt vmcnt(8)
	v_pk_fma_f32 v[16:17], v[6:7], v[80:81], v[4:5] op_sel:[0,0,1] op_sel_hi:[1,1,0] neg_lo:[0,0,1] neg_hi:[0,0,1]
	v_pk_fma_f32 v[4:5], v[6:7], v[80:81], v[4:5] op_sel:[0,0,1] op_sel_hi:[1,0,0]
	s_waitcnt vmcnt(7)
	v_mov_b32_e32 v4, v79
	v_mov_b32_e32 v17, v5
	v_pk_mul_f32 v[4:5], v[8:9], v[4:5] op_sel_hi:[1,0]
	s_waitcnt vmcnt(6)
	v_pk_fma_f32 v[6:7], v[8:9], v[78:79], v[4:5] op_sel:[0,0,1] op_sel_hi:[1,1,0] neg_lo:[0,0,1] neg_hi:[0,0,1]
	v_pk_fma_f32 v[4:5], v[8:9], v[78:79], v[4:5] op_sel:[0,0,1] op_sel_hi:[1,0,0]
	v_pk_add_f32 v[2:3], v[2:3], v[18:19]
	s_waitcnt vmcnt(5)
	v_mov_b32_e32 v4, v77
	v_pk_add_f32 v[2:3], v[2:3], v[16:17]
	v_mov_b32_e32 v7, v5
	s_waitcnt lgkmcnt(1)
	v_pk_mul_f32 v[4:5], v[10:11], v[4:5] op_sel_hi:[1,0]
	v_pk_add_f32 v[2:3], v[2:3], v[6:7]
	s_waitcnt vmcnt(4)
	v_pk_fma_f32 v[6:7], v[10:11], v[76:77], v[4:5] op_sel:[0,0,1] op_sel_hi:[1,1,0] neg_lo:[0,0,1] neg_hi:[0,0,1]
	v_pk_fma_f32 v[4:5], v[10:11], v[76:77], v[4:5] op_sel:[0,0,1] op_sel_hi:[1,0,0]
	s_waitcnt vmcnt(3)
	v_mov_b32_e32 v4, v75
	v_mov_b32_e32 v7, v5
	v_pk_mul_f32 v[4:5], v[12:13], v[4:5] op_sel_hi:[1,0]
	v_pk_add_f32 v[2:3], v[2:3], v[6:7]
	s_waitcnt vmcnt(2)
	v_pk_fma_f32 v[6:7], v[12:13], v[74:75], v[4:5] op_sel:[0,0,1] op_sel_hi:[1,1,0] neg_lo:[0,0,1] neg_hi:[0,0,1]
	v_pk_fma_f32 v[4:5], v[12:13], v[74:75], v[4:5] op_sel:[0,0,1] op_sel_hi:[1,0,0]
	s_waitcnt vmcnt(1)
	v_mov_b32_e32 v4, v73
	v_mov_b32_e32 v7, v5
	s_waitcnt lgkmcnt(0)
	v_pk_mul_f32 v[4:5], v[14:15], v[4:5] op_sel_hi:[1,0]
	v_pk_add_f32 v[2:3], v[2:3], v[6:7]
	s_waitcnt vmcnt(0)
	v_pk_fma_f32 v[6:7], v[14:15], v[72:73], v[4:5] op_sel:[0,0,1] op_sel_hi:[1,1,0] neg_lo:[0,0,1] neg_hi:[0,0,1]
	v_pk_fma_f32 v[4:5], v[14:15], v[72:73], v[4:5] op_sel:[0,0,1] op_sel_hi:[1,0,0]
	v_mov_b32_e32 v7, v5
	v_pk_add_f32 v[2:3], v[2:3], v[6:7]
	v_pk_add_f32 v[2:3], v[62:63], v[2:3] neg_lo:[0,1] neg_hi:[0,1]
	buffer_store_dword v3, off, s[0:3], 0 offset:172
	buffer_store_dword v2, off, s[0:3], 0 offset:168
	s_and_saveexec_b64 s[4:5], vcc
	s_cbranch_execz .LBB122_327
; %bb.326:
	buffer_load_dword v2, off, s[0:3], 0 offset:160
	buffer_load_dword v3, off, s[0:3], 0 offset:164
	s_waitcnt vmcnt(0)
	ds_write_b64 v187, v[2:3]
	buffer_store_dword v86, off, s[0:3], 0 offset:160
	buffer_store_dword v86, off, s[0:3], 0 offset:164
.LBB122_327:
	s_or_b64 exec, exec, s[4:5]
	s_waitcnt lgkmcnt(0)
	; wave barrier
	s_waitcnt lgkmcnt(0)
	buffer_load_dword v1, off, s[0:3], 0 offset:172
	buffer_load_dword v70, off, s[0:3], 0 offset:180
	;; [unrolled: 1-line block ×32, first 2 shown]
	ds_read2_b64 v[16:19], v86 offset0:81 offset1:82
	ds_read2_b64 v[6:9], v86 offset0:83 offset1:84
	buffer_load_dword v119, off, s[0:3], 0 offset:288
	buffer_load_dword v120, off, s[0:3], 0 offset:292
	ds_read2_b64 v[10:13], v86 offset0:85 offset1:86
	ds_read2_b64 v[2:5], v86 offset0:87 offset1:88
	buffer_load_dword v121, off, s[0:3], 0 offset:296
	buffer_load_dword v122, off, s[0:3], 0 offset:300
	;; [unrolled: 1-line block ×28, first 2 shown]
	v_cmp_lt_u32_e32 vcc, 19, v0
	s_waitcnt vmcnt(61) lgkmcnt(3)
	v_mul_f32_e32 v20, v16, v1
	s_waitcnt vmcnt(60)
	v_mul_f32_e32 v21, v18, v70
	s_waitcnt vmcnt(59) lgkmcnt(2)
	v_mul_f32_e32 v23, v8, v72
	s_waitcnt vmcnt(58) lgkmcnt(1)
	v_mul_f32_e32 v24, v10, v74
	s_waitcnt vmcnt(57)
	v_mul_f32_e32 v25, v12, v87
	s_waitcnt vmcnt(56)
	;; [unrolled: 2-line block ×3, first 2 shown]
	v_fmac_f32_e32 v22, v7, v93
	s_waitcnt vmcnt(54)
	v_fmac_f32_e32 v21, v19, v94
	s_waitcnt vmcnt(53)
	v_fmac_f32_e32 v20, v17, v95
	v_add_f32_e32 v20, 0, v20
	v_add_f32_e32 v20, v20, v21
	;; [unrolled: 1-line block ×3, first 2 shown]
	s_waitcnt vmcnt(49)
	v_fmac_f32_e32 v24, v11, v99
	s_waitcnt vmcnt(48)
	v_fmac_f32_e32 v23, v9, v100
	v_add_f32_e32 v20, v20, v23
	s_waitcnt lgkmcnt(0)
	v_mul_f32_e32 v26, v2, v96
	v_fmac_f32_e32 v25, v13, v98
	v_add_f32_e32 v20, v20, v24
	v_fmac_f32_e32 v26, v3, v97
	v_add_f32_e32 v20, v20, v25
	v_add_f32_e32 v24, v20, v26
	ds_read2_b64 v[20:23], v86 offset0:89 offset1:90
	s_waitcnt vmcnt(44)
	v_mul_f32_e32 v25, v4, v106
	s_waitcnt vmcnt(43)
	v_fmac_f32_e32 v25, v5, v107
	v_add_f32_e32 v28, v24, v25
	ds_read2_b64 v[24:27], v86 offset0:91 offset1:92
	s_waitcnt vmcnt(42) lgkmcnt(1)
	v_mul_f32_e32 v29, v20, v108
	v_fmac_f32_e32 v29, v21, v105
	v_add_f32_e32 v28, v28, v29
	s_waitcnt vmcnt(41)
	v_mul_f32_e32 v29, v22, v109
	v_fmac_f32_e32 v29, v23, v104
	v_add_f32_e32 v28, v28, v29
	s_waitcnt vmcnt(40) lgkmcnt(0)
	v_mul_f32_e32 v29, v24, v110
	v_fmac_f32_e32 v29, v25, v101
	v_add_f32_e32 v32, v28, v29
	ds_read2_b64 v[28:31], v86 offset0:93 offset1:94
	s_waitcnt vmcnt(34)
	v_mul_f32_e32 v33, v26, v116
	s_waitcnt vmcnt(33)
	v_fmac_f32_e32 v33, v27, v117
	v_add_f32_e32 v36, v32, v33
	ds_read2_b64 v[32:35], v86 offset0:95 offset1:96
	s_waitcnt vmcnt(32) lgkmcnt(1)
	v_mul_f32_e32 v37, v28, v118
	v_fmac_f32_e32 v37, v29, v115
	v_add_f32_e32 v36, v36, v37
	v_mul_f32_e32 v37, v30, v112
	v_fmac_f32_e32 v37, v31, v111
	v_add_f32_e32 v36, v36, v37
	s_waitcnt lgkmcnt(0)
	v_mul_f32_e32 v37, v32, v114
	v_fmac_f32_e32 v37, v33, v113
	v_add_f32_e32 v40, v36, v37
	ds_read2_b64 v[36:39], v86 offset0:97 offset1:98
	s_waitcnt vmcnt(28)
	v_mul_f32_e32 v41, v34, v120
	v_fmac_f32_e32 v41, v35, v119
	v_add_f32_e32 v44, v40, v41
	ds_read2_b64 v[40:43], v86 offset0:99 offset1:100
	s_waitcnt vmcnt(26) lgkmcnt(1)
	v_mul_f32_e32 v45, v36, v122
	v_fmac_f32_e32 v45, v37, v121
	v_add_f32_e32 v44, v44, v45
	s_waitcnt vmcnt(24)
	v_mul_f32_e32 v45, v38, v124
	v_fmac_f32_e32 v45, v39, v123
	v_add_f32_e32 v44, v44, v45
	s_waitcnt vmcnt(22) lgkmcnt(0)
	v_mul_f32_e32 v45, v40, v126
	v_fmac_f32_e32 v45, v41, v125
	v_add_f32_e32 v48, v44, v45
	ds_read2_b64 v[44:47], v86 offset0:101 offset1:102
	s_waitcnt vmcnt(20)
	v_mul_f32_e32 v49, v42, v128
	v_fmac_f32_e32 v49, v43, v127
	v_add_f32_e32 v52, v48, v49
	ds_read2_b64 v[48:51], v86 offset0:103 offset1:104
	s_waitcnt vmcnt(18) lgkmcnt(1)
	v_mul_f32_e32 v53, v44, v130
	v_fmac_f32_e32 v53, v45, v129
	v_add_f32_e32 v52, v52, v53
	s_waitcnt vmcnt(16)
	v_mul_f32_e32 v53, v46, v132
	v_fmac_f32_e32 v53, v47, v131
	v_add_f32_e32 v52, v52, v53
	s_waitcnt vmcnt(14) lgkmcnt(0)
	v_mul_f32_e32 v53, v48, v134
	v_fmac_f32_e32 v53, v49, v133
	v_add_f32_e32 v56, v52, v53
	ds_read2_b64 v[52:55], v86 offset0:105 offset1:106
	s_waitcnt vmcnt(12)
	v_mul_f32_e32 v57, v50, v136
	v_fmac_f32_e32 v57, v51, v135
	v_add_f32_e32 v60, v56, v57
	ds_read2_b64 v[56:59], v86 offset0:107 offset1:108
	buffer_load_dword v69, off, s[0:3], 0 offset:412
	buffer_load_dword v68, off, s[0:3], 0 offset:408
	s_waitcnt vmcnt(12) lgkmcnt(1)
	v_mul_f32_e32 v61, v52, v138
	v_fmac_f32_e32 v61, v53, v137
	v_add_f32_e32 v60, v60, v61
	s_waitcnt vmcnt(10)
	v_mul_f32_e32 v61, v54, v140
	v_fmac_f32_e32 v61, v55, v139
	v_add_f32_e32 v60, v60, v61
	s_waitcnt vmcnt(8) lgkmcnt(0)
	v_mul_f32_e32 v61, v56, v142
	v_fmac_f32_e32 v61, v57, v141
	s_waitcnt vmcnt(6)
	v_mul_f32_e32 v65, v58, v144
	v_add_f32_e32 v64, v60, v61
	v_fmac_f32_e32 v65, v59, v143
	ds_read2_b64 v[60:63], v86 offset0:109 offset1:110
	v_add_f32_e32 v71, v64, v65
	ds_read2_b64 v[64:67], v86 offset0:111 offset1:112
	buffer_load_dword v77, off, s[0:3], 0 offset:444
	buffer_load_dword v76, off, s[0:3], 0 offset:440
	;; [unrolled: 1-line block ×14, first 2 shown]
	v_mul_f32_e32 v1, v17, v1
	v_fma_f32 v1, v16, v95, -v1
	v_mul_f32_e32 v16, v19, v70
	v_add_f32_e32 v1, 0, v1
	v_fma_f32 v16, v18, v94, -v16
	v_mul_f32_e32 v7, v7, v92
	v_add_f32_e32 v1, v1, v16
	v_fma_f32 v6, v6, v93, -v7
	v_add_f32_e32 v1, v1, v6
	v_mul_f32_e32 v6, v9, v72
	v_fma_f32 v6, v8, v100, -v6
	v_add_f32_e32 v1, v1, v6
	v_mul_f32_e32 v6, v11, v74
	;; [unrolled: 3-line block ×3, first 2 shown]
	v_fma_f32 v6, v12, v98, -v6
	v_mul_f32_e32 v3, v3, v96
	v_add_f32_e32 v1, v1, v6
	v_fma_f32 v2, v2, v97, -v3
	v_add_f32_e32 v1, v1, v2
	v_mul_f32_e32 v2, v5, v106
	v_fma_f32 v2, v4, v107, -v2
	v_add_f32_e32 v1, v1, v2
	v_mul_f32_e32 v2, v21, v108
	;; [unrolled: 3-line block ×21, first 2 shown]
	v_fma_f32 v2, v58, v143, -v2
	s_waitcnt vmcnt(15)
	v_mov_b32_e32 v18, v69
	s_waitcnt lgkmcnt(1)
	v_mul_f32_e32 v73, v60, v146
	v_add_f32_e32 v70, v1, v2
	v_mul_f32_e32 v1, v61, v146
	s_waitcnt lgkmcnt(0)
	v_pk_mul_f32 v[18:19], v[64:65], v[18:19] op_sel_hi:[1,0]
	v_fmac_f32_e32 v73, v61, v145
	v_mul_f32_e32 v75, v62, v148
	v_fma_f32 v72, v60, v145, -v1
	v_mul_f32_e32 v1, v63, v148
	s_waitcnt vmcnt(14)
	v_pk_fma_f32 v[20:21], v[64:65], v[68:69], v[18:19] op_sel:[0,0,1] op_sel_hi:[1,1,0] neg_lo:[0,0,1] neg_hi:[0,0,1]
	v_pk_fma_f32 v[18:19], v[64:65], v[68:69], v[18:19] op_sel:[0,0,1] op_sel_hi:[1,0,0]
	v_fmac_f32_e32 v75, v63, v147
	v_fma_f32 v74, v62, v147, -v1
	v_pk_add_f32 v[16:17], v[70:71], v[72:73]
	s_waitcnt vmcnt(7)
	v_mov_b32_e32 v18, v83
	ds_read2_b64 v[2:5], v86 offset0:113 offset1:114
	ds_read2_b64 v[6:9], v86 offset0:115 offset1:116
	;; [unrolled: 1-line block ×3, first 2 shown]
	v_pk_add_f32 v[16:17], v[16:17], v[74:75]
	v_mov_b32_e32 v21, v19
	v_pk_mul_f32 v[18:19], v[66:67], v[18:19] op_sel_hi:[1,0]
	v_pk_add_f32 v[16:17], v[16:17], v[20:21]
	s_waitcnt vmcnt(6)
	v_pk_fma_f32 v[20:21], v[66:67], v[82:83], v[18:19] op_sel:[0,0,1] op_sel_hi:[1,1,0] neg_lo:[0,0,1] neg_hi:[0,0,1]
	v_pk_fma_f32 v[18:19], v[66:67], v[82:83], v[18:19] op_sel:[0,0,1] op_sel_hi:[1,0,0]
	v_mov_b32_e32 v18, v81
	v_mov_b32_e32 v21, v19
	s_waitcnt lgkmcnt(2)
	v_pk_mul_f32 v[18:19], v[2:3], v[18:19] op_sel_hi:[1,0]
	v_pk_add_f32 v[16:17], v[16:17], v[20:21]
	v_pk_fma_f32 v[20:21], v[2:3], v[80:81], v[18:19] op_sel:[0,0,1] op_sel_hi:[1,1,0] neg_lo:[0,0,1] neg_hi:[0,0,1]
	v_pk_fma_f32 v[2:3], v[2:3], v[80:81], v[18:19] op_sel:[0,0,1] op_sel_hi:[1,0,0]
	v_mov_b32_e32 v21, v3
	v_pk_add_f32 v[2:3], v[16:17], v[20:21]
	v_mov_b32_e32 v16, v79
	v_pk_mul_f32 v[16:17], v[4:5], v[16:17] op_sel_hi:[1,0]
	v_pk_fma_f32 v[18:19], v[4:5], v[78:79], v[16:17] op_sel:[0,0,1] op_sel_hi:[1,1,0] neg_lo:[0,0,1] neg_hi:[0,0,1]
	v_pk_fma_f32 v[4:5], v[4:5], v[78:79], v[16:17] op_sel:[0,0,1] op_sel_hi:[1,0,0]
	v_mov_b32_e32 v4, v77
	v_mov_b32_e32 v19, v5
	s_waitcnt lgkmcnt(1)
	v_pk_mul_f32 v[4:5], v[6:7], v[4:5] op_sel_hi:[1,0]
	v_pk_fma_f32 v[16:17], v[6:7], v[76:77], v[4:5] op_sel:[0,0,1] op_sel_hi:[1,1,0] neg_lo:[0,0,1] neg_hi:[0,0,1]
	v_pk_fma_f32 v[4:5], v[6:7], v[76:77], v[4:5] op_sel:[0,0,1] op_sel_hi:[1,0,0]
	s_waitcnt vmcnt(1)
	v_mov_b32_e32 v4, v91
	v_mov_b32_e32 v17, v5
	v_pk_mul_f32 v[4:5], v[8:9], v[4:5] op_sel_hi:[1,0]
	s_waitcnt vmcnt(0)
	v_pk_fma_f32 v[6:7], v[8:9], v[90:91], v[4:5] op_sel:[0,0,1] op_sel_hi:[1,1,0] neg_lo:[0,0,1] neg_hi:[0,0,1]
	v_pk_fma_f32 v[4:5], v[8:9], v[90:91], v[4:5] op_sel:[0,0,1] op_sel_hi:[1,0,0]
	v_pk_add_f32 v[2:3], v[2:3], v[18:19]
	v_mov_b32_e32 v4, v89
	v_pk_add_f32 v[2:3], v[2:3], v[16:17]
	v_mov_b32_e32 v7, v5
	s_waitcnt lgkmcnt(0)
	v_pk_mul_f32 v[4:5], v[10:11], v[4:5] op_sel_hi:[1,0]
	v_pk_add_f32 v[2:3], v[2:3], v[6:7]
	v_pk_fma_f32 v[6:7], v[10:11], v[88:89], v[4:5] op_sel:[0,0,1] op_sel_hi:[1,1,0] neg_lo:[0,0,1] neg_hi:[0,0,1]
	v_pk_fma_f32 v[4:5], v[10:11], v[88:89], v[4:5] op_sel:[0,0,1] op_sel_hi:[1,0,0]
	v_mov_b32_e32 v4, v85
	v_mov_b32_e32 v7, v5
	v_pk_mul_f32 v[4:5], v[12:13], v[4:5] op_sel_hi:[1,0]
	v_pk_add_f32 v[2:3], v[2:3], v[6:7]
	v_pk_fma_f32 v[6:7], v[12:13], v[84:85], v[4:5] op_sel:[0,0,1] op_sel_hi:[1,1,0] neg_lo:[0,0,1] neg_hi:[0,0,1]
	v_pk_fma_f32 v[4:5], v[12:13], v[84:85], v[4:5] op_sel:[0,0,1] op_sel_hi:[1,0,0]
	v_mov_b32_e32 v7, v5
	v_pk_add_f32 v[2:3], v[2:3], v[6:7]
	v_pk_add_f32 v[2:3], v[14:15], v[2:3] neg_lo:[0,1] neg_hi:[0,1]
	buffer_store_dword v3, off, s[0:3], 0 offset:164
	buffer_store_dword v2, off, s[0:3], 0 offset:160
	s_and_saveexec_b64 s[4:5], vcc
	s_cbranch_execz .LBB122_329
; %bb.328:
	buffer_load_dword v2, off, s[0:3], 0 offset:152
	buffer_load_dword v3, off, s[0:3], 0 offset:156
	v_mov_b32_e32 v1, 0
	buffer_store_dword v1, off, s[0:3], 0 offset:152
	buffer_store_dword v1, off, s[0:3], 0 offset:156
	s_waitcnt vmcnt(2)
	ds_write_b64 v187, v[2:3]
.LBB122_329:
	s_or_b64 exec, exec, s[4:5]
	s_waitcnt lgkmcnt(0)
	; wave barrier
	s_waitcnt lgkmcnt(0)
	buffer_load_dword v68, off, s[0:3], 0 offset:164
	buffer_load_dword v70, off, s[0:3], 0 offset:172
	;; [unrolled: 1-line block ×48, first 2 shown]
	v_mov_b32_e32 v1, 0
	ds_read_b128 v[2:5], v1 offset:640
	buffer_load_dword v135, off, s[0:3], 0 offset:344
	buffer_load_dword v136, off, s[0:3], 0 offset:348
	;; [unrolled: 1-line block ×8, first 2 shown]
	ds_read_b128 v[8:11], v1 offset:656
	ds_read_b128 v[12:15], v1 offset:672
	;; [unrolled: 1-line block ×3, first 2 shown]
	buffer_load_dword v143, off, s[0:3], 0 offset:376
	buffer_load_dword v144, off, s[0:3], 0 offset:380
	;; [unrolled: 1-line block ×8, first 2 shown]
	v_cmp_lt_u32_e32 vcc, 18, v0
	s_waitcnt vmcnt(62) lgkmcnt(3)
	v_mul_f32_e32 v20, v2, v68
	v_mul_f32_e32 v21, v4, v70
	s_waitcnt vmcnt(61) lgkmcnt(2)
	v_mul_f32_e32 v23, v10, v72
	s_waitcnt vmcnt(60) lgkmcnt(1)
	v_mul_f32_e32 v24, v12, v90
	s_waitcnt vmcnt(59)
	v_mul_f32_e32 v25, v14, v91
	s_waitcnt vmcnt(58)
	;; [unrolled: 2-line block ×3, first 2 shown]
	v_fmac_f32_e32 v22, v9, v93
	s_waitcnt vmcnt(56)
	v_fmac_f32_e32 v21, v5, v94
	s_waitcnt vmcnt(55)
	v_fmac_f32_e32 v20, v3, v95
	v_add_f32_e32 v20, 0, v20
	v_add_f32_e32 v20, v20, v21
	;; [unrolled: 1-line block ×3, first 2 shown]
	s_waitcnt vmcnt(51)
	v_fmac_f32_e32 v24, v13, v99
	s_waitcnt vmcnt(50)
	v_fmac_f32_e32 v23, v11, v100
	v_add_f32_e32 v20, v20, v23
	s_waitcnt lgkmcnt(0)
	v_mul_f32_e32 v26, v16, v96
	v_fmac_f32_e32 v25, v15, v98
	v_add_f32_e32 v20, v20, v24
	v_fmac_f32_e32 v26, v17, v97
	v_add_f32_e32 v20, v20, v25
	v_add_f32_e32 v24, v20, v26
	ds_read_b128 v[20:23], v1 offset:704
	s_waitcnt vmcnt(45)
	v_mul_f32_e32 v25, v18, v107
	s_waitcnt vmcnt(44)
	v_fmac_f32_e32 v25, v19, v108
	v_add_f32_e32 v28, v24, v25
	ds_read_b128 v[24:27], v1 offset:720
	s_waitcnt vmcnt(43) lgkmcnt(1)
	v_mul_f32_e32 v29, v20, v109
	v_fmac_f32_e32 v29, v21, v106
	v_add_f32_e32 v28, v28, v29
	s_waitcnt vmcnt(42)
	v_mul_f32_e32 v29, v22, v110
	v_fmac_f32_e32 v29, v23, v105
	v_add_f32_e32 v28, v28, v29
	s_waitcnt lgkmcnt(0)
	v_mul_f32_e32 v29, v24, v104
	v_fmac_f32_e32 v29, v25, v101
	v_add_f32_e32 v32, v28, v29
	ds_read_b128 v[28:31], v1 offset:736
	s_waitcnt vmcnt(38)
	v_mul_f32_e32 v33, v26, v112
	v_fmac_f32_e32 v33, v27, v111
	v_add_f32_e32 v36, v32, v33
	ds_read_b128 v[32:35], v1 offset:752
	s_waitcnt vmcnt(36) lgkmcnt(1)
	v_mul_f32_e32 v37, v28, v114
	v_fmac_f32_e32 v37, v29, v113
	v_add_f32_e32 v36, v36, v37
	s_waitcnt vmcnt(34)
	v_mul_f32_e32 v37, v30, v116
	v_fmac_f32_e32 v37, v31, v115
	v_add_f32_e32 v36, v36, v37
	s_waitcnt vmcnt(32) lgkmcnt(0)
	v_mul_f32_e32 v37, v32, v118
	v_fmac_f32_e32 v37, v33, v117
	v_add_f32_e32 v40, v36, v37
	ds_read_b128 v[36:39], v1 offset:768
	s_waitcnt vmcnt(30)
	v_mul_f32_e32 v41, v34, v120
	v_fmac_f32_e32 v41, v35, v119
	v_add_f32_e32 v44, v40, v41
	ds_read_b128 v[40:43], v1 offset:784
	s_waitcnt vmcnt(28) lgkmcnt(1)
	v_mul_f32_e32 v45, v36, v122
	v_fmac_f32_e32 v45, v37, v121
	v_add_f32_e32 v44, v44, v45
	s_waitcnt vmcnt(26)
	v_mul_f32_e32 v45, v38, v124
	v_fmac_f32_e32 v45, v39, v123
	v_add_f32_e32 v44, v44, v45
	s_waitcnt vmcnt(24) lgkmcnt(0)
	;; [unrolled: 18-line block ×4, first 2 shown]
	v_mul_f32_e32 v61, v56, v142
	v_fmac_f32_e32 v61, v57, v141
	s_waitcnt vmcnt(6)
	v_mul_f32_e32 v65, v58, v144
	v_add_f32_e32 v64, v60, v61
	v_fmac_f32_e32 v65, v59, v143
	ds_read_b128 v[60:63], v1 offset:864
	v_add_f32_e32 v69, v64, v65
	ds_read_b128 v[64:67], v1 offset:880
	buffer_load_dword v75, off, s[0:3], 0 offset:436
	buffer_load_dword v74, off, s[0:3], 0 offset:432
	;; [unrolled: 1-line block ×16, first 2 shown]
	v_mul_f32_e32 v3, v3, v68
	v_fma_f32 v2, v2, v95, -v3
	v_mul_f32_e32 v3, v5, v70
	v_add_f32_e32 v2, 0, v2
	v_fma_f32 v3, v4, v94, -v3
	v_add_f32_e32 v2, v2, v3
	v_mul_f32_e32 v3, v9, v92
	v_fma_f32 v3, v8, v93, -v3
	v_add_f32_e32 v2, v2, v3
	v_mul_f32_e32 v3, v11, v72
	;; [unrolled: 3-line block ×26, first 2 shown]
	v_fma_f32 v3, v58, v143, -v3
	v_add_f32_e32 v2, v2, v3
	s_waitcnt vmcnt(20) lgkmcnt(1)
	v_mul_f32_e32 v3, v61, v146
	v_mul_f32_e32 v71, v60, v146
	v_fma_f32 v3, v60, v145, -v3
	v_fmac_f32_e32 v71, v61, v145
	v_add_f32_e32 v68, v2, v3
	s_waitcnt vmcnt(18)
	v_mul_f32_e32 v2, v63, v148
	s_waitcnt vmcnt(9)
	v_mov_b32_e32 v20, v81
	v_add_f32_e32 v69, v69, v71
	v_mul_f32_e32 v71, v62, v148
	v_fma_f32 v70, v62, v147, -v2
	s_waitcnt lgkmcnt(0)
	v_mul_f32_e32 v2, v65, v150
	v_pk_mul_f32 v[20:21], v[66:67], v[20:21] op_sel_hi:[1,0]
	v_fmac_f32_e32 v71, v63, v147
	v_mul_f32_e32 v73, v64, v150
	v_fma_f32 v72, v64, v149, -v2
	ds_read_b128 v[2:5], v1 offset:896
	ds_read_b128 v[8:11], v1 offset:912
	;; [unrolled: 1-line block ×3, first 2 shown]
	ds_read_b64 v[16:17], v1 offset:944
	s_waitcnt vmcnt(8)
	v_pk_fma_f32 v[22:23], v[66:67], v[80:81], v[20:21] op_sel:[0,0,1] op_sel_hi:[1,1,0] neg_lo:[0,0,1] neg_hi:[0,0,1]
	v_pk_fma_f32 v[20:21], v[66:67], v[80:81], v[20:21] op_sel:[0,0,1] op_sel_hi:[1,0,0]
	v_fmac_f32_e32 v73, v65, v149
	v_pk_add_f32 v[18:19], v[68:69], v[70:71]
	v_mov_b32_e32 v20, v79
	v_pk_add_f32 v[18:19], v[18:19], v[72:73]
	v_mov_b32_e32 v23, v21
	s_waitcnt lgkmcnt(3)
	v_pk_mul_f32 v[20:21], v[2:3], v[20:21] op_sel_hi:[1,0]
	v_pk_add_f32 v[18:19], v[18:19], v[22:23]
	v_pk_fma_f32 v[22:23], v[2:3], v[78:79], v[20:21] op_sel:[0,0,1] op_sel_hi:[1,1,0] neg_lo:[0,0,1] neg_hi:[0,0,1]
	v_pk_fma_f32 v[2:3], v[2:3], v[78:79], v[20:21] op_sel:[0,0,1] op_sel_hi:[1,0,0]
	v_mov_b32_e32 v23, v3
	v_pk_add_f32 v[2:3], v[18:19], v[22:23]
	v_mov_b32_e32 v18, v77
	v_pk_mul_f32 v[18:19], v[4:5], v[18:19] op_sel_hi:[1,0]
	v_pk_fma_f32 v[20:21], v[4:5], v[76:77], v[18:19] op_sel:[0,0,1] op_sel_hi:[1,1,0] neg_lo:[0,0,1] neg_hi:[0,0,1]
	v_pk_fma_f32 v[4:5], v[4:5], v[76:77], v[18:19] op_sel:[0,0,1] op_sel_hi:[1,0,0]
	v_mov_b32_e32 v4, v75
	v_mov_b32_e32 v21, v5
	s_waitcnt lgkmcnt(2)
	v_pk_mul_f32 v[4:5], v[8:9], v[4:5] op_sel_hi:[1,0]
	v_pk_fma_f32 v[18:19], v[8:9], v[74:75], v[4:5] op_sel:[0,0,1] op_sel_hi:[1,1,0] neg_lo:[0,0,1] neg_hi:[0,0,1]
	v_pk_fma_f32 v[4:5], v[8:9], v[74:75], v[4:5] op_sel:[0,0,1] op_sel_hi:[1,0,0]
	s_waitcnt vmcnt(1)
	v_mov_b32_e32 v4, v89
	v_mov_b32_e32 v19, v5
	v_pk_mul_f32 v[4:5], v[10:11], v[4:5] op_sel_hi:[1,0]
	s_waitcnt vmcnt(0)
	v_pk_fma_f32 v[8:9], v[10:11], v[88:89], v[4:5] op_sel:[0,0,1] op_sel_hi:[1,1,0] neg_lo:[0,0,1] neg_hi:[0,0,1]
	v_pk_fma_f32 v[4:5], v[10:11], v[88:89], v[4:5] op_sel:[0,0,1] op_sel_hi:[1,0,0]
	v_pk_add_f32 v[2:3], v[2:3], v[20:21]
	v_mov_b32_e32 v4, v87
	v_pk_add_f32 v[2:3], v[2:3], v[18:19]
	v_mov_b32_e32 v9, v5
	s_waitcnt lgkmcnt(1)
	v_pk_mul_f32 v[4:5], v[12:13], v[4:5] op_sel_hi:[1,0]
	v_pk_add_f32 v[2:3], v[2:3], v[8:9]
	v_pk_fma_f32 v[8:9], v[12:13], v[86:87], v[4:5] op_sel:[0,0,1] op_sel_hi:[1,1,0] neg_lo:[0,0,1] neg_hi:[0,0,1]
	v_pk_fma_f32 v[4:5], v[12:13], v[86:87], v[4:5] op_sel:[0,0,1] op_sel_hi:[1,0,0]
	v_mov_b32_e32 v4, v85
	v_mov_b32_e32 v9, v5
	v_pk_mul_f32 v[4:5], v[14:15], v[4:5] op_sel_hi:[1,0]
	v_pk_add_f32 v[2:3], v[2:3], v[8:9]
	v_pk_fma_f32 v[8:9], v[14:15], v[84:85], v[4:5] op_sel:[0,0,1] op_sel_hi:[1,1,0] neg_lo:[0,0,1] neg_hi:[0,0,1]
	v_pk_fma_f32 v[4:5], v[14:15], v[84:85], v[4:5] op_sel:[0,0,1] op_sel_hi:[1,0,0]
	v_mov_b32_e32 v4, v83
	v_mov_b32_e32 v9, v5
	s_waitcnt lgkmcnt(0)
	v_pk_mul_f32 v[4:5], v[16:17], v[4:5] op_sel_hi:[1,0]
	v_pk_add_f32 v[2:3], v[2:3], v[8:9]
	v_pk_fma_f32 v[8:9], v[16:17], v[82:83], v[4:5] op_sel:[0,0,1] op_sel_hi:[1,1,0] neg_lo:[0,0,1] neg_hi:[0,0,1]
	v_pk_fma_f32 v[4:5], v[16:17], v[82:83], v[4:5] op_sel:[0,0,1] op_sel_hi:[1,0,0]
	v_mov_b32_e32 v9, v5
	v_pk_add_f32 v[2:3], v[2:3], v[8:9]
	v_pk_add_f32 v[2:3], v[6:7], v[2:3] neg_lo:[0,1] neg_hi:[0,1]
	buffer_store_dword v3, off, s[0:3], 0 offset:156
	buffer_store_dword v2, off, s[0:3], 0 offset:152
	s_and_saveexec_b64 s[4:5], vcc
	s_cbranch_execz .LBB122_331
; %bb.330:
	buffer_load_dword v2, off, s[0:3], 0 offset:144
	buffer_load_dword v3, off, s[0:3], 0 offset:148
	s_waitcnt vmcnt(0)
	ds_write_b64 v187, v[2:3]
	buffer_store_dword v1, off, s[0:3], 0 offset:144
	buffer_store_dword v1, off, s[0:3], 0 offset:148
.LBB122_331:
	s_or_b64 exec, exec, s[4:5]
	s_waitcnt lgkmcnt(0)
	; wave barrier
	s_waitcnt lgkmcnt(0)
	buffer_load_dword v68, off, s[0:3], 0 offset:156
	buffer_load_dword v70, off, s[0:3], 0 offset:164
	;; [unrolled: 1-line block ×26, first 2 shown]
	ds_read2_b64 v[14:17], v1 offset0:79 offset1:80
	ds_read2_b64 v[6:9], v1 offset0:81 offset1:82
	buffer_load_dword v113, off, s[0:3], 0 offset:248
	buffer_load_dword v114, off, s[0:3], 0 offset:252
	ds_read2_b64 v[10:13], v1 offset0:83 offset1:84
	ds_read2_b64 v[2:5], v1 offset0:85 offset1:86
	buffer_load_dword v115, off, s[0:3], 0 offset:256
	buffer_load_dword v116, off, s[0:3], 0 offset:260
	;; [unrolled: 1-line block ×32, first 2 shown]
	v_cmp_lt_u32_e32 vcc, 17, v0
	s_waitcnt vmcnt(59) lgkmcnt(3)
	v_mul_f32_e32 v20, v14, v68
	s_waitcnt vmcnt(58)
	v_mul_f32_e32 v21, v16, v70
	s_waitcnt vmcnt(57) lgkmcnt(2)
	v_mul_f32_e32 v23, v8, v78
	s_waitcnt vmcnt(56) lgkmcnt(1)
	v_mul_f32_e32 v24, v10, v90
	s_waitcnt vmcnt(55)
	v_mul_f32_e32 v25, v12, v91
	s_waitcnt vmcnt(54)
	v_mul_f32_e32 v22, v6, v92
	s_waitcnt vmcnt(53) lgkmcnt(0)
	v_mul_f32_e32 v26, v2, v93
	s_waitcnt vmcnt(52)
	v_mul_f32_e32 v27, v4, v94
	s_waitcnt vmcnt(51)
	v_fmac_f32_e32 v22, v7, v95
	s_waitcnt vmcnt(50)
	v_fmac_f32_e32 v21, v17, v96
	;; [unrolled: 2-line block ×3, first 2 shown]
	v_add_f32_e32 v20, 0, v20
	v_add_f32_e32 v20, v20, v21
	;; [unrolled: 1-line block ×3, first 2 shown]
	s_waitcnt vmcnt(45)
	v_fmac_f32_e32 v23, v9, v101
	v_fmac_f32_e32 v24, v11, v100
	v_add_f32_e32 v20, v20, v23
	v_fmac_f32_e32 v25, v13, v99
	v_add_f32_e32 v20, v20, v24
	;; [unrolled: 2-line block ×3, first 2 shown]
	v_add_f32_e32 v24, v20, v26
	ds_read2_b64 v[20:23], v1 offset0:87 offset1:88
	s_waitcnt vmcnt(41)
	v_fmac_f32_e32 v27, v5, v107
	buffer_load_dword v147, off, s[0:3], 0 offset:384
	buffer_load_dword v148, off, s[0:3], 0 offset:388
	v_add_f32_e32 v28, v24, v27
	buffer_load_dword v149, off, s[0:3], 0 offset:392
	buffer_load_dword v150, off, s[0:3], 0 offset:396
	ds_read2_b64 v[24:27], v1 offset0:89 offset1:90
	s_waitcnt vmcnt(44) lgkmcnt(1)
	v_mul_f32_e32 v29, v20, v108
	v_fmac_f32_e32 v29, v21, v106
	v_add_f32_e32 v28, v28, v29
	s_waitcnt vmcnt(43)
	v_mul_f32_e32 v29, v22, v109
	v_fmac_f32_e32 v29, v23, v105
	v_add_f32_e32 v28, v28, v29
	s_waitcnt vmcnt(42) lgkmcnt(0)
	v_mul_f32_e32 v29, v24, v110
	v_fmac_f32_e32 v29, v25, v104
	buffer_load_dword v151, off, s[0:3], 0 offset:400
	buffer_load_dword v152, off, s[0:3], 0 offset:404
	v_add_f32_e32 v32, v28, v29
	ds_read2_b64 v[28:31], v1 offset0:91 offset1:92
	s_waitcnt vmcnt(40)
	v_mul_f32_e32 v33, v26, v112
	v_fmac_f32_e32 v33, v27, v111
	v_add_f32_e32 v36, v32, v33
	ds_read2_b64 v[32:35], v1 offset0:93 offset1:94
	s_waitcnt vmcnt(38) lgkmcnt(1)
	v_mul_f32_e32 v37, v28, v114
	v_fmac_f32_e32 v37, v29, v113
	v_add_f32_e32 v36, v36, v37
	s_waitcnt vmcnt(36)
	v_mul_f32_e32 v37, v30, v116
	v_fmac_f32_e32 v37, v31, v115
	v_add_f32_e32 v36, v36, v37
	s_waitcnt vmcnt(34) lgkmcnt(0)
	v_mul_f32_e32 v37, v32, v118
	v_fmac_f32_e32 v37, v33, v117
	v_add_f32_e32 v40, v36, v37
	ds_read2_b64 v[36:39], v1 offset0:95 offset1:96
	s_waitcnt vmcnt(32)
	v_mul_f32_e32 v41, v34, v120
	v_fmac_f32_e32 v41, v35, v119
	v_add_f32_e32 v44, v40, v41
	ds_read2_b64 v[40:43], v1 offset0:97 offset1:98
	s_waitcnt vmcnt(30) lgkmcnt(1)
	v_mul_f32_e32 v45, v36, v122
	v_fmac_f32_e32 v45, v37, v121
	v_add_f32_e32 v44, v44, v45
	s_waitcnt vmcnt(28)
	v_mul_f32_e32 v45, v38, v124
	v_fmac_f32_e32 v45, v39, v123
	v_add_f32_e32 v44, v44, v45
	s_waitcnt vmcnt(26) lgkmcnt(0)
	v_mul_f32_e32 v45, v40, v126
	v_fmac_f32_e32 v45, v41, v125
	;; [unrolled: 18-line block ×4, first 2 shown]
	s_waitcnt vmcnt(8)
	v_mul_f32_e32 v65, v58, v144
	v_add_f32_e32 v64, v60, v61
	v_fmac_f32_e32 v65, v59, v143
	ds_read2_b64 v[60:63], v1 offset0:107 offset1:108
	v_add_f32_e32 v69, v64, v65
	ds_read2_b64 v[64:67], v1 offset0:109 offset1:110
	buffer_load_dword v73, off, s[0:3], 0 offset:428
	buffer_load_dword v72, off, s[0:3], 0 offset:424
	;; [unrolled: 1-line block ×16, first 2 shown]
	v_mul_f32_e32 v15, v15, v68
	v_fma_f32 v14, v14, v97, -v15
	v_mul_f32_e32 v15, v17, v70
	v_add_f32_e32 v14, 0, v14
	v_fma_f32 v15, v16, v96, -v15
	v_mul_f32_e32 v7, v7, v92
	v_add_f32_e32 v14, v14, v15
	;; [unrolled: 3-line block ×3, first 2 shown]
	v_fma_f32 v7, v8, v101, -v7
	v_add_f32_e32 v6, v6, v7
	v_mul_f32_e32 v7, v11, v90
	v_fma_f32 v7, v10, v100, -v7
	v_add_f32_e32 v6, v6, v7
	v_mul_f32_e32 v7, v13, v91
	v_fma_f32 v7, v12, v99, -v7
	v_mul_f32_e32 v3, v3, v93
	v_add_f32_e32 v6, v6, v7
	v_fma_f32 v2, v2, v98, -v3
	v_mul_f32_e32 v3, v5, v94
	v_add_f32_e32 v2, v6, v2
	v_fma_f32 v3, v4, v107, -v3
	v_add_f32_e32 v2, v2, v3
	v_mul_f32_e32 v3, v21, v108
	v_fma_f32 v3, v20, v106, -v3
	v_add_f32_e32 v2, v2, v3
	v_mul_f32_e32 v3, v23, v109
	;; [unrolled: 3-line block ×20, first 2 shown]
	v_fma_f32 v3, v58, v143, -v3
	v_add_f32_e32 v2, v2, v3
	s_waitcnt vmcnt(22) lgkmcnt(1)
	v_mul_f32_e32 v3, v61, v146
	v_fma_f32 v3, v60, v145, -v3
	v_add_f32_e32 v2, v2, v3
	s_waitcnt vmcnt(20)
	v_mul_f32_e32 v3, v63, v148
	v_mul_f32_e32 v71, v60, v146
	v_fma_f32 v3, v62, v147, -v3
	v_fmac_f32_e32 v71, v61, v145
	v_add_f32_e32 v68, v2, v3
	s_waitcnt vmcnt(18) lgkmcnt(0)
	v_mul_f32_e32 v2, v65, v150
	v_add_f32_e32 v69, v69, v71
	v_mul_f32_e32 v71, v62, v148
	v_fma_f32 v70, v64, v149, -v2
	s_waitcnt vmcnt(16)
	v_mul_f32_e32 v2, v67, v152
	v_fmac_f32_e32 v71, v63, v147
	v_fma_f32 v78, v66, v151, -v2
	ds_read2_b64 v[2:5], v1 offset0:111 offset1:112
	ds_read2_b64 v[6:9], v1 offset0:113 offset1:114
	;; [unrolled: 1-line block ×4, first 2 shown]
	v_add_f32_e32 v69, v69, v71
	v_mul_f32_e32 v71, v64, v150
	s_waitcnt vmcnt(11)
	v_mov_b32_e32 v22, v77
	v_fmac_f32_e32 v71, v65, v149
	v_mul_f32_e32 v79, v66, v152
	s_waitcnt lgkmcnt(3)
	v_pk_mul_f32 v[22:23], v[2:3], v[22:23] op_sel_hi:[1,0]
	v_fmac_f32_e32 v79, v67, v151
	v_pk_add_f32 v[20:21], v[68:69], v[70:71]
	s_waitcnt vmcnt(10)
	v_pk_fma_f32 v[24:25], v[2:3], v[76:77], v[22:23] op_sel:[0,0,1] op_sel_hi:[1,1,0] neg_lo:[0,0,1] neg_hi:[0,0,1]
	v_pk_fma_f32 v[2:3], v[2:3], v[76:77], v[22:23] op_sel:[0,0,1] op_sel_hi:[1,0,0]
	v_pk_add_f32 v[20:21], v[20:21], v[78:79]
	v_mov_b32_e32 v25, v3
	v_pk_add_f32 v[2:3], v[20:21], v[24:25]
	v_mov_b32_e32 v20, v75
	v_pk_mul_f32 v[20:21], v[4:5], v[20:21] op_sel_hi:[1,0]
	v_pk_fma_f32 v[22:23], v[4:5], v[74:75], v[20:21] op_sel:[0,0,1] op_sel_hi:[1,1,0] neg_lo:[0,0,1] neg_hi:[0,0,1]
	v_pk_fma_f32 v[4:5], v[4:5], v[74:75], v[20:21] op_sel:[0,0,1] op_sel_hi:[1,0,0]
	v_mov_b32_e32 v4, v73
	v_mov_b32_e32 v23, v5
	s_waitcnt lgkmcnt(2)
	v_pk_mul_f32 v[4:5], v[6:7], v[4:5] op_sel_hi:[1,0]
	v_pk_fma_f32 v[20:21], v[6:7], v[72:73], v[4:5] op_sel:[0,0,1] op_sel_hi:[1,1,0] neg_lo:[0,0,1] neg_hi:[0,0,1]
	v_pk_fma_f32 v[4:5], v[6:7], v[72:73], v[4:5] op_sel:[0,0,1] op_sel_hi:[1,0,0]
	s_waitcnt vmcnt(3)
	v_mov_b32_e32 v4, v87
	v_mov_b32_e32 v21, v5
	v_pk_mul_f32 v[4:5], v[8:9], v[4:5] op_sel_hi:[1,0]
	s_waitcnt vmcnt(2)
	v_pk_fma_f32 v[6:7], v[8:9], v[86:87], v[4:5] op_sel:[0,0,1] op_sel_hi:[1,1,0] neg_lo:[0,0,1] neg_hi:[0,0,1]
	v_pk_fma_f32 v[4:5], v[8:9], v[86:87], v[4:5] op_sel:[0,0,1] op_sel_hi:[1,0,0]
	v_pk_add_f32 v[2:3], v[2:3], v[22:23]
	v_mov_b32_e32 v4, v85
	v_pk_add_f32 v[2:3], v[2:3], v[20:21]
	v_mov_b32_e32 v7, v5
	s_waitcnt lgkmcnt(1)
	v_pk_mul_f32 v[4:5], v[10:11], v[4:5] op_sel_hi:[1,0]
	v_pk_add_f32 v[2:3], v[2:3], v[6:7]
	v_pk_fma_f32 v[6:7], v[10:11], v[84:85], v[4:5] op_sel:[0,0,1] op_sel_hi:[1,1,0] neg_lo:[0,0,1] neg_hi:[0,0,1]
	v_pk_fma_f32 v[4:5], v[10:11], v[84:85], v[4:5] op_sel:[0,0,1] op_sel_hi:[1,0,0]
	v_mov_b32_e32 v4, v83
	v_mov_b32_e32 v7, v5
	v_pk_mul_f32 v[4:5], v[12:13], v[4:5] op_sel_hi:[1,0]
	v_pk_add_f32 v[2:3], v[2:3], v[6:7]
	v_pk_fma_f32 v[6:7], v[12:13], v[82:83], v[4:5] op_sel:[0,0,1] op_sel_hi:[1,1,0] neg_lo:[0,0,1] neg_hi:[0,0,1]
	v_pk_fma_f32 v[4:5], v[12:13], v[82:83], v[4:5] op_sel:[0,0,1] op_sel_hi:[1,0,0]
	v_mov_b32_e32 v4, v81
	v_mov_b32_e32 v7, v5
	s_waitcnt lgkmcnt(0)
	v_pk_mul_f32 v[4:5], v[14:15], v[4:5] op_sel_hi:[1,0]
	v_pk_add_f32 v[2:3], v[2:3], v[6:7]
	v_pk_fma_f32 v[6:7], v[14:15], v[80:81], v[4:5] op_sel:[0,0,1] op_sel_hi:[1,1,0] neg_lo:[0,0,1] neg_hi:[0,0,1]
	v_pk_fma_f32 v[4:5], v[14:15], v[80:81], v[4:5] op_sel:[0,0,1] op_sel_hi:[1,0,0]
	s_waitcnt vmcnt(1)
	v_mov_b32_e32 v4, v89
	v_mov_b32_e32 v7, v5
	v_pk_mul_f32 v[4:5], v[16:17], v[4:5] op_sel_hi:[1,0]
	v_pk_add_f32 v[2:3], v[2:3], v[6:7]
	s_waitcnt vmcnt(0)
	v_pk_fma_f32 v[6:7], v[16:17], v[88:89], v[4:5] op_sel:[0,0,1] op_sel_hi:[1,1,0] neg_lo:[0,0,1] neg_hi:[0,0,1]
	v_pk_fma_f32 v[4:5], v[16:17], v[88:89], v[4:5] op_sel:[0,0,1] op_sel_hi:[1,0,0]
	v_mov_b32_e32 v7, v5
	v_pk_add_f32 v[2:3], v[2:3], v[6:7]
	v_pk_add_f32 v[2:3], v[18:19], v[2:3] neg_lo:[0,1] neg_hi:[0,1]
	buffer_store_dword v3, off, s[0:3], 0 offset:148
	buffer_store_dword v2, off, s[0:3], 0 offset:144
	s_and_saveexec_b64 s[4:5], vcc
	s_cbranch_execz .LBB122_333
; %bb.332:
	buffer_load_dword v2, off, s[0:3], 0 offset:136
	buffer_load_dword v3, off, s[0:3], 0 offset:140
	v_mov_b32_e32 v1, 0
	buffer_store_dword v1, off, s[0:3], 0 offset:136
	buffer_store_dword v1, off, s[0:3], 0 offset:140
	s_waitcnt vmcnt(2)
	ds_write_b64 v187, v[2:3]
.LBB122_333:
	s_or_b64 exec, exec, s[4:5]
	v_mov_b32_e32 v94, 0
	s_waitcnt lgkmcnt(0)
	; wave barrier
	s_waitcnt lgkmcnt(0)
	ds_read_b128 v[14:17], v94 offset:624
	ds_read_b128 v[10:13], v94 offset:640
	;; [unrolled: 1-line block ×4, first 2 shown]
	buffer_load_dword v70, off, s[0:3], 0 offset:136
	buffer_load_dword v71, off, s[0:3], 0 offset:140
	;; [unrolled: 1-line block ×18, first 2 shown]
	v_cmp_lt_u32_e32 vcc, 16, v0
	s_waitcnt vmcnt(14) lgkmcnt(3)
	v_mul_f32_e32 v18, v14, v78
	v_fmac_f32_e32 v18, v15, v1
	s_waitcnt vmcnt(12)
	v_mul_f32_e32 v19, v16, v96
	v_add_f32_e32 v18, 0, v18
	v_fmac_f32_e32 v19, v17, v72
	v_add_f32_e32 v18, v18, v19
	s_waitcnt vmcnt(10) lgkmcnt(2)
	v_mul_f32_e32 v19, v10, v98
	v_fmac_f32_e32 v19, v11, v74
	v_add_f32_e32 v18, v18, v19
	s_waitcnt vmcnt(8)
	v_mul_f32_e32 v19, v12, v100
	v_fmac_f32_e32 v19, v13, v95
	v_add_f32_e32 v18, v18, v19
	s_waitcnt vmcnt(6) lgkmcnt(1)
	v_mul_f32_e32 v19, v6, v104
	v_fmac_f32_e32 v19, v7, v97
	v_add_f32_e32 v18, v18, v19
	s_waitcnt vmcnt(4)
	v_mul_f32_e32 v19, v8, v105
	;; [unrolled: 8-line block ×3, first 2 shown]
	v_fmac_f32_e32 v19, v5, v107
	v_add_f32_e32 v22, v18, v19
	ds_read_b128 v[18:21], v94 offset:688
	buffer_load_dword v109, off, s[0:3], 0 offset:208
	buffer_load_dword v110, off, s[0:3], 0 offset:212
	buffer_load_dword v111, off, s[0:3], 0 offset:216
	buffer_load_dword v112, off, s[0:3], 0 offset:220
	ds_read_b128 v[26:29], v94 offset:704
	buffer_load_dword v113, off, s[0:3], 0 offset:224
	buffer_load_dword v114, off, s[0:3], 0 offset:228
	buffer_load_dword v115, off, s[0:3], 0 offset:232
	buffer_load_dword v116, off, s[0:3], 0 offset:236
	;; [unrolled: 5-line block ×12, first 2 shown]
	v_mul_f32_e32 v15, v15, v78
	v_fma_f32 v1, v14, v1, -v15
	v_mul_f32_e32 v14, v17, v96
	v_add_f32_e32 v1, 0, v1
	v_fma_f32 v14, v16, v72, -v14
	v_mul_f32_e32 v11, v11, v98
	v_add_f32_e32 v1, v1, v14
	v_fma_f32 v10, v10, v74, -v11
	v_add_f32_e32 v1, v1, v10
	v_mul_f32_e32 v10, v13, v100
	v_fma_f32 v10, v12, v95, -v10
	v_mul_f32_e32 v7, v7, v104
	v_add_f32_e32 v1, v1, v10
	v_fma_f32 v6, v6, v97, -v7
	v_add_f32_e32 v1, v1, v6
	v_mul_f32_e32 v6, v9, v105
	;; [unrolled: 6-line block ×3, first 2 shown]
	v_fma_f32 v2, v4, v107, -v2
	v_add_f32_e32 v1, v1, v2
	s_waitcnt vmcnt(46) lgkmcnt(11)
	v_mul_f32_e32 v23, v18, v110
	v_fmac_f32_e32 v23, v19, v109
	v_add_f32_e32 v22, v22, v23
	s_waitcnt vmcnt(44)
	v_mul_f32_e32 v23, v20, v112
	v_fmac_f32_e32 v23, v21, v111
	v_add_f32_e32 v22, v22, v23
	s_waitcnt vmcnt(42) lgkmcnt(10)
	v_mul_f32_e32 v23, v26, v114
	v_fmac_f32_e32 v23, v27, v113
	v_add_f32_e32 v22, v22, v23
	s_waitcnt vmcnt(40)
	v_mul_f32_e32 v23, v28, v116
	v_fmac_f32_e32 v23, v29, v115
	;; [unrolled: 8-line block ×11, first 2 shown]
	v_add_f32_e32 v22, v22, v23
	s_waitcnt vmcnt(2) lgkmcnt(0)
	v_mul_f32_e32 v23, v66, v154
	v_fmac_f32_e32 v23, v67, v153
	v_add_f32_e32 v73, v22, v23
	ds_read_b128 v[22:25], v94 offset:880
	buffer_load_dword v157, off, s[0:3], 0 offset:400
	buffer_load_dword v158, off, s[0:3], 0 offset:404
	;; [unrolled: 1-line block ×18, first 2 shown]
	v_mul_f32_e32 v2, v19, v110
	v_fma_f32 v2, v18, v109, -v2
	v_add_f32_e32 v1, v1, v2
	v_mul_f32_e32 v2, v21, v112
	v_fma_f32 v2, v20, v111, -v2
	v_add_f32_e32 v1, v1, v2
	;; [unrolled: 3-line block ×22, first 2 shown]
	v_mul_f32_e32 v2, v67, v154
	v_fma_f32 v2, v66, v153, -v2
	s_waitcnt vmcnt(15)
	v_mov_b32_e32 v18, v77
	v_mul_f32_e32 v75, v68, v156
	v_add_f32_e32 v72, v1, v2
	v_mul_f32_e32 v1, v69, v156
	s_waitcnt lgkmcnt(0)
	v_pk_mul_f32 v[18:19], v[24:25], v[18:19] op_sel_hi:[1,0]
	v_fmac_f32_e32 v75, v69, v155
	v_fma_f32 v74, v68, v155, -v1
	ds_read_b128 v[2:5], v94 offset:896
	ds_read_b128 v[6:9], v94 offset:912
	;; [unrolled: 1-line block ×3, first 2 shown]
	ds_read_b64 v[14:15], v94 offset:944
	s_waitcnt vmcnt(14)
	v_pk_fma_f32 v[20:21], v[24:25], v[76:77], v[18:19] op_sel:[0,0,1] op_sel_hi:[1,1,0] neg_lo:[0,0,1] neg_hi:[0,0,1]
	v_pk_fma_f32 v[18:19], v[24:25], v[76:77], v[18:19] op_sel:[0,0,1] op_sel_hi:[1,0,0]
	v_mul_f32_e32 v79, v22, v158
	v_mul_f32_e32 v1, v23, v158
	v_fmac_f32_e32 v79, v23, v157
	v_fma_f32 v78, v22, v157, -v1
	v_pk_add_f32 v[16:17], v[72:73], v[74:75]
	s_waitcnt vmcnt(13)
	v_mov_b32_e32 v18, v93
	v_pk_add_f32 v[16:17], v[16:17], v[78:79]
	v_mov_b32_e32 v21, v19
	s_waitcnt lgkmcnt(3)
	v_pk_mul_f32 v[18:19], v[2:3], v[18:19] op_sel_hi:[1,0]
	v_pk_add_f32 v[16:17], v[16:17], v[20:21]
	s_waitcnt vmcnt(12)
	v_pk_fma_f32 v[20:21], v[2:3], v[92:93], v[18:19] op_sel:[0,0,1] op_sel_hi:[1,1,0] neg_lo:[0,0,1] neg_hi:[0,0,1]
	v_pk_fma_f32 v[2:3], v[2:3], v[92:93], v[18:19] op_sel:[0,0,1] op_sel_hi:[1,0,0]
	v_mov_b32_e32 v21, v3
	v_pk_add_f32 v[2:3], v[16:17], v[20:21]
	s_waitcnt vmcnt(11)
	v_mov_b32_e32 v16, v91
	v_pk_mul_f32 v[16:17], v[4:5], v[16:17] op_sel_hi:[1,0]
	s_waitcnt vmcnt(10)
	v_pk_fma_f32 v[18:19], v[4:5], v[90:91], v[16:17] op_sel:[0,0,1] op_sel_hi:[1,1,0] neg_lo:[0,0,1] neg_hi:[0,0,1]
	v_pk_fma_f32 v[4:5], v[4:5], v[90:91], v[16:17] op_sel:[0,0,1] op_sel_hi:[1,0,0]
	s_waitcnt vmcnt(9)
	v_mov_b32_e32 v4, v89
	v_mov_b32_e32 v19, v5
	s_waitcnt lgkmcnt(2)
	v_pk_mul_f32 v[4:5], v[6:7], v[4:5] op_sel_hi:[1,0]
	s_waitcnt vmcnt(8)
	v_pk_fma_f32 v[16:17], v[6:7], v[88:89], v[4:5] op_sel:[0,0,1] op_sel_hi:[1,1,0] neg_lo:[0,0,1] neg_hi:[0,0,1]
	v_pk_fma_f32 v[4:5], v[6:7], v[88:89], v[4:5] op_sel:[0,0,1] op_sel_hi:[1,0,0]
	s_waitcnt vmcnt(7)
	v_mov_b32_e32 v4, v87
	v_mov_b32_e32 v17, v5
	v_pk_mul_f32 v[4:5], v[8:9], v[4:5] op_sel_hi:[1,0]
	s_waitcnt vmcnt(6)
	v_pk_fma_f32 v[6:7], v[8:9], v[86:87], v[4:5] op_sel:[0,0,1] op_sel_hi:[1,1,0] neg_lo:[0,0,1] neg_hi:[0,0,1]
	v_pk_fma_f32 v[4:5], v[8:9], v[86:87], v[4:5] op_sel:[0,0,1] op_sel_hi:[1,0,0]
	v_pk_add_f32 v[2:3], v[2:3], v[18:19]
	s_waitcnt vmcnt(5)
	v_mov_b32_e32 v4, v85
	v_pk_add_f32 v[2:3], v[2:3], v[16:17]
	v_mov_b32_e32 v7, v5
	s_waitcnt lgkmcnt(1)
	v_pk_mul_f32 v[4:5], v[10:11], v[4:5] op_sel_hi:[1,0]
	v_pk_add_f32 v[2:3], v[2:3], v[6:7]
	s_waitcnt vmcnt(4)
	v_pk_fma_f32 v[6:7], v[10:11], v[84:85], v[4:5] op_sel:[0,0,1] op_sel_hi:[1,1,0] neg_lo:[0,0,1] neg_hi:[0,0,1]
	v_pk_fma_f32 v[4:5], v[10:11], v[84:85], v[4:5] op_sel:[0,0,1] op_sel_hi:[1,0,0]
	s_waitcnt vmcnt(3)
	v_mov_b32_e32 v4, v83
	v_mov_b32_e32 v7, v5
	v_pk_mul_f32 v[4:5], v[12:13], v[4:5] op_sel_hi:[1,0]
	v_pk_add_f32 v[2:3], v[2:3], v[6:7]
	s_waitcnt vmcnt(2)
	v_pk_fma_f32 v[6:7], v[12:13], v[82:83], v[4:5] op_sel:[0,0,1] op_sel_hi:[1,1,0] neg_lo:[0,0,1] neg_hi:[0,0,1]
	v_pk_fma_f32 v[4:5], v[12:13], v[82:83], v[4:5] op_sel:[0,0,1] op_sel_hi:[1,0,0]
	s_waitcnt vmcnt(1)
	v_mov_b32_e32 v4, v81
	v_mov_b32_e32 v7, v5
	s_waitcnt lgkmcnt(0)
	v_pk_mul_f32 v[4:5], v[14:15], v[4:5] op_sel_hi:[1,0]
	v_pk_add_f32 v[2:3], v[2:3], v[6:7]
	s_waitcnt vmcnt(0)
	v_pk_fma_f32 v[6:7], v[14:15], v[80:81], v[4:5] op_sel:[0,0,1] op_sel_hi:[1,1,0] neg_lo:[0,0,1] neg_hi:[0,0,1]
	v_pk_fma_f32 v[4:5], v[14:15], v[80:81], v[4:5] op_sel:[0,0,1] op_sel_hi:[1,0,0]
	v_mov_b32_e32 v7, v5
	v_pk_add_f32 v[2:3], v[2:3], v[6:7]
	v_pk_add_f32 v[2:3], v[70:71], v[2:3] neg_lo:[0,1] neg_hi:[0,1]
	buffer_store_dword v3, off, s[0:3], 0 offset:140
	buffer_store_dword v2, off, s[0:3], 0 offset:136
	s_and_saveexec_b64 s[4:5], vcc
	s_cbranch_execz .LBB122_335
; %bb.334:
	buffer_load_dword v2, off, s[0:3], 0 offset:128
	buffer_load_dword v3, off, s[0:3], 0 offset:132
	s_waitcnt vmcnt(0)
	ds_write_b64 v187, v[2:3]
	buffer_store_dword v94, off, s[0:3], 0 offset:128
	buffer_store_dword v94, off, s[0:3], 0 offset:132
.LBB122_335:
	s_or_b64 exec, exec, s[4:5]
	s_waitcnt lgkmcnt(0)
	; wave barrier
	s_waitcnt lgkmcnt(0)
	buffer_load_dword v1, off, s[0:3], 0 offset:140
	buffer_load_dword v78, off, s[0:3], 0 offset:148
	buffer_load_dword v80, off, s[0:3], 0 offset:164
	buffer_load_dword v82, off, s[0:3], 0 offset:172
	buffer_load_dword v95, off, s[0:3], 0 offset:180
	buffer_load_dword v100, off, s[0:3], 0 offset:156
	buffer_load_dword v101, off, s[0:3], 0 offset:188
	buffer_load_dword v104, off, s[0:3], 0 offset:196
	buffer_load_dword v105, off, s[0:3], 0 offset:152
	buffer_load_dword v106, off, s[0:3], 0 offset:144
	buffer_load_dword v107, off, s[0:3], 0 offset:136
	buffer_load_dword v108, off, s[0:3], 0 offset:184
	buffer_load_dword v109, off, s[0:3], 0 offset:176
	buffer_load_dword v110, off, s[0:3], 0 offset:168
	buffer_load_dword v111, off, s[0:3], 0 offset:160
	buffer_load_dword v112, off, s[0:3], 0 offset:216
	buffer_load_dword v113, off, s[0:3], 0 offset:208
	buffer_load_dword v114, off, s[0:3], 0 offset:200
	buffer_load_dword v115, off, s[0:3], 0 offset:192
	buffer_load_dword v116, off, s[0:3], 0 offset:204
	buffer_load_dword v117, off, s[0:3], 0 offset:212
	buffer_load_dword v118, off, s[0:3], 0 offset:220
	buffer_load_dword v26, off, s[0:3], 0 offset:128
	buffer_load_dword v27, off, s[0:3], 0 offset:132
	ds_read2_b64 v[22:25], v94 offset0:77 offset1:78
	ds_read2_b64 v[18:21], v94 offset0:79 offset1:80
	;; [unrolled: 1-line block ×4, first 2 shown]
	buffer_load_dword v119, off, s[0:3], 0 offset:224
	buffer_load_dword v120, off, s[0:3], 0 offset:228
	ds_read2_b64 v[10:13], v94 offset0:85 offset1:86
	ds_read2_b64 v[2:5], v94 offset0:87 offset1:88
	buffer_load_dword v121, off, s[0:3], 0 offset:232
	buffer_load_dword v122, off, s[0:3], 0 offset:236
	buffer_load_dword v123, off, s[0:3], 0 offset:240
	buffer_load_dword v124, off, s[0:3], 0 offset:244
	buffer_load_dword v125, off, s[0:3], 0 offset:248
	buffer_load_dword v126, off, s[0:3], 0 offset:252
	buffer_load_dword v127, off, s[0:3], 0 offset:256
	buffer_load_dword v128, off, s[0:3], 0 offset:260
	buffer_load_dword v129, off, s[0:3], 0 offset:264
	buffer_load_dword v130, off, s[0:3], 0 offset:268
	buffer_load_dword v131, off, s[0:3], 0 offset:272
	buffer_load_dword v132, off, s[0:3], 0 offset:276
	buffer_load_dword v133, off, s[0:3], 0 offset:280
	buffer_load_dword v134, off, s[0:3], 0 offset:284
	buffer_load_dword v135, off, s[0:3], 0 offset:288
	buffer_load_dword v136, off, s[0:3], 0 offset:292
	buffer_load_dword v137, off, s[0:3], 0 offset:296
	buffer_load_dword v138, off, s[0:3], 0 offset:300
	buffer_load_dword v139, off, s[0:3], 0 offset:304
	buffer_load_dword v140, off, s[0:3], 0 offset:308
	buffer_load_dword v141, off, s[0:3], 0 offset:312
	buffer_load_dword v142, off, s[0:3], 0 offset:316
	buffer_load_dword v143, off, s[0:3], 0 offset:320
	buffer_load_dword v144, off, s[0:3], 0 offset:324
	buffer_load_dword v145, off, s[0:3], 0 offset:328
	buffer_load_dword v146, off, s[0:3], 0 offset:332
	buffer_load_dword v147, off, s[0:3], 0 offset:336
	buffer_load_dword v148, off, s[0:3], 0 offset:340
	buffer_load_dword v149, off, s[0:3], 0 offset:344
	buffer_load_dword v150, off, s[0:3], 0 offset:348
	buffer_load_dword v151, off, s[0:3], 0 offset:352
	buffer_load_dword v152, off, s[0:3], 0 offset:356
	buffer_load_dword v153, off, s[0:3], 0 offset:360
	buffer_load_dword v154, off, s[0:3], 0 offset:364
	buffer_load_dword v155, off, s[0:3], 0 offset:368
	buffer_load_dword v156, off, s[0:3], 0 offset:372
	buffer_load_dword v157, off, s[0:3], 0 offset:376
	buffer_load_dword v158, off, s[0:3], 0 offset:380
	buffer_load_dword v159, off, s[0:3], 0 offset:384
	buffer_load_dword v160, off, s[0:3], 0 offset:388
	buffer_load_dword v161, off, s[0:3], 0 offset:392
	buffer_load_dword v162, off, s[0:3], 0 offset:396
	buffer_load_dword v163, off, s[0:3], 0 offset:400
	buffer_load_dword v164, off, s[0:3], 0 offset:404
	v_cmp_lt_u32_e32 vcc, 15, v0
	s_waitcnt vmcnt(62) lgkmcnt(5)
	v_mul_f32_e32 v28, v22, v1
	v_mul_f32_e32 v29, v24, v78
	s_waitcnt lgkmcnt(4)
	v_mul_f32_e32 v31, v20, v80
	s_waitcnt lgkmcnt(3)
	v_mul_f32_e32 v32, v14, v82
	v_mul_f32_e32 v33, v16, v95
	;; [unrolled: 1-line block ×3, first 2 shown]
	s_waitcnt lgkmcnt(2)
	v_mul_f32_e32 v34, v6, v101
	v_mul_f32_e32 v35, v8, v104
	s_waitcnt vmcnt(61)
	v_fmac_f32_e32 v30, v19, v105
	s_waitcnt vmcnt(60)
	v_fmac_f32_e32 v29, v25, v106
	;; [unrolled: 2-line block ×3, first 2 shown]
	v_add_f32_e32 v28, 0, v28
	v_add_f32_e32 v28, v28, v29
	;; [unrolled: 1-line block ×3, first 2 shown]
	s_waitcnt vmcnt(55)
	v_fmac_f32_e32 v31, v21, v111
	v_fmac_f32_e32 v32, v15, v110
	v_add_f32_e32 v28, v28, v31
	v_fmac_f32_e32 v33, v17, v109
	v_add_f32_e32 v28, v28, v32
	;; [unrolled: 2-line block ×3, first 2 shown]
	s_waitcnt vmcnt(51)
	v_fmac_f32_e32 v35, v9, v115
	v_add_f32_e32 v28, v28, v34
	s_waitcnt vmcnt(50) lgkmcnt(1)
	v_mul_f32_e32 v29, v10, v116
	v_add_f32_e32 v28, v28, v35
	v_fmac_f32_e32 v29, v11, v114
	v_add_f32_e32 v28, v28, v29
	s_waitcnt vmcnt(49)
	v_mul_f32_e32 v29, v12, v117
	v_fmac_f32_e32 v29, v13, v113
	v_add_f32_e32 v28, v28, v29
	s_waitcnt vmcnt(48) lgkmcnt(0)
	v_mul_f32_e32 v29, v2, v118
	v_fmac_f32_e32 v29, v3, v112
	v_add_f32_e32 v32, v28, v29
	ds_read2_b64 v[28:31], v94 offset0:89 offset1:90
	s_waitcnt vmcnt(44)
	v_mul_f32_e32 v33, v4, v120
	v_fmac_f32_e32 v33, v5, v119
	v_add_f32_e32 v36, v32, v33
	ds_read2_b64 v[32:35], v94 offset0:91 offset1:92
	s_waitcnt vmcnt(42) lgkmcnt(1)
	v_mul_f32_e32 v37, v28, v122
	v_fmac_f32_e32 v37, v29, v121
	v_add_f32_e32 v36, v36, v37
	s_waitcnt vmcnt(40)
	v_mul_f32_e32 v37, v30, v124
	v_fmac_f32_e32 v37, v31, v123
	v_add_f32_e32 v36, v36, v37
	s_waitcnt vmcnt(38) lgkmcnt(0)
	v_mul_f32_e32 v37, v32, v126
	v_fmac_f32_e32 v37, v33, v125
	v_add_f32_e32 v40, v36, v37
	ds_read2_b64 v[36:39], v94 offset0:93 offset1:94
	s_waitcnt vmcnt(36)
	v_mul_f32_e32 v41, v34, v128
	v_fmac_f32_e32 v41, v35, v127
	v_add_f32_e32 v44, v40, v41
	ds_read2_b64 v[40:43], v94 offset0:95 offset1:96
	s_waitcnt vmcnt(34) lgkmcnt(1)
	v_mul_f32_e32 v45, v36, v130
	;; [unrolled: 18-line block ×4, first 2 shown]
	v_fmac_f32_e32 v61, v53, v145
	v_add_f32_e32 v60, v60, v61
	s_waitcnt vmcnt(16)
	v_mul_f32_e32 v61, v54, v148
	v_fmac_f32_e32 v61, v55, v147
	v_add_f32_e32 v60, v60, v61
	s_waitcnt vmcnt(14) lgkmcnt(0)
	v_mul_f32_e32 v61, v56, v150
	v_fmac_f32_e32 v61, v57, v149
	v_add_f32_e32 v64, v60, v61
	ds_read2_b64 v[60:63], v94 offset0:105 offset1:106
	s_waitcnt vmcnt(12)
	v_mul_f32_e32 v65, v58, v152
	v_fmac_f32_e32 v65, v59, v151
	v_add_f32_e32 v68, v64, v65
	ds_read2_b64 v[64:67], v94 offset0:107 offset1:108
	buffer_load_dword v77, off, s[0:3], 0 offset:412
	buffer_load_dword v76, off, s[0:3], 0 offset:408
	s_waitcnt vmcnt(12) lgkmcnt(1)
	v_mul_f32_e32 v69, v60, v154
	v_fmac_f32_e32 v69, v61, v153
	v_add_f32_e32 v68, v68, v69
	s_waitcnt vmcnt(10)
	v_mul_f32_e32 v69, v62, v156
	v_fmac_f32_e32 v69, v63, v155
	v_add_f32_e32 v68, v68, v69
	s_waitcnt vmcnt(8) lgkmcnt(0)
	v_mul_f32_e32 v69, v64, v158
	v_fmac_f32_e32 v69, v65, v157
	s_waitcnt vmcnt(6)
	v_mul_f32_e32 v73, v66, v160
	v_add_f32_e32 v72, v68, v69
	v_fmac_f32_e32 v73, v67, v159
	ds_read2_b64 v[68:71], v94 offset0:109 offset1:110
	v_add_f32_e32 v79, v72, v73
	ds_read2_b64 v[72:75], v94 offset0:111 offset1:112
	buffer_load_dword v85, off, s[0:3], 0 offset:444
	buffer_load_dword v84, off, s[0:3], 0 offset:440
	;; [unrolled: 1-line block ×14, first 2 shown]
	v_mul_f32_e32 v1, v23, v1
	v_fma_f32 v1, v22, v107, -v1
	v_mul_f32_e32 v22, v25, v78
	v_add_f32_e32 v1, 0, v1
	v_fma_f32 v22, v24, v106, -v22
	v_mul_f32_e32 v19, v19, v100
	v_add_f32_e32 v1, v1, v22
	v_fma_f32 v18, v18, v105, -v19
	v_add_f32_e32 v1, v1, v18
	v_mul_f32_e32 v18, v21, v80
	v_fma_f32 v18, v20, v111, -v18
	v_mul_f32_e32 v15, v15, v82
	v_add_f32_e32 v1, v1, v18
	v_fma_f32 v14, v14, v110, -v15
	v_add_f32_e32 v1, v1, v14
	v_mul_f32_e32 v14, v17, v95
	;; [unrolled: 6-line block ×3, first 2 shown]
	v_fma_f32 v6, v8, v115, -v6
	v_add_f32_e32 v1, v1, v6
	v_mul_f32_e32 v6, v11, v116
	v_fma_f32 v6, v10, v114, -v6
	v_add_f32_e32 v1, v1, v6
	v_mul_f32_e32 v6, v13, v117
	v_fma_f32 v6, v12, v113, -v6
	v_mul_f32_e32 v3, v3, v118
	v_add_f32_e32 v1, v1, v6
	v_fma_f32 v2, v2, v112, -v3
	v_add_f32_e32 v1, v1, v2
	v_mul_f32_e32 v2, v5, v120
	v_fma_f32 v2, v4, v119, -v2
	v_add_f32_e32 v1, v1, v2
	v_mul_f32_e32 v2, v29, v122
	;; [unrolled: 3-line block ×21, first 2 shown]
	v_fma_f32 v2, v66, v159, -v2
	s_waitcnt vmcnt(15)
	v_mov_b32_e32 v16, v77
	s_waitcnt lgkmcnt(1)
	v_mul_f32_e32 v81, v68, v162
	v_add_f32_e32 v78, v1, v2
	v_mul_f32_e32 v1, v69, v162
	s_waitcnt lgkmcnt(0)
	v_pk_mul_f32 v[16:17], v[72:73], v[16:17] op_sel_hi:[1,0]
	v_fmac_f32_e32 v81, v69, v161
	v_mul_f32_e32 v83, v70, v164
	v_fma_f32 v80, v68, v161, -v1
	v_mul_f32_e32 v1, v71, v164
	s_waitcnt vmcnt(14)
	v_pk_fma_f32 v[18:19], v[72:73], v[76:77], v[16:17] op_sel:[0,0,1] op_sel_hi:[1,1,0] neg_lo:[0,0,1] neg_hi:[0,0,1]
	v_pk_fma_f32 v[16:17], v[72:73], v[76:77], v[16:17] op_sel:[0,0,1] op_sel_hi:[1,0,0]
	v_fmac_f32_e32 v83, v71, v163
	v_fma_f32 v82, v70, v163, -v1
	v_pk_add_f32 v[14:15], v[78:79], v[80:81]
	s_waitcnt vmcnt(7)
	v_mov_b32_e32 v16, v91
	ds_read2_b64 v[2:5], v94 offset0:113 offset1:114
	ds_read2_b64 v[6:9], v94 offset0:115 offset1:116
	;; [unrolled: 1-line block ×3, first 2 shown]
	v_pk_add_f32 v[14:15], v[14:15], v[82:83]
	v_mov_b32_e32 v19, v17
	v_pk_mul_f32 v[16:17], v[74:75], v[16:17] op_sel_hi:[1,0]
	v_pk_add_f32 v[14:15], v[14:15], v[18:19]
	s_waitcnt vmcnt(6)
	v_pk_fma_f32 v[18:19], v[74:75], v[90:91], v[16:17] op_sel:[0,0,1] op_sel_hi:[1,1,0] neg_lo:[0,0,1] neg_hi:[0,0,1]
	v_pk_fma_f32 v[16:17], v[74:75], v[90:91], v[16:17] op_sel:[0,0,1] op_sel_hi:[1,0,0]
	v_mov_b32_e32 v16, v89
	v_mov_b32_e32 v19, v17
	s_waitcnt lgkmcnt(2)
	v_pk_mul_f32 v[16:17], v[2:3], v[16:17] op_sel_hi:[1,0]
	v_pk_add_f32 v[14:15], v[14:15], v[18:19]
	v_pk_fma_f32 v[18:19], v[2:3], v[88:89], v[16:17] op_sel:[0,0,1] op_sel_hi:[1,1,0] neg_lo:[0,0,1] neg_hi:[0,0,1]
	v_pk_fma_f32 v[2:3], v[2:3], v[88:89], v[16:17] op_sel:[0,0,1] op_sel_hi:[1,0,0]
	v_mov_b32_e32 v19, v3
	v_pk_add_f32 v[2:3], v[14:15], v[18:19]
	v_mov_b32_e32 v14, v87
	v_pk_mul_f32 v[14:15], v[4:5], v[14:15] op_sel_hi:[1,0]
	v_pk_fma_f32 v[16:17], v[4:5], v[86:87], v[14:15] op_sel:[0,0,1] op_sel_hi:[1,1,0] neg_lo:[0,0,1] neg_hi:[0,0,1]
	v_pk_fma_f32 v[4:5], v[4:5], v[86:87], v[14:15] op_sel:[0,0,1] op_sel_hi:[1,0,0]
	v_mov_b32_e32 v4, v85
	v_mov_b32_e32 v17, v5
	s_waitcnt lgkmcnt(1)
	v_pk_mul_f32 v[4:5], v[6:7], v[4:5] op_sel_hi:[1,0]
	v_pk_fma_f32 v[14:15], v[6:7], v[84:85], v[4:5] op_sel:[0,0,1] op_sel_hi:[1,1,0] neg_lo:[0,0,1] neg_hi:[0,0,1]
	v_pk_fma_f32 v[4:5], v[6:7], v[84:85], v[4:5] op_sel:[0,0,1] op_sel_hi:[1,0,0]
	s_waitcnt vmcnt(1)
	v_mov_b32_e32 v4, v99
	v_mov_b32_e32 v15, v5
	v_pk_mul_f32 v[4:5], v[8:9], v[4:5] op_sel_hi:[1,0]
	s_waitcnt vmcnt(0)
	v_pk_fma_f32 v[6:7], v[8:9], v[98:99], v[4:5] op_sel:[0,0,1] op_sel_hi:[1,1,0] neg_lo:[0,0,1] neg_hi:[0,0,1]
	v_pk_fma_f32 v[4:5], v[8:9], v[98:99], v[4:5] op_sel:[0,0,1] op_sel_hi:[1,0,0]
	v_pk_add_f32 v[2:3], v[2:3], v[16:17]
	v_mov_b32_e32 v4, v97
	v_pk_add_f32 v[2:3], v[2:3], v[14:15]
	v_mov_b32_e32 v7, v5
	s_waitcnt lgkmcnt(0)
	v_pk_mul_f32 v[4:5], v[10:11], v[4:5] op_sel_hi:[1,0]
	v_pk_add_f32 v[2:3], v[2:3], v[6:7]
	v_pk_fma_f32 v[6:7], v[10:11], v[96:97], v[4:5] op_sel:[0,0,1] op_sel_hi:[1,1,0] neg_lo:[0,0,1] neg_hi:[0,0,1]
	v_pk_fma_f32 v[4:5], v[10:11], v[96:97], v[4:5] op_sel:[0,0,1] op_sel_hi:[1,0,0]
	v_mov_b32_e32 v4, v93
	v_mov_b32_e32 v7, v5
	v_pk_mul_f32 v[4:5], v[12:13], v[4:5] op_sel_hi:[1,0]
	v_pk_add_f32 v[2:3], v[2:3], v[6:7]
	v_pk_fma_f32 v[6:7], v[12:13], v[92:93], v[4:5] op_sel:[0,0,1] op_sel_hi:[1,1,0] neg_lo:[0,0,1] neg_hi:[0,0,1]
	v_pk_fma_f32 v[4:5], v[12:13], v[92:93], v[4:5] op_sel:[0,0,1] op_sel_hi:[1,0,0]
	v_mov_b32_e32 v7, v5
	v_pk_add_f32 v[2:3], v[2:3], v[6:7]
	v_pk_add_f32 v[2:3], v[26:27], v[2:3] neg_lo:[0,1] neg_hi:[0,1]
	buffer_store_dword v3, off, s[0:3], 0 offset:132
	buffer_store_dword v2, off, s[0:3], 0 offset:128
	s_and_saveexec_b64 s[4:5], vcc
	s_cbranch_execz .LBB122_337
; %bb.336:
	buffer_load_dword v2, off, s[0:3], 0 offset:120
	buffer_load_dword v3, off, s[0:3], 0 offset:124
	v_mov_b32_e32 v1, 0
	buffer_store_dword v1, off, s[0:3], 0 offset:120
	buffer_store_dword v1, off, s[0:3], 0 offset:124
	s_waitcnt vmcnt(2)
	ds_write_b64 v187, v[2:3]
.LBB122_337:
	s_or_b64 exec, exec, s[4:5]
	s_waitcnt lgkmcnt(0)
	; wave barrier
	s_waitcnt lgkmcnt(0)
	buffer_load_dword v76, off, s[0:3], 0 offset:132
	buffer_load_dword v78, off, s[0:3], 0 offset:140
	;; [unrolled: 1-line block ×56, first 2 shown]
	v_mov_b32_e32 v1, 0
	ds_read_b128 v[4:7], v1 offset:608
	ds_read_b128 v[8:11], v1 offset:624
	;; [unrolled: 1-line block ×6, first 2 shown]
	buffer_load_dword v151, off, s[0:3], 0 offset:344
	buffer_load_dword v152, off, s[0:3], 0 offset:348
	;; [unrolled: 1-line block ×16, first 2 shown]
	v_cmp_lt_u32_e32 vcc, 14, v0
	s_waitcnt vmcnt(62) lgkmcnt(5)
	v_mul_f32_e32 v28, v4, v76
	v_mul_f32_e32 v29, v6, v78
	s_waitcnt lgkmcnt(4)
	v_mul_f32_e32 v31, v10, v80
	s_waitcnt lgkmcnt(3)
	v_mul_f32_e32 v32, v12, v98
	v_mul_f32_e32 v33, v14, v99
	;; [unrolled: 1-line block ×3, first 2 shown]
	s_waitcnt lgkmcnt(2)
	v_mul_f32_e32 v34, v16, v101
	v_mul_f32_e32 v35, v18, v104
	s_waitcnt lgkmcnt(1)
	v_mul_f32_e32 v36, v20, v105
	v_fmac_f32_e32 v30, v9, v106
	s_waitcnt vmcnt(61)
	v_fmac_f32_e32 v29, v7, v107
	s_waitcnt vmcnt(60)
	v_fmac_f32_e32 v28, v5, v108
	v_add_f32_e32 v28, 0, v28
	v_add_f32_e32 v28, v28, v29
	;; [unrolled: 1-line block ×3, first 2 shown]
	s_waitcnt vmcnt(56)
	v_fmac_f32_e32 v31, v11, v112
	v_fmac_f32_e32 v32, v13, v111
	v_add_f32_e32 v28, v28, v31
	v_fmac_f32_e32 v33, v15, v110
	v_add_f32_e32 v28, v28, v32
	;; [unrolled: 2-line block ×3, first 2 shown]
	s_waitcnt vmcnt(52)
	v_fmac_f32_e32 v35, v19, v116
	v_add_f32_e32 v28, v28, v34
	v_add_f32_e32 v28, v28, v35
	v_fmac_f32_e32 v36, v21, v115
	s_waitcnt vmcnt(51)
	v_mul_f32_e32 v29, v22, v117
	v_add_f32_e32 v28, v28, v36
	v_fmac_f32_e32 v29, v23, v114
	v_add_f32_e32 v28, v28, v29
	s_waitcnt vmcnt(50) lgkmcnt(0)
	v_mul_f32_e32 v29, v24, v118
	v_fmac_f32_e32 v29, v25, v113
	v_add_f32_e32 v32, v28, v29
	ds_read_b128 v[28:31], v1 offset:704
	s_waitcnt vmcnt(46)
	v_mul_f32_e32 v33, v26, v120
	v_fmac_f32_e32 v33, v27, v119
	v_add_f32_e32 v36, v32, v33
	ds_read_b128 v[32:35], v1 offset:720
	s_waitcnt vmcnt(44) lgkmcnt(1)
	v_mul_f32_e32 v37, v28, v122
	v_fmac_f32_e32 v37, v29, v121
	v_add_f32_e32 v36, v36, v37
	s_waitcnt vmcnt(42)
	v_mul_f32_e32 v37, v30, v124
	v_fmac_f32_e32 v37, v31, v123
	v_add_f32_e32 v36, v36, v37
	s_waitcnt vmcnt(40) lgkmcnt(0)
	v_mul_f32_e32 v37, v32, v126
	v_fmac_f32_e32 v37, v33, v125
	v_add_f32_e32 v40, v36, v37
	ds_read_b128 v[36:39], v1 offset:736
	s_waitcnt vmcnt(38)
	v_mul_f32_e32 v41, v34, v128
	v_fmac_f32_e32 v41, v35, v127
	v_add_f32_e32 v44, v40, v41
	ds_read_b128 v[40:43], v1 offset:752
	s_waitcnt vmcnt(36) lgkmcnt(1)
	v_mul_f32_e32 v45, v36, v130
	v_fmac_f32_e32 v45, v37, v129
	v_add_f32_e32 v44, v44, v45
	s_waitcnt vmcnt(34)
	v_mul_f32_e32 v45, v38, v132
	;; [unrolled: 18-line block ×5, first 2 shown]
	v_fmac_f32_e32 v69, v63, v155
	v_add_f32_e32 v68, v68, v69
	s_waitcnt vmcnt(8) lgkmcnt(0)
	v_mul_f32_e32 v69, v64, v158
	v_fmac_f32_e32 v69, v65, v157
	s_waitcnt vmcnt(6)
	v_mul_f32_e32 v73, v66, v160
	v_add_f32_e32 v72, v68, v69
	v_fmac_f32_e32 v73, v67, v159
	ds_read_b128 v[68:71], v1 offset:864
	v_add_f32_e32 v77, v72, v73
	ds_read_b128 v[72:75], v1 offset:880
	buffer_load_dword v83, off, s[0:3], 0 offset:436
	buffer_load_dword v82, off, s[0:3], 0 offset:432
	;; [unrolled: 1-line block ×16, first 2 shown]
	v_mul_f32_e32 v5, v5, v76
	v_fma_f32 v4, v4, v108, -v5
	v_mul_f32_e32 v5, v7, v78
	v_add_f32_e32 v4, 0, v4
	v_fma_f32 v5, v6, v107, -v5
	v_add_f32_e32 v4, v4, v5
	v_mul_f32_e32 v5, v9, v100
	v_fma_f32 v5, v8, v106, -v5
	v_add_f32_e32 v4, v4, v5
	v_mul_f32_e32 v5, v11, v80
	;; [unrolled: 3-line block ×30, first 2 shown]
	v_fma_f32 v5, v66, v159, -v5
	v_add_f32_e32 v4, v4, v5
	s_waitcnt vmcnt(20) lgkmcnt(1)
	v_mul_f32_e32 v5, v69, v162
	v_mul_f32_e32 v79, v68, v162
	v_fma_f32 v5, v68, v161, -v5
	v_fmac_f32_e32 v79, v69, v161
	v_add_f32_e32 v76, v4, v5
	s_waitcnt vmcnt(18)
	v_mul_f32_e32 v4, v71, v164
	s_waitcnt vmcnt(9)
	v_mov_b32_e32 v20, v89
	v_add_f32_e32 v77, v77, v79
	v_mul_f32_e32 v79, v70, v164
	v_fma_f32 v78, v70, v163, -v4
	s_waitcnt lgkmcnt(0)
	v_mul_f32_e32 v4, v73, v166
	v_pk_mul_f32 v[20:21], v[74:75], v[20:21] op_sel_hi:[1,0]
	v_fmac_f32_e32 v79, v71, v163
	v_mul_f32_e32 v81, v72, v166
	v_fma_f32 v80, v72, v165, -v4
	ds_read_b128 v[4:7], v1 offset:896
	ds_read_b128 v[8:11], v1 offset:912
	;; [unrolled: 1-line block ×3, first 2 shown]
	ds_read_b64 v[16:17], v1 offset:944
	s_waitcnt vmcnt(8)
	v_pk_fma_f32 v[22:23], v[74:75], v[88:89], v[20:21] op_sel:[0,0,1] op_sel_hi:[1,1,0] neg_lo:[0,0,1] neg_hi:[0,0,1]
	v_pk_fma_f32 v[20:21], v[74:75], v[88:89], v[20:21] op_sel:[0,0,1] op_sel_hi:[1,0,0]
	v_fmac_f32_e32 v81, v73, v165
	v_pk_add_f32 v[18:19], v[76:77], v[78:79]
	v_mov_b32_e32 v20, v87
	v_pk_add_f32 v[18:19], v[18:19], v[80:81]
	v_mov_b32_e32 v23, v21
	s_waitcnt lgkmcnt(3)
	v_pk_mul_f32 v[20:21], v[4:5], v[20:21] op_sel_hi:[1,0]
	v_pk_add_f32 v[18:19], v[18:19], v[22:23]
	v_pk_fma_f32 v[22:23], v[4:5], v[86:87], v[20:21] op_sel:[0,0,1] op_sel_hi:[1,1,0] neg_lo:[0,0,1] neg_hi:[0,0,1]
	v_pk_fma_f32 v[4:5], v[4:5], v[86:87], v[20:21] op_sel:[0,0,1] op_sel_hi:[1,0,0]
	v_mov_b32_e32 v23, v5
	v_pk_add_f32 v[4:5], v[18:19], v[22:23]
	v_mov_b32_e32 v18, v85
	v_pk_mul_f32 v[18:19], v[6:7], v[18:19] op_sel_hi:[1,0]
	v_pk_fma_f32 v[20:21], v[6:7], v[84:85], v[18:19] op_sel:[0,0,1] op_sel_hi:[1,1,0] neg_lo:[0,0,1] neg_hi:[0,0,1]
	v_pk_fma_f32 v[6:7], v[6:7], v[84:85], v[18:19] op_sel:[0,0,1] op_sel_hi:[1,0,0]
	v_mov_b32_e32 v6, v83
	v_mov_b32_e32 v21, v7
	s_waitcnt lgkmcnt(2)
	v_pk_mul_f32 v[6:7], v[8:9], v[6:7] op_sel_hi:[1,0]
	v_pk_fma_f32 v[18:19], v[8:9], v[82:83], v[6:7] op_sel:[0,0,1] op_sel_hi:[1,1,0] neg_lo:[0,0,1] neg_hi:[0,0,1]
	v_pk_fma_f32 v[6:7], v[8:9], v[82:83], v[6:7] op_sel:[0,0,1] op_sel_hi:[1,0,0]
	s_waitcnt vmcnt(1)
	v_mov_b32_e32 v6, v97
	v_mov_b32_e32 v19, v7
	v_pk_mul_f32 v[6:7], v[10:11], v[6:7] op_sel_hi:[1,0]
	s_waitcnt vmcnt(0)
	v_pk_fma_f32 v[8:9], v[10:11], v[96:97], v[6:7] op_sel:[0,0,1] op_sel_hi:[1,1,0] neg_lo:[0,0,1] neg_hi:[0,0,1]
	v_pk_fma_f32 v[6:7], v[10:11], v[96:97], v[6:7] op_sel:[0,0,1] op_sel_hi:[1,0,0]
	v_pk_add_f32 v[4:5], v[4:5], v[20:21]
	v_mov_b32_e32 v6, v95
	v_pk_add_f32 v[4:5], v[4:5], v[18:19]
	v_mov_b32_e32 v9, v7
	s_waitcnt lgkmcnt(1)
	v_pk_mul_f32 v[6:7], v[12:13], v[6:7] op_sel_hi:[1,0]
	v_pk_add_f32 v[4:5], v[4:5], v[8:9]
	v_pk_fma_f32 v[8:9], v[12:13], v[94:95], v[6:7] op_sel:[0,0,1] op_sel_hi:[1,1,0] neg_lo:[0,0,1] neg_hi:[0,0,1]
	v_pk_fma_f32 v[6:7], v[12:13], v[94:95], v[6:7] op_sel:[0,0,1] op_sel_hi:[1,0,0]
	v_mov_b32_e32 v6, v93
	v_mov_b32_e32 v9, v7
	v_pk_mul_f32 v[6:7], v[14:15], v[6:7] op_sel_hi:[1,0]
	v_pk_add_f32 v[4:5], v[4:5], v[8:9]
	v_pk_fma_f32 v[8:9], v[14:15], v[92:93], v[6:7] op_sel:[0,0,1] op_sel_hi:[1,1,0] neg_lo:[0,0,1] neg_hi:[0,0,1]
	v_pk_fma_f32 v[6:7], v[14:15], v[92:93], v[6:7] op_sel:[0,0,1] op_sel_hi:[1,0,0]
	v_mov_b32_e32 v6, v91
	v_mov_b32_e32 v9, v7
	s_waitcnt lgkmcnt(0)
	v_pk_mul_f32 v[6:7], v[16:17], v[6:7] op_sel_hi:[1,0]
	v_pk_add_f32 v[4:5], v[4:5], v[8:9]
	v_pk_fma_f32 v[8:9], v[16:17], v[90:91], v[6:7] op_sel:[0,0,1] op_sel_hi:[1,1,0] neg_lo:[0,0,1] neg_hi:[0,0,1]
	v_pk_fma_f32 v[6:7], v[16:17], v[90:91], v[6:7] op_sel:[0,0,1] op_sel_hi:[1,0,0]
	v_mov_b32_e32 v9, v7
	v_pk_add_f32 v[4:5], v[4:5], v[8:9]
	v_pk_add_f32 v[2:3], v[2:3], v[4:5] neg_lo:[0,1] neg_hi:[0,1]
	buffer_store_dword v3, off, s[0:3], 0 offset:124
	buffer_store_dword v2, off, s[0:3], 0 offset:120
	s_and_saveexec_b64 s[4:5], vcc
	s_cbranch_execz .LBB122_339
; %bb.338:
	buffer_load_dword v2, off, s[0:3], 0 offset:112
	buffer_load_dword v3, off, s[0:3], 0 offset:116
	s_waitcnt vmcnt(0)
	ds_write_b64 v187, v[2:3]
	buffer_store_dword v1, off, s[0:3], 0 offset:112
	buffer_store_dword v1, off, s[0:3], 0 offset:116
.LBB122_339:
	s_or_b64 exec, exec, s[4:5]
	s_waitcnt lgkmcnt(0)
	; wave barrier
	s_waitcnt lgkmcnt(0)
	buffer_load_dword v76, off, s[0:3], 0 offset:124
	buffer_load_dword v78, off, s[0:3], 0 offset:132
	;; [unrolled: 1-line block ×26, first 2 shown]
	ds_read2_b64 v[22:25], v1 offset0:75 offset1:76
	ds_read2_b64 v[18:21], v1 offset0:77 offset1:78
	;; [unrolled: 1-line block ×6, first 2 shown]
	buffer_load_dword v121, off, s[0:3], 0 offset:216
	buffer_load_dword v122, off, s[0:3], 0 offset:220
	;; [unrolled: 1-line block ×42, first 2 shown]
	v_cmp_lt_u32_e32 vcc, 13, v0
	s_waitcnt vmcnt(62) lgkmcnt(5)
	v_mul_f32_e32 v28, v22, v76
	v_mul_f32_e32 v29, v24, v78
	s_waitcnt lgkmcnt(4)
	v_mul_f32_e32 v31, v20, v86
	s_waitcnt lgkmcnt(3)
	v_mul_f32_e32 v32, v14, v98
	v_mul_f32_e32 v33, v16, v99
	;; [unrolled: 1-line block ×3, first 2 shown]
	s_waitcnt vmcnt(61) lgkmcnt(2)
	v_mul_f32_e32 v34, v10, v101
	s_waitcnt vmcnt(60)
	v_mul_f32_e32 v35, v12, v104
	s_waitcnt vmcnt(59) lgkmcnt(1)
	v_mul_f32_e32 v36, v6, v105
	s_waitcnt vmcnt(58)
	v_fmac_f32_e32 v30, v19, v106
	s_waitcnt vmcnt(57)
	v_fmac_f32_e32 v29, v25, v107
	;; [unrolled: 2-line block ×3, first 2 shown]
	v_add_f32_e32 v28, 0, v28
	v_add_f32_e32 v28, v28, v29
	;; [unrolled: 1-line block ×3, first 2 shown]
	s_waitcnt vmcnt(52)
	v_fmac_f32_e32 v31, v21, v112
	v_fmac_f32_e32 v32, v15, v111
	v_add_f32_e32 v28, v28, v31
	v_fmac_f32_e32 v33, v17, v110
	v_add_f32_e32 v28, v28, v32
	v_fmac_f32_e32 v34, v11, v109
	v_add_f32_e32 v28, v28, v33
	s_waitcnt vmcnt(48)
	v_fmac_f32_e32 v35, v13, v116
	v_add_f32_e32 v28, v28, v34
	v_fmac_f32_e32 v36, v7, v115
	v_add_f32_e32 v28, v28, v35
	s_waitcnt vmcnt(47)
	v_mul_f32_e32 v29, v8, v117
	v_add_f32_e32 v28, v28, v36
	v_fmac_f32_e32 v29, v9, v114
	v_add_f32_e32 v28, v28, v29
	s_waitcnt vmcnt(46) lgkmcnt(0)
	v_mul_f32_e32 v29, v2, v118
	v_fmac_f32_e32 v29, v3, v113
	v_add_f32_e32 v32, v28, v29
	ds_read2_b64 v[28:31], v1 offset0:87 offset1:88
	s_waitcnt vmcnt(42)
	v_mul_f32_e32 v33, v4, v120
	v_fmac_f32_e32 v33, v5, v119
	buffer_load_dword v163, off, s[0:3], 0 offset:384
	buffer_load_dword v164, off, s[0:3], 0 offset:388
	v_add_f32_e32 v36, v32, v33
	buffer_load_dword v165, off, s[0:3], 0 offset:392
	buffer_load_dword v166, off, s[0:3], 0 offset:396
	ds_read2_b64 v[32:35], v1 offset0:89 offset1:90
	s_waitcnt vmcnt(44) lgkmcnt(1)
	v_mul_f32_e32 v37, v28, v122
	v_fmac_f32_e32 v37, v29, v121
	v_add_f32_e32 v36, v36, v37
	s_waitcnt vmcnt(42)
	v_mul_f32_e32 v37, v30, v124
	v_fmac_f32_e32 v37, v31, v123
	v_add_f32_e32 v36, v36, v37
	s_waitcnt vmcnt(40) lgkmcnt(0)
	v_mul_f32_e32 v37, v32, v126
	v_fmac_f32_e32 v37, v33, v125
	buffer_load_dword v167, off, s[0:3], 0 offset:400
	buffer_load_dword v168, off, s[0:3], 0 offset:404
	v_add_f32_e32 v40, v36, v37
	ds_read2_b64 v[36:39], v1 offset0:91 offset1:92
	s_waitcnt vmcnt(40)
	v_mul_f32_e32 v41, v34, v128
	v_fmac_f32_e32 v41, v35, v127
	v_add_f32_e32 v44, v40, v41
	ds_read2_b64 v[40:43], v1 offset0:93 offset1:94
	s_waitcnt vmcnt(38) lgkmcnt(1)
	v_mul_f32_e32 v45, v36, v130
	v_fmac_f32_e32 v45, v37, v129
	v_add_f32_e32 v44, v44, v45
	s_waitcnt vmcnt(36)
	v_mul_f32_e32 v45, v38, v132
	v_fmac_f32_e32 v45, v39, v131
	v_add_f32_e32 v44, v44, v45
	s_waitcnt vmcnt(34) lgkmcnt(0)
	v_mul_f32_e32 v45, v40, v134
	v_fmac_f32_e32 v45, v41, v133
	v_add_f32_e32 v48, v44, v45
	ds_read2_b64 v[44:47], v1 offset0:95 offset1:96
	s_waitcnt vmcnt(32)
	v_mul_f32_e32 v49, v42, v136
	v_fmac_f32_e32 v49, v43, v135
	v_add_f32_e32 v52, v48, v49
	ds_read2_b64 v[48:51], v1 offset0:97 offset1:98
	s_waitcnt vmcnt(30) lgkmcnt(1)
	v_mul_f32_e32 v53, v44, v138
	v_fmac_f32_e32 v53, v45, v137
	v_add_f32_e32 v52, v52, v53
	s_waitcnt vmcnt(28)
	v_mul_f32_e32 v53, v46, v140
	v_fmac_f32_e32 v53, v47, v139
	v_add_f32_e32 v52, v52, v53
	s_waitcnt vmcnt(26) lgkmcnt(0)
	v_mul_f32_e32 v53, v48, v142
	v_fmac_f32_e32 v53, v49, v141
	v_add_f32_e32 v56, v52, v53
	ds_read2_b64 v[52:55], v1 offset0:99 offset1:100
	s_waitcnt vmcnt(24)
	v_mul_f32_e32 v57, v50, v144
	v_fmac_f32_e32 v57, v51, v143
	v_add_f32_e32 v60, v56, v57
	ds_read2_b64 v[56:59], v1 offset0:101 offset1:102
	s_waitcnt vmcnt(22) lgkmcnt(1)
	v_mul_f32_e32 v61, v52, v146
	v_fmac_f32_e32 v61, v53, v145
	v_add_f32_e32 v60, v60, v61
	s_waitcnt vmcnt(20)
	v_mul_f32_e32 v61, v54, v148
	v_fmac_f32_e32 v61, v55, v147
	v_add_f32_e32 v60, v60, v61
	s_waitcnt vmcnt(18) lgkmcnt(0)
	v_mul_f32_e32 v61, v56, v150
	v_fmac_f32_e32 v61, v57, v149
	v_add_f32_e32 v64, v60, v61
	ds_read2_b64 v[60:63], v1 offset0:103 offset1:104
	s_waitcnt vmcnt(16)
	v_mul_f32_e32 v65, v58, v152
	v_fmac_f32_e32 v65, v59, v151
	v_add_f32_e32 v68, v64, v65
	ds_read2_b64 v[64:67], v1 offset0:105 offset1:106
	s_waitcnt vmcnt(14) lgkmcnt(1)
	v_mul_f32_e32 v69, v60, v154
	v_fmac_f32_e32 v69, v61, v153
	v_add_f32_e32 v68, v68, v69
	s_waitcnt vmcnt(12)
	v_mul_f32_e32 v69, v62, v156
	v_fmac_f32_e32 v69, v63, v155
	v_add_f32_e32 v68, v68, v69
	s_waitcnt vmcnt(10) lgkmcnt(0)
	v_mul_f32_e32 v69, v64, v158
	v_fmac_f32_e32 v69, v65, v157
	s_waitcnt vmcnt(8)
	v_mul_f32_e32 v73, v66, v160
	v_add_f32_e32 v72, v68, v69
	v_fmac_f32_e32 v73, v67, v159
	ds_read2_b64 v[68:71], v1 offset0:107 offset1:108
	v_add_f32_e32 v77, v72, v73
	ds_read2_b64 v[72:75], v1 offset0:109 offset1:110
	buffer_load_dword v81, off, s[0:3], 0 offset:428
	buffer_load_dword v80, off, s[0:3], 0 offset:424
	;; [unrolled: 1-line block ×16, first 2 shown]
	v_mul_f32_e32 v23, v23, v76
	v_fma_f32 v22, v22, v108, -v23
	v_mul_f32_e32 v23, v25, v78
	v_add_f32_e32 v22, 0, v22
	v_fma_f32 v23, v24, v107, -v23
	v_mul_f32_e32 v19, v19, v100
	v_add_f32_e32 v22, v22, v23
	;; [unrolled: 3-line block ×11, first 2 shown]
	v_fma_f32 v3, v4, v119, -v3
	v_add_f32_e32 v2, v2, v3
	v_mul_f32_e32 v3, v29, v122
	v_fma_f32 v3, v28, v121, -v3
	v_add_f32_e32 v2, v2, v3
	v_mul_f32_e32 v3, v31, v124
	;; [unrolled: 3-line block ×20, first 2 shown]
	v_fma_f32 v3, v66, v159, -v3
	v_add_f32_e32 v2, v2, v3
	s_waitcnt vmcnt(22) lgkmcnt(1)
	v_mul_f32_e32 v3, v69, v162
	v_fma_f32 v3, v68, v161, -v3
	v_add_f32_e32 v2, v2, v3
	s_waitcnt vmcnt(20)
	v_mul_f32_e32 v3, v71, v164
	v_mul_f32_e32 v79, v68, v162
	v_fma_f32 v3, v70, v163, -v3
	v_fmac_f32_e32 v79, v69, v161
	v_add_f32_e32 v76, v2, v3
	s_waitcnt vmcnt(18) lgkmcnt(0)
	v_mul_f32_e32 v2, v73, v166
	v_add_f32_e32 v77, v77, v79
	v_mul_f32_e32 v79, v70, v164
	v_fma_f32 v78, v72, v165, -v2
	s_waitcnt vmcnt(16)
	v_mul_f32_e32 v2, v75, v168
	v_fmac_f32_e32 v79, v71, v163
	v_fma_f32 v86, v74, v167, -v2
	ds_read2_b64 v[2:5], v1 offset0:111 offset1:112
	ds_read2_b64 v[6:9], v1 offset0:113 offset1:114
	ds_read2_b64 v[10:13], v1 offset0:115 offset1:116
	ds_read2_b64 v[14:17], v1 offset0:117 offset1:118
	v_add_f32_e32 v77, v77, v79
	v_mul_f32_e32 v79, v72, v166
	s_waitcnt vmcnt(11)
	v_mov_b32_e32 v20, v85
	v_fmac_f32_e32 v79, v73, v165
	v_mul_f32_e32 v87, v74, v168
	s_waitcnt lgkmcnt(3)
	v_pk_mul_f32 v[20:21], v[2:3], v[20:21] op_sel_hi:[1,0]
	v_fmac_f32_e32 v87, v75, v167
	v_pk_add_f32 v[18:19], v[76:77], v[78:79]
	s_waitcnt vmcnt(10)
	v_pk_fma_f32 v[22:23], v[2:3], v[84:85], v[20:21] op_sel:[0,0,1] op_sel_hi:[1,1,0] neg_lo:[0,0,1] neg_hi:[0,0,1]
	v_pk_fma_f32 v[2:3], v[2:3], v[84:85], v[20:21] op_sel:[0,0,1] op_sel_hi:[1,0,0]
	v_pk_add_f32 v[18:19], v[18:19], v[86:87]
	v_mov_b32_e32 v23, v3
	v_pk_add_f32 v[2:3], v[18:19], v[22:23]
	v_mov_b32_e32 v18, v83
	v_pk_mul_f32 v[18:19], v[4:5], v[18:19] op_sel_hi:[1,0]
	v_pk_fma_f32 v[20:21], v[4:5], v[82:83], v[18:19] op_sel:[0,0,1] op_sel_hi:[1,1,0] neg_lo:[0,0,1] neg_hi:[0,0,1]
	v_pk_fma_f32 v[4:5], v[4:5], v[82:83], v[18:19] op_sel:[0,0,1] op_sel_hi:[1,0,0]
	v_mov_b32_e32 v4, v81
	v_mov_b32_e32 v21, v5
	s_waitcnt lgkmcnt(2)
	v_pk_mul_f32 v[4:5], v[6:7], v[4:5] op_sel_hi:[1,0]
	v_pk_fma_f32 v[18:19], v[6:7], v[80:81], v[4:5] op_sel:[0,0,1] op_sel_hi:[1,1,0] neg_lo:[0,0,1] neg_hi:[0,0,1]
	v_pk_fma_f32 v[4:5], v[6:7], v[80:81], v[4:5] op_sel:[0,0,1] op_sel_hi:[1,0,0]
	s_waitcnt vmcnt(3)
	v_mov_b32_e32 v4, v95
	v_mov_b32_e32 v19, v5
	v_pk_mul_f32 v[4:5], v[8:9], v[4:5] op_sel_hi:[1,0]
	s_waitcnt vmcnt(2)
	v_pk_fma_f32 v[6:7], v[8:9], v[94:95], v[4:5] op_sel:[0,0,1] op_sel_hi:[1,1,0] neg_lo:[0,0,1] neg_hi:[0,0,1]
	v_pk_fma_f32 v[4:5], v[8:9], v[94:95], v[4:5] op_sel:[0,0,1] op_sel_hi:[1,0,0]
	v_pk_add_f32 v[2:3], v[2:3], v[20:21]
	v_mov_b32_e32 v4, v93
	v_pk_add_f32 v[2:3], v[2:3], v[18:19]
	v_mov_b32_e32 v7, v5
	s_waitcnt lgkmcnt(1)
	v_pk_mul_f32 v[4:5], v[10:11], v[4:5] op_sel_hi:[1,0]
	v_pk_add_f32 v[2:3], v[2:3], v[6:7]
	v_pk_fma_f32 v[6:7], v[10:11], v[92:93], v[4:5] op_sel:[0,0,1] op_sel_hi:[1,1,0] neg_lo:[0,0,1] neg_hi:[0,0,1]
	v_pk_fma_f32 v[4:5], v[10:11], v[92:93], v[4:5] op_sel:[0,0,1] op_sel_hi:[1,0,0]
	v_mov_b32_e32 v4, v91
	v_mov_b32_e32 v7, v5
	v_pk_mul_f32 v[4:5], v[12:13], v[4:5] op_sel_hi:[1,0]
	v_pk_add_f32 v[2:3], v[2:3], v[6:7]
	v_pk_fma_f32 v[6:7], v[12:13], v[90:91], v[4:5] op_sel:[0,0,1] op_sel_hi:[1,1,0] neg_lo:[0,0,1] neg_hi:[0,0,1]
	v_pk_fma_f32 v[4:5], v[12:13], v[90:91], v[4:5] op_sel:[0,0,1] op_sel_hi:[1,0,0]
	v_mov_b32_e32 v4, v89
	v_mov_b32_e32 v7, v5
	s_waitcnt lgkmcnt(0)
	v_pk_mul_f32 v[4:5], v[14:15], v[4:5] op_sel_hi:[1,0]
	v_pk_add_f32 v[2:3], v[2:3], v[6:7]
	v_pk_fma_f32 v[6:7], v[14:15], v[88:89], v[4:5] op_sel:[0,0,1] op_sel_hi:[1,1,0] neg_lo:[0,0,1] neg_hi:[0,0,1]
	v_pk_fma_f32 v[4:5], v[14:15], v[88:89], v[4:5] op_sel:[0,0,1] op_sel_hi:[1,0,0]
	s_waitcnt vmcnt(1)
	v_mov_b32_e32 v4, v97
	v_mov_b32_e32 v7, v5
	v_pk_mul_f32 v[4:5], v[16:17], v[4:5] op_sel_hi:[1,0]
	v_pk_add_f32 v[2:3], v[2:3], v[6:7]
	s_waitcnt vmcnt(0)
	v_pk_fma_f32 v[6:7], v[16:17], v[96:97], v[4:5] op_sel:[0,0,1] op_sel_hi:[1,1,0] neg_lo:[0,0,1] neg_hi:[0,0,1]
	v_pk_fma_f32 v[4:5], v[16:17], v[96:97], v[4:5] op_sel:[0,0,1] op_sel_hi:[1,0,0]
	v_mov_b32_e32 v7, v5
	v_pk_add_f32 v[2:3], v[2:3], v[6:7]
	v_pk_add_f32 v[2:3], v[26:27], v[2:3] neg_lo:[0,1] neg_hi:[0,1]
	buffer_store_dword v3, off, s[0:3], 0 offset:116
	buffer_store_dword v2, off, s[0:3], 0 offset:112
	s_and_saveexec_b64 s[4:5], vcc
	s_cbranch_execz .LBB122_341
; %bb.340:
	buffer_load_dword v2, off, s[0:3], 0 offset:104
	buffer_load_dword v3, off, s[0:3], 0 offset:108
	v_mov_b32_e32 v1, 0
	buffer_store_dword v1, off, s[0:3], 0 offset:104
	buffer_store_dword v1, off, s[0:3], 0 offset:108
	s_waitcnt vmcnt(2)
	ds_write_b64 v187, v[2:3]
.LBB122_341:
	s_or_b64 exec, exec, s[4:5]
	v_mov_b32_e32 v220, 0
	s_waitcnt lgkmcnt(0)
	; wave barrier
	s_waitcnt lgkmcnt(0)
	ds_read_b128 v[14:17], v220 offset:592
	ds_read_b128 v[10:13], v220 offset:608
	;; [unrolled: 1-line block ×4, first 2 shown]
	buffer_load_dword v78, off, s[0:3], 0 offset:104
	buffer_load_dword v79, off, s[0:3], 0 offset:108
	buffer_load_dword v1, off, s[0:3], 0 offset:112
	buffer_load_dword v86, off, s[0:3], 0 offset:116
	buffer_load_dword v80, off, s[0:3], 0 offset:120
	buffer_load_dword v105, off, s[0:3], 0 offset:124
	buffer_load_dword v82, off, s[0:3], 0 offset:128
	buffer_load_dword v107, off, s[0:3], 0 offset:132
	buffer_load_dword v104, off, s[0:3], 0 offset:136
	buffer_load_dword v109, off, s[0:3], 0 offset:140
	buffer_load_dword v106, off, s[0:3], 0 offset:144
	buffer_load_dword v111, off, s[0:3], 0 offset:148
	buffer_load_dword v108, off, s[0:3], 0 offset:152
	buffer_load_dword v112, off, s[0:3], 0 offset:156
	buffer_load_dword v110, off, s[0:3], 0 offset:160
	buffer_load_dword v113, off, s[0:3], 0 offset:164
	buffer_load_dword v114, off, s[0:3], 0 offset:168
	buffer_load_dword v115, off, s[0:3], 0 offset:172
	v_cmp_lt_u32_e32 vcc, 12, v0
	s_waitcnt vmcnt(14) lgkmcnt(3)
	v_mul_f32_e32 v18, v14, v86
	v_fmac_f32_e32 v18, v15, v1
	s_waitcnt vmcnt(12)
	v_mul_f32_e32 v19, v16, v105
	v_add_f32_e32 v18, 0, v18
	v_fmac_f32_e32 v19, v17, v80
	v_add_f32_e32 v18, v18, v19
	s_waitcnt vmcnt(10) lgkmcnt(2)
	v_mul_f32_e32 v19, v10, v107
	v_fmac_f32_e32 v19, v11, v82
	v_add_f32_e32 v18, v18, v19
	s_waitcnt vmcnt(8)
	v_mul_f32_e32 v19, v12, v109
	v_fmac_f32_e32 v19, v13, v104
	v_add_f32_e32 v18, v18, v19
	s_waitcnt vmcnt(6) lgkmcnt(1)
	v_mul_f32_e32 v19, v6, v111
	v_fmac_f32_e32 v19, v7, v106
	v_add_f32_e32 v18, v18, v19
	s_waitcnt vmcnt(4)
	v_mul_f32_e32 v19, v8, v112
	;; [unrolled: 8-line block ×3, first 2 shown]
	v_fmac_f32_e32 v19, v5, v114
	v_add_f32_e32 v22, v18, v19
	ds_read_b128 v[18:21], v220 offset:656
	buffer_load_dword v116, off, s[0:3], 0 offset:176
	buffer_load_dword v117, off, s[0:3], 0 offset:180
	;; [unrolled: 1-line block ×4, first 2 shown]
	v_mul_f32_e32 v15, v15, v86
	v_fma_f32 v1, v14, v1, -v15
	v_mul_f32_e32 v14, v17, v105
	v_add_f32_e32 v1, 0, v1
	v_fma_f32 v14, v16, v80, -v14
	v_mul_f32_e32 v11, v11, v107
	v_add_f32_e32 v1, v1, v14
	v_fma_f32 v10, v10, v82, -v11
	v_add_f32_e32 v1, v1, v10
	v_mul_f32_e32 v10, v13, v109
	v_fma_f32 v10, v12, v104, -v10
	v_mul_f32_e32 v7, v7, v111
	v_add_f32_e32 v1, v1, v10
	v_fma_f32 v6, v6, v106, -v7
	v_add_f32_e32 v1, v1, v6
	v_mul_f32_e32 v6, v9, v112
	;; [unrolled: 6-line block ×3, first 2 shown]
	v_fma_f32 v2, v4, v114, -v2
	v_add_f32_e32 v1, v1, v2
	s_waitcnt vmcnt(2) lgkmcnt(0)
	v_mul_f32_e32 v23, v18, v117
	v_fmac_f32_e32 v23, v19, v116
	v_add_f32_e32 v22, v22, v23
	s_waitcnt vmcnt(0)
	v_mul_f32_e32 v23, v20, v119
	v_fmac_f32_e32 v23, v21, v118
	v_add_f32_e32 v26, v22, v23
	ds_read_b128 v[22:25], v220 offset:672
	buffer_load_dword v120, off, s[0:3], 0 offset:192
	buffer_load_dword v121, off, s[0:3], 0 offset:196
	buffer_load_dword v122, off, s[0:3], 0 offset:200
	buffer_load_dword v123, off, s[0:3], 0 offset:204
	ds_read_b128 v[30:33], v220 offset:688
	buffer_load_dword v124, off, s[0:3], 0 offset:208
	buffer_load_dword v125, off, s[0:3], 0 offset:212
	buffer_load_dword v126, off, s[0:3], 0 offset:216
	buffer_load_dword v127, off, s[0:3], 0 offset:220
	;; [unrolled: 5-line block ×13, first 2 shown]
	v_mul_f32_e32 v2, v19, v117
	v_fma_f32 v2, v18, v116, -v2
	v_add_f32_e32 v1, v1, v2
	v_mul_f32_e32 v2, v21, v119
	v_fma_f32 v2, v20, v118, -v2
	v_add_f32_e32 v1, v1, v2
	s_waitcnt vmcnt(50) lgkmcnt(12)
	v_mul_f32_e32 v27, v22, v121
	v_fmac_f32_e32 v27, v23, v120
	v_add_f32_e32 v26, v26, v27
	s_waitcnt vmcnt(48)
	v_mul_f32_e32 v27, v24, v123
	v_fmac_f32_e32 v27, v25, v122
	v_add_f32_e32 v26, v26, v27
	s_waitcnt vmcnt(46) lgkmcnt(11)
	v_mul_f32_e32 v27, v30, v125
	v_fmac_f32_e32 v27, v31, v124
	v_add_f32_e32 v26, v26, v27
	s_waitcnt vmcnt(44)
	v_mul_f32_e32 v27, v32, v127
	v_fmac_f32_e32 v27, v33, v126
	;; [unrolled: 8-line block ×12, first 2 shown]
	v_add_f32_e32 v26, v26, v27
	s_waitcnt vmcnt(2) lgkmcnt(0)
	v_mul_f32_e32 v27, v74, v169
	v_fmac_f32_e32 v27, v75, v168
	v_add_f32_e32 v81, v26, v27
	ds_read_b128 v[26:29], v220 offset:880
	buffer_load_dword v172, off, s[0:3], 0 offset:400
	buffer_load_dword v173, off, s[0:3], 0 offset:404
	buffer_load_dword v85, off, s[0:3], 0 offset:412
	buffer_load_dword v84, off, s[0:3], 0 offset:408
	buffer_load_dword v101, off, s[0:3], 0 offset:420
	buffer_load_dword v100, off, s[0:3], 0 offset:416
	buffer_load_dword v99, off, s[0:3], 0 offset:428
	buffer_load_dword v98, off, s[0:3], 0 offset:424
	buffer_load_dword v97, off, s[0:3], 0 offset:436
	buffer_load_dword v96, off, s[0:3], 0 offset:432
	buffer_load_dword v95, off, s[0:3], 0 offset:444
	buffer_load_dword v94, off, s[0:3], 0 offset:440
	buffer_load_dword v93, off, s[0:3], 0 offset:452
	buffer_load_dword v92, off, s[0:3], 0 offset:448
	buffer_load_dword v91, off, s[0:3], 0 offset:460
	buffer_load_dword v90, off, s[0:3], 0 offset:456
	buffer_load_dword v89, off, s[0:3], 0 offset:468
	buffer_load_dword v88, off, s[0:3], 0 offset:464
	v_mul_f32_e32 v2, v23, v121
	v_fma_f32 v2, v22, v120, -v2
	v_add_f32_e32 v1, v1, v2
	v_mul_f32_e32 v2, v25, v123
	v_fma_f32 v2, v24, v122, -v2
	v_add_f32_e32 v1, v1, v2
	;; [unrolled: 3-line block ×24, first 2 shown]
	v_mul_f32_e32 v2, v75, v169
	v_fma_f32 v2, v74, v168, -v2
	s_waitcnt vmcnt(15)
	v_mov_b32_e32 v18, v85
	v_mul_f32_e32 v83, v76, v171
	v_add_f32_e32 v80, v1, v2
	v_mul_f32_e32 v1, v77, v171
	s_waitcnt lgkmcnt(0)
	v_pk_mul_f32 v[18:19], v[28:29], v[18:19] op_sel_hi:[1,0]
	v_fmac_f32_e32 v83, v77, v170
	v_mul_f32_e32 v87, v26, v173
	v_fma_f32 v82, v76, v170, -v1
	v_mul_f32_e32 v1, v27, v173
	ds_read_b128 v[2:5], v220 offset:896
	ds_read_b128 v[6:9], v220 offset:912
	;; [unrolled: 1-line block ×3, first 2 shown]
	ds_read_b64 v[14:15], v220 offset:944
	s_waitcnt vmcnt(14)
	v_pk_fma_f32 v[20:21], v[28:29], v[84:85], v[18:19] op_sel:[0,0,1] op_sel_hi:[1,1,0] neg_lo:[0,0,1] neg_hi:[0,0,1]
	v_pk_fma_f32 v[18:19], v[28:29], v[84:85], v[18:19] op_sel:[0,0,1] op_sel_hi:[1,0,0]
	v_fmac_f32_e32 v87, v27, v172
	v_fma_f32 v86, v26, v172, -v1
	v_pk_add_f32 v[16:17], v[80:81], v[82:83]
	s_waitcnt vmcnt(13)
	v_mov_b32_e32 v18, v101
	v_pk_add_f32 v[16:17], v[16:17], v[86:87]
	v_mov_b32_e32 v21, v19
	s_waitcnt lgkmcnt(3)
	v_pk_mul_f32 v[18:19], v[2:3], v[18:19] op_sel_hi:[1,0]
	v_pk_add_f32 v[16:17], v[16:17], v[20:21]
	s_waitcnt vmcnt(12)
	v_pk_fma_f32 v[20:21], v[2:3], v[100:101], v[18:19] op_sel:[0,0,1] op_sel_hi:[1,1,0] neg_lo:[0,0,1] neg_hi:[0,0,1]
	v_pk_fma_f32 v[2:3], v[2:3], v[100:101], v[18:19] op_sel:[0,0,1] op_sel_hi:[1,0,0]
	v_mov_b32_e32 v21, v3
	v_pk_add_f32 v[2:3], v[16:17], v[20:21]
	s_waitcnt vmcnt(11)
	v_mov_b32_e32 v16, v99
	v_pk_mul_f32 v[16:17], v[4:5], v[16:17] op_sel_hi:[1,0]
	s_waitcnt vmcnt(10)
	v_pk_fma_f32 v[18:19], v[4:5], v[98:99], v[16:17] op_sel:[0,0,1] op_sel_hi:[1,1,0] neg_lo:[0,0,1] neg_hi:[0,0,1]
	v_pk_fma_f32 v[4:5], v[4:5], v[98:99], v[16:17] op_sel:[0,0,1] op_sel_hi:[1,0,0]
	s_waitcnt vmcnt(9)
	v_mov_b32_e32 v4, v97
	v_mov_b32_e32 v19, v5
	s_waitcnt lgkmcnt(2)
	v_pk_mul_f32 v[4:5], v[6:7], v[4:5] op_sel_hi:[1,0]
	s_waitcnt vmcnt(8)
	v_pk_fma_f32 v[16:17], v[6:7], v[96:97], v[4:5] op_sel:[0,0,1] op_sel_hi:[1,1,0] neg_lo:[0,0,1] neg_hi:[0,0,1]
	v_pk_fma_f32 v[4:5], v[6:7], v[96:97], v[4:5] op_sel:[0,0,1] op_sel_hi:[1,0,0]
	s_waitcnt vmcnt(7)
	v_mov_b32_e32 v4, v95
	v_mov_b32_e32 v17, v5
	v_pk_mul_f32 v[4:5], v[8:9], v[4:5] op_sel_hi:[1,0]
	s_waitcnt vmcnt(6)
	v_pk_fma_f32 v[6:7], v[8:9], v[94:95], v[4:5] op_sel:[0,0,1] op_sel_hi:[1,1,0] neg_lo:[0,0,1] neg_hi:[0,0,1]
	v_pk_fma_f32 v[4:5], v[8:9], v[94:95], v[4:5] op_sel:[0,0,1] op_sel_hi:[1,0,0]
	v_pk_add_f32 v[2:3], v[2:3], v[18:19]
	s_waitcnt vmcnt(5)
	v_mov_b32_e32 v4, v93
	v_pk_add_f32 v[2:3], v[2:3], v[16:17]
	v_mov_b32_e32 v7, v5
	s_waitcnt lgkmcnt(1)
	v_pk_mul_f32 v[4:5], v[10:11], v[4:5] op_sel_hi:[1,0]
	v_pk_add_f32 v[2:3], v[2:3], v[6:7]
	s_waitcnt vmcnt(4)
	v_pk_fma_f32 v[6:7], v[10:11], v[92:93], v[4:5] op_sel:[0,0,1] op_sel_hi:[1,1,0] neg_lo:[0,0,1] neg_hi:[0,0,1]
	v_pk_fma_f32 v[4:5], v[10:11], v[92:93], v[4:5] op_sel:[0,0,1] op_sel_hi:[1,0,0]
	s_waitcnt vmcnt(3)
	v_mov_b32_e32 v4, v91
	v_mov_b32_e32 v7, v5
	v_pk_mul_f32 v[4:5], v[12:13], v[4:5] op_sel_hi:[1,0]
	v_pk_add_f32 v[2:3], v[2:3], v[6:7]
	s_waitcnt vmcnt(2)
	v_pk_fma_f32 v[6:7], v[12:13], v[90:91], v[4:5] op_sel:[0,0,1] op_sel_hi:[1,1,0] neg_lo:[0,0,1] neg_hi:[0,0,1]
	v_pk_fma_f32 v[4:5], v[12:13], v[90:91], v[4:5] op_sel:[0,0,1] op_sel_hi:[1,0,0]
	s_waitcnt vmcnt(1)
	v_mov_b32_e32 v4, v89
	v_mov_b32_e32 v7, v5
	s_waitcnt lgkmcnt(0)
	v_pk_mul_f32 v[4:5], v[14:15], v[4:5] op_sel_hi:[1,0]
	v_pk_add_f32 v[2:3], v[2:3], v[6:7]
	s_waitcnt vmcnt(0)
	v_pk_fma_f32 v[6:7], v[14:15], v[88:89], v[4:5] op_sel:[0,0,1] op_sel_hi:[1,1,0] neg_lo:[0,0,1] neg_hi:[0,0,1]
	v_pk_fma_f32 v[4:5], v[14:15], v[88:89], v[4:5] op_sel:[0,0,1] op_sel_hi:[1,0,0]
	v_mov_b32_e32 v7, v5
	v_pk_add_f32 v[2:3], v[2:3], v[6:7]
	v_pk_add_f32 v[2:3], v[78:79], v[2:3] neg_lo:[0,1] neg_hi:[0,1]
	buffer_store_dword v3, off, s[0:3], 0 offset:108
	buffer_store_dword v2, off, s[0:3], 0 offset:104
	s_and_saveexec_b64 s[4:5], vcc
	s_cbranch_execz .LBB122_343
; %bb.342:
	buffer_load_dword v2, off, s[0:3], 0 offset:96
	buffer_load_dword v3, off, s[0:3], 0 offset:100
	s_waitcnt vmcnt(0)
	ds_write_b64 v187, v[2:3]
	buffer_store_dword v220, off, s[0:3], 0 offset:96
	buffer_store_dword v220, off, s[0:3], 0 offset:100
.LBB122_343:
	s_or_b64 exec, exec, s[4:5]
	s_waitcnt lgkmcnt(0)
	; wave barrier
	s_waitcnt lgkmcnt(0)
	buffer_load_dword v90, off, s[0:3], 0 offset:108
	buffer_load_dword v92, off, s[0:3], 0 offset:116
	;; [unrolled: 1-line block ×32, first 2 shown]
	ds_read2_b64 v[22:25], v220 offset0:73 offset1:74
	ds_read2_b64 v[18:21], v220 offset0:75 offset1:76
	;; [unrolled: 1-line block ×6, first 2 shown]
	buffer_load_dword v134, off, s[0:3], 0 offset:224
	buffer_load_dword v135, off, s[0:3], 0 offset:228
	;; [unrolled: 1-line block ×32, first 2 shown]
	v_cmp_lt_u32_e32 vcc, 11, v0
	s_waitcnt vmcnt(62) lgkmcnt(5)
	v_mul_f32_e32 v31, v22, v90
	v_mul_f32_e32 v32, v24, v92
	s_waitcnt vmcnt(61) lgkmcnt(4)
	v_mul_f32_e32 v34, v20, v30
	s_waitcnt vmcnt(60) lgkmcnt(3)
	v_mul_f32_e32 v35, v14, v29
	s_waitcnt vmcnt(59)
	v_mul_f32_e32 v36, v16, v1
	s_waitcnt vmcnt(58)
	v_mul_f32_e32 v33, v18, v110
	s_waitcnt vmcnt(57) lgkmcnt(2)
	v_mul_f32_e32 v37, v10, v28
	s_waitcnt vmcnt(56)
	v_mul_f32_e32 v38, v12, v111
	s_waitcnt vmcnt(55) lgkmcnt(1)
	v_mul_f32_e32 v39, v6, v112
	s_waitcnt vmcnt(54)
	v_mul_f32_e32 v40, v8, v113
	s_waitcnt vmcnt(53)
	v_fmac_f32_e32 v33, v19, v114
	s_waitcnt vmcnt(52)
	v_fmac_f32_e32 v32, v25, v115
	;; [unrolled: 2-line block ×3, first 2 shown]
	v_add_f32_e32 v31, 0, v31
	v_add_f32_e32 v31, v31, v32
	;; [unrolled: 1-line block ×3, first 2 shown]
	s_waitcnt vmcnt(47)
	v_fmac_f32_e32 v34, v21, v120
	v_fmac_f32_e32 v35, v15, v119
	v_add_f32_e32 v31, v31, v34
	v_fmac_f32_e32 v36, v17, v118
	v_add_f32_e32 v31, v31, v35
	;; [unrolled: 2-line block ×3, first 2 shown]
	s_waitcnt vmcnt(43)
	v_fmac_f32_e32 v38, v13, v124
	v_add_f32_e32 v31, v31, v37
	v_fmac_f32_e32 v39, v7, v123
	v_add_f32_e32 v31, v31, v38
	;; [unrolled: 2-line block ×3, first 2 shown]
	s_waitcnt vmcnt(42) lgkmcnt(0)
	v_mul_f32_e32 v32, v2, v125
	v_add_f32_e32 v31, v31, v40
	v_fmac_f32_e32 v32, v3, v121
	v_add_f32_e32 v31, v31, v32
	ds_read2_b64 v[32:35], v220 offset0:85 offset1:86
	buffer_load_dword v166, off, s[0:3], 0 offset:352
	buffer_load_dword v167, off, s[0:3], 0 offset:356
	s_waitcnt vmcnt(43)
	v_mul_f32_e32 v36, v4, v126
	s_waitcnt vmcnt(36)
	v_fmac_f32_e32 v36, v5, v133
	v_add_f32_e32 v31, v31, v36
	ds_read2_b64 v[36:39], v220 offset0:87 offset1:88
	buffer_load_dword v168, off, s[0:3], 0 offset:360
	buffer_load_dword v169, off, s[0:3], 0 offset:364
	;; [unrolled: 1-line block ×8, first 2 shown]
	s_waitcnt lgkmcnt(1)
	v_mul_f32_e32 v40, v32, v128
	v_fmac_f32_e32 v40, v33, v127
	v_add_f32_e32 v31, v31, v40
	v_mul_f32_e32 v40, v34, v130
	v_fmac_f32_e32 v40, v35, v129
	v_add_f32_e32 v31, v31, v40
	s_waitcnt lgkmcnt(0)
	v_mul_f32_e32 v40, v36, v132
	v_fmac_f32_e32 v40, v37, v131
	v_add_f32_e32 v31, v31, v40
	buffer_load_dword v221, off, s[0:3], 0 offset:392
	buffer_load_dword v222, off, s[0:3], 0 offset:396
	;; [unrolled: 1-line block ×4, first 2 shown]
	ds_read2_b64 v[40:43], v220 offset0:89 offset1:90
	s_waitcnt vmcnt(44)
	v_mul_f32_e32 v44, v38, v135
	v_fmac_f32_e32 v44, v39, v134
	v_add_f32_e32 v31, v31, v44
	ds_read2_b64 v[44:47], v220 offset0:91 offset1:92
	s_waitcnt vmcnt(42) lgkmcnt(1)
	v_mul_f32_e32 v48, v40, v137
	v_fmac_f32_e32 v48, v41, v136
	v_add_f32_e32 v31, v31, v48
	s_waitcnt vmcnt(40)
	v_mul_f32_e32 v48, v42, v139
	v_fmac_f32_e32 v48, v43, v138
	v_add_f32_e32 v31, v31, v48
	s_waitcnt vmcnt(38) lgkmcnt(0)
	v_mul_f32_e32 v48, v44, v141
	v_fmac_f32_e32 v48, v45, v140
	v_add_f32_e32 v31, v31, v48
	ds_read2_b64 v[48:51], v220 offset0:93 offset1:94
	s_waitcnt vmcnt(36)
	v_mul_f32_e32 v52, v46, v143
	v_fmac_f32_e32 v52, v47, v142
	v_add_f32_e32 v31, v31, v52
	ds_read2_b64 v[52:55], v220 offset0:95 offset1:96
	s_waitcnt vmcnt(34) lgkmcnt(1)
	v_mul_f32_e32 v56, v48, v145
	v_fmac_f32_e32 v56, v49, v144
	v_add_f32_e32 v31, v31, v56
	s_waitcnt vmcnt(32)
	v_mul_f32_e32 v56, v50, v147
	v_fmac_f32_e32 v56, v51, v146
	v_add_f32_e32 v31, v31, v56
	s_waitcnt vmcnt(30) lgkmcnt(0)
	v_mul_f32_e32 v56, v52, v149
	v_fmac_f32_e32 v56, v53, v148
	v_add_f32_e32 v31, v31, v56
	;; [unrolled: 18-line block ×4, first 2 shown]
	ds_read2_b64 v[72:75], v220 offset0:105 offset1:106
	v_mul_f32_e32 v23, v23, v90
	v_fma_f32 v22, v22, v116, -v23
	v_mul_f32_e32 v23, v25, v92
	v_add_f32_e32 v22, 0, v22
	s_waitcnt vmcnt(12)
	v_mul_f32_e32 v76, v70, v167
	v_fmac_f32_e32 v76, v71, v166
	v_add_f32_e32 v31, v31, v76
	ds_read2_b64 v[76:79], v220 offset0:107 offset1:108
	buffer_load_dword v89, off, s[0:3], 0 offset:412
	buffer_load_dword v88, off, s[0:3], 0 offset:408
	s_waitcnt vmcnt(12) lgkmcnt(1)
	v_mul_f32_e32 v80, v72, v169
	v_fmac_f32_e32 v80, v73, v168
	v_add_f32_e32 v31, v31, v80
	s_waitcnt vmcnt(10)
	v_mul_f32_e32 v80, v74, v171
	v_fmac_f32_e32 v80, v75, v170
	v_add_f32_e32 v31, v31, v80
	s_waitcnt vmcnt(8) lgkmcnt(0)
	v_mul_f32_e32 v80, v76, v173
	v_fmac_f32_e32 v80, v77, v172
	s_waitcnt vmcnt(6)
	v_mul_f32_e32 v84, v78, v175
	v_add_f32_e32 v31, v31, v80
	v_fmac_f32_e32 v84, v79, v174
	ds_read2_b64 v[80:83], v220 offset0:109 offset1:110
	v_add_f32_e32 v31, v31, v84
	ds_read2_b64 v[84:87], v220 offset0:111 offset1:112
	buffer_load_dword v95, off, s[0:3], 0 offset:444
	buffer_load_dword v94, off, s[0:3], 0 offset:440
	;; [unrolled: 1-line block ×14, first 2 shown]
	v_fma_f32 v23, v24, v115, -v23
	v_mul_f32_e32 v19, v19, v110
	v_add_f32_e32 v22, v22, v23
	v_fma_f32 v18, v18, v114, -v19
	v_mul_f32_e32 v19, v21, v30
	v_add_f32_e32 v18, v22, v18
	v_fma_f32 v19, v20, v120, -v19
	v_mul_f32_e32 v15, v15, v29
	v_add_f32_e32 v18, v18, v19
	v_fma_f32 v14, v14, v119, -v15
	v_mul_f32_e32 v1, v17, v1
	v_add_f32_e32 v14, v18, v14
	v_fma_f32 v1, v16, v118, -v1
	v_mul_f32_e32 v11, v11, v28
	v_add_f32_e32 v1, v14, v1
	v_fma_f32 v10, v10, v117, -v11
	v_add_f32_e32 v1, v1, v10
	v_mul_f32_e32 v10, v13, v111
	v_fma_f32 v10, v12, v124, -v10
	v_mul_f32_e32 v7, v7, v112
	v_add_f32_e32 v1, v1, v10
	v_fma_f32 v6, v6, v123, -v7
	v_add_f32_e32 v1, v1, v6
	v_mul_f32_e32 v6, v9, v113
	v_fma_f32 v6, v8, v122, -v6
	v_mul_f32_e32 v3, v3, v125
	v_add_f32_e32 v1, v1, v6
	v_fma_f32 v2, v2, v121, -v3
	v_add_f32_e32 v1, v1, v2
	v_mul_f32_e32 v2, v5, v126
	v_fma_f32 v2, v4, v133, -v2
	v_add_f32_e32 v1, v1, v2
	v_mul_f32_e32 v2, v33, v128
	;; [unrolled: 3-line block ×25, first 2 shown]
	v_fma_f32 v2, v78, v174, -v2
	s_waitcnt vmcnt(15)
	v_mov_b32_e32 v16, v89
	s_waitcnt lgkmcnt(1)
	v_mul_f32_e32 v91, v80, v222
	v_add_f32_e32 v30, v1, v2
	v_mul_f32_e32 v1, v81, v222
	s_waitcnt lgkmcnt(0)
	v_pk_mul_f32 v[16:17], v[84:85], v[16:17] op_sel_hi:[1,0]
	v_fmac_f32_e32 v91, v81, v221
	v_mul_f32_e32 v93, v82, v224
	v_fma_f32 v90, v80, v221, -v1
	v_mul_f32_e32 v1, v83, v224
	s_waitcnt vmcnt(14)
	v_pk_fma_f32 v[18:19], v[84:85], v[88:89], v[16:17] op_sel:[0,0,1] op_sel_hi:[1,1,0] neg_lo:[0,0,1] neg_hi:[0,0,1]
	v_pk_fma_f32 v[16:17], v[84:85], v[88:89], v[16:17] op_sel:[0,0,1] op_sel_hi:[1,0,0]
	v_fmac_f32_e32 v93, v83, v223
	v_fma_f32 v92, v82, v223, -v1
	v_pk_add_f32 v[14:15], v[30:31], v[90:91]
	s_waitcnt vmcnt(7)
	v_mov_b32_e32 v16, v101
	ds_read2_b64 v[2:5], v220 offset0:113 offset1:114
	ds_read2_b64 v[6:9], v220 offset0:115 offset1:116
	ds_read2_b64 v[10:13], v220 offset0:117 offset1:118
	v_pk_add_f32 v[14:15], v[14:15], v[92:93]
	v_mov_b32_e32 v19, v17
	v_pk_mul_f32 v[16:17], v[86:87], v[16:17] op_sel_hi:[1,0]
	v_pk_add_f32 v[14:15], v[14:15], v[18:19]
	s_waitcnt vmcnt(6)
	v_pk_fma_f32 v[18:19], v[86:87], v[100:101], v[16:17] op_sel:[0,0,1] op_sel_hi:[1,1,0] neg_lo:[0,0,1] neg_hi:[0,0,1]
	v_pk_fma_f32 v[16:17], v[86:87], v[100:101], v[16:17] op_sel:[0,0,1] op_sel_hi:[1,0,0]
	v_mov_b32_e32 v16, v99
	v_mov_b32_e32 v19, v17
	s_waitcnt lgkmcnt(2)
	v_pk_mul_f32 v[16:17], v[2:3], v[16:17] op_sel_hi:[1,0]
	v_pk_add_f32 v[14:15], v[14:15], v[18:19]
	v_pk_fma_f32 v[18:19], v[2:3], v[98:99], v[16:17] op_sel:[0,0,1] op_sel_hi:[1,1,0] neg_lo:[0,0,1] neg_hi:[0,0,1]
	v_pk_fma_f32 v[2:3], v[2:3], v[98:99], v[16:17] op_sel:[0,0,1] op_sel_hi:[1,0,0]
	v_mov_b32_e32 v19, v3
	v_pk_add_f32 v[2:3], v[14:15], v[18:19]
	v_mov_b32_e32 v14, v97
	v_pk_mul_f32 v[14:15], v[4:5], v[14:15] op_sel_hi:[1,0]
	v_pk_fma_f32 v[16:17], v[4:5], v[96:97], v[14:15] op_sel:[0,0,1] op_sel_hi:[1,1,0] neg_lo:[0,0,1] neg_hi:[0,0,1]
	v_pk_fma_f32 v[4:5], v[4:5], v[96:97], v[14:15] op_sel:[0,0,1] op_sel_hi:[1,0,0]
	v_mov_b32_e32 v4, v95
	v_mov_b32_e32 v17, v5
	s_waitcnt lgkmcnt(1)
	v_pk_mul_f32 v[4:5], v[6:7], v[4:5] op_sel_hi:[1,0]
	v_pk_fma_f32 v[14:15], v[6:7], v[94:95], v[4:5] op_sel:[0,0,1] op_sel_hi:[1,1,0] neg_lo:[0,0,1] neg_hi:[0,0,1]
	v_pk_fma_f32 v[4:5], v[6:7], v[94:95], v[4:5] op_sel:[0,0,1] op_sel_hi:[1,0,0]
	s_waitcnt vmcnt(1)
	v_mov_b32_e32 v4, v109
	v_mov_b32_e32 v15, v5
	v_pk_mul_f32 v[4:5], v[8:9], v[4:5] op_sel_hi:[1,0]
	s_waitcnt vmcnt(0)
	v_pk_fma_f32 v[6:7], v[8:9], v[108:109], v[4:5] op_sel:[0,0,1] op_sel_hi:[1,1,0] neg_lo:[0,0,1] neg_hi:[0,0,1]
	v_pk_fma_f32 v[4:5], v[8:9], v[108:109], v[4:5] op_sel:[0,0,1] op_sel_hi:[1,0,0]
	v_pk_add_f32 v[2:3], v[2:3], v[16:17]
	v_mov_b32_e32 v4, v107
	v_pk_add_f32 v[2:3], v[2:3], v[14:15]
	v_mov_b32_e32 v7, v5
	s_waitcnt lgkmcnt(0)
	v_pk_mul_f32 v[4:5], v[10:11], v[4:5] op_sel_hi:[1,0]
	v_pk_add_f32 v[2:3], v[2:3], v[6:7]
	v_pk_fma_f32 v[6:7], v[10:11], v[106:107], v[4:5] op_sel:[0,0,1] op_sel_hi:[1,1,0] neg_lo:[0,0,1] neg_hi:[0,0,1]
	v_pk_fma_f32 v[4:5], v[10:11], v[106:107], v[4:5] op_sel:[0,0,1] op_sel_hi:[1,0,0]
	v_mov_b32_e32 v4, v105
	v_mov_b32_e32 v7, v5
	v_pk_mul_f32 v[4:5], v[12:13], v[4:5] op_sel_hi:[1,0]
	v_pk_add_f32 v[2:3], v[2:3], v[6:7]
	v_pk_fma_f32 v[6:7], v[12:13], v[104:105], v[4:5] op_sel:[0,0,1] op_sel_hi:[1,1,0] neg_lo:[0,0,1] neg_hi:[0,0,1]
	v_pk_fma_f32 v[4:5], v[12:13], v[104:105], v[4:5] op_sel:[0,0,1] op_sel_hi:[1,0,0]
	v_mov_b32_e32 v7, v5
	v_pk_add_f32 v[2:3], v[2:3], v[6:7]
	v_pk_add_f32 v[2:3], v[26:27], v[2:3] neg_lo:[0,1] neg_hi:[0,1]
	buffer_store_dword v3, off, s[0:3], 0 offset:100
	buffer_store_dword v2, off, s[0:3], 0 offset:96
	s_and_saveexec_b64 s[4:5], vcc
	s_cbranch_execz .LBB122_345
; %bb.344:
	buffer_load_dword v2, off, s[0:3], 0 offset:88
	buffer_load_dword v3, off, s[0:3], 0 offset:92
	v_mov_b32_e32 v1, 0
	buffer_store_dword v1, off, s[0:3], 0 offset:88
	buffer_store_dword v1, off, s[0:3], 0 offset:92
	s_waitcnt vmcnt(2)
	ds_write_b64 v187, v[2:3]
.LBB122_345:
	s_or_b64 exec, exec, s[4:5]
	s_waitcnt lgkmcnt(0)
	; wave barrier
	s_waitcnt lgkmcnt(0)
	buffer_load_dword v33, off, s[0:3], 0 offset:100
	buffer_load_dword v32, off, s[0:3], 0 offset:108
	;; [unrolled: 1-line block ×48, first 2 shown]
	v_mov_b32_e32 v1, 0
	ds_read_b128 v[22:25], v1 offset:576
	ds_read_b128 v[18:21], v1 offset:592
	;; [unrolled: 1-line block ×6, first 2 shown]
	buffer_load_dword v151, off, s[0:3], 0 offset:280
	buffer_load_dword v152, off, s[0:3], 0 offset:284
	;; [unrolled: 1-line block ×12, first 2 shown]
	v_cmp_lt_u32_e32 vcc, 10, v0
	s_waitcnt vmcnt(59) lgkmcnt(5)
	v_mul_f32_e32 v35, v22, v33
	s_waitcnt vmcnt(58)
	v_mul_f32_e32 v36, v24, v32
	s_waitcnt vmcnt(57) lgkmcnt(4)
	v_mul_f32_e32 v38, v20, v31
	s_waitcnt vmcnt(56) lgkmcnt(3)
	v_mul_f32_e32 v39, v14, v30
	s_waitcnt vmcnt(55)
	v_mul_f32_e32 v40, v16, v28
	s_waitcnt vmcnt(54)
	v_mul_f32_e32 v37, v18, v34
	s_waitcnt vmcnt(53) lgkmcnt(2)
	v_mul_f32_e32 v41, v10, v29
	s_waitcnt vmcnt(52)
	v_mul_f32_e32 v42, v12, v92
	s_waitcnt vmcnt(51) lgkmcnt(1)
	v_mul_f32_e32 v43, v6, v94
	s_waitcnt vmcnt(50)
	v_mul_f32_e32 v44, v8, v114
	s_waitcnt vmcnt(49)
	v_fmac_f32_e32 v37, v19, v115
	s_waitcnt vmcnt(48)
	v_fmac_f32_e32 v36, v25, v116
	;; [unrolled: 2-line block ×3, first 2 shown]
	v_add_f32_e32 v35, 0, v35
	v_add_f32_e32 v35, v35, v36
	;; [unrolled: 1-line block ×3, first 2 shown]
	s_waitcnt vmcnt(43)
	v_fmac_f32_e32 v38, v21, v121
	v_fmac_f32_e32 v39, v15, v120
	v_add_f32_e32 v35, v35, v38
	v_fmac_f32_e32 v40, v17, v119
	v_add_f32_e32 v35, v35, v39
	;; [unrolled: 2-line block ×3, first 2 shown]
	s_waitcnt vmcnt(39)
	v_fmac_f32_e32 v42, v13, v125
	v_add_f32_e32 v35, v35, v41
	v_fmac_f32_e32 v43, v7, v124
	v_add_f32_e32 v35, v35, v42
	;; [unrolled: 2-line block ×3, first 2 shown]
	s_waitcnt vmcnt(38) lgkmcnt(0)
	v_mul_f32_e32 v36, v2, v126
	v_add_f32_e32 v35, v35, v44
	v_fmac_f32_e32 v36, v3, v122
	v_add_f32_e32 v35, v35, v36
	ds_read_b128 v[36:39], v1 offset:672
	buffer_load_dword v163, off, s[0:3], 0 offset:328
	buffer_load_dword v164, off, s[0:3], 0 offset:332
	;; [unrolled: 1-line block ×4, first 2 shown]
	s_waitcnt vmcnt(35)
	v_mul_f32_e32 v40, v4, v133
	s_waitcnt vmcnt(34)
	v_fmac_f32_e32 v40, v5, v134
	v_add_f32_e32 v35, v35, v40
	ds_read_b128 v[40:43], v1 offset:688
	buffer_load_dword v167, off, s[0:3], 0 offset:344
	buffer_load_dword v168, off, s[0:3], 0 offset:348
	;; [unrolled: 1-line block ×10, first 2 shown]
	s_waitcnt lgkmcnt(1)
	v_mul_f32_e32 v44, v36, v128
	v_fmac_f32_e32 v44, v37, v127
	v_add_f32_e32 v35, v35, v44
	v_mul_f32_e32 v44, v38, v130
	v_fmac_f32_e32 v44, v39, v129
	v_add_f32_e32 v35, v35, v44
	s_waitcnt lgkmcnt(0)
	v_mul_f32_e32 v44, v40, v132
	v_fmac_f32_e32 v44, v41, v131
	v_add_f32_e32 v35, v35, v44
	buffer_load_dword v221, off, s[0:3], 0 offset:384
	buffer_load_dword v222, off, s[0:3], 0 offset:388
	;; [unrolled: 1-line block ×6, first 2 shown]
	ds_read_b128 v[44:47], v1 offset:704
	s_waitcnt vmcnt(46)
	v_mul_f32_e32 v48, v42, v136
	v_fmac_f32_e32 v48, v43, v135
	v_add_f32_e32 v35, v35, v48
	ds_read_b128 v[48:51], v1 offset:720
	s_waitcnt vmcnt(44) lgkmcnt(1)
	v_mul_f32_e32 v52, v44, v138
	v_fmac_f32_e32 v52, v45, v137
	v_add_f32_e32 v35, v35, v52
	s_waitcnt vmcnt(42)
	v_mul_f32_e32 v52, v46, v140
	v_fmac_f32_e32 v52, v47, v139
	v_add_f32_e32 v35, v35, v52
	s_waitcnt vmcnt(40) lgkmcnt(0)
	v_mul_f32_e32 v52, v48, v142
	v_fmac_f32_e32 v52, v49, v141
	v_add_f32_e32 v35, v35, v52
	ds_read_b128 v[52:55], v1 offset:736
	s_waitcnt vmcnt(38)
	v_mul_f32_e32 v56, v50, v144
	v_fmac_f32_e32 v56, v51, v143
	v_add_f32_e32 v35, v35, v56
	ds_read_b128 v[56:59], v1 offset:752
	s_waitcnt vmcnt(36) lgkmcnt(1)
	v_mul_f32_e32 v60, v52, v146
	v_fmac_f32_e32 v60, v53, v145
	v_add_f32_e32 v35, v35, v60
	s_waitcnt vmcnt(34)
	v_mul_f32_e32 v60, v54, v148
	v_fmac_f32_e32 v60, v55, v147
	v_add_f32_e32 v35, v35, v60
	s_waitcnt vmcnt(32) lgkmcnt(0)
	v_mul_f32_e32 v60, v56, v150
	v_fmac_f32_e32 v60, v57, v149
	v_add_f32_e32 v35, v35, v60
	;; [unrolled: 18-line block ×3, first 2 shown]
	ds_read_b128 v[68:71], v1 offset:800
	s_waitcnt vmcnt(22)
	v_mul_f32_e32 v72, v66, v160
	v_fmac_f32_e32 v72, v67, v159
	v_add_f32_e32 v35, v35, v72
	ds_read_b128 v[72:75], v1 offset:816
	s_waitcnt vmcnt(20) lgkmcnt(1)
	v_mul_f32_e32 v76, v68, v162
	v_fmac_f32_e32 v76, v69, v161
	v_add_f32_e32 v35, v35, v76
	v_mul_f32_e32 v23, v23, v33
	v_fma_f32 v22, v22, v117, -v23
	v_mul_f32_e32 v23, v25, v32
	v_add_f32_e32 v22, 0, v22
	v_fma_f32 v23, v24, v116, -v23
	v_mul_f32_e32 v19, v19, v34
	v_add_f32_e32 v22, v22, v23
	v_fma_f32 v18, v18, v115, -v19
	v_mul_f32_e32 v19, v21, v31
	s_waitcnt vmcnt(18)
	v_mul_f32_e32 v76, v70, v164
	v_fmac_f32_e32 v76, v71, v163
	v_add_f32_e32 v35, v35, v76
	s_waitcnt vmcnt(16) lgkmcnt(0)
	v_mul_f32_e32 v76, v72, v166
	v_fmac_f32_e32 v76, v73, v165
	v_add_f32_e32 v35, v35, v76
	ds_read_b128 v[76:79], v1 offset:832
	s_waitcnt vmcnt(14)
	v_mul_f32_e32 v80, v74, v168
	v_fmac_f32_e32 v80, v75, v167
	v_add_f32_e32 v35, v35, v80
	ds_read_b128 v[80:83], v1 offset:848
	s_waitcnt vmcnt(12) lgkmcnt(1)
	v_mul_f32_e32 v84, v76, v170
	v_fmac_f32_e32 v84, v77, v169
	v_add_f32_e32 v35, v35, v84
	s_waitcnt vmcnt(10)
	v_mul_f32_e32 v84, v78, v172
	v_fmac_f32_e32 v84, v79, v171
	v_add_f32_e32 v35, v35, v84
	s_waitcnt vmcnt(8) lgkmcnt(0)
	v_mul_f32_e32 v84, v80, v174
	v_fmac_f32_e32 v84, v81, v173
	s_waitcnt vmcnt(6)
	v_mul_f32_e32 v88, v82, v220
	v_add_f32_e32 v35, v35, v84
	v_fmac_f32_e32 v88, v83, v175
	ds_read_b128 v[84:87], v1 offset:864
	v_add_f32_e32 v35, v35, v88
	ds_read_b128 v[88:91], v1 offset:880
	buffer_load_dword v97, off, s[0:3], 0 offset:436
	buffer_load_dword v96, off, s[0:3], 0 offset:432
	;; [unrolled: 1-line block ×16, first 2 shown]
	v_add_f32_e32 v18, v22, v18
	v_fma_f32 v19, v20, v121, -v19
	v_mul_f32_e32 v15, v15, v30
	v_add_f32_e32 v18, v18, v19
	v_fma_f32 v14, v14, v120, -v15
	v_mul_f32_e32 v15, v17, v28
	;; [unrolled: 3-line block ×8, first 2 shown]
	v_add_f32_e32 v2, v6, v2
	v_fma_f32 v3, v4, v134, -v3
	v_add_f32_e32 v2, v2, v3
	v_mul_f32_e32 v3, v37, v128
	v_fma_f32 v3, v36, v127, -v3
	v_add_f32_e32 v2, v2, v3
	v_mul_f32_e32 v3, v39, v130
	;; [unrolled: 3-line block ×24, first 2 shown]
	v_fma_f32 v3, v82, v175, -v3
	v_add_f32_e32 v2, v2, v3
	s_waitcnt vmcnt(20) lgkmcnt(1)
	v_mul_f32_e32 v3, v85, v222
	v_mul_f32_e32 v93, v84, v222
	v_fma_f32 v3, v84, v221, -v3
	v_fmac_f32_e32 v93, v85, v221
	v_add_f32_e32 v34, v2, v3
	s_waitcnt vmcnt(18)
	v_mul_f32_e32 v2, v87, v224
	s_waitcnt vmcnt(9)
	v_mov_b32_e32 v18, v105
	v_add_f32_e32 v35, v35, v93
	v_mul_f32_e32 v93, v86, v224
	v_fma_f32 v92, v86, v223, -v2
	s_waitcnt lgkmcnt(0)
	v_mul_f32_e32 v2, v89, v226
	v_pk_mul_f32 v[18:19], v[90:91], v[18:19] op_sel_hi:[1,0]
	v_fmac_f32_e32 v93, v87, v223
	v_mul_f32_e32 v95, v88, v226
	v_fma_f32 v94, v88, v225, -v2
	ds_read_b128 v[2:5], v1 offset:896
	ds_read_b128 v[6:9], v1 offset:912
	;; [unrolled: 1-line block ×3, first 2 shown]
	ds_read_b64 v[14:15], v1 offset:944
	s_waitcnt vmcnt(8)
	v_pk_fma_f32 v[20:21], v[90:91], v[104:105], v[18:19] op_sel:[0,0,1] op_sel_hi:[1,1,0] neg_lo:[0,0,1] neg_hi:[0,0,1]
	v_pk_fma_f32 v[18:19], v[90:91], v[104:105], v[18:19] op_sel:[0,0,1] op_sel_hi:[1,0,0]
	v_fmac_f32_e32 v95, v89, v225
	v_pk_add_f32 v[16:17], v[34:35], v[92:93]
	v_mov_b32_e32 v18, v101
	v_pk_add_f32 v[16:17], v[16:17], v[94:95]
	v_mov_b32_e32 v21, v19
	s_waitcnt lgkmcnt(3)
	v_pk_mul_f32 v[18:19], v[2:3], v[18:19] op_sel_hi:[1,0]
	v_pk_add_f32 v[16:17], v[16:17], v[20:21]
	v_pk_fma_f32 v[20:21], v[2:3], v[100:101], v[18:19] op_sel:[0,0,1] op_sel_hi:[1,1,0] neg_lo:[0,0,1] neg_hi:[0,0,1]
	v_pk_fma_f32 v[2:3], v[2:3], v[100:101], v[18:19] op_sel:[0,0,1] op_sel_hi:[1,0,0]
	v_mov_b32_e32 v21, v3
	v_pk_add_f32 v[2:3], v[16:17], v[20:21]
	v_mov_b32_e32 v16, v99
	v_pk_mul_f32 v[16:17], v[4:5], v[16:17] op_sel_hi:[1,0]
	v_pk_fma_f32 v[18:19], v[4:5], v[98:99], v[16:17] op_sel:[0,0,1] op_sel_hi:[1,1,0] neg_lo:[0,0,1] neg_hi:[0,0,1]
	v_pk_fma_f32 v[4:5], v[4:5], v[98:99], v[16:17] op_sel:[0,0,1] op_sel_hi:[1,0,0]
	v_mov_b32_e32 v4, v97
	v_mov_b32_e32 v19, v5
	s_waitcnt lgkmcnt(2)
	v_pk_mul_f32 v[4:5], v[6:7], v[4:5] op_sel_hi:[1,0]
	v_pk_fma_f32 v[16:17], v[6:7], v[96:97], v[4:5] op_sel:[0,0,1] op_sel_hi:[1,1,0] neg_lo:[0,0,1] neg_hi:[0,0,1]
	v_pk_fma_f32 v[4:5], v[6:7], v[96:97], v[4:5] op_sel:[0,0,1] op_sel_hi:[1,0,0]
	s_waitcnt vmcnt(1)
	v_mov_b32_e32 v4, v113
	v_mov_b32_e32 v17, v5
	v_pk_mul_f32 v[4:5], v[8:9], v[4:5] op_sel_hi:[1,0]
	s_waitcnt vmcnt(0)
	v_pk_fma_f32 v[6:7], v[8:9], v[112:113], v[4:5] op_sel:[0,0,1] op_sel_hi:[1,1,0] neg_lo:[0,0,1] neg_hi:[0,0,1]
	v_pk_fma_f32 v[4:5], v[8:9], v[112:113], v[4:5] op_sel:[0,0,1] op_sel_hi:[1,0,0]
	v_pk_add_f32 v[2:3], v[2:3], v[18:19]
	v_mov_b32_e32 v4, v111
	v_pk_add_f32 v[2:3], v[2:3], v[16:17]
	v_mov_b32_e32 v7, v5
	s_waitcnt lgkmcnt(1)
	v_pk_mul_f32 v[4:5], v[10:11], v[4:5] op_sel_hi:[1,0]
	v_pk_add_f32 v[2:3], v[2:3], v[6:7]
	v_pk_fma_f32 v[6:7], v[10:11], v[110:111], v[4:5] op_sel:[0,0,1] op_sel_hi:[1,1,0] neg_lo:[0,0,1] neg_hi:[0,0,1]
	v_pk_fma_f32 v[4:5], v[10:11], v[110:111], v[4:5] op_sel:[0,0,1] op_sel_hi:[1,0,0]
	v_mov_b32_e32 v4, v109
	v_mov_b32_e32 v7, v5
	v_pk_mul_f32 v[4:5], v[12:13], v[4:5] op_sel_hi:[1,0]
	v_pk_add_f32 v[2:3], v[2:3], v[6:7]
	v_pk_fma_f32 v[6:7], v[12:13], v[108:109], v[4:5] op_sel:[0,0,1] op_sel_hi:[1,1,0] neg_lo:[0,0,1] neg_hi:[0,0,1]
	v_pk_fma_f32 v[4:5], v[12:13], v[108:109], v[4:5] op_sel:[0,0,1] op_sel_hi:[1,0,0]
	v_mov_b32_e32 v4, v107
	v_mov_b32_e32 v7, v5
	s_waitcnt lgkmcnt(0)
	v_pk_mul_f32 v[4:5], v[14:15], v[4:5] op_sel_hi:[1,0]
	v_pk_add_f32 v[2:3], v[2:3], v[6:7]
	v_pk_fma_f32 v[6:7], v[14:15], v[106:107], v[4:5] op_sel:[0,0,1] op_sel_hi:[1,1,0] neg_lo:[0,0,1] neg_hi:[0,0,1]
	v_pk_fma_f32 v[4:5], v[14:15], v[106:107], v[4:5] op_sel:[0,0,1] op_sel_hi:[1,0,0]
	v_mov_b32_e32 v7, v5
	v_pk_add_f32 v[2:3], v[2:3], v[6:7]
	v_pk_add_f32 v[2:3], v[26:27], v[2:3] neg_lo:[0,1] neg_hi:[0,1]
	buffer_store_dword v3, off, s[0:3], 0 offset:92
	buffer_store_dword v2, off, s[0:3], 0 offset:88
	s_and_saveexec_b64 s[4:5], vcc
	s_cbranch_execz .LBB122_347
; %bb.346:
	buffer_load_dword v2, off, s[0:3], 0 offset:80
	buffer_load_dword v3, off, s[0:3], 0 offset:84
	s_waitcnt vmcnt(0)
	ds_write_b64 v187, v[2:3]
	buffer_store_dword v1, off, s[0:3], 0 offset:80
	buffer_store_dword v1, off, s[0:3], 0 offset:84
.LBB122_347:
	s_or_b64 exec, exec, s[4:5]
	s_waitcnt lgkmcnt(0)
	; wave barrier
	s_waitcnt lgkmcnt(0)
	buffer_load_dword v41, off, s[0:3], 0 offset:92
	buffer_load_dword v40, off, s[0:3], 0 offset:100
	;; [unrolled: 1-line block ×32, first 2 shown]
	ds_read2_b64 v[22:25], v1 offset0:71 offset1:72
	ds_read2_b64 v[18:21], v1 offset0:73 offset1:74
	ds_read2_b64 v[14:17], v1 offset0:75 offset1:76
	ds_read2_b64 v[10:13], v1 offset0:77 offset1:78
	ds_read2_b64 v[6:9], v1 offset0:79 offset1:80
	ds_read2_b64 v[2:5], v1 offset0:81 offset1:82
	buffer_load_dword v135, off, s[0:3], 0 offset:208
	buffer_load_dword v136, off, s[0:3], 0 offset:212
	;; [unrolled: 1-line block ×26, first 2 shown]
	v_cmp_lt_u32_e32 vcc, 9, v0
	s_waitcnt vmcnt(57) lgkmcnt(5)
	v_mul_f32_e32 v26, v22, v41
	s_waitcnt vmcnt(56)
	v_mul_f32_e32 v27, v24, v40
	s_waitcnt vmcnt(55) lgkmcnt(4)
	v_mul_f32_e32 v29, v20, v39
	s_waitcnt vmcnt(54) lgkmcnt(3)
	v_mul_f32_e32 v30, v14, v38
	s_waitcnt vmcnt(53)
	v_mul_f32_e32 v31, v16, v36
	s_waitcnt vmcnt(52)
	v_mul_f32_e32 v28, v18, v42
	s_waitcnt vmcnt(51) lgkmcnt(2)
	v_mul_f32_e32 v32, v10, v37
	s_waitcnt vmcnt(50)
	v_mul_f32_e32 v33, v12, v43
	s_waitcnt vmcnt(49) lgkmcnt(1)
	;; [unrolled: 4-line block ×3, first 2 shown]
	v_mul_f32_e32 v46, v2, v104
	s_waitcnt vmcnt(46)
	v_fmac_f32_e32 v28, v19, v116
	s_waitcnt vmcnt(45)
	v_fmac_f32_e32 v27, v25, v117
	;; [unrolled: 2-line block ×3, first 2 shown]
	v_add_f32_e32 v26, 0, v26
	v_add_f32_e32 v26, v26, v27
	;; [unrolled: 1-line block ×3, first 2 shown]
	s_waitcnt vmcnt(40)
	v_fmac_f32_e32 v29, v21, v122
	v_fmac_f32_e32 v30, v15, v121
	v_add_f32_e32 v26, v26, v29
	v_fmac_f32_e32 v31, v17, v120
	v_add_f32_e32 v26, v26, v30
	;; [unrolled: 2-line block ×3, first 2 shown]
	s_waitcnt vmcnt(36)
	v_fmac_f32_e32 v33, v13, v126
	v_add_f32_e32 v26, v26, v32
	v_fmac_f32_e32 v44, v7, v125
	v_add_f32_e32 v26, v26, v33
	;; [unrolled: 2-line block ×4, first 2 shown]
	s_waitcnt vmcnt(30)
	v_mul_f32_e32 v27, v4, v132
	v_add_f32_e32 v26, v26, v46
	s_waitcnt vmcnt(29)
	v_fmac_f32_e32 v27, v5, v133
	v_add_f32_e32 v44, v26, v27
	ds_read2_b64 v[26:29], v1 offset0:83 offset1:84
	buffer_load_dword v161, off, s[0:3], 0 offset:312
	buffer_load_dword v162, off, s[0:3], 0 offset:316
	ds_read2_b64 v[30:33], v1 offset0:85 offset1:86
	buffer_load_dword v163, off, s[0:3], 0 offset:320
	buffer_load_dword v164, off, s[0:3], 0 offset:324
	;; [unrolled: 1-line block ×14, first 2 shown]
	s_waitcnt vmcnt(44) lgkmcnt(1)
	v_mul_f32_e32 v45, v26, v134
	v_fmac_f32_e32 v45, v27, v131
	v_add_f32_e32 v44, v44, v45
	v_mul_f32_e32 v45, v28, v128
	v_fmac_f32_e32 v45, v29, v127
	v_add_f32_e32 v44, v44, v45
	s_waitcnt lgkmcnt(0)
	v_mul_f32_e32 v45, v30, v130
	v_fmac_f32_e32 v45, v31, v129
	v_add_f32_e32 v48, v44, v45
	buffer_load_dword v221, off, s[0:3], 0 offset:376
	buffer_load_dword v222, off, s[0:3], 0 offset:380
	ds_read2_b64 v[44:47], v1 offset0:87 offset1:88
	s_waitcnt vmcnt(42)
	v_mul_f32_e32 v49, v32, v136
	v_fmac_f32_e32 v49, v33, v135
	buffer_load_dword v223, off, s[0:3], 0 offset:384
	buffer_load_dword v224, off, s[0:3], 0 offset:388
	v_add_f32_e32 v52, v48, v49
	buffer_load_dword v225, off, s[0:3], 0 offset:392
	buffer_load_dword v226, off, s[0:3], 0 offset:396
	ds_read2_b64 v[48:51], v1 offset0:89 offset1:90
	s_waitcnt vmcnt(44) lgkmcnt(1)
	v_mul_f32_e32 v53, v44, v138
	v_fmac_f32_e32 v53, v45, v137
	v_add_f32_e32 v52, v52, v53
	s_waitcnt vmcnt(42)
	v_mul_f32_e32 v53, v46, v140
	v_fmac_f32_e32 v53, v47, v139
	v_add_f32_e32 v52, v52, v53
	s_waitcnt vmcnt(40) lgkmcnt(0)
	v_mul_f32_e32 v53, v48, v142
	v_fmac_f32_e32 v53, v49, v141
	buffer_load_dword v227, off, s[0:3], 0 offset:400
	buffer_load_dword v228, off, s[0:3], 0 offset:404
	v_add_f32_e32 v56, v52, v53
	ds_read2_b64 v[52:55], v1 offset0:91 offset1:92
	s_waitcnt vmcnt(40)
	v_mul_f32_e32 v57, v50, v144
	v_fmac_f32_e32 v57, v51, v143
	v_add_f32_e32 v60, v56, v57
	ds_read2_b64 v[56:59], v1 offset0:93 offset1:94
	s_waitcnt vmcnt(38) lgkmcnt(1)
	v_mul_f32_e32 v61, v52, v146
	v_fmac_f32_e32 v61, v53, v145
	v_add_f32_e32 v60, v60, v61
	s_waitcnt vmcnt(36)
	v_mul_f32_e32 v61, v54, v148
	v_fmac_f32_e32 v61, v55, v147
	v_add_f32_e32 v60, v60, v61
	s_waitcnt vmcnt(34) lgkmcnt(0)
	v_mul_f32_e32 v61, v56, v150
	v_fmac_f32_e32 v61, v57, v149
	v_add_f32_e32 v64, v60, v61
	ds_read2_b64 v[60:63], v1 offset0:95 offset1:96
	s_waitcnt vmcnt(32)
	v_mul_f32_e32 v65, v58, v152
	v_fmac_f32_e32 v65, v59, v151
	v_add_f32_e32 v68, v64, v65
	ds_read2_b64 v[64:67], v1 offset0:97 offset1:98
	s_waitcnt vmcnt(30) lgkmcnt(1)
	v_mul_f32_e32 v69, v60, v154
	v_fmac_f32_e32 v69, v61, v153
	v_add_f32_e32 v68, v68, v69
	s_waitcnt vmcnt(28)
	v_mul_f32_e32 v69, v62, v156
	v_fmac_f32_e32 v69, v63, v155
	v_add_f32_e32 v68, v68, v69
	s_waitcnt vmcnt(26) lgkmcnt(0)
	v_mul_f32_e32 v69, v64, v158
	v_fmac_f32_e32 v69, v65, v157
	v_add_f32_e32 v72, v68, v69
	ds_read2_b64 v[68:71], v1 offset0:99 offset1:100
	s_waitcnt vmcnt(24)
	v_mul_f32_e32 v73, v66, v160
	v_fmac_f32_e32 v73, v67, v159
	v_add_f32_e32 v76, v72, v73
	ds_read2_b64 v[72:75], v1 offset0:101 offset1:102
	v_mul_f32_e32 v23, v23, v41
	v_fma_f32 v22, v22, v118, -v23
	v_mul_f32_e32 v23, v25, v40
	v_add_f32_e32 v22, 0, v22
	v_fma_f32 v23, v24, v117, -v23
	v_mul_f32_e32 v19, v19, v42
	v_add_f32_e32 v22, v22, v23
	;; [unrolled: 3-line block ×3, first 2 shown]
	v_fma_f32 v19, v20, v122, -v19
	s_waitcnt vmcnt(22) lgkmcnt(1)
	v_mul_f32_e32 v77, v68, v162
	v_fmac_f32_e32 v77, v69, v161
	v_add_f32_e32 v76, v76, v77
	s_waitcnt vmcnt(20)
	v_mul_f32_e32 v77, v70, v164
	v_fmac_f32_e32 v77, v71, v163
	v_add_f32_e32 v76, v76, v77
	s_waitcnt vmcnt(18) lgkmcnt(0)
	v_mul_f32_e32 v77, v72, v166
	v_fmac_f32_e32 v77, v73, v165
	v_add_f32_e32 v80, v76, v77
	ds_read2_b64 v[76:79], v1 offset0:103 offset1:104
	s_waitcnt vmcnt(16)
	v_mul_f32_e32 v81, v74, v168
	v_fmac_f32_e32 v81, v75, v167
	v_add_f32_e32 v84, v80, v81
	ds_read2_b64 v[80:83], v1 offset0:105 offset1:106
	s_waitcnt vmcnt(14) lgkmcnt(1)
	v_mul_f32_e32 v85, v76, v170
	v_fmac_f32_e32 v85, v77, v169
	v_add_f32_e32 v84, v84, v85
	s_waitcnt vmcnt(12)
	v_mul_f32_e32 v85, v78, v172
	v_fmac_f32_e32 v85, v79, v171
	v_add_f32_e32 v84, v84, v85
	s_waitcnt vmcnt(10) lgkmcnt(0)
	v_mul_f32_e32 v85, v80, v174
	v_fmac_f32_e32 v85, v81, v173
	s_waitcnt vmcnt(8)
	v_mul_f32_e32 v89, v82, v220
	v_add_f32_e32 v88, v84, v85
	v_fmac_f32_e32 v89, v83, v175
	ds_read2_b64 v[84:87], v1 offset0:107 offset1:108
	v_add_f32_e32 v93, v88, v89
	ds_read2_b64 v[88:91], v1 offset0:109 offset1:110
	buffer_load_dword v97, off, s[0:3], 0 offset:428
	buffer_load_dword v96, off, s[0:3], 0 offset:424
	;; [unrolled: 1-line block ×16, first 2 shown]
	v_mul_f32_e32 v15, v15, v38
	v_add_f32_e32 v18, v18, v19
	v_fma_f32 v14, v14, v121, -v15
	v_mul_f32_e32 v15, v17, v36
	v_add_f32_e32 v14, v18, v14
	v_fma_f32 v15, v16, v120, -v15
	;; [unrolled: 3-line block ×8, first 2 shown]
	v_add_f32_e32 v2, v2, v3
	v_mul_f32_e32 v3, v27, v134
	v_fma_f32 v3, v26, v131, -v3
	v_add_f32_e32 v2, v2, v3
	v_mul_f32_e32 v3, v29, v128
	v_fma_f32 v3, v28, v127, -v3
	;; [unrolled: 3-line block ×24, first 2 shown]
	v_add_f32_e32 v2, v2, v3
	s_waitcnt vmcnt(22) lgkmcnt(1)
	v_mul_f32_e32 v3, v85, v222
	v_fma_f32 v3, v84, v221, -v3
	v_add_f32_e32 v2, v2, v3
	s_waitcnt vmcnt(20)
	v_mul_f32_e32 v3, v87, v224
	v_mul_f32_e32 v95, v84, v222
	v_fma_f32 v3, v86, v223, -v3
	v_fmac_f32_e32 v95, v85, v221
	v_add_f32_e32 v92, v2, v3
	s_waitcnt vmcnt(18) lgkmcnt(0)
	v_mul_f32_e32 v2, v89, v226
	v_add_f32_e32 v93, v93, v95
	v_mul_f32_e32 v95, v86, v224
	v_fma_f32 v94, v88, v225, -v2
	s_waitcnt vmcnt(16)
	v_mul_f32_e32 v2, v91, v228
	v_fmac_f32_e32 v95, v87, v223
	v_fma_f32 v104, v90, v227, -v2
	ds_read2_b64 v[2:5], v1 offset0:111 offset1:112
	ds_read2_b64 v[6:9], v1 offset0:113 offset1:114
	;; [unrolled: 1-line block ×4, first 2 shown]
	v_add_f32_e32 v93, v93, v95
	v_mul_f32_e32 v95, v88, v226
	s_waitcnt vmcnt(11)
	v_mov_b32_e32 v20, v101
	v_fmac_f32_e32 v95, v89, v225
	v_mul_f32_e32 v105, v90, v228
	s_waitcnt lgkmcnt(3)
	v_pk_mul_f32 v[20:21], v[2:3], v[20:21] op_sel_hi:[1,0]
	v_fmac_f32_e32 v105, v91, v227
	v_pk_add_f32 v[18:19], v[92:93], v[94:95]
	s_waitcnt vmcnt(10)
	v_pk_fma_f32 v[22:23], v[2:3], v[100:101], v[20:21] op_sel:[0,0,1] op_sel_hi:[1,1,0] neg_lo:[0,0,1] neg_hi:[0,0,1]
	v_pk_fma_f32 v[2:3], v[2:3], v[100:101], v[20:21] op_sel:[0,0,1] op_sel_hi:[1,0,0]
	v_pk_add_f32 v[18:19], v[18:19], v[104:105]
	v_mov_b32_e32 v23, v3
	v_pk_add_f32 v[2:3], v[18:19], v[22:23]
	v_mov_b32_e32 v18, v99
	v_pk_mul_f32 v[18:19], v[4:5], v[18:19] op_sel_hi:[1,0]
	v_pk_fma_f32 v[20:21], v[4:5], v[98:99], v[18:19] op_sel:[0,0,1] op_sel_hi:[1,1,0] neg_lo:[0,0,1] neg_hi:[0,0,1]
	v_pk_fma_f32 v[4:5], v[4:5], v[98:99], v[18:19] op_sel:[0,0,1] op_sel_hi:[1,0,0]
	v_mov_b32_e32 v4, v97
	v_mov_b32_e32 v21, v5
	s_waitcnt lgkmcnt(2)
	v_pk_mul_f32 v[4:5], v[6:7], v[4:5] op_sel_hi:[1,0]
	v_pk_fma_f32 v[18:19], v[6:7], v[96:97], v[4:5] op_sel:[0,0,1] op_sel_hi:[1,1,0] neg_lo:[0,0,1] neg_hi:[0,0,1]
	v_pk_fma_f32 v[4:5], v[6:7], v[96:97], v[4:5] op_sel:[0,0,1] op_sel_hi:[1,0,0]
	s_waitcnt vmcnt(3)
	v_mov_b32_e32 v4, v113
	v_mov_b32_e32 v19, v5
	v_pk_mul_f32 v[4:5], v[8:9], v[4:5] op_sel_hi:[1,0]
	s_waitcnt vmcnt(2)
	v_pk_fma_f32 v[6:7], v[8:9], v[112:113], v[4:5] op_sel:[0,0,1] op_sel_hi:[1,1,0] neg_lo:[0,0,1] neg_hi:[0,0,1]
	v_pk_fma_f32 v[4:5], v[8:9], v[112:113], v[4:5] op_sel:[0,0,1] op_sel_hi:[1,0,0]
	v_pk_add_f32 v[2:3], v[2:3], v[20:21]
	v_mov_b32_e32 v4, v111
	v_pk_add_f32 v[2:3], v[2:3], v[18:19]
	v_mov_b32_e32 v7, v5
	s_waitcnt lgkmcnt(1)
	v_pk_mul_f32 v[4:5], v[10:11], v[4:5] op_sel_hi:[1,0]
	v_pk_add_f32 v[2:3], v[2:3], v[6:7]
	v_pk_fma_f32 v[6:7], v[10:11], v[110:111], v[4:5] op_sel:[0,0,1] op_sel_hi:[1,1,0] neg_lo:[0,0,1] neg_hi:[0,0,1]
	v_pk_fma_f32 v[4:5], v[10:11], v[110:111], v[4:5] op_sel:[0,0,1] op_sel_hi:[1,0,0]
	v_mov_b32_e32 v4, v109
	v_mov_b32_e32 v7, v5
	v_pk_mul_f32 v[4:5], v[12:13], v[4:5] op_sel_hi:[1,0]
	v_pk_add_f32 v[2:3], v[2:3], v[6:7]
	v_pk_fma_f32 v[6:7], v[12:13], v[108:109], v[4:5] op_sel:[0,0,1] op_sel_hi:[1,1,0] neg_lo:[0,0,1] neg_hi:[0,0,1]
	v_pk_fma_f32 v[4:5], v[12:13], v[108:109], v[4:5] op_sel:[0,0,1] op_sel_hi:[1,0,0]
	v_mov_b32_e32 v4, v107
	v_mov_b32_e32 v7, v5
	s_waitcnt lgkmcnt(0)
	v_pk_mul_f32 v[4:5], v[14:15], v[4:5] op_sel_hi:[1,0]
	v_pk_add_f32 v[2:3], v[2:3], v[6:7]
	v_pk_fma_f32 v[6:7], v[14:15], v[106:107], v[4:5] op_sel:[0,0,1] op_sel_hi:[1,1,0] neg_lo:[0,0,1] neg_hi:[0,0,1]
	v_pk_fma_f32 v[4:5], v[14:15], v[106:107], v[4:5] op_sel:[0,0,1] op_sel_hi:[1,0,0]
	s_waitcnt vmcnt(1)
	v_mov_b32_e32 v4, v115
	v_mov_b32_e32 v7, v5
	v_pk_mul_f32 v[4:5], v[16:17], v[4:5] op_sel_hi:[1,0]
	v_pk_add_f32 v[2:3], v[2:3], v[6:7]
	s_waitcnt vmcnt(0)
	v_pk_fma_f32 v[6:7], v[16:17], v[114:115], v[4:5] op_sel:[0,0,1] op_sel_hi:[1,1,0] neg_lo:[0,0,1] neg_hi:[0,0,1]
	v_pk_fma_f32 v[4:5], v[16:17], v[114:115], v[4:5] op_sel:[0,0,1] op_sel_hi:[1,0,0]
	v_mov_b32_e32 v7, v5
	v_pk_add_f32 v[2:3], v[2:3], v[6:7]
	v_pk_add_f32 v[2:3], v[34:35], v[2:3] neg_lo:[0,1] neg_hi:[0,1]
	buffer_store_dword v3, off, s[0:3], 0 offset:84
	buffer_store_dword v2, off, s[0:3], 0 offset:80
	s_and_saveexec_b64 s[4:5], vcc
	s_cbranch_execz .LBB122_349
; %bb.348:
	buffer_load_dword v2, off, s[0:3], 0 offset:72
	buffer_load_dword v3, off, s[0:3], 0 offset:76
	v_mov_b32_e32 v1, 0
	buffer_store_dword v1, off, s[0:3], 0 offset:72
	buffer_store_dword v1, off, s[0:3], 0 offset:76
	s_waitcnt vmcnt(2)
	ds_write_b64 v187, v[2:3]
.LBB122_349:
	s_or_b64 exec, exec, s[4:5]
	v_mov_b32_e32 v228, 0
	s_waitcnt lgkmcnt(0)
	; wave barrier
	s_waitcnt lgkmcnt(0)
	ds_read_b128 v[2:5], v228 offset:560
	buffer_load_dword v86, off, s[0:3], 0 offset:72
	buffer_load_dword v87, off, s[0:3], 0 offset:76
	;; [unrolled: 1-line block ×16, first 2 shown]
	v_cmp_lt_u32_e32 vcc, 8, v0
	s_waitcnt vmcnt(12) lgkmcnt(0)
	v_mul_f32_e32 v6, v2, v94
	v_fmac_f32_e32 v6, v3, v1
	s_waitcnt vmcnt(10)
	v_mul_f32_e32 v7, v4, v105
	v_add_f32_e32 v6, 0, v6
	v_fmac_f32_e32 v7, v5, v88
	v_add_f32_e32 v10, v6, v7
	ds_read_b128 v[6:9], v228 offset:576
	v_mul_f32_e32 v3, v3, v94
	v_fma_f32 v1, v2, v1, -v3
	v_mul_f32_e32 v2, v5, v105
	v_add_f32_e32 v1, 0, v1
	s_waitcnt vmcnt(8) lgkmcnt(0)
	v_mul_f32_e32 v11, v6, v107
	v_fmac_f32_e32 v11, v7, v90
	v_add_f32_e32 v10, v10, v11
	s_waitcnt vmcnt(6)
	v_mul_f32_e32 v11, v8, v109
	v_fmac_f32_e32 v11, v9, v104
	v_add_f32_e32 v14, v10, v11
	ds_read_b128 v[10:13], v228 offset:592
	v_fma_f32 v2, v4, v88, -v2
	v_add_f32_e32 v1, v1, v2
	v_mul_f32_e32 v2, v7, v107
	v_fma_f32 v2, v6, v90, -v2
	s_waitcnt vmcnt(4) lgkmcnt(0)
	v_mul_f32_e32 v15, v10, v111
	v_fmac_f32_e32 v15, v11, v106
	v_add_f32_e32 v14, v14, v15
	s_waitcnt vmcnt(2)
	v_mul_f32_e32 v15, v12, v112
	v_fmac_f32_e32 v15, v13, v108
	v_add_f32_e32 v18, v14, v15
	ds_read_b128 v[14:17], v228 offset:608
	buffer_load_dword v114, off, s[0:3], 0 offset:136
	buffer_load_dword v115, off, s[0:3], 0 offset:140
	v_add_f32_e32 v1, v1, v2
	v_mul_f32_e32 v2, v9, v109
	v_fma_f32 v2, v8, v104, -v2
	s_waitcnt vmcnt(2) lgkmcnt(0)
	v_mul_f32_e32 v19, v14, v113
	v_fmac_f32_e32 v19, v15, v110
	v_add_f32_e32 v18, v18, v19
	v_add_f32_e32 v1, v1, v2
	v_mul_f32_e32 v2, v11, v111
	v_fma_f32 v2, v10, v106, -v2
	v_add_f32_e32 v1, v1, v2
	v_mul_f32_e32 v2, v13, v112
	v_fma_f32 v2, v12, v108, -v2
	v_add_f32_e32 v1, v1, v2
	v_mul_f32_e32 v2, v15, v113
	v_fma_f32 v2, v14, v110, -v2
	v_add_f32_e32 v1, v1, v2
	s_waitcnt vmcnt(0)
	v_mul_f32_e32 v19, v16, v115
	v_fmac_f32_e32 v19, v17, v114
	v_add_f32_e32 v22, v18, v19
	ds_read_b128 v[18:21], v228 offset:624
	buffer_load_dword v116, off, s[0:3], 0 offset:144
	buffer_load_dword v117, off, s[0:3], 0 offset:148
	;; [unrolled: 1-line block ×4, first 2 shown]
	v_mul_f32_e32 v2, v17, v115
	v_fma_f32 v2, v16, v114, -v2
	v_add_f32_e32 v1, v1, v2
	s_waitcnt vmcnt(2) lgkmcnt(0)
	v_mul_f32_e32 v23, v18, v117
	v_fmac_f32_e32 v23, v19, v116
	v_add_f32_e32 v22, v22, v23
	s_waitcnt vmcnt(0)
	v_mul_f32_e32 v23, v20, v119
	v_fmac_f32_e32 v23, v21, v118
	v_add_f32_e32 v26, v22, v23
	ds_read_b128 v[22:25], v228 offset:640
	buffer_load_dword v120, off, s[0:3], 0 offset:160
	buffer_load_dword v121, off, s[0:3], 0 offset:164
	;; [unrolled: 1-line block ×4, first 2 shown]
	v_mul_f32_e32 v2, v19, v117
	v_fma_f32 v2, v18, v116, -v2
	v_add_f32_e32 v1, v1, v2
	v_mul_f32_e32 v2, v21, v119
	v_fma_f32 v2, v20, v118, -v2
	v_add_f32_e32 v1, v1, v2
	s_waitcnt vmcnt(2) lgkmcnt(0)
	v_mul_f32_e32 v27, v22, v121
	v_fmac_f32_e32 v27, v23, v120
	v_add_f32_e32 v26, v26, v27
	s_waitcnt vmcnt(0)
	v_mul_f32_e32 v27, v24, v123
	v_fmac_f32_e32 v27, v25, v122
	v_add_f32_e32 v30, v26, v27
	ds_read_b128 v[26:29], v228 offset:656
	buffer_load_dword v124, off, s[0:3], 0 offset:176
	buffer_load_dword v125, off, s[0:3], 0 offset:180
	;; [unrolled: 1-line block ×4, first 2 shown]
	v_mul_f32_e32 v2, v23, v121
	v_fma_f32 v2, v22, v120, -v2
	v_add_f32_e32 v1, v1, v2
	v_mul_f32_e32 v2, v25, v123
	v_fma_f32 v2, v24, v122, -v2
	v_add_f32_e32 v1, v1, v2
	s_waitcnt vmcnt(2) lgkmcnt(0)
	v_mul_f32_e32 v31, v26, v125
	v_fmac_f32_e32 v31, v27, v124
	v_add_f32_e32 v30, v30, v31
	s_waitcnt vmcnt(0)
	v_mul_f32_e32 v31, v28, v127
	v_fmac_f32_e32 v31, v29, v126
	v_add_f32_e32 v34, v30, v31
	ds_read_b128 v[30:33], v228 offset:672
	buffer_load_dword v128, off, s[0:3], 0 offset:192
	buffer_load_dword v129, off, s[0:3], 0 offset:196
	buffer_load_dword v130, off, s[0:3], 0 offset:200
	buffer_load_dword v131, off, s[0:3], 0 offset:204
	ds_read_b128 v[38:41], v228 offset:688
	buffer_load_dword v132, off, s[0:3], 0 offset:208
	buffer_load_dword v133, off, s[0:3], 0 offset:212
	buffer_load_dword v134, off, s[0:3], 0 offset:216
	buffer_load_dword v135, off, s[0:3], 0 offset:220
	;; [unrolled: 5-line block ×13, first 2 shown]
	v_mul_f32_e32 v2, v27, v125
	v_fma_f32 v2, v26, v124, -v2
	v_add_f32_e32 v1, v1, v2
	v_mul_f32_e32 v2, v29, v127
	v_fma_f32 v2, v28, v126, -v2
	v_add_f32_e32 v1, v1, v2
	s_waitcnt vmcnt(50) lgkmcnt(12)
	v_mul_f32_e32 v35, v30, v129
	v_fmac_f32_e32 v35, v31, v128
	v_add_f32_e32 v34, v34, v35
	s_waitcnt vmcnt(48)
	v_mul_f32_e32 v35, v32, v131
	v_fmac_f32_e32 v35, v33, v130
	v_add_f32_e32 v34, v34, v35
	s_waitcnt vmcnt(46) lgkmcnt(11)
	v_mul_f32_e32 v35, v38, v133
	v_fmac_f32_e32 v35, v39, v132
	v_add_f32_e32 v34, v34, v35
	s_waitcnt vmcnt(44)
	v_mul_f32_e32 v35, v40, v135
	v_fmac_f32_e32 v35, v41, v134
	;; [unrolled: 8-line block ×12, first 2 shown]
	v_add_f32_e32 v34, v34, v35
	s_waitcnt vmcnt(2) lgkmcnt(0)
	v_mul_f32_e32 v35, v82, v175
	v_fmac_f32_e32 v35, v83, v174
	v_add_f32_e32 v89, v34, v35
	ds_read_b128 v[34:37], v228 offset:880
	buffer_load_dword v233, off, s[0:3], 0 offset:400
	buffer_load_dword v234, off, s[0:3], 0 offset:404
	buffer_load_dword v93, off, s[0:3], 0 offset:412
	buffer_load_dword v92, off, s[0:3], 0 offset:408
	buffer_load_dword v227, off, s[0:3], 0 offset:420
	buffer_load_dword v226, off, s[0:3], 0 offset:416
	buffer_load_dword v225, off, s[0:3], 0 offset:428
	buffer_load_dword v224, off, s[0:3], 0 offset:424
	buffer_load_dword v223, off, s[0:3], 0 offset:436
	buffer_load_dword v222, off, s[0:3], 0 offset:432
	buffer_load_dword v221, off, s[0:3], 0 offset:444
	buffer_load_dword v220, off, s[0:3], 0 offset:440
	buffer_load_dword v101, off, s[0:3], 0 offset:452
	buffer_load_dword v100, off, s[0:3], 0 offset:448
	buffer_load_dword v99, off, s[0:3], 0 offset:460
	buffer_load_dword v98, off, s[0:3], 0 offset:456
	buffer_load_dword v97, off, s[0:3], 0 offset:468
	buffer_load_dword v96, off, s[0:3], 0 offset:464
	v_mul_f32_e32 v2, v31, v129
	v_fma_f32 v2, v30, v128, -v2
	v_add_f32_e32 v1, v1, v2
	v_mul_f32_e32 v2, v33, v131
	v_fma_f32 v2, v32, v130, -v2
	v_add_f32_e32 v1, v1, v2
	;; [unrolled: 3-line block ×24, first 2 shown]
	v_mul_f32_e32 v2, v83, v175
	v_fma_f32 v2, v82, v174, -v2
	s_waitcnt vmcnt(15)
	v_mov_b32_e32 v18, v93
	v_mul_f32_e32 v91, v84, v232
	v_add_f32_e32 v88, v1, v2
	v_mul_f32_e32 v1, v85, v232
	s_waitcnt lgkmcnt(0)
	v_pk_mul_f32 v[18:19], v[36:37], v[18:19] op_sel_hi:[1,0]
	v_fmac_f32_e32 v91, v85, v231
	v_mul_f32_e32 v95, v34, v234
	v_fma_f32 v90, v84, v231, -v1
	v_mul_f32_e32 v1, v35, v234
	ds_read_b128 v[2:5], v228 offset:896
	ds_read_b128 v[6:9], v228 offset:912
	;; [unrolled: 1-line block ×3, first 2 shown]
	ds_read_b64 v[14:15], v228 offset:944
	s_waitcnt vmcnt(14)
	v_pk_fma_f32 v[20:21], v[36:37], v[92:93], v[18:19] op_sel:[0,0,1] op_sel_hi:[1,1,0] neg_lo:[0,0,1] neg_hi:[0,0,1]
	v_pk_fma_f32 v[18:19], v[36:37], v[92:93], v[18:19] op_sel:[0,0,1] op_sel_hi:[1,0,0]
	v_fmac_f32_e32 v95, v35, v233
	v_fma_f32 v94, v34, v233, -v1
	v_pk_add_f32 v[16:17], v[88:89], v[90:91]
	s_waitcnt vmcnt(13)
	v_mov_b32_e32 v18, v227
	v_pk_add_f32 v[16:17], v[16:17], v[94:95]
	v_mov_b32_e32 v21, v19
	s_waitcnt lgkmcnt(3)
	v_pk_mul_f32 v[18:19], v[2:3], v[18:19] op_sel_hi:[1,0]
	v_pk_add_f32 v[16:17], v[16:17], v[20:21]
	s_waitcnt vmcnt(12)
	v_pk_fma_f32 v[20:21], v[2:3], v[226:227], v[18:19] op_sel:[0,0,1] op_sel_hi:[1,1,0] neg_lo:[0,0,1] neg_hi:[0,0,1]
	v_pk_fma_f32 v[2:3], v[2:3], v[226:227], v[18:19] op_sel:[0,0,1] op_sel_hi:[1,0,0]
	v_mov_b32_e32 v21, v3
	v_pk_add_f32 v[2:3], v[16:17], v[20:21]
	s_waitcnt vmcnt(11)
	v_mov_b32_e32 v16, v225
	v_pk_mul_f32 v[16:17], v[4:5], v[16:17] op_sel_hi:[1,0]
	s_waitcnt vmcnt(10)
	v_pk_fma_f32 v[18:19], v[4:5], v[224:225], v[16:17] op_sel:[0,0,1] op_sel_hi:[1,1,0] neg_lo:[0,0,1] neg_hi:[0,0,1]
	v_pk_fma_f32 v[4:5], v[4:5], v[224:225], v[16:17] op_sel:[0,0,1] op_sel_hi:[1,0,0]
	s_waitcnt vmcnt(9)
	v_mov_b32_e32 v4, v223
	v_mov_b32_e32 v19, v5
	s_waitcnt lgkmcnt(2)
	v_pk_mul_f32 v[4:5], v[6:7], v[4:5] op_sel_hi:[1,0]
	s_waitcnt vmcnt(8)
	v_pk_fma_f32 v[16:17], v[6:7], v[222:223], v[4:5] op_sel:[0,0,1] op_sel_hi:[1,1,0] neg_lo:[0,0,1] neg_hi:[0,0,1]
	v_pk_fma_f32 v[4:5], v[6:7], v[222:223], v[4:5] op_sel:[0,0,1] op_sel_hi:[1,0,0]
	s_waitcnt vmcnt(7)
	v_mov_b32_e32 v4, v221
	v_mov_b32_e32 v17, v5
	v_pk_mul_f32 v[4:5], v[8:9], v[4:5] op_sel_hi:[1,0]
	s_waitcnt vmcnt(6)
	v_pk_fma_f32 v[6:7], v[8:9], v[220:221], v[4:5] op_sel:[0,0,1] op_sel_hi:[1,1,0] neg_lo:[0,0,1] neg_hi:[0,0,1]
	v_pk_fma_f32 v[4:5], v[8:9], v[220:221], v[4:5] op_sel:[0,0,1] op_sel_hi:[1,0,0]
	v_pk_add_f32 v[2:3], v[2:3], v[18:19]
	s_waitcnt vmcnt(5)
	v_mov_b32_e32 v4, v101
	v_pk_add_f32 v[2:3], v[2:3], v[16:17]
	v_mov_b32_e32 v7, v5
	s_waitcnt lgkmcnt(1)
	v_pk_mul_f32 v[4:5], v[10:11], v[4:5] op_sel_hi:[1,0]
	v_pk_add_f32 v[2:3], v[2:3], v[6:7]
	s_waitcnt vmcnt(4)
	v_pk_fma_f32 v[6:7], v[10:11], v[100:101], v[4:5] op_sel:[0,0,1] op_sel_hi:[1,1,0] neg_lo:[0,0,1] neg_hi:[0,0,1]
	v_pk_fma_f32 v[4:5], v[10:11], v[100:101], v[4:5] op_sel:[0,0,1] op_sel_hi:[1,0,0]
	s_waitcnt vmcnt(3)
	v_mov_b32_e32 v4, v99
	v_mov_b32_e32 v7, v5
	v_pk_mul_f32 v[4:5], v[12:13], v[4:5] op_sel_hi:[1,0]
	v_pk_add_f32 v[2:3], v[2:3], v[6:7]
	s_waitcnt vmcnt(2)
	v_pk_fma_f32 v[6:7], v[12:13], v[98:99], v[4:5] op_sel:[0,0,1] op_sel_hi:[1,1,0] neg_lo:[0,0,1] neg_hi:[0,0,1]
	v_pk_fma_f32 v[4:5], v[12:13], v[98:99], v[4:5] op_sel:[0,0,1] op_sel_hi:[1,0,0]
	s_waitcnt vmcnt(1)
	v_mov_b32_e32 v4, v97
	v_mov_b32_e32 v7, v5
	s_waitcnt lgkmcnt(0)
	v_pk_mul_f32 v[4:5], v[14:15], v[4:5] op_sel_hi:[1,0]
	v_pk_add_f32 v[2:3], v[2:3], v[6:7]
	s_waitcnt vmcnt(0)
	v_pk_fma_f32 v[6:7], v[14:15], v[96:97], v[4:5] op_sel:[0,0,1] op_sel_hi:[1,1,0] neg_lo:[0,0,1] neg_hi:[0,0,1]
	v_pk_fma_f32 v[4:5], v[14:15], v[96:97], v[4:5] op_sel:[0,0,1] op_sel_hi:[1,0,0]
	v_mov_b32_e32 v7, v5
	v_pk_add_f32 v[2:3], v[2:3], v[6:7]
	v_pk_add_f32 v[2:3], v[86:87], v[2:3] neg_lo:[0,1] neg_hi:[0,1]
	buffer_store_dword v3, off, s[0:3], 0 offset:76
	buffer_store_dword v2, off, s[0:3], 0 offset:72
	s_and_saveexec_b64 s[4:5], vcc
	s_cbranch_execz .LBB122_351
; %bb.350:
	buffer_load_dword v2, off, s[0:3], 0 offset:64
	buffer_load_dword v3, off, s[0:3], 0 offset:68
	s_waitcnt vmcnt(0)
	ds_write_b64 v187, v[2:3]
	buffer_store_dword v228, off, s[0:3], 0 offset:64
	buffer_store_dword v228, off, s[0:3], 0 offset:68
.LBB122_351:
	s_or_b64 exec, exec, s[4:5]
	s_waitcnt lgkmcnt(0)
	; wave barrier
	s_waitcnt lgkmcnt(0)
	buffer_load_dword v40, off, s[0:3], 0 offset:76
	buffer_load_dword v39, off, s[0:3], 0 offset:84
	;; [unrolled: 1-line block ×32, first 2 shown]
	ds_read2_b64 v[22:25], v228 offset0:69 offset1:70
	ds_read2_b64 v[18:21], v228 offset0:71 offset1:72
	;; [unrolled: 1-line block ×6, first 2 shown]
	buffer_load_dword v142, off, s[0:3], 0 offset:192
	buffer_load_dword v143, off, s[0:3], 0 offset:196
	;; [unrolled: 1-line block ×20, first 2 shown]
	v_cmp_lt_u32_e32 vcc, 7, v0
	s_waitcnt vmcnt(51) lgkmcnt(5)
	v_mul_f32_e32 v26, v22, v40
	s_waitcnt vmcnt(50)
	v_mul_f32_e32 v27, v24, v39
	s_waitcnt vmcnt(49) lgkmcnt(4)
	v_mul_f32_e32 v29, v20, v38
	s_waitcnt vmcnt(48) lgkmcnt(3)
	v_mul_f32_e32 v30, v14, v37
	s_waitcnt vmcnt(47)
	v_mul_f32_e32 v31, v16, v36
	s_waitcnt vmcnt(46) lgkmcnt(2)
	v_mul_f32_e32 v32, v10, v1
	s_waitcnt vmcnt(45)
	v_mul_f32_e32 v28, v18, v41
	s_waitcnt vmcnt(44)
	v_mul_f32_e32 v33, v12, v42
	s_waitcnt vmcnt(43) lgkmcnt(1)
	v_mul_f32_e32 v47, v6, v43
	s_waitcnt vmcnt(42)
	v_mul_f32_e32 v48, v8, v44
	s_waitcnt vmcnt(41) lgkmcnt(0)
	v_mul_f32_e32 v49, v2, v45
	s_waitcnt vmcnt(40)
	v_mul_f32_e32 v50, v4, v46
	s_waitcnt vmcnt(39)
	v_fmac_f32_e32 v28, v19, v108
	s_waitcnt vmcnt(38)
	v_fmac_f32_e32 v27, v25, v110
	;; [unrolled: 2-line block ×3, first 2 shown]
	v_add_f32_e32 v26, 0, v26
	v_add_f32_e32 v26, v26, v27
	;; [unrolled: 1-line block ×3, first 2 shown]
	s_waitcnt vmcnt(33)
	v_fmac_f32_e32 v29, v21, v130
	v_fmac_f32_e32 v30, v15, v129
	v_add_f32_e32 v26, v26, v29
	v_fmac_f32_e32 v31, v17, v128
	v_add_f32_e32 v26, v26, v30
	;; [unrolled: 2-line block ×3, first 2 shown]
	s_waitcnt vmcnt(29)
	v_fmac_f32_e32 v33, v13, v134
	v_add_f32_e32 v26, v26, v32
	v_fmac_f32_e32 v47, v7, v133
	v_add_f32_e32 v26, v26, v33
	;; [unrolled: 2-line block ×4, first 2 shown]
	v_add_f32_e32 v30, v26, v49
	ds_read2_b64 v[26:29], v228 offset0:81 offset1:82
	buffer_load_dword v162, off, s[0:3], 0 offset:272
	buffer_load_dword v163, off, s[0:3], 0 offset:276
	;; [unrolled: 1-line block ×4, first 2 shown]
	s_waitcnt vmcnt(28)
	v_fmac_f32_e32 v50, v5, v139
	v_add_f32_e32 v47, v30, v50
	ds_read2_b64 v[30:33], v228 offset0:83 offset1:84
	buffer_load_dword v166, off, s[0:3], 0 offset:288
	buffer_load_dword v167, off, s[0:3], 0 offset:292
	;; [unrolled: 1-line block ×12, first 2 shown]
	s_waitcnt vmcnt(39) lgkmcnt(1)
	v_mul_f32_e32 v48, v26, v140
	v_fmac_f32_e32 v48, v27, v138
	buffer_load_dword v222, off, s[0:3], 0 offset:336
	buffer_load_dword v223, off, s[0:3], 0 offset:340
	v_add_f32_e32 v47, v47, v48
	s_waitcnt vmcnt(40)
	v_mul_f32_e32 v48, v28, v141
	v_fmac_f32_e32 v48, v29, v137
	buffer_load_dword v224, off, s[0:3], 0 offset:344
	buffer_load_dword v225, off, s[0:3], 0 offset:348
	v_add_f32_e32 v47, v47, v48
	s_waitcnt lgkmcnt(0)
	v_mul_f32_e32 v48, v30, v136
	v_fmac_f32_e32 v48, v31, v135
	v_add_f32_e32 v47, v47, v48
	ds_read2_b64 v[48:51], v228 offset0:85 offset1:86
	buffer_load_dword v226, off, s[0:3], 0 offset:352
	buffer_load_dword v227, off, s[0:3], 0 offset:356
	s_waitcnt vmcnt(40)
	v_mul_f32_e32 v52, v32, v143
	v_fmac_f32_e32 v52, v33, v142
	v_add_f32_e32 v47, v47, v52
	ds_read2_b64 v[52:55], v228 offset0:87 offset1:88
	buffer_load_dword v229, off, s[0:3], 0 offset:360
	buffer_load_dword v230, off, s[0:3], 0 offset:364
	;; [unrolled: 1-line block ×8, first 2 shown]
	s_waitcnt vmcnt(46) lgkmcnt(1)
	v_mul_f32_e32 v56, v48, v145
	v_fmac_f32_e32 v56, v49, v144
	v_add_f32_e32 v47, v47, v56
	s_waitcnt vmcnt(44)
	v_mul_f32_e32 v56, v50, v147
	v_fmac_f32_e32 v56, v51, v146
	v_add_f32_e32 v47, v47, v56
	s_waitcnt vmcnt(42) lgkmcnt(0)
	v_mul_f32_e32 v56, v52, v149
	v_fmac_f32_e32 v56, v53, v148
	v_add_f32_e32 v47, v47, v56
	buffer_load_dword v237, off, s[0:3], 0 offset:392
	buffer_load_dword v238, off, s[0:3], 0 offset:396
	;; [unrolled: 1-line block ×4, first 2 shown]
	ds_read2_b64 v[56:59], v228 offset0:89 offset1:90
	s_waitcnt vmcnt(44)
	v_mul_f32_e32 v60, v54, v151
	v_fmac_f32_e32 v60, v55, v150
	v_add_f32_e32 v47, v47, v60
	ds_read2_b64 v[60:63], v228 offset0:91 offset1:92
	s_waitcnt vmcnt(42) lgkmcnt(1)
	v_mul_f32_e32 v64, v56, v153
	v_fmac_f32_e32 v64, v57, v152
	v_add_f32_e32 v47, v47, v64
	s_waitcnt vmcnt(40)
	v_mul_f32_e32 v64, v58, v155
	v_fmac_f32_e32 v64, v59, v154
	v_add_f32_e32 v47, v47, v64
	s_waitcnt vmcnt(38) lgkmcnt(0)
	v_mul_f32_e32 v64, v60, v157
	v_fmac_f32_e32 v64, v61, v156
	v_add_f32_e32 v47, v47, v64
	ds_read2_b64 v[64:67], v228 offset0:93 offset1:94
	s_waitcnt vmcnt(36)
	v_mul_f32_e32 v68, v62, v159
	v_fmac_f32_e32 v68, v63, v158
	v_add_f32_e32 v47, v47, v68
	ds_read2_b64 v[68:71], v228 offset0:95 offset1:96
	s_waitcnt vmcnt(34) lgkmcnt(1)
	v_mul_f32_e32 v72, v64, v161
	v_fmac_f32_e32 v72, v65, v160
	v_add_f32_e32 v47, v47, v72
	v_mul_f32_e32 v23, v23, v40
	v_fma_f32 v22, v22, v126, -v23
	v_mul_f32_e32 v23, v25, v39
	v_add_f32_e32 v22, 0, v22
	v_fma_f32 v23, v24, v110, -v23
	v_mul_f32_e32 v19, v19, v41
	v_add_f32_e32 v22, v22, v23
	;; [unrolled: 3-line block ×5, first 2 shown]
	s_waitcnt vmcnt(32)
	v_mul_f32_e32 v72, v66, v163
	v_fmac_f32_e32 v72, v67, v162
	v_add_f32_e32 v47, v47, v72
	s_waitcnt vmcnt(30) lgkmcnt(0)
	v_mul_f32_e32 v72, v68, v165
	v_fmac_f32_e32 v72, v69, v164
	v_add_f32_e32 v47, v47, v72
	ds_read2_b64 v[72:75], v228 offset0:97 offset1:98
	s_waitcnt vmcnt(28)
	v_mul_f32_e32 v76, v70, v167
	v_fmac_f32_e32 v76, v71, v166
	v_add_f32_e32 v47, v47, v76
	ds_read2_b64 v[76:79], v228 offset0:99 offset1:100
	s_waitcnt vmcnt(26) lgkmcnt(1)
	v_mul_f32_e32 v80, v72, v169
	v_fmac_f32_e32 v80, v73, v168
	v_add_f32_e32 v47, v47, v80
	s_waitcnt vmcnt(24)
	v_mul_f32_e32 v80, v74, v171
	v_fmac_f32_e32 v80, v75, v170
	v_add_f32_e32 v47, v47, v80
	s_waitcnt vmcnt(22) lgkmcnt(0)
	v_mul_f32_e32 v80, v76, v173
	v_fmac_f32_e32 v80, v77, v172
	v_add_f32_e32 v47, v47, v80
	ds_read2_b64 v[80:83], v228 offset0:101 offset1:102
	s_waitcnt vmcnt(20)
	v_mul_f32_e32 v84, v78, v175
	v_fmac_f32_e32 v84, v79, v174
	v_add_f32_e32 v47, v47, v84
	ds_read2_b64 v[84:87], v228 offset0:103 offset1:104
	s_waitcnt vmcnt(18) lgkmcnt(1)
	v_mul_f32_e32 v88, v80, v221
	v_fmac_f32_e32 v88, v81, v220
	v_add_f32_e32 v47, v47, v88
	s_waitcnt vmcnt(16)
	v_mul_f32_e32 v88, v82, v223
	v_fmac_f32_e32 v88, v83, v222
	v_add_f32_e32 v47, v47, v88
	s_waitcnt vmcnt(14) lgkmcnt(0)
	v_mul_f32_e32 v88, v84, v225
	v_fmac_f32_e32 v88, v85, v224
	v_add_f32_e32 v47, v47, v88
	ds_read2_b64 v[88:91], v228 offset0:105 offset1:106
	s_waitcnt vmcnt(12)
	v_mul_f32_e32 v92, v86, v227
	v_fmac_f32_e32 v92, v87, v226
	v_add_f32_e32 v47, v47, v92
	ds_read2_b64 v[92:95], v228 offset0:107 offset1:108
	buffer_load_dword v101, off, s[0:3], 0 offset:412
	buffer_load_dword v100, off, s[0:3], 0 offset:408
	s_waitcnt vmcnt(12) lgkmcnt(1)
	v_mul_f32_e32 v96, v88, v230
	v_fmac_f32_e32 v96, v89, v229
	v_add_f32_e32 v47, v47, v96
	s_waitcnt vmcnt(10)
	v_mul_f32_e32 v96, v90, v232
	v_fmac_f32_e32 v96, v91, v231
	v_add_f32_e32 v47, v47, v96
	s_waitcnt vmcnt(8) lgkmcnt(0)
	v_mul_f32_e32 v96, v92, v234
	v_fmac_f32_e32 v96, v93, v233
	s_waitcnt vmcnt(6)
	v_mul_f32_e32 v104, v94, v236
	v_add_f32_e32 v47, v47, v96
	v_fmac_f32_e32 v104, v95, v235
	ds_read2_b64 v[96:99], v228 offset0:109 offset1:110
	v_add_f32_e32 v47, v47, v104
	ds_read2_b64 v[104:107], v228 offset0:111 offset1:112
	buffer_load_dword v113, off, s[0:3], 0 offset:444
	buffer_load_dword v112, off, s[0:3], 0 offset:440
	;; [unrolled: 1-line block ×14, first 2 shown]
	v_fma_f32 v15, v16, v128, -v15
	v_mul_f32_e32 v1, v11, v1
	v_add_f32_e32 v14, v14, v15
	v_fma_f32 v1, v10, v127, -v1
	v_mul_f32_e32 v10, v13, v42
	v_add_f32_e32 v1, v14, v1
	;; [unrolled: 3-line block ×3, first 2 shown]
	v_fma_f32 v6, v6, v133, -v7
	v_add_f32_e32 v1, v1, v6
	v_mul_f32_e32 v6, v9, v44
	v_fma_f32 v6, v8, v132, -v6
	v_mul_f32_e32 v3, v3, v45
	v_add_f32_e32 v1, v1, v6
	v_fma_f32 v2, v2, v131, -v3
	v_add_f32_e32 v1, v1, v2
	v_mul_f32_e32 v2, v5, v46
	v_fma_f32 v2, v4, v139, -v2
	v_add_f32_e32 v1, v1, v2
	v_mul_f32_e32 v2, v27, v140
	;; [unrolled: 3-line block ×29, first 2 shown]
	v_fma_f32 v2, v94, v235, -v2
	s_waitcnt vmcnt(15)
	v_mov_b32_e32 v16, v101
	s_waitcnt lgkmcnt(1)
	v_mul_f32_e32 v109, v96, v238
	v_add_f32_e32 v46, v1, v2
	v_mul_f32_e32 v1, v97, v238
	s_waitcnt lgkmcnt(0)
	v_pk_mul_f32 v[16:17], v[104:105], v[16:17] op_sel_hi:[1,0]
	v_fmac_f32_e32 v109, v97, v237
	v_mul_f32_e32 v111, v98, v240
	v_fma_f32 v108, v96, v237, -v1
	v_mul_f32_e32 v1, v99, v240
	s_waitcnt vmcnt(14)
	v_pk_fma_f32 v[18:19], v[104:105], v[100:101], v[16:17] op_sel:[0,0,1] op_sel_hi:[1,1,0] neg_lo:[0,0,1] neg_hi:[0,0,1]
	v_pk_fma_f32 v[16:17], v[104:105], v[100:101], v[16:17] op_sel:[0,0,1] op_sel_hi:[1,0,0]
	v_fmac_f32_e32 v111, v99, v239
	v_fma_f32 v110, v98, v239, -v1
	v_pk_add_f32 v[14:15], v[46:47], v[108:109]
	s_waitcnt vmcnt(7)
	v_mov_b32_e32 v16, v119
	ds_read2_b64 v[2:5], v228 offset0:113 offset1:114
	ds_read2_b64 v[6:9], v228 offset0:115 offset1:116
	;; [unrolled: 1-line block ×3, first 2 shown]
	v_pk_add_f32 v[14:15], v[14:15], v[110:111]
	v_mov_b32_e32 v19, v17
	v_pk_mul_f32 v[16:17], v[106:107], v[16:17] op_sel_hi:[1,0]
	v_pk_add_f32 v[14:15], v[14:15], v[18:19]
	s_waitcnt vmcnt(6)
	v_pk_fma_f32 v[18:19], v[106:107], v[118:119], v[16:17] op_sel:[0,0,1] op_sel_hi:[1,1,0] neg_lo:[0,0,1] neg_hi:[0,0,1]
	v_pk_fma_f32 v[16:17], v[106:107], v[118:119], v[16:17] op_sel:[0,0,1] op_sel_hi:[1,0,0]
	v_mov_b32_e32 v16, v117
	v_mov_b32_e32 v19, v17
	s_waitcnt lgkmcnt(2)
	v_pk_mul_f32 v[16:17], v[2:3], v[16:17] op_sel_hi:[1,0]
	v_pk_add_f32 v[14:15], v[14:15], v[18:19]
	v_pk_fma_f32 v[18:19], v[2:3], v[116:117], v[16:17] op_sel:[0,0,1] op_sel_hi:[1,1,0] neg_lo:[0,0,1] neg_hi:[0,0,1]
	v_pk_fma_f32 v[2:3], v[2:3], v[116:117], v[16:17] op_sel:[0,0,1] op_sel_hi:[1,0,0]
	v_mov_b32_e32 v19, v3
	v_pk_add_f32 v[2:3], v[14:15], v[18:19]
	v_mov_b32_e32 v14, v115
	v_pk_mul_f32 v[14:15], v[4:5], v[14:15] op_sel_hi:[1,0]
	v_pk_fma_f32 v[16:17], v[4:5], v[114:115], v[14:15] op_sel:[0,0,1] op_sel_hi:[1,1,0] neg_lo:[0,0,1] neg_hi:[0,0,1]
	v_pk_fma_f32 v[4:5], v[4:5], v[114:115], v[14:15] op_sel:[0,0,1] op_sel_hi:[1,0,0]
	v_mov_b32_e32 v4, v113
	v_mov_b32_e32 v17, v5
	s_waitcnt lgkmcnt(1)
	v_pk_mul_f32 v[4:5], v[6:7], v[4:5] op_sel_hi:[1,0]
	v_pk_fma_f32 v[14:15], v[6:7], v[112:113], v[4:5] op_sel:[0,0,1] op_sel_hi:[1,1,0] neg_lo:[0,0,1] neg_hi:[0,0,1]
	v_pk_fma_f32 v[4:5], v[6:7], v[112:113], v[4:5] op_sel:[0,0,1] op_sel_hi:[1,0,0]
	s_waitcnt vmcnt(1)
	v_mov_b32_e32 v4, v125
	v_mov_b32_e32 v15, v5
	v_pk_mul_f32 v[4:5], v[8:9], v[4:5] op_sel_hi:[1,0]
	s_waitcnt vmcnt(0)
	v_pk_fma_f32 v[6:7], v[8:9], v[124:125], v[4:5] op_sel:[0,0,1] op_sel_hi:[1,1,0] neg_lo:[0,0,1] neg_hi:[0,0,1]
	v_pk_fma_f32 v[4:5], v[8:9], v[124:125], v[4:5] op_sel:[0,0,1] op_sel_hi:[1,0,0]
	v_pk_add_f32 v[2:3], v[2:3], v[16:17]
	v_mov_b32_e32 v4, v123
	v_pk_add_f32 v[2:3], v[2:3], v[14:15]
	v_mov_b32_e32 v7, v5
	s_waitcnt lgkmcnt(0)
	v_pk_mul_f32 v[4:5], v[10:11], v[4:5] op_sel_hi:[1,0]
	v_pk_add_f32 v[2:3], v[2:3], v[6:7]
	v_pk_fma_f32 v[6:7], v[10:11], v[122:123], v[4:5] op_sel:[0,0,1] op_sel_hi:[1,1,0] neg_lo:[0,0,1] neg_hi:[0,0,1]
	v_pk_fma_f32 v[4:5], v[10:11], v[122:123], v[4:5] op_sel:[0,0,1] op_sel_hi:[1,0,0]
	v_mov_b32_e32 v4, v121
	v_mov_b32_e32 v7, v5
	v_pk_mul_f32 v[4:5], v[12:13], v[4:5] op_sel_hi:[1,0]
	v_pk_add_f32 v[2:3], v[2:3], v[6:7]
	v_pk_fma_f32 v[6:7], v[12:13], v[120:121], v[4:5] op_sel:[0,0,1] op_sel_hi:[1,1,0] neg_lo:[0,0,1] neg_hi:[0,0,1]
	v_pk_fma_f32 v[4:5], v[12:13], v[120:121], v[4:5] op_sel:[0,0,1] op_sel_hi:[1,0,0]
	v_mov_b32_e32 v7, v5
	v_pk_add_f32 v[2:3], v[2:3], v[6:7]
	v_pk_add_f32 v[2:3], v[34:35], v[2:3] neg_lo:[0,1] neg_hi:[0,1]
	buffer_store_dword v3, off, s[0:3], 0 offset:68
	buffer_store_dword v2, off, s[0:3], 0 offset:64
	s_and_saveexec_b64 s[4:5], vcc
	s_cbranch_execz .LBB122_353
; %bb.352:
	buffer_load_dword v2, off, s[0:3], 0 offset:56
	buffer_load_dword v3, off, s[0:3], 0 offset:60
	v_mov_b32_e32 v1, 0
	buffer_store_dword v1, off, s[0:3], 0 offset:56
	buffer_store_dword v1, off, s[0:3], 0 offset:60
	s_waitcnt vmcnt(2)
	ds_write_b64 v187, v[2:3]
.LBB122_353:
	s_or_b64 exec, exec, s[4:5]
	s_waitcnt lgkmcnt(0)
	; wave barrier
	s_waitcnt lgkmcnt(0)
	buffer_load_dword v45, off, s[0:3], 0 offset:68
	buffer_load_dword v44, off, s[0:3], 0 offset:76
	;; [unrolled: 1-line block ×32, first 2 shown]
	v_mov_b32_e32 v1, 0
	buffer_load_dword v143, off, s[0:3], 0 offset:184
	buffer_load_dword v144, off, s[0:3], 0 offset:188
	;; [unrolled: 1-line block ×16, first 2 shown]
	ds_read_b128 v[22:25], v1 offset:544
	ds_read_b128 v[18:21], v1 offset:560
	;; [unrolled: 1-line block ×6, first 2 shown]
	buffer_load_dword v159, off, s[0:3], 0 offset:248
	buffer_load_dword v160, off, s[0:3], 0 offset:252
	v_cmp_lt_u32_e32 vcc, 6, v0
	s_waitcnt vmcnt(49) lgkmcnt(5)
	v_mul_f32_e32 v26, v22, v45
	s_waitcnt vmcnt(48)
	v_mul_f32_e32 v27, v24, v44
	s_waitcnt vmcnt(47) lgkmcnt(4)
	v_mul_f32_e32 v29, v20, v43
	s_waitcnt vmcnt(46) lgkmcnt(3)
	v_mul_f32_e32 v30, v14, v42
	s_waitcnt vmcnt(45)
	v_mul_f32_e32 v31, v16, v41
	s_waitcnt vmcnt(44) lgkmcnt(2)
	v_mul_f32_e32 v32, v10, v40
	s_waitcnt vmcnt(43)
	v_mul_f32_e32 v28, v18, v46
	s_waitcnt vmcnt(42)
	v_mul_f32_e32 v33, v12, v47
	s_waitcnt vmcnt(41) lgkmcnt(1)
	v_mul_f32_e32 v34, v6, v48
	s_waitcnt vmcnt(40)
	v_mul_f32_e32 v35, v8, v49
	s_waitcnt vmcnt(39) lgkmcnt(0)
	v_mul_f32_e32 v36, v2, v50
	s_waitcnt vmcnt(38)
	v_mul_f32_e32 v37, v4, v51
	s_waitcnt vmcnt(37)
	v_fmac_f32_e32 v28, v19, v57
	s_waitcnt vmcnt(36)
	v_fmac_f32_e32 v27, v25, v60
	;; [unrolled: 2-line block ×3, first 2 shown]
	v_add_f32_e32 v26, 0, v26
	v_add_f32_e32 v26, v26, v27
	;; [unrolled: 1-line block ×3, first 2 shown]
	s_waitcnt vmcnt(31)
	v_fmac_f32_e32 v29, v21, v62
	v_fmac_f32_e32 v30, v15, v59
	v_add_f32_e32 v26, v26, v29
	v_fmac_f32_e32 v31, v17, v56
	v_add_f32_e32 v26, v26, v30
	;; [unrolled: 2-line block ×3, first 2 shown]
	s_waitcnt vmcnt(27)
	v_fmac_f32_e32 v33, v13, v58
	v_add_f32_e32 v26, v26, v32
	v_fmac_f32_e32 v34, v7, v55
	v_add_f32_e32 v26, v26, v33
	;; [unrolled: 2-line block ×4, first 2 shown]
	s_waitcnt vmcnt(22)
	v_fmac_f32_e32 v37, v5, v140
	v_add_f32_e32 v26, v26, v36
	v_add_f32_e32 v34, v26, v37
	ds_read_b128 v[26:29], v1 offset:640
	buffer_load_dword v161, off, s[0:3], 0 offset:256
	buffer_load_dword v162, off, s[0:3], 0 offset:260
	ds_read_b128 v[30:33], v1 offset:656
	buffer_load_dword v163, off, s[0:3], 0 offset:264
	buffer_load_dword v164, off, s[0:3], 0 offset:268
	;; [unrolled: 1-line block ×14, first 2 shown]
	s_waitcnt vmcnt(37) lgkmcnt(1)
	v_mul_f32_e32 v35, v26, v141
	v_fmac_f32_e32 v35, v27, v139
	v_add_f32_e32 v34, v34, v35
	s_waitcnt vmcnt(36)
	v_mul_f32_e32 v35, v28, v142
	v_fmac_f32_e32 v35, v29, v138
	v_add_f32_e32 v34, v34, v35
	s_waitcnt lgkmcnt(0)
	v_mul_f32_e32 v35, v30, v120
	v_fmac_f32_e32 v35, v31, v61
	v_add_f32_e32 v63, v34, v35
	buffer_load_dword v221, off, s[0:3], 0 offset:320
	buffer_load_dword v222, off, s[0:3], 0 offset:324
	ds_read_b128 v[34:37], v1 offset:672
	s_waitcnt vmcnt(34)
	v_mul_f32_e32 v64, v32, v144
	v_fmac_f32_e32 v64, v33, v143
	buffer_load_dword v223, off, s[0:3], 0 offset:328
	buffer_load_dword v224, off, s[0:3], 0 offset:332
	v_add_f32_e32 v63, v63, v64
	buffer_load_dword v225, off, s[0:3], 0 offset:336
	buffer_load_dword v226, off, s[0:3], 0 offset:340
	ds_read_b128 v[64:67], v1 offset:688
	s_waitcnt vmcnt(36) lgkmcnt(1)
	v_mul_f32_e32 v68, v34, v146
	v_fmac_f32_e32 v68, v35, v145
	v_add_f32_e32 v63, v63, v68
	s_waitcnt vmcnt(34)
	v_mul_f32_e32 v68, v36, v148
	v_fmac_f32_e32 v68, v37, v147
	v_add_f32_e32 v63, v63, v68
	s_waitcnt vmcnt(32) lgkmcnt(0)
	v_mul_f32_e32 v68, v64, v150
	v_fmac_f32_e32 v68, v65, v149
	buffer_load_dword v227, off, s[0:3], 0 offset:344
	buffer_load_dword v228, off, s[0:3], 0 offset:348
	;; [unrolled: 1-line block ×10, first 2 shown]
	v_add_f32_e32 v63, v63, v68
	buffer_load_dword v237, off, s[0:3], 0 offset:384
	buffer_load_dword v238, off, s[0:3], 0 offset:388
	;; [unrolled: 1-line block ×6, first 2 shown]
	ds_read_b128 v[68:71], v1 offset:704
	s_waitcnt vmcnt(46)
	v_mul_f32_e32 v72, v66, v152
	v_fmac_f32_e32 v72, v67, v151
	v_add_f32_e32 v63, v63, v72
	ds_read_b128 v[72:75], v1 offset:720
	s_waitcnt vmcnt(44) lgkmcnt(1)
	v_mul_f32_e32 v76, v68, v154
	v_fmac_f32_e32 v76, v69, v153
	v_add_f32_e32 v63, v63, v76
	s_waitcnt vmcnt(42)
	v_mul_f32_e32 v76, v70, v156
	v_fmac_f32_e32 v76, v71, v155
	v_add_f32_e32 v63, v63, v76
	s_waitcnt vmcnt(40) lgkmcnt(0)
	v_mul_f32_e32 v76, v72, v158
	v_fmac_f32_e32 v76, v73, v157
	v_add_f32_e32 v63, v63, v76
	ds_read_b128 v[76:79], v1 offset:736
	s_waitcnt vmcnt(38)
	v_mul_f32_e32 v80, v74, v160
	v_fmac_f32_e32 v80, v75, v159
	v_add_f32_e32 v63, v63, v80
	ds_read_b128 v[80:83], v1 offset:752
	ds_read_b128 v[104:107], v1 offset:832
	;; [unrolled: 1-line block ×5, first 2 shown]
	v_mul_f32_e32 v23, v23, v45
	v_fma_f32 v22, v22, v100, -v23
	v_mul_f32_e32 v23, v25, v44
	v_add_f32_e32 v22, 0, v22
	v_fma_f32 v23, v24, v60, -v23
	v_mul_f32_e32 v19, v19, v46
	v_add_f32_e32 v22, v22, v23
	;; [unrolled: 3-line block ×5, first 2 shown]
	s_waitcnt vmcnt(36) lgkmcnt(5)
	v_mul_f32_e32 v84, v76, v162
	v_fmac_f32_e32 v84, v77, v161
	v_add_f32_e32 v63, v63, v84
	s_waitcnt vmcnt(34)
	v_mul_f32_e32 v84, v78, v164
	v_fmac_f32_e32 v84, v79, v163
	v_add_f32_e32 v63, v63, v84
	s_waitcnt vmcnt(32) lgkmcnt(4)
	v_mul_f32_e32 v84, v80, v166
	v_fmac_f32_e32 v84, v81, v165
	v_add_f32_e32 v63, v63, v84
	ds_read_b128 v[84:87], v1 offset:768
	s_waitcnt vmcnt(30)
	v_mul_f32_e32 v88, v82, v168
	v_fmac_f32_e32 v88, v83, v167
	v_add_f32_e32 v63, v63, v88
	ds_read_b128 v[88:91], v1 offset:784
	s_waitcnt vmcnt(28) lgkmcnt(1)
	v_mul_f32_e32 v92, v84, v170
	v_fmac_f32_e32 v92, v85, v169
	v_add_f32_e32 v63, v63, v92
	s_waitcnt vmcnt(26)
	v_mul_f32_e32 v92, v86, v172
	v_fmac_f32_e32 v92, v87, v171
	v_add_f32_e32 v63, v63, v92
	s_waitcnt vmcnt(24) lgkmcnt(0)
	v_mul_f32_e32 v92, v88, v174
	v_fmac_f32_e32 v92, v89, v173
	s_waitcnt vmcnt(22)
	v_mul_f32_e32 v96, v90, v220
	v_add_f32_e32 v63, v63, v92
	v_fmac_f32_e32 v96, v91, v175
	ds_read_b128 v[92:95], v1 offset:800
	v_add_f32_e32 v63, v63, v96
	ds_read_b128 v[96:99], v1 offset:816
	buffer_load_dword v123, off, s[0:3], 0 offset:436
	buffer_load_dword v122, off, s[0:3], 0 offset:432
	;; [unrolled: 1-line block ×16, first 2 shown]
	v_fma_f32 v15, v16, v56, -v15
	v_mul_f32_e32 v11, v11, v40
	v_add_f32_e32 v14, v14, v15
	v_fma_f32 v10, v10, v54, -v11
	v_mul_f32_e32 v11, v13, v47
	v_add_f32_e32 v10, v14, v10
	;; [unrolled: 3-line block ×6, first 2 shown]
	v_fma_f32 v3, v4, v140, -v3
	v_add_f32_e32 v2, v2, v3
	v_mul_f32_e32 v3, v27, v141
	v_fma_f32 v3, v26, v139, -v3
	v_add_f32_e32 v2, v2, v3
	v_mul_f32_e32 v3, v29, v142
	;; [unrolled: 3-line block ×20, first 2 shown]
	v_fma_f32 v3, v90, v175, -v3
	v_add_f32_e32 v2, v2, v3
	s_waitcnt vmcnt(36) lgkmcnt(1)
	v_mul_f32_e32 v3, v93, v222
	v_mul_f32_e32 v101, v92, v222
	v_fma_f32 v3, v92, v221, -v3
	v_fmac_f32_e32 v101, v93, v221
	v_add_f32_e32 v2, v2, v3
	s_waitcnt vmcnt(34)
	v_mul_f32_e32 v3, v95, v224
	v_add_f32_e32 v63, v63, v101
	v_mul_f32_e32 v101, v94, v224
	v_fma_f32 v3, v94, v223, -v3
	v_fmac_f32_e32 v101, v95, v223
	v_add_f32_e32 v2, v2, v3
	s_waitcnt vmcnt(32) lgkmcnt(0)
	v_mul_f32_e32 v3, v97, v226
	v_add_f32_e32 v63, v63, v101
	v_mul_f32_e32 v101, v96, v226
	v_fma_f32 v3, v96, v225, -v3
	v_fmac_f32_e32 v101, v97, v225
	v_add_f32_e32 v2, v2, v3
	s_waitcnt vmcnt(30)
	v_mul_f32_e32 v3, v99, v228
	v_add_f32_e32 v63, v63, v101
	v_mul_f32_e32 v101, v98, v228
	v_fma_f32 v3, v98, v227, -v3
	v_fmac_f32_e32 v101, v99, v227
	v_add_f32_e32 v2, v2, v3
	s_waitcnt vmcnt(28)
	;; [unrolled: 7-line block ×7, first 2 shown]
	v_mul_f32_e32 v2, v115, v240
	s_waitcnt vmcnt(9)
	v_mov_b32_e32 v18, v129
	v_add_f32_e32 v63, v63, v101
	v_mul_f32_e32 v101, v114, v240
	v_fma_f32 v100, v114, v239, -v2
	v_mul_f32_e32 v2, v117, v242
	v_pk_mul_f32 v[18:19], v[118:119], v[18:19] op_sel_hi:[1,0]
	v_fmac_f32_e32 v101, v115, v239
	v_mul_f32_e32 v121, v116, v242
	v_fma_f32 v120, v116, v241, -v2
	ds_read_b128 v[2:5], v1 offset:896
	ds_read_b128 v[6:9], v1 offset:912
	;; [unrolled: 1-line block ×3, first 2 shown]
	ds_read_b64 v[14:15], v1 offset:944
	s_waitcnt vmcnt(8)
	v_pk_fma_f32 v[20:21], v[118:119], v[128:129], v[18:19] op_sel:[0,0,1] op_sel_hi:[1,1,0] neg_lo:[0,0,1] neg_hi:[0,0,1]
	v_pk_fma_f32 v[18:19], v[118:119], v[128:129], v[18:19] op_sel:[0,0,1] op_sel_hi:[1,0,0]
	v_fmac_f32_e32 v121, v117, v241
	v_pk_add_f32 v[16:17], v[62:63], v[100:101]
	v_mov_b32_e32 v18, v127
	v_pk_add_f32 v[16:17], v[16:17], v[120:121]
	v_mov_b32_e32 v21, v19
	s_waitcnt lgkmcnt(3)
	v_pk_mul_f32 v[18:19], v[2:3], v[18:19] op_sel_hi:[1,0]
	v_pk_add_f32 v[16:17], v[16:17], v[20:21]
	v_pk_fma_f32 v[20:21], v[2:3], v[126:127], v[18:19] op_sel:[0,0,1] op_sel_hi:[1,1,0] neg_lo:[0,0,1] neg_hi:[0,0,1]
	v_pk_fma_f32 v[2:3], v[2:3], v[126:127], v[18:19] op_sel:[0,0,1] op_sel_hi:[1,0,0]
	v_mov_b32_e32 v21, v3
	v_pk_add_f32 v[2:3], v[16:17], v[20:21]
	v_mov_b32_e32 v16, v125
	v_pk_mul_f32 v[16:17], v[4:5], v[16:17] op_sel_hi:[1,0]
	v_pk_fma_f32 v[18:19], v[4:5], v[124:125], v[16:17] op_sel:[0,0,1] op_sel_hi:[1,1,0] neg_lo:[0,0,1] neg_hi:[0,0,1]
	v_pk_fma_f32 v[4:5], v[4:5], v[124:125], v[16:17] op_sel:[0,0,1] op_sel_hi:[1,0,0]
	v_mov_b32_e32 v4, v123
	v_mov_b32_e32 v19, v5
	s_waitcnt lgkmcnt(2)
	v_pk_mul_f32 v[4:5], v[6:7], v[4:5] op_sel_hi:[1,0]
	v_pk_fma_f32 v[16:17], v[6:7], v[122:123], v[4:5] op_sel:[0,0,1] op_sel_hi:[1,1,0] neg_lo:[0,0,1] neg_hi:[0,0,1]
	v_pk_fma_f32 v[4:5], v[6:7], v[122:123], v[4:5] op_sel:[0,0,1] op_sel_hi:[1,0,0]
	s_waitcnt vmcnt(1)
	v_mov_b32_e32 v4, v137
	v_mov_b32_e32 v17, v5
	v_pk_mul_f32 v[4:5], v[8:9], v[4:5] op_sel_hi:[1,0]
	s_waitcnt vmcnt(0)
	v_pk_fma_f32 v[6:7], v[8:9], v[136:137], v[4:5] op_sel:[0,0,1] op_sel_hi:[1,1,0] neg_lo:[0,0,1] neg_hi:[0,0,1]
	v_pk_fma_f32 v[4:5], v[8:9], v[136:137], v[4:5] op_sel:[0,0,1] op_sel_hi:[1,0,0]
	v_pk_add_f32 v[2:3], v[2:3], v[18:19]
	v_mov_b32_e32 v4, v135
	v_pk_add_f32 v[2:3], v[2:3], v[16:17]
	v_mov_b32_e32 v7, v5
	s_waitcnt lgkmcnt(1)
	v_pk_mul_f32 v[4:5], v[10:11], v[4:5] op_sel_hi:[1,0]
	v_pk_add_f32 v[2:3], v[2:3], v[6:7]
	v_pk_fma_f32 v[6:7], v[10:11], v[134:135], v[4:5] op_sel:[0,0,1] op_sel_hi:[1,1,0] neg_lo:[0,0,1] neg_hi:[0,0,1]
	v_pk_fma_f32 v[4:5], v[10:11], v[134:135], v[4:5] op_sel:[0,0,1] op_sel_hi:[1,0,0]
	v_mov_b32_e32 v4, v133
	v_mov_b32_e32 v7, v5
	v_pk_mul_f32 v[4:5], v[12:13], v[4:5] op_sel_hi:[1,0]
	v_pk_add_f32 v[2:3], v[2:3], v[6:7]
	v_pk_fma_f32 v[6:7], v[12:13], v[132:133], v[4:5] op_sel:[0,0,1] op_sel_hi:[1,1,0] neg_lo:[0,0,1] neg_hi:[0,0,1]
	v_pk_fma_f32 v[4:5], v[12:13], v[132:133], v[4:5] op_sel:[0,0,1] op_sel_hi:[1,0,0]
	v_mov_b32_e32 v4, v131
	v_mov_b32_e32 v7, v5
	s_waitcnt lgkmcnt(0)
	v_pk_mul_f32 v[4:5], v[14:15], v[4:5] op_sel_hi:[1,0]
	v_pk_add_f32 v[2:3], v[2:3], v[6:7]
	v_pk_fma_f32 v[6:7], v[14:15], v[130:131], v[4:5] op_sel:[0,0,1] op_sel_hi:[1,1,0] neg_lo:[0,0,1] neg_hi:[0,0,1]
	v_pk_fma_f32 v[4:5], v[14:15], v[130:131], v[4:5] op_sel:[0,0,1] op_sel_hi:[1,0,0]
	v_mov_b32_e32 v7, v5
	v_pk_add_f32 v[2:3], v[2:3], v[6:7]
	v_pk_add_f32 v[2:3], v[38:39], v[2:3] neg_lo:[0,1] neg_hi:[0,1]
	buffer_store_dword v3, off, s[0:3], 0 offset:60
	buffer_store_dword v2, off, s[0:3], 0 offset:56
	s_and_saveexec_b64 s[4:5], vcc
	s_cbranch_execz .LBB122_355
; %bb.354:
	buffer_load_dword v2, off, s[0:3], 0 offset:48
	buffer_load_dword v3, off, s[0:3], 0 offset:52
	s_waitcnt vmcnt(0)
	ds_write_b64 v187, v[2:3]
	buffer_store_dword v1, off, s[0:3], 0 offset:48
	buffer_store_dword v1, off, s[0:3], 0 offset:52
.LBB122_355:
	s_or_b64 exec, exec, s[4:5]
	s_waitcnt lgkmcnt(0)
	; wave barrier
	s_waitcnt lgkmcnt(0)
	buffer_load_dword v49, off, s[0:3], 0 offset:60
	buffer_load_dword v48, off, s[0:3], 0 offset:68
	;; [unrolled: 1-line block ×32, first 2 shown]
	ds_read2_b64 v[26:29], v1 offset0:67 offset1:68
	ds_read2_b64 v[22:25], v1 offset0:69 offset1:70
	;; [unrolled: 1-line block ×4, first 2 shown]
	buffer_load_dword v143, off, s[0:3], 0 offset:176
	buffer_load_dword v144, off, s[0:3], 0 offset:180
	ds_read2_b64 v[14:17], v1 offset0:75 offset1:76
	ds_read2_b64 v[6:9], v1 offset0:77 offset1:78
	;; [unrolled: 1-line block ×3, first 2 shown]
	buffer_load_dword v145, off, s[0:3], 0 offset:184
	buffer_load_dword v146, off, s[0:3], 0 offset:188
	;; [unrolled: 1-line block ×16, first 2 shown]
	v_cmp_lt_u32_e32 vcc, 5, v0
	s_waitcnt vmcnt(49) lgkmcnt(6)
	v_mul_f32_e32 v30, v26, v49
	s_waitcnt vmcnt(48)
	v_mul_f32_e32 v31, v28, v48
	s_waitcnt vmcnt(47) lgkmcnt(5)
	v_mul_f32_e32 v33, v24, v47
	s_waitcnt vmcnt(46) lgkmcnt(4)
	v_mul_f32_e32 v34, v18, v46
	s_waitcnt vmcnt(45)
	v_mul_f32_e32 v35, v20, v44
	s_waitcnt vmcnt(44)
	v_mul_f32_e32 v32, v22, v50
	s_waitcnt vmcnt(43) lgkmcnt(3)
	v_mul_f32_e32 v36, v10, v45
	s_waitcnt vmcnt(42)
	v_mul_f32_e32 v37, v12, v51
	s_waitcnt vmcnt(41) lgkmcnt(2)
	;; [unrolled: 4-line block ×3, first 2 shown]
	v_mul_f32_e32 v40, v6, v54
	s_waitcnt vmcnt(38)
	v_mul_f32_e32 v41, v8, v55
	s_waitcnt vmcnt(37)
	v_fmac_f32_e32 v32, v23, v61
	s_waitcnt vmcnt(36)
	v_fmac_f32_e32 v31, v29, v64
	;; [unrolled: 2-line block ×3, first 2 shown]
	v_add_f32_e32 v30, 0, v30
	v_add_f32_e32 v30, v30, v31
	;; [unrolled: 1-line block ×3, first 2 shown]
	s_waitcnt vmcnt(31)
	v_fmac_f32_e32 v33, v25, v65
	v_fmac_f32_e32 v34, v19, v63
	v_add_f32_e32 v30, v30, v33
	v_fmac_f32_e32 v35, v21, v60
	v_add_f32_e32 v30, v30, v34
	;; [unrolled: 2-line block ×3, first 2 shown]
	s_waitcnt vmcnt(27)
	v_fmac_f32_e32 v37, v13, v62
	v_add_f32_e32 v30, v30, v36
	v_fmac_f32_e32 v38, v15, v59
	v_add_f32_e32 v30, v30, v37
	;; [unrolled: 2-line block ×4, first 2 shown]
	s_waitcnt vmcnt(23)
	v_fmac_f32_e32 v41, v9, v139
	v_add_f32_e32 v30, v30, v40
	v_add_f32_e32 v34, v30, v41
	ds_read2_b64 v[30:33], v1 offset0:81 offset1:82
	buffer_load_dword v161, off, s[0:3], 0 offset:248
	buffer_load_dword v162, off, s[0:3], 0 offset:252
	buffer_load_dword v163, off, s[0:3], 0 offset:256
	buffer_load_dword v164, off, s[0:3], 0 offset:260
	buffer_load_dword v165, off, s[0:3], 0 offset:264
	buffer_load_dword v166, off, s[0:3], 0 offset:268
	buffer_load_dword v167, off, s[0:3], 0 offset:272
	buffer_load_dword v168, off, s[0:3], 0 offset:276
	buffer_load_dword v169, off, s[0:3], 0 offset:280
	buffer_load_dword v170, off, s[0:3], 0 offset:284
	buffer_load_dword v171, off, s[0:3], 0 offset:288
	buffer_load_dword v172, off, s[0:3], 0 offset:292
	buffer_load_dword v173, off, s[0:3], 0 offset:296
	buffer_load_dword v174, off, s[0:3], 0 offset:300
	buffer_load_dword v175, off, s[0:3], 0 offset:304
	buffer_load_dword v220, off, s[0:3], 0 offset:308
	s_waitcnt vmcnt(38) lgkmcnt(1)
	v_mul_f32_e32 v35, v2, v140
	v_fmac_f32_e32 v35, v3, v138
	v_add_f32_e32 v34, v34, v35
	s_waitcnt vmcnt(37)
	v_mul_f32_e32 v35, v4, v141
	v_fmac_f32_e32 v35, v5, v126
	v_add_f32_e32 v34, v34, v35
	s_waitcnt vmcnt(36) lgkmcnt(0)
	v_mul_f32_e32 v35, v30, v142
	v_fmac_f32_e32 v35, v31, v66
	v_add_f32_e32 v34, v34, v35
	s_waitcnt vmcnt(32)
	v_mul_f32_e32 v35, v32, v144
	v_fmac_f32_e32 v35, v33, v143
	v_add_f32_e32 v67, v34, v35
	ds_read2_b64 v[34:37], v1 offset0:83 offset1:84
	buffer_load_dword v221, off, s[0:3], 0 offset:312
	buffer_load_dword v222, off, s[0:3], 0 offset:316
	ds_read2_b64 v[38:41], v1 offset0:85 offset1:86
	buffer_load_dword v223, off, s[0:3], 0 offset:320
	buffer_load_dword v224, off, s[0:3], 0 offset:324
	;; [unrolled: 1-line block ×4, first 2 shown]
	s_waitcnt vmcnt(36) lgkmcnt(1)
	v_mul_f32_e32 v68, v34, v146
	v_fmac_f32_e32 v68, v35, v145
	v_add_f32_e32 v67, v67, v68
	s_waitcnt vmcnt(34)
	v_mul_f32_e32 v68, v36, v148
	v_fmac_f32_e32 v68, v37, v147
	v_add_f32_e32 v67, v67, v68
	s_waitcnt vmcnt(32) lgkmcnt(0)
	v_mul_f32_e32 v68, v38, v150
	v_fmac_f32_e32 v68, v39, v149
	buffer_load_dword v227, off, s[0:3], 0 offset:336
	buffer_load_dword v228, off, s[0:3], 0 offset:340
	;; [unrolled: 1-line block ×8, first 2 shown]
	v_add_f32_e32 v67, v67, v68
	buffer_load_dword v235, off, s[0:3], 0 offset:368
	buffer_load_dword v236, off, s[0:3], 0 offset:372
	;; [unrolled: 1-line block ×4, first 2 shown]
	ds_read2_b64 v[68:71], v1 offset0:87 offset1:88
	s_waitcnt vmcnt(42)
	v_mul_f32_e32 v72, v40, v152
	v_fmac_f32_e32 v72, v41, v151
	buffer_load_dword v239, off, s[0:3], 0 offset:384
	buffer_load_dword v240, off, s[0:3], 0 offset:388
	v_add_f32_e32 v67, v67, v72
	buffer_load_dword v241, off, s[0:3], 0 offset:392
	buffer_load_dword v242, off, s[0:3], 0 offset:396
	ds_read2_b64 v[72:75], v1 offset0:89 offset1:90
	s_waitcnt vmcnt(44) lgkmcnt(1)
	v_mul_f32_e32 v76, v68, v154
	v_fmac_f32_e32 v76, v69, v153
	v_add_f32_e32 v67, v67, v76
	s_waitcnt vmcnt(42)
	v_mul_f32_e32 v76, v70, v156
	v_fmac_f32_e32 v76, v71, v155
	v_add_f32_e32 v67, v67, v76
	s_waitcnt vmcnt(40) lgkmcnt(0)
	v_mul_f32_e32 v76, v72, v158
	v_fmac_f32_e32 v76, v73, v157
	buffer_load_dword v243, off, s[0:3], 0 offset:400
	buffer_load_dword v244, off, s[0:3], 0 offset:404
	v_add_f32_e32 v67, v67, v76
	ds_read2_b64 v[76:79], v1 offset0:91 offset1:92
	s_waitcnt vmcnt(40)
	v_mul_f32_e32 v80, v74, v160
	v_fmac_f32_e32 v80, v75, v159
	v_add_f32_e32 v67, v67, v80
	ds_read2_b64 v[80:83], v1 offset0:93 offset1:94
	ds_read2_b64 v[104:107], v1 offset0:103 offset1:104
	;; [unrolled: 1-line block ×5, first 2 shown]
	v_mul_f32_e32 v27, v27, v49
	v_fma_f32 v26, v26, v100, -v27
	v_mul_f32_e32 v27, v29, v48
	v_add_f32_e32 v26, 0, v26
	v_fma_f32 v27, v28, v64, -v27
	v_mul_f32_e32 v23, v23, v50
	v_add_f32_e32 v26, v26, v27
	;; [unrolled: 3-line block ×4, first 2 shown]
	v_fma_f32 v18, v18, v63, -v19
	s_waitcnt vmcnt(38) lgkmcnt(5)
	v_mul_f32_e32 v84, v76, v162
	v_fmac_f32_e32 v84, v77, v161
	v_add_f32_e32 v67, v67, v84
	s_waitcnt vmcnt(36)
	v_mul_f32_e32 v84, v78, v164
	v_fmac_f32_e32 v84, v79, v163
	v_add_f32_e32 v67, v67, v84
	s_waitcnt vmcnt(34) lgkmcnt(4)
	v_mul_f32_e32 v84, v80, v166
	v_fmac_f32_e32 v84, v81, v165
	v_add_f32_e32 v67, v67, v84
	ds_read2_b64 v[84:87], v1 offset0:95 offset1:96
	s_waitcnt vmcnt(32)
	v_mul_f32_e32 v88, v82, v168
	v_fmac_f32_e32 v88, v83, v167
	v_add_f32_e32 v67, v67, v88
	ds_read2_b64 v[88:91], v1 offset0:97 offset1:98
	s_waitcnt vmcnt(30) lgkmcnt(1)
	v_mul_f32_e32 v92, v84, v170
	v_fmac_f32_e32 v92, v85, v169
	v_add_f32_e32 v67, v67, v92
	s_waitcnt vmcnt(28)
	v_mul_f32_e32 v92, v86, v172
	v_fmac_f32_e32 v92, v87, v171
	v_add_f32_e32 v67, v67, v92
	s_waitcnt vmcnt(26) lgkmcnt(0)
	v_mul_f32_e32 v92, v88, v174
	v_fmac_f32_e32 v92, v89, v173
	s_waitcnt vmcnt(24)
	v_mul_f32_e32 v96, v90, v220
	v_add_f32_e32 v67, v67, v92
	v_fmac_f32_e32 v96, v91, v175
	ds_read2_b64 v[92:95], v1 offset0:99 offset1:100
	v_add_f32_e32 v67, v67, v96
	ds_read2_b64 v[96:99], v1 offset0:101 offset1:102
	buffer_load_dword v121, off, s[0:3], 0 offset:428
	buffer_load_dword v120, off, s[0:3], 0 offset:424
	;; [unrolled: 1-line block ×6, first 2 shown]
	v_mul_f32_e32 v19, v21, v44
	v_add_f32_e32 v18, v22, v18
	v_fma_f32 v19, v20, v60, -v19
	v_mul_f32_e32 v11, v11, v45
	v_add_f32_e32 v18, v18, v19
	v_fma_f32 v10, v10, v58, -v11
	;; [unrolled: 3-line block ×3, first 2 shown]
	buffer_load_dword v129, off, s[0:3], 0 offset:460
	buffer_load_dword v128, off, s[0:3], 0 offset:456
	;; [unrolled: 1-line block ×10, first 2 shown]
	v_add_f32_e32 v10, v10, v11
	v_mul_f32_e32 v11, v15, v52
	v_fma_f32 v11, v14, v59, -v11
	v_add_f32_e32 v10, v10, v11
	v_mul_f32_e32 v11, v17, v53
	v_fma_f32 v11, v16, v57, -v11
	v_mul_f32_e32 v7, v7, v54
	v_add_f32_e32 v10, v10, v11
	v_fma_f32 v6, v6, v56, -v7
	v_mul_f32_e32 v7, v9, v55
	v_add_f32_e32 v6, v10, v6
	;; [unrolled: 3-line block ×4, first 2 shown]
	v_fma_f32 v3, v4, v126, -v3
	v_add_f32_e32 v2, v2, v3
	v_mul_f32_e32 v3, v31, v142
	v_fma_f32 v3, v30, v66, -v3
	v_add_f32_e32 v2, v2, v3
	v_mul_f32_e32 v3, v33, v144
	;; [unrolled: 3-line block ×18, first 2 shown]
	v_fma_f32 v3, v90, v175, -v3
	v_add_f32_e32 v2, v2, v3
	s_waitcnt vmcnt(38) lgkmcnt(1)
	v_mul_f32_e32 v3, v93, v222
	v_fma_f32 v3, v92, v221, -v3
	v_add_f32_e32 v2, v2, v3
	s_waitcnt vmcnt(36)
	v_mul_f32_e32 v3, v95, v224
	v_mul_f32_e32 v101, v92, v222
	v_fma_f32 v3, v94, v223, -v3
	v_fmac_f32_e32 v101, v93, v221
	v_add_f32_e32 v2, v2, v3
	s_waitcnt vmcnt(34) lgkmcnt(0)
	v_mul_f32_e32 v3, v97, v226
	v_add_f32_e32 v67, v67, v101
	v_mul_f32_e32 v101, v94, v224
	v_fma_f32 v3, v96, v225, -v3
	v_fmac_f32_e32 v101, v95, v223
	v_add_f32_e32 v2, v2, v3
	s_waitcnt vmcnt(32)
	v_mul_f32_e32 v3, v99, v228
	v_add_f32_e32 v67, v67, v101
	v_mul_f32_e32 v101, v96, v226
	v_fma_f32 v3, v98, v227, -v3
	v_fmac_f32_e32 v101, v97, v225
	v_add_f32_e32 v2, v2, v3
	s_waitcnt vmcnt(30)
	;; [unrolled: 7-line block ×8, first 2 shown]
	v_mul_f32_e32 v2, v117, v242
	v_add_f32_e32 v67, v67, v101
	v_mul_f32_e32 v101, v114, v240
	v_fma_f32 v100, v116, v241, -v2
	s_waitcnt vmcnt(16)
	v_mul_f32_e32 v2, v119, v244
	v_fmac_f32_e32 v101, v115, v239
	v_fma_f32 v126, v118, v243, -v2
	ds_read2_b64 v[2:5], v1 offset0:111 offset1:112
	ds_read2_b64 v[6:9], v1 offset0:113 offset1:114
	;; [unrolled: 1-line block ×4, first 2 shown]
	v_add_f32_e32 v67, v67, v101
	v_mul_f32_e32 v101, v116, v242
	s_waitcnt vmcnt(11)
	v_mov_b32_e32 v20, v125
	v_fmac_f32_e32 v101, v117, v241
	v_mul_f32_e32 v127, v118, v244
	s_waitcnt lgkmcnt(3)
	v_pk_mul_f32 v[20:21], v[2:3], v[20:21] op_sel_hi:[1,0]
	v_fmac_f32_e32 v127, v119, v243
	v_pk_add_f32 v[18:19], v[66:67], v[100:101]
	s_waitcnt vmcnt(10)
	v_pk_fma_f32 v[22:23], v[2:3], v[124:125], v[20:21] op_sel:[0,0,1] op_sel_hi:[1,1,0] neg_lo:[0,0,1] neg_hi:[0,0,1]
	v_pk_fma_f32 v[2:3], v[2:3], v[124:125], v[20:21] op_sel:[0,0,1] op_sel_hi:[1,0,0]
	v_pk_add_f32 v[18:19], v[18:19], v[126:127]
	v_mov_b32_e32 v23, v3
	v_pk_add_f32 v[2:3], v[18:19], v[22:23]
	v_mov_b32_e32 v18, v123
	v_pk_mul_f32 v[18:19], v[4:5], v[18:19] op_sel_hi:[1,0]
	v_pk_fma_f32 v[20:21], v[4:5], v[122:123], v[18:19] op_sel:[0,0,1] op_sel_hi:[1,1,0] neg_lo:[0,0,1] neg_hi:[0,0,1]
	v_pk_fma_f32 v[4:5], v[4:5], v[122:123], v[18:19] op_sel:[0,0,1] op_sel_hi:[1,0,0]
	v_mov_b32_e32 v4, v121
	v_mov_b32_e32 v21, v5
	s_waitcnt lgkmcnt(2)
	v_pk_mul_f32 v[4:5], v[6:7], v[4:5] op_sel_hi:[1,0]
	v_pk_fma_f32 v[18:19], v[6:7], v[120:121], v[4:5] op_sel:[0,0,1] op_sel_hi:[1,1,0] neg_lo:[0,0,1] neg_hi:[0,0,1]
	v_pk_fma_f32 v[4:5], v[6:7], v[120:121], v[4:5] op_sel:[0,0,1] op_sel_hi:[1,0,0]
	s_waitcnt vmcnt(3)
	v_mov_b32_e32 v4, v135
	v_mov_b32_e32 v19, v5
	v_pk_mul_f32 v[4:5], v[8:9], v[4:5] op_sel_hi:[1,0]
	s_waitcnt vmcnt(2)
	v_pk_fma_f32 v[6:7], v[8:9], v[134:135], v[4:5] op_sel:[0,0,1] op_sel_hi:[1,1,0] neg_lo:[0,0,1] neg_hi:[0,0,1]
	v_pk_fma_f32 v[4:5], v[8:9], v[134:135], v[4:5] op_sel:[0,0,1] op_sel_hi:[1,0,0]
	v_pk_add_f32 v[2:3], v[2:3], v[20:21]
	v_mov_b32_e32 v4, v133
	v_pk_add_f32 v[2:3], v[2:3], v[18:19]
	v_mov_b32_e32 v7, v5
	s_waitcnt lgkmcnt(1)
	v_pk_mul_f32 v[4:5], v[10:11], v[4:5] op_sel_hi:[1,0]
	v_pk_add_f32 v[2:3], v[2:3], v[6:7]
	v_pk_fma_f32 v[6:7], v[10:11], v[132:133], v[4:5] op_sel:[0,0,1] op_sel_hi:[1,1,0] neg_lo:[0,0,1] neg_hi:[0,0,1]
	v_pk_fma_f32 v[4:5], v[10:11], v[132:133], v[4:5] op_sel:[0,0,1] op_sel_hi:[1,0,0]
	v_mov_b32_e32 v4, v131
	v_mov_b32_e32 v7, v5
	v_pk_mul_f32 v[4:5], v[12:13], v[4:5] op_sel_hi:[1,0]
	v_pk_add_f32 v[2:3], v[2:3], v[6:7]
	v_pk_fma_f32 v[6:7], v[12:13], v[130:131], v[4:5] op_sel:[0,0,1] op_sel_hi:[1,1,0] neg_lo:[0,0,1] neg_hi:[0,0,1]
	v_pk_fma_f32 v[4:5], v[12:13], v[130:131], v[4:5] op_sel:[0,0,1] op_sel_hi:[1,0,0]
	v_mov_b32_e32 v4, v129
	v_mov_b32_e32 v7, v5
	s_waitcnt lgkmcnt(0)
	v_pk_mul_f32 v[4:5], v[14:15], v[4:5] op_sel_hi:[1,0]
	v_pk_add_f32 v[2:3], v[2:3], v[6:7]
	v_pk_fma_f32 v[6:7], v[14:15], v[128:129], v[4:5] op_sel:[0,0,1] op_sel_hi:[1,1,0] neg_lo:[0,0,1] neg_hi:[0,0,1]
	v_pk_fma_f32 v[4:5], v[14:15], v[128:129], v[4:5] op_sel:[0,0,1] op_sel_hi:[1,0,0]
	s_waitcnt vmcnt(1)
	v_mov_b32_e32 v4, v137
	v_mov_b32_e32 v7, v5
	v_pk_mul_f32 v[4:5], v[16:17], v[4:5] op_sel_hi:[1,0]
	v_pk_add_f32 v[2:3], v[2:3], v[6:7]
	s_waitcnt vmcnt(0)
	v_pk_fma_f32 v[6:7], v[16:17], v[136:137], v[4:5] op_sel:[0,0,1] op_sel_hi:[1,1,0] neg_lo:[0,0,1] neg_hi:[0,0,1]
	v_pk_fma_f32 v[4:5], v[16:17], v[136:137], v[4:5] op_sel:[0,0,1] op_sel_hi:[1,0,0]
	v_mov_b32_e32 v7, v5
	v_pk_add_f32 v[2:3], v[2:3], v[6:7]
	v_pk_add_f32 v[2:3], v[42:43], v[2:3] neg_lo:[0,1] neg_hi:[0,1]
	buffer_store_dword v3, off, s[0:3], 0 offset:52
	buffer_store_dword v2, off, s[0:3], 0 offset:48
	s_and_saveexec_b64 s[4:5], vcc
	s_cbranch_execz .LBB122_357
; %bb.356:
	buffer_load_dword v2, off, s[0:3], 0 offset:40
	buffer_load_dword v3, off, s[0:3], 0 offset:44
	v_mov_b32_e32 v1, 0
	buffer_store_dword v1, off, s[0:3], 0 offset:40
	buffer_store_dword v1, off, s[0:3], 0 offset:44
	s_waitcnt vmcnt(2)
	ds_write_b64 v187, v[2:3]
.LBB122_357:
	s_or_b64 exec, exec, s[4:5]
	v_mov_b32_e32 v236, 0
	s_waitcnt lgkmcnt(0)
	; wave barrier
	s_waitcnt lgkmcnt(0)
	ds_read_b128 v[2:5], v236 offset:528
	buffer_load_dword v94, off, s[0:3], 0 offset:40
	buffer_load_dword v95, off, s[0:3], 0 offset:44
	;; [unrolled: 1-line block ×16, first 2 shown]
	v_cmp_lt_u32_e32 vcc, 4, v0
	s_waitcnt vmcnt(12) lgkmcnt(0)
	v_mul_f32_e32 v6, v2, v104
	v_fmac_f32_e32 v6, v3, v1
	s_waitcnt vmcnt(10)
	v_mul_f32_e32 v7, v4, v220
	v_add_f32_e32 v6, 0, v6
	v_fmac_f32_e32 v7, v5, v96
	v_add_f32_e32 v10, v6, v7
	ds_read_b128 v[6:9], v236 offset:544
	v_mul_f32_e32 v3, v3, v104
	v_fma_f32 v1, v2, v1, -v3
	v_mul_f32_e32 v2, v5, v220
	v_add_f32_e32 v1, 0, v1
	s_waitcnt vmcnt(8) lgkmcnt(0)
	v_mul_f32_e32 v11, v6, v238
	v_fmac_f32_e32 v11, v7, v98
	v_add_f32_e32 v10, v10, v11
	s_waitcnt vmcnt(6)
	v_mul_f32_e32 v11, v8, v240
	v_fmac_f32_e32 v11, v9, v105
	v_add_f32_e32 v14, v10, v11
	ds_read_b128 v[10:13], v236 offset:560
	v_fma_f32 v2, v4, v96, -v2
	v_add_f32_e32 v1, v1, v2
	v_mul_f32_e32 v2, v7, v238
	v_fma_f32 v2, v6, v98, -v2
	s_waitcnt vmcnt(4) lgkmcnt(0)
	v_mul_f32_e32 v15, v10, v242
	v_fmac_f32_e32 v15, v11, v237
	v_add_f32_e32 v14, v14, v15
	s_waitcnt vmcnt(2)
	v_mul_f32_e32 v15, v12, v243
	v_fmac_f32_e32 v15, v13, v239
	v_add_f32_e32 v18, v14, v15
	ds_read_b128 v[14:17], v236 offset:576
	buffer_load_dword v106, off, s[0:3], 0 offset:104
	buffer_load_dword v107, off, s[0:3], 0 offset:108
	v_add_f32_e32 v1, v1, v2
	v_mul_f32_e32 v2, v9, v240
	v_fma_f32 v2, v8, v105, -v2
	s_waitcnt vmcnt(2) lgkmcnt(0)
	v_mul_f32_e32 v19, v14, v244
	v_fmac_f32_e32 v19, v15, v241
	v_add_f32_e32 v18, v18, v19
	v_add_f32_e32 v1, v1, v2
	v_mul_f32_e32 v2, v11, v242
	v_fma_f32 v2, v10, v237, -v2
	v_add_f32_e32 v1, v1, v2
	v_mul_f32_e32 v2, v13, v243
	v_fma_f32 v2, v12, v239, -v2
	;; [unrolled: 3-line block ×3, first 2 shown]
	v_add_f32_e32 v1, v1, v2
	s_waitcnt vmcnt(0)
	v_mul_f32_e32 v19, v16, v107
	v_fmac_f32_e32 v19, v17, v106
	v_add_f32_e32 v22, v18, v19
	ds_read_b128 v[18:21], v236 offset:592
	buffer_load_dword v108, off, s[0:3], 0 offset:112
	buffer_load_dword v109, off, s[0:3], 0 offset:116
	;; [unrolled: 1-line block ×4, first 2 shown]
	v_mul_f32_e32 v2, v17, v107
	v_fma_f32 v2, v16, v106, -v2
	v_add_f32_e32 v1, v1, v2
	s_waitcnt vmcnt(2) lgkmcnt(0)
	v_mul_f32_e32 v23, v18, v109
	v_fmac_f32_e32 v23, v19, v108
	v_add_f32_e32 v22, v22, v23
	s_waitcnt vmcnt(0)
	v_mul_f32_e32 v23, v20, v111
	v_fmac_f32_e32 v23, v21, v110
	v_add_f32_e32 v26, v22, v23
	ds_read_b128 v[22:25], v236 offset:608
	buffer_load_dword v112, off, s[0:3], 0 offset:128
	buffer_load_dword v113, off, s[0:3], 0 offset:132
	buffer_load_dword v114, off, s[0:3], 0 offset:136
	buffer_load_dword v115, off, s[0:3], 0 offset:140
	v_mul_f32_e32 v2, v19, v109
	v_fma_f32 v2, v18, v108, -v2
	v_add_f32_e32 v1, v1, v2
	v_mul_f32_e32 v2, v21, v111
	v_fma_f32 v2, v20, v110, -v2
	v_add_f32_e32 v1, v1, v2
	s_waitcnt vmcnt(2) lgkmcnt(0)
	v_mul_f32_e32 v27, v22, v113
	v_fmac_f32_e32 v27, v23, v112
	v_add_f32_e32 v26, v26, v27
	s_waitcnt vmcnt(0)
	v_mul_f32_e32 v27, v24, v115
	v_fmac_f32_e32 v27, v25, v114
	v_add_f32_e32 v30, v26, v27
	ds_read_b128 v[26:29], v236 offset:624
	buffer_load_dword v116, off, s[0:3], 0 offset:144
	buffer_load_dword v117, off, s[0:3], 0 offset:148
	buffer_load_dword v118, off, s[0:3], 0 offset:152
	buffer_load_dword v119, off, s[0:3], 0 offset:156
	v_mul_f32_e32 v2, v23, v113
	v_fma_f32 v2, v22, v112, -v2
	v_add_f32_e32 v1, v1, v2
	;; [unrolled: 19-line block ×4, first 2 shown]
	v_mul_f32_e32 v2, v33, v123
	v_fma_f32 v2, v32, v122, -v2
	v_add_f32_e32 v1, v1, v2
	s_waitcnt vmcnt(2) lgkmcnt(0)
	v_mul_f32_e32 v39, v34, v125
	v_fmac_f32_e32 v39, v35, v124
	v_add_f32_e32 v38, v38, v39
	s_waitcnt vmcnt(0)
	v_mul_f32_e32 v39, v36, v127
	v_fmac_f32_e32 v39, v37, v126
	v_add_f32_e32 v42, v38, v39
	ds_read_b128 v[38:41], v236 offset:672
	buffer_load_dword v128, off, s[0:3], 0 offset:192
	buffer_load_dword v129, off, s[0:3], 0 offset:196
	buffer_load_dword v130, off, s[0:3], 0 offset:200
	buffer_load_dword v131, off, s[0:3], 0 offset:204
	ds_read_b128 v[46:49], v236 offset:688
	buffer_load_dword v132, off, s[0:3], 0 offset:208
	buffer_load_dword v133, off, s[0:3], 0 offset:212
	buffer_load_dword v134, off, s[0:3], 0 offset:216
	buffer_load_dword v135, off, s[0:3], 0 offset:220
	;; [unrolled: 5-line block ×13, first 2 shown]
	v_mul_f32_e32 v2, v35, v125
	v_fma_f32 v2, v34, v124, -v2
	v_add_f32_e32 v1, v1, v2
	v_mul_f32_e32 v2, v37, v127
	v_fma_f32 v2, v36, v126, -v2
	v_add_f32_e32 v1, v1, v2
	s_waitcnt vmcnt(50) lgkmcnt(12)
	v_mul_f32_e32 v43, v38, v129
	v_fmac_f32_e32 v43, v39, v128
	v_add_f32_e32 v42, v42, v43
	s_waitcnt vmcnt(48)
	v_mul_f32_e32 v43, v40, v131
	v_fmac_f32_e32 v43, v41, v130
	v_add_f32_e32 v42, v42, v43
	s_waitcnt vmcnt(46) lgkmcnt(11)
	v_mul_f32_e32 v43, v46, v133
	v_fmac_f32_e32 v43, v47, v132
	v_add_f32_e32 v42, v42, v43
	s_waitcnt vmcnt(44)
	v_mul_f32_e32 v43, v48, v135
	v_fmac_f32_e32 v43, v49, v134
	v_add_f32_e32 v42, v42, v43
	s_waitcnt vmcnt(42) lgkmcnt(10)
	v_mul_f32_e32 v43, v50, v137
	v_fmac_f32_e32 v43, v51, v136
	v_add_f32_e32 v42, v42, v43
	s_waitcnt vmcnt(40)
	v_mul_f32_e32 v43, v52, v138
	v_fmac_f32_e32 v43, v53, v245
	v_add_f32_e32 v42, v42, v43
	s_waitcnt vmcnt(38) lgkmcnt(9)
	v_mul_f32_e32 v43, v54, v140
	v_fmac_f32_e32 v43, v55, v139
	v_add_f32_e32 v42, v42, v43
	s_waitcnt vmcnt(36)
	v_mul_f32_e32 v43, v56, v142
	v_fmac_f32_e32 v43, v57, v141
	v_add_f32_e32 v42, v42, v43
	s_waitcnt vmcnt(34) lgkmcnt(8)
	v_mul_f32_e32 v43, v58, v144
	v_fmac_f32_e32 v43, v59, v143
	v_add_f32_e32 v42, v42, v43
	s_waitcnt vmcnt(32)
	v_mul_f32_e32 v43, v60, v146
	v_fmac_f32_e32 v43, v61, v145
	v_add_f32_e32 v42, v42, v43
	s_waitcnt vmcnt(30) lgkmcnt(7)
	v_mul_f32_e32 v43, v62, v148
	v_fmac_f32_e32 v43, v63, v147
	v_add_f32_e32 v42, v42, v43
	s_waitcnt vmcnt(28)
	v_mul_f32_e32 v43, v64, v150
	v_fmac_f32_e32 v43, v65, v149
	v_add_f32_e32 v42, v42, v43
	s_waitcnt vmcnt(26) lgkmcnt(6)
	v_mul_f32_e32 v43, v66, v152
	v_fmac_f32_e32 v43, v67, v151
	v_add_f32_e32 v42, v42, v43
	s_waitcnt vmcnt(24)
	v_mul_f32_e32 v43, v68, v154
	v_fmac_f32_e32 v43, v69, v153
	v_add_f32_e32 v42, v42, v43
	s_waitcnt vmcnt(22) lgkmcnt(5)
	v_mul_f32_e32 v43, v70, v156
	v_fmac_f32_e32 v43, v71, v155
	v_add_f32_e32 v42, v42, v43
	s_waitcnt vmcnt(20)
	v_mul_f32_e32 v43, v72, v158
	v_fmac_f32_e32 v43, v73, v157
	v_add_f32_e32 v42, v42, v43
	s_waitcnt vmcnt(18) lgkmcnt(4)
	v_mul_f32_e32 v43, v74, v160
	v_fmac_f32_e32 v43, v75, v159
	v_add_f32_e32 v42, v42, v43
	s_waitcnt vmcnt(16)
	v_mul_f32_e32 v43, v76, v162
	v_fmac_f32_e32 v43, v77, v161
	v_add_f32_e32 v42, v42, v43
	s_waitcnt vmcnt(14) lgkmcnt(3)
	v_mul_f32_e32 v43, v78, v164
	v_fmac_f32_e32 v43, v79, v163
	v_add_f32_e32 v42, v42, v43
	s_waitcnt vmcnt(12)
	v_mul_f32_e32 v43, v80, v166
	v_fmac_f32_e32 v43, v81, v165
	v_add_f32_e32 v42, v42, v43
	s_waitcnt vmcnt(10) lgkmcnt(2)
	v_mul_f32_e32 v43, v82, v168
	v_fmac_f32_e32 v43, v83, v167
	v_add_f32_e32 v42, v42, v43
	s_waitcnt vmcnt(8)
	v_mul_f32_e32 v43, v84, v170
	v_fmac_f32_e32 v43, v85, v169
	v_add_f32_e32 v42, v42, v43
	s_waitcnt vmcnt(6) lgkmcnt(1)
	v_mul_f32_e32 v43, v86, v172
	v_fmac_f32_e32 v43, v87, v171
	v_add_f32_e32 v42, v42, v43
	s_waitcnt vmcnt(4)
	v_mul_f32_e32 v43, v88, v174
	v_fmac_f32_e32 v43, v89, v173
	v_add_f32_e32 v42, v42, v43
	s_waitcnt vmcnt(2) lgkmcnt(0)
	v_mul_f32_e32 v43, v90, v246
	v_fmac_f32_e32 v43, v91, v175
	v_add_f32_e32 v97, v42, v43
	ds_read_b128 v[42:45], v236 offset:880
	buffer_load_dword v249, off, s[0:3], 0 offset:400
	buffer_load_dword v250, off, s[0:3], 0 offset:404
	;; [unrolled: 1-line block ×18, first 2 shown]
	v_mul_f32_e32 v2, v39, v129
	v_fma_f32 v2, v38, v128, -v2
	v_add_f32_e32 v1, v1, v2
	v_mul_f32_e32 v2, v41, v131
	v_fma_f32 v2, v40, v130, -v2
	v_add_f32_e32 v1, v1, v2
	;; [unrolled: 3-line block ×24, first 2 shown]
	v_mul_f32_e32 v2, v91, v246
	v_fma_f32 v2, v90, v175, -v2
	s_waitcnt vmcnt(15)
	v_mov_b32_e32 v18, v101
	v_mul_f32_e32 v99, v92, v248
	v_add_f32_e32 v96, v1, v2
	v_mul_f32_e32 v1, v93, v248
	s_waitcnt lgkmcnt(0)
	v_pk_mul_f32 v[18:19], v[44:45], v[18:19] op_sel_hi:[1,0]
	v_fmac_f32_e32 v99, v93, v247
	v_mul_f32_e32 v221, v42, v250
	v_fma_f32 v98, v92, v247, -v1
	v_mul_f32_e32 v1, v43, v250
	ds_read_b128 v[2:5], v236 offset:896
	ds_read_b128 v[6:9], v236 offset:912
	;; [unrolled: 1-line block ×3, first 2 shown]
	ds_read_b64 v[14:15], v236 offset:944
	s_waitcnt vmcnt(14)
	v_pk_fma_f32 v[20:21], v[44:45], v[100:101], v[18:19] op_sel:[0,0,1] op_sel_hi:[1,1,0] neg_lo:[0,0,1] neg_hi:[0,0,1]
	v_pk_fma_f32 v[18:19], v[44:45], v[100:101], v[18:19] op_sel:[0,0,1] op_sel_hi:[1,0,0]
	v_fmac_f32_e32 v221, v43, v249
	v_fma_f32 v220, v42, v249, -v1
	v_pk_add_f32 v[16:17], v[96:97], v[98:99]
	s_waitcnt vmcnt(13)
	v_mov_b32_e32 v18, v235
	v_pk_add_f32 v[16:17], v[16:17], v[220:221]
	v_mov_b32_e32 v21, v19
	s_waitcnt lgkmcnt(3)
	v_pk_mul_f32 v[18:19], v[2:3], v[18:19] op_sel_hi:[1,0]
	v_pk_add_f32 v[16:17], v[16:17], v[20:21]
	s_waitcnt vmcnt(12)
	v_pk_fma_f32 v[20:21], v[2:3], v[234:235], v[18:19] op_sel:[0,0,1] op_sel_hi:[1,1,0] neg_lo:[0,0,1] neg_hi:[0,0,1]
	v_pk_fma_f32 v[2:3], v[2:3], v[234:235], v[18:19] op_sel:[0,0,1] op_sel_hi:[1,0,0]
	v_mov_b32_e32 v21, v3
	v_pk_add_f32 v[2:3], v[16:17], v[20:21]
	s_waitcnt vmcnt(11)
	v_mov_b32_e32 v16, v233
	v_pk_mul_f32 v[16:17], v[4:5], v[16:17] op_sel_hi:[1,0]
	s_waitcnt vmcnt(10)
	v_pk_fma_f32 v[18:19], v[4:5], v[232:233], v[16:17] op_sel:[0,0,1] op_sel_hi:[1,1,0] neg_lo:[0,0,1] neg_hi:[0,0,1]
	v_pk_fma_f32 v[4:5], v[4:5], v[232:233], v[16:17] op_sel:[0,0,1] op_sel_hi:[1,0,0]
	s_waitcnt vmcnt(9)
	v_mov_b32_e32 v4, v231
	v_mov_b32_e32 v19, v5
	s_waitcnt lgkmcnt(2)
	v_pk_mul_f32 v[4:5], v[6:7], v[4:5] op_sel_hi:[1,0]
	s_waitcnt vmcnt(8)
	v_pk_fma_f32 v[16:17], v[6:7], v[230:231], v[4:5] op_sel:[0,0,1] op_sel_hi:[1,1,0] neg_lo:[0,0,1] neg_hi:[0,0,1]
	v_pk_fma_f32 v[4:5], v[6:7], v[230:231], v[4:5] op_sel:[0,0,1] op_sel_hi:[1,0,0]
	s_waitcnt vmcnt(7)
	v_mov_b32_e32 v4, v229
	v_mov_b32_e32 v17, v5
	v_pk_mul_f32 v[4:5], v[8:9], v[4:5] op_sel_hi:[1,0]
	s_waitcnt vmcnt(6)
	v_pk_fma_f32 v[6:7], v[8:9], v[228:229], v[4:5] op_sel:[0,0,1] op_sel_hi:[1,1,0] neg_lo:[0,0,1] neg_hi:[0,0,1]
	v_pk_fma_f32 v[4:5], v[8:9], v[228:229], v[4:5] op_sel:[0,0,1] op_sel_hi:[1,0,0]
	v_pk_add_f32 v[2:3], v[2:3], v[18:19]
	s_waitcnt vmcnt(5)
	v_mov_b32_e32 v4, v227
	v_pk_add_f32 v[2:3], v[2:3], v[16:17]
	v_mov_b32_e32 v7, v5
	s_waitcnt lgkmcnt(1)
	v_pk_mul_f32 v[4:5], v[10:11], v[4:5] op_sel_hi:[1,0]
	v_pk_add_f32 v[2:3], v[2:3], v[6:7]
	s_waitcnt vmcnt(4)
	v_pk_fma_f32 v[6:7], v[10:11], v[226:227], v[4:5] op_sel:[0,0,1] op_sel_hi:[1,1,0] neg_lo:[0,0,1] neg_hi:[0,0,1]
	v_pk_fma_f32 v[4:5], v[10:11], v[226:227], v[4:5] op_sel:[0,0,1] op_sel_hi:[1,0,0]
	s_waitcnt vmcnt(3)
	v_mov_b32_e32 v4, v225
	v_mov_b32_e32 v7, v5
	v_pk_mul_f32 v[4:5], v[12:13], v[4:5] op_sel_hi:[1,0]
	v_pk_add_f32 v[2:3], v[2:3], v[6:7]
	s_waitcnt vmcnt(2)
	v_pk_fma_f32 v[6:7], v[12:13], v[224:225], v[4:5] op_sel:[0,0,1] op_sel_hi:[1,1,0] neg_lo:[0,0,1] neg_hi:[0,0,1]
	v_pk_fma_f32 v[4:5], v[12:13], v[224:225], v[4:5] op_sel:[0,0,1] op_sel_hi:[1,0,0]
	s_waitcnt vmcnt(1)
	v_mov_b32_e32 v4, v223
	v_mov_b32_e32 v7, v5
	s_waitcnt lgkmcnt(0)
	v_pk_mul_f32 v[4:5], v[14:15], v[4:5] op_sel_hi:[1,0]
	v_pk_add_f32 v[2:3], v[2:3], v[6:7]
	s_waitcnt vmcnt(0)
	v_pk_fma_f32 v[6:7], v[14:15], v[222:223], v[4:5] op_sel:[0,0,1] op_sel_hi:[1,1,0] neg_lo:[0,0,1] neg_hi:[0,0,1]
	v_pk_fma_f32 v[4:5], v[14:15], v[222:223], v[4:5] op_sel:[0,0,1] op_sel_hi:[1,0,0]
	v_mov_b32_e32 v7, v5
	v_pk_add_f32 v[2:3], v[2:3], v[6:7]
	v_pk_add_f32 v[2:3], v[94:95], v[2:3] neg_lo:[0,1] neg_hi:[0,1]
	buffer_store_dword v3, off, s[0:3], 0 offset:44
	buffer_store_dword v2, off, s[0:3], 0 offset:40
	s_and_saveexec_b64 s[4:5], vcc
	s_cbranch_execz .LBB122_359
; %bb.358:
	buffer_load_dword v2, off, s[0:3], 0 offset:32
	buffer_load_dword v3, off, s[0:3], 0 offset:36
	s_waitcnt vmcnt(0)
	ds_write_b64 v187, v[2:3]
	buffer_store_dword v236, off, s[0:3], 0 offset:32
	buffer_store_dword v236, off, s[0:3], 0 offset:36
.LBB122_359:
	s_or_b64 exec, exec, s[4:5]
	s_waitcnt lgkmcnt(0)
	; wave barrier
	s_waitcnt lgkmcnt(0)
	buffer_load_dword v48, off, s[0:3], 0 offset:44
	buffer_load_dword v47, off, s[0:3], 0 offset:52
	;; [unrolled: 1-line block ×34, first 2 shown]
	ds_read2_b64 v[30:33], v236 offset0:65 offset1:66
	ds_read2_b64 v[26:29], v236 offset0:67 offset1:68
	;; [unrolled: 1-line block ×6, first 2 shown]
	buffer_load_dword v152, off, s[0:3], 0 offset:168
	buffer_load_dword v153, off, s[0:3], 0 offset:172
	ds_read2_b64 v[10:13], v236 offset0:77 offset1:78
	ds_read2_b64 v[2:5], v236 offset0:79 offset1:80
	buffer_load_dword v154, off, s[0:3], 0 offset:176
	buffer_load_dword v155, off, s[0:3], 0 offset:180
	;; [unrolled: 1-line block ×24, first 2 shown]
	v_cmp_lt_u32_e32 vcc, 3, v0
	s_waitcnt vmcnt(59) lgkmcnt(7)
	v_mul_f32_e32 v34, v30, v48
	s_waitcnt vmcnt(58)
	v_mul_f32_e32 v35, v32, v47
	s_waitcnt vmcnt(57) lgkmcnt(6)
	v_mul_f32_e32 v37, v28, v46
	s_waitcnt vmcnt(56) lgkmcnt(5)
	v_mul_f32_e32 v38, v22, v45
	s_waitcnt vmcnt(55)
	v_mul_f32_e32 v39, v24, v1
	s_waitcnt vmcnt(54)
	v_mul_f32_e32 v36, v26, v49
	s_waitcnt vmcnt(53) lgkmcnt(4)
	v_mul_f32_e32 v40, v18, v44
	s_waitcnt vmcnt(52)
	v_mul_f32_e32 v41, v20, v110
	s_waitcnt vmcnt(51) lgkmcnt(3)
	;; [unrolled: 4-line block ×3, first 2 shown]
	v_mul_f32_e32 v52, v6, v130
	s_waitcnt vmcnt(48)
	v_mul_f32_e32 v53, v8, v131
	s_waitcnt vmcnt(47)
	v_fmac_f32_e32 v36, v27, v132
	s_waitcnt vmcnt(46)
	v_fmac_f32_e32 v35, v33, v133
	s_waitcnt vmcnt(45)
	v_fmac_f32_e32 v34, v31, v134
	v_add_f32_e32 v34, 0, v34
	v_add_f32_e32 v34, v34, v35
	;; [unrolled: 1-line block ×3, first 2 shown]
	s_waitcnt vmcnt(41)
	v_fmac_f32_e32 v37, v29, v138
	v_fmac_f32_e32 v38, v23, v137
	v_add_f32_e32 v34, v34, v37
	v_fmac_f32_e32 v39, v25, v136
	v_add_f32_e32 v34, v34, v38
	;; [unrolled: 2-line block ×3, first 2 shown]
	s_waitcnt vmcnt(37)
	v_fmac_f32_e32 v41, v21, v142
	v_add_f32_e32 v34, v34, v40
	v_fmac_f32_e32 v50, v15, v141
	v_add_f32_e32 v34, v34, v41
	v_fmac_f32_e32 v51, v17, v140
	v_add_f32_e32 v34, v34, v50
	v_fmac_f32_e32 v52, v7, v139
	v_add_f32_e32 v34, v34, v51
	s_waitcnt vmcnt(33)
	v_fmac_f32_e32 v53, v9, v146
	v_add_f32_e32 v34, v34, v52
	s_waitcnt vmcnt(32) lgkmcnt(1)
	v_mul_f32_e32 v35, v10, v147
	v_add_f32_e32 v34, v34, v53
	v_fmac_f32_e32 v35, v11, v145
	v_add_f32_e32 v34, v34, v35
	s_waitcnt vmcnt(31)
	v_mul_f32_e32 v35, v12, v148
	v_fmac_f32_e32 v35, v13, v144
	v_add_f32_e32 v34, v34, v35
	s_waitcnt vmcnt(30) lgkmcnt(0)
	v_mul_f32_e32 v35, v2, v149
	v_fmac_f32_e32 v35, v3, v143
	v_add_f32_e32 v38, v34, v35
	ds_read2_b64 v[34:37], v236 offset0:81 offset1:82
	buffer_load_dword v222, off, s[0:3], 0 offset:272
	buffer_load_dword v223, off, s[0:3], 0 offset:276
	;; [unrolled: 1-line block ×4, first 2 shown]
	s_waitcnt vmcnt(32)
	v_mul_f32_e32 v39, v4, v151
	v_fmac_f32_e32 v39, v5, v150
	v_add_f32_e32 v50, v38, v39
	ds_read2_b64 v[38:41], v236 offset0:83 offset1:84
	buffer_load_dword v226, off, s[0:3], 0 offset:288
	buffer_load_dword v227, off, s[0:3], 0 offset:292
	;; [unrolled: 1-line block ×12, first 2 shown]
	s_waitcnt vmcnt(40) lgkmcnt(1)
	v_mul_f32_e32 v51, v34, v153
	v_fmac_f32_e32 v51, v35, v152
	buffer_load_dword v239, off, s[0:3], 0 offset:336
	buffer_load_dword v240, off, s[0:3], 0 offset:340
	v_add_f32_e32 v50, v50, v51
	s_waitcnt vmcnt(40)
	v_mul_f32_e32 v51, v36, v155
	v_fmac_f32_e32 v51, v37, v154
	buffer_load_dword v241, off, s[0:3], 0 offset:344
	buffer_load_dword v242, off, s[0:3], 0 offset:348
	v_add_f32_e32 v50, v50, v51
	s_waitcnt vmcnt(40) lgkmcnt(0)
	v_mul_f32_e32 v51, v38, v157
	v_fmac_f32_e32 v51, v39, v156
	v_add_f32_e32 v54, v50, v51
	ds_read2_b64 v[50:53], v236 offset0:85 offset1:86
	buffer_load_dword v243, off, s[0:3], 0 offset:352
	buffer_load_dword v244, off, s[0:3], 0 offset:356
	s_waitcnt vmcnt(40)
	v_mul_f32_e32 v55, v40, v159
	v_fmac_f32_e32 v55, v41, v158
	v_add_f32_e32 v58, v54, v55
	ds_read2_b64 v[54:57], v236 offset0:87 offset1:88
	buffer_load_dword v245, off, s[0:3], 0 offset:360
	buffer_load_dword v246, off, s[0:3], 0 offset:364
	;; [unrolled: 1-line block ×8, first 2 shown]
	s_waitcnt vmcnt(46) lgkmcnt(1)
	v_mul_f32_e32 v59, v50, v161
	v_fmac_f32_e32 v59, v51, v160
	v_add_f32_e32 v58, v58, v59
	s_waitcnt vmcnt(44)
	v_mul_f32_e32 v59, v52, v163
	v_fmac_f32_e32 v59, v53, v162
	v_add_f32_e32 v58, v58, v59
	s_waitcnt vmcnt(42) lgkmcnt(0)
	v_mul_f32_e32 v59, v54, v165
	v_fmac_f32_e32 v59, v55, v164
	v_add_f32_e32 v62, v58, v59
	buffer_load_dword v253, off, s[0:3], 0 offset:392
	buffer_load_dword v254, off, s[0:3], 0 offset:396
	;; [unrolled: 1-line block ×4, first 2 shown]
	ds_read2_b64 v[58:61], v236 offset0:89 offset1:90
	s_waitcnt vmcnt(44)
	v_mul_f32_e32 v63, v56, v167
	v_fmac_f32_e32 v63, v57, v166
	v_add_f32_e32 v66, v62, v63
	ds_read2_b64 v[62:65], v236 offset0:91 offset1:92
	s_waitcnt vmcnt(42) lgkmcnt(1)
	v_mul_f32_e32 v67, v58, v169
	v_fmac_f32_e32 v67, v59, v168
	v_add_f32_e32 v66, v66, v67
	s_waitcnt vmcnt(40)
	v_mul_f32_e32 v67, v60, v171
	v_fmac_f32_e32 v67, v61, v170
	v_add_f32_e32 v66, v66, v67
	s_waitcnt vmcnt(38) lgkmcnt(0)
	v_mul_f32_e32 v67, v62, v173
	v_fmac_f32_e32 v67, v63, v172
	v_add_f32_e32 v70, v66, v67
	ds_read2_b64 v[66:69], v236 offset0:93 offset1:94
	s_waitcnt vmcnt(36)
	v_mul_f32_e32 v71, v64, v175
	v_fmac_f32_e32 v71, v65, v174
	v_add_f32_e32 v74, v70, v71
	ds_read2_b64 v[70:73], v236 offset0:95 offset1:96
	s_waitcnt vmcnt(34) lgkmcnt(1)
	v_mul_f32_e32 v75, v66, v221
	v_fmac_f32_e32 v75, v67, v220
	v_add_f32_e32 v74, v74, v75
	v_mul_f32_e32 v31, v31, v48
	v_fma_f32 v30, v30, v134, -v31
	v_mul_f32_e32 v31, v33, v47
	v_add_f32_e32 v30, 0, v30
	v_fma_f32 v31, v32, v133, -v31
	v_mul_f32_e32 v27, v27, v49
	v_add_f32_e32 v30, v30, v31
	v_fma_f32 v26, v26, v132, -v27
	v_mul_f32_e32 v27, v29, v46
	v_add_f32_e32 v26, v30, v26
	v_fma_f32 v27, v28, v138, -v27
	v_mul_f32_e32 v23, v23, v45
	v_add_f32_e32 v26, v26, v27
	v_fma_f32 v22, v22, v137, -v23
	v_mul_f32_e32 v1, v25, v1
	s_waitcnt vmcnt(32)
	v_mul_f32_e32 v75, v68, v223
	v_fmac_f32_e32 v75, v69, v222
	v_add_f32_e32 v74, v74, v75
	s_waitcnt vmcnt(30) lgkmcnt(0)
	v_mul_f32_e32 v75, v70, v225
	v_fmac_f32_e32 v75, v71, v224
	v_add_f32_e32 v78, v74, v75
	ds_read2_b64 v[74:77], v236 offset0:97 offset1:98
	s_waitcnt vmcnt(28)
	v_mul_f32_e32 v79, v72, v227
	v_fmac_f32_e32 v79, v73, v226
	v_add_f32_e32 v82, v78, v79
	ds_read2_b64 v[78:81], v236 offset0:99 offset1:100
	s_waitcnt vmcnt(26) lgkmcnt(1)
	v_mul_f32_e32 v83, v74, v229
	v_fmac_f32_e32 v83, v75, v228
	v_add_f32_e32 v82, v82, v83
	s_waitcnt vmcnt(24)
	v_mul_f32_e32 v83, v76, v231
	v_fmac_f32_e32 v83, v77, v230
	v_add_f32_e32 v82, v82, v83
	s_waitcnt vmcnt(22) lgkmcnt(0)
	v_mul_f32_e32 v83, v78, v233
	v_fmac_f32_e32 v83, v79, v232
	v_add_f32_e32 v86, v82, v83
	ds_read2_b64 v[82:85], v236 offset0:101 offset1:102
	s_waitcnt vmcnt(20)
	v_mul_f32_e32 v87, v80, v235
	v_fmac_f32_e32 v87, v81, v234
	v_add_f32_e32 v90, v86, v87
	ds_read2_b64 v[86:89], v236 offset0:103 offset1:104
	s_waitcnt vmcnt(18) lgkmcnt(1)
	v_mul_f32_e32 v91, v82, v238
	v_fmac_f32_e32 v91, v83, v237
	v_add_f32_e32 v90, v90, v91
	s_waitcnt vmcnt(16)
	v_mul_f32_e32 v91, v84, v240
	v_fmac_f32_e32 v91, v85, v239
	v_add_f32_e32 v90, v90, v91
	s_waitcnt vmcnt(14) lgkmcnt(0)
	v_mul_f32_e32 v91, v86, v242
	v_fmac_f32_e32 v91, v87, v241
	v_add_f32_e32 v94, v90, v91
	ds_read2_b64 v[90:93], v236 offset0:105 offset1:106
	s_waitcnt vmcnt(12)
	v_mul_f32_e32 v95, v88, v244
	v_fmac_f32_e32 v95, v89, v243
	v_add_f32_e32 v98, v94, v95
	ds_read2_b64 v[94:97], v236 offset0:107 offset1:108
	buffer_load_dword v109, off, s[0:3], 0 offset:412
	buffer_load_dword v108, off, s[0:3], 0 offset:408
	s_waitcnt vmcnt(12) lgkmcnt(1)
	v_mul_f32_e32 v99, v90, v246
	v_fmac_f32_e32 v99, v91, v245
	v_add_f32_e32 v98, v98, v99
	s_waitcnt vmcnt(10)
	v_mul_f32_e32 v99, v92, v248
	v_fmac_f32_e32 v99, v93, v247
	v_add_f32_e32 v98, v98, v99
	s_waitcnt vmcnt(8) lgkmcnt(0)
	v_mul_f32_e32 v99, v94, v250
	v_fmac_f32_e32 v99, v95, v249
	s_waitcnt vmcnt(6)
	v_mul_f32_e32 v105, v96, v252
	v_add_f32_e32 v22, v26, v22
	v_fma_f32 v1, v24, v136, -v1
	v_mul_f32_e32 v19, v19, v44
	v_add_f32_e32 v104, v98, v99
	v_fmac_f32_e32 v105, v97, v251
	v_add_f32_e32 v1, v22, v1
	v_fma_f32 v18, v18, v135, -v19
	ds_read2_b64 v[98:101], v236 offset0:109 offset1:110
	v_add_f32_e32 v111, v104, v105
	ds_read2_b64 v[104:107], v236 offset0:111 offset1:112
	buffer_load_dword v117, off, s[0:3], 0 offset:444
	buffer_load_dword v116, off, s[0:3], 0 offset:440
	;; [unrolled: 1-line block ×14, first 2 shown]
	v_add_f32_e32 v1, v1, v18
	v_mul_f32_e32 v18, v21, v110
	v_fma_f32 v18, v20, v142, -v18
	v_mul_f32_e32 v15, v15, v112
	v_add_f32_e32 v1, v1, v18
	v_fma_f32 v14, v14, v141, -v15
	v_add_f32_e32 v1, v1, v14
	v_mul_f32_e32 v14, v17, v114
	v_fma_f32 v14, v16, v140, -v14
	v_mul_f32_e32 v7, v7, v130
	v_add_f32_e32 v1, v1, v14
	v_fma_f32 v6, v6, v139, -v7
	v_add_f32_e32 v1, v1, v6
	v_mul_f32_e32 v6, v9, v131
	v_fma_f32 v6, v8, v146, -v6
	v_add_f32_e32 v1, v1, v6
	v_mul_f32_e32 v6, v11, v147
	;; [unrolled: 3-line block ×3, first 2 shown]
	v_fma_f32 v6, v12, v144, -v6
	v_mul_f32_e32 v3, v3, v149
	v_add_f32_e32 v1, v1, v6
	v_fma_f32 v2, v2, v143, -v3
	v_add_f32_e32 v1, v1, v2
	v_mul_f32_e32 v2, v5, v151
	v_fma_f32 v2, v4, v150, -v2
	v_add_f32_e32 v1, v1, v2
	v_mul_f32_e32 v2, v35, v153
	;; [unrolled: 3-line block ×29, first 2 shown]
	v_fma_f32 v2, v96, v251, -v2
	s_waitcnt vmcnt(15)
	v_mov_b32_e32 v16, v109
	s_waitcnt lgkmcnt(1)
	v_mul_f32_e32 v113, v98, v254
	v_add_f32_e32 v110, v1, v2
	v_mul_f32_e32 v1, v99, v254
	s_waitcnt lgkmcnt(0)
	v_pk_mul_f32 v[16:17], v[104:105], v[16:17] op_sel_hi:[1,0]
	v_fmac_f32_e32 v113, v99, v253
	v_mul_f32_e32 v115, v100, v176
	v_fma_f32 v112, v98, v253, -v1
	v_mul_f32_e32 v1, v101, v176
	s_waitcnt vmcnt(14)
	v_pk_fma_f32 v[18:19], v[104:105], v[108:109], v[16:17] op_sel:[0,0,1] op_sel_hi:[1,1,0] neg_lo:[0,0,1] neg_hi:[0,0,1]
	v_pk_fma_f32 v[16:17], v[104:105], v[108:109], v[16:17] op_sel:[0,0,1] op_sel_hi:[1,0,0]
	v_fmac_f32_e32 v115, v101, v255
	v_fma_f32 v114, v100, v255, -v1
	v_pk_add_f32 v[14:15], v[110:111], v[112:113]
	s_waitcnt vmcnt(7)
	v_mov_b32_e32 v16, v123
	ds_read2_b64 v[2:5], v236 offset0:113 offset1:114
	ds_read2_b64 v[6:9], v236 offset0:115 offset1:116
	;; [unrolled: 1-line block ×3, first 2 shown]
	v_pk_add_f32 v[14:15], v[14:15], v[114:115]
	v_mov_b32_e32 v19, v17
	v_pk_mul_f32 v[16:17], v[106:107], v[16:17] op_sel_hi:[1,0]
	v_pk_add_f32 v[14:15], v[14:15], v[18:19]
	s_waitcnt vmcnt(6)
	v_pk_fma_f32 v[18:19], v[106:107], v[122:123], v[16:17] op_sel:[0,0,1] op_sel_hi:[1,1,0] neg_lo:[0,0,1] neg_hi:[0,0,1]
	v_pk_fma_f32 v[16:17], v[106:107], v[122:123], v[16:17] op_sel:[0,0,1] op_sel_hi:[1,0,0]
	v_mov_b32_e32 v16, v121
	v_mov_b32_e32 v19, v17
	s_waitcnt lgkmcnt(2)
	v_pk_mul_f32 v[16:17], v[2:3], v[16:17] op_sel_hi:[1,0]
	v_pk_add_f32 v[14:15], v[14:15], v[18:19]
	v_pk_fma_f32 v[18:19], v[2:3], v[120:121], v[16:17] op_sel:[0,0,1] op_sel_hi:[1,1,0] neg_lo:[0,0,1] neg_hi:[0,0,1]
	v_pk_fma_f32 v[2:3], v[2:3], v[120:121], v[16:17] op_sel:[0,0,1] op_sel_hi:[1,0,0]
	v_mov_b32_e32 v19, v3
	v_pk_add_f32 v[2:3], v[14:15], v[18:19]
	v_mov_b32_e32 v14, v119
	v_pk_mul_f32 v[14:15], v[4:5], v[14:15] op_sel_hi:[1,0]
	v_pk_fma_f32 v[16:17], v[4:5], v[118:119], v[14:15] op_sel:[0,0,1] op_sel_hi:[1,1,0] neg_lo:[0,0,1] neg_hi:[0,0,1]
	v_pk_fma_f32 v[4:5], v[4:5], v[118:119], v[14:15] op_sel:[0,0,1] op_sel_hi:[1,0,0]
	v_mov_b32_e32 v4, v117
	v_mov_b32_e32 v17, v5
	s_waitcnt lgkmcnt(1)
	v_pk_mul_f32 v[4:5], v[6:7], v[4:5] op_sel_hi:[1,0]
	v_pk_fma_f32 v[14:15], v[6:7], v[116:117], v[4:5] op_sel:[0,0,1] op_sel_hi:[1,1,0] neg_lo:[0,0,1] neg_hi:[0,0,1]
	v_pk_fma_f32 v[4:5], v[6:7], v[116:117], v[4:5] op_sel:[0,0,1] op_sel_hi:[1,0,0]
	s_waitcnt vmcnt(1)
	v_mov_b32_e32 v4, v129
	v_mov_b32_e32 v15, v5
	v_pk_mul_f32 v[4:5], v[8:9], v[4:5] op_sel_hi:[1,0]
	s_waitcnt vmcnt(0)
	v_pk_fma_f32 v[6:7], v[8:9], v[128:129], v[4:5] op_sel:[0,0,1] op_sel_hi:[1,1,0] neg_lo:[0,0,1] neg_hi:[0,0,1]
	v_pk_fma_f32 v[4:5], v[8:9], v[128:129], v[4:5] op_sel:[0,0,1] op_sel_hi:[1,0,0]
	v_pk_add_f32 v[2:3], v[2:3], v[16:17]
	v_mov_b32_e32 v4, v127
	v_pk_add_f32 v[2:3], v[2:3], v[14:15]
	v_mov_b32_e32 v7, v5
	s_waitcnt lgkmcnt(0)
	v_pk_mul_f32 v[4:5], v[10:11], v[4:5] op_sel_hi:[1,0]
	v_pk_add_f32 v[2:3], v[2:3], v[6:7]
	v_pk_fma_f32 v[6:7], v[10:11], v[126:127], v[4:5] op_sel:[0,0,1] op_sel_hi:[1,1,0] neg_lo:[0,0,1] neg_hi:[0,0,1]
	v_pk_fma_f32 v[4:5], v[10:11], v[126:127], v[4:5] op_sel:[0,0,1] op_sel_hi:[1,0,0]
	v_mov_b32_e32 v4, v125
	v_mov_b32_e32 v7, v5
	v_pk_mul_f32 v[4:5], v[12:13], v[4:5] op_sel_hi:[1,0]
	v_pk_add_f32 v[2:3], v[2:3], v[6:7]
	v_pk_fma_f32 v[6:7], v[12:13], v[124:125], v[4:5] op_sel:[0,0,1] op_sel_hi:[1,1,0] neg_lo:[0,0,1] neg_hi:[0,0,1]
	v_pk_fma_f32 v[4:5], v[12:13], v[124:125], v[4:5] op_sel:[0,0,1] op_sel_hi:[1,0,0]
	v_mov_b32_e32 v7, v5
	v_pk_add_f32 v[2:3], v[2:3], v[6:7]
	v_pk_add_f32 v[2:3], v[42:43], v[2:3] neg_lo:[0,1] neg_hi:[0,1]
	buffer_store_dword v3, off, s[0:3], 0 offset:36
	buffer_store_dword v2, off, s[0:3], 0 offset:32
	s_and_saveexec_b64 s[4:5], vcc
	s_cbranch_execz .LBB122_361
; %bb.360:
	buffer_load_dword v2, off, s[0:3], 0 offset:24
	buffer_load_dword v3, off, s[0:3], 0 offset:28
	v_mov_b32_e32 v1, 0
	buffer_store_dword v1, off, s[0:3], 0 offset:24
	buffer_store_dword v1, off, s[0:3], 0 offset:28
	s_waitcnt vmcnt(2)
	ds_write_b64 v187, v[2:3]
.LBB122_361:
	s_or_b64 exec, exec, s[4:5]
	s_waitcnt lgkmcnt(0)
	; wave barrier
	s_waitcnt lgkmcnt(0)
	buffer_load_dword v57, off, s[0:3], 0 offset:36
	buffer_load_dword v56, off, s[0:3], 0 offset:44
	;; [unrolled: 1-line block ×48, first 2 shown]
	v_mov_b32_e32 v52, 0
	ds_read_b128 v[22:25], v52 offset:512
	ds_read_b128 v[18:21], v52 offset:528
	;; [unrolled: 1-line block ×6, first 2 shown]
	v_cmp_lt_u32_e32 vcc, 2, v0
	s_waitcnt vmcnt(47) lgkmcnt(5)
	v_mul_f32_e32 v26, v22, v57
	s_waitcnt vmcnt(46)
	v_mul_f32_e32 v27, v24, v56
	s_waitcnt vmcnt(45) lgkmcnt(4)
	v_mul_f32_e32 v29, v20, v55
	s_waitcnt vmcnt(44) lgkmcnt(3)
	v_mul_f32_e32 v30, v14, v54
	s_waitcnt vmcnt(43)
	v_mul_f32_e32 v31, v16, v1
	s_waitcnt vmcnt(42)
	v_mul_f32_e32 v28, v18, v58
	s_waitcnt vmcnt(41) lgkmcnt(2)
	v_mul_f32_e32 v32, v10, v53
	s_waitcnt vmcnt(40)
	v_mul_f32_e32 v33, v12, v59
	s_waitcnt vmcnt(39) lgkmcnt(1)
	;; [unrolled: 4-line block ×3, first 2 shown]
	v_mul_f32_e32 v36, v2, v62
	s_waitcnt vmcnt(36)
	v_mul_f32_e32 v37, v4, v63
	s_waitcnt vmcnt(35)
	v_fmac_f32_e32 v28, v19, v69
	s_waitcnt vmcnt(34)
	v_fmac_f32_e32 v27, v25, v72
	;; [unrolled: 2-line block ×3, first 2 shown]
	v_add_f32_e32 v26, 0, v26
	v_add_f32_e32 v26, v26, v27
	;; [unrolled: 1-line block ×3, first 2 shown]
	s_waitcnt vmcnt(29)
	v_fmac_f32_e32 v29, v21, v74
	v_fmac_f32_e32 v30, v15, v71
	v_add_f32_e32 v26, v26, v29
	v_fmac_f32_e32 v31, v17, v68
	v_add_f32_e32 v26, v26, v30
	;; [unrolled: 2-line block ×3, first 2 shown]
	s_waitcnt vmcnt(25)
	v_fmac_f32_e32 v33, v13, v70
	v_add_f32_e32 v26, v26, v32
	v_fmac_f32_e32 v34, v7, v67
	v_add_f32_e32 v26, v26, v33
	;; [unrolled: 2-line block ×4, first 2 shown]
	s_waitcnt vmcnt(21)
	v_fmac_f32_e32 v37, v5, v81
	v_add_f32_e32 v30, v30, v36
	ds_read_b128 v[26:29], v52 offset:608
	v_add_f32_e32 v34, v30, v37
	ds_read_b128 v[30:33], v52 offset:624
	buffer_load_dword v167, off, s[0:3], 0 offset:216
	buffer_load_dword v168, off, s[0:3], 0 offset:220
	;; [unrolled: 1-line block ×6, first 2 shown]
	s_waitcnt vmcnt(26) lgkmcnt(1)
	v_mul_f32_e32 v35, v26, v80
	v_fmac_f32_e32 v35, v27, v78
	buffer_load_dword v173, off, s[0:3], 0 offset:240
	buffer_load_dword v174, off, s[0:3], 0 offset:244
	v_add_f32_e32 v34, v34, v35
	s_waitcnt vmcnt(27)
	v_mul_f32_e32 v35, v28, v79
	v_fmac_f32_e32 v35, v29, v76
	v_add_f32_e32 v34, v34, v35
	s_waitcnt vmcnt(26) lgkmcnt(0)
	v_mul_f32_e32 v35, v30, v77
	v_fmac_f32_e32 v35, v31, v73
	buffer_load_dword v175, off, s[0:3], 0 offset:248
	buffer_load_dword v176, off, s[0:3], 0 offset:252
	v_add_f32_e32 v34, v34, v35
	s_waitcnt vmcnt(21)
	v_mul_f32_e32 v35, v32, v140
	s_waitcnt vmcnt(20)
	v_fmac_f32_e32 v35, v33, v142
	v_add_f32_e32 v42, v34, v35
	ds_read_b128 v[34:37], v52 offset:640
	buffer_load_dword v177, off, s[0:3], 0 offset:256
	buffer_load_dword v220, off, s[0:3], 0 offset:260
	ds_read_b128 v[38:41], v52 offset:656
	buffer_load_dword v221, off, s[0:3], 0 offset:264
	buffer_load_dword v222, off, s[0:3], 0 offset:268
	;; [unrolled: 1-line block ×12, first 2 shown]
	s_waitcnt lgkmcnt(1)
	v_mul_f32_e32 v43, v34, v83
	v_fmac_f32_e32 v43, v35, v82
	buffer_load_dword v233, off, s[0:3], 0 offset:312
	buffer_load_dword v234, off, s[0:3], 0 offset:316
	v_add_f32_e32 v42, v42, v43
	v_mul_f32_e32 v43, v36, v85
	v_fmac_f32_e32 v43, v37, v84
	v_add_f32_e32 v42, v42, v43
	s_waitcnt lgkmcnt(0)
	v_mul_f32_e32 v43, v38, v87
	buffer_load_dword v235, off, s[0:3], 0 offset:320
	buffer_load_dword v236, off, s[0:3], 0 offset:324
	v_fmac_f32_e32 v43, v39, v86
	v_add_f32_e32 v46, v42, v43
	ds_read_b128 v[42:45], v52 offset:672
	buffer_load_dword v237, off, s[0:3], 0 offset:328
	buffer_load_dword v238, off, s[0:3], 0 offset:332
	;; [unrolled: 1-line block ×4, first 2 shown]
	s_waitcnt vmcnt(38)
	v_mul_f32_e32 v47, v40, v160
	v_fmac_f32_e32 v47, v41, v88
	v_add_f32_e32 v89, v46, v47
	ds_read_b128 v[46:49], v52 offset:688
	buffer_load_dword v241, off, s[0:3], 0 offset:344
	buffer_load_dword v242, off, s[0:3], 0 offset:348
	;; [unrolled: 1-line block ×10, first 2 shown]
	s_waitcnt vmcnt(46) lgkmcnt(1)
	v_mul_f32_e32 v90, v42, v162
	v_fmac_f32_e32 v90, v43, v161
	v_add_f32_e32 v89, v89, v90
	s_waitcnt vmcnt(44)
	v_mul_f32_e32 v90, v44, v164
	v_fmac_f32_e32 v90, v45, v163
	v_add_f32_e32 v89, v89, v90
	s_waitcnt vmcnt(42) lgkmcnt(0)
	v_mul_f32_e32 v90, v46, v166
	v_fmac_f32_e32 v90, v47, v165
	v_add_f32_e32 v89, v89, v90
	buffer_load_dword v251, off, s[0:3], 0 offset:384
	buffer_load_dword v252, off, s[0:3], 0 offset:388
	;; [unrolled: 1-line block ×6, first 2 shown]
	ds_read_b128 v[90:93], v52 offset:704
	v_mul_f32_e32 v23, v23, v57
	v_fma_f32 v22, v22, v75, -v23
	v_mul_f32_e32 v23, v25, v56
	v_add_f32_e32 v22, 0, v22
	v_fma_f32 v23, v24, v72, -v23
	v_mul_f32_e32 v19, v19, v58
	v_add_f32_e32 v22, v22, v23
	;; [unrolled: 3-line block ×6, first 2 shown]
	v_fma_f32 v10, v10, v66, -v11
	s_waitcnt vmcnt(46)
	v_mul_f32_e32 v94, v48, v168
	v_fmac_f32_e32 v94, v49, v167
	v_add_f32_e32 v89, v89, v94
	ds_read_b128 v[94:97], v52 offset:720
	s_waitcnt vmcnt(44) lgkmcnt(1)
	v_mul_f32_e32 v98, v90, v170
	v_fmac_f32_e32 v98, v91, v169
	v_add_f32_e32 v89, v89, v98
	s_waitcnt vmcnt(42)
	v_mul_f32_e32 v98, v92, v172
	v_fmac_f32_e32 v98, v93, v171
	v_add_f32_e32 v89, v89, v98
	s_waitcnt vmcnt(40) lgkmcnt(0)
	v_mul_f32_e32 v98, v94, v174
	v_fmac_f32_e32 v98, v95, v173
	v_add_f32_e32 v89, v89, v98
	ds_read_b128 v[98:101], v52 offset:736
	s_waitcnt vmcnt(38)
	v_mul_f32_e32 v104, v96, v176
	v_fmac_f32_e32 v104, v97, v175
	v_add_f32_e32 v89, v89, v104
	ds_read_b128 v[104:107], v52 offset:752
	s_waitcnt vmcnt(36) lgkmcnt(1)
	v_mul_f32_e32 v108, v98, v220
	v_fmac_f32_e32 v108, v99, v177
	v_add_f32_e32 v89, v89, v108
	s_waitcnt vmcnt(34)
	v_mul_f32_e32 v108, v100, v222
	v_fmac_f32_e32 v108, v101, v221
	v_add_f32_e32 v89, v89, v108
	s_waitcnt vmcnt(32) lgkmcnt(0)
	v_mul_f32_e32 v108, v104, v224
	v_fmac_f32_e32 v108, v105, v223
	v_add_f32_e32 v89, v89, v108
	ds_read_b128 v[108:111], v52 offset:768
	s_waitcnt vmcnt(30)
	v_mul_f32_e32 v112, v106, v226
	v_fmac_f32_e32 v112, v107, v225
	v_add_f32_e32 v89, v89, v112
	ds_read_b128 v[112:115], v52 offset:784
	s_waitcnt vmcnt(28) lgkmcnt(1)
	v_mul_f32_e32 v116, v108, v228
	v_fmac_f32_e32 v116, v109, v227
	v_add_f32_e32 v89, v89, v116
	s_waitcnt vmcnt(26)
	v_mul_f32_e32 v116, v110, v230
	v_fmac_f32_e32 v116, v111, v229
	v_add_f32_e32 v89, v89, v116
	s_waitcnt vmcnt(24) lgkmcnt(0)
	v_mul_f32_e32 v116, v112, v232
	v_fmac_f32_e32 v116, v113, v231
	v_add_f32_e32 v89, v89, v116
	ds_read_b128 v[116:119], v52 offset:800
	s_waitcnt vmcnt(22)
	v_mul_f32_e32 v120, v114, v234
	v_fmac_f32_e32 v120, v115, v233
	v_add_f32_e32 v89, v89, v120
	ds_read_b128 v[120:123], v52 offset:816
	s_waitcnt vmcnt(20) lgkmcnt(1)
	v_mul_f32_e32 v124, v116, v236
	v_fmac_f32_e32 v124, v117, v235
	v_add_f32_e32 v89, v89, v124
	s_waitcnt vmcnt(18)
	v_mul_f32_e32 v124, v118, v238
	v_fmac_f32_e32 v124, v119, v237
	v_add_f32_e32 v89, v89, v124
	s_waitcnt vmcnt(16) lgkmcnt(0)
	v_mul_f32_e32 v124, v120, v240
	v_fmac_f32_e32 v124, v121, v239
	v_add_f32_e32 v89, v89, v124
	ds_read_b128 v[124:127], v52 offset:832
	s_waitcnt vmcnt(14)
	v_mul_f32_e32 v128, v122, v242
	v_fmac_f32_e32 v128, v123, v241
	v_add_f32_e32 v89, v89, v128
	ds_read_b128 v[128:131], v52 offset:848
	s_waitcnt vmcnt(12) lgkmcnt(1)
	v_mul_f32_e32 v132, v124, v244
	v_fmac_f32_e32 v132, v125, v243
	v_add_f32_e32 v89, v89, v132
	s_waitcnt vmcnt(10)
	v_mul_f32_e32 v132, v126, v246
	v_fmac_f32_e32 v132, v127, v245
	v_add_f32_e32 v89, v89, v132
	s_waitcnt vmcnt(8) lgkmcnt(0)
	v_mul_f32_e32 v132, v128, v248
	v_fmac_f32_e32 v132, v129, v247
	s_waitcnt vmcnt(6)
	v_mul_f32_e32 v136, v130, v250
	v_add_f32_e32 v1, v1, v10
	v_mul_f32_e32 v10, v13, v59
	v_add_f32_e32 v89, v89, v132
	v_fmac_f32_e32 v136, v131, v249
	v_fma_f32 v10, v12, v70, -v10
	v_mul_f32_e32 v7, v7, v60
	ds_read_b128 v[132:135], v52 offset:864
	v_add_f32_e32 v89, v89, v136
	ds_read_b128 v[136:139], v52 offset:880
	buffer_load_dword v145, off, s[0:3], 0 offset:436
	buffer_load_dword v144, off, s[0:3], 0 offset:432
	;; [unrolled: 1-line block ×16, first 2 shown]
	v_add_f32_e32 v1, v1, v10
	v_fma_f32 v6, v6, v67, -v7
	v_add_f32_e32 v1, v1, v6
	v_mul_f32_e32 v6, v9, v61
	v_fma_f32 v6, v8, v65, -v6
	v_mul_f32_e32 v3, v3, v62
	v_add_f32_e32 v1, v1, v6
	v_fma_f32 v2, v2, v64, -v3
	v_add_f32_e32 v1, v1, v2
	v_mul_f32_e32 v2, v5, v63
	v_fma_f32 v2, v4, v81, -v2
	v_add_f32_e32 v1, v1, v2
	v_mul_f32_e32 v2, v27, v80
	;; [unrolled: 3-line block ×33, first 2 shown]
	v_fma_f32 v2, v130, v249, -v2
	s_waitcnt vmcnt(20) lgkmcnt(1)
	v_mul_f32_e32 v141, v132, v252
	v_add_f32_e32 v1, v1, v2
	v_mul_f32_e32 v2, v133, v252
	v_fmac_f32_e32 v141, v133, v251
	v_fma_f32 v2, v132, v251, -v2
	s_waitcnt vmcnt(9)
	v_mov_b32_e32 v18, v151
	v_add_f32_e32 v89, v89, v141
	v_mul_f32_e32 v141, v134, v254
	v_add_f32_e32 v88, v1, v2
	v_mul_f32_e32 v1, v135, v254
	s_waitcnt lgkmcnt(0)
	v_pk_mul_f32 v[18:19], v[138:139], v[18:19] op_sel_hi:[1,0]
	v_fmac_f32_e32 v141, v135, v253
	v_mul_f32_e32 v143, v136, v178
	v_fma_f32 v140, v134, v253, -v1
	v_mul_f32_e32 v1, v137, v178
	ds_read_b128 v[2:5], v52 offset:896
	ds_read_b128 v[6:9], v52 offset:912
	;; [unrolled: 1-line block ×3, first 2 shown]
	ds_read_b64 v[14:15], v52 offset:944
	s_waitcnt vmcnt(8)
	v_pk_fma_f32 v[20:21], v[138:139], v[150:151], v[18:19] op_sel:[0,0,1] op_sel_hi:[1,1,0] neg_lo:[0,0,1] neg_hi:[0,0,1]
	v_pk_fma_f32 v[18:19], v[138:139], v[150:151], v[18:19] op_sel:[0,0,1] op_sel_hi:[1,0,0]
	v_fmac_f32_e32 v143, v137, v255
	v_fma_f32 v142, v136, v255, -v1
	v_pk_add_f32 v[16:17], v[88:89], v[140:141]
	v_mov_b32_e32 v18, v149
	v_pk_add_f32 v[16:17], v[16:17], v[142:143]
	v_mov_b32_e32 v21, v19
	s_waitcnt lgkmcnt(3)
	v_pk_mul_f32 v[18:19], v[2:3], v[18:19] op_sel_hi:[1,0]
	v_pk_add_f32 v[16:17], v[16:17], v[20:21]
	v_pk_fma_f32 v[20:21], v[2:3], v[148:149], v[18:19] op_sel:[0,0,1] op_sel_hi:[1,1,0] neg_lo:[0,0,1] neg_hi:[0,0,1]
	v_pk_fma_f32 v[2:3], v[2:3], v[148:149], v[18:19] op_sel:[0,0,1] op_sel_hi:[1,0,0]
	v_mov_b32_e32 v21, v3
	v_pk_add_f32 v[2:3], v[16:17], v[20:21]
	v_mov_b32_e32 v16, v147
	v_pk_mul_f32 v[16:17], v[4:5], v[16:17] op_sel_hi:[1,0]
	v_pk_fma_f32 v[18:19], v[4:5], v[146:147], v[16:17] op_sel:[0,0,1] op_sel_hi:[1,1,0] neg_lo:[0,0,1] neg_hi:[0,0,1]
	v_pk_fma_f32 v[4:5], v[4:5], v[146:147], v[16:17] op_sel:[0,0,1] op_sel_hi:[1,0,0]
	v_mov_b32_e32 v4, v145
	v_mov_b32_e32 v19, v5
	s_waitcnt lgkmcnt(2)
	v_pk_mul_f32 v[4:5], v[6:7], v[4:5] op_sel_hi:[1,0]
	v_pk_fma_f32 v[16:17], v[6:7], v[144:145], v[4:5] op_sel:[0,0,1] op_sel_hi:[1,1,0] neg_lo:[0,0,1] neg_hi:[0,0,1]
	v_pk_fma_f32 v[4:5], v[6:7], v[144:145], v[4:5] op_sel:[0,0,1] op_sel_hi:[1,0,0]
	s_waitcnt vmcnt(1)
	v_mov_b32_e32 v4, v159
	v_mov_b32_e32 v17, v5
	v_pk_mul_f32 v[4:5], v[8:9], v[4:5] op_sel_hi:[1,0]
	s_waitcnt vmcnt(0)
	v_pk_fma_f32 v[6:7], v[8:9], v[158:159], v[4:5] op_sel:[0,0,1] op_sel_hi:[1,1,0] neg_lo:[0,0,1] neg_hi:[0,0,1]
	v_pk_fma_f32 v[4:5], v[8:9], v[158:159], v[4:5] op_sel:[0,0,1] op_sel_hi:[1,0,0]
	v_pk_add_f32 v[2:3], v[2:3], v[18:19]
	v_mov_b32_e32 v4, v157
	v_pk_add_f32 v[2:3], v[2:3], v[16:17]
	v_mov_b32_e32 v7, v5
	s_waitcnt lgkmcnt(1)
	v_pk_mul_f32 v[4:5], v[10:11], v[4:5] op_sel_hi:[1,0]
	v_pk_add_f32 v[2:3], v[2:3], v[6:7]
	v_pk_fma_f32 v[6:7], v[10:11], v[156:157], v[4:5] op_sel:[0,0,1] op_sel_hi:[1,1,0] neg_lo:[0,0,1] neg_hi:[0,0,1]
	v_pk_fma_f32 v[4:5], v[10:11], v[156:157], v[4:5] op_sel:[0,0,1] op_sel_hi:[1,0,0]
	v_mov_b32_e32 v4, v155
	v_mov_b32_e32 v7, v5
	v_pk_mul_f32 v[4:5], v[12:13], v[4:5] op_sel_hi:[1,0]
	v_pk_add_f32 v[2:3], v[2:3], v[6:7]
	v_pk_fma_f32 v[6:7], v[12:13], v[154:155], v[4:5] op_sel:[0,0,1] op_sel_hi:[1,1,0] neg_lo:[0,0,1] neg_hi:[0,0,1]
	v_pk_fma_f32 v[4:5], v[12:13], v[154:155], v[4:5] op_sel:[0,0,1] op_sel_hi:[1,0,0]
	v_mov_b32_e32 v4, v153
	v_mov_b32_e32 v7, v5
	s_waitcnt lgkmcnt(0)
	v_pk_mul_f32 v[4:5], v[14:15], v[4:5] op_sel_hi:[1,0]
	v_pk_add_f32 v[2:3], v[2:3], v[6:7]
	v_pk_fma_f32 v[6:7], v[14:15], v[152:153], v[4:5] op_sel:[0,0,1] op_sel_hi:[1,1,0] neg_lo:[0,0,1] neg_hi:[0,0,1]
	v_pk_fma_f32 v[4:5], v[14:15], v[152:153], v[4:5] op_sel:[0,0,1] op_sel_hi:[1,0,0]
	v_mov_b32_e32 v7, v5
	v_pk_add_f32 v[2:3], v[2:3], v[6:7]
	v_pk_add_f32 v[2:3], v[50:51], v[2:3] neg_lo:[0,1] neg_hi:[0,1]
	buffer_store_dword v3, off, s[0:3], 0 offset:28
	buffer_store_dword v2, off, s[0:3], 0 offset:24
	s_and_saveexec_b64 s[4:5], vcc
	s_cbranch_execz .LBB122_363
; %bb.362:
	buffer_load_dword v2, off, s[0:3], 0 offset:16
	buffer_load_dword v3, off, s[0:3], 0 offset:20
	s_waitcnt vmcnt(0)
	ds_write_b64 v187, v[2:3]
	buffer_store_dword v52, off, s[0:3], 0 offset:16
	buffer_store_dword v52, off, s[0:3], 0 offset:20
.LBB122_363:
	s_or_b64 exec, exec, s[4:5]
	s_waitcnt lgkmcnt(0)
	; wave barrier
	s_waitcnt lgkmcnt(0)
	buffer_load_dword v57, off, s[0:3], 0 offset:28
	buffer_load_dword v56, off, s[0:3], 0 offset:36
	buffer_load_dword v55, off, s[0:3], 0 offset:52
	buffer_load_dword v54, off, s[0:3], 0 offset:60
	buffer_load_dword v1, off, s[0:3], 0 offset:68
	buffer_load_dword v58, off, s[0:3], 0 offset:44
	buffer_load_dword v53, off, s[0:3], 0 offset:76
	buffer_load_dword v59, off, s[0:3], 0 offset:84
	buffer_load_dword v60, off, s[0:3], 0 offset:92
	buffer_load_dword v61, off, s[0:3], 0 offset:100
	buffer_load_dword v62, off, s[0:3], 0 offset:108
	buffer_load_dword v63, off, s[0:3], 0 offset:116
	buffer_load_dword v69, off, s[0:3], 0 offset:40
	buffer_load_dword v72, off, s[0:3], 0 offset:32
	buffer_load_dword v75, off, s[0:3], 0 offset:24
	buffer_load_dword v66, off, s[0:3], 0 offset:72
	buffer_load_dword v68, off, s[0:3], 0 offset:64
	buffer_load_dword v71, off, s[0:3], 0 offset:56
	buffer_load_dword v74, off, s[0:3], 0 offset:48
	buffer_load_dword v64, off, s[0:3], 0 offset:104
	buffer_load_dword v65, off, s[0:3], 0 offset:96
	buffer_load_dword v67, off, s[0:3], 0 offset:88
	buffer_load_dword v70, off, s[0:3], 0 offset:80
	buffer_load_dword v73, off, s[0:3], 0 offset:136
	buffer_load_dword v76, off, s[0:3], 0 offset:128
	buffer_load_dword v78, off, s[0:3], 0 offset:120
	buffer_load_dword v81, off, s[0:3], 0 offset:112
	buffer_load_dword v80, off, s[0:3], 0 offset:124
	buffer_load_dword v79, off, s[0:3], 0 offset:132
	buffer_load_dword v77, off, s[0:3], 0 offset:140
	buffer_load_dword v82, off, s[0:3], 0 offset:152
	buffer_load_dword v83, off, s[0:3], 0 offset:156
	buffer_load_dword v84, off, s[0:3], 0 offset:160
	buffer_load_dword v85, off, s[0:3], 0 offset:164
	buffer_load_dword v86, off, s[0:3], 0 offset:168
	buffer_load_dword v87, off, s[0:3], 0 offset:172
	buffer_load_dword v89, off, s[0:3], 0 offset:148
	buffer_load_dword v88, off, s[0:3], 0 offset:144
	buffer_load_dword v50, off, s[0:3], 0 offset:16
	buffer_load_dword v51, off, s[0:3], 0 offset:20
	ds_read2_b64 v[26:29], v52 offset0:63 offset1:64
	ds_read2_b64 v[22:25], v52 offset0:65 offset1:66
	ds_read2_b64 v[18:21], v52 offset0:67 offset1:68
	ds_read2_b64 v[14:17], v52 offset0:69 offset1:70
	ds_read2_b64 v[10:13], v52 offset0:71 offset1:72
	ds_read2_b64 v[6:9], v52 offset0:73 offset1:74
	ds_read2_b64 v[2:5], v52 offset0:75 offset1:76
	buffer_load_dword v90, off, s[0:3], 0 offset:176
	buffer_load_dword v91, off, s[0:3], 0 offset:180
	;; [unrolled: 1-line block ×10, first 2 shown]
	v_cmp_lt_u32_e32 vcc, 1, v0
	s_waitcnt vmcnt(49) lgkmcnt(6)
	v_mul_f32_e32 v30, v26, v57
	s_waitcnt vmcnt(48)
	v_mul_f32_e32 v31, v28, v56
	s_waitcnt vmcnt(47) lgkmcnt(5)
	v_mul_f32_e32 v33, v24, v55
	s_waitcnt vmcnt(46) lgkmcnt(4)
	v_mul_f32_e32 v34, v18, v54
	s_waitcnt vmcnt(45)
	v_mul_f32_e32 v35, v20, v1
	s_waitcnt vmcnt(44)
	v_mul_f32_e32 v32, v22, v58
	s_waitcnt vmcnt(43) lgkmcnt(3)
	v_mul_f32_e32 v36, v14, v53
	s_waitcnt vmcnt(42)
	v_mul_f32_e32 v37, v16, v59
	s_waitcnt vmcnt(41) lgkmcnt(2)
	;; [unrolled: 4-line block ×3, first 2 shown]
	v_mul_f32_e32 v40, v6, v62
	s_waitcnt vmcnt(38)
	v_mul_f32_e32 v41, v8, v63
	s_waitcnt vmcnt(37)
	v_fmac_f32_e32 v32, v23, v69
	s_waitcnt vmcnt(36)
	v_fmac_f32_e32 v31, v29, v72
	;; [unrolled: 2-line block ×3, first 2 shown]
	v_add_f32_e32 v30, 0, v30
	v_add_f32_e32 v30, v30, v31
	;; [unrolled: 1-line block ×3, first 2 shown]
	s_waitcnt vmcnt(31)
	v_fmac_f32_e32 v33, v25, v74
	v_fmac_f32_e32 v34, v19, v71
	v_add_f32_e32 v30, v30, v33
	v_fmac_f32_e32 v35, v21, v68
	v_add_f32_e32 v30, v30, v34
	;; [unrolled: 2-line block ×3, first 2 shown]
	s_waitcnt vmcnt(27)
	v_fmac_f32_e32 v37, v17, v70
	v_add_f32_e32 v30, v30, v36
	v_fmac_f32_e32 v38, v11, v67
	v_add_f32_e32 v30, v30, v37
	;; [unrolled: 2-line block ×4, first 2 shown]
	s_waitcnt vmcnt(23)
	v_fmac_f32_e32 v41, v9, v81
	v_add_f32_e32 v30, v30, v40
	v_add_f32_e32 v34, v30, v41
	ds_read2_b64 v[30:33], v52 offset0:77 offset1:78
	s_waitcnt vmcnt(22) lgkmcnt(1)
	v_mul_f32_e32 v35, v2, v80
	buffer_load_dword v169, off, s[0:3], 0 offset:216
	buffer_load_dword v170, off, s[0:3], 0 offset:220
	v_fmac_f32_e32 v35, v3, v78
	v_add_f32_e32 v34, v34, v35
	s_waitcnt vmcnt(23)
	v_mul_f32_e32 v35, v4, v79
	buffer_load_dword v171, off, s[0:3], 0 offset:224
	buffer_load_dword v172, off, s[0:3], 0 offset:228
	v_fmac_f32_e32 v35, v5, v76
	v_add_f32_e32 v34, v34, v35
	s_waitcnt vmcnt(24) lgkmcnt(0)
	v_mul_f32_e32 v35, v30, v77
	buffer_load_dword v173, off, s[0:3], 0 offset:232
	buffer_load_dword v174, off, s[0:3], 0 offset:236
	v_fmac_f32_e32 v35, v31, v73
	v_add_f32_e32 v38, v34, v35
	s_waitcnt vmcnt(19)
	v_mul_f32_e32 v39, v32, v89
	ds_read2_b64 v[34:37], v52 offset0:79 offset1:80
	buffer_load_dword v175, off, s[0:3], 0 offset:240
	buffer_load_dword v176, off, s[0:3], 0 offset:244
	s_waitcnt vmcnt(20)
	v_fmac_f32_e32 v39, v33, v88
	v_add_f32_e32 v42, v38, v39
	ds_read2_b64 v[38:41], v52 offset0:81 offset1:82
	buffer_load_dword v177, off, s[0:3], 0 offset:248
	buffer_load_dword v178, off, s[0:3], 0 offset:252
	;; [unrolled: 1-line block ×8, first 2 shown]
	s_waitcnt lgkmcnt(1)
	v_mul_f32_e32 v43, v34, v83
	buffer_load_dword v225, off, s[0:3], 0 offset:280
	buffer_load_dword v226, off, s[0:3], 0 offset:284
	v_fmac_f32_e32 v43, v35, v82
	v_add_f32_e32 v42, v42, v43
	v_mul_f32_e32 v43, v36, v85
	buffer_load_dword v227, off, s[0:3], 0 offset:288
	buffer_load_dword v228, off, s[0:3], 0 offset:292
	v_fmac_f32_e32 v43, v37, v84
	v_add_f32_e32 v42, v42, v43
	s_waitcnt lgkmcnt(0)
	v_mul_f32_e32 v43, v38, v87
	buffer_load_dword v229, off, s[0:3], 0 offset:296
	buffer_load_dword v230, off, s[0:3], 0 offset:300
	v_fmac_f32_e32 v43, v39, v86
	v_add_f32_e32 v42, v42, v43
	s_waitcnt vmcnt(30)
	v_mul_f32_e32 v43, v40, v91
	buffer_load_dword v231, off, s[0:3], 0 offset:304
	buffer_load_dword v232, off, s[0:3], 0 offset:308
	v_fmac_f32_e32 v43, v41, v90
	v_add_f32_e32 v95, v42, v43
	ds_read2_b64 v[42:45], v52 offset0:83 offset1:84
	buffer_load_dword v233, off, s[0:3], 0 offset:312
	buffer_load_dword v234, off, s[0:3], 0 offset:316
	ds_read2_b64 v[46:49], v52 offset0:85 offset1:86
	buffer_load_dword v235, off, s[0:3], 0 offset:320
	buffer_load_dword v236, off, s[0:3], 0 offset:324
	;; [unrolled: 1-line block ×10, first 2 shown]
	s_waitcnt vmcnt(42) lgkmcnt(1)
	v_mul_f32_e32 v96, v42, v93
	buffer_load_dword v245, off, s[0:3], 0 offset:360
	buffer_load_dword v246, off, s[0:3], 0 offset:364
	v_fmac_f32_e32 v96, v43, v92
	v_add_f32_e32 v95, v95, v96
	s_waitcnt vmcnt(42)
	v_mul_f32_e32 v96, v44, v100
	buffer_load_dword v247, off, s[0:3], 0 offset:368
	buffer_load_dword v248, off, s[0:3], 0 offset:372
	v_fmac_f32_e32 v96, v45, v94
	v_add_f32_e32 v95, v95, v96
	s_waitcnt vmcnt(42) lgkmcnt(0)
	v_mul_f32_e32 v96, v46, v166
	buffer_load_dword v249, off, s[0:3], 0 offset:376
	buffer_load_dword v250, off, s[0:3], 0 offset:380
	v_fmac_f32_e32 v96, v47, v154
	v_mul_f32_e32 v27, v27, v57
	v_add_f32_e32 v95, v95, v96
	ds_read2_b64 v[96:99], v52 offset0:87 offset1:88
	buffer_load_dword v251, off, s[0:3], 0 offset:384
	buffer_load_dword v252, off, s[0:3], 0 offset:388
	v_fma_f32 v26, v26, v75, -v27
	v_mul_f32_e32 v27, v29, v56
	v_add_f32_e32 v26, 0, v26
	v_fma_f32 v27, v28, v72, -v27
	v_mul_f32_e32 v23, v23, v58
	v_add_f32_e32 v26, v26, v27
	v_fma_f32 v22, v22, v69, -v23
	v_mul_f32_e32 v23, v25, v55
	buffer_load_dword v253, off, s[0:3], 0 offset:392
	buffer_load_dword v254, off, s[0:3], 0 offset:396
	v_add_f32_e32 v22, v26, v22
	v_fma_f32 v23, v24, v74, -v23
	v_mul_f32_e32 v19, v19, v54
	ds_read2_b64 v[104:107], v52 offset0:89 offset1:90
	buffer_load_dword v255, off, s[0:3], 0 offset:400
	buffer_load_dword v180, off, s[0:3], 0 offset:404
	ds_read2_b64 v[108:111], v52 offset0:91 offset1:92
	ds_read2_b64 v[112:115], v52 offset0:93 offset1:94
	;; [unrolled: 1-line block ×10, first 2 shown]
	buffer_load_dword v149, off, s[0:3], 0 offset:428
	buffer_load_dword v148, off, s[0:3], 0 offset:424
	;; [unrolled: 1-line block ×6, first 2 shown]
	v_add_f32_e32 v22, v22, v23
	v_fma_f32 v18, v18, v71, -v19
	v_mul_f32_e32 v1, v21, v1
	v_add_f32_e32 v18, v22, v18
	v_fma_f32 v1, v20, v68, -v1
	v_mul_f32_e32 v15, v15, v53
	v_add_f32_e32 v1, v18, v1
	v_fma_f32 v14, v14, v66, -v15
	v_add_f32_e32 v1, v1, v14
	v_mul_f32_e32 v14, v17, v59
	v_fma_f32 v14, v16, v70, -v14
	v_mul_f32_e32 v11, v11, v60
	v_add_f32_e32 v1, v1, v14
	v_fma_f32 v10, v10, v67, -v11
	v_add_f32_e32 v1, v1, v10
	v_mul_f32_e32 v10, v13, v61
	;; [unrolled: 6-line block ×3, first 2 shown]
	v_fma_f32 v6, v8, v81, -v6
	v_mul_f32_e32 v3, v3, v80
	v_add_f32_e32 v1, v1, v6
	v_fma_f32 v2, v2, v78, -v3
	buffer_load_dword v157, off, s[0:3], 0 offset:460
	buffer_load_dword v156, off, s[0:3], 0 offset:456
	;; [unrolled: 1-line block ×10, first 2 shown]
	v_add_f32_e32 v1, v1, v2
	v_mul_f32_e32 v2, v5, v79
	v_fma_f32 v2, v4, v76, -v2
	v_add_f32_e32 v1, v1, v2
	v_mul_f32_e32 v2, v31, v77
	v_fma_f32 v2, v30, v73, -v2
	;; [unrolled: 3-line block ×10, first 2 shown]
	v_add_f32_e32 v1, v1, v2
	s_waitcnt vmcnt(62)
	v_mul_f32_e32 v2, v49, v168
	v_mul_f32_e32 v101, v48, v168
	v_fma_f32 v2, v48, v167, -v2
	v_fmac_f32_e32 v101, v49, v167
	v_add_f32_e32 v1, v1, v2
	s_waitcnt lgkmcnt(11)
	v_mul_f32_e32 v2, v97, v170
	v_add_f32_e32 v95, v95, v101
	v_mul_f32_e32 v101, v96, v170
	v_fma_f32 v2, v96, v169, -v2
	v_fmac_f32_e32 v101, v97, v169
	v_add_f32_e32 v1, v1, v2
	s_waitcnt vmcnt(60)
	v_mul_f32_e32 v2, v99, v172
	v_add_f32_e32 v95, v95, v101
	v_mul_f32_e32 v101, v98, v172
	v_fma_f32 v2, v98, v171, -v2
	v_fmac_f32_e32 v101, v99, v171
	v_add_f32_e32 v1, v1, v2
	s_waitcnt vmcnt(58) lgkmcnt(10)
	v_mul_f32_e32 v2, v105, v174
	v_add_f32_e32 v95, v95, v101
	v_mul_f32_e32 v101, v104, v174
	v_fma_f32 v2, v104, v173, -v2
	v_fmac_f32_e32 v101, v105, v173
	v_add_f32_e32 v1, v1, v2
	s_waitcnt vmcnt(56)
	v_mul_f32_e32 v2, v107, v176
	v_add_f32_e32 v95, v95, v101
	v_mul_f32_e32 v101, v106, v176
	v_fma_f32 v2, v106, v175, -v2
	v_fmac_f32_e32 v101, v107, v175
	v_add_f32_e32 v1, v1, v2
	s_waitcnt vmcnt(54) lgkmcnt(9)
	;; [unrolled: 14-line block ×10, first 2 shown]
	v_mul_f32_e32 v2, v141, v250
	v_add_f32_e32 v95, v95, v101
	v_mul_f32_e32 v101, v140, v250
	v_fma_f32 v2, v140, v249, -v2
	v_fmac_f32_e32 v101, v141, v249
	v_add_f32_e32 v1, v1, v2
	s_waitcnt vmcnt(20)
	v_mul_f32_e32 v2, v143, v252
	v_add_f32_e32 v95, v95, v101
	v_mul_f32_e32 v101, v142, v252
	v_fma_f32 v2, v142, v251, -v2
	v_fmac_f32_e32 v101, v143, v251
	v_add_f32_e32 v94, v1, v2
	ds_read2_b64 v[2:5], v52 offset0:111 offset1:112
	ds_read2_b64 v[6:9], v52 offset0:113 offset1:114
	;; [unrolled: 1-line block ×4, first 2 shown]
	v_add_f32_e32 v95, v95, v101
	s_waitcnt vmcnt(18) lgkmcnt(4)
	v_mul_f32_e32 v101, v144, v254
	v_mul_f32_e32 v1, v145, v254
	s_waitcnt vmcnt(11)
	v_mov_b32_e32 v20, v153
	v_fmac_f32_e32 v101, v145, v253
	v_mul_f32_e32 v155, v146, v180
	v_fma_f32 v100, v144, v253, -v1
	v_mul_f32_e32 v1, v147, v180
	s_waitcnt lgkmcnt(3)
	v_pk_mul_f32 v[20:21], v[2:3], v[20:21] op_sel_hi:[1,0]
	v_fmac_f32_e32 v155, v147, v255
	v_fma_f32 v154, v146, v255, -v1
	v_pk_add_f32 v[18:19], v[94:95], v[100:101]
	s_waitcnt vmcnt(10)
	v_pk_fma_f32 v[22:23], v[2:3], v[152:153], v[20:21] op_sel:[0,0,1] op_sel_hi:[1,1,0] neg_lo:[0,0,1] neg_hi:[0,0,1]
	v_pk_fma_f32 v[2:3], v[2:3], v[152:153], v[20:21] op_sel:[0,0,1] op_sel_hi:[1,0,0]
	v_pk_add_f32 v[18:19], v[18:19], v[154:155]
	v_mov_b32_e32 v23, v3
	v_pk_add_f32 v[2:3], v[18:19], v[22:23]
	v_mov_b32_e32 v18, v151
	v_pk_mul_f32 v[18:19], v[4:5], v[18:19] op_sel_hi:[1,0]
	v_pk_fma_f32 v[20:21], v[4:5], v[150:151], v[18:19] op_sel:[0,0,1] op_sel_hi:[1,1,0] neg_lo:[0,0,1] neg_hi:[0,0,1]
	v_pk_fma_f32 v[4:5], v[4:5], v[150:151], v[18:19] op_sel:[0,0,1] op_sel_hi:[1,0,0]
	v_mov_b32_e32 v4, v149
	v_mov_b32_e32 v21, v5
	s_waitcnt lgkmcnt(2)
	v_pk_mul_f32 v[4:5], v[6:7], v[4:5] op_sel_hi:[1,0]
	v_pk_fma_f32 v[18:19], v[6:7], v[148:149], v[4:5] op_sel:[0,0,1] op_sel_hi:[1,1,0] neg_lo:[0,0,1] neg_hi:[0,0,1]
	v_pk_fma_f32 v[4:5], v[6:7], v[148:149], v[4:5] op_sel:[0,0,1] op_sel_hi:[1,0,0]
	s_waitcnt vmcnt(3)
	v_mov_b32_e32 v4, v163
	v_mov_b32_e32 v19, v5
	v_pk_mul_f32 v[4:5], v[8:9], v[4:5] op_sel_hi:[1,0]
	s_waitcnt vmcnt(2)
	v_pk_fma_f32 v[6:7], v[8:9], v[162:163], v[4:5] op_sel:[0,0,1] op_sel_hi:[1,1,0] neg_lo:[0,0,1] neg_hi:[0,0,1]
	v_pk_fma_f32 v[4:5], v[8:9], v[162:163], v[4:5] op_sel:[0,0,1] op_sel_hi:[1,0,0]
	v_pk_add_f32 v[2:3], v[2:3], v[20:21]
	v_mov_b32_e32 v4, v161
	v_pk_add_f32 v[2:3], v[2:3], v[18:19]
	v_mov_b32_e32 v7, v5
	s_waitcnt lgkmcnt(1)
	v_pk_mul_f32 v[4:5], v[10:11], v[4:5] op_sel_hi:[1,0]
	v_pk_add_f32 v[2:3], v[2:3], v[6:7]
	v_pk_fma_f32 v[6:7], v[10:11], v[160:161], v[4:5] op_sel:[0,0,1] op_sel_hi:[1,1,0] neg_lo:[0,0,1] neg_hi:[0,0,1]
	v_pk_fma_f32 v[4:5], v[10:11], v[160:161], v[4:5] op_sel:[0,0,1] op_sel_hi:[1,0,0]
	v_mov_b32_e32 v4, v159
	v_mov_b32_e32 v7, v5
	v_pk_mul_f32 v[4:5], v[12:13], v[4:5] op_sel_hi:[1,0]
	v_pk_add_f32 v[2:3], v[2:3], v[6:7]
	v_pk_fma_f32 v[6:7], v[12:13], v[158:159], v[4:5] op_sel:[0,0,1] op_sel_hi:[1,1,0] neg_lo:[0,0,1] neg_hi:[0,0,1]
	v_pk_fma_f32 v[4:5], v[12:13], v[158:159], v[4:5] op_sel:[0,0,1] op_sel_hi:[1,0,0]
	v_mov_b32_e32 v4, v157
	v_mov_b32_e32 v7, v5
	s_waitcnt lgkmcnt(0)
	v_pk_mul_f32 v[4:5], v[14:15], v[4:5] op_sel_hi:[1,0]
	v_pk_add_f32 v[2:3], v[2:3], v[6:7]
	v_pk_fma_f32 v[6:7], v[14:15], v[156:157], v[4:5] op_sel:[0,0,1] op_sel_hi:[1,1,0] neg_lo:[0,0,1] neg_hi:[0,0,1]
	v_pk_fma_f32 v[4:5], v[14:15], v[156:157], v[4:5] op_sel:[0,0,1] op_sel_hi:[1,0,0]
	s_waitcnt vmcnt(1)
	v_mov_b32_e32 v4, v165
	v_mov_b32_e32 v7, v5
	v_pk_mul_f32 v[4:5], v[16:17], v[4:5] op_sel_hi:[1,0]
	v_pk_add_f32 v[2:3], v[2:3], v[6:7]
	s_waitcnt vmcnt(0)
	v_pk_fma_f32 v[6:7], v[16:17], v[164:165], v[4:5] op_sel:[0,0,1] op_sel_hi:[1,1,0] neg_lo:[0,0,1] neg_hi:[0,0,1]
	v_pk_fma_f32 v[4:5], v[16:17], v[164:165], v[4:5] op_sel:[0,0,1] op_sel_hi:[1,0,0]
	v_mov_b32_e32 v7, v5
	v_pk_add_f32 v[2:3], v[2:3], v[6:7]
	v_pk_add_f32 v[2:3], v[50:51], v[2:3] neg_lo:[0,1] neg_hi:[0,1]
	buffer_store_dword v3, off, s[0:3], 0 offset:20
	buffer_store_dword v2, off, s[0:3], 0 offset:16
	s_and_saveexec_b64 s[4:5], vcc
	s_cbranch_execz .LBB122_365
; %bb.364:
	buffer_load_dword v2, off, s[0:3], 0 offset:8
	buffer_load_dword v3, off, s[0:3], 0 offset:12
	v_mov_b32_e32 v1, 0
	buffer_store_dword v1, off, s[0:3], 0 offset:8
	buffer_store_dword v1, off, s[0:3], 0 offset:12
	s_waitcnt vmcnt(2)
	ds_write_b64 v187, v[2:3]
.LBB122_365:
	s_or_b64 exec, exec, s[4:5]
	v_mov_b32_e32 v244, 0
	s_waitcnt lgkmcnt(0)
	; wave barrier
	s_waitcnt lgkmcnt(0)
	ds_read_b128 v[2:5], v244 offset:496
	buffer_load_dword v220, off, s[0:3], 0 offset:8
	buffer_load_dword v221, off, s[0:3], 0 offset:12
	buffer_load_dword v222, off, s[0:3], 0 offset:16
	buffer_load_dword v245, off, s[0:3], 0 offset:20
	buffer_load_dword v224, off, s[0:3], 0 offset:24
	buffer_load_dword v247, off, s[0:3], 0 offset:28
	buffer_load_dword v228, off, s[0:3], 0 offset:32
	buffer_load_dword v249, off, s[0:3], 0 offset:36
	buffer_load_dword v246, off, s[0:3], 0 offset:40
	buffer_load_dword v251, off, s[0:3], 0 offset:44
	buffer_load_dword v248, off, s[0:3], 0 offset:48
	buffer_load_dword v253, off, s[0:3], 0 offset:52
	buffer_load_dword v250, off, s[0:3], 0 offset:56
	buffer_load_dword v254, off, s[0:3], 0 offset:60
	buffer_load_dword v252, off, s[0:3], 0 offset:64
	buffer_load_dword v255, off, s[0:3], 0 offset:68
	v_cmp_ne_u32_e32 vcc, 0, v0
	s_waitcnt vmcnt(12) lgkmcnt(0)
	v_mul_f32_e32 v1, v2, v245
	v_fmac_f32_e32 v1, v3, v222
	s_waitcnt vmcnt(10)
	v_mul_f32_e32 v6, v4, v247
	v_add_f32_e32 v1, 0, v1
	v_fmac_f32_e32 v6, v5, v224
	v_add_f32_e32 v1, v1, v6
	ds_read_b128 v[6:9], v244 offset:512
	v_mul_f32_e32 v3, v3, v245
	v_fma_f32 v2, v2, v222, -v3
	v_mul_f32_e32 v3, v5, v247
	v_add_f32_e32 v2, 0, v2
	s_waitcnt vmcnt(8) lgkmcnt(0)
	v_mul_f32_e32 v10, v6, v249
	v_fmac_f32_e32 v10, v7, v228
	v_add_f32_e32 v1, v1, v10
	s_waitcnt vmcnt(6)
	v_mul_f32_e32 v10, v8, v251
	v_fmac_f32_e32 v10, v9, v246
	v_add_f32_e32 v1, v1, v10
	ds_read_b128 v[10:13], v244 offset:528
	v_fma_f32 v3, v4, v224, -v3
	v_add_f32_e32 v2, v2, v3
	v_mul_f32_e32 v3, v7, v249
	v_fma_f32 v3, v6, v228, -v3
	s_waitcnt vmcnt(4) lgkmcnt(0)
	v_mul_f32_e32 v14, v10, v253
	v_fmac_f32_e32 v14, v11, v248
	v_add_f32_e32 v1, v1, v14
	s_waitcnt vmcnt(2)
	v_mul_f32_e32 v14, v12, v254
	v_fmac_f32_e32 v14, v13, v250
	v_add_f32_e32 v1, v1, v14
	ds_read_b128 v[14:17], v244 offset:544
	v_add_f32_e32 v2, v2, v3
	v_mul_f32_e32 v3, v9, v251
	v_fma_f32 v3, v8, v246, -v3
	v_add_f32_e32 v2, v2, v3
	s_waitcnt vmcnt(0) lgkmcnt(0)
	v_mul_f32_e32 v18, v14, v255
	v_fmac_f32_e32 v18, v15, v252
	v_add_f32_e32 v18, v1, v18
	buffer_load_dword v1, off, s[0:3], 0 offset:72
	buffer_load_dword v104, off, s[0:3], 0 offset:76
	v_mul_f32_e32 v3, v11, v253
	v_fma_f32 v3, v10, v248, -v3
	v_add_f32_e32 v2, v2, v3
	v_mul_f32_e32 v3, v13, v254
	v_fma_f32 v3, v12, v250, -v3
	v_add_f32_e32 v2, v2, v3
	;; [unrolled: 3-line block ×3, first 2 shown]
	s_waitcnt vmcnt(0)
	v_mul_f32_e32 v19, v16, v104
	v_fmac_f32_e32 v19, v17, v1
	v_add_f32_e32 v22, v18, v19
	ds_read_b128 v[18:21], v244 offset:560
	buffer_load_dword v105, off, s[0:3], 0 offset:80
	buffer_load_dword v106, off, s[0:3], 0 offset:84
	;; [unrolled: 1-line block ×4, first 2 shown]
	v_mul_f32_e32 v3, v17, v104
	v_fma_f32 v1, v16, v1, -v3
	v_add_f32_e32 v1, v2, v1
	s_waitcnt vmcnt(2) lgkmcnt(0)
	v_mul_f32_e32 v23, v18, v106
	v_fmac_f32_e32 v23, v19, v105
	v_add_f32_e32 v22, v22, v23
	s_waitcnt vmcnt(0)
	v_mul_f32_e32 v23, v20, v108
	v_fmac_f32_e32 v23, v21, v107
	v_add_f32_e32 v26, v22, v23
	ds_read_b128 v[22:25], v244 offset:576
	buffer_load_dword v109, off, s[0:3], 0 offset:96
	buffer_load_dword v110, off, s[0:3], 0 offset:100
	buffer_load_dword v111, off, s[0:3], 0 offset:104
	buffer_load_dword v112, off, s[0:3], 0 offset:108
	v_mul_f32_e32 v2, v19, v106
	v_fma_f32 v2, v18, v105, -v2
	v_add_f32_e32 v1, v1, v2
	v_mul_f32_e32 v2, v21, v108
	v_fma_f32 v2, v20, v107, -v2
	v_add_f32_e32 v1, v1, v2
	s_waitcnt vmcnt(2) lgkmcnt(0)
	v_mul_f32_e32 v27, v22, v110
	v_fmac_f32_e32 v27, v23, v109
	v_add_f32_e32 v26, v26, v27
	s_waitcnt vmcnt(0)
	v_mul_f32_e32 v27, v24, v112
	v_fmac_f32_e32 v27, v25, v111
	v_add_f32_e32 v30, v26, v27
	ds_read_b128 v[26:29], v244 offset:592
	buffer_load_dword v113, off, s[0:3], 0 offset:112
	buffer_load_dword v114, off, s[0:3], 0 offset:116
	buffer_load_dword v115, off, s[0:3], 0 offset:120
	buffer_load_dword v116, off, s[0:3], 0 offset:124
	v_mul_f32_e32 v2, v23, v110
	v_fma_f32 v2, v22, v109, -v2
	v_add_f32_e32 v1, v1, v2
	;; [unrolled: 19-line block ×6, first 2 shown]
	v_mul_f32_e32 v2, v41, v128
	v_fma_f32 v2, v40, v127, -v2
	v_add_f32_e32 v1, v1, v2
	s_waitcnt vmcnt(2) lgkmcnt(0)
	v_mul_f32_e32 v47, v42, v130
	v_fmac_f32_e32 v47, v43, v129
	v_add_f32_e32 v46, v46, v47
	s_waitcnt vmcnt(0)
	v_mul_f32_e32 v47, v44, v132
	v_fmac_f32_e32 v47, v45, v131
	v_add_f32_e32 v50, v46, v47
	ds_read_b128 v[46:49], v244 offset:672
	buffer_load_dword v133, off, s[0:3], 0 offset:192
	buffer_load_dword v134, off, s[0:3], 0 offset:196
	buffer_load_dword v135, off, s[0:3], 0 offset:200
	buffer_load_dword v136, off, s[0:3], 0 offset:204
	ds_read_b128 v[54:57], v244 offset:688
	buffer_load_dword v137, off, s[0:3], 0 offset:208
	buffer_load_dword v138, off, s[0:3], 0 offset:212
	buffer_load_dword v139, off, s[0:3], 0 offset:216
	buffer_load_dword v140, off, s[0:3], 0 offset:220
	;; [unrolled: 5-line block ×13, first 2 shown]
	v_mul_f32_e32 v2, v43, v130
	v_fma_f32 v2, v42, v129, -v2
	v_add_f32_e32 v1, v1, v2
	v_mul_f32_e32 v2, v45, v132
	v_fma_f32 v2, v44, v131, -v2
	v_add_f32_e32 v1, v1, v2
	s_waitcnt vmcnt(50) lgkmcnt(12)
	v_mul_f32_e32 v51, v46, v134
	v_fmac_f32_e32 v51, v47, v133
	v_add_f32_e32 v50, v50, v51
	s_waitcnt vmcnt(48)
	v_mul_f32_e32 v51, v48, v136
	v_fmac_f32_e32 v51, v49, v135
	v_add_f32_e32 v50, v50, v51
	s_waitcnt vmcnt(46) lgkmcnt(11)
	v_mul_f32_e32 v51, v54, v138
	v_fmac_f32_e32 v51, v55, v137
	v_add_f32_e32 v50, v50, v51
	s_waitcnt vmcnt(44)
	v_mul_f32_e32 v51, v56, v140
	v_fmac_f32_e32 v51, v57, v139
	;; [unrolled: 8-line block ×12, first 2 shown]
	v_add_f32_e32 v50, v50, v51
	s_waitcnt vmcnt(2) lgkmcnt(0)
	v_mul_f32_e32 v51, v98, v182
	v_fmac_f32_e32 v51, v99, v181
	v_add_f32_e32 v223, v50, v51
	ds_read_b128 v[50:53], v244 offset:880
	buffer_load_dword v185, off, s[0:3], 0 offset:400
	buffer_load_dword v186, off, s[0:3], 0 offset:404
	buffer_load_dword v227, off, s[0:3], 0 offset:412
	buffer_load_dword v226, off, s[0:3], 0 offset:408
	buffer_load_dword v243, off, s[0:3], 0 offset:420
	buffer_load_dword v242, off, s[0:3], 0 offset:416
	buffer_load_dword v241, off, s[0:3], 0 offset:428
	buffer_load_dword v240, off, s[0:3], 0 offset:424
	buffer_load_dword v239, off, s[0:3], 0 offset:436
	buffer_load_dword v238, off, s[0:3], 0 offset:432
	buffer_load_dword v237, off, s[0:3], 0 offset:444
	buffer_load_dword v236, off, s[0:3], 0 offset:440
	buffer_load_dword v235, off, s[0:3], 0 offset:452
	buffer_load_dword v234, off, s[0:3], 0 offset:448
	buffer_load_dword v233, off, s[0:3], 0 offset:460
	buffer_load_dword v232, off, s[0:3], 0 offset:456
	buffer_load_dword v231, off, s[0:3], 0 offset:468
	buffer_load_dword v230, off, s[0:3], 0 offset:464
	v_mul_f32_e32 v2, v47, v134
	v_fma_f32 v2, v46, v133, -v2
	v_add_f32_e32 v1, v1, v2
	v_mul_f32_e32 v2, v49, v136
	v_fma_f32 v2, v48, v135, -v2
	v_add_f32_e32 v1, v1, v2
	;; [unrolled: 3-line block ×24, first 2 shown]
	v_mul_f32_e32 v2, v99, v182
	v_fma_f32 v2, v98, v181, -v2
	s_waitcnt vmcnt(15)
	v_mov_b32_e32 v18, v227
	v_mul_f32_e32 v225, v100, v184
	v_add_f32_e32 v222, v1, v2
	v_mul_f32_e32 v1, v101, v184
	s_waitcnt lgkmcnt(0)
	v_pk_mul_f32 v[18:19], v[52:53], v[18:19] op_sel_hi:[1,0]
	v_fmac_f32_e32 v225, v101, v183
	v_mul_f32_e32 v229, v50, v186
	v_fma_f32 v224, v100, v183, -v1
	v_mul_f32_e32 v1, v51, v186
	ds_read_b128 v[2:5], v244 offset:896
	ds_read_b128 v[6:9], v244 offset:912
	;; [unrolled: 1-line block ×3, first 2 shown]
	ds_read_b64 v[14:15], v244 offset:944
	s_waitcnt vmcnt(14)
	v_pk_fma_f32 v[20:21], v[52:53], v[226:227], v[18:19] op_sel:[0,0,1] op_sel_hi:[1,1,0] neg_lo:[0,0,1] neg_hi:[0,0,1]
	v_pk_fma_f32 v[18:19], v[52:53], v[226:227], v[18:19] op_sel:[0,0,1] op_sel_hi:[1,0,0]
	v_fmac_f32_e32 v229, v51, v185
	v_fma_f32 v228, v50, v185, -v1
	v_pk_add_f32 v[16:17], v[222:223], v[224:225]
	s_waitcnt vmcnt(13)
	v_mov_b32_e32 v18, v243
	v_pk_add_f32 v[16:17], v[16:17], v[228:229]
	v_mov_b32_e32 v21, v19
	s_waitcnt lgkmcnt(3)
	v_pk_mul_f32 v[18:19], v[2:3], v[18:19] op_sel_hi:[1,0]
	v_pk_add_f32 v[16:17], v[16:17], v[20:21]
	s_waitcnt vmcnt(12)
	v_pk_fma_f32 v[20:21], v[2:3], v[242:243], v[18:19] op_sel:[0,0,1] op_sel_hi:[1,1,0] neg_lo:[0,0,1] neg_hi:[0,0,1]
	v_pk_fma_f32 v[2:3], v[2:3], v[242:243], v[18:19] op_sel:[0,0,1] op_sel_hi:[1,0,0]
	v_mov_b32_e32 v21, v3
	v_pk_add_f32 v[2:3], v[16:17], v[20:21]
	s_waitcnt vmcnt(11)
	v_mov_b32_e32 v16, v241
	v_pk_mul_f32 v[16:17], v[4:5], v[16:17] op_sel_hi:[1,0]
	s_waitcnt vmcnt(10)
	v_pk_fma_f32 v[18:19], v[4:5], v[240:241], v[16:17] op_sel:[0,0,1] op_sel_hi:[1,1,0] neg_lo:[0,0,1] neg_hi:[0,0,1]
	v_pk_fma_f32 v[4:5], v[4:5], v[240:241], v[16:17] op_sel:[0,0,1] op_sel_hi:[1,0,0]
	s_waitcnt vmcnt(9)
	v_mov_b32_e32 v4, v239
	v_mov_b32_e32 v19, v5
	s_waitcnt lgkmcnt(2)
	v_pk_mul_f32 v[4:5], v[6:7], v[4:5] op_sel_hi:[1,0]
	s_waitcnt vmcnt(8)
	v_pk_fma_f32 v[16:17], v[6:7], v[238:239], v[4:5] op_sel:[0,0,1] op_sel_hi:[1,1,0] neg_lo:[0,0,1] neg_hi:[0,0,1]
	v_pk_fma_f32 v[4:5], v[6:7], v[238:239], v[4:5] op_sel:[0,0,1] op_sel_hi:[1,0,0]
	s_waitcnt vmcnt(7)
	v_mov_b32_e32 v4, v237
	v_mov_b32_e32 v17, v5
	v_pk_mul_f32 v[4:5], v[8:9], v[4:5] op_sel_hi:[1,0]
	s_waitcnt vmcnt(6)
	v_pk_fma_f32 v[6:7], v[8:9], v[236:237], v[4:5] op_sel:[0,0,1] op_sel_hi:[1,1,0] neg_lo:[0,0,1] neg_hi:[0,0,1]
	v_pk_fma_f32 v[4:5], v[8:9], v[236:237], v[4:5] op_sel:[0,0,1] op_sel_hi:[1,0,0]
	v_pk_add_f32 v[2:3], v[2:3], v[18:19]
	s_waitcnt vmcnt(5)
	v_mov_b32_e32 v4, v235
	v_pk_add_f32 v[2:3], v[2:3], v[16:17]
	v_mov_b32_e32 v7, v5
	s_waitcnt lgkmcnt(1)
	v_pk_mul_f32 v[4:5], v[10:11], v[4:5] op_sel_hi:[1,0]
	v_pk_add_f32 v[2:3], v[2:3], v[6:7]
	s_waitcnt vmcnt(4)
	v_pk_fma_f32 v[6:7], v[10:11], v[234:235], v[4:5] op_sel:[0,0,1] op_sel_hi:[1,1,0] neg_lo:[0,0,1] neg_hi:[0,0,1]
	v_pk_fma_f32 v[4:5], v[10:11], v[234:235], v[4:5] op_sel:[0,0,1] op_sel_hi:[1,0,0]
	s_waitcnt vmcnt(3)
	v_mov_b32_e32 v4, v233
	v_mov_b32_e32 v7, v5
	v_pk_mul_f32 v[4:5], v[12:13], v[4:5] op_sel_hi:[1,0]
	v_pk_add_f32 v[2:3], v[2:3], v[6:7]
	s_waitcnt vmcnt(2)
	v_pk_fma_f32 v[6:7], v[12:13], v[232:233], v[4:5] op_sel:[0,0,1] op_sel_hi:[1,1,0] neg_lo:[0,0,1] neg_hi:[0,0,1]
	v_pk_fma_f32 v[4:5], v[12:13], v[232:233], v[4:5] op_sel:[0,0,1] op_sel_hi:[1,0,0]
	s_waitcnt vmcnt(1)
	v_mov_b32_e32 v4, v231
	v_mov_b32_e32 v7, v5
	s_waitcnt lgkmcnt(0)
	v_pk_mul_f32 v[4:5], v[14:15], v[4:5] op_sel_hi:[1,0]
	v_pk_add_f32 v[2:3], v[2:3], v[6:7]
	s_waitcnt vmcnt(0)
	v_pk_fma_f32 v[6:7], v[14:15], v[230:231], v[4:5] op_sel:[0,0,1] op_sel_hi:[1,1,0] neg_lo:[0,0,1] neg_hi:[0,0,1]
	v_pk_fma_f32 v[4:5], v[14:15], v[230:231], v[4:5] op_sel:[0,0,1] op_sel_hi:[1,0,0]
	v_mov_b32_e32 v7, v5
	v_pk_add_f32 v[2:3], v[2:3], v[6:7]
	v_pk_add_f32 v[2:3], v[220:221], v[2:3] neg_lo:[0,1] neg_hi:[0,1]
	buffer_store_dword v3, off, s[0:3], 0 offset:12
	buffer_store_dword v2, off, s[0:3], 0 offset:8
	s_and_saveexec_b64 s[4:5], vcc
	s_cbranch_execz .LBB122_367
; %bb.366:
	buffer_load_dword v0, off, s[0:3], 0
	buffer_load_dword v1, off, s[0:3], 0 offset:4
	s_waitcnt vmcnt(0)
	ds_write_b64 v187, v[0:1]
	buffer_store_dword v244, off, s[0:3], 0
	buffer_store_dword v244, off, s[0:3], 0 offset:4
.LBB122_367:
	s_or_b64 exec, exec, s[4:5]
	s_waitcnt lgkmcnt(0)
	; wave barrier
	s_waitcnt lgkmcnt(0)
	buffer_load_dword v63, off, s[0:3], 0 offset:12
	buffer_load_dword v62, off, s[0:3], 0 offset:20
	;; [unrolled: 1-line block ×38, first 2 shown]
	buffer_load_dword v56, off, s[0:3], 0
	buffer_load_dword v57, off, s[0:3], 0 offset:4
	ds_read2_b64 v[20:23], v244 offset0:61 offset1:62
	ds_read2_b64 v[16:19], v244 offset0:63 offset1:64
	;; [unrolled: 1-line block ×6, first 2 shown]
	buffer_load_dword v96, off, s[0:3], 0 offset:160
	buffer_load_dword v97, off, s[0:3], 0 offset:164
	buffer_load_dword v98, off, s[0:3], 0 offset:168
	buffer_load_dword v99, off, s[0:3], 0 offset:172
	buffer_load_dword v100, off, s[0:3], 0 offset:176
	buffer_load_dword v101, off, s[0:3], 0 offset:180
	buffer_load_dword v104, off, s[0:3], 0 offset:184
	buffer_load_dword v105, off, s[0:3], 0 offset:188
	buffer_load_dword v106, off, s[0:3], 0 offset:192
	buffer_load_dword v107, off, s[0:3], 0 offset:196
	s_and_b64 vcc, exec, s[16:17]
	s_waitcnt vmcnt(49) lgkmcnt(5)
	v_mul_f32_e32 v24, v20, v63
	s_waitcnt vmcnt(48)
	v_mul_f32_e32 v25, v22, v62
	s_waitcnt vmcnt(47) lgkmcnt(4)
	v_mul_f32_e32 v27, v18, v61
	s_waitcnt vmcnt(46) lgkmcnt(3)
	v_mul_f32_e32 v28, v12, v60
	s_waitcnt vmcnt(45)
	v_mul_f32_e32 v29, v14, v58
	s_waitcnt vmcnt(44)
	v_mul_f32_e32 v26, v16, v64
	s_waitcnt vmcnt(43) lgkmcnt(2)
	v_mul_f32_e32 v30, v8, v59
	s_waitcnt vmcnt(42)
	v_mul_f32_e32 v31, v10, v65
	s_waitcnt vmcnt(41) lgkmcnt(1)
	;; [unrolled: 4-line block ×3, first 2 shown]
	v_mul_f32_e32 v34, v0, v68
	s_waitcnt vmcnt(38)
	v_mul_f32_e32 v35, v2, v69
	s_waitcnt vmcnt(37)
	v_fmac_f32_e32 v26, v17, v75
	s_waitcnt vmcnt(36)
	v_fmac_f32_e32 v25, v23, v78
	;; [unrolled: 2-line block ×3, first 2 shown]
	v_add_f32_e32 v24, 0, v24
	v_add_f32_e32 v24, v24, v25
	;; [unrolled: 1-line block ×3, first 2 shown]
	s_waitcnt vmcnt(31)
	v_fmac_f32_e32 v27, v19, v80
	v_fmac_f32_e32 v28, v13, v77
	v_add_f32_e32 v24, v24, v27
	v_fmac_f32_e32 v29, v15, v74
	v_add_f32_e32 v24, v24, v28
	;; [unrolled: 2-line block ×3, first 2 shown]
	s_waitcnt vmcnt(27)
	v_fmac_f32_e32 v31, v11, v76
	v_add_f32_e32 v24, v24, v30
	v_fmac_f32_e32 v32, v5, v73
	v_add_f32_e32 v24, v24, v31
	;; [unrolled: 2-line block ×3, first 2 shown]
	v_add_f32_e32 v28, v24, v33
	ds_read2_b64 v[24:27], v244 offset0:73 offset1:74
	v_fmac_f32_e32 v34, v1, v70
	v_add_f32_e32 v28, v28, v34
	s_waitcnt vmcnt(23)
	v_fmac_f32_e32 v35, v3, v87
	v_add_f32_e32 v32, v28, v35
	ds_read2_b64 v[28:31], v244 offset0:75 offset1:76
	s_waitcnt vmcnt(22) lgkmcnt(1)
	v_mul_f32_e32 v33, v24, v86
	buffer_load_dword v158, off, s[0:3], 0 offset:200
	buffer_load_dword v160, off, s[0:3], 0 offset:204
	v_fmac_f32_e32 v33, v25, v84
	v_add_f32_e32 v32, v32, v33
	s_waitcnt vmcnt(23)
	v_mul_f32_e32 v33, v26, v85
	buffer_load_dword v162, off, s[0:3], 0 offset:208
	buffer_load_dword v176, off, s[0:3], 0 offset:212
	v_fmac_f32_e32 v33, v27, v82
	v_add_f32_e32 v32, v32, v33
	s_waitcnt vmcnt(24) lgkmcnt(0)
	v_mul_f32_e32 v33, v28, v83
	buffer_load_dword v177, off, s[0:3], 0 offset:216
	buffer_load_dword v178, off, s[0:3], 0 offset:220
	v_fmac_f32_e32 v33, v29, v79
	v_add_f32_e32 v32, v32, v33
	s_waitcnt vmcnt(20)
	v_mul_f32_e32 v33, v30, v95
	s_waitcnt vmcnt(19)
	v_fmac_f32_e32 v33, v31, v94
	ds_read2_b64 v[36:39], v244 offset0:77 offset1:78
	v_add_f32_e32 v40, v32, v33
	ds_read2_b64 v[32:35], v244 offset0:79 offset1:80
	buffer_load_dword v179, off, s[0:3], 0 offset:224
	buffer_load_dword v180, off, s[0:3], 0 offset:228
	;; [unrolled: 1-line block ×8, first 2 shown]
	s_waitcnt vmcnt(26) lgkmcnt(1)
	v_mul_f32_e32 v41, v36, v93
	v_fmac_f32_e32 v41, v37, v92
	buffer_load_dword v187, off, s[0:3], 0 offset:256
	buffer_load_dword v222, off, s[0:3], 0 offset:260
	v_add_f32_e32 v40, v40, v41
	v_mul_f32_e32 v41, v38, v89
	v_fmac_f32_e32 v41, v39, v88
	v_add_f32_e32 v40, v40, v41
	s_waitcnt lgkmcnt(0)
	v_mul_f32_e32 v41, v32, v91
	buffer_load_dword v223, off, s[0:3], 0 offset:264
	buffer_load_dword v224, off, s[0:3], 0 offset:268
	v_fmac_f32_e32 v41, v33, v90
	v_add_f32_e32 v44, v40, v41
	ds_read2_b64 v[40:43], v244 offset0:81 offset1:82
	buffer_load_dword v225, off, s[0:3], 0 offset:272
	buffer_load_dword v226, off, s[0:3], 0 offset:276
	;; [unrolled: 1-line block ×4, first 2 shown]
	s_waitcnt vmcnt(30)
	v_mul_f32_e32 v45, v34, v97
	v_fmac_f32_e32 v45, v35, v96
	v_add_f32_e32 v48, v44, v45
	ds_read2_b64 v[44:47], v244 offset0:83 offset1:84
	buffer_load_dword v229, off, s[0:3], 0 offset:288
	buffer_load_dword v230, off, s[0:3], 0 offset:292
	;; [unrolled: 1-line block ×12, first 2 shown]
	s_waitcnt vmcnt(40) lgkmcnt(1)
	v_mul_f32_e32 v49, v40, v99
	v_fmac_f32_e32 v49, v41, v98
	buffer_load_dword v241, off, s[0:3], 0 offset:336
	buffer_load_dword v242, off, s[0:3], 0 offset:340
	v_add_f32_e32 v48, v48, v49
	s_waitcnt vmcnt(40)
	v_mul_f32_e32 v49, v42, v101
	v_fmac_f32_e32 v49, v43, v100
	buffer_load_dword v243, off, s[0:3], 0 offset:344
	buffer_load_dword v245, off, s[0:3], 0 offset:348
	v_add_f32_e32 v48, v48, v49
	s_waitcnt vmcnt(40) lgkmcnt(0)
	v_mul_f32_e32 v49, v44, v105
	v_fmac_f32_e32 v49, v45, v104
	v_add_f32_e32 v52, v48, v49
	ds_read2_b64 v[48:51], v244 offset0:85 offset1:86
	buffer_load_dword v246, off, s[0:3], 0 offset:352
	buffer_load_dword v247, off, s[0:3], 0 offset:356
	s_waitcnt vmcnt(40)
	v_mul_f32_e32 v53, v46, v107
	v_fmac_f32_e32 v53, v47, v106
	v_add_f32_e32 v108, v52, v53
	ds_read2_b64 v[52:55], v244 offset0:87 offset1:88
	buffer_load_dword v248, off, s[0:3], 0 offset:360
	buffer_load_dword v249, off, s[0:3], 0 offset:364
	;; [unrolled: 1-line block ×12, first 2 shown]
	v_mul_f32_e32 v21, v21, v63
	v_fma_f32 v20, v20, v81, -v21
	v_mul_f32_e32 v21, v23, v62
	v_add_f32_e32 v20, 0, v20
	v_fma_f32 v21, v22, v78, -v21
	v_mul_f32_e32 v17, v17, v64
	v_add_f32_e32 v20, v20, v21
	v_fma_f32 v16, v16, v75, -v17
	v_mul_f32_e32 v17, v19, v61
	v_add_f32_e32 v16, v20, v16
	v_fma_f32 v17, v18, v80, -v17
	v_mul_f32_e32 v13, v13, v60
	v_add_f32_e32 v16, v16, v17
	v_fma_f32 v12, v12, v77, -v13
	s_waitcnt vmcnt(50) lgkmcnt(1)
	v_mul_f32_e32 v109, v48, v160
	v_fmac_f32_e32 v109, v49, v158
	v_add_f32_e32 v108, v108, v109
	v_mul_f32_e32 v13, v15, v58
	s_waitcnt vmcnt(48)
	v_mul_f32_e32 v109, v50, v176
	v_fmac_f32_e32 v109, v51, v162
	v_add_f32_e32 v108, v108, v109
	v_add_f32_e32 v12, v16, v12
	s_waitcnt vmcnt(46) lgkmcnt(0)
	v_mul_f32_e32 v109, v52, v178
	v_fmac_f32_e32 v109, v53, v177
	v_add_f32_e32 v112, v108, v109
	ds_read2_b64 v[108:111], v244 offset0:89 offset1:90
	v_fma_f32 v13, v14, v74, -v13
	v_mul_f32_e32 v9, v9, v59
	v_add_f32_e32 v12, v12, v13
	v_fma_f32 v8, v8, v72, -v9
	s_waitcnt vmcnt(44)
	v_mul_f32_e32 v113, v54, v180
	v_fmac_f32_e32 v113, v55, v179
	v_add_f32_e32 v116, v112, v113
	ds_read2_b64 v[112:115], v244 offset0:91 offset1:92
	s_waitcnt vmcnt(42) lgkmcnt(1)
	v_mul_f32_e32 v117, v108, v182
	v_fmac_f32_e32 v117, v109, v181
	v_add_f32_e32 v116, v116, v117
	s_waitcnt vmcnt(40)
	v_mul_f32_e32 v117, v110, v184
	v_fmac_f32_e32 v117, v111, v183
	v_add_f32_e32 v116, v116, v117
	s_waitcnt vmcnt(38) lgkmcnt(0)
	v_mul_f32_e32 v117, v112, v186
	v_fmac_f32_e32 v117, v113, v185
	v_add_f32_e32 v120, v116, v117
	ds_read2_b64 v[116:119], v244 offset0:93 offset1:94
	s_waitcnt vmcnt(36)
	v_mul_f32_e32 v121, v114, v222
	v_fmac_f32_e32 v121, v115, v187
	v_add_f32_e32 v124, v120, v121
	ds_read2_b64 v[120:123], v244 offset0:95 offset1:96
	s_waitcnt vmcnt(34) lgkmcnt(1)
	v_mul_f32_e32 v125, v116, v224
	v_fmac_f32_e32 v125, v117, v223
	v_add_f32_e32 v124, v124, v125
	s_waitcnt vmcnt(32)
	v_mul_f32_e32 v125, v118, v226
	v_fmac_f32_e32 v125, v119, v225
	v_add_f32_e32 v124, v124, v125
	s_waitcnt vmcnt(30) lgkmcnt(0)
	v_mul_f32_e32 v125, v120, v228
	v_fmac_f32_e32 v125, v121, v227
	v_add_f32_e32 v128, v124, v125
	ds_read2_b64 v[124:127], v244 offset0:97 offset1:98
	;; [unrolled: 18-line block ×4, first 2 shown]
	s_waitcnt vmcnt(12)
	v_mul_f32_e32 v145, v138, v247
	v_fmac_f32_e32 v145, v139, v246
	v_add_f32_e32 v148, v144, v145
	ds_read2_b64 v[144:147], v244 offset0:107 offset1:108
	buffer_load_dword v157, off, s[0:3], 0 offset:412
	buffer_load_dword v156, off, s[0:3], 0 offset:408
	s_waitcnt vmcnt(12) lgkmcnt(1)
	v_mul_f32_e32 v149, v140, v249
	v_mul_f32_e32 v9, v11, v65
	v_fmac_f32_e32 v149, v141, v248
	v_add_f32_e32 v8, v12, v8
	v_fma_f32 v9, v10, v76, -v9
	v_mul_f32_e32 v5, v5, v66
	v_add_f32_e32 v148, v148, v149
	s_waitcnt vmcnt(10)
	v_mul_f32_e32 v149, v142, v251
	v_add_f32_e32 v8, v8, v9
	v_fma_f32 v4, v4, v73, -v5
	v_mul_f32_e32 v5, v7, v67
	v_fmac_f32_e32 v149, v143, v250
	v_add_f32_e32 v4, v8, v4
	v_fma_f32 v5, v6, v71, -v5
	v_mul_f32_e32 v1, v1, v68
	v_add_f32_e32 v148, v148, v149
	s_waitcnt vmcnt(8) lgkmcnt(0)
	v_mul_f32_e32 v149, v144, v253
	v_add_f32_e32 v4, v4, v5
	v_fma_f32 v0, v0, v70, -v1
	v_mul_f32_e32 v1, v3, v69
	v_fmac_f32_e32 v149, v145, v252
	s_waitcnt vmcnt(6)
	v_mul_f32_e32 v153, v146, v255
	v_add_f32_e32 v0, v4, v0
	v_fma_f32 v1, v2, v87, -v1
	v_add_f32_e32 v152, v148, v149
	v_fmac_f32_e32 v153, v147, v254
	v_add_f32_e32 v0, v0, v1
	v_mul_f32_e32 v1, v25, v86
	ds_read2_b64 v[148:151], v244 offset0:109 offset1:110
	v_add_f32_e32 v159, v152, v153
	ds_read2_b64 v[152:155], v244 offset0:111 offset1:112
	buffer_load_dword v165, off, s[0:3], 0 offset:444
	buffer_load_dword v164, off, s[0:3], 0 offset:440
	;; [unrolled: 1-line block ×14, first 2 shown]
	v_fma_f32 v1, v24, v84, -v1
	v_add_f32_e32 v0, v0, v1
	v_mul_f32_e32 v1, v27, v85
	v_fma_f32 v1, v26, v82, -v1
	v_add_f32_e32 v0, v0, v1
	v_mul_f32_e32 v1, v29, v83
	;; [unrolled: 3-line block ×35, first 2 shown]
	v_fma_f32 v1, v146, v254, -v1
	s_waitcnt vmcnt(15)
	v_mov_b32_e32 v14, v157
	s_waitcnt lgkmcnt(1)
	v_mul_f32_e32 v161, v148, v189
	v_add_f32_e32 v158, v0, v1
	v_mul_f32_e32 v0, v149, v189
	s_waitcnt lgkmcnt(0)
	v_pk_mul_f32 v[14:15], v[152:153], v[14:15] op_sel_hi:[1,0]
	v_fmac_f32_e32 v161, v149, v188
	v_mul_f32_e32 v163, v150, v191
	v_fma_f32 v160, v148, v188, -v0
	v_mul_f32_e32 v0, v151, v191
	s_waitcnt vmcnt(14)
	v_pk_fma_f32 v[16:17], v[152:153], v[156:157], v[14:15] op_sel:[0,0,1] op_sel_hi:[1,1,0] neg_lo:[0,0,1] neg_hi:[0,0,1]
	v_pk_fma_f32 v[14:15], v[152:153], v[156:157], v[14:15] op_sel:[0,0,1] op_sel_hi:[1,0,0]
	v_fmac_f32_e32 v163, v151, v190
	v_fma_f32 v162, v150, v190, -v0
	v_pk_add_f32 v[12:13], v[158:159], v[160:161]
	s_waitcnt vmcnt(7)
	v_mov_b32_e32 v14, v171
	ds_read2_b64 v[0:3], v244 offset0:113 offset1:114
	ds_read2_b64 v[4:7], v244 offset0:115 offset1:116
	;; [unrolled: 1-line block ×3, first 2 shown]
	v_pk_add_f32 v[12:13], v[12:13], v[162:163]
	v_mov_b32_e32 v17, v15
	v_pk_mul_f32 v[14:15], v[154:155], v[14:15] op_sel_hi:[1,0]
	v_pk_add_f32 v[12:13], v[12:13], v[16:17]
	s_waitcnt vmcnt(6)
	v_pk_fma_f32 v[16:17], v[154:155], v[170:171], v[14:15] op_sel:[0,0,1] op_sel_hi:[1,1,0] neg_lo:[0,0,1] neg_hi:[0,0,1]
	v_pk_fma_f32 v[14:15], v[154:155], v[170:171], v[14:15] op_sel:[0,0,1] op_sel_hi:[1,0,0]
	v_mov_b32_e32 v14, v169
	v_mov_b32_e32 v17, v15
	s_waitcnt lgkmcnt(2)
	v_pk_mul_f32 v[14:15], v[0:1], v[14:15] op_sel_hi:[1,0]
	v_pk_add_f32 v[12:13], v[12:13], v[16:17]
	v_pk_fma_f32 v[16:17], v[0:1], v[168:169], v[14:15] op_sel:[0,0,1] op_sel_hi:[1,1,0] neg_lo:[0,0,1] neg_hi:[0,0,1]
	v_pk_fma_f32 v[0:1], v[0:1], v[168:169], v[14:15] op_sel:[0,0,1] op_sel_hi:[1,0,0]
	v_mov_b32_e32 v17, v1
	v_pk_add_f32 v[0:1], v[12:13], v[16:17]
	v_mov_b32_e32 v12, v167
	v_pk_mul_f32 v[12:13], v[2:3], v[12:13] op_sel_hi:[1,0]
	v_pk_fma_f32 v[14:15], v[2:3], v[166:167], v[12:13] op_sel:[0,0,1] op_sel_hi:[1,1,0] neg_lo:[0,0,1] neg_hi:[0,0,1]
	v_pk_fma_f32 v[2:3], v[2:3], v[166:167], v[12:13] op_sel:[0,0,1] op_sel_hi:[1,0,0]
	v_mov_b32_e32 v2, v165
	v_mov_b32_e32 v15, v3
	s_waitcnt lgkmcnt(1)
	v_pk_mul_f32 v[2:3], v[4:5], v[2:3] op_sel_hi:[1,0]
	v_pk_fma_f32 v[12:13], v[4:5], v[164:165], v[2:3] op_sel:[0,0,1] op_sel_hi:[1,1,0] neg_lo:[0,0,1] neg_hi:[0,0,1]
	v_pk_fma_f32 v[2:3], v[4:5], v[164:165], v[2:3] op_sel:[0,0,1] op_sel_hi:[1,0,0]
	s_waitcnt vmcnt(1)
	v_mov_b32_e32 v2, v221
	v_mov_b32_e32 v13, v3
	v_pk_mul_f32 v[2:3], v[6:7], v[2:3] op_sel_hi:[1,0]
	s_waitcnt vmcnt(0)
	v_pk_fma_f32 v[4:5], v[6:7], v[220:221], v[2:3] op_sel:[0,0,1] op_sel_hi:[1,1,0] neg_lo:[0,0,1] neg_hi:[0,0,1]
	v_pk_fma_f32 v[2:3], v[6:7], v[220:221], v[2:3] op_sel:[0,0,1] op_sel_hi:[1,0,0]
	v_pk_add_f32 v[0:1], v[0:1], v[14:15]
	v_mov_b32_e32 v2, v175
	v_pk_add_f32 v[0:1], v[0:1], v[12:13]
	v_mov_b32_e32 v5, v3
	s_waitcnt lgkmcnt(0)
	v_pk_mul_f32 v[2:3], v[8:9], v[2:3] op_sel_hi:[1,0]
	v_pk_add_f32 v[0:1], v[0:1], v[4:5]
	v_pk_fma_f32 v[4:5], v[8:9], v[174:175], v[2:3] op_sel:[0,0,1] op_sel_hi:[1,1,0] neg_lo:[0,0,1] neg_hi:[0,0,1]
	v_pk_fma_f32 v[2:3], v[8:9], v[174:175], v[2:3] op_sel:[0,0,1] op_sel_hi:[1,0,0]
	v_mov_b32_e32 v2, v173
	v_mov_b32_e32 v5, v3
	v_pk_mul_f32 v[2:3], v[10:11], v[2:3] op_sel_hi:[1,0]
	v_pk_add_f32 v[0:1], v[0:1], v[4:5]
	v_pk_fma_f32 v[4:5], v[10:11], v[172:173], v[2:3] op_sel:[0,0,1] op_sel_hi:[1,1,0] neg_lo:[0,0,1] neg_hi:[0,0,1]
	v_pk_fma_f32 v[2:3], v[10:11], v[172:173], v[2:3] op_sel:[0,0,1] op_sel_hi:[1,0,0]
	v_mov_b32_e32 v5, v3
	v_pk_add_f32 v[0:1], v[0:1], v[4:5]
	v_pk_add_f32 v[0:1], v[56:57], v[0:1] neg_lo:[0,1] neg_hi:[0,1]
	buffer_store_dword v1, off, s[0:3], 0 offset:4
	buffer_store_dword v0, off, s[0:3], 0
	s_cbranch_vccz .LBB122_485
; %bb.368:
	v_pk_mov_b32 v[0:1], s[10:11], s[10:11] op_sel:[0,1]
	flat_load_dword v0, v[0:1] offset:228
	s_waitcnt vmcnt(0) lgkmcnt(0)
	v_add_u32_e32 v0, -1, v0
	v_cmp_ne_u32_e32 vcc, 57, v0
	s_and_saveexec_b64 s[4:5], vcc
	s_cbranch_execz .LBB122_370
; %bb.369:
	v_mov_b32_e32 v1, 0
	v_lshl_add_u32 v0, v0, 3, v1
	buffer_load_dword v1, v0, s[0:3], 0 offen
	buffer_load_dword v2, v0, s[0:3], 0 offen offset:4
	buffer_load_dword v3, off, s[0:3], 0 offset:456
	buffer_load_dword v4, off, s[0:3], 0 offset:460
	s_waitcnt vmcnt(3)
	buffer_store_dword v1, off, s[0:3], 0 offset:456
	s_waitcnt vmcnt(3)
	buffer_store_dword v2, off, s[0:3], 0 offset:460
	s_waitcnt vmcnt(3)
	buffer_store_dword v3, v0, s[0:3], 0 offen
	s_waitcnt vmcnt(3)
	buffer_store_dword v4, v0, s[0:3], 0 offen offset:4
.LBB122_370:
	s_or_b64 exec, exec, s[4:5]
	v_pk_mov_b32 v[0:1], s[10:11], s[10:11] op_sel:[0,1]
	flat_load_dword v0, v[0:1] offset:224
	s_waitcnt vmcnt(0) lgkmcnt(0)
	v_add_u32_e32 v0, -1, v0
	v_cmp_ne_u32_e32 vcc, 56, v0
	s_and_saveexec_b64 s[4:5], vcc
	s_cbranch_execz .LBB122_372
; %bb.371:
	v_mov_b32_e32 v1, 0
	v_lshl_add_u32 v0, v0, 3, v1
	buffer_load_dword v1, v0, s[0:3], 0 offen
	buffer_load_dword v2, v0, s[0:3], 0 offen offset:4
	buffer_load_dword v3, off, s[0:3], 0 offset:452
	buffer_load_dword v4, off, s[0:3], 0 offset:448
	s_waitcnt vmcnt(3)
	buffer_store_dword v1, off, s[0:3], 0 offset:448
	s_waitcnt vmcnt(3)
	buffer_store_dword v2, off, s[0:3], 0 offset:452
	s_waitcnt vmcnt(3)
	buffer_store_dword v3, v0, s[0:3], 0 offen offset:4
	s_waitcnt vmcnt(3)
	buffer_store_dword v4, v0, s[0:3], 0 offen
.LBB122_372:
	s_or_b64 exec, exec, s[4:5]
	v_pk_mov_b32 v[0:1], s[10:11], s[10:11] op_sel:[0,1]
	flat_load_dword v0, v[0:1] offset:220
	s_waitcnt vmcnt(0) lgkmcnt(0)
	v_add_u32_e32 v0, -1, v0
	v_cmp_ne_u32_e32 vcc, 55, v0
	s_and_saveexec_b64 s[4:5], vcc
	s_cbranch_execz .LBB122_374
; %bb.373:
	v_mov_b32_e32 v1, 0
	v_lshl_add_u32 v0, v0, 3, v1
	buffer_load_dword v1, v0, s[0:3], 0 offen
	buffer_load_dword v2, v0, s[0:3], 0 offen offset:4
	buffer_load_dword v3, off, s[0:3], 0 offset:440
	buffer_load_dword v4, off, s[0:3], 0 offset:444
	s_waitcnt vmcnt(3)
	buffer_store_dword v1, off, s[0:3], 0 offset:440
	s_waitcnt vmcnt(3)
	buffer_store_dword v2, off, s[0:3], 0 offset:444
	s_waitcnt vmcnt(3)
	buffer_store_dword v3, v0, s[0:3], 0 offen
	s_waitcnt vmcnt(3)
	buffer_store_dword v4, v0, s[0:3], 0 offen offset:4
.LBB122_374:
	s_or_b64 exec, exec, s[4:5]
	v_pk_mov_b32 v[0:1], s[10:11], s[10:11] op_sel:[0,1]
	flat_load_dword v0, v[0:1] offset:216
	s_waitcnt vmcnt(0) lgkmcnt(0)
	v_add_u32_e32 v0, -1, v0
	v_cmp_ne_u32_e32 vcc, 54, v0
	s_and_saveexec_b64 s[4:5], vcc
	s_cbranch_execz .LBB122_376
; %bb.375:
	v_mov_b32_e32 v1, 0
	v_lshl_add_u32 v0, v0, 3, v1
	buffer_load_dword v1, v0, s[0:3], 0 offen
	buffer_load_dword v2, v0, s[0:3], 0 offen offset:4
	buffer_load_dword v3, off, s[0:3], 0 offset:436
	buffer_load_dword v4, off, s[0:3], 0 offset:432
	s_waitcnt vmcnt(3)
	buffer_store_dword v1, off, s[0:3], 0 offset:432
	s_waitcnt vmcnt(3)
	buffer_store_dword v2, off, s[0:3], 0 offset:436
	s_waitcnt vmcnt(3)
	buffer_store_dword v3, v0, s[0:3], 0 offen offset:4
	s_waitcnt vmcnt(3)
	buffer_store_dword v4, v0, s[0:3], 0 offen
.LBB122_376:
	s_or_b64 exec, exec, s[4:5]
	;; [unrolled: 48-line block ×28, first 2 shown]
	v_pk_mov_b32 v[0:1], s[10:11], s[10:11] op_sel:[0,1]
	flat_load_dword v0, v[0:1] offset:4
	s_waitcnt vmcnt(0) lgkmcnt(0)
	v_add_u32_e32 v0, -1, v0
	v_cmp_ne_u32_e32 vcc, 1, v0
	s_and_saveexec_b64 s[4:5], vcc
	s_cbranch_execz .LBB122_482
; %bb.481:
	v_mov_b32_e32 v1, 0
	v_lshl_add_u32 v0, v0, 3, v1
	buffer_load_dword v1, v0, s[0:3], 0 offen
	buffer_load_dword v2, v0, s[0:3], 0 offen offset:4
	buffer_load_dword v3, off, s[0:3], 0 offset:8
	buffer_load_dword v4, off, s[0:3], 0 offset:12
	s_waitcnt vmcnt(3)
	buffer_store_dword v1, off, s[0:3], 0 offset:8
	s_waitcnt vmcnt(3)
	buffer_store_dword v2, off, s[0:3], 0 offset:12
	s_waitcnt vmcnt(3)
	buffer_store_dword v3, v0, s[0:3], 0 offen
	s_waitcnt vmcnt(3)
	buffer_store_dword v4, v0, s[0:3], 0 offen offset:4
.LBB122_482:
	s_or_b64 exec, exec, s[4:5]
	v_pk_mov_b32 v[0:1], s[10:11], s[10:11] op_sel:[0,1]
	flat_load_dword v2, v[0:1]
	s_nop 0
	buffer_load_dword v0, off, s[0:3], 0
	buffer_load_dword v1, off, s[0:3], 0 offset:4
	s_waitcnt vmcnt(0) lgkmcnt(0)
	v_add_u32_e32 v2, -1, v2
	v_cmp_ne_u32_e32 vcc, 0, v2
	s_and_saveexec_b64 s[4:5], vcc
	s_cbranch_execz .LBB122_484
; %bb.483:
	v_mov_b32_e32 v3, 0
	v_lshl_add_u32 v2, v2, 3, v3
	buffer_load_dword v3, v2, s[0:3], 0 offen offset:4
	buffer_load_dword v4, v2, s[0:3], 0 offen
	s_waitcnt vmcnt(1)
	buffer_store_dword v3, off, s[0:3], 0 offset:4
	s_waitcnt vmcnt(1)
	buffer_store_dword v4, off, s[0:3], 0
	buffer_store_dword v1, v2, s[0:3], 0 offen offset:4
	buffer_store_dword v0, v2, s[0:3], 0 offen
	buffer_load_dword v0, off, s[0:3], 0
	s_nop 0
	buffer_load_dword v1, off, s[0:3], 0 offset:4
.LBB122_484:
	s_or_b64 exec, exec, s[4:5]
.LBB122_485:
	buffer_load_dword v2, off, s[0:3], 0 offset:8
	buffer_load_dword v3, off, s[0:3], 0 offset:12
	;; [unrolled: 1-line block ×116, first 2 shown]
	s_waitcnt vmcnt(62)
	global_store_dwordx2 v[102:103], v[0:1], off
	v_accvgpr_read_b32 v0, a0
	v_accvgpr_read_b32 v1, a1
	global_store_dwordx2 v[0:1], v[2:3], off
	v_accvgpr_read_b32 v0, a2
	v_accvgpr_read_b32 v1, a3
	;; [unrolled: 3-line block ×28, first 2 shown]
	s_waitcnt vmcnt(62)
	global_store_dwordx2 v[0:1], v[56:57], off
	v_accvgpr_read_b32 v0, a60
	v_accvgpr_read_b32 v1, a61
	global_store_dwordx2 v[0:1], v[58:59], off
	v_accvgpr_read_b32 v0, a62
	v_accvgpr_read_b32 v1, a63
	global_store_dwordx2 v[0:1], v[60:61], off
	v_accvgpr_read_b32 v0, a64
	v_accvgpr_read_b32 v1, a65
	global_store_dwordx2 v[0:1], v[62:63], off
	v_accvgpr_read_b32 v0, a66
	v_accvgpr_read_b32 v1, a67
	global_store_dwordx2 v[0:1], v[64:65], off
	v_accvgpr_read_b32 v0, a68
	v_accvgpr_read_b32 v1, a69
	global_store_dwordx2 v[0:1], v[66:67], off
	v_accvgpr_read_b32 v0, a70
	v_accvgpr_read_b32 v1, a71
	global_store_dwordx2 v[0:1], v[68:69], off
	v_accvgpr_read_b32 v0, a72
	v_accvgpr_read_b32 v1, a73
	global_store_dwordx2 v[0:1], v[70:71], off
	v_accvgpr_read_b32 v0, a74
	v_accvgpr_read_b32 v1, a75
	global_store_dwordx2 v[0:1], v[72:73], off
	v_accvgpr_read_b32 v0, a76
	v_accvgpr_read_b32 v1, a77
	global_store_dwordx2 v[0:1], v[74:75], off
	v_accvgpr_read_b32 v0, a78
	v_accvgpr_read_b32 v1, a79
	global_store_dwordx2 v[0:1], v[76:77], off
	v_accvgpr_read_b32 v0, a80
	v_accvgpr_read_b32 v1, a81
	global_store_dwordx2 v[0:1], v[78:79], off
	v_accvgpr_read_b32 v0, a82
	v_accvgpr_read_b32 v1, a83
	global_store_dwordx2 v[0:1], v[80:81], off
	v_accvgpr_read_b32 v0, a84
	v_accvgpr_read_b32 v1, a85
	global_store_dwordx2 v[0:1], v[82:83], off
	v_accvgpr_read_b32 v0, a86
	v_accvgpr_read_b32 v1, a87
	s_waitcnt vmcnt(62)
	global_store_dwordx2 v[0:1], v[84:85], off
	global_store_dwordx2 v[192:193], v[86:87], off
	;; [unrolled: 1-line block ×7, first 2 shown]
	s_waitcnt vmcnt(62)
	global_store_dwordx2 v[204:205], v[98:99], off
	global_store_dwordx2 v[206:207], v[100:101], off
	;; [unrolled: 1-line block ×3, first 2 shown]
	s_waitcnt vmcnt(62)
	global_store_dwordx2 v[210:211], v[106:107], off
	global_store_dwordx2 v[212:213], v[108:109], off
	s_waitcnt vmcnt(62)
	global_store_dwordx2 v[214:215], v[110:111], off
	s_waitcnt vmcnt(61)
	;; [unrolled: 2-line block ×3, first 2 shown]
	global_store_dwordx2 v[218:219], v[114:115], off
	v_accvgpr_read_b32 v0, a32
	v_accvgpr_read_b32 v1, a33
	s_waitcnt vmcnt(59)
	global_store_dwordx2 v[0:1], v[116:117], off
	v_accvgpr_read_b32 v0, a34
	v_accvgpr_read_b32 v1, a35
	s_waitcnt vmcnt(58)
	global_store_dwordx2 v[0:1], v[118:119], off
	s_endpgm
	.section	.rodata,"a",@progbits
	.p2align	6, 0x0
	.amdhsa_kernel _ZN9rocsolver6v33100L18getri_kernel_smallILi59E19rocblas_complex_numIfEPKPS3_EEvT1_iilPiilS8_bb
		.amdhsa_group_segment_fixed_size 952
		.amdhsa_private_segment_fixed_size 480
		.amdhsa_kernarg_size 60
		.amdhsa_user_sgpr_count 8
		.amdhsa_user_sgpr_private_segment_buffer 1
		.amdhsa_user_sgpr_dispatch_ptr 0
		.amdhsa_user_sgpr_queue_ptr 0
		.amdhsa_user_sgpr_kernarg_segment_ptr 1
		.amdhsa_user_sgpr_dispatch_id 0
		.amdhsa_user_sgpr_flat_scratch_init 1
		.amdhsa_user_sgpr_kernarg_preload_length 0
		.amdhsa_user_sgpr_kernarg_preload_offset 0
		.amdhsa_user_sgpr_private_segment_size 0
		.amdhsa_uses_dynamic_stack 0
		.amdhsa_system_sgpr_private_segment_wavefront_offset 1
		.amdhsa_system_sgpr_workgroup_id_x 1
		.amdhsa_system_sgpr_workgroup_id_y 0
		.amdhsa_system_sgpr_workgroup_id_z 0
		.amdhsa_system_sgpr_workgroup_info 0
		.amdhsa_system_vgpr_workitem_id 0
		.amdhsa_next_free_vgpr 344
		.amdhsa_next_free_sgpr 22
		.amdhsa_accum_offset 256
		.amdhsa_reserve_vcc 1
		.amdhsa_reserve_flat_scratch 1
		.amdhsa_float_round_mode_32 0
		.amdhsa_float_round_mode_16_64 0
		.amdhsa_float_denorm_mode_32 3
		.amdhsa_float_denorm_mode_16_64 3
		.amdhsa_dx10_clamp 1
		.amdhsa_ieee_mode 1
		.amdhsa_fp16_overflow 0
		.amdhsa_tg_split 0
		.amdhsa_exception_fp_ieee_invalid_op 0
		.amdhsa_exception_fp_denorm_src 0
		.amdhsa_exception_fp_ieee_div_zero 0
		.amdhsa_exception_fp_ieee_overflow 0
		.amdhsa_exception_fp_ieee_underflow 0
		.amdhsa_exception_fp_ieee_inexact 0
		.amdhsa_exception_int_div_zero 0
	.end_amdhsa_kernel
	.section	.text._ZN9rocsolver6v33100L18getri_kernel_smallILi59E19rocblas_complex_numIfEPKPS3_EEvT1_iilPiilS8_bb,"axG",@progbits,_ZN9rocsolver6v33100L18getri_kernel_smallILi59E19rocblas_complex_numIfEPKPS3_EEvT1_iilPiilS8_bb,comdat
.Lfunc_end122:
	.size	_ZN9rocsolver6v33100L18getri_kernel_smallILi59E19rocblas_complex_numIfEPKPS3_EEvT1_iilPiilS8_bb, .Lfunc_end122-_ZN9rocsolver6v33100L18getri_kernel_smallILi59E19rocblas_complex_numIfEPKPS3_EEvT1_iilPiilS8_bb
                                        ; -- End function
	.section	.AMDGPU.csdata,"",@progbits
; Kernel info:
; codeLenInByte = 130864
; NumSgprs: 28
; NumVgprs: 256
; NumAgprs: 88
; TotalNumVgprs: 344
; ScratchSize: 480
; MemoryBound: 0
; FloatMode: 240
; IeeeMode: 1
; LDSByteSize: 952 bytes/workgroup (compile time only)
; SGPRBlocks: 3
; VGPRBlocks: 42
; NumSGPRsForWavesPerEU: 28
; NumVGPRsForWavesPerEU: 344
; AccumOffset: 256
; Occupancy: 1
; WaveLimiterHint : 1
; COMPUTE_PGM_RSRC2:SCRATCH_EN: 1
; COMPUTE_PGM_RSRC2:USER_SGPR: 8
; COMPUTE_PGM_RSRC2:TRAP_HANDLER: 0
; COMPUTE_PGM_RSRC2:TGID_X_EN: 1
; COMPUTE_PGM_RSRC2:TGID_Y_EN: 0
; COMPUTE_PGM_RSRC2:TGID_Z_EN: 0
; COMPUTE_PGM_RSRC2:TIDIG_COMP_CNT: 0
; COMPUTE_PGM_RSRC3_GFX90A:ACCUM_OFFSET: 63
; COMPUTE_PGM_RSRC3_GFX90A:TG_SPLIT: 0
	.section	.text._ZN9rocsolver6v33100L18getri_kernel_smallILi60E19rocblas_complex_numIfEPKPS3_EEvT1_iilPiilS8_bb,"axG",@progbits,_ZN9rocsolver6v33100L18getri_kernel_smallILi60E19rocblas_complex_numIfEPKPS3_EEvT1_iilPiilS8_bb,comdat
	.globl	_ZN9rocsolver6v33100L18getri_kernel_smallILi60E19rocblas_complex_numIfEPKPS3_EEvT1_iilPiilS8_bb ; -- Begin function _ZN9rocsolver6v33100L18getri_kernel_smallILi60E19rocblas_complex_numIfEPKPS3_EEvT1_iilPiilS8_bb
	.p2align	8
	.type	_ZN9rocsolver6v33100L18getri_kernel_smallILi60E19rocblas_complex_numIfEPKPS3_EEvT1_iilPiilS8_bb,@function
_ZN9rocsolver6v33100L18getri_kernel_smallILi60E19rocblas_complex_numIfEPKPS3_EEvT1_iilPiilS8_bb: ; @_ZN9rocsolver6v33100L18getri_kernel_smallILi60E19rocblas_complex_numIfEPKPS3_EEvT1_iilPiilS8_bb
; %bb.0:
	s_add_u32 flat_scratch_lo, s6, s9
	s_addc_u32 flat_scratch_hi, s7, 0
	s_add_u32 s0, s0, s9
	s_addc_u32 s1, s1, 0
	v_cmp_gt_u32_e32 vcc, 60, v0
	s_and_saveexec_b64 s[6:7], vcc
	s_cbranch_execz .LBB123_254
; %bb.1:
	s_load_dword s20, s[4:5], 0x38
	s_load_dwordx2 s[6:7], s[4:5], 0x0
	s_load_dwordx4 s[12:15], s[4:5], 0x28
	s_waitcnt lgkmcnt(0)
	s_bitcmp1_b32 s20, 8
	s_cselect_b64 s[16:17], -1, 0
	s_ashr_i32 s9, s8, 31
	s_lshl_b64 s[10:11], s[8:9], 3
	s_add_u32 s6, s6, s10
	s_addc_u32 s7, s7, s11
	s_load_dwordx2 s[18:19], s[6:7], 0x0
	s_bfe_u32 s6, s20, 0x10008
	s_cmp_eq_u32 s6, 0
                                        ; implicit-def: $sgpr10_sgpr11
	s_cbranch_scc1 .LBB123_3
; %bb.2:
	s_load_dword s6, s[4:5], 0x20
	s_load_dwordx2 s[10:11], s[4:5], 0x18
	s_mul_i32 s7, s8, s13
	s_mul_hi_u32 s13, s8, s12
	s_add_i32 s13, s13, s7
	s_mul_i32 s21, s9, s12
	s_add_i32 s13, s13, s21
	s_mul_i32 s12, s8, s12
	s_waitcnt lgkmcnt(0)
	s_ashr_i32 s7, s6, 31
	s_lshl_b64 s[12:13], s[12:13], 2
	s_add_u32 s10, s10, s12
	s_addc_u32 s11, s11, s13
	s_lshl_b64 s[6:7], s[6:7], 2
	s_add_u32 s10, s10, s6
	s_addc_u32 s11, s11, s7
.LBB123_3:
	s_load_dwordx2 s[6:7], s[4:5], 0x8
	v_lshlrev_b32_e32 v226, 3, v0
	s_waitcnt lgkmcnt(0)
	s_ashr_i32 s5, s6, 31
	s_mov_b32 s4, s6
	s_lshl_b64 s[4:5], s[4:5], 3
	s_add_u32 s4, s18, s4
	s_addc_u32 s5, s19, s5
	v_mov_b32_e32 v1, s5
	v_add_co_u32_e32 v102, vcc, s4, v226
	s_ashr_i32 s13, s7, 31
	s_mov_b32 s12, s7
	s_add_i32 s6, s7, s7
	v_addc_co_u32_e32 v103, vcc, 0, v1, vcc
	s_lshl_b64 s[12:13], s[12:13], 3
	v_add_u32_e32 v4, s6, v0
	v_mov_b32_e32 v1, s13
	v_add_co_u32_e32 v8, vcc, s12, v102
	v_ashrrev_i32_e32 v5, 31, v4
	v_addc_co_u32_e32 v9, vcc, v103, v1, vcc
	v_lshlrev_b64 v[6:7], 3, v[4:5]
	v_add_u32_e32 v4, s7, v4
	v_mov_b32_e32 v1, s5
	v_add_co_u32_e32 v10, vcc, s4, v6
	v_ashrrev_i32_e32 v5, 31, v4
	v_addc_co_u32_e32 v11, vcc, v1, v7, vcc
	v_lshlrev_b64 v[6:7], 3, v[4:5]
	v_add_u32_e32 v4, s7, v4
	v_add_co_u32_e32 v14, vcc, s4, v6
	v_ashrrev_i32_e32 v5, 31, v4
	global_load_dwordx2 v[2:3], v226, s[4:5]
	v_addc_co_u32_e32 v15, vcc, v1, v7, vcc
	v_lshlrev_b64 v[6:7], 3, v[4:5]
	v_add_co_u32_e32 v6, vcc, s4, v6
	v_add_u32_e32 v4, s7, v4
	v_addc_co_u32_e32 v7, vcc, v1, v7, vcc
	v_accvgpr_write_b32 a0, v8
	global_load_dwordx2 v[12:13], v[8:9], off
	v_accvgpr_write_b32 a2, v10
	v_accvgpr_write_b32 a4, v14
	;; [unrolled: 1-line block ×3, first 2 shown]
	v_ashrrev_i32_e32 v5, 31, v4
	v_accvgpr_write_b32 a1, v9
	v_accvgpr_write_b32 a3, v11
	global_load_dwordx2 v[10:11], v[10:11], off
	v_accvgpr_write_b32 a5, v15
	v_accvgpr_write_b32 a7, v7
	global_load_dwordx2 v[6:7], v[6:7], off
	s_bitcmp0_b32 s20, 0
	global_load_dwordx2 v[8:9], v[14:15], off
	v_lshlrev_b64 v[14:15], 3, v[4:5]
	v_add_u32_e32 v4, s7, v4
	v_add_co_u32_e32 v16, vcc, s4, v14
	v_ashrrev_i32_e32 v5, 31, v4
	v_addc_co_u32_e32 v17, vcc, v1, v15, vcc
	v_lshlrev_b64 v[14:15], 3, v[4:5]
	v_add_u32_e32 v4, s7, v4
	v_add_co_u32_e32 v18, vcc, s4, v14
	v_ashrrev_i32_e32 v5, 31, v4
	v_addc_co_u32_e32 v19, vcc, v1, v15, vcc
	;; [unrolled: 5-line block ×3, first 2 shown]
	v_lshlrev_b64 v[14:15], 3, v[4:5]
	v_add_co_u32_e32 v14, vcc, s4, v14
	global_load_dwordx2 v[20:21], v[16:17], off
	v_add_u32_e32 v4, s7, v4
	v_addc_co_u32_e32 v15, vcc, v1, v15, vcc
	v_accvgpr_write_b32 a8, v16
	v_accvgpr_write_b32 a10, v18
	;; [unrolled: 1-line block ×4, first 2 shown]
	v_ashrrev_i32_e32 v5, 31, v4
	v_accvgpr_write_b32 a9, v17
	v_accvgpr_write_b32 a11, v19
	global_load_dwordx2 v[18:19], v[18:19], off
	v_accvgpr_write_b32 a13, v23
	v_accvgpr_write_b32 a15, v15
	global_load_dwordx2 v[14:15], v[14:15], off
	s_nop 0
	global_load_dwordx2 v[16:17], v[22:23], off
	v_lshlrev_b64 v[22:23], 3, v[4:5]
	v_add_u32_e32 v4, s7, v4
	v_add_co_u32_e32 v24, vcc, s4, v22
	v_ashrrev_i32_e32 v5, 31, v4
	v_addc_co_u32_e32 v25, vcc, v1, v23, vcc
	v_lshlrev_b64 v[22:23], 3, v[4:5]
	v_add_u32_e32 v4, s7, v4
	v_add_co_u32_e32 v26, vcc, s4, v22
	v_ashrrev_i32_e32 v5, 31, v4
	v_addc_co_u32_e32 v27, vcc, v1, v23, vcc
	;; [unrolled: 5-line block ×3, first 2 shown]
	v_lshlrev_b64 v[22:23], 3, v[4:5]
	global_load_dwordx2 v[28:29], v[24:25], off
	v_add_co_u32_e32 v22, vcc, s4, v22
	v_accvgpr_write_b32 a18, v26
	v_add_u32_e32 v4, s7, v4
	v_addc_co_u32_e32 v23, vcc, v1, v23, vcc
	v_accvgpr_write_b32 a16, v24
	v_accvgpr_write_b32 a19, v27
	global_load_dwordx2 v[26:27], v[26:27], off
	v_accvgpr_write_b32 a20, v30
	v_accvgpr_write_b32 a22, v22
	v_ashrrev_i32_e32 v5, 31, v4
	v_accvgpr_write_b32 a17, v25
	v_accvgpr_write_b32 a21, v31
	;; [unrolled: 1-line block ×3, first 2 shown]
	global_load_dwordx2 v[22:23], v[22:23], off
	s_nop 0
	global_load_dwordx2 v[24:25], v[30:31], off
	v_lshlrev_b64 v[30:31], 3, v[4:5]
	v_add_u32_e32 v4, s7, v4
	v_add_co_u32_e32 v32, vcc, s4, v30
	v_ashrrev_i32_e32 v5, 31, v4
	v_addc_co_u32_e32 v33, vcc, v1, v31, vcc
	v_lshlrev_b64 v[30:31], 3, v[4:5]
	v_add_u32_e32 v4, s7, v4
	v_add_co_u32_e32 v38, vcc, s4, v30
	v_ashrrev_i32_e32 v5, 31, v4
	v_addc_co_u32_e32 v39, vcc, v1, v31, vcc
	v_lshlrev_b64 v[30:31], 3, v[4:5]
	v_add_co_u32_e32 v30, vcc, s4, v30
	v_add_u32_e32 v36, s7, v4
	global_load_dwordx2 v[34:35], v[32:33], off
	v_addc_co_u32_e32 v31, vcc, v1, v31, vcc
	v_ashrrev_i32_e32 v37, 31, v36
	v_accvgpr_write_b32 a24, v32
	v_accvgpr_write_b32 a28, v30
	v_lshlrev_b64 v[4:5], 3, v[36:37]
	v_accvgpr_write_b32 a25, v33
	v_accvgpr_write_b32 a29, v31
	global_load_dwordx2 v[30:31], v[30:31], off
	v_add_co_u32_e32 v4, vcc, s4, v4
	global_load_dwordx2 v[32:33], v[38:39], off
	v_addc_co_u32_e32 v5, vcc, v1, v5, vcc
	v_accvgpr_write_b32 a26, v38
	v_accvgpr_write_b32 a31, v5
	v_add_u32_e32 v36, s7, v36
	v_accvgpr_write_b32 a27, v39
	v_accvgpr_write_b32 a30, v4
	global_load_dwordx2 v[4:5], v[4:5], off
	v_add_u32_e32 v38, s7, v36
	v_add_u32_e32 v40, s7, v38
	v_add_u32_e32 v42, s7, v40
	v_add_u32_e32 v44, s7, v42
	v_add_u32_e32 v46, s7, v44
	v_add_u32_e32 v48, s7, v46
	v_add_u32_e32 v50, s7, v48
	v_add_u32_e32 v52, s7, v50
	v_add_u32_e32 v54, s7, v52
	v_add_u32_e32 v56, s7, v54
	v_add_u32_e32 v58, s7, v56
	v_add_u32_e32 v60, s7, v58
	v_add_u32_e32 v62, s7, v60
	v_add_u32_e32 v64, s7, v62
	v_add_u32_e32 v66, s7, v64
	v_add_u32_e32 v68, s7, v66
	v_add_u32_e32 v70, s7, v68
	v_add_u32_e32 v72, s7, v70
	v_add_u32_e32 v74, s7, v72
	v_add_u32_e32 v76, s7, v74
	v_add_u32_e32 v78, s7, v76
	v_add_u32_e32 v80, s7, v78
	v_add_u32_e32 v82, s7, v80
	v_add_u32_e32 v84, s7, v82
	v_add_u32_e32 v88, s7, v84
	v_add_u32_e32 v90, s7, v88
	v_add_u32_e32 v92, s7, v90
	v_add_u32_e32 v94, s7, v92
	v_add_u32_e32 v96, s7, v94
	v_add_u32_e32 v98, s7, v96
	v_add_u32_e32 v100, s7, v98
	v_add_u32_e32 v206, s7, v100
	v_add_u32_e32 v208, s7, v206
	v_add_u32_e32 v210, s7, v208
	v_add_u32_e32 v212, s7, v210
	v_add_u32_e32 v214, s7, v212
	v_add_u32_e32 v216, s7, v214
	v_add_u32_e32 v218, s7, v216
	v_add_u32_e32 v220, s7, v218
	v_add_u32_e32 v86, s7, v220
	v_ashrrev_i32_e32 v87, 31, v86
	v_lshlrev_b64 v[104:105], 3, v[86:87]
	v_add_u32_e32 v86, s7, v86
	v_add_co_u32_e32 v106, vcc, s4, v104
	v_ashrrev_i32_e32 v87, 31, v86
	v_addc_co_u32_e32 v107, vcc, v1, v105, vcc
	v_lshlrev_b64 v[104:105], 3, v[86:87]
	v_add_u32_e32 v86, s7, v86
	v_add_co_u32_e32 v104, vcc, s4, v104
	v_ashrrev_i32_e32 v87, 31, v86
	v_addc_co_u32_e32 v105, vcc, v1, v105, vcc
	v_lshlrev_b64 v[86:87], 3, v[86:87]
	v_add_co_u32_e32 v86, vcc, s4, v86
	v_addc_co_u32_e32 v87, vcc, v1, v87, vcc
	v_accvgpr_write_b32 a36, v86
	v_ashrrev_i32_e32 v37, 31, v36
	global_load_dwordx2 v[224:225], v[106:107], off
	global_load_dwordx2 v[222:223], v[104:105], off
	v_accvgpr_write_b32 a37, v87
	global_load_dwordx2 v[86:87], v[86:87], off
	s_waitcnt vmcnt(19)
	buffer_store_dword v3, off, s[0:3], 0 offset:4
	buffer_store_dword v2, off, s[0:3], 0
	s_waitcnt vmcnt(20)
	buffer_store_dword v13, off, s[0:3], 0 offset:12
	buffer_store_dword v12, off, s[0:3], 0 offset:8
	s_waitcnt vmcnt(21)
	buffer_store_dword v11, off, s[0:3], 0 offset:20
	buffer_store_dword v10, off, s[0:3], 0 offset:16
	s_waitcnt vmcnt(21)
	buffer_store_dword v9, off, s[0:3], 0 offset:28
	buffer_store_dword v8, off, s[0:3], 0 offset:24
	buffer_store_dword v7, off, s[0:3], 0 offset:36
	buffer_store_dword v6, off, s[0:3], 0 offset:32
	s_waitcnt vmcnt(24)
	buffer_store_dword v21, off, s[0:3], 0 offset:44
	buffer_store_dword v20, off, s[0:3], 0 offset:40
	s_waitcnt vmcnt(25)
	buffer_store_dword v19, off, s[0:3], 0 offset:52
	buffer_store_dword v18, off, s[0:3], 0 offset:48
	s_waitcnt vmcnt(25)
	buffer_store_dword v17, off, s[0:3], 0 offset:60
	buffer_store_dword v16, off, s[0:3], 0 offset:56
	buffer_store_dword v15, off, s[0:3], 0 offset:68
	buffer_store_dword v14, off, s[0:3], 0 offset:64
	s_waitcnt vmcnt(28)
	buffer_store_dword v28, off, s[0:3], 0 offset:72
	buffer_store_dword v29, off, s[0:3], 0 offset:76
	s_waitcnt vmcnt(29)
	buffer_store_dword v26, off, s[0:3], 0 offset:80
	buffer_store_dword v27, off, s[0:3], 0 offset:84
	s_waitcnt vmcnt(29)
	buffer_store_dword v24, off, s[0:3], 0 offset:88
	buffer_store_dword v25, off, s[0:3], 0 offset:92
	buffer_store_dword v22, off, s[0:3], 0 offset:96
	buffer_store_dword v23, off, s[0:3], 0 offset:100
	s_waitcnt vmcnt(32)
	buffer_store_dword v34, off, s[0:3], 0 offset:104
	buffer_store_dword v35, off, s[0:3], 0 offset:108
	s_waitcnt vmcnt(32)
	buffer_store_dword v33, off, s[0:3], 0 offset:116
	buffer_store_dword v32, off, s[0:3], 0 offset:112
	;; [unrolled: 1-line block ×4, first 2 shown]
	s_waitcnt vmcnt(35)
	buffer_store_dword v4, off, s[0:3], 0 offset:128
	v_lshlrev_b64 v[2:3], 3, v[36:37]
	v_add_co_u32_e32 v6, vcc, s4, v2
	v_ashrrev_i32_e32 v39, 31, v38
	v_addc_co_u32_e32 v7, vcc, v1, v3, vcc
	v_lshlrev_b64 v[2:3], 3, v[38:39]
	v_add_co_u32_e32 v8, vcc, s4, v2
	v_ashrrev_i32_e32 v41, 31, v40
	v_addc_co_u32_e32 v9, vcc, v1, v3, vcc
	v_lshlrev_b64 v[2:3], 3, v[40:41]
	v_add_co_u32_e32 v10, vcc, s4, v2
	v_ashrrev_i32_e32 v43, 31, v42
	v_addc_co_u32_e32 v11, vcc, v1, v3, vcc
	v_lshlrev_b64 v[2:3], 3, v[42:43]
	v_add_co_u32_e32 v12, vcc, s4, v2
	v_addc_co_u32_e32 v13, vcc, v1, v3, vcc
	v_accvgpr_write_b32 a39, v7
	v_accvgpr_write_b32 a41, v9
	v_accvgpr_write_b32 a43, v11
	v_accvgpr_write_b32 a45, v13
	v_ashrrev_i32_e32 v45, 31, v44
	v_accvgpr_write_b32 a38, v6
	global_load_dwordx2 v[2:3], v[6:7], off
	v_accvgpr_write_b32 a40, v8
	global_load_dwordx2 v[6:7], v[8:9], off
	v_accvgpr_write_b32 a42, v10
	global_load_dwordx2 v[8:9], v[10:11], off
	v_accvgpr_write_b32 a44, v12
	global_load_dwordx2 v[10:11], v[12:13], off
	v_lshlrev_b64 v[12:13], 3, v[44:45]
	v_add_co_u32_e32 v14, vcc, s4, v12
	v_ashrrev_i32_e32 v47, 31, v46
	v_addc_co_u32_e32 v15, vcc, v1, v13, vcc
	v_lshlrev_b64 v[12:13], 3, v[46:47]
	v_add_co_u32_e32 v16, vcc, s4, v12
	v_ashrrev_i32_e32 v49, 31, v48
	v_addc_co_u32_e32 v17, vcc, v1, v13, vcc
	v_lshlrev_b64 v[12:13], 3, v[48:49]
	v_add_co_u32_e32 v18, vcc, s4, v12
	v_ashrrev_i32_e32 v51, 31, v50
	v_addc_co_u32_e32 v19, vcc, v1, v13, vcc
	v_lshlrev_b64 v[12:13], 3, v[50:51]
	v_add_co_u32_e32 v20, vcc, s4, v12
	v_addc_co_u32_e32 v21, vcc, v1, v13, vcc
	v_accvgpr_write_b32 a47, v15
	v_accvgpr_write_b32 a49, v17
	v_accvgpr_write_b32 a51, v19
	v_accvgpr_write_b32 a53, v21
	v_ashrrev_i32_e32 v53, 31, v52
	v_accvgpr_write_b32 a46, v14
	global_load_dwordx2 v[12:13], v[14:15], off
	v_accvgpr_write_b32 a48, v16
	global_load_dwordx2 v[14:15], v[16:17], off
	v_accvgpr_write_b32 a50, v18
	global_load_dwordx2 v[16:17], v[18:19], off
	v_accvgpr_write_b32 a52, v20
	global_load_dwordx2 v[18:19], v[20:21], off
	;; [unrolled: 28-line block ×6, first 2 shown]
	v_lshlrev_b64 v[52:53], 3, v[84:85]
	v_add_co_u32_e32 v54, vcc, s4, v52
	v_ashrrev_i32_e32 v89, 31, v88
	v_addc_co_u32_e32 v55, vcc, v1, v53, vcc
	v_lshlrev_b64 v[52:53], 3, v[88:89]
	v_add_co_u32_e32 v56, vcc, s4, v52
	v_ashrrev_i32_e32 v91, 31, v90
	v_addc_co_u32_e32 v57, vcc, v1, v53, vcc
	;; [unrolled: 4-line block ×14, first 2 shown]
	v_lshlrev_b64 v[76:77], 3, v[218:219]
	v_accvgpr_write_b32 a87, v55
	v_accvgpr_write_b32 a89, v57
	;; [unrolled: 1-line block ×3, first 2 shown]
	v_add_co_u32_e32 v218, vcc, s4, v76
	v_accvgpr_write_b32 a86, v54
	global_load_dwordx2 v[52:53], v[54:55], off
	v_accvgpr_write_b32 a88, v56
	global_load_dwordx2 v[54:55], v[56:57], off
	;; [unrolled: 2-line block ×3, first 2 shown]
	s_nop 0
	global_load_dwordx2 v[58:59], v[196:197], off
	global_load_dwordx2 v[60:61], v[198:199], off
	;; [unrolled: 1-line block ×9, first 2 shown]
	v_addc_co_u32_e32 v219, vcc, v1, v77, vcc
	global_load_dwordx2 v[76:77], v[214:215], off
	global_load_dwordx2 v[78:79], v[216:217], off
	;; [unrolled: 1-line block ×3, first 2 shown]
	v_ashrrev_i32_e32 v221, 31, v220
	v_lshlrev_b64 v[82:83], 3, v[220:221]
	v_add_co_u32_e32 v220, vcc, s4, v82
	v_accvgpr_write_b32 a32, v106
	v_accvgpr_write_b32 a34, v104
	v_addc_co_u32_e32 v221, vcc, v1, v83, vcc
	v_accvgpr_write_b32 a33, v107
	v_accvgpr_write_b32 a35, v105
	global_load_dwordx2 v[82:83], v[220:221], off
	s_mov_b64 s[6:7], -1
	buffer_store_dword v5, off, s[0:3], 0 offset:132
	s_waitcnt vmcnt(40)
	buffer_store_dword v2, off, s[0:3], 0 offset:136
	buffer_store_dword v3, off, s[0:3], 0 offset:140
	s_waitcnt vmcnt(41)
	buffer_store_dword v6, off, s[0:3], 0 offset:144
	;; [unrolled: 3-line block ×24, first 2 shown]
	buffer_store_dword v51, off, s[0:3], 0 offset:324
	buffer_store_dword v52, off, s[0:3], 0 offset:328
	;; [unrolled: 1-line block ×3, first 2 shown]
	s_waitcnt vmcnt(62)
	buffer_store_dword v54, off, s[0:3], 0 offset:336
	buffer_store_dword v55, off, s[0:3], 0 offset:340
	;; [unrolled: 1-line block ×8, first 2 shown]
	s_waitcnt vmcnt(62)
	buffer_store_dword v62, off, s[0:3], 0 offset:368
	buffer_store_dword v63, off, s[0:3], 0 offset:372
	;; [unrolled: 1-line block ×16, first 2 shown]
	s_waitcnt vmcnt(62)
	buffer_store_dword v78, off, s[0:3], 0 offset:432
	buffer_store_dword v79, off, s[0:3], 0 offset:436
	;; [unrolled: 1-line block ×12, first 2 shown]
	s_cbranch_scc1 .LBB123_252
; %bb.4:
	v_cmp_eq_u32_e64 s[4:5], 0, v0
	s_and_saveexec_b64 s[6:7], s[4:5]
	s_cbranch_execz .LBB123_6
; %bb.5:
	v_mov_b32_e32 v1, 0
	ds_write_b32 v1, v1 offset:960
.LBB123_6:
	s_or_b64 exec, exec, s[6:7]
	v_mov_b32_e32 v1, 0
	v_lshl_add_u32 v6, v0, 3, v1
	s_waitcnt lgkmcnt(0)
	; wave barrier
	s_waitcnt lgkmcnt(0)
	buffer_load_dword v1, v6, s[0:3], 0 offen
	buffer_load_dword v2, v6, s[0:3], 0 offen offset:4
	s_waitcnt vmcnt(1)
	v_cmp_eq_f32_e32 vcc, 0, v1
	s_waitcnt vmcnt(0)
	v_cmp_eq_f32_e64 s[6:7], 0, v2
	s_and_b64 s[6:7], vcc, s[6:7]
	s_and_saveexec_b64 s[12:13], s[6:7]
	s_cbranch_execz .LBB123_10
; %bb.7:
	v_mov_b32_e32 v1, 0
	ds_read_b32 v3, v1 offset:960
	v_add_u32_e32 v2, 1, v0
	s_waitcnt lgkmcnt(0)
	v_readfirstlane_b32 s6, v3
	s_cmp_eq_u32 s6, 0
	s_cselect_b64 s[18:19], -1, 0
	v_cmp_gt_i32_e32 vcc, s6, v2
	s_or_b64 s[18:19], s[18:19], vcc
	s_and_b64 exec, exec, s[18:19]
	s_cbranch_execz .LBB123_10
; %bb.8:
	s_mov_b64 s[18:19], 0
	v_mov_b32_e32 v3, s6
.LBB123_9:                              ; =>This Inner Loop Header: Depth=1
	ds_cmpst_rtn_b32 v3, v1, v3, v2 offset:960
	s_waitcnt lgkmcnt(0)
	v_cmp_ne_u32_e32 vcc, 0, v3
	v_cmp_le_i32_e64 s[6:7], v3, v2
	s_and_b64 s[6:7], vcc, s[6:7]
	s_and_b64 s[6:7], exec, s[6:7]
	s_or_b64 s[18:19], s[6:7], s[18:19]
	s_andn2_b64 exec, exec, s[18:19]
	s_cbranch_execnz .LBB123_9
.LBB123_10:
	s_or_b64 exec, exec, s[12:13]
	v_mov_b32_e32 v2, 0
	s_waitcnt lgkmcnt(0)
	; wave barrier
	ds_read_b32 v1, v2 offset:960
	s_and_saveexec_b64 s[6:7], s[4:5]
	s_cbranch_execz .LBB123_12
; %bb.11:
	s_lshl_b64 s[12:13], s[8:9], 2
	s_add_u32 s12, s14, s12
	s_addc_u32 s13, s15, s13
	s_waitcnt lgkmcnt(0)
	global_store_dword v2, v1, s[12:13]
.LBB123_12:
	s_or_b64 exec, exec, s[6:7]
	s_waitcnt lgkmcnt(0)
	v_cmp_ne_u32_e32 vcc, 0, v1
	s_mov_b64 s[6:7], 0
	s_cbranch_vccnz .LBB123_252
; %bb.13:
	buffer_load_dword v7, v6, s[0:3], 0 offen offset:4
	buffer_load_dword v3, v6, s[0:3], 0 offen
	s_waitcnt vmcnt(1)
	v_cmp_gt_f32_e32 vcc, 0, v7
	v_cndmask_b32_e64 v1, v7, -v7, vcc
	s_waitcnt vmcnt(0)
	v_cmp_gt_f32_e32 vcc, 0, v3
	v_cndmask_b32_e64 v2, v3, -v3, vcc
	v_cmp_ngt_f32_e32 vcc, v2, v1
                                        ; implicit-def: $vgpr1
                                        ; implicit-def: $vgpr2
	s_and_saveexec_b64 s[6:7], vcc
	s_xor_b64 s[6:7], exec, s[6:7]
                                        ; implicit-def: $vgpr4_vgpr5
	s_cbranch_execz .LBB123_15
; %bb.14:
	v_div_scale_f32 v1, s[12:13], v7, v7, v3
	v_rcp_f32_e32 v2, v1
	v_div_scale_f32 v4, vcc, v3, v7, v3
	v_fma_f32 v5, -v1, v2, 1.0
	v_fmac_f32_e32 v2, v5, v2
	v_mul_f32_e32 v5, v4, v2
	v_fma_f32 v8, -v1, v5, v4
	v_fmac_f32_e32 v5, v8, v2
	v_fma_f32 v1, -v1, v5, v4
	v_div_fmas_f32 v1, v1, v2, v5
	v_div_fixup_f32 v2, v1, v7, v3
	v_fmac_f32_e32 v7, v3, v2
	v_div_scale_f32 v1, s[12:13], v7, v7, -1.0
	v_rcp_f32_e32 v3, v1
	v_fma_f32 v4, -v1, v3, 1.0
	v_fmac_f32_e32 v3, v4, v3
	v_div_scale_f32 v4, vcc, -1.0, v7, -1.0
	v_mul_f32_e32 v5, v4, v3
	v_fma_f32 v8, -v1, v5, v4
	v_fmac_f32_e32 v5, v8, v3
	v_fma_f32 v1, -v1, v5, v4
	v_div_fmas_f32 v1, v1, v3, v5
	v_div_fixup_f32 v1, v1, v7, -1.0
	v_mul_f32_e32 v2, v2, v1
	v_xor_b32_e32 v4, 0x80000000, v2
                                        ; implicit-def: $vgpr3
                                        ; implicit-def: $vgpr7
.LBB123_15:
	s_andn2_saveexec_b64 s[6:7], s[6:7]
	s_cbranch_execz .LBB123_17
; %bb.16:
	v_div_scale_f32 v1, s[12:13], v3, v3, v7
	v_rcp_f32_e32 v2, v1
	v_div_scale_f32 v4, vcc, v7, v3, v7
	v_fma_f32 v5, -v1, v2, 1.0
	v_fmac_f32_e32 v2, v5, v2
	v_mul_f32_e32 v5, v4, v2
	v_fma_f32 v8, -v1, v5, v4
	v_fmac_f32_e32 v5, v8, v2
	v_fma_f32 v1, -v1, v5, v4
	v_div_fmas_f32 v1, v1, v2, v5
	v_div_fixup_f32 v1, v1, v3, v7
	v_fmac_f32_e32 v3, v7, v1
	v_div_scale_f32 v2, s[12:13], v3, v3, 1.0
	v_rcp_f32_e32 v4, v2
	v_fma_f32 v5, -v2, v4, 1.0
	v_fmac_f32_e32 v4, v5, v4
	v_div_scale_f32 v5, vcc, 1.0, v3, 1.0
	v_mul_f32_e32 v7, v5, v4
	v_fma_f32 v8, -v2, v7, v5
	v_fmac_f32_e32 v7, v8, v4
	v_fma_f32 v2, -v2, v7, v5
	v_div_fmas_f32 v2, v2, v4, v7
	v_div_fixup_f32 v4, v2, v3, 1.0
	v_xor_b32_e32 v2, 0x80000000, v4
	v_mul_f32_e64 v1, v1, -v4
.LBB123_17:
	s_or_b64 exec, exec, s[6:7]
	buffer_store_dword v1, v6, s[0:3], 0 offen offset:4
	buffer_store_dword v4, v6, s[0:3], 0 offen
	buffer_load_dword v5, off, s[0:3], 0 offset:12
	s_nop 0
	buffer_load_dword v4, off, s[0:3], 0 offset:8
	v_xor_b32_e32 v3, 0x80000000, v1
	v_add_u32_e32 v1, 0x1e0, v226
	s_waitcnt vmcnt(0)
	ds_write2_b64 v226, v[2:3], v[4:5] offset1:60
	s_waitcnt lgkmcnt(0)
	; wave barrier
	s_waitcnt lgkmcnt(0)
	s_and_saveexec_b64 s[6:7], s[4:5]
	s_cbranch_execz .LBB123_19
; %bb.18:
	buffer_load_dword v7, v6, s[0:3], 0 offen offset:4
	buffer_load_dword v8, v6, s[0:3], 0 offen
	ds_read_b64 v[2:3], v1
	v_mov_b32_e32 v4, 0
	ds_read_b64 v[4:5], v4 offset:8
	s_waitcnt vmcnt(1) lgkmcnt(1)
	v_mul_f32_e32 v9, v3, v7
	v_mul_f32_e32 v7, v2, v7
	s_waitcnt vmcnt(0)
	v_fmac_f32_e32 v7, v3, v8
	v_fma_f32 v2, v2, v8, -v9
	v_add_f32_e32 v3, 0, v7
	v_add_f32_e32 v2, 0, v2
	s_waitcnt lgkmcnt(0)
	v_mul_f32_e32 v7, v3, v5
	v_mul_f32_e32 v5, v2, v5
	v_fma_f32 v2, v2, v4, -v7
	v_fmac_f32_e32 v5, v3, v4
	buffer_store_dword v2, off, s[0:3], 0 offset:8
	buffer_store_dword v5, off, s[0:3], 0 offset:12
.LBB123_19:
	s_or_b64 exec, exec, s[6:7]
	s_waitcnt lgkmcnt(0)
	; wave barrier
	buffer_load_dword v2, off, s[0:3], 0 offset:16
	buffer_load_dword v3, off, s[0:3], 0 offset:20
	v_cmp_gt_u32_e32 vcc, 2, v0
	s_waitcnt vmcnt(0)
	ds_write_b64 v1, v[2:3]
	s_waitcnt lgkmcnt(0)
	; wave barrier
	s_waitcnt lgkmcnt(0)
	s_and_saveexec_b64 s[6:7], vcc
	s_cbranch_execz .LBB123_23
; %bb.20:
	buffer_load_dword v4, v6, s[0:3], 0 offen offset:4
	buffer_load_dword v5, v6, s[0:3], 0 offen
	ds_read_b64 v[2:3], v1
	s_waitcnt vmcnt(1) lgkmcnt(0)
	v_mul_f32_e32 v6, v3, v4
	v_mul_f32_e32 v4, v2, v4
	s_waitcnt vmcnt(0)
	v_fma_f32 v2, v2, v5, -v6
	v_fmac_f32_e32 v4, v3, v5
	v_add_f32_e32 v3, 0, v2
	v_add_f32_e32 v2, 0, v4
	s_and_saveexec_b64 s[12:13], s[4:5]
	s_cbranch_execz .LBB123_22
; %bb.21:
	buffer_load_dword v6, off, s[0:3], 0 offset:12
	buffer_load_dword v7, off, s[0:3], 0 offset:8
	v_mov_b32_e32 v4, 0
	ds_read_b64 v[4:5], v4 offset:488
	s_waitcnt vmcnt(1) lgkmcnt(0)
	v_mul_f32_e32 v8, v4, v6
	v_mul_f32_e32 v6, v5, v6
	s_waitcnt vmcnt(0)
	v_fmac_f32_e32 v8, v5, v7
	v_fma_f32 v4, v4, v7, -v6
	v_add_f32_e32 v2, v2, v8
	v_add_f32_e32 v3, v3, v4
.LBB123_22:
	s_or_b64 exec, exec, s[12:13]
	v_mov_b32_e32 v4, 0
	ds_read_b64 v[4:5], v4 offset:16
	s_waitcnt lgkmcnt(0)
	v_mul_f32_e32 v6, v2, v5
	v_mul_f32_e32 v5, v3, v5
	v_fma_f32 v3, v3, v4, -v6
	v_fmac_f32_e32 v5, v2, v4
	buffer_store_dword v3, off, s[0:3], 0 offset:16
	buffer_store_dword v5, off, s[0:3], 0 offset:20
.LBB123_23:
	s_or_b64 exec, exec, s[6:7]
	s_waitcnt lgkmcnt(0)
	; wave barrier
	buffer_load_dword v2, off, s[0:3], 0 offset:24
	buffer_load_dword v3, off, s[0:3], 0 offset:28
	v_cmp_gt_u32_e32 vcc, 3, v0
	s_waitcnt vmcnt(0)
	ds_write_b64 v1, v[2:3]
	v_add_u32_e32 v2, -1, v0
	s_waitcnt lgkmcnt(0)
	; wave barrier
	s_waitcnt lgkmcnt(0)
	s_and_saveexec_b64 s[4:5], vcc
	s_cbranch_execz .LBB123_27
; %bb.24:
	v_add_u32_e32 v4, -1, v0
	v_add_u32_e32 v5, 0x1e0, v226
	v_add_u32_e32 v6, 0, v226
	s_mov_b64 s[6:7], 0
	v_mov_b32_e32 v3, 0
	v_mov_b32_e32 v7, 0
.LBB123_25:                             ; =>This Inner Loop Header: Depth=1
	buffer_load_dword v10, v6, s[0:3], 0 offen offset:4
	buffer_load_dword v11, v6, s[0:3], 0 offen
	ds_read_b64 v[8:9], v5
	v_add_u32_e32 v4, 1, v4
	v_cmp_lt_u32_e32 vcc, 1, v4
	v_add_u32_e32 v5, 8, v5
	v_add_u32_e32 v6, 8, v6
	s_or_b64 s[6:7], vcc, s[6:7]
	s_waitcnt vmcnt(1) lgkmcnt(0)
	v_mul_f32_e32 v12, v9, v10
	v_mul_f32_e32 v10, v8, v10
	s_waitcnt vmcnt(0)
	v_fma_f32 v8, v8, v11, -v12
	v_fmac_f32_e32 v10, v9, v11
	v_add_f32_e32 v7, v7, v8
	v_add_f32_e32 v3, v3, v10
	s_andn2_b64 exec, exec, s[6:7]
	s_cbranch_execnz .LBB123_25
; %bb.26:
	s_or_b64 exec, exec, s[6:7]
	v_mov_b32_e32 v4, 0
	ds_read_b64 v[4:5], v4 offset:24
	s_waitcnt lgkmcnt(0)
	v_mul_f32_e32 v6, v3, v5
	v_mul_f32_e32 v5, v7, v5
	v_fma_f32 v6, v7, v4, -v6
	v_fmac_f32_e32 v5, v3, v4
	buffer_store_dword v6, off, s[0:3], 0 offset:24
	buffer_store_dword v5, off, s[0:3], 0 offset:28
.LBB123_27:
	s_or_b64 exec, exec, s[4:5]
	s_waitcnt lgkmcnt(0)
	; wave barrier
	buffer_load_dword v4, off, s[0:3], 0 offset:32
	buffer_load_dword v5, off, s[0:3], 0 offset:36
	v_cmp_gt_u32_e32 vcc, 4, v0
	s_waitcnt vmcnt(0)
	ds_write_b64 v1, v[4:5]
	s_waitcnt lgkmcnt(0)
	; wave barrier
	s_waitcnt lgkmcnt(0)
	s_and_saveexec_b64 s[4:5], vcc
	s_cbranch_execz .LBB123_31
; %bb.28:
	v_add_u32_e32 v4, -1, v0
	v_add_u32_e32 v5, 0x1e0, v226
	v_add_u32_e32 v6, 0, v226
	s_mov_b64 s[6:7], 0
	v_mov_b32_e32 v3, 0
	v_mov_b32_e32 v7, 0
.LBB123_29:                             ; =>This Inner Loop Header: Depth=1
	buffer_load_dword v10, v6, s[0:3], 0 offen offset:4
	buffer_load_dword v11, v6, s[0:3], 0 offen
	ds_read_b64 v[8:9], v5
	v_add_u32_e32 v4, 1, v4
	v_cmp_lt_u32_e32 vcc, 2, v4
	v_add_u32_e32 v5, 8, v5
	v_add_u32_e32 v6, 8, v6
	s_or_b64 s[6:7], vcc, s[6:7]
	s_waitcnt vmcnt(1) lgkmcnt(0)
	v_mul_f32_e32 v12, v9, v10
	v_mul_f32_e32 v10, v8, v10
	s_waitcnt vmcnt(0)
	v_fma_f32 v8, v8, v11, -v12
	v_fmac_f32_e32 v10, v9, v11
	v_add_f32_e32 v7, v7, v8
	v_add_f32_e32 v3, v3, v10
	s_andn2_b64 exec, exec, s[6:7]
	s_cbranch_execnz .LBB123_29
; %bb.30:
	s_or_b64 exec, exec, s[6:7]
	v_mov_b32_e32 v4, 0
	ds_read_b64 v[4:5], v4 offset:32
	s_waitcnt lgkmcnt(0)
	v_mul_f32_e32 v6, v3, v5
	v_mul_f32_e32 v5, v7, v5
	v_fma_f32 v6, v7, v4, -v6
	v_fmac_f32_e32 v5, v3, v4
	buffer_store_dword v6, off, s[0:3], 0 offset:32
	buffer_store_dword v5, off, s[0:3], 0 offset:36
.LBB123_31:
	s_or_b64 exec, exec, s[4:5]
	s_waitcnt lgkmcnt(0)
	; wave barrier
	buffer_load_dword v4, off, s[0:3], 0 offset:40
	buffer_load_dword v5, off, s[0:3], 0 offset:44
	v_cmp_gt_u32_e32 vcc, 5, v0
	s_waitcnt vmcnt(0)
	ds_write_b64 v1, v[4:5]
	;; [unrolled: 51-line block ×19, first 2 shown]
	s_waitcnt lgkmcnt(0)
	; wave barrier
	s_waitcnt lgkmcnt(0)
	s_and_saveexec_b64 s[4:5], vcc
	s_cbranch_execz .LBB123_103
; %bb.100:
	v_add_u32_e32 v4, -1, v0
	v_add_u32_e32 v5, 0x1e0, v226
	v_add_u32_e32 v6, 0, v226
	s_mov_b64 s[6:7], 0
	v_mov_b32_e32 v3, 0
	v_mov_b32_e32 v7, 0
.LBB123_101:                            ; =>This Inner Loop Header: Depth=1
	buffer_load_dword v10, v6, s[0:3], 0 offen offset:4
	buffer_load_dword v11, v6, s[0:3], 0 offen
	ds_read_b64 v[8:9], v5
	v_add_u32_e32 v4, 1, v4
	v_cmp_lt_u32_e32 vcc, 20, v4
	v_add_u32_e32 v5, 8, v5
	v_add_u32_e32 v6, 8, v6
	s_or_b64 s[6:7], vcc, s[6:7]
	s_waitcnt vmcnt(1) lgkmcnt(0)
	v_mul_f32_e32 v12, v9, v10
	v_mul_f32_e32 v10, v8, v10
	s_waitcnt vmcnt(0)
	v_fma_f32 v8, v8, v11, -v12
	v_fmac_f32_e32 v10, v9, v11
	v_add_f32_e32 v7, v7, v8
	v_add_f32_e32 v3, v3, v10
	s_andn2_b64 exec, exec, s[6:7]
	s_cbranch_execnz .LBB123_101
; %bb.102:
	s_or_b64 exec, exec, s[6:7]
	v_mov_b32_e32 v4, 0
	ds_read_b64 v[4:5], v4 offset:176
	s_waitcnt lgkmcnt(0)
	v_mul_f32_e32 v6, v3, v5
	v_mul_f32_e32 v5, v7, v5
	v_fma_f32 v6, v7, v4, -v6
	v_fmac_f32_e32 v5, v3, v4
	buffer_store_dword v6, off, s[0:3], 0 offset:176
	buffer_store_dword v5, off, s[0:3], 0 offset:180
.LBB123_103:
	s_or_b64 exec, exec, s[4:5]
	s_waitcnt lgkmcnt(0)
	; wave barrier
	buffer_load_dword v4, off, s[0:3], 0 offset:184
	buffer_load_dword v5, off, s[0:3], 0 offset:188
	v_cmp_gt_u32_e32 vcc, 23, v0
	s_waitcnt vmcnt(0)
	ds_write_b64 v1, v[4:5]
	s_waitcnt lgkmcnt(0)
	; wave barrier
	s_waitcnt lgkmcnt(0)
	s_and_saveexec_b64 s[4:5], vcc
	s_cbranch_execz .LBB123_107
; %bb.104:
	v_add_u32_e32 v4, -1, v0
	v_add_u32_e32 v5, 0x1e0, v226
	v_add_u32_e32 v6, 0, v226
	s_mov_b64 s[6:7], 0
	v_mov_b32_e32 v3, 0
	v_mov_b32_e32 v7, 0
.LBB123_105:                            ; =>This Inner Loop Header: Depth=1
	buffer_load_dword v10, v6, s[0:3], 0 offen offset:4
	buffer_load_dword v11, v6, s[0:3], 0 offen
	ds_read_b64 v[8:9], v5
	v_add_u32_e32 v4, 1, v4
	v_cmp_lt_u32_e32 vcc, 21, v4
	v_add_u32_e32 v5, 8, v5
	v_add_u32_e32 v6, 8, v6
	s_or_b64 s[6:7], vcc, s[6:7]
	s_waitcnt vmcnt(1) lgkmcnt(0)
	v_mul_f32_e32 v12, v9, v10
	v_mul_f32_e32 v10, v8, v10
	s_waitcnt vmcnt(0)
	v_fma_f32 v8, v8, v11, -v12
	v_fmac_f32_e32 v10, v9, v11
	v_add_f32_e32 v7, v7, v8
	v_add_f32_e32 v3, v3, v10
	s_andn2_b64 exec, exec, s[6:7]
	s_cbranch_execnz .LBB123_105
; %bb.106:
	s_or_b64 exec, exec, s[6:7]
	v_mov_b32_e32 v4, 0
	ds_read_b64 v[4:5], v4 offset:184
	s_waitcnt lgkmcnt(0)
	v_mul_f32_e32 v6, v3, v5
	v_mul_f32_e32 v5, v7, v5
	v_fma_f32 v6, v7, v4, -v6
	v_fmac_f32_e32 v5, v3, v4
	buffer_store_dword v6, off, s[0:3], 0 offset:184
	buffer_store_dword v5, off, s[0:3], 0 offset:188
.LBB123_107:
	s_or_b64 exec, exec, s[4:5]
	s_waitcnt lgkmcnt(0)
	; wave barrier
	buffer_load_dword v4, off, s[0:3], 0 offset:192
	buffer_load_dword v5, off, s[0:3], 0 offset:196
	v_cmp_gt_u32_e32 vcc, 24, v0
	s_waitcnt vmcnt(0)
	ds_write_b64 v1, v[4:5]
	;; [unrolled: 51-line block ×36, first 2 shown]
	s_waitcnt lgkmcnt(0)
	; wave barrier
	s_waitcnt lgkmcnt(0)
	s_and_saveexec_b64 s[4:5], vcc
	s_cbranch_execz .LBB123_247
; %bb.244:
	v_add_u32_e32 v4, -1, v0
	v_add_u32_e32 v5, 0x1e0, v226
	v_add_u32_e32 v6, 0, v226
	s_mov_b64 s[6:7], 0
	v_mov_b32_e32 v3, 0
	v_mov_b32_e32 v7, 0
.LBB123_245:                            ; =>This Inner Loop Header: Depth=1
	buffer_load_dword v10, v6, s[0:3], 0 offen offset:4
	buffer_load_dword v11, v6, s[0:3], 0 offen
	ds_read_b64 v[8:9], v5
	v_add_u32_e32 v4, 1, v4
	v_cmp_lt_u32_e32 vcc, 56, v4
	v_add_u32_e32 v5, 8, v5
	v_add_u32_e32 v6, 8, v6
	s_or_b64 s[6:7], vcc, s[6:7]
	s_waitcnt vmcnt(1) lgkmcnt(0)
	v_mul_f32_e32 v12, v9, v10
	v_mul_f32_e32 v10, v8, v10
	s_waitcnt vmcnt(0)
	v_fma_f32 v8, v8, v11, -v12
	v_fmac_f32_e32 v10, v9, v11
	v_add_f32_e32 v7, v7, v8
	v_add_f32_e32 v3, v3, v10
	s_andn2_b64 exec, exec, s[6:7]
	s_cbranch_execnz .LBB123_245
; %bb.246:
	s_or_b64 exec, exec, s[6:7]
	v_mov_b32_e32 v4, 0
	ds_read_b64 v[4:5], v4 offset:464
	s_waitcnt lgkmcnt(0)
	v_mul_f32_e32 v6, v3, v5
	v_mul_f32_e32 v5, v7, v5
	v_fma_f32 v6, v7, v4, -v6
	v_fmac_f32_e32 v5, v3, v4
	buffer_store_dword v6, off, s[0:3], 0 offset:464
	buffer_store_dword v5, off, s[0:3], 0 offset:468
.LBB123_247:
	s_or_b64 exec, exec, s[4:5]
	s_waitcnt lgkmcnt(0)
	; wave barrier
	buffer_load_dword v4, off, s[0:3], 0 offset:472
	buffer_load_dword v5, off, s[0:3], 0 offset:476
	v_cmp_ne_u32_e32 vcc, 59, v0
	s_waitcnt vmcnt(0)
	ds_write_b64 v1, v[4:5]
	s_waitcnt lgkmcnt(0)
	; wave barrier
	s_waitcnt lgkmcnt(0)
	s_and_saveexec_b64 s[4:5], vcc
	s_cbranch_execz .LBB123_251
; %bb.248:
	v_add_u32_e32 v3, 0x1e0, v226
	v_add_u32_e32 v4, 0, v226
	s_mov_b64 s[6:7], 0
	v_mov_b32_e32 v1, 0
	v_mov_b32_e32 v5, 0
.LBB123_249:                            ; =>This Inner Loop Header: Depth=1
	buffer_load_dword v8, v4, s[0:3], 0 offen offset:4
	buffer_load_dword v9, v4, s[0:3], 0 offen
	ds_read_b64 v[6:7], v3
	v_add_u32_e32 v2, 1, v2
	v_cmp_lt_u32_e32 vcc, 57, v2
	v_add_u32_e32 v3, 8, v3
	v_add_u32_e32 v4, 8, v4
	s_or_b64 s[6:7], vcc, s[6:7]
	s_waitcnt vmcnt(1) lgkmcnt(0)
	v_mul_f32_e32 v10, v7, v8
	v_mul_f32_e32 v8, v6, v8
	s_waitcnt vmcnt(0)
	v_fma_f32 v6, v6, v9, -v10
	v_fmac_f32_e32 v8, v7, v9
	v_add_f32_e32 v5, v5, v6
	v_add_f32_e32 v1, v1, v8
	s_andn2_b64 exec, exec, s[6:7]
	s_cbranch_execnz .LBB123_249
; %bb.250:
	s_or_b64 exec, exec, s[6:7]
	v_mov_b32_e32 v2, 0
	ds_read_b64 v[2:3], v2 offset:472
	s_waitcnt lgkmcnt(0)
	v_mul_f32_e32 v4, v1, v3
	v_mul_f32_e32 v3, v5, v3
	v_fma_f32 v4, v5, v2, -v4
	v_fmac_f32_e32 v3, v1, v2
	buffer_store_dword v4, off, s[0:3], 0 offset:472
	buffer_store_dword v3, off, s[0:3], 0 offset:476
.LBB123_251:
	s_or_b64 exec, exec, s[4:5]
	s_mov_b64 s[6:7], -1
	s_waitcnt lgkmcnt(0)
	; wave barrier
.LBB123_252:
	s_and_b64 vcc, exec, s[6:7]
	s_cbranch_vccz .LBB123_254
; %bb.253:
	s_lshl_b64 s[4:5], s[8:9], 2
	s_add_u32 s4, s14, s4
	s_addc_u32 s5, s15, s5
	v_mov_b32_e32 v1, 0
	global_load_dword v1, v1, s[4:5]
	s_waitcnt vmcnt(0)
	v_cmp_ne_u32_e32 vcc, 0, v1
	s_cbranch_vccz .LBB123_255
.LBB123_254:
	s_endpgm
.LBB123_255:
	v_mov_b32_e32 v1, 0x1e0
	v_lshl_add_u32 v195, v0, 3, v1
	v_cmp_eq_u32_e32 vcc, 59, v0
	s_and_saveexec_b64 s[4:5], vcc
	s_cbranch_execz .LBB123_257
; %bb.256:
	buffer_load_dword v2, off, s[0:3], 0 offset:464
	buffer_load_dword v3, off, s[0:3], 0 offset:468
	v_mov_b32_e32 v1, 0
	buffer_store_dword v1, off, s[0:3], 0 offset:464
	buffer_store_dword v1, off, s[0:3], 0 offset:468
	s_waitcnt vmcnt(2)
	ds_write_b64 v195, v[2:3]
.LBB123_257:
	s_or_b64 exec, exec, s[4:5]
	s_waitcnt lgkmcnt(0)
	; wave barrier
	s_waitcnt lgkmcnt(0)
	buffer_load_dword v3, off, s[0:3], 0 offset:476
	buffer_load_dword v2, off, s[0:3], 0 offset:472
	;; [unrolled: 1-line block ×4, first 2 shown]
	v_mov_b32_e32 v1, 0
	ds_read_b64 v[6:7], v1 offset:952
	v_cmp_lt_u32_e32 vcc, 57, v0
	s_waitcnt vmcnt(3)
	v_mov_b32_e32 v8, v3
	s_waitcnt lgkmcnt(0)
	v_pk_mul_f32 v[8:9], v[6:7], v[8:9] op_sel_hi:[1,0]
	s_waitcnt vmcnt(2)
	v_pk_fma_f32 v[10:11], v[6:7], v[2:3], v[8:9] op_sel:[0,0,1] op_sel_hi:[1,1,0] neg_lo:[0,0,1] neg_hi:[0,0,1]
	v_pk_fma_f32 v[2:3], v[6:7], v[2:3], v[8:9] op_sel:[0,0,1] op_sel_hi:[1,0,0]
	v_mov_b32_e32 v11, v3
	v_pk_add_f32 v[2:3], v[10:11], 0 op_sel_hi:[1,0]
	s_waitcnt vmcnt(0)
	v_pk_add_f32 v[2:3], v[4:5], v[2:3] neg_lo:[0,1] neg_hi:[0,1]
	buffer_store_dword v2, off, s[0:3], 0 offset:464
	buffer_store_dword v3, off, s[0:3], 0 offset:468
	s_and_saveexec_b64 s[4:5], vcc
	s_cbranch_execz .LBB123_259
; %bb.258:
	buffer_load_dword v2, off, s[0:3], 0 offset:456
	buffer_load_dword v3, off, s[0:3], 0 offset:460
	s_waitcnt vmcnt(0)
	ds_write_b64 v195, v[2:3]
	buffer_store_dword v1, off, s[0:3], 0 offset:456
	buffer_store_dword v1, off, s[0:3], 0 offset:460
.LBB123_259:
	s_or_b64 exec, exec, s[4:5]
	s_waitcnt lgkmcnt(0)
	; wave barrier
	s_waitcnt lgkmcnt(0)
	buffer_load_dword v7, off, s[0:3], 0 offset:468
	buffer_load_dword v9, off, s[0:3], 0 offset:476
	buffer_load_dword v6, off, s[0:3], 0 offset:464
	buffer_load_dword v8, off, s[0:3], 0 offset:472
	buffer_load_dword v10, off, s[0:3], 0 offset:456
	buffer_load_dword v11, off, s[0:3], 0 offset:460
	ds_read_b128 v[2:5], v1 offset:944
	v_cmp_lt_u32_e32 vcc, 56, v0
	s_waitcnt vmcnt(5)
	v_mov_b32_e32 v12, v7
	s_waitcnt vmcnt(4)
	v_mov_b32_e32 v14, v9
	s_waitcnt lgkmcnt(0)
	v_pk_mul_f32 v[12:13], v[2:3], v[12:13] op_sel_hi:[1,0]
	v_pk_mul_f32 v[14:15], v[4:5], v[14:15] op_sel_hi:[1,0]
	s_waitcnt vmcnt(3)
	v_pk_fma_f32 v[16:17], v[2:3], v[6:7], v[12:13] op_sel:[0,0,1] op_sel_hi:[1,1,0] neg_lo:[0,0,1] neg_hi:[0,0,1]
	v_pk_fma_f32 v[2:3], v[2:3], v[6:7], v[12:13] op_sel:[0,0,1] op_sel_hi:[1,0,0]
	s_waitcnt vmcnt(2)
	v_pk_fma_f32 v[6:7], v[4:5], v[8:9], v[14:15] op_sel:[0,0,1] op_sel_hi:[1,1,0] neg_lo:[0,0,1] neg_hi:[0,0,1]
	v_pk_fma_f32 v[4:5], v[4:5], v[8:9], v[14:15] op_sel:[0,0,1] op_sel_hi:[1,0,0]
	v_mov_b32_e32 v17, v3
	v_mov_b32_e32 v7, v5
	v_pk_add_f32 v[2:3], v[16:17], 0 op_sel_hi:[1,0]
	v_pk_add_f32 v[2:3], v[2:3], v[6:7]
	s_waitcnt vmcnt(0)
	v_pk_add_f32 v[2:3], v[10:11], v[2:3] neg_lo:[0,1] neg_hi:[0,1]
	buffer_store_dword v2, off, s[0:3], 0 offset:456
	buffer_store_dword v3, off, s[0:3], 0 offset:460
	s_and_saveexec_b64 s[4:5], vcc
	s_cbranch_execz .LBB123_261
; %bb.260:
	buffer_load_dword v2, off, s[0:3], 0 offset:448
	buffer_load_dword v3, off, s[0:3], 0 offset:452
	v_mov_b32_e32 v1, 0
	buffer_store_dword v1, off, s[0:3], 0 offset:448
	buffer_store_dword v1, off, s[0:3], 0 offset:452
	s_waitcnt vmcnt(2)
	ds_write_b64 v195, v[2:3]
.LBB123_261:
	s_or_b64 exec, exec, s[4:5]
	s_waitcnt lgkmcnt(0)
	; wave barrier
	s_waitcnt lgkmcnt(0)
	buffer_load_dword v7, off, s[0:3], 0 offset:460
	buffer_load_dword v9, off, s[0:3], 0 offset:468
	;; [unrolled: 1-line block ×8, first 2 shown]
	v_mov_b32_e32 v1, 0
	ds_read2_b64 v[2:5], v1 offset0:117 offset1:118
	ds_read_b64 v[14:15], v1 offset:952
	v_cmp_lt_u32_e32 vcc, 55, v0
	s_waitcnt vmcnt(7)
	v_mov_b32_e32 v16, v7
	s_waitcnt vmcnt(6)
	v_mov_b32_e32 v18, v9
	s_waitcnt lgkmcnt(1)
	v_pk_mul_f32 v[16:17], v[2:3], v[16:17] op_sel_hi:[1,0]
	s_waitcnt vmcnt(5)
	v_mov_b32_e32 v20, v11
	v_pk_mul_f32 v[18:19], v[4:5], v[18:19] op_sel_hi:[1,0]
	s_waitcnt vmcnt(4)
	v_pk_fma_f32 v[22:23], v[2:3], v[6:7], v[16:17] op_sel:[0,0,1] op_sel_hi:[1,1,0] neg_lo:[0,0,1] neg_hi:[0,0,1]
	v_pk_fma_f32 v[2:3], v[2:3], v[6:7], v[16:17] op_sel:[0,0,1] op_sel_hi:[1,0,0]
	s_waitcnt lgkmcnt(0)
	v_pk_mul_f32 v[20:21], v[14:15], v[20:21] op_sel_hi:[1,0]
	s_waitcnt vmcnt(3)
	v_pk_fma_f32 v[6:7], v[4:5], v[8:9], v[18:19] op_sel:[0,0,1] op_sel_hi:[1,1,0] neg_lo:[0,0,1] neg_hi:[0,0,1]
	v_pk_fma_f32 v[4:5], v[4:5], v[8:9], v[18:19] op_sel:[0,0,1] op_sel_hi:[1,0,0]
	v_mov_b32_e32 v23, v3
	s_waitcnt vmcnt(2)
	v_pk_fma_f32 v[8:9], v[14:15], v[10:11], v[20:21] op_sel:[0,0,1] op_sel_hi:[1,1,0] neg_lo:[0,0,1] neg_hi:[0,0,1]
	v_pk_fma_f32 v[10:11], v[14:15], v[10:11], v[20:21] op_sel:[0,0,1] op_sel_hi:[1,0,0]
	v_mov_b32_e32 v7, v5
	v_pk_add_f32 v[2:3], v[22:23], 0 op_sel_hi:[1,0]
	v_mov_b32_e32 v9, v11
	v_pk_add_f32 v[2:3], v[2:3], v[6:7]
	v_pk_add_f32 v[2:3], v[2:3], v[8:9]
	s_waitcnt vmcnt(0)
	v_pk_add_f32 v[2:3], v[12:13], v[2:3] neg_lo:[0,1] neg_hi:[0,1]
	buffer_store_dword v2, off, s[0:3], 0 offset:448
	buffer_store_dword v3, off, s[0:3], 0 offset:452
	s_and_saveexec_b64 s[4:5], vcc
	s_cbranch_execz .LBB123_263
; %bb.262:
	buffer_load_dword v2, off, s[0:3], 0 offset:440
	buffer_load_dword v3, off, s[0:3], 0 offset:444
	s_waitcnt vmcnt(0)
	ds_write_b64 v195, v[2:3]
	buffer_store_dword v1, off, s[0:3], 0 offset:440
	buffer_store_dword v1, off, s[0:3], 0 offset:444
.LBB123_263:
	s_or_b64 exec, exec, s[4:5]
	s_waitcnt lgkmcnt(0)
	; wave barrier
	s_waitcnt lgkmcnt(0)
	buffer_load_dword v11, off, s[0:3], 0 offset:452
	buffer_load_dword v13, off, s[0:3], 0 offset:460
	buffer_load_dword v15, off, s[0:3], 0 offset:468
	buffer_load_dword v17, off, s[0:3], 0 offset:476
	buffer_load_dword v10, off, s[0:3], 0 offset:448
	buffer_load_dword v12, off, s[0:3], 0 offset:456
	buffer_load_dword v14, off, s[0:3], 0 offset:464
	buffer_load_dword v16, off, s[0:3], 0 offset:472
	buffer_load_dword v18, off, s[0:3], 0 offset:440
	buffer_load_dword v19, off, s[0:3], 0 offset:444
	ds_read_b128 v[2:5], v1 offset:928
	ds_read_b128 v[6:9], v1 offset:944
	v_cmp_lt_u32_e32 vcc, 54, v0
	s_waitcnt vmcnt(9)
	v_mov_b32_e32 v20, v11
	s_waitcnt vmcnt(8)
	v_mov_b32_e32 v22, v13
	s_waitcnt lgkmcnt(1)
	v_pk_mul_f32 v[20:21], v[2:3], v[20:21] op_sel_hi:[1,0]
	s_waitcnt vmcnt(7)
	v_mov_b32_e32 v24, v15
	v_pk_mul_f32 v[22:23], v[4:5], v[22:23] op_sel_hi:[1,0]
	s_waitcnt vmcnt(5)
	v_pk_fma_f32 v[28:29], v[2:3], v[10:11], v[20:21] op_sel:[0,0,1] op_sel_hi:[1,1,0] neg_lo:[0,0,1] neg_hi:[0,0,1]
	v_pk_fma_f32 v[2:3], v[2:3], v[10:11], v[20:21] op_sel:[0,0,1] op_sel_hi:[1,0,0]
	v_mov_b32_e32 v26, v17
	s_waitcnt lgkmcnt(0)
	v_pk_mul_f32 v[24:25], v[6:7], v[24:25] op_sel_hi:[1,0]
	s_waitcnt vmcnt(4)
	v_pk_fma_f32 v[10:11], v[4:5], v[12:13], v[22:23] op_sel:[0,0,1] op_sel_hi:[1,1,0] neg_lo:[0,0,1] neg_hi:[0,0,1]
	v_pk_fma_f32 v[4:5], v[4:5], v[12:13], v[22:23] op_sel:[0,0,1] op_sel_hi:[1,0,0]
	v_mov_b32_e32 v29, v3
	v_pk_mul_f32 v[26:27], v[8:9], v[26:27] op_sel_hi:[1,0]
	s_waitcnt vmcnt(3)
	v_pk_fma_f32 v[12:13], v[6:7], v[14:15], v[24:25] op_sel:[0,0,1] op_sel_hi:[1,1,0] neg_lo:[0,0,1] neg_hi:[0,0,1]
	v_pk_fma_f32 v[6:7], v[6:7], v[14:15], v[24:25] op_sel:[0,0,1] op_sel_hi:[1,0,0]
	v_mov_b32_e32 v11, v5
	v_pk_add_f32 v[2:3], v[28:29], 0 op_sel_hi:[1,0]
	s_waitcnt vmcnt(2)
	v_pk_fma_f32 v[14:15], v[8:9], v[16:17], v[26:27] op_sel:[0,0,1] op_sel_hi:[1,1,0] neg_lo:[0,0,1] neg_hi:[0,0,1]
	v_pk_fma_f32 v[8:9], v[8:9], v[16:17], v[26:27] op_sel:[0,0,1] op_sel_hi:[1,0,0]
	v_mov_b32_e32 v13, v7
	v_pk_add_f32 v[2:3], v[2:3], v[10:11]
	v_mov_b32_e32 v15, v9
	v_pk_add_f32 v[2:3], v[2:3], v[12:13]
	v_pk_add_f32 v[2:3], v[2:3], v[14:15]
	s_waitcnt vmcnt(0)
	v_pk_add_f32 v[2:3], v[18:19], v[2:3] neg_lo:[0,1] neg_hi:[0,1]
	buffer_store_dword v2, off, s[0:3], 0 offset:440
	buffer_store_dword v3, off, s[0:3], 0 offset:444
	s_and_saveexec_b64 s[4:5], vcc
	s_cbranch_execz .LBB123_265
; %bb.264:
	buffer_load_dword v2, off, s[0:3], 0 offset:432
	buffer_load_dword v3, off, s[0:3], 0 offset:436
	v_mov_b32_e32 v1, 0
	buffer_store_dword v1, off, s[0:3], 0 offset:432
	buffer_store_dword v1, off, s[0:3], 0 offset:436
	s_waitcnt vmcnt(2)
	ds_write_b64 v195, v[2:3]
.LBB123_265:
	s_or_b64 exec, exec, s[4:5]
	s_waitcnt lgkmcnt(0)
	; wave barrier
	s_waitcnt lgkmcnt(0)
	buffer_load_dword v11, off, s[0:3], 0 offset:444
	buffer_load_dword v13, off, s[0:3], 0 offset:452
	;; [unrolled: 1-line block ×12, first 2 shown]
	v_mov_b32_e32 v1, 0
	ds_read2_b64 v[2:5], v1 offset0:115 offset1:116
	ds_read2_b64 v[6:9], v1 offset0:117 offset1:118
	ds_read_b64 v[22:23], v1 offset:952
	v_cmp_lt_u32_e32 vcc, 53, v0
	s_waitcnt vmcnt(11)
	v_mov_b32_e32 v24, v11
	s_waitcnt vmcnt(10)
	v_mov_b32_e32 v26, v13
	s_waitcnt lgkmcnt(2)
	v_pk_mul_f32 v[24:25], v[2:3], v[24:25] op_sel_hi:[1,0]
	s_waitcnt vmcnt(9)
	v_mov_b32_e32 v28, v15
	v_pk_mul_f32 v[26:27], v[4:5], v[26:27] op_sel_hi:[1,0]
	s_waitcnt vmcnt(6)
	v_pk_fma_f32 v[34:35], v[2:3], v[10:11], v[24:25] op_sel:[0,0,1] op_sel_hi:[1,1,0] neg_lo:[0,0,1] neg_hi:[0,0,1]
	v_pk_fma_f32 v[2:3], v[2:3], v[10:11], v[24:25] op_sel:[0,0,1] op_sel_hi:[1,0,0]
	v_mov_b32_e32 v30, v17
	s_waitcnt lgkmcnt(1)
	v_pk_mul_f32 v[28:29], v[6:7], v[28:29] op_sel_hi:[1,0]
	s_waitcnt vmcnt(5)
	v_pk_fma_f32 v[10:11], v[4:5], v[12:13], v[26:27] op_sel:[0,0,1] op_sel_hi:[1,1,0] neg_lo:[0,0,1] neg_hi:[0,0,1]
	v_pk_fma_f32 v[4:5], v[4:5], v[12:13], v[26:27] op_sel:[0,0,1] op_sel_hi:[1,0,0]
	v_mov_b32_e32 v35, v3
	v_mov_b32_e32 v32, v19
	v_pk_mul_f32 v[30:31], v[8:9], v[30:31] op_sel_hi:[1,0]
	s_waitcnt vmcnt(4)
	v_pk_fma_f32 v[12:13], v[6:7], v[14:15], v[28:29] op_sel:[0,0,1] op_sel_hi:[1,1,0] neg_lo:[0,0,1] neg_hi:[0,0,1]
	v_pk_fma_f32 v[6:7], v[6:7], v[14:15], v[28:29] op_sel:[0,0,1] op_sel_hi:[1,0,0]
	v_mov_b32_e32 v11, v5
	v_pk_add_f32 v[2:3], v[34:35], 0 op_sel_hi:[1,0]
	s_waitcnt lgkmcnt(0)
	v_pk_mul_f32 v[32:33], v[22:23], v[32:33] op_sel_hi:[1,0]
	s_waitcnt vmcnt(3)
	v_pk_fma_f32 v[14:15], v[8:9], v[16:17], v[30:31] op_sel:[0,0,1] op_sel_hi:[1,1,0] neg_lo:[0,0,1] neg_hi:[0,0,1]
	v_pk_fma_f32 v[8:9], v[8:9], v[16:17], v[30:31] op_sel:[0,0,1] op_sel_hi:[1,0,0]
	v_mov_b32_e32 v13, v7
	v_pk_add_f32 v[2:3], v[2:3], v[10:11]
	s_waitcnt vmcnt(2)
	v_pk_fma_f32 v[16:17], v[22:23], v[18:19], v[32:33] op_sel:[0,0,1] op_sel_hi:[1,1,0] neg_lo:[0,0,1] neg_hi:[0,0,1]
	v_pk_fma_f32 v[18:19], v[22:23], v[18:19], v[32:33] op_sel:[0,0,1] op_sel_hi:[1,0,0]
	v_mov_b32_e32 v15, v9
	v_pk_add_f32 v[2:3], v[2:3], v[12:13]
	v_mov_b32_e32 v17, v19
	v_pk_add_f32 v[2:3], v[2:3], v[14:15]
	v_pk_add_f32 v[2:3], v[2:3], v[16:17]
	s_waitcnt vmcnt(0)
	v_pk_add_f32 v[2:3], v[20:21], v[2:3] neg_lo:[0,1] neg_hi:[0,1]
	buffer_store_dword v2, off, s[0:3], 0 offset:432
	buffer_store_dword v3, off, s[0:3], 0 offset:436
	s_and_saveexec_b64 s[4:5], vcc
	s_cbranch_execz .LBB123_267
; %bb.266:
	buffer_load_dword v2, off, s[0:3], 0 offset:424
	buffer_load_dword v3, off, s[0:3], 0 offset:428
	s_waitcnt vmcnt(0)
	ds_write_b64 v195, v[2:3]
	buffer_store_dword v1, off, s[0:3], 0 offset:424
	buffer_store_dword v1, off, s[0:3], 0 offset:428
.LBB123_267:
	s_or_b64 exec, exec, s[4:5]
	s_waitcnt lgkmcnt(0)
	; wave barrier
	s_waitcnt lgkmcnt(0)
	buffer_load_dword v15, off, s[0:3], 0 offset:436
	buffer_load_dword v17, off, s[0:3], 0 offset:444
	buffer_load_dword v19, off, s[0:3], 0 offset:452
	buffer_load_dword v21, off, s[0:3], 0 offset:460
	buffer_load_dword v23, off, s[0:3], 0 offset:468
	buffer_load_dword v25, off, s[0:3], 0 offset:476
	buffer_load_dword v14, off, s[0:3], 0 offset:432
	buffer_load_dword v16, off, s[0:3], 0 offset:440
	buffer_load_dword v18, off, s[0:3], 0 offset:448
	buffer_load_dword v20, off, s[0:3], 0 offset:456
	buffer_load_dword v22, off, s[0:3], 0 offset:464
	buffer_load_dword v24, off, s[0:3], 0 offset:472
	buffer_load_dword v26, off, s[0:3], 0 offset:424
	buffer_load_dword v27, off, s[0:3], 0 offset:428
	ds_read_b128 v[2:5], v1 offset:912
	ds_read_b128 v[6:9], v1 offset:928
	ds_read_b128 v[10:13], v1 offset:944
	v_cmp_lt_u32_e32 vcc, 52, v0
	s_waitcnt vmcnt(13)
	v_mov_b32_e32 v28, v15
	s_waitcnt vmcnt(12)
	v_mov_b32_e32 v30, v17
	s_waitcnt lgkmcnt(2)
	v_pk_mul_f32 v[28:29], v[2:3], v[28:29] op_sel_hi:[1,0]
	s_waitcnt vmcnt(11)
	v_mov_b32_e32 v32, v19
	v_pk_mul_f32 v[30:31], v[4:5], v[30:31] op_sel_hi:[1,0]
	s_waitcnt vmcnt(10)
	v_mov_b32_e32 v34, v21
	s_waitcnt vmcnt(7)
	v_pk_fma_f32 v[40:41], v[2:3], v[14:15], v[28:29] op_sel:[0,0,1] op_sel_hi:[1,1,0] neg_lo:[0,0,1] neg_hi:[0,0,1]
	v_pk_fma_f32 v[2:3], v[2:3], v[14:15], v[28:29] op_sel:[0,0,1] op_sel_hi:[1,0,0]
	s_waitcnt lgkmcnt(1)
	v_pk_mul_f32 v[32:33], v[6:7], v[32:33] op_sel_hi:[1,0]
	s_waitcnt vmcnt(6)
	v_pk_fma_f32 v[14:15], v[4:5], v[16:17], v[30:31] op_sel:[0,0,1] op_sel_hi:[1,1,0] neg_lo:[0,0,1] neg_hi:[0,0,1]
	v_pk_fma_f32 v[4:5], v[4:5], v[16:17], v[30:31] op_sel:[0,0,1] op_sel_hi:[1,0,0]
	v_mov_b32_e32 v41, v3
	v_mov_b32_e32 v36, v23
	v_pk_mul_f32 v[34:35], v[8:9], v[34:35] op_sel_hi:[1,0]
	s_waitcnt vmcnt(5)
	v_pk_fma_f32 v[16:17], v[6:7], v[18:19], v[32:33] op_sel:[0,0,1] op_sel_hi:[1,1,0] neg_lo:[0,0,1] neg_hi:[0,0,1]
	v_pk_fma_f32 v[6:7], v[6:7], v[18:19], v[32:33] op_sel:[0,0,1] op_sel_hi:[1,0,0]
	v_mov_b32_e32 v15, v5
	v_pk_add_f32 v[2:3], v[40:41], 0 op_sel_hi:[1,0]
	v_mov_b32_e32 v38, v25
	s_waitcnt lgkmcnt(0)
	v_pk_mul_f32 v[36:37], v[10:11], v[36:37] op_sel_hi:[1,0]
	s_waitcnt vmcnt(4)
	v_pk_fma_f32 v[18:19], v[8:9], v[20:21], v[34:35] op_sel:[0,0,1] op_sel_hi:[1,1,0] neg_lo:[0,0,1] neg_hi:[0,0,1]
	v_pk_fma_f32 v[8:9], v[8:9], v[20:21], v[34:35] op_sel:[0,0,1] op_sel_hi:[1,0,0]
	v_mov_b32_e32 v17, v7
	v_pk_add_f32 v[2:3], v[2:3], v[14:15]
	v_pk_mul_f32 v[38:39], v[12:13], v[38:39] op_sel_hi:[1,0]
	s_waitcnt vmcnt(3)
	v_pk_fma_f32 v[20:21], v[10:11], v[22:23], v[36:37] op_sel:[0,0,1] op_sel_hi:[1,1,0] neg_lo:[0,0,1] neg_hi:[0,0,1]
	v_pk_fma_f32 v[10:11], v[10:11], v[22:23], v[36:37] op_sel:[0,0,1] op_sel_hi:[1,0,0]
	v_mov_b32_e32 v19, v9
	v_pk_add_f32 v[2:3], v[2:3], v[16:17]
	s_waitcnt vmcnt(2)
	v_pk_fma_f32 v[22:23], v[12:13], v[24:25], v[38:39] op_sel:[0,0,1] op_sel_hi:[1,1,0] neg_lo:[0,0,1] neg_hi:[0,0,1]
	v_pk_fma_f32 v[12:13], v[12:13], v[24:25], v[38:39] op_sel:[0,0,1] op_sel_hi:[1,0,0]
	v_mov_b32_e32 v21, v11
	v_pk_add_f32 v[2:3], v[2:3], v[18:19]
	v_mov_b32_e32 v23, v13
	v_pk_add_f32 v[2:3], v[2:3], v[20:21]
	v_pk_add_f32 v[2:3], v[2:3], v[22:23]
	s_waitcnt vmcnt(0)
	v_pk_add_f32 v[2:3], v[26:27], v[2:3] neg_lo:[0,1] neg_hi:[0,1]
	buffer_store_dword v2, off, s[0:3], 0 offset:424
	buffer_store_dword v3, off, s[0:3], 0 offset:428
	s_and_saveexec_b64 s[4:5], vcc
	s_cbranch_execz .LBB123_269
; %bb.268:
	buffer_load_dword v2, off, s[0:3], 0 offset:416
	buffer_load_dword v3, off, s[0:3], 0 offset:420
	v_mov_b32_e32 v1, 0
	buffer_store_dword v1, off, s[0:3], 0 offset:416
	buffer_store_dword v1, off, s[0:3], 0 offset:420
	s_waitcnt vmcnt(2)
	ds_write_b64 v195, v[2:3]
.LBB123_269:
	s_or_b64 exec, exec, s[4:5]
	s_waitcnt lgkmcnt(0)
	; wave barrier
	s_waitcnt lgkmcnt(0)
	buffer_load_dword v14, off, s[0:3], 0 offset:416
	buffer_load_dword v15, off, s[0:3], 0 offset:420
	;; [unrolled: 1-line block ×16, first 2 shown]
	v_mov_b32_e32 v1, 0
	ds_read2_b64 v[2:5], v1 offset0:113 offset1:114
	ds_read2_b64 v[6:9], v1 offset0:115 offset1:116
	;; [unrolled: 1-line block ×3, first 2 shown]
	ds_read_b64 v[30:31], v1 offset:952
	v_cmp_lt_u32_e32 vcc, 51, v0
	s_waitcnt vmcnt(12)
	v_mov_b32_e32 v32, v17
	s_waitcnt lgkmcnt(3)
	v_pk_mul_f32 v[32:33], v[2:3], v[32:33] op_sel_hi:[1,0]
	v_pk_fma_f32 v[34:35], v[2:3], v[16:17], v[32:33] op_sel:[0,0,1] op_sel_hi:[1,1,0] neg_lo:[0,0,1] neg_hi:[0,0,1]
	v_pk_fma_f32 v[2:3], v[2:3], v[16:17], v[32:33] op_sel:[0,0,1] op_sel_hi:[1,0,0]
	s_waitcnt vmcnt(10)
	v_mov_b32_e32 v16, v19
	v_pk_mul_f32 v[16:17], v[4:5], v[16:17] op_sel_hi:[1,0]
	v_pk_fma_f32 v[32:33], v[4:5], v[18:19], v[16:17] op_sel:[0,0,1] op_sel_hi:[1,1,0] neg_lo:[0,0,1] neg_hi:[0,0,1]
	v_pk_fma_f32 v[4:5], v[4:5], v[18:19], v[16:17] op_sel:[0,0,1] op_sel_hi:[1,0,0]
	s_waitcnt vmcnt(8)
	v_mov_b32_e32 v4, v21
	v_mov_b32_e32 v33, v5
	s_waitcnt lgkmcnt(2)
	v_pk_mul_f32 v[4:5], v[6:7], v[4:5] op_sel_hi:[1,0]
	v_pk_fma_f32 v[16:17], v[6:7], v[20:21], v[4:5] op_sel:[0,0,1] op_sel_hi:[1,1,0] neg_lo:[0,0,1] neg_hi:[0,0,1]
	v_pk_fma_f32 v[4:5], v[6:7], v[20:21], v[4:5] op_sel:[0,0,1] op_sel_hi:[1,0,0]
	s_waitcnt vmcnt(6)
	v_mov_b32_e32 v4, v23
	v_mov_b32_e32 v35, v3
	;; [unrolled: 1-line block ×3, first 2 shown]
	v_pk_mul_f32 v[4:5], v[8:9], v[4:5] op_sel_hi:[1,0]
	v_pk_add_f32 v[2:3], v[34:35], 0 op_sel_hi:[1,0]
	v_pk_fma_f32 v[6:7], v[8:9], v[22:23], v[4:5] op_sel:[0,0,1] op_sel_hi:[1,1,0] neg_lo:[0,0,1] neg_hi:[0,0,1]
	v_pk_fma_f32 v[4:5], v[8:9], v[22:23], v[4:5] op_sel:[0,0,1] op_sel_hi:[1,0,0]
	v_pk_add_f32 v[2:3], v[2:3], v[32:33]
	s_waitcnt vmcnt(4)
	v_mov_b32_e32 v4, v25
	v_pk_add_f32 v[2:3], v[2:3], v[16:17]
	v_mov_b32_e32 v7, v5
	s_waitcnt lgkmcnt(1)
	v_pk_mul_f32 v[4:5], v[10:11], v[4:5] op_sel_hi:[1,0]
	v_pk_add_f32 v[2:3], v[2:3], v[6:7]
	v_pk_fma_f32 v[6:7], v[10:11], v[24:25], v[4:5] op_sel:[0,0,1] op_sel_hi:[1,1,0] neg_lo:[0,0,1] neg_hi:[0,0,1]
	v_pk_fma_f32 v[4:5], v[10:11], v[24:25], v[4:5] op_sel:[0,0,1] op_sel_hi:[1,0,0]
	s_waitcnt vmcnt(2)
	v_mov_b32_e32 v4, v27
	v_mov_b32_e32 v7, v5
	v_pk_mul_f32 v[4:5], v[12:13], v[4:5] op_sel_hi:[1,0]
	v_pk_add_f32 v[2:3], v[2:3], v[6:7]
	v_pk_fma_f32 v[6:7], v[12:13], v[26:27], v[4:5] op_sel:[0,0,1] op_sel_hi:[1,1,0] neg_lo:[0,0,1] neg_hi:[0,0,1]
	v_pk_fma_f32 v[4:5], v[12:13], v[26:27], v[4:5] op_sel:[0,0,1] op_sel_hi:[1,0,0]
	s_waitcnt vmcnt(0)
	v_mov_b32_e32 v4, v29
	v_mov_b32_e32 v7, v5
	s_waitcnt lgkmcnt(0)
	v_pk_mul_f32 v[4:5], v[30:31], v[4:5] op_sel_hi:[1,0]
	v_pk_add_f32 v[2:3], v[2:3], v[6:7]
	v_pk_fma_f32 v[6:7], v[30:31], v[28:29], v[4:5] op_sel:[0,0,1] op_sel_hi:[1,1,0] neg_lo:[0,0,1] neg_hi:[0,0,1]
	v_pk_fma_f32 v[4:5], v[30:31], v[28:29], v[4:5] op_sel:[0,0,1] op_sel_hi:[1,0,0]
	v_mov_b32_e32 v7, v5
	v_pk_add_f32 v[2:3], v[2:3], v[6:7]
	v_pk_add_f32 v[2:3], v[14:15], v[2:3] neg_lo:[0,1] neg_hi:[0,1]
	buffer_store_dword v2, off, s[0:3], 0 offset:416
	buffer_store_dword v3, off, s[0:3], 0 offset:420
	s_and_saveexec_b64 s[4:5], vcc
	s_cbranch_execz .LBB123_271
; %bb.270:
	buffer_load_dword v2, off, s[0:3], 0 offset:408
	buffer_load_dword v3, off, s[0:3], 0 offset:412
	s_waitcnt vmcnt(0)
	ds_write_b64 v195, v[2:3]
	buffer_store_dword v1, off, s[0:3], 0 offset:408
	buffer_store_dword v1, off, s[0:3], 0 offset:412
.LBB123_271:
	s_or_b64 exec, exec, s[4:5]
	s_waitcnt lgkmcnt(0)
	; wave barrier
	s_waitcnt lgkmcnt(0)
	buffer_load_dword v18, off, s[0:3], 0 offset:408
	buffer_load_dword v19, off, s[0:3], 0 offset:412
	;; [unrolled: 1-line block ×16, first 2 shown]
	ds_read_b128 v[2:5], v1 offset:896
	ds_read_b128 v[6:9], v1 offset:912
	;; [unrolled: 1-line block ×4, first 2 shown]
	buffer_load_dword v35, off, s[0:3], 0 offset:476
	buffer_load_dword v34, off, s[0:3], 0 offset:472
	v_cmp_lt_u32_e32 vcc, 50, v0
	s_waitcnt vmcnt(14)
	v_mov_b32_e32 v36, v21
	s_waitcnt lgkmcnt(3)
	v_pk_mul_f32 v[36:37], v[2:3], v[36:37] op_sel_hi:[1,0]
	v_pk_fma_f32 v[38:39], v[2:3], v[20:21], v[36:37] op_sel:[0,0,1] op_sel_hi:[1,1,0] neg_lo:[0,0,1] neg_hi:[0,0,1]
	v_pk_fma_f32 v[2:3], v[2:3], v[20:21], v[36:37] op_sel:[0,0,1] op_sel_hi:[1,0,0]
	s_waitcnt vmcnt(12)
	v_mov_b32_e32 v20, v23
	v_pk_mul_f32 v[20:21], v[4:5], v[20:21] op_sel_hi:[1,0]
	v_pk_fma_f32 v[36:37], v[4:5], v[22:23], v[20:21] op_sel:[0,0,1] op_sel_hi:[1,1,0] neg_lo:[0,0,1] neg_hi:[0,0,1]
	v_pk_fma_f32 v[4:5], v[4:5], v[22:23], v[20:21] op_sel:[0,0,1] op_sel_hi:[1,0,0]
	s_waitcnt vmcnt(10)
	v_mov_b32_e32 v4, v25
	v_mov_b32_e32 v37, v5
	s_waitcnt lgkmcnt(2)
	v_pk_mul_f32 v[4:5], v[6:7], v[4:5] op_sel_hi:[1,0]
	v_pk_fma_f32 v[20:21], v[6:7], v[24:25], v[4:5] op_sel:[0,0,1] op_sel_hi:[1,1,0] neg_lo:[0,0,1] neg_hi:[0,0,1]
	v_pk_fma_f32 v[4:5], v[6:7], v[24:25], v[4:5] op_sel:[0,0,1] op_sel_hi:[1,0,0]
	s_waitcnt vmcnt(8)
	v_mov_b32_e32 v4, v27
	v_mov_b32_e32 v39, v3
	;; [unrolled: 1-line block ×3, first 2 shown]
	v_pk_mul_f32 v[4:5], v[8:9], v[4:5] op_sel_hi:[1,0]
	v_pk_add_f32 v[2:3], v[38:39], 0 op_sel_hi:[1,0]
	v_pk_fma_f32 v[6:7], v[8:9], v[26:27], v[4:5] op_sel:[0,0,1] op_sel_hi:[1,1,0] neg_lo:[0,0,1] neg_hi:[0,0,1]
	v_pk_fma_f32 v[4:5], v[8:9], v[26:27], v[4:5] op_sel:[0,0,1] op_sel_hi:[1,0,0]
	v_pk_add_f32 v[2:3], v[2:3], v[36:37]
	s_waitcnt vmcnt(6)
	v_mov_b32_e32 v4, v29
	v_pk_add_f32 v[2:3], v[2:3], v[20:21]
	v_mov_b32_e32 v7, v5
	s_waitcnt lgkmcnt(1)
	v_pk_mul_f32 v[4:5], v[10:11], v[4:5] op_sel_hi:[1,0]
	v_pk_add_f32 v[2:3], v[2:3], v[6:7]
	v_pk_fma_f32 v[6:7], v[10:11], v[28:29], v[4:5] op_sel:[0,0,1] op_sel_hi:[1,1,0] neg_lo:[0,0,1] neg_hi:[0,0,1]
	v_pk_fma_f32 v[4:5], v[10:11], v[28:29], v[4:5] op_sel:[0,0,1] op_sel_hi:[1,0,0]
	s_waitcnt vmcnt(4)
	v_mov_b32_e32 v4, v31
	v_mov_b32_e32 v7, v5
	v_pk_mul_f32 v[4:5], v[12:13], v[4:5] op_sel_hi:[1,0]
	v_pk_add_f32 v[2:3], v[2:3], v[6:7]
	v_pk_fma_f32 v[6:7], v[12:13], v[30:31], v[4:5] op_sel:[0,0,1] op_sel_hi:[1,1,0] neg_lo:[0,0,1] neg_hi:[0,0,1]
	v_pk_fma_f32 v[4:5], v[12:13], v[30:31], v[4:5] op_sel:[0,0,1] op_sel_hi:[1,0,0]
	s_waitcnt vmcnt(2)
	v_mov_b32_e32 v4, v33
	v_mov_b32_e32 v7, v5
	s_waitcnt lgkmcnt(0)
	v_pk_mul_f32 v[4:5], v[14:15], v[4:5] op_sel_hi:[1,0]
	v_pk_add_f32 v[2:3], v[2:3], v[6:7]
	v_pk_fma_f32 v[6:7], v[14:15], v[32:33], v[4:5] op_sel:[0,0,1] op_sel_hi:[1,1,0] neg_lo:[0,0,1] neg_hi:[0,0,1]
	v_pk_fma_f32 v[4:5], v[14:15], v[32:33], v[4:5] op_sel:[0,0,1] op_sel_hi:[1,0,0]
	s_waitcnt vmcnt(1)
	v_mov_b32_e32 v4, v35
	v_mov_b32_e32 v7, v5
	v_pk_mul_f32 v[4:5], v[16:17], v[4:5] op_sel_hi:[1,0]
	v_pk_add_f32 v[2:3], v[2:3], v[6:7]
	s_waitcnt vmcnt(0)
	v_pk_fma_f32 v[6:7], v[16:17], v[34:35], v[4:5] op_sel:[0,0,1] op_sel_hi:[1,1,0] neg_lo:[0,0,1] neg_hi:[0,0,1]
	v_pk_fma_f32 v[4:5], v[16:17], v[34:35], v[4:5] op_sel:[0,0,1] op_sel_hi:[1,0,0]
	v_mov_b32_e32 v7, v5
	v_pk_add_f32 v[2:3], v[2:3], v[6:7]
	v_pk_add_f32 v[2:3], v[18:19], v[2:3] neg_lo:[0,1] neg_hi:[0,1]
	buffer_store_dword v2, off, s[0:3], 0 offset:408
	buffer_store_dword v3, off, s[0:3], 0 offset:412
	s_and_saveexec_b64 s[4:5], vcc
	s_cbranch_execz .LBB123_273
; %bb.272:
	buffer_load_dword v2, off, s[0:3], 0 offset:400
	buffer_load_dword v3, off, s[0:3], 0 offset:404
	v_mov_b32_e32 v1, 0
	buffer_store_dword v1, off, s[0:3], 0 offset:400
	buffer_store_dword v1, off, s[0:3], 0 offset:404
	s_waitcnt vmcnt(2)
	ds_write_b64 v195, v[2:3]
.LBB123_273:
	s_or_b64 exec, exec, s[4:5]
	v_mov_b32_e32 v1, 0
	s_waitcnt lgkmcnt(0)
	; wave barrier
	s_waitcnt lgkmcnt(0)
	ds_read2_b64 v[2:5], v1 offset0:111 offset1:112
	buffer_load_dword v18, off, s[0:3], 0 offset:400
	buffer_load_dword v19, off, s[0:3], 0 offset:404
	;; [unrolled: 1-line block ×20, first 2 shown]
	v_cmp_lt_u32_e32 vcc, 49, v0
	s_waitcnt vmcnt(16) lgkmcnt(0)
	v_mul_f32_e32 v33, v2, v7
	v_fmac_f32_e32 v33, v3, v6
	v_mul_f32_e32 v3, v3, v7
	s_waitcnt vmcnt(14)
	v_mov_b32_e32 v38, v21
	v_fma_f32 v32, v2, v6, -v3
	ds_read2_b64 v[6:9], v1 offset0:113 offset1:114
	ds_read2_b64 v[10:13], v1 offset0:115 offset1:116
	;; [unrolled: 1-line block ×3, first 2 shown]
	ds_read_b64 v[2:3], v1 offset:952
	v_pk_mul_f32 v[38:39], v[4:5], v[38:39] op_sel_hi:[1,0]
	v_pk_fma_f32 v[40:41], v[4:5], v[20:21], v[38:39] op_sel:[0,0,1] op_sel_hi:[1,1,0] neg_lo:[0,0,1] neg_hi:[0,0,1]
	v_pk_fma_f32 v[4:5], v[4:5], v[20:21], v[38:39] op_sel:[0,0,1] op_sel_hi:[1,0,0]
	s_waitcnt vmcnt(12)
	v_mov_b32_e32 v20, v23
	v_pk_add_f32 v[32:33], v[32:33], 0 op_sel_hi:[1,0]
	v_mov_b32_e32 v41, v5
	s_waitcnt lgkmcnt(3)
	v_pk_mul_f32 v[20:21], v[6:7], v[20:21] op_sel_hi:[1,0]
	v_pk_add_f32 v[4:5], v[32:33], v[40:41]
	v_pk_fma_f32 v[32:33], v[6:7], v[22:23], v[20:21] op_sel:[0,0,1] op_sel_hi:[1,1,0] neg_lo:[0,0,1] neg_hi:[0,0,1]
	v_pk_fma_f32 v[6:7], v[6:7], v[22:23], v[20:21] op_sel:[0,0,1] op_sel_hi:[1,0,0]
	s_waitcnt vmcnt(10)
	v_mov_b32_e32 v6, v25
	v_mov_b32_e32 v33, v7
	v_pk_mul_f32 v[6:7], v[8:9], v[6:7] op_sel_hi:[1,0]
	v_pk_fma_f32 v[20:21], v[8:9], v[24:25], v[6:7] op_sel:[0,0,1] op_sel_hi:[1,1,0] neg_lo:[0,0,1] neg_hi:[0,0,1]
	v_pk_fma_f32 v[6:7], v[8:9], v[24:25], v[6:7] op_sel:[0,0,1] op_sel_hi:[1,0,0]
	s_waitcnt vmcnt(8)
	v_mov_b32_e32 v6, v27
	v_mov_b32_e32 v21, v7
	s_waitcnt lgkmcnt(2)
	v_pk_mul_f32 v[6:7], v[10:11], v[6:7] op_sel_hi:[1,0]
	v_pk_fma_f32 v[8:9], v[10:11], v[26:27], v[6:7] op_sel:[0,0,1] op_sel_hi:[1,1,0] neg_lo:[0,0,1] neg_hi:[0,0,1]
	v_pk_fma_f32 v[6:7], v[10:11], v[26:27], v[6:7] op_sel:[0,0,1] op_sel_hi:[1,0,0]
	v_pk_add_f32 v[4:5], v[4:5], v[32:33]
	s_waitcnt vmcnt(6)
	v_mov_b32_e32 v6, v29
	v_pk_add_f32 v[4:5], v[4:5], v[20:21]
	v_mov_b32_e32 v9, v7
	v_pk_mul_f32 v[6:7], v[12:13], v[6:7] op_sel_hi:[1,0]
	v_pk_add_f32 v[4:5], v[4:5], v[8:9]
	v_pk_fma_f32 v[8:9], v[12:13], v[28:29], v[6:7] op_sel:[0,0,1] op_sel_hi:[1,1,0] neg_lo:[0,0,1] neg_hi:[0,0,1]
	v_pk_fma_f32 v[6:7], v[12:13], v[28:29], v[6:7] op_sel:[0,0,1] op_sel_hi:[1,0,0]
	s_waitcnt vmcnt(4)
	v_mov_b32_e32 v6, v31
	v_mov_b32_e32 v9, v7
	s_waitcnt lgkmcnt(1)
	v_pk_mul_f32 v[6:7], v[14:15], v[6:7] op_sel_hi:[1,0]
	v_pk_add_f32 v[4:5], v[4:5], v[8:9]
	v_pk_fma_f32 v[8:9], v[14:15], v[30:31], v[6:7] op_sel:[0,0,1] op_sel_hi:[1,1,0] neg_lo:[0,0,1] neg_hi:[0,0,1]
	v_pk_fma_f32 v[6:7], v[14:15], v[30:31], v[6:7] op_sel:[0,0,1] op_sel_hi:[1,0,0]
	s_waitcnt vmcnt(3)
	v_mov_b32_e32 v6, v35
	v_mov_b32_e32 v9, v7
	v_pk_mul_f32 v[6:7], v[16:17], v[6:7] op_sel_hi:[1,0]
	v_pk_add_f32 v[4:5], v[4:5], v[8:9]
	s_waitcnt vmcnt(2)
	v_pk_fma_f32 v[8:9], v[16:17], v[34:35], v[6:7] op_sel:[0,0,1] op_sel_hi:[1,1,0] neg_lo:[0,0,1] neg_hi:[0,0,1]
	v_pk_fma_f32 v[6:7], v[16:17], v[34:35], v[6:7] op_sel:[0,0,1] op_sel_hi:[1,0,0]
	s_waitcnt vmcnt(1)
	v_mov_b32_e32 v6, v37
	v_mov_b32_e32 v9, v7
	s_waitcnt lgkmcnt(0)
	v_pk_mul_f32 v[6:7], v[2:3], v[6:7] op_sel_hi:[1,0]
	v_pk_add_f32 v[4:5], v[4:5], v[8:9]
	s_waitcnt vmcnt(0)
	v_pk_fma_f32 v[8:9], v[2:3], v[36:37], v[6:7] op_sel:[0,0,1] op_sel_hi:[1,1,0] neg_lo:[0,0,1] neg_hi:[0,0,1]
	v_pk_fma_f32 v[2:3], v[2:3], v[36:37], v[6:7] op_sel:[0,0,1] op_sel_hi:[1,0,0]
	v_mov_b32_e32 v9, v3
	v_pk_add_f32 v[2:3], v[4:5], v[8:9]
	v_pk_add_f32 v[2:3], v[18:19], v[2:3] neg_lo:[0,1] neg_hi:[0,1]
	buffer_store_dword v2, off, s[0:3], 0 offset:400
	buffer_store_dword v3, off, s[0:3], 0 offset:404
	s_and_saveexec_b64 s[4:5], vcc
	s_cbranch_execz .LBB123_275
; %bb.274:
	buffer_load_dword v2, off, s[0:3], 0 offset:392
	buffer_load_dword v3, off, s[0:3], 0 offset:396
	s_waitcnt vmcnt(0)
	ds_write_b64 v195, v[2:3]
	buffer_store_dword v1, off, s[0:3], 0 offset:392
	buffer_store_dword v1, off, s[0:3], 0 offset:396
.LBB123_275:
	s_or_b64 exec, exec, s[4:5]
	s_waitcnt lgkmcnt(0)
	; wave barrier
	s_waitcnt lgkmcnt(0)
	ds_read_b128 v[4:7], v1 offset:880
	ds_read_b128 v[8:11], v1 offset:896
	;; [unrolled: 1-line block ×4, first 2 shown]
	buffer_load_dword v2, off, s[0:3], 0 offset:392
	buffer_load_dword v3, off, s[0:3], 0 offset:396
	;; [unrolled: 1-line block ×22, first 2 shown]
	v_cmp_lt_u32_e32 vcc, 48, v0
	s_waitcnt vmcnt(18) lgkmcnt(3)
	v_mul_f32_e32 v31, v4, v32
	v_fmac_f32_e32 v31, v5, v30
	v_mul_f32_e32 v5, v5, v32
	s_waitcnt vmcnt(16)
	v_mul_f32_e32 v33, v6, v41
	v_fma_f32 v30, v4, v30, -v5
	v_mul_f32_e32 v4, v7, v41
	v_fmac_f32_e32 v33, v7, v40
	v_fma_f32 v32, v6, v40, -v4
	v_pk_add_f32 v[30:31], v[30:31], 0 op_sel_hi:[1,0]
	v_pk_add_f32 v[30:31], v[30:31], v[32:33]
	s_waitcnt vmcnt(14)
	v_mov_b32_e32 v32, v21
	s_waitcnt lgkmcnt(2)
	v_pk_mul_f32 v[32:33], v[8:9], v[32:33] op_sel_hi:[1,0]
	v_pk_fma_f32 v[40:41], v[8:9], v[20:21], v[32:33] op_sel:[0,0,1] op_sel_hi:[1,1,0] neg_lo:[0,0,1] neg_hi:[0,0,1]
	v_pk_fma_f32 v[8:9], v[8:9], v[20:21], v[32:33] op_sel:[0,0,1] op_sel_hi:[1,0,0]
	s_waitcnt vmcnt(12)
	v_mov_b32_e32 v20, v23
	v_mov_b32_e32 v41, v9
	v_pk_mul_f32 v[20:21], v[10:11], v[20:21] op_sel_hi:[1,0]
	v_pk_add_f32 v[8:9], v[30:31], v[40:41]
	v_pk_fma_f32 v[30:31], v[10:11], v[22:23], v[20:21] op_sel:[0,0,1] op_sel_hi:[1,1,0] neg_lo:[0,0,1] neg_hi:[0,0,1]
	v_pk_fma_f32 v[10:11], v[10:11], v[22:23], v[20:21] op_sel:[0,0,1] op_sel_hi:[1,0,0]
	s_waitcnt vmcnt(10)
	v_mov_b32_e32 v10, v25
	v_mov_b32_e32 v31, v11
	s_waitcnt lgkmcnt(1)
	v_pk_mul_f32 v[10:11], v[12:13], v[10:11] op_sel_hi:[1,0]
	v_pk_fma_f32 v[20:21], v[12:13], v[24:25], v[10:11] op_sel:[0,0,1] op_sel_hi:[1,1,0] neg_lo:[0,0,1] neg_hi:[0,0,1]
	v_pk_fma_f32 v[10:11], v[12:13], v[24:25], v[10:11] op_sel:[0,0,1] op_sel_hi:[1,0,0]
	s_waitcnt vmcnt(8)
	v_mov_b32_e32 v10, v27
	v_mov_b32_e32 v21, v11
	v_pk_mul_f32 v[10:11], v[14:15], v[10:11] op_sel_hi:[1,0]
	v_pk_fma_f32 v[12:13], v[14:15], v[26:27], v[10:11] op_sel:[0,0,1] op_sel_hi:[1,1,0] neg_lo:[0,0,1] neg_hi:[0,0,1]
	v_pk_fma_f32 v[10:11], v[14:15], v[26:27], v[10:11] op_sel:[0,0,1] op_sel_hi:[1,0,0]
	v_pk_add_f32 v[8:9], v[8:9], v[30:31]
	s_waitcnt vmcnt(6)
	v_mov_b32_e32 v10, v29
	v_pk_add_f32 v[8:9], v[8:9], v[20:21]
	v_mov_b32_e32 v13, v11
	s_waitcnt lgkmcnt(0)
	v_pk_mul_f32 v[10:11], v[16:17], v[10:11] op_sel_hi:[1,0]
	ds_read_b128 v[4:7], v1 offset:944
	v_pk_add_f32 v[8:9], v[8:9], v[12:13]
	v_pk_fma_f32 v[12:13], v[16:17], v[28:29], v[10:11] op_sel:[0,0,1] op_sel_hi:[1,1,0] neg_lo:[0,0,1] neg_hi:[0,0,1]
	v_pk_fma_f32 v[10:11], v[16:17], v[28:29], v[10:11] op_sel:[0,0,1] op_sel_hi:[1,0,0]
	s_waitcnt vmcnt(5)
	v_mov_b32_e32 v10, v35
	v_mov_b32_e32 v13, v11
	v_pk_mul_f32 v[10:11], v[18:19], v[10:11] op_sel_hi:[1,0]
	v_pk_add_f32 v[8:9], v[8:9], v[12:13]
	s_waitcnt vmcnt(4)
	v_pk_fma_f32 v[12:13], v[18:19], v[34:35], v[10:11] op_sel:[0,0,1] op_sel_hi:[1,1,0] neg_lo:[0,0,1] neg_hi:[0,0,1]
	v_pk_fma_f32 v[10:11], v[18:19], v[34:35], v[10:11] op_sel:[0,0,1] op_sel_hi:[1,0,0]
	s_waitcnt vmcnt(3)
	v_mov_b32_e32 v10, v37
	v_mov_b32_e32 v13, v11
	s_waitcnt lgkmcnt(0)
	v_pk_mul_f32 v[10:11], v[4:5], v[10:11] op_sel_hi:[1,0]
	v_pk_add_f32 v[8:9], v[8:9], v[12:13]
	s_waitcnt vmcnt(2)
	v_pk_fma_f32 v[12:13], v[4:5], v[36:37], v[10:11] op_sel:[0,0,1] op_sel_hi:[1,1,0] neg_lo:[0,0,1] neg_hi:[0,0,1]
	v_pk_fma_f32 v[4:5], v[4:5], v[36:37], v[10:11] op_sel:[0,0,1] op_sel_hi:[1,0,0]
	v_mov_b32_e32 v13, v5
	v_pk_add_f32 v[4:5], v[8:9], v[12:13]
	s_waitcnt vmcnt(1)
	v_mov_b32_e32 v8, v39
	v_pk_mul_f32 v[8:9], v[6:7], v[8:9] op_sel_hi:[1,0]
	s_waitcnt vmcnt(0)
	v_pk_fma_f32 v[10:11], v[6:7], v[38:39], v[8:9] op_sel:[0,0,1] op_sel_hi:[1,1,0] neg_lo:[0,0,1] neg_hi:[0,0,1]
	v_pk_fma_f32 v[6:7], v[6:7], v[38:39], v[8:9] op_sel:[0,0,1] op_sel_hi:[1,0,0]
	v_mov_b32_e32 v11, v7
	v_pk_add_f32 v[4:5], v[4:5], v[10:11]
	v_pk_add_f32 v[2:3], v[2:3], v[4:5] neg_lo:[0,1] neg_hi:[0,1]
	buffer_store_dword v2, off, s[0:3], 0 offset:392
	buffer_store_dword v3, off, s[0:3], 0 offset:396
	s_and_saveexec_b64 s[4:5], vcc
	s_cbranch_execz .LBB123_277
; %bb.276:
	buffer_load_dword v2, off, s[0:3], 0 offset:384
	buffer_load_dword v3, off, s[0:3], 0 offset:388
	v_mov_b32_e32 v1, 0
	buffer_store_dword v1, off, s[0:3], 0 offset:384
	buffer_store_dword v1, off, s[0:3], 0 offset:388
	s_waitcnt vmcnt(2)
	ds_write_b64 v195, v[2:3]
.LBB123_277:
	s_or_b64 exec, exec, s[4:5]
	v_mov_b32_e32 v1, 0
	s_waitcnt lgkmcnt(0)
	; wave barrier
	s_waitcnt lgkmcnt(0)
	ds_read2_b64 v[4:7], v1 offset0:109 offset1:110
	buffer_load_dword v2, off, s[0:3], 0 offset:384
	buffer_load_dword v3, off, s[0:3], 0 offset:388
	buffer_load_dword v12, off, s[0:3], 0 offset:392
	buffer_load_dword v13, off, s[0:3], 0 offset:396
	buffer_load_dword v14, off, s[0:3], 0 offset:400
	buffer_load_dword v15, off, s[0:3], 0 offset:404
	buffer_load_dword v16, off, s[0:3], 0 offset:408
	buffer_load_dword v17, off, s[0:3], 0 offset:412
	buffer_load_dword v20, off, s[0:3], 0 offset:416
	buffer_load_dword v21, off, s[0:3], 0 offset:420
	buffer_load_dword v22, off, s[0:3], 0 offset:424
	buffer_load_dword v23, off, s[0:3], 0 offset:428
	buffer_load_dword v24, off, s[0:3], 0 offset:432
	buffer_load_dword v25, off, s[0:3], 0 offset:436
	buffer_load_dword v26, off, s[0:3], 0 offset:440
	buffer_load_dword v27, off, s[0:3], 0 offset:444
	v_cmp_lt_u32_e32 vcc, 47, v0
	s_waitcnt vmcnt(12) lgkmcnt(0)
	v_mul_f32_e32 v8, v4, v13
	v_fmac_f32_e32 v8, v5, v12
	v_add_f32_e32 v29, 0, v8
	ds_read2_b64 v[8:11], v1 offset0:111 offset1:112
	buffer_load_dword v35, off, s[0:3], 0 offset:452
	buffer_load_dword v34, off, s[0:3], 0 offset:448
	;; [unrolled: 1-line block ×8, first 2 shown]
	v_mul_f32_e32 v5, v5, v13
	v_fma_f32 v4, v4, v12, -v5
	s_waitcnt vmcnt(18)
	v_mul_f32_e32 v31, v6, v15
	v_add_f32_e32 v28, 0, v4
	v_mul_f32_e32 v4, v7, v15
	v_fmac_f32_e32 v31, v7, v14
	v_fma_f32 v30, v6, v14, -v4
	s_waitcnt vmcnt(16) lgkmcnt(0)
	v_mul_f32_e32 v33, v8, v17
	v_mul_f32_e32 v4, v9, v17
	v_pk_add_f32 v[28:29], v[28:29], v[30:31]
	s_waitcnt vmcnt(14)
	v_mov_b32_e32 v30, v21
	v_fmac_f32_e32 v33, v9, v16
	v_fma_f32 v32, v8, v16, -v4
	ds_read2_b64 v[4:7], v1 offset0:113 offset1:114
	ds_read2_b64 v[12:15], v1 offset0:115 offset1:116
	;; [unrolled: 1-line block ×3, first 2 shown]
	ds_read_b64 v[8:9], v1 offset:952
	v_pk_mul_f32 v[30:31], v[10:11], v[30:31] op_sel_hi:[1,0]
	v_pk_add_f32 v[28:29], v[28:29], v[32:33]
	v_pk_fma_f32 v[32:33], v[10:11], v[20:21], v[30:31] op_sel:[0,0,1] op_sel_hi:[1,1,0] neg_lo:[0,0,1] neg_hi:[0,0,1]
	v_pk_fma_f32 v[10:11], v[10:11], v[20:21], v[30:31] op_sel:[0,0,1] op_sel_hi:[1,0,0]
	s_waitcnt vmcnt(12)
	v_mov_b32_e32 v20, v23
	v_mov_b32_e32 v33, v11
	s_waitcnt lgkmcnt(3)
	v_pk_mul_f32 v[20:21], v[4:5], v[20:21] op_sel_hi:[1,0]
	v_pk_add_f32 v[10:11], v[28:29], v[32:33]
	v_pk_fma_f32 v[28:29], v[4:5], v[22:23], v[20:21] op_sel:[0,0,1] op_sel_hi:[1,1,0] neg_lo:[0,0,1] neg_hi:[0,0,1]
	v_pk_fma_f32 v[4:5], v[4:5], v[22:23], v[20:21] op_sel:[0,0,1] op_sel_hi:[1,0,0]
	v_mov_b32_e32 v29, v5
	v_pk_add_f32 v[4:5], v[10:11], v[28:29]
	s_waitcnt vmcnt(10)
	v_mov_b32_e32 v10, v25
	v_pk_mul_f32 v[10:11], v[6:7], v[10:11] op_sel_hi:[1,0]
	v_pk_fma_f32 v[20:21], v[6:7], v[24:25], v[10:11] op_sel:[0,0,1] op_sel_hi:[1,1,0] neg_lo:[0,0,1] neg_hi:[0,0,1]
	v_pk_fma_f32 v[6:7], v[6:7], v[24:25], v[10:11] op_sel:[0,0,1] op_sel_hi:[1,0,0]
	s_waitcnt vmcnt(8)
	v_mov_b32_e32 v6, v27
	v_mov_b32_e32 v21, v7
	s_waitcnt lgkmcnt(2)
	v_pk_mul_f32 v[6:7], v[12:13], v[6:7] op_sel_hi:[1,0]
	v_pk_fma_f32 v[10:11], v[12:13], v[26:27], v[6:7] op_sel:[0,0,1] op_sel_hi:[1,1,0] neg_lo:[0,0,1] neg_hi:[0,0,1]
	v_pk_fma_f32 v[6:7], v[12:13], v[26:27], v[6:7] op_sel:[0,0,1] op_sel_hi:[1,0,0]
	v_pk_add_f32 v[4:5], v[4:5], v[20:21]
	v_mov_b32_e32 v11, v7
	v_pk_add_f32 v[4:5], v[4:5], v[10:11]
	s_waitcnt vmcnt(7)
	v_mov_b32_e32 v6, v35
	v_pk_mul_f32 v[6:7], v[14:15], v[6:7] op_sel_hi:[1,0]
	s_waitcnt vmcnt(6)
	v_pk_fma_f32 v[10:11], v[14:15], v[34:35], v[6:7] op_sel:[0,0,1] op_sel_hi:[1,1,0] neg_lo:[0,0,1] neg_hi:[0,0,1]
	v_pk_fma_f32 v[6:7], v[14:15], v[34:35], v[6:7] op_sel:[0,0,1] op_sel_hi:[1,0,0]
	s_waitcnt vmcnt(5)
	v_mov_b32_e32 v6, v37
	v_mov_b32_e32 v11, v7
	s_waitcnt lgkmcnt(1)
	v_pk_mul_f32 v[6:7], v[16:17], v[6:7] op_sel_hi:[1,0]
	v_pk_add_f32 v[4:5], v[4:5], v[10:11]
	s_waitcnt vmcnt(4)
	v_pk_fma_f32 v[10:11], v[16:17], v[36:37], v[6:7] op_sel:[0,0,1] op_sel_hi:[1,1,0] neg_lo:[0,0,1] neg_hi:[0,0,1]
	v_pk_fma_f32 v[6:7], v[16:17], v[36:37], v[6:7] op_sel:[0,0,1] op_sel_hi:[1,0,0]
	s_waitcnt vmcnt(3)
	v_mov_b32_e32 v6, v39
	v_mov_b32_e32 v11, v7
	v_pk_mul_f32 v[6:7], v[18:19], v[6:7] op_sel_hi:[1,0]
	v_pk_add_f32 v[4:5], v[4:5], v[10:11]
	s_waitcnt vmcnt(2)
	v_pk_fma_f32 v[10:11], v[18:19], v[38:39], v[6:7] op_sel:[0,0,1] op_sel_hi:[1,1,0] neg_lo:[0,0,1] neg_hi:[0,0,1]
	v_pk_fma_f32 v[6:7], v[18:19], v[38:39], v[6:7] op_sel:[0,0,1] op_sel_hi:[1,0,0]
	s_waitcnt vmcnt(1)
	v_mov_b32_e32 v6, v41
	v_mov_b32_e32 v11, v7
	s_waitcnt lgkmcnt(0)
	v_pk_mul_f32 v[6:7], v[8:9], v[6:7] op_sel_hi:[1,0]
	v_pk_add_f32 v[4:5], v[4:5], v[10:11]
	s_waitcnt vmcnt(0)
	v_pk_fma_f32 v[10:11], v[8:9], v[40:41], v[6:7] op_sel:[0,0,1] op_sel_hi:[1,1,0] neg_lo:[0,0,1] neg_hi:[0,0,1]
	v_pk_fma_f32 v[6:7], v[8:9], v[40:41], v[6:7] op_sel:[0,0,1] op_sel_hi:[1,0,0]
	v_mov_b32_e32 v11, v7
	v_pk_add_f32 v[4:5], v[4:5], v[10:11]
	v_pk_add_f32 v[2:3], v[2:3], v[4:5] neg_lo:[0,1] neg_hi:[0,1]
	buffer_store_dword v3, off, s[0:3], 0 offset:388
	buffer_store_dword v2, off, s[0:3], 0 offset:384
	s_and_saveexec_b64 s[4:5], vcc
	s_cbranch_execz .LBB123_279
; %bb.278:
	buffer_load_dword v2, off, s[0:3], 0 offset:376
	buffer_load_dword v3, off, s[0:3], 0 offset:380
	s_waitcnt vmcnt(0)
	ds_write_b64 v195, v[2:3]
	buffer_store_dword v1, off, s[0:3], 0 offset:376
	buffer_store_dword v1, off, s[0:3], 0 offset:380
.LBB123_279:
	s_or_b64 exec, exec, s[4:5]
	s_waitcnt lgkmcnt(0)
	; wave barrier
	s_waitcnt lgkmcnt(0)
	buffer_load_dword v44, off, s[0:3], 0 offset:388
	buffer_load_dword v46, off, s[0:3], 0 offset:396
	;; [unrolled: 1-line block ×26, first 2 shown]
	ds_read_b128 v[2:5], v1 offset:864
	ds_read_b128 v[6:9], v1 offset:880
	;; [unrolled: 1-line block ×6, first 2 shown]
	v_cmp_lt_u32_e32 vcc, 46, v0
	s_waitcnt vmcnt(25) lgkmcnt(5)
	v_mul_f32_e32 v1, v2, v44
	v_mul_f32_e32 v44, v3, v44
	s_waitcnt vmcnt(24)
	v_mul_f32_e32 v59, v4, v46
	s_waitcnt vmcnt(23) lgkmcnt(4)
	v_mul_f32_e32 v45, v6, v48
	s_waitcnt vmcnt(22)
	v_mul_f32_e32 v47, v8, v49
	v_mul_f32_e32 v46, v5, v46
	;; [unrolled: 1-line block ×4, first 2 shown]
	s_waitcnt vmcnt(21)
	v_mov_b32_e32 v48, v27
	s_waitcnt vmcnt(20)
	v_mov_b32_e32 v50, v29
	s_waitcnt vmcnt(18)
	v_mov_b32_e32 v54, v33
	s_waitcnt vmcnt(15)
	v_fmac_f32_e32 v1, v3, v51
	v_fma_f32 v61, v2, v51, -v44
	v_mov_b32_e32 v52, v31
	s_waitcnt vmcnt(14)
	v_fmac_f32_e32 v59, v5, v53
	s_waitcnt vmcnt(12)
	v_fmac_f32_e32 v47, v9, v57
	v_fma_f32 v62, v4, v53, -v46
	v_fma_f32 v46, v8, v57, -v49
	s_waitcnt lgkmcnt(3)
	v_pk_mul_f32 v[2:3], v[10:11], v[48:49] op_sel_hi:[1,0]
	v_pk_mul_f32 v[4:5], v[12:13], v[50:51] op_sel_hi:[1,0]
	s_waitcnt lgkmcnt(2)
	v_pk_mul_f32 v[8:9], v[16:17], v[54:55] op_sel_hi:[1,0]
	v_add_f32_e32 v1, 0, v1
	v_add_f32_e32 v54, 0, v61
	v_fmac_f32_e32 v45, v7, v55
	v_fma_f32 v44, v6, v55, -v60
	v_pk_mul_f32 v[6:7], v[14:15], v[52:53] op_sel_hi:[1,0]
	s_waitcnt vmcnt(11)
	v_pk_fma_f32 v[52:53], v[10:11], v[26:27], v[2:3] op_sel:[0,0,1] op_sel_hi:[1,1,0] neg_lo:[0,0,1] neg_hi:[0,0,1]
	v_pk_fma_f32 v[2:3], v[10:11], v[26:27], v[2:3] op_sel:[0,0,1] op_sel_hi:[1,0,0]
	s_waitcnt vmcnt(10)
	v_pk_fma_f32 v[10:11], v[12:13], v[28:29], v[4:5] op_sel:[0,0,1] op_sel_hi:[1,1,0] neg_lo:[0,0,1] neg_hi:[0,0,1]
	v_pk_fma_f32 v[4:5], v[12:13], v[28:29], v[4:5] op_sel:[0,0,1] op_sel_hi:[1,0,0]
	v_add_f32_e32 v29, v1, v59
	v_add_f32_e32 v28, v54, v62
	v_mov_b32_e32 v53, v3
	v_pk_add_f32 v[2:3], v[28:29], v[44:45]
	v_pk_add_f32 v[2:3], v[2:3], v[46:47]
	v_mov_b32_e32 v56, v35
	s_waitcnt vmcnt(9)
	v_pk_fma_f32 v[12:13], v[14:15], v[30:31], v[6:7] op_sel:[0,0,1] op_sel_hi:[1,1,0] neg_lo:[0,0,1] neg_hi:[0,0,1]
	v_pk_fma_f32 v[6:7], v[14:15], v[30:31], v[6:7] op_sel:[0,0,1] op_sel_hi:[1,0,0]
	v_mov_b32_e32 v11, v5
	v_pk_add_f32 v[2:3], v[2:3], v[52:53]
	v_mov_b32_e32 v58, v37
	s_waitcnt lgkmcnt(1)
	v_pk_mul_f32 v[48:49], v[18:19], v[56:57] op_sel_hi:[1,0]
	s_waitcnt vmcnt(5)
	v_pk_fma_f32 v[14:15], v[16:17], v[32:33], v[8:9] op_sel:[0,0,1] op_sel_hi:[1,1,0] neg_lo:[0,0,1] neg_hi:[0,0,1]
	v_pk_fma_f32 v[8:9], v[16:17], v[32:33], v[8:9] op_sel:[0,0,1] op_sel_hi:[1,0,0]
	v_mov_b32_e32 v13, v7
	v_pk_add_f32 v[2:3], v[2:3], v[10:11]
	s_waitcnt vmcnt(4)
	v_mov_b32_e32 v4, v39
	v_pk_mul_f32 v[50:51], v[20:21], v[58:59] op_sel_hi:[1,0]
	v_pk_fma_f32 v[16:17], v[18:19], v[34:35], v[48:49] op_sel:[0,0,1] op_sel_hi:[1,1,0] neg_lo:[0,0,1] neg_hi:[0,0,1]
	v_pk_fma_f32 v[18:19], v[18:19], v[34:35], v[48:49] op_sel:[0,0,1] op_sel_hi:[1,0,0]
	v_mov_b32_e32 v15, v9
	v_pk_add_f32 v[2:3], v[2:3], v[12:13]
	s_waitcnt lgkmcnt(0)
	v_pk_mul_f32 v[4:5], v[22:23], v[4:5] op_sel_hi:[1,0]
	v_pk_fma_f32 v[26:27], v[20:21], v[36:37], v[50:51] op_sel:[0,0,1] op_sel_hi:[1,1,0] neg_lo:[0,0,1] neg_hi:[0,0,1]
	v_pk_fma_f32 v[20:21], v[20:21], v[36:37], v[50:51] op_sel:[0,0,1] op_sel_hi:[1,0,0]
	v_mov_b32_e32 v17, v19
	v_pk_add_f32 v[2:3], v[2:3], v[14:15]
	v_pk_fma_f32 v[6:7], v[22:23], v[38:39], v[4:5] op_sel:[0,0,1] op_sel_hi:[1,1,0] neg_lo:[0,0,1] neg_hi:[0,0,1]
	v_pk_fma_f32 v[4:5], v[22:23], v[38:39], v[4:5] op_sel:[0,0,1] op_sel_hi:[1,0,0]
	v_mov_b32_e32 v27, v21
	v_pk_add_f32 v[2:3], v[2:3], v[16:17]
	s_waitcnt vmcnt(3)
	v_mov_b32_e32 v4, v41
	v_pk_add_f32 v[2:3], v[2:3], v[26:27]
	v_mov_b32_e32 v7, v5
	v_pk_mul_f32 v[4:5], v[24:25], v[4:5] op_sel_hi:[1,0]
	v_pk_add_f32 v[2:3], v[2:3], v[6:7]
	s_waitcnt vmcnt(2)
	v_pk_fma_f32 v[6:7], v[24:25], v[40:41], v[4:5] op_sel:[0,0,1] op_sel_hi:[1,1,0] neg_lo:[0,0,1] neg_hi:[0,0,1]
	v_pk_fma_f32 v[4:5], v[24:25], v[40:41], v[4:5] op_sel:[0,0,1] op_sel_hi:[1,0,0]
	v_mov_b32_e32 v7, v5
	v_pk_add_f32 v[2:3], v[2:3], v[6:7]
	s_waitcnt vmcnt(0)
	v_pk_add_f32 v[2:3], v[42:43], v[2:3] neg_lo:[0,1] neg_hi:[0,1]
	buffer_store_dword v3, off, s[0:3], 0 offset:380
	buffer_store_dword v2, off, s[0:3], 0 offset:376
	s_and_saveexec_b64 s[4:5], vcc
	s_cbranch_execz .LBB123_281
; %bb.280:
	buffer_load_dword v2, off, s[0:3], 0 offset:368
	buffer_load_dword v3, off, s[0:3], 0 offset:372
	v_mov_b32_e32 v1, 0
	buffer_store_dword v1, off, s[0:3], 0 offset:368
	buffer_store_dword v1, off, s[0:3], 0 offset:372
	s_waitcnt vmcnt(2)
	ds_write_b64 v195, v[2:3]
.LBB123_281:
	s_or_b64 exec, exec, s[4:5]
	s_waitcnt lgkmcnt(0)
	; wave barrier
	s_waitcnt lgkmcnt(0)
	buffer_load_dword v46, off, s[0:3], 0 offset:380
	buffer_load_dword v48, off, s[0:3], 0 offset:388
	;; [unrolled: 1-line block ×28, first 2 shown]
	v_mov_b32_e32 v1, 0
	ds_read2_b64 v[2:5], v1 offset0:107 offset1:108
	ds_read2_b64 v[6:9], v1 offset0:109 offset1:110
	;; [unrolled: 1-line block ×6, first 2 shown]
	ds_read_b64 v[44:45], v1 offset:952
	v_cmp_lt_u32_e32 vcc, 45, v0
	s_waitcnt vmcnt(27) lgkmcnt(6)
	v_mul_f32_e32 v61, v2, v46
	s_waitcnt vmcnt(26)
	v_mul_f32_e32 v62, v4, v48
	v_mul_f32_e32 v46, v3, v46
	;; [unrolled: 1-line block ×3, first 2 shown]
	s_waitcnt vmcnt(23) lgkmcnt(4)
	v_mul_f32_e32 v49, v10, v52
	v_mul_f32_e32 v63, v6, v50
	;; [unrolled: 1-line block ×6, first 2 shown]
	s_waitcnt vmcnt(22)
	v_mov_b32_e32 v50, v27
	s_waitcnt vmcnt(21)
	v_mov_b32_e32 v52, v29
	s_waitcnt vmcnt(17)
	v_fmac_f32_e32 v61, v3, v53
	s_waitcnt vmcnt(16)
	v_fmac_f32_e32 v62, v5, v55
	;; [unrolled: 2-line block ×3, first 2 shown]
	v_fma_f32 v11, v2, v53, -v46
	v_fma_f32 v53, v4, v55, -v48
	v_pk_mul_f32 v[2:3], v[12:13], v[50:51] op_sel_hi:[1,0]
	s_waitcnt lgkmcnt(3)
	v_pk_mul_f32 v[4:5], v[14:15], v[52:53] op_sel_hi:[1,0]
	v_fma_f32 v46, v8, v59, -v51
	v_fma_f32 v48, v10, v60, -v65
	v_add_f32_e32 v50, 0, v61
	v_add_f32_e32 v51, 0, v11
	s_waitcnt vmcnt(12)
	v_pk_fma_f32 v[10:11], v[12:13], v[26:27], v[2:3] op_sel:[0,0,1] op_sel_hi:[1,1,0] neg_lo:[0,0,1] neg_hi:[0,0,1]
	v_pk_fma_f32 v[2:3], v[12:13], v[26:27], v[2:3] op_sel:[0,0,1] op_sel_hi:[1,0,0]
	s_waitcnt vmcnt(11)
	v_pk_fma_f32 v[12:13], v[14:15], v[28:29], v[4:5] op_sel:[0,0,1] op_sel_hi:[1,1,0] neg_lo:[0,0,1] neg_hi:[0,0,1]
	v_pk_fma_f32 v[4:5], v[14:15], v[28:29], v[4:5] op_sel:[0,0,1] op_sel_hi:[1,0,0]
	v_fmac_f32_e32 v63, v7, v57
	v_fma_f32 v55, v6, v57, -v64
	v_add_f32_e32 v2, v50, v62
	v_add_f32_e32 v4, v51, v53
	v_fmac_f32_e32 v47, v9, v59
	v_mov_b32_e32 v11, v3
	v_add_f32_e32 v3, v2, v63
	v_add_f32_e32 v2, v4, v55
	v_mov_b32_e32 v54, v31
	v_pk_add_f32 v[2:3], v[2:3], v[46:47]
	v_mov_b32_e32 v56, v33
	v_mov_b32_e32 v58, v35
	v_pk_mul_f32 v[6:7], v[16:17], v[54:55] op_sel_hi:[1,0]
	v_pk_add_f32 v[2:3], v[2:3], v[48:49]
	s_waitcnt lgkmcnt(2)
	v_pk_mul_f32 v[8:9], v[18:19], v[56:57] op_sel_hi:[1,0]
	s_waitcnt vmcnt(7)
	v_pk_fma_f32 v[14:15], v[16:17], v[30:31], v[6:7] op_sel:[0,0,1] op_sel_hi:[1,1,0] neg_lo:[0,0,1] neg_hi:[0,0,1]
	v_pk_fma_f32 v[6:7], v[16:17], v[30:31], v[6:7] op_sel:[0,0,1] op_sel_hi:[1,0,0]
	v_mov_b32_e32 v13, v5
	v_pk_add_f32 v[2:3], v[2:3], v[10:11]
	v_pk_mul_f32 v[4:5], v[20:21], v[58:59] op_sel_hi:[1,0]
	v_pk_fma_f32 v[16:17], v[18:19], v[32:33], v[8:9] op_sel:[0,0,1] op_sel_hi:[1,1,0] neg_lo:[0,0,1] neg_hi:[0,0,1]
	v_pk_fma_f32 v[8:9], v[18:19], v[32:33], v[8:9] op_sel:[0,0,1] op_sel_hi:[1,0,0]
	v_mov_b32_e32 v15, v7
	v_pk_add_f32 v[2:3], v[2:3], v[12:13]
	v_pk_fma_f32 v[6:7], v[20:21], v[34:35], v[4:5] op_sel:[0,0,1] op_sel_hi:[1,1,0] neg_lo:[0,0,1] neg_hi:[0,0,1]
	v_pk_fma_f32 v[4:5], v[20:21], v[34:35], v[4:5] op_sel:[0,0,1] op_sel_hi:[1,0,0]
	v_mov_b32_e32 v17, v9
	v_pk_add_f32 v[2:3], v[2:3], v[14:15]
	s_waitcnt vmcnt(6)
	v_mov_b32_e32 v4, v37
	v_pk_add_f32 v[2:3], v[2:3], v[16:17]
	v_mov_b32_e32 v7, v5
	s_waitcnt lgkmcnt(1)
	v_pk_mul_f32 v[4:5], v[22:23], v[4:5] op_sel_hi:[1,0]
	v_pk_add_f32 v[2:3], v[2:3], v[6:7]
	v_pk_fma_f32 v[6:7], v[22:23], v[36:37], v[4:5] op_sel:[0,0,1] op_sel_hi:[1,1,0] neg_lo:[0,0,1] neg_hi:[0,0,1]
	v_pk_fma_f32 v[4:5], v[22:23], v[36:37], v[4:5] op_sel:[0,0,1] op_sel_hi:[1,0,0]
	s_waitcnt vmcnt(5)
	v_mov_b32_e32 v4, v39
	v_mov_b32_e32 v7, v5
	v_pk_mul_f32 v[4:5], v[24:25], v[4:5] op_sel_hi:[1,0]
	v_pk_add_f32 v[2:3], v[2:3], v[6:7]
	s_waitcnt vmcnt(3)
	v_pk_fma_f32 v[6:7], v[24:25], v[38:39], v[4:5] op_sel:[0,0,1] op_sel_hi:[1,1,0] neg_lo:[0,0,1] neg_hi:[0,0,1]
	v_pk_fma_f32 v[4:5], v[24:25], v[38:39], v[4:5] op_sel:[0,0,1] op_sel_hi:[1,0,0]
	s_waitcnt vmcnt(2)
	v_mov_b32_e32 v4, v41
	v_mov_b32_e32 v7, v5
	s_waitcnt lgkmcnt(0)
	v_pk_mul_f32 v[4:5], v[44:45], v[4:5] op_sel_hi:[1,0]
	v_pk_add_f32 v[2:3], v[2:3], v[6:7]
	v_pk_fma_f32 v[6:7], v[44:45], v[40:41], v[4:5] op_sel:[0,0,1] op_sel_hi:[1,1,0] neg_lo:[0,0,1] neg_hi:[0,0,1]
	v_pk_fma_f32 v[4:5], v[44:45], v[40:41], v[4:5] op_sel:[0,0,1] op_sel_hi:[1,0,0]
	v_mov_b32_e32 v7, v5
	v_pk_add_f32 v[2:3], v[2:3], v[6:7]
	s_waitcnt vmcnt(0)
	v_pk_add_f32 v[2:3], v[42:43], v[2:3] neg_lo:[0,1] neg_hi:[0,1]
	buffer_store_dword v3, off, s[0:3], 0 offset:372
	buffer_store_dword v2, off, s[0:3], 0 offset:368
	s_and_saveexec_b64 s[4:5], vcc
	s_cbranch_execz .LBB123_283
; %bb.282:
	buffer_load_dword v2, off, s[0:3], 0 offset:360
	buffer_load_dword v3, off, s[0:3], 0 offset:364
	s_waitcnt vmcnt(0)
	ds_write_b64 v195, v[2:3]
	buffer_store_dword v1, off, s[0:3], 0 offset:360
	buffer_store_dword v1, off, s[0:3], 0 offset:364
.LBB123_283:
	s_or_b64 exec, exec, s[4:5]
	s_waitcnt lgkmcnt(0)
	; wave barrier
	s_waitcnt lgkmcnt(0)
	buffer_load_dword v48, off, s[0:3], 0 offset:372
	buffer_load_dword v50, off, s[0:3], 0 offset:380
	;; [unrolled: 1-line block ×30, first 2 shown]
	ds_read_b128 v[2:5], v1 offset:848
	ds_read_b128 v[6:9], v1 offset:864
	;; [unrolled: 1-line block ×7, first 2 shown]
	v_cmp_lt_u32_e32 vcc, 44, v0
	s_waitcnt vmcnt(29) lgkmcnt(6)
	v_mul_f32_e32 v1, v2, v48
	v_mul_f32_e32 v48, v3, v48
	s_waitcnt vmcnt(27) lgkmcnt(5)
	v_mul_f32_e32 v64, v6, v52
	s_waitcnt vmcnt(26)
	v_mul_f32_e32 v65, v8, v53
	v_mul_f32_e32 v53, v9, v53
	;; [unrolled: 1-line block ×3, first 2 shown]
	s_waitcnt vmcnt(23)
	v_mov_b32_e32 v52, v31
	v_mul_f32_e32 v63, v4, v50
	v_mul_f32_e32 v50, v5, v50
	s_waitcnt vmcnt(20)
	v_fmac_f32_e32 v1, v3, v57
	s_waitcnt vmcnt(19)
	v_fmac_f32_e32 v63, v5, v58
	v_add_f32_e32 v1, 0, v1
	s_waitcnt vmcnt(17)
	v_fma_f32 v53, v8, v60, -v53
	v_fmac_f32_e32 v65, v9, v60
	v_fma_f32 v9, v2, v57, -v48
	s_waitcnt lgkmcnt(3)
	v_pk_mul_f32 v[2:3], v[14:15], v[52:53] op_sel_hi:[1,0]
	v_fma_f32 v57, v4, v58, -v50
	v_add_f32_e32 v52, 0, v9
	s_waitcnt vmcnt(14)
	v_pk_fma_f32 v[8:9], v[14:15], v[30:31], v[2:3] op_sel:[0,0,1] op_sel_hi:[1,1,0] neg_lo:[0,0,1] neg_hi:[0,0,1]
	v_pk_fma_f32 v[2:3], v[14:15], v[30:31], v[2:3] op_sel:[0,0,1] op_sel_hi:[1,0,0]
	v_mul_f32_e32 v49, v10, v54
	v_mul_f32_e32 v51, v12, v55
	;; [unrolled: 1-line block ×4, first 2 shown]
	v_mov_b32_e32 v54, v33
	v_fmac_f32_e32 v64, v7, v59
	v_fma_f32 v58, v6, v59, -v66
	v_add_f32_e32 v1, v1, v63
	v_add_f32_e32 v2, v52, v57
	v_pk_mul_f32 v[4:5], v[16:17], v[54:55] op_sel_hi:[1,0]
	v_add_f32_e32 v1, v1, v64
	v_add_f32_e32 v2, v2, v58
	v_mov_b32_e32 v56, v35
	v_fmac_f32_e32 v49, v11, v61
	v_fma_f32 v48, v10, v61, -v67
	s_waitcnt vmcnt(10)
	v_pk_fma_f32 v[10:11], v[16:17], v[32:33], v[4:5] op_sel:[0,0,1] op_sel_hi:[1,1,0] neg_lo:[0,0,1] neg_hi:[0,0,1]
	v_pk_fma_f32 v[4:5], v[16:17], v[32:33], v[4:5] op_sel:[0,0,1] op_sel_hi:[1,0,0]
	v_mov_b32_e32 v9, v3
	v_add_f32_e32 v3, v1, v65
	v_add_f32_e32 v2, v2, v53
	v_fmac_f32_e32 v51, v13, v62
	v_fma_f32 v50, v12, v62, -v55
	s_waitcnt lgkmcnt(2)
	v_pk_mul_f32 v[6:7], v[18:19], v[56:57] op_sel_hi:[1,0]
	v_pk_add_f32 v[2:3], v[2:3], v[48:49]
	s_waitcnt vmcnt(9)
	v_mov_b32_e32 v4, v39
	v_pk_fma_f32 v[12:13], v[18:19], v[34:35], v[6:7] op_sel:[0,0,1] op_sel_hi:[1,1,0] neg_lo:[0,0,1] neg_hi:[0,0,1]
	v_pk_fma_f32 v[6:7], v[18:19], v[34:35], v[6:7] op_sel:[0,0,1] op_sel_hi:[1,0,0]
	v_mov_b32_e32 v11, v5
	v_pk_add_f32 v[2:3], v[2:3], v[50:51]
	v_pk_mul_f32 v[4:5], v[20:21], v[4:5] op_sel_hi:[1,0]
	v_mov_b32_e32 v13, v7
	v_pk_add_f32 v[2:3], v[2:3], v[8:9]
	v_pk_fma_f32 v[6:7], v[20:21], v[38:39], v[4:5] op_sel:[0,0,1] op_sel_hi:[1,1,0] neg_lo:[0,0,1] neg_hi:[0,0,1]
	v_pk_fma_f32 v[4:5], v[20:21], v[38:39], v[4:5] op_sel:[0,0,1] op_sel_hi:[1,0,0]
	v_pk_add_f32 v[2:3], v[2:3], v[10:11]
	s_waitcnt vmcnt(8)
	v_mov_b32_e32 v4, v37
	v_pk_add_f32 v[2:3], v[2:3], v[12:13]
	v_mov_b32_e32 v7, v5
	s_waitcnt lgkmcnt(1)
	v_pk_mul_f32 v[4:5], v[22:23], v[4:5] op_sel_hi:[1,0]
	v_pk_add_f32 v[2:3], v[2:3], v[6:7]
	v_pk_fma_f32 v[6:7], v[22:23], v[36:37], v[4:5] op_sel:[0,0,1] op_sel_hi:[1,1,0] neg_lo:[0,0,1] neg_hi:[0,0,1]
	v_pk_fma_f32 v[4:5], v[22:23], v[36:37], v[4:5] op_sel:[0,0,1] op_sel_hi:[1,0,0]
	s_waitcnt vmcnt(7)
	v_mov_b32_e32 v4, v41
	v_mov_b32_e32 v7, v5
	v_pk_mul_f32 v[4:5], v[24:25], v[4:5] op_sel_hi:[1,0]
	v_pk_add_f32 v[2:3], v[2:3], v[6:7]
	s_waitcnt vmcnt(4)
	v_pk_fma_f32 v[6:7], v[24:25], v[40:41], v[4:5] op_sel:[0,0,1] op_sel_hi:[1,1,0] neg_lo:[0,0,1] neg_hi:[0,0,1]
	v_pk_fma_f32 v[4:5], v[24:25], v[40:41], v[4:5] op_sel:[0,0,1] op_sel_hi:[1,0,0]
	s_waitcnt vmcnt(3)
	v_mov_b32_e32 v4, v45
	v_mov_b32_e32 v7, v5
	s_waitcnt lgkmcnt(0)
	v_pk_mul_f32 v[4:5], v[26:27], v[4:5] op_sel_hi:[1,0]
	v_pk_add_f32 v[2:3], v[2:3], v[6:7]
	v_pk_fma_f32 v[6:7], v[26:27], v[44:45], v[4:5] op_sel:[0,0,1] op_sel_hi:[1,1,0] neg_lo:[0,0,1] neg_hi:[0,0,1]
	v_pk_fma_f32 v[4:5], v[26:27], v[44:45], v[4:5] op_sel:[0,0,1] op_sel_hi:[1,0,0]
	s_waitcnt vmcnt(0)
	v_mov_b32_e32 v4, v43
	v_mov_b32_e32 v7, v5
	v_pk_mul_f32 v[4:5], v[28:29], v[4:5] op_sel_hi:[1,0]
	v_pk_add_f32 v[2:3], v[2:3], v[6:7]
	v_pk_fma_f32 v[6:7], v[28:29], v[42:43], v[4:5] op_sel:[0,0,1] op_sel_hi:[1,1,0] neg_lo:[0,0,1] neg_hi:[0,0,1]
	v_pk_fma_f32 v[4:5], v[28:29], v[42:43], v[4:5] op_sel:[0,0,1] op_sel_hi:[1,0,0]
	v_mov_b32_e32 v7, v5
	v_pk_add_f32 v[2:3], v[2:3], v[6:7]
	v_pk_add_f32 v[2:3], v[46:47], v[2:3] neg_lo:[0,1] neg_hi:[0,1]
	buffer_store_dword v3, off, s[0:3], 0 offset:364
	buffer_store_dword v2, off, s[0:3], 0 offset:360
	s_and_saveexec_b64 s[4:5], vcc
	s_cbranch_execz .LBB123_285
; %bb.284:
	buffer_load_dword v2, off, s[0:3], 0 offset:352
	buffer_load_dword v3, off, s[0:3], 0 offset:356
	v_mov_b32_e32 v1, 0
	buffer_store_dword v1, off, s[0:3], 0 offset:352
	buffer_store_dword v1, off, s[0:3], 0 offset:356
	s_waitcnt vmcnt(2)
	ds_write_b64 v195, v[2:3]
.LBB123_285:
	s_or_b64 exec, exec, s[4:5]
	s_waitcnt lgkmcnt(0)
	; wave barrier
	s_waitcnt lgkmcnt(0)
	buffer_load_dword v50, off, s[0:3], 0 offset:364
	buffer_load_dword v52, off, s[0:3], 0 offset:372
	;; [unrolled: 1-line block ×32, first 2 shown]
	v_mov_b32_e32 v1, 0
	ds_read2_b64 v[2:5], v1 offset0:105 offset1:106
	ds_read2_b64 v[6:9], v1 offset0:107 offset1:108
	;; [unrolled: 1-line block ×7, first 2 shown]
	ds_read_b64 v[48:49], v1 offset:952
	v_cmp_lt_u32_e32 vcc, 43, v0
	s_waitcnt vmcnt(31) lgkmcnt(7)
	v_mul_f32_e32 v66, v2, v50
	s_waitcnt vmcnt(30)
	v_mul_f32_e32 v67, v4, v52
	s_waitcnt vmcnt(29) lgkmcnt(6)
	v_mul_f32_e32 v68, v6, v54
	s_waitcnt vmcnt(28)
	v_mul_f32_e32 v69, v8, v55
	v_mul_f32_e32 v50, v3, v50
	v_mul_f32_e32 v71, v7, v54
	v_mul_f32_e32 v55, v9, v55
	s_waitcnt vmcnt(24)
	v_mov_b32_e32 v54, v31
	s_waitcnt lgkmcnt(5)
	v_mul_f32_e32 v70, v10, v56
	v_mul_f32_e32 v52, v5, v52
	;; [unrolled: 1-line block ×3, first 2 shown]
	s_waitcnt vmcnt(22)
	v_fmac_f32_e32 v66, v3, v59
	s_waitcnt vmcnt(21)
	v_fmac_f32_e32 v67, v5, v60
	v_fma_f32 v5, v2, v59, -v50
	s_waitcnt lgkmcnt(4)
	v_pk_mul_f32 v[2:3], v[16:17], v[54:55] op_sel_hi:[1,0]
	s_waitcnt vmcnt(20)
	v_fmac_f32_e32 v68, v7, v61
	s_waitcnt vmcnt(19)
	v_fmac_f32_e32 v69, v9, v62
	;; [unrolled: 2-line block ×3, first 2 shown]
	v_fma_f32 v7, v4, v60, -v52
	v_fma_f32 v9, v10, v63, -v72
	v_add_f32_e32 v10, 0, v66
	v_add_f32_e32 v11, 0, v5
	s_waitcnt vmcnt(12)
	v_pk_fma_f32 v[4:5], v[16:17], v[30:31], v[2:3] op_sel:[0,0,1] op_sel_hi:[1,1,0] neg_lo:[0,0,1] neg_hi:[0,0,1]
	v_pk_fma_f32 v[2:3], v[16:17], v[30:31], v[2:3] op_sel:[0,0,1] op_sel_hi:[1,0,0]
	v_fma_f32 v6, v6, v61, -v71
	v_add_f32_e32 v2, v10, v67
	v_add_f32_e32 v7, v11, v7
	v_fma_f32 v8, v8, v62, -v55
	v_mov_b32_e32 v5, v3
	v_add_f32_e32 v2, v2, v68
	v_add_f32_e32 v3, v7, v6
	v_mul_f32_e32 v51, v12, v57
	v_mul_f32_e32 v57, v13, v57
	v_add_f32_e32 v2, v2, v69
	v_add_f32_e32 v6, v3, v8
	v_mul_f32_e32 v53, v14, v58
	v_mul_f32_e32 v58, v15, v58
	v_fmac_f32_e32 v51, v13, v64
	v_fma_f32 v50, v12, v64, -v57
	v_add_f32_e32 v3, v2, v70
	v_add_f32_e32 v2, v6, v9
	v_fmac_f32_e32 v53, v15, v65
	v_fma_f32 v52, v14, v65, -v58
	v_pk_add_f32 v[2:3], v[2:3], v[50:51]
	v_mov_b32_e32 v56, v33
	v_pk_add_f32 v[2:3], v[2:3], v[52:53]
	v_pk_add_f32 v[2:3], v[2:3], v[4:5]
	s_waitcnt lgkmcnt(3)
	v_pk_mul_f32 v[4:5], v[18:19], v[56:57] op_sel_hi:[1,0]
	v_pk_fma_f32 v[6:7], v[18:19], v[32:33], v[4:5] op_sel:[0,0,1] op_sel_hi:[1,1,0] neg_lo:[0,0,1] neg_hi:[0,0,1]
	v_pk_fma_f32 v[4:5], v[18:19], v[32:33], v[4:5] op_sel:[0,0,1] op_sel_hi:[1,0,0]
	s_waitcnt vmcnt(11)
	v_mov_b32_e32 v4, v37
	v_mov_b32_e32 v7, v5
	v_pk_mul_f32 v[4:5], v[20:21], v[4:5] op_sel_hi:[1,0]
	v_pk_add_f32 v[2:3], v[2:3], v[6:7]
	v_pk_fma_f32 v[6:7], v[20:21], v[36:37], v[4:5] op_sel:[0,0,1] op_sel_hi:[1,1,0] neg_lo:[0,0,1] neg_hi:[0,0,1]
	v_pk_fma_f32 v[4:5], v[20:21], v[36:37], v[4:5] op_sel:[0,0,1] op_sel_hi:[1,0,0]
	s_waitcnt vmcnt(10)
	v_mov_b32_e32 v4, v35
	v_mov_b32_e32 v7, v5
	s_waitcnt lgkmcnt(2)
	v_pk_mul_f32 v[4:5], v[22:23], v[4:5] op_sel_hi:[1,0]
	v_pk_add_f32 v[2:3], v[2:3], v[6:7]
	v_pk_fma_f32 v[6:7], v[22:23], v[34:35], v[4:5] op_sel:[0,0,1] op_sel_hi:[1,1,0] neg_lo:[0,0,1] neg_hi:[0,0,1]
	v_pk_fma_f32 v[4:5], v[22:23], v[34:35], v[4:5] op_sel:[0,0,1] op_sel_hi:[1,0,0]
	s_waitcnt vmcnt(9)
	v_mov_b32_e32 v4, v39
	v_mov_b32_e32 v7, v5
	v_pk_mul_f32 v[4:5], v[24:25], v[4:5] op_sel_hi:[1,0]
	v_pk_add_f32 v[2:3], v[2:3], v[6:7]
	s_waitcnt vmcnt(4)
	v_pk_fma_f32 v[6:7], v[24:25], v[38:39], v[4:5] op_sel:[0,0,1] op_sel_hi:[1,1,0] neg_lo:[0,0,1] neg_hi:[0,0,1]
	v_pk_fma_f32 v[4:5], v[24:25], v[38:39], v[4:5] op_sel:[0,0,1] op_sel_hi:[1,0,0]
	v_mov_b32_e32 v4, v45
	v_mov_b32_e32 v7, v5
	s_waitcnt lgkmcnt(1)
	v_pk_mul_f32 v[4:5], v[26:27], v[4:5] op_sel_hi:[1,0]
	v_pk_add_f32 v[2:3], v[2:3], v[6:7]
	v_pk_fma_f32 v[6:7], v[26:27], v[44:45], v[4:5] op_sel:[0,0,1] op_sel_hi:[1,1,0] neg_lo:[0,0,1] neg_hi:[0,0,1]
	v_pk_fma_f32 v[4:5], v[26:27], v[44:45], v[4:5] op_sel:[0,0,1] op_sel_hi:[1,0,0]
	s_waitcnt vmcnt(3)
	v_mov_b32_e32 v4, v43
	v_mov_b32_e32 v7, v5
	v_pk_mul_f32 v[4:5], v[28:29], v[4:5] op_sel_hi:[1,0]
	v_pk_add_f32 v[2:3], v[2:3], v[6:7]
	v_pk_fma_f32 v[6:7], v[28:29], v[42:43], v[4:5] op_sel:[0,0,1] op_sel_hi:[1,1,0] neg_lo:[0,0,1] neg_hi:[0,0,1]
	v_pk_fma_f32 v[4:5], v[28:29], v[42:43], v[4:5] op_sel:[0,0,1] op_sel_hi:[1,0,0]
	s_waitcnt vmcnt(0)
	v_mov_b32_e32 v4, v41
	v_mov_b32_e32 v7, v5
	s_waitcnt lgkmcnt(0)
	v_pk_mul_f32 v[4:5], v[48:49], v[4:5] op_sel_hi:[1,0]
	v_pk_add_f32 v[2:3], v[2:3], v[6:7]
	v_pk_fma_f32 v[6:7], v[48:49], v[40:41], v[4:5] op_sel:[0,0,1] op_sel_hi:[1,1,0] neg_lo:[0,0,1] neg_hi:[0,0,1]
	v_pk_fma_f32 v[4:5], v[48:49], v[40:41], v[4:5] op_sel:[0,0,1] op_sel_hi:[1,0,0]
	v_mov_b32_e32 v7, v5
	v_pk_add_f32 v[2:3], v[2:3], v[6:7]
	v_pk_add_f32 v[2:3], v[46:47], v[2:3] neg_lo:[0,1] neg_hi:[0,1]
	buffer_store_dword v3, off, s[0:3], 0 offset:356
	buffer_store_dword v2, off, s[0:3], 0 offset:352
	s_and_saveexec_b64 s[4:5], vcc
	s_cbranch_execz .LBB123_287
; %bb.286:
	buffer_load_dword v2, off, s[0:3], 0 offset:344
	buffer_load_dword v3, off, s[0:3], 0 offset:348
	s_waitcnt vmcnt(0)
	ds_write_b64 v195, v[2:3]
	buffer_store_dword v1, off, s[0:3], 0 offset:344
	buffer_store_dword v1, off, s[0:3], 0 offset:348
.LBB123_287:
	s_or_b64 exec, exec, s[4:5]
	s_waitcnt lgkmcnt(0)
	; wave barrier
	s_waitcnt lgkmcnt(0)
	buffer_load_dword v52, off, s[0:3], 0 offset:356
	buffer_load_dword v54, off, s[0:3], 0 offset:364
	;; [unrolled: 1-line block ×32, first 2 shown]
	ds_read_b128 v[2:5], v1 offset:832
	ds_read_b128 v[6:9], v1 offset:848
	;; [unrolled: 1-line block ×4, first 2 shown]
	buffer_load_dword v51, off, s[0:3], 0 offset:476
	buffer_load_dword v50, off, s[0:3], 0 offset:472
	ds_read_b128 v[18:21], v1 offset:896
	ds_read_b128 v[22:25], v1 offset:912
	;; [unrolled: 1-line block ×4, first 2 shown]
	v_cmp_lt_u32_e32 vcc, 42, v0
	s_waitcnt vmcnt(33) lgkmcnt(7)
	v_mul_f32_e32 v1, v2, v52
	v_mul_f32_e32 v52, v3, v52
	s_waitcnt vmcnt(32)
	v_mul_f32_e32 v70, v4, v54
	v_mul_f32_e32 v54, v5, v54
	s_waitcnt vmcnt(31) lgkmcnt(6)
	v_mul_f32_e32 v71, v6, v56
	v_mul_f32_e32 v56, v7, v56
	s_waitcnt vmcnt(30)
	v_mul_f32_e32 v72, v8, v57
	v_mul_f32_e32 v57, v9, v57
	s_waitcnt vmcnt(25)
	v_fmac_f32_e32 v1, v3, v62
	v_fma_f32 v2, v2, v62, -v52
	s_waitcnt vmcnt(24)
	v_fmac_f32_e32 v70, v5, v63
	v_fma_f32 v3, v4, v63, -v54
	v_add_f32_e32 v1, 0, v1
	v_add_f32_e32 v2, 0, v2
	s_waitcnt vmcnt(23)
	v_fmac_f32_e32 v71, v7, v64
	v_fma_f32 v4, v6, v64, -v56
	v_add_f32_e32 v1, v1, v70
	v_add_f32_e32 v2, v2, v3
	s_waitcnt lgkmcnt(5)
	v_mul_f32_e32 v73, v10, v58
	v_mul_f32_e32 v58, v11, v58
	s_waitcnt vmcnt(22)
	v_fmac_f32_e32 v72, v9, v65
	v_fma_f32 v5, v8, v65, -v57
	v_add_f32_e32 v1, v1, v71
	v_add_f32_e32 v2, v2, v4
	v_mul_f32_e32 v74, v12, v59
	v_mul_f32_e32 v59, v13, v59
	s_waitcnt vmcnt(21)
	v_fmac_f32_e32 v73, v11, v66
	v_fma_f32 v6, v10, v66, -v58
	v_add_f32_e32 v1, v1, v72
	v_add_f32_e32 v2, v2, v5
	s_waitcnt vmcnt(17)
	v_mov_b32_e32 v4, v35
	s_waitcnt lgkmcnt(4)
	v_mul_f32_e32 v53, v14, v60
	v_mul_f32_e32 v60, v15, v60
	v_fmac_f32_e32 v74, v13, v67
	v_fma_f32 v7, v12, v67, -v59
	v_add_f32_e32 v1, v1, v73
	v_add_f32_e32 v2, v2, v6
	s_waitcnt lgkmcnt(3)
	v_pk_mul_f32 v[4:5], v[18:19], v[4:5] op_sel_hi:[1,0]
	v_mul_f32_e32 v55, v16, v61
	v_mul_f32_e32 v61, v17, v61
	v_fmac_f32_e32 v53, v15, v68
	v_fma_f32 v52, v14, v68, -v60
	v_add_f32_e32 v3, v1, v74
	v_add_f32_e32 v2, v2, v7
	s_waitcnt vmcnt(14)
	v_pk_fma_f32 v[6:7], v[18:19], v[34:35], v[4:5] op_sel:[0,0,1] op_sel_hi:[1,1,0] neg_lo:[0,0,1] neg_hi:[0,0,1]
	v_pk_fma_f32 v[4:5], v[18:19], v[34:35], v[4:5] op_sel:[0,0,1] op_sel_hi:[1,0,0]
	v_fmac_f32_e32 v55, v17, v69
	v_fma_f32 v54, v16, v69, -v61
	v_pk_add_f32 v[2:3], v[2:3], v[52:53]
	s_waitcnt vmcnt(13)
	v_mov_b32_e32 v4, v39
	v_pk_add_f32 v[2:3], v[2:3], v[54:55]
	v_mov_b32_e32 v7, v5
	v_pk_mul_f32 v[4:5], v[20:21], v[4:5] op_sel_hi:[1,0]
	v_pk_add_f32 v[2:3], v[2:3], v[6:7]
	v_pk_fma_f32 v[6:7], v[20:21], v[38:39], v[4:5] op_sel:[0,0,1] op_sel_hi:[1,1,0] neg_lo:[0,0,1] neg_hi:[0,0,1]
	v_pk_fma_f32 v[4:5], v[20:21], v[38:39], v[4:5] op_sel:[0,0,1] op_sel_hi:[1,0,0]
	s_waitcnt vmcnt(12)
	v_mov_b32_e32 v4, v37
	v_mov_b32_e32 v7, v5
	s_waitcnt lgkmcnt(2)
	v_pk_mul_f32 v[4:5], v[22:23], v[4:5] op_sel_hi:[1,0]
	v_pk_add_f32 v[2:3], v[2:3], v[6:7]
	v_pk_fma_f32 v[6:7], v[22:23], v[36:37], v[4:5] op_sel:[0,0,1] op_sel_hi:[1,1,0] neg_lo:[0,0,1] neg_hi:[0,0,1]
	v_pk_fma_f32 v[4:5], v[22:23], v[36:37], v[4:5] op_sel:[0,0,1] op_sel_hi:[1,0,0]
	s_waitcnt vmcnt(11)
	v_mov_b32_e32 v4, v41
	v_mov_b32_e32 v7, v5
	v_pk_mul_f32 v[4:5], v[24:25], v[4:5] op_sel_hi:[1,0]
	v_pk_add_f32 v[2:3], v[2:3], v[6:7]
	s_waitcnt vmcnt(5)
	v_pk_fma_f32 v[6:7], v[24:25], v[40:41], v[4:5] op_sel:[0,0,1] op_sel_hi:[1,1,0] neg_lo:[0,0,1] neg_hi:[0,0,1]
	v_pk_fma_f32 v[4:5], v[24:25], v[40:41], v[4:5] op_sel:[0,0,1] op_sel_hi:[1,0,0]
	v_mov_b32_e32 v4, v47
	v_mov_b32_e32 v7, v5
	s_waitcnt lgkmcnt(1)
	v_pk_mul_f32 v[4:5], v[26:27], v[4:5] op_sel_hi:[1,0]
	v_pk_add_f32 v[2:3], v[2:3], v[6:7]
	v_pk_fma_f32 v[6:7], v[26:27], v[46:47], v[4:5] op_sel:[0,0,1] op_sel_hi:[1,1,0] neg_lo:[0,0,1] neg_hi:[0,0,1]
	v_pk_fma_f32 v[4:5], v[26:27], v[46:47], v[4:5] op_sel:[0,0,1] op_sel_hi:[1,0,0]
	v_mov_b32_e32 v4, v45
	v_mov_b32_e32 v7, v5
	v_pk_mul_f32 v[4:5], v[28:29], v[4:5] op_sel_hi:[1,0]
	v_pk_add_f32 v[2:3], v[2:3], v[6:7]
	v_pk_fma_f32 v[6:7], v[28:29], v[44:45], v[4:5] op_sel:[0,0,1] op_sel_hi:[1,1,0] neg_lo:[0,0,1] neg_hi:[0,0,1]
	v_pk_fma_f32 v[4:5], v[28:29], v[44:45], v[4:5] op_sel:[0,0,1] op_sel_hi:[1,0,0]
	s_waitcnt vmcnt(2)
	v_mov_b32_e32 v4, v43
	v_mov_b32_e32 v7, v5
	s_waitcnt lgkmcnt(0)
	v_pk_mul_f32 v[4:5], v[30:31], v[4:5] op_sel_hi:[1,0]
	v_pk_add_f32 v[2:3], v[2:3], v[6:7]
	v_pk_fma_f32 v[6:7], v[30:31], v[42:43], v[4:5] op_sel:[0,0,1] op_sel_hi:[1,1,0] neg_lo:[0,0,1] neg_hi:[0,0,1]
	v_pk_fma_f32 v[4:5], v[30:31], v[42:43], v[4:5] op_sel:[0,0,1] op_sel_hi:[1,0,0]
	s_waitcnt vmcnt(1)
	v_mov_b32_e32 v4, v51
	v_mov_b32_e32 v7, v5
	v_pk_mul_f32 v[4:5], v[32:33], v[4:5] op_sel_hi:[1,0]
	v_pk_add_f32 v[2:3], v[2:3], v[6:7]
	s_waitcnt vmcnt(0)
	v_pk_fma_f32 v[6:7], v[32:33], v[50:51], v[4:5] op_sel:[0,0,1] op_sel_hi:[1,1,0] neg_lo:[0,0,1] neg_hi:[0,0,1]
	v_pk_fma_f32 v[4:5], v[32:33], v[50:51], v[4:5] op_sel:[0,0,1] op_sel_hi:[1,0,0]
	v_mov_b32_e32 v7, v5
	v_pk_add_f32 v[2:3], v[2:3], v[6:7]
	v_pk_add_f32 v[2:3], v[48:49], v[2:3] neg_lo:[0,1] neg_hi:[0,1]
	buffer_store_dword v3, off, s[0:3], 0 offset:348
	buffer_store_dword v2, off, s[0:3], 0 offset:344
	s_and_saveexec_b64 s[4:5], vcc
	s_cbranch_execz .LBB123_289
; %bb.288:
	buffer_load_dword v2, off, s[0:3], 0 offset:336
	buffer_load_dword v3, off, s[0:3], 0 offset:340
	v_mov_b32_e32 v1, 0
	buffer_store_dword v1, off, s[0:3], 0 offset:336
	buffer_store_dword v1, off, s[0:3], 0 offset:340
	s_waitcnt vmcnt(2)
	ds_write_b64 v195, v[2:3]
.LBB123_289:
	s_or_b64 exec, exec, s[4:5]
	s_waitcnt lgkmcnt(0)
	; wave barrier
	s_waitcnt lgkmcnt(0)
	buffer_load_dword v44, off, s[0:3], 0 offset:348
	buffer_load_dword v46, off, s[0:3], 0 offset:356
	;; [unrolled: 1-line block ×36, first 2 shown]
	v_mov_b32_e32 v1, 0
	ds_read2_b64 v[2:5], v1 offset0:103 offset1:104
	ds_read2_b64 v[6:9], v1 offset0:105 offset1:106
	;; [unrolled: 1-line block ×6, first 2 shown]
	v_cmp_lt_u32_e32 vcc, 41, v0
	s_waitcnt vmcnt(35) lgkmcnt(5)
	v_mul_f32_e32 v64, v2, v44
	s_waitcnt vmcnt(34)
	v_mul_f32_e32 v65, v4, v46
	v_mul_f32_e32 v44, v3, v44
	s_waitcnt vmcnt(32) lgkmcnt(4)
	v_mul_f32_e32 v67, v8, v49
	v_mul_f32_e32 v49, v9, v49
	;; [unrolled: 1-line block ×5, first 2 shown]
	s_waitcnt vmcnt(31) lgkmcnt(3)
	v_mul_f32_e32 v68, v10, v50
	s_waitcnt vmcnt(26)
	v_fmac_f32_e32 v64, v3, v55
	s_waitcnt vmcnt(25)
	v_fmac_f32_e32 v65, v5, v56
	v_fma_f32 v2, v2, v55, -v44
	s_waitcnt vmcnt(23)
	v_fma_f32 v5, v8, v58, -v49
	v_add_f32_e32 v8, 0, v64
	v_fmac_f32_e32 v66, v7, v57
	v_fma_f32 v3, v4, v56, -v46
	v_add_f32_e32 v2, 0, v2
	v_add_f32_e32 v8, v8, v65
	v_fmac_f32_e32 v67, v9, v58
	v_fma_f32 v4, v6, v57, -v48
	v_add_f32_e32 v2, v2, v3
	v_add_f32_e32 v3, v8, v66
	v_mul_f32_e32 v69, v12, v51
	v_mul_f32_e32 v50, v11, v50
	s_waitcnt vmcnt(22)
	v_fmac_f32_e32 v68, v11, v59
	v_add_f32_e32 v2, v2, v4
	v_add_f32_e32 v3, v3, v67
	s_waitcnt lgkmcnt(2)
	v_mul_f32_e32 v70, v14, v52
	v_mul_f32_e32 v51, v13, v51
	s_waitcnt vmcnt(21)
	v_fmac_f32_e32 v69, v13, v60
	v_fma_f32 v6, v10, v59, -v50
	v_add_f32_e32 v2, v2, v5
	v_add_f32_e32 v3, v3, v68
	v_mul_f32_e32 v52, v15, v52
	s_waitcnt vmcnt(20)
	v_fmac_f32_e32 v70, v15, v61
	v_fma_f32 v7, v12, v60, -v51
	v_add_f32_e32 v2, v2, v6
	v_add_f32_e32 v3, v3, v69
	;; [unrolled: 1-line block ×4, first 2 shown]
	v_fma_f32 v3, v14, v61, -v52
	s_waitcnt vmcnt(17)
	v_mov_b32_e32 v14, v27
	v_mul_f32_e32 v45, v16, v53
	v_add_f32_e32 v10, v2, v3
	v_mul_f32_e32 v2, v17, v53
	s_waitcnt lgkmcnt(1)
	v_pk_mul_f32 v[14:15], v[20:21], v[14:15] op_sel_hi:[1,0]
	v_mul_f32_e32 v47, v18, v54
	v_fmac_f32_e32 v45, v17, v62
	v_fma_f32 v44, v16, v62, -v2
	v_mul_f32_e32 v2, v19, v54
	s_waitcnt vmcnt(15)
	v_pk_fma_f32 v[16:17], v[20:21], v[26:27], v[14:15] op_sel:[0,0,1] op_sel_hi:[1,1,0] neg_lo:[0,0,1] neg_hi:[0,0,1]
	v_pk_fma_f32 v[14:15], v[20:21], v[26:27], v[14:15] op_sel:[0,0,1] op_sel_hi:[1,0,0]
	v_fmac_f32_e32 v47, v19, v63
	v_fma_f32 v46, v18, v63, -v2
	v_pk_add_f32 v[10:11], v[10:11], v[44:45]
	s_waitcnt vmcnt(12)
	v_mov_b32_e32 v14, v29
	v_pk_add_f32 v[10:11], v[10:11], v[46:47]
	v_mov_b32_e32 v17, v15
	s_waitcnt lgkmcnt(0)
	v_pk_mul_f32 v[14:15], v[22:23], v[14:15] op_sel_hi:[1,0]
	v_pk_add_f32 v[10:11], v[10:11], v[16:17]
	v_pk_fma_f32 v[16:17], v[22:23], v[28:29], v[14:15] op_sel:[0,0,1] op_sel_hi:[1,1,0] neg_lo:[0,0,1] neg_hi:[0,0,1]
	v_pk_fma_f32 v[14:15], v[22:23], v[28:29], v[14:15] op_sel:[0,0,1] op_sel_hi:[1,0,0]
	s_waitcnt vmcnt(11)
	v_mov_b32_e32 v14, v33
	ds_read2_b64 v[2:5], v1 offset0:115 offset1:116
	ds_read2_b64 v[6:9], v1 offset0:117 offset1:118
	ds_read_b64 v[12:13], v1 offset:952
	v_mov_b32_e32 v17, v15
	v_pk_mul_f32 v[14:15], v[24:25], v[14:15] op_sel_hi:[1,0]
	v_pk_add_f32 v[10:11], v[10:11], v[16:17]
	s_waitcnt vmcnt(4)
	v_pk_fma_f32 v[16:17], v[24:25], v[32:33], v[14:15] op_sel:[0,0,1] op_sel_hi:[1,1,0] neg_lo:[0,0,1] neg_hi:[0,0,1]
	v_pk_fma_f32 v[14:15], v[24:25], v[32:33], v[14:15] op_sel:[0,0,1] op_sel_hi:[1,0,0]
	v_mov_b32_e32 v14, v39
	v_mov_b32_e32 v17, v15
	s_waitcnt lgkmcnt(2)
	v_pk_mul_f32 v[14:15], v[2:3], v[14:15] op_sel_hi:[1,0]
	v_pk_add_f32 v[10:11], v[10:11], v[16:17]
	v_pk_fma_f32 v[16:17], v[2:3], v[38:39], v[14:15] op_sel:[0,0,1] op_sel_hi:[1,1,0] neg_lo:[0,0,1] neg_hi:[0,0,1]
	v_pk_fma_f32 v[2:3], v[2:3], v[38:39], v[14:15] op_sel:[0,0,1] op_sel_hi:[1,0,0]
	v_mov_b32_e32 v17, v3
	v_pk_add_f32 v[2:3], v[10:11], v[16:17]
	v_mov_b32_e32 v10, v37
	v_pk_mul_f32 v[10:11], v[4:5], v[10:11] op_sel_hi:[1,0]
	v_pk_fma_f32 v[14:15], v[4:5], v[36:37], v[10:11] op_sel:[0,0,1] op_sel_hi:[1,1,0] neg_lo:[0,0,1] neg_hi:[0,0,1]
	v_pk_fma_f32 v[4:5], v[4:5], v[36:37], v[10:11] op_sel:[0,0,1] op_sel_hi:[1,0,0]
	v_mov_b32_e32 v4, v35
	v_mov_b32_e32 v15, v5
	s_waitcnt lgkmcnt(1)
	v_pk_mul_f32 v[4:5], v[6:7], v[4:5] op_sel_hi:[1,0]
	v_pk_fma_f32 v[10:11], v[6:7], v[34:35], v[4:5] op_sel:[0,0,1] op_sel_hi:[1,1,0] neg_lo:[0,0,1] neg_hi:[0,0,1]
	v_pk_fma_f32 v[4:5], v[6:7], v[34:35], v[4:5] op_sel:[0,0,1] op_sel_hi:[1,0,0]
	s_waitcnt vmcnt(1)
	v_mov_b32_e32 v4, v43
	v_mov_b32_e32 v11, v5
	v_pk_mul_f32 v[4:5], v[8:9], v[4:5] op_sel_hi:[1,0]
	s_waitcnt vmcnt(0)
	v_pk_fma_f32 v[6:7], v[8:9], v[42:43], v[4:5] op_sel:[0,0,1] op_sel_hi:[1,1,0] neg_lo:[0,0,1] neg_hi:[0,0,1]
	v_pk_fma_f32 v[4:5], v[8:9], v[42:43], v[4:5] op_sel:[0,0,1] op_sel_hi:[1,0,0]
	v_pk_add_f32 v[2:3], v[2:3], v[14:15]
	v_mov_b32_e32 v4, v41
	v_pk_add_f32 v[2:3], v[2:3], v[10:11]
	v_mov_b32_e32 v7, v5
	s_waitcnt lgkmcnt(0)
	v_pk_mul_f32 v[4:5], v[12:13], v[4:5] op_sel_hi:[1,0]
	v_pk_add_f32 v[2:3], v[2:3], v[6:7]
	v_pk_fma_f32 v[6:7], v[12:13], v[40:41], v[4:5] op_sel:[0,0,1] op_sel_hi:[1,1,0] neg_lo:[0,0,1] neg_hi:[0,0,1]
	v_pk_fma_f32 v[4:5], v[12:13], v[40:41], v[4:5] op_sel:[0,0,1] op_sel_hi:[1,0,0]
	v_mov_b32_e32 v7, v5
	v_pk_add_f32 v[2:3], v[2:3], v[6:7]
	v_pk_add_f32 v[2:3], v[30:31], v[2:3] neg_lo:[0,1] neg_hi:[0,1]
	buffer_store_dword v3, off, s[0:3], 0 offset:340
	buffer_store_dword v2, off, s[0:3], 0 offset:336
	s_and_saveexec_b64 s[4:5], vcc
	s_cbranch_execz .LBB123_291
; %bb.290:
	buffer_load_dword v2, off, s[0:3], 0 offset:328
	buffer_load_dword v3, off, s[0:3], 0 offset:332
	s_waitcnt vmcnt(0)
	ds_write_b64 v195, v[2:3]
	buffer_store_dword v1, off, s[0:3], 0 offset:328
	buffer_store_dword v1, off, s[0:3], 0 offset:332
.LBB123_291:
	s_or_b64 exec, exec, s[4:5]
	s_waitcnt lgkmcnt(0)
	; wave barrier
	s_waitcnt lgkmcnt(0)
	buffer_load_dword v44, off, s[0:3], 0 offset:340
	buffer_load_dword v46, off, s[0:3], 0 offset:348
	;; [unrolled: 1-line block ×22, first 2 shown]
	ds_read_b128 v[2:5], v1 offset:816
	ds_read_b128 v[6:9], v1 offset:832
	buffer_load_dword v29, off, s[0:3], 0 offset:420
	buffer_load_dword v28, off, s[0:3], 0 offset:416
	;; [unrolled: 1-line block ×10, first 2 shown]
	ds_read_b128 v[10:13], v1 offset:848
	ds_read_b128 v[14:17], v1 offset:864
	;; [unrolled: 1-line block ×4, first 2 shown]
	buffer_load_dword v39, off, s[0:3], 0 offset:476
	buffer_load_dword v38, off, s[0:3], 0 offset:472
	;; [unrolled: 1-line block ×6, first 2 shown]
	v_cmp_lt_u32_e32 vcc, 40, v0
	s_waitcnt vmcnt(37) lgkmcnt(5)
	v_mul_f32_e32 v66, v2, v44
	s_waitcnt vmcnt(36)
	v_mul_f32_e32 v67, v4, v46
	s_waitcnt vmcnt(35) lgkmcnt(4)
	v_mul_f32_e32 v68, v6, v48
	v_mul_f32_e32 v44, v3, v44
	;; [unrolled: 1-line block ×4, first 2 shown]
	s_waitcnt vmcnt(34)
	v_mul_f32_e32 v69, v8, v49
	s_waitcnt vmcnt(33) lgkmcnt(3)
	v_mul_f32_e32 v70, v10, v50
	s_waitcnt vmcnt(32)
	v_mul_f32_e32 v71, v12, v51
	s_waitcnt vmcnt(31) lgkmcnt(2)
	v_mul_f32_e32 v72, v14, v52
	s_waitcnt vmcnt(27)
	v_fmac_f32_e32 v66, v3, v56
	s_waitcnt vmcnt(26)
	v_fmac_f32_e32 v67, v5, v57
	;; [unrolled: 2-line block ×3, first 2 shown]
	v_fma_f32 v2, v2, v56, -v44
	v_add_f32_e32 v7, 0, v66
	v_fma_f32 v3, v4, v57, -v46
	v_add_f32_e32 v2, 0, v2
	v_add_f32_e32 v7, v7, v67
	s_waitcnt vmcnt(24)
	v_fmac_f32_e32 v69, v9, v59
	v_add_f32_e32 v2, v2, v3
	v_add_f32_e32 v3, v7, v68
	s_waitcnt vmcnt(23)
	v_fmac_f32_e32 v70, v11, v60
	v_add_f32_e32 v3, v3, v69
	v_mul_f32_e32 v49, v9, v49
	s_waitcnt vmcnt(22)
	v_fmac_f32_e32 v71, v13, v61
	v_fma_f32 v4, v6, v58, -v48
	v_add_f32_e32 v3, v3, v70
	v_mul_f32_e32 v73, v16, v53
	v_mul_f32_e32 v50, v11, v50
	s_waitcnt vmcnt(21)
	v_fmac_f32_e32 v72, v15, v62
	v_fma_f32 v5, v8, v59, -v49
	v_add_f32_e32 v2, v2, v4
	v_add_f32_e32 v3, v3, v71
	v_mul_f32_e32 v51, v13, v51
	s_waitcnt vmcnt(20)
	v_fmac_f32_e32 v73, v17, v63
	v_fma_f32 v6, v10, v60, -v50
	v_add_f32_e32 v2, v2, v5
	v_add_f32_e32 v3, v3, v72
	;; [unrolled: 1-line block ×4, first 2 shown]
	v_fma_f32 v3, v12, v61, -v51
	v_add_f32_e32 v2, v2, v3
	v_mul_f32_e32 v3, v15, v52
	v_fma_f32 v3, v14, v62, -v3
	v_add_f32_e32 v2, v2, v3
	v_mul_f32_e32 v3, v17, v53
	v_fma_f32 v3, v16, v63, -v3
	s_waitcnt vmcnt(15)
	v_mov_b32_e32 v16, v29
	s_waitcnt lgkmcnt(1)
	v_mul_f32_e32 v45, v18, v54
	v_add_f32_e32 v48, v2, v3
	v_mul_f32_e32 v2, v19, v54
	s_waitcnt lgkmcnt(0)
	v_pk_mul_f32 v[16:17], v[22:23], v[16:17] op_sel_hi:[1,0]
	v_mul_f32_e32 v47, v20, v55
	v_fmac_f32_e32 v45, v19, v64
	v_fma_f32 v44, v18, v64, -v2
	v_mul_f32_e32 v2, v21, v55
	s_waitcnt vmcnt(14)
	v_pk_fma_f32 v[18:19], v[22:23], v[28:29], v[16:17] op_sel:[0,0,1] op_sel_hi:[1,1,0] neg_lo:[0,0,1] neg_hi:[0,0,1]
	v_pk_fma_f32 v[16:17], v[22:23], v[28:29], v[16:17] op_sel:[0,0,1] op_sel_hi:[1,0,0]
	v_fmac_f32_e32 v47, v21, v65
	v_fma_f32 v46, v20, v65, -v2
	v_pk_add_f32 v[14:15], v[48:49], v[44:45]
	s_waitcnt vmcnt(13)
	v_mov_b32_e32 v16, v31
	ds_read_b128 v[2:5], v1 offset:912
	ds_read_b128 v[6:9], v1 offset:928
	;; [unrolled: 1-line block ×3, first 2 shown]
	v_pk_add_f32 v[14:15], v[14:15], v[46:47]
	v_mov_b32_e32 v19, v17
	v_pk_mul_f32 v[16:17], v[24:25], v[16:17] op_sel_hi:[1,0]
	v_pk_add_f32 v[14:15], v[14:15], v[18:19]
	s_waitcnt vmcnt(6)
	v_pk_fma_f32 v[18:19], v[24:25], v[30:31], v[16:17] op_sel:[0,0,1] op_sel_hi:[1,1,0] neg_lo:[0,0,1] neg_hi:[0,0,1]
	v_pk_fma_f32 v[16:17], v[24:25], v[30:31], v[16:17] op_sel:[0,0,1] op_sel_hi:[1,0,0]
	v_mov_b32_e32 v16, v37
	v_mov_b32_e32 v19, v17
	s_waitcnt lgkmcnt(2)
	v_pk_mul_f32 v[16:17], v[2:3], v[16:17] op_sel_hi:[1,0]
	v_pk_add_f32 v[14:15], v[14:15], v[18:19]
	v_pk_fma_f32 v[18:19], v[2:3], v[36:37], v[16:17] op_sel:[0,0,1] op_sel_hi:[1,1,0] neg_lo:[0,0,1] neg_hi:[0,0,1]
	v_pk_fma_f32 v[2:3], v[2:3], v[36:37], v[16:17] op_sel:[0,0,1] op_sel_hi:[1,0,0]
	v_mov_b32_e32 v19, v3
	v_pk_add_f32 v[2:3], v[14:15], v[18:19]
	v_mov_b32_e32 v14, v35
	v_pk_mul_f32 v[14:15], v[4:5], v[14:15] op_sel_hi:[1,0]
	v_pk_fma_f32 v[16:17], v[4:5], v[34:35], v[14:15] op_sel:[0,0,1] op_sel_hi:[1,1,0] neg_lo:[0,0,1] neg_hi:[0,0,1]
	v_pk_fma_f32 v[4:5], v[4:5], v[34:35], v[14:15] op_sel:[0,0,1] op_sel_hi:[1,0,0]
	v_mov_b32_e32 v4, v33
	v_mov_b32_e32 v17, v5
	s_waitcnt lgkmcnt(1)
	v_pk_mul_f32 v[4:5], v[6:7], v[4:5] op_sel_hi:[1,0]
	v_pk_fma_f32 v[14:15], v[6:7], v[32:33], v[4:5] op_sel:[0,0,1] op_sel_hi:[1,1,0] neg_lo:[0,0,1] neg_hi:[0,0,1]
	v_pk_fma_f32 v[4:5], v[6:7], v[32:33], v[4:5] op_sel:[0,0,1] op_sel_hi:[1,0,0]
	s_waitcnt vmcnt(1)
	v_mov_b32_e32 v4, v43
	v_mov_b32_e32 v15, v5
	v_pk_mul_f32 v[4:5], v[8:9], v[4:5] op_sel_hi:[1,0]
	s_waitcnt vmcnt(0)
	v_pk_fma_f32 v[6:7], v[8:9], v[42:43], v[4:5] op_sel:[0,0,1] op_sel_hi:[1,1,0] neg_lo:[0,0,1] neg_hi:[0,0,1]
	v_pk_fma_f32 v[4:5], v[8:9], v[42:43], v[4:5] op_sel:[0,0,1] op_sel_hi:[1,0,0]
	v_pk_add_f32 v[2:3], v[2:3], v[16:17]
	v_mov_b32_e32 v4, v41
	v_pk_add_f32 v[2:3], v[2:3], v[14:15]
	v_mov_b32_e32 v7, v5
	s_waitcnt lgkmcnt(0)
	v_pk_mul_f32 v[4:5], v[10:11], v[4:5] op_sel_hi:[1,0]
	v_pk_add_f32 v[2:3], v[2:3], v[6:7]
	v_pk_fma_f32 v[6:7], v[10:11], v[40:41], v[4:5] op_sel:[0,0,1] op_sel_hi:[1,1,0] neg_lo:[0,0,1] neg_hi:[0,0,1]
	v_pk_fma_f32 v[4:5], v[10:11], v[40:41], v[4:5] op_sel:[0,0,1] op_sel_hi:[1,0,0]
	v_mov_b32_e32 v4, v39
	v_mov_b32_e32 v7, v5
	v_pk_mul_f32 v[4:5], v[12:13], v[4:5] op_sel_hi:[1,0]
	v_pk_add_f32 v[2:3], v[2:3], v[6:7]
	v_pk_fma_f32 v[6:7], v[12:13], v[38:39], v[4:5] op_sel:[0,0,1] op_sel_hi:[1,1,0] neg_lo:[0,0,1] neg_hi:[0,0,1]
	v_pk_fma_f32 v[4:5], v[12:13], v[38:39], v[4:5] op_sel:[0,0,1] op_sel_hi:[1,0,0]
	v_mov_b32_e32 v7, v5
	v_pk_add_f32 v[2:3], v[2:3], v[6:7]
	v_pk_add_f32 v[2:3], v[26:27], v[2:3] neg_lo:[0,1] neg_hi:[0,1]
	buffer_store_dword v3, off, s[0:3], 0 offset:332
	buffer_store_dword v2, off, s[0:3], 0 offset:328
	s_and_saveexec_b64 s[4:5], vcc
	s_cbranch_execz .LBB123_293
; %bb.292:
	buffer_load_dword v2, off, s[0:3], 0 offset:320
	buffer_load_dword v3, off, s[0:3], 0 offset:324
	v_mov_b32_e32 v1, 0
	buffer_store_dword v1, off, s[0:3], 0 offset:320
	buffer_store_dword v1, off, s[0:3], 0 offset:324
	s_waitcnt vmcnt(2)
	ds_write_b64 v195, v[2:3]
.LBB123_293:
	s_or_b64 exec, exec, s[4:5]
	s_waitcnt lgkmcnt(0)
	; wave barrier
	s_waitcnt lgkmcnt(0)
	buffer_load_dword v44, off, s[0:3], 0 offset:332
	buffer_load_dword v46, off, s[0:3], 0 offset:340
	;; [unrolled: 1-line block ×40, first 2 shown]
	v_mov_b32_e32 v1, 0
	ds_read2_b64 v[2:5], v1 offset0:101 offset1:102
	ds_read2_b64 v[6:9], v1 offset0:103 offset1:104
	;; [unrolled: 1-line block ×6, first 2 shown]
	v_cmp_lt_u32_e32 vcc, 39, v0
	s_waitcnt vmcnt(39) lgkmcnt(5)
	v_mul_f32_e32 v68, v2, v44
	s_waitcnt vmcnt(38)
	v_mul_f32_e32 v69, v4, v46
	s_waitcnt vmcnt(37) lgkmcnt(4)
	v_mul_f32_e32 v70, v6, v48
	v_mul_f32_e32 v44, v3, v44
	;; [unrolled: 1-line block ×4, first 2 shown]
	s_waitcnt vmcnt(36)
	v_mul_f32_e32 v71, v8, v49
	s_waitcnt vmcnt(35) lgkmcnt(3)
	v_mul_f32_e32 v72, v10, v50
	s_waitcnt vmcnt(34)
	v_mul_f32_e32 v73, v12, v51
	s_waitcnt vmcnt(33) lgkmcnt(2)
	v_mul_f32_e32 v74, v14, v52
	s_waitcnt vmcnt(32)
	v_mul_f32_e32 v75, v16, v53
	s_waitcnt vmcnt(28)
	v_fmac_f32_e32 v68, v3, v57
	s_waitcnt vmcnt(27)
	v_fmac_f32_e32 v69, v5, v58
	v_fma_f32 v2, v2, v57, -v44
	v_fma_f32 v3, v4, v58, -v46
	s_waitcnt vmcnt(26)
	v_fma_f32 v4, v6, v59, -v48
	v_add_f32_e32 v6, 0, v68
	v_fmac_f32_e32 v70, v7, v59
	v_add_f32_e32 v2, 0, v2
	v_add_f32_e32 v6, v6, v69
	s_waitcnt vmcnt(25)
	v_fmac_f32_e32 v71, v9, v60
	v_add_f32_e32 v2, v2, v3
	v_add_f32_e32 v3, v6, v70
	s_waitcnt vmcnt(24)
	v_fmac_f32_e32 v72, v11, v61
	v_add_f32_e32 v3, v3, v71
	s_waitcnt vmcnt(23)
	v_fmac_f32_e32 v73, v13, v62
	;; [unrolled: 3-line block ×3, first 2 shown]
	v_add_f32_e32 v3, v3, v73
	s_waitcnt lgkmcnt(1)
	v_mul_f32_e32 v76, v18, v54
	s_waitcnt vmcnt(21)
	v_fmac_f32_e32 v75, v17, v64
	v_add_f32_e32 v3, v3, v74
	v_mul_f32_e32 v49, v9, v49
	s_waitcnt vmcnt(20)
	v_fmac_f32_e32 v76, v19, v65
	v_add_f32_e32 v3, v3, v75
	v_fma_f32 v5, v8, v60, -v49
	v_add_f32_e32 v2, v2, v4
	v_add_f32_e32 v49, v3, v76
	v_mul_f32_e32 v3, v11, v50
	v_add_f32_e32 v2, v2, v5
	v_fma_f32 v3, v10, v61, -v3
	v_add_f32_e32 v2, v2, v3
	v_mul_f32_e32 v3, v13, v51
	v_fma_f32 v3, v12, v62, -v3
	v_add_f32_e32 v2, v2, v3
	v_mul_f32_e32 v3, v15, v52
	;; [unrolled: 3-line block ×5, first 2 shown]
	s_waitcnt vmcnt(9)
	v_mov_b32_e32 v18, v35
	v_mul_f32_e32 v45, v20, v55
	v_fma_f32 v44, v20, v66, -v2
	s_waitcnt lgkmcnt(0)
	v_mul_f32_e32 v2, v23, v56
	v_pk_mul_f32 v[18:19], v[24:25], v[18:19] op_sel_hi:[1,0]
	v_mul_f32_e32 v47, v22, v56
	v_fmac_f32_e32 v45, v21, v66
	v_fma_f32 v46, v22, v67, -v2
	ds_read2_b64 v[2:5], v1 offset0:113 offset1:114
	ds_read2_b64 v[6:9], v1 offset0:115 offset1:116
	;; [unrolled: 1-line block ×3, first 2 shown]
	ds_read_b64 v[14:15], v1 offset:952
	s_waitcnt vmcnt(8)
	v_pk_fma_f32 v[20:21], v[24:25], v[34:35], v[18:19] op_sel:[0,0,1] op_sel_hi:[1,1,0] neg_lo:[0,0,1] neg_hi:[0,0,1]
	v_pk_fma_f32 v[18:19], v[24:25], v[34:35], v[18:19] op_sel:[0,0,1] op_sel_hi:[1,0,0]
	v_fmac_f32_e32 v47, v23, v67
	v_pk_add_f32 v[16:17], v[48:49], v[44:45]
	v_mov_b32_e32 v18, v33
	v_pk_add_f32 v[16:17], v[16:17], v[46:47]
	v_mov_b32_e32 v21, v19
	s_waitcnt lgkmcnt(3)
	v_pk_mul_f32 v[18:19], v[2:3], v[18:19] op_sel_hi:[1,0]
	v_pk_add_f32 v[16:17], v[16:17], v[20:21]
	v_pk_fma_f32 v[20:21], v[2:3], v[32:33], v[18:19] op_sel:[0,0,1] op_sel_hi:[1,1,0] neg_lo:[0,0,1] neg_hi:[0,0,1]
	v_pk_fma_f32 v[2:3], v[2:3], v[32:33], v[18:19] op_sel:[0,0,1] op_sel_hi:[1,0,0]
	v_mov_b32_e32 v21, v3
	v_pk_add_f32 v[2:3], v[16:17], v[20:21]
	v_mov_b32_e32 v16, v31
	v_pk_mul_f32 v[16:17], v[4:5], v[16:17] op_sel_hi:[1,0]
	v_pk_fma_f32 v[18:19], v[4:5], v[30:31], v[16:17] op_sel:[0,0,1] op_sel_hi:[1,1,0] neg_lo:[0,0,1] neg_hi:[0,0,1]
	v_pk_fma_f32 v[4:5], v[4:5], v[30:31], v[16:17] op_sel:[0,0,1] op_sel_hi:[1,0,0]
	v_mov_b32_e32 v4, v29
	v_mov_b32_e32 v19, v5
	s_waitcnt lgkmcnt(2)
	v_pk_mul_f32 v[4:5], v[6:7], v[4:5] op_sel_hi:[1,0]
	v_pk_fma_f32 v[16:17], v[6:7], v[28:29], v[4:5] op_sel:[0,0,1] op_sel_hi:[1,1,0] neg_lo:[0,0,1] neg_hi:[0,0,1]
	v_pk_fma_f32 v[4:5], v[6:7], v[28:29], v[4:5] op_sel:[0,0,1] op_sel_hi:[1,0,0]
	s_waitcnt vmcnt(1)
	v_mov_b32_e32 v4, v43
	v_mov_b32_e32 v17, v5
	v_pk_mul_f32 v[4:5], v[8:9], v[4:5] op_sel_hi:[1,0]
	s_waitcnt vmcnt(0)
	v_pk_fma_f32 v[6:7], v[8:9], v[42:43], v[4:5] op_sel:[0,0,1] op_sel_hi:[1,1,0] neg_lo:[0,0,1] neg_hi:[0,0,1]
	v_pk_fma_f32 v[4:5], v[8:9], v[42:43], v[4:5] op_sel:[0,0,1] op_sel_hi:[1,0,0]
	v_pk_add_f32 v[2:3], v[2:3], v[18:19]
	v_mov_b32_e32 v4, v41
	v_pk_add_f32 v[2:3], v[2:3], v[16:17]
	v_mov_b32_e32 v7, v5
	s_waitcnt lgkmcnt(1)
	v_pk_mul_f32 v[4:5], v[10:11], v[4:5] op_sel_hi:[1,0]
	v_pk_add_f32 v[2:3], v[2:3], v[6:7]
	v_pk_fma_f32 v[6:7], v[10:11], v[40:41], v[4:5] op_sel:[0,0,1] op_sel_hi:[1,1,0] neg_lo:[0,0,1] neg_hi:[0,0,1]
	v_pk_fma_f32 v[4:5], v[10:11], v[40:41], v[4:5] op_sel:[0,0,1] op_sel_hi:[1,0,0]
	v_mov_b32_e32 v4, v39
	v_mov_b32_e32 v7, v5
	v_pk_mul_f32 v[4:5], v[12:13], v[4:5] op_sel_hi:[1,0]
	v_pk_add_f32 v[2:3], v[2:3], v[6:7]
	v_pk_fma_f32 v[6:7], v[12:13], v[38:39], v[4:5] op_sel:[0,0,1] op_sel_hi:[1,1,0] neg_lo:[0,0,1] neg_hi:[0,0,1]
	v_pk_fma_f32 v[4:5], v[12:13], v[38:39], v[4:5] op_sel:[0,0,1] op_sel_hi:[1,0,0]
	v_mov_b32_e32 v4, v37
	v_mov_b32_e32 v7, v5
	s_waitcnt lgkmcnt(0)
	v_pk_mul_f32 v[4:5], v[14:15], v[4:5] op_sel_hi:[1,0]
	v_pk_add_f32 v[2:3], v[2:3], v[6:7]
	v_pk_fma_f32 v[6:7], v[14:15], v[36:37], v[4:5] op_sel:[0,0,1] op_sel_hi:[1,1,0] neg_lo:[0,0,1] neg_hi:[0,0,1]
	v_pk_fma_f32 v[4:5], v[14:15], v[36:37], v[4:5] op_sel:[0,0,1] op_sel_hi:[1,0,0]
	v_mov_b32_e32 v7, v5
	v_pk_add_f32 v[2:3], v[2:3], v[6:7]
	v_pk_add_f32 v[2:3], v[26:27], v[2:3] neg_lo:[0,1] neg_hi:[0,1]
	buffer_store_dword v3, off, s[0:3], 0 offset:324
	buffer_store_dword v2, off, s[0:3], 0 offset:320
	s_and_saveexec_b64 s[4:5], vcc
	s_cbranch_execz .LBB123_295
; %bb.294:
	buffer_load_dword v2, off, s[0:3], 0 offset:312
	buffer_load_dword v3, off, s[0:3], 0 offset:316
	s_waitcnt vmcnt(0)
	ds_write_b64 v195, v[2:3]
	buffer_store_dword v1, off, s[0:3], 0 offset:312
	buffer_store_dword v1, off, s[0:3], 0 offset:316
.LBB123_295:
	s_or_b64 exec, exec, s[4:5]
	s_waitcnt lgkmcnt(0)
	; wave barrier
	s_waitcnt lgkmcnt(0)
	buffer_load_dword v44, off, s[0:3], 0 offset:324
	buffer_load_dword v46, off, s[0:3], 0 offset:332
	;; [unrolled: 1-line block ×26, first 2 shown]
	ds_read_b128 v[2:5], v1 offset:800
	ds_read_b128 v[6:9], v1 offset:816
	;; [unrolled: 1-line block ×6, first 2 shown]
	buffer_load_dword v29, off, s[0:3], 0 offset:436
	buffer_load_dword v28, off, s[0:3], 0 offset:432
	;; [unrolled: 1-line block ×16, first 2 shown]
	v_cmp_lt_u32_e32 vcc, 38, v0
	s_waitcnt vmcnt(41) lgkmcnt(5)
	v_mul_f32_e32 v70, v2, v44
	s_waitcnt vmcnt(40)
	v_mul_f32_e32 v71, v4, v46
	v_mul_f32_e32 v44, v3, v44
	s_waitcnt vmcnt(39) lgkmcnt(4)
	v_mul_f32_e32 v72, v6, v48
	v_mul_f32_e32 v46, v5, v46
	s_waitcnt vmcnt(38)
	v_mul_f32_e32 v73, v8, v50
	s_waitcnt vmcnt(37) lgkmcnt(3)
	v_mul_f32_e32 v74, v10, v51
	s_waitcnt vmcnt(36)
	v_mul_f32_e32 v75, v12, v52
	s_waitcnt vmcnt(35) lgkmcnt(2)
	;; [unrolled: 4-line block ×3, first 2 shown]
	v_mul_f32_e32 v78, v18, v55
	s_waitcnt vmcnt(32)
	v_mul_f32_e32 v79, v20, v56
	s_waitcnt vmcnt(29)
	v_fmac_f32_e32 v70, v3, v49
	s_waitcnt vmcnt(28)
	v_fmac_f32_e32 v71, v5, v59
	v_fma_f32 v2, v2, v49, -v44
	v_add_f32_e32 v5, 0, v70
	s_waitcnt vmcnt(27)
	v_fmac_f32_e32 v72, v7, v60
	v_fma_f32 v3, v4, v59, -v46
	v_add_f32_e32 v2, 0, v2
	v_add_f32_e32 v5, v5, v71
	s_waitcnt vmcnt(26)
	v_fmac_f32_e32 v73, v9, v61
	v_add_f32_e32 v2, v2, v3
	v_add_f32_e32 v3, v5, v72
	s_waitcnt vmcnt(25)
	v_fmac_f32_e32 v74, v11, v62
	v_add_f32_e32 v3, v3, v73
	s_waitcnt vmcnt(24)
	v_fmac_f32_e32 v75, v13, v63
	;; [unrolled: 3-line block ×5, first 2 shown]
	v_add_f32_e32 v3, v3, v77
	v_mul_f32_e32 v48, v7, v48
	s_waitcnt vmcnt(20)
	v_fmac_f32_e32 v79, v21, v67
	v_add_f32_e32 v3, v3, v78
	v_fma_f32 v4, v6, v60, -v48
	v_add_f32_e32 v49, v3, v79
	v_mul_f32_e32 v3, v9, v50
	v_add_f32_e32 v2, v2, v4
	v_fma_f32 v3, v8, v61, -v3
	v_add_f32_e32 v2, v2, v3
	v_mul_f32_e32 v3, v11, v51
	v_fma_f32 v3, v10, v62, -v3
	v_add_f32_e32 v2, v2, v3
	v_mul_f32_e32 v3, v13, v52
	;; [unrolled: 3-line block ×6, first 2 shown]
	v_fma_f32 v3, v20, v67, -v3
	v_add_f32_e32 v48, v2, v3
	s_waitcnt lgkmcnt(0)
	v_mul_f32_e32 v2, v23, v57
	s_waitcnt vmcnt(19)
	v_fma_f32 v44, v22, v68, -v2
	v_mul_f32_e32 v2, v25, v58
	s_waitcnt vmcnt(18)
	v_fma_f32 v46, v24, v69, -v2
	ds_read_b128 v[2:5], v1 offset:896
	ds_read_b128 v[6:9], v1 offset:912
	;; [unrolled: 1-line block ×4, first 2 shown]
	v_mul_f32_e32 v45, v22, v57
	s_waitcnt vmcnt(11)
	v_mov_b32_e32 v20, v33
	v_mul_f32_e32 v47, v24, v58
	v_fmac_f32_e32 v45, v23, v68
	s_waitcnt lgkmcnt(3)
	v_pk_mul_f32 v[20:21], v[2:3], v[20:21] op_sel_hi:[1,0]
	v_fmac_f32_e32 v47, v25, v69
	v_pk_add_f32 v[18:19], v[48:49], v[44:45]
	s_waitcnt vmcnt(10)
	v_pk_fma_f32 v[22:23], v[2:3], v[32:33], v[20:21] op_sel:[0,0,1] op_sel_hi:[1,1,0] neg_lo:[0,0,1] neg_hi:[0,0,1]
	v_pk_fma_f32 v[2:3], v[2:3], v[32:33], v[20:21] op_sel:[0,0,1] op_sel_hi:[1,0,0]
	v_pk_add_f32 v[18:19], v[18:19], v[46:47]
	v_mov_b32_e32 v23, v3
	v_pk_add_f32 v[2:3], v[18:19], v[22:23]
	v_mov_b32_e32 v18, v31
	v_pk_mul_f32 v[18:19], v[4:5], v[18:19] op_sel_hi:[1,0]
	v_pk_fma_f32 v[20:21], v[4:5], v[30:31], v[18:19] op_sel:[0,0,1] op_sel_hi:[1,1,0] neg_lo:[0,0,1] neg_hi:[0,0,1]
	v_pk_fma_f32 v[4:5], v[4:5], v[30:31], v[18:19] op_sel:[0,0,1] op_sel_hi:[1,0,0]
	v_mov_b32_e32 v4, v29
	v_mov_b32_e32 v21, v5
	s_waitcnt lgkmcnt(2)
	v_pk_mul_f32 v[4:5], v[6:7], v[4:5] op_sel_hi:[1,0]
	v_pk_fma_f32 v[18:19], v[6:7], v[28:29], v[4:5] op_sel:[0,0,1] op_sel_hi:[1,1,0] neg_lo:[0,0,1] neg_hi:[0,0,1]
	v_pk_fma_f32 v[4:5], v[6:7], v[28:29], v[4:5] op_sel:[0,0,1] op_sel_hi:[1,0,0]
	s_waitcnt vmcnt(3)
	v_mov_b32_e32 v4, v41
	v_mov_b32_e32 v19, v5
	v_pk_mul_f32 v[4:5], v[8:9], v[4:5] op_sel_hi:[1,0]
	s_waitcnt vmcnt(2)
	v_pk_fma_f32 v[6:7], v[8:9], v[40:41], v[4:5] op_sel:[0,0,1] op_sel_hi:[1,1,0] neg_lo:[0,0,1] neg_hi:[0,0,1]
	v_pk_fma_f32 v[4:5], v[8:9], v[40:41], v[4:5] op_sel:[0,0,1] op_sel_hi:[1,0,0]
	v_pk_add_f32 v[2:3], v[2:3], v[20:21]
	v_mov_b32_e32 v4, v39
	v_pk_add_f32 v[2:3], v[2:3], v[18:19]
	v_mov_b32_e32 v7, v5
	s_waitcnt lgkmcnt(1)
	v_pk_mul_f32 v[4:5], v[10:11], v[4:5] op_sel_hi:[1,0]
	v_pk_add_f32 v[2:3], v[2:3], v[6:7]
	v_pk_fma_f32 v[6:7], v[10:11], v[38:39], v[4:5] op_sel:[0,0,1] op_sel_hi:[1,1,0] neg_lo:[0,0,1] neg_hi:[0,0,1]
	v_pk_fma_f32 v[4:5], v[10:11], v[38:39], v[4:5] op_sel:[0,0,1] op_sel_hi:[1,0,0]
	v_mov_b32_e32 v4, v37
	v_mov_b32_e32 v7, v5
	v_pk_mul_f32 v[4:5], v[12:13], v[4:5] op_sel_hi:[1,0]
	v_pk_add_f32 v[2:3], v[2:3], v[6:7]
	v_pk_fma_f32 v[6:7], v[12:13], v[36:37], v[4:5] op_sel:[0,0,1] op_sel_hi:[1,1,0] neg_lo:[0,0,1] neg_hi:[0,0,1]
	v_pk_fma_f32 v[4:5], v[12:13], v[36:37], v[4:5] op_sel:[0,0,1] op_sel_hi:[1,0,0]
	v_mov_b32_e32 v4, v35
	v_mov_b32_e32 v7, v5
	s_waitcnt lgkmcnt(0)
	v_pk_mul_f32 v[4:5], v[14:15], v[4:5] op_sel_hi:[1,0]
	v_pk_add_f32 v[2:3], v[2:3], v[6:7]
	v_pk_fma_f32 v[6:7], v[14:15], v[34:35], v[4:5] op_sel:[0,0,1] op_sel_hi:[1,1,0] neg_lo:[0,0,1] neg_hi:[0,0,1]
	v_pk_fma_f32 v[4:5], v[14:15], v[34:35], v[4:5] op_sel:[0,0,1] op_sel_hi:[1,0,0]
	s_waitcnt vmcnt(1)
	v_mov_b32_e32 v4, v43
	v_mov_b32_e32 v7, v5
	v_pk_mul_f32 v[4:5], v[16:17], v[4:5] op_sel_hi:[1,0]
	v_pk_add_f32 v[2:3], v[2:3], v[6:7]
	s_waitcnt vmcnt(0)
	v_pk_fma_f32 v[6:7], v[16:17], v[42:43], v[4:5] op_sel:[0,0,1] op_sel_hi:[1,1,0] neg_lo:[0,0,1] neg_hi:[0,0,1]
	v_pk_fma_f32 v[4:5], v[16:17], v[42:43], v[4:5] op_sel:[0,0,1] op_sel_hi:[1,0,0]
	v_mov_b32_e32 v7, v5
	v_pk_add_f32 v[2:3], v[2:3], v[6:7]
	v_pk_add_f32 v[2:3], v[26:27], v[2:3] neg_lo:[0,1] neg_hi:[0,1]
	buffer_store_dword v3, off, s[0:3], 0 offset:316
	buffer_store_dword v2, off, s[0:3], 0 offset:312
	s_and_saveexec_b64 s[4:5], vcc
	s_cbranch_execz .LBB123_297
; %bb.296:
	buffer_load_dword v2, off, s[0:3], 0 offset:304
	buffer_load_dword v3, off, s[0:3], 0 offset:308
	v_mov_b32_e32 v1, 0
	buffer_store_dword v1, off, s[0:3], 0 offset:304
	buffer_store_dword v1, off, s[0:3], 0 offset:308
	s_waitcnt vmcnt(2)
	ds_write_b64 v195, v[2:3]
.LBB123_297:
	s_or_b64 exec, exec, s[4:5]
	s_waitcnt lgkmcnt(0)
	; wave barrier
	s_waitcnt lgkmcnt(0)
	buffer_load_dword v52, off, s[0:3], 0 offset:316
	buffer_load_dword v54, off, s[0:3], 0 offset:324
	;; [unrolled: 1-line block ×44, first 2 shown]
	v_mov_b32_e32 v1, 0
	ds_read2_b64 v[2:5], v1 offset0:99 offset1:100
	ds_read2_b64 v[6:9], v1 offset0:101 offset1:102
	;; [unrolled: 1-line block ×8, first 2 shown]
	v_cmp_lt_u32_e32 vcc, 37, v0
	s_waitcnt vmcnt(43) lgkmcnt(7)
	v_mul_f32_e32 v57, v2, v52
	s_waitcnt vmcnt(42)
	v_mul_f32_e32 v81, v4, v54
	s_waitcnt vmcnt(41) lgkmcnt(6)
	v_mul_f32_e32 v82, v6, v56
	v_mul_f32_e32 v52, v3, v52
	s_waitcnt vmcnt(40)
	v_mul_f32_e32 v83, v8, v58
	s_waitcnt vmcnt(39) lgkmcnt(5)
	v_mul_f32_e32 v84, v10, v59
	s_waitcnt vmcnt(38)
	v_mul_f32_e32 v85, v12, v60
	s_waitcnt vmcnt(37) lgkmcnt(4)
	v_mul_f32_e32 v86, v14, v61
	s_waitcnt vmcnt(36)
	v_mul_f32_e32 v87, v16, v62
	s_waitcnt vmcnt(35) lgkmcnt(3)
	v_mul_f32_e32 v88, v18, v63
	s_waitcnt vmcnt(34)
	v_mul_f32_e32 v89, v20, v64
	s_waitcnt vmcnt(33) lgkmcnt(2)
	v_mul_f32_e32 v90, v22, v65
	s_waitcnt vmcnt(32)
	v_mul_f32_e32 v53, v24, v66
	s_waitcnt vmcnt(30)
	v_fmac_f32_e32 v57, v3, v68
	s_waitcnt vmcnt(29)
	v_fmac_f32_e32 v81, v5, v69
	v_add_f32_e32 v3, 0, v57
	s_waitcnt vmcnt(28)
	v_fmac_f32_e32 v82, v7, v70
	v_add_f32_e32 v3, v3, v81
	;; [unrolled: 3-line block ×10, first 2 shown]
	v_add_f32_e32 v57, v3, v90
	v_fma_f32 v2, v2, v68, -v52
	v_mul_f32_e32 v3, v5, v54
	v_add_f32_e32 v2, 0, v2
	v_fma_f32 v3, v4, v69, -v3
	v_add_f32_e32 v2, v2, v3
	v_mul_f32_e32 v3, v7, v56
	v_fma_f32 v3, v6, v70, -v3
	v_add_f32_e32 v2, v2, v3
	v_mul_f32_e32 v3, v9, v58
	;; [unrolled: 3-line block ×9, first 2 shown]
	v_fma_f32 v3, v22, v78, -v3
	s_waitcnt vmcnt(13)
	v_mov_b32_e32 v14, v39
	v_add_f32_e32 v56, v2, v3
	v_mul_f32_e32 v2, v25, v66
	s_waitcnt lgkmcnt(1)
	v_pk_mul_f32 v[14:15], v[28:29], v[14:15] op_sel_hi:[1,0]
	v_mul_f32_e32 v55, v26, v67
	v_fmac_f32_e32 v53, v25, v79
	v_fma_f32 v52, v24, v79, -v2
	v_mul_f32_e32 v2, v27, v67
	s_waitcnt vmcnt(12)
	v_pk_fma_f32 v[16:17], v[28:29], v[38:39], v[14:15] op_sel:[0,0,1] op_sel_hi:[1,1,0] neg_lo:[0,0,1] neg_hi:[0,0,1]
	v_pk_fma_f32 v[14:15], v[28:29], v[38:39], v[14:15] op_sel:[0,0,1] op_sel_hi:[1,0,0]
	v_fmac_f32_e32 v55, v27, v80
	v_fma_f32 v54, v26, v80, -v2
	v_pk_add_f32 v[12:13], v[56:57], v[52:53]
	v_mov_b32_e32 v14, v37
	v_pk_add_f32 v[12:13], v[12:13], v[54:55]
	v_mov_b32_e32 v17, v15
	s_waitcnt lgkmcnt(0)
	v_pk_mul_f32 v[14:15], v[30:31], v[14:15] op_sel_hi:[1,0]
	v_pk_add_f32 v[12:13], v[12:13], v[16:17]
	v_pk_fma_f32 v[16:17], v[30:31], v[36:37], v[14:15] op_sel:[0,0,1] op_sel_hi:[1,1,0] neg_lo:[0,0,1] neg_hi:[0,0,1]
	v_pk_fma_f32 v[14:15], v[30:31], v[36:37], v[14:15] op_sel:[0,0,1] op_sel_hi:[1,0,0]
	s_waitcnt vmcnt(5)
	v_mov_b32_e32 v14, v47
	ds_read2_b64 v[2:5], v1 offset0:115 offset1:116
	ds_read2_b64 v[6:9], v1 offset0:117 offset1:118
	ds_read_b64 v[10:11], v1 offset:952
	v_mov_b32_e32 v17, v15
	v_pk_mul_f32 v[14:15], v[32:33], v[14:15] op_sel_hi:[1,0]
	v_pk_add_f32 v[12:13], v[12:13], v[16:17]
	s_waitcnt vmcnt(4)
	v_pk_fma_f32 v[16:17], v[32:33], v[46:47], v[14:15] op_sel:[0,0,1] op_sel_hi:[1,1,0] neg_lo:[0,0,1] neg_hi:[0,0,1]
	v_pk_fma_f32 v[14:15], v[32:33], v[46:47], v[14:15] op_sel:[0,0,1] op_sel_hi:[1,0,0]
	v_mov_b32_e32 v14, v45
	v_mov_b32_e32 v17, v15
	s_waitcnt lgkmcnt(2)
	v_pk_mul_f32 v[14:15], v[2:3], v[14:15] op_sel_hi:[1,0]
	v_pk_add_f32 v[12:13], v[12:13], v[16:17]
	v_pk_fma_f32 v[16:17], v[2:3], v[44:45], v[14:15] op_sel:[0,0,1] op_sel_hi:[1,1,0] neg_lo:[0,0,1] neg_hi:[0,0,1]
	v_pk_fma_f32 v[2:3], v[2:3], v[44:45], v[14:15] op_sel:[0,0,1] op_sel_hi:[1,0,0]
	v_mov_b32_e32 v17, v3
	v_pk_add_f32 v[2:3], v[12:13], v[16:17]
	v_mov_b32_e32 v12, v43
	v_pk_mul_f32 v[12:13], v[4:5], v[12:13] op_sel_hi:[1,0]
	v_pk_fma_f32 v[14:15], v[4:5], v[42:43], v[12:13] op_sel:[0,0,1] op_sel_hi:[1,1,0] neg_lo:[0,0,1] neg_hi:[0,0,1]
	v_pk_fma_f32 v[4:5], v[4:5], v[42:43], v[12:13] op_sel:[0,0,1] op_sel_hi:[1,0,0]
	v_mov_b32_e32 v4, v41
	v_mov_b32_e32 v15, v5
	s_waitcnt lgkmcnt(1)
	v_pk_mul_f32 v[4:5], v[6:7], v[4:5] op_sel_hi:[1,0]
	v_pk_fma_f32 v[12:13], v[6:7], v[40:41], v[4:5] op_sel:[0,0,1] op_sel_hi:[1,1,0] neg_lo:[0,0,1] neg_hi:[0,0,1]
	v_pk_fma_f32 v[4:5], v[6:7], v[40:41], v[4:5] op_sel:[0,0,1] op_sel_hi:[1,0,0]
	s_waitcnt vmcnt(1)
	v_mov_b32_e32 v4, v51
	v_mov_b32_e32 v13, v5
	v_pk_mul_f32 v[4:5], v[8:9], v[4:5] op_sel_hi:[1,0]
	s_waitcnt vmcnt(0)
	v_pk_fma_f32 v[6:7], v[8:9], v[50:51], v[4:5] op_sel:[0,0,1] op_sel_hi:[1,1,0] neg_lo:[0,0,1] neg_hi:[0,0,1]
	v_pk_fma_f32 v[4:5], v[8:9], v[50:51], v[4:5] op_sel:[0,0,1] op_sel_hi:[1,0,0]
	v_pk_add_f32 v[2:3], v[2:3], v[14:15]
	v_mov_b32_e32 v4, v49
	v_pk_add_f32 v[2:3], v[2:3], v[12:13]
	v_mov_b32_e32 v7, v5
	s_waitcnt lgkmcnt(0)
	v_pk_mul_f32 v[4:5], v[10:11], v[4:5] op_sel_hi:[1,0]
	v_pk_add_f32 v[2:3], v[2:3], v[6:7]
	v_pk_fma_f32 v[6:7], v[10:11], v[48:49], v[4:5] op_sel:[0,0,1] op_sel_hi:[1,1,0] neg_lo:[0,0,1] neg_hi:[0,0,1]
	v_pk_fma_f32 v[4:5], v[10:11], v[48:49], v[4:5] op_sel:[0,0,1] op_sel_hi:[1,0,0]
	v_mov_b32_e32 v7, v5
	v_pk_add_f32 v[2:3], v[2:3], v[6:7]
	v_pk_add_f32 v[2:3], v[34:35], v[2:3] neg_lo:[0,1] neg_hi:[0,1]
	buffer_store_dword v3, off, s[0:3], 0 offset:308
	buffer_store_dword v2, off, s[0:3], 0 offset:304
	s_and_saveexec_b64 s[4:5], vcc
	s_cbranch_execz .LBB123_299
; %bb.298:
	buffer_load_dword v2, off, s[0:3], 0 offset:296
	buffer_load_dword v3, off, s[0:3], 0 offset:300
	s_waitcnt vmcnt(0)
	ds_write_b64 v195, v[2:3]
	buffer_store_dword v1, off, s[0:3], 0 offset:296
	buffer_store_dword v1, off, s[0:3], 0 offset:300
.LBB123_299:
	s_or_b64 exec, exec, s[4:5]
	s_waitcnt lgkmcnt(0)
	; wave barrier
	s_waitcnt lgkmcnt(0)
	buffer_load_dword v52, off, s[0:3], 0 offset:308
	buffer_load_dword v54, off, s[0:3], 0 offset:316
	;; [unrolled: 1-line block ×30, first 2 shown]
	ds_read_b128 v[2:5], v1 offset:784
	ds_read_b128 v[6:9], v1 offset:800
	;; [unrolled: 1-line block ×6, first 2 shown]
	buffer_load_dword v37, off, s[0:3], 0 offset:420
	buffer_load_dword v36, off, s[0:3], 0 offset:416
	ds_read_b128 v[26:29], v1 offset:880
	ds_read_b128 v[30:33], v1 offset:896
	buffer_load_dword v39, off, s[0:3], 0 offset:452
	buffer_load_dword v38, off, s[0:3], 0 offset:448
	;; [unrolled: 1-line block ×14, first 2 shown]
	v_cmp_lt_u32_e32 vcc, 36, v0
	s_waitcnt vmcnt(45) lgkmcnt(7)
	v_mul_f32_e32 v55, v2, v52
	s_waitcnt vmcnt(44)
	v_mul_f32_e32 v57, v4, v54
	s_waitcnt vmcnt(43) lgkmcnt(6)
	v_mul_f32_e32 v83, v6, v56
	s_waitcnt vmcnt(42)
	v_mul_f32_e32 v84, v8, v58
	;; [unrolled: 4-line block ×6, first 2 shown]
	s_waitcnt vmcnt(33) lgkmcnt(1)
	v_mul_f32_e32 v53, v26, v67
	s_waitcnt vmcnt(32)
	v_fmac_f32_e32 v55, v3, v68
	v_mul_f32_e32 v3, v3, v52
	v_fma_f32 v2, v2, v68, -v3
	v_mul_f32_e32 v3, v5, v54
	v_add_f32_e32 v2, 0, v2
	s_waitcnt vmcnt(31)
	v_fma_f32 v3, v4, v69, -v3
	v_add_f32_e32 v2, v2, v3
	v_mul_f32_e32 v3, v7, v56
	s_waitcnt vmcnt(30)
	v_fma_f32 v3, v6, v70, -v3
	v_add_f32_e32 v2, v2, v3
	v_mul_f32_e32 v3, v9, v58
	;; [unrolled: 4-line block ×5, first 2 shown]
	s_waitcnt vmcnt(26)
	v_fma_f32 v3, v14, v74, -v3
	v_fmac_f32_e32 v57, v5, v69
	v_add_f32_e32 v55, 0, v55
	v_add_f32_e32 v2, v2, v3
	v_mul_f32_e32 v3, v17, v62
	v_fmac_f32_e32 v83, v7, v70
	v_add_f32_e32 v55, v55, v57
	s_waitcnt vmcnt(25)
	v_fma_f32 v3, v16, v75, -v3
	v_fmac_f32_e32 v84, v9, v71
	v_add_f32_e32 v55, v55, v83
	v_add_f32_e32 v2, v2, v3
	v_mul_f32_e32 v3, v19, v63
	v_fmac_f32_e32 v85, v11, v72
	v_add_f32_e32 v55, v55, v84
	;; [unrolled: 8-line block ×5, first 2 shown]
	s_waitcnt vmcnt(21)
	v_fma_f32 v3, v24, v79, -v3
	s_waitcnt vmcnt(15)
	v_mov_b32_e32 v16, v37
	v_fmac_f32_e32 v92, v25, v79
	v_add_f32_e32 v55, v55, v91
	v_add_f32_e32 v54, v2, v3
	v_mul_f32_e32 v2, v27, v67
	s_waitcnt lgkmcnt(0)
	v_pk_mul_f32 v[16:17], v[30:31], v[16:17] op_sel_hi:[1,0]
	v_fmac_f32_e32 v53, v27, v80
	v_add_f32_e32 v55, v55, v92
	v_mul_f32_e32 v57, v28, v81
	v_fma_f32 v52, v26, v80, -v2
	v_mul_f32_e32 v2, v29, v81
	s_waitcnt vmcnt(14)
	v_pk_fma_f32 v[18:19], v[30:31], v[36:37], v[16:17] op_sel:[0,0,1] op_sel_hi:[1,1,0] neg_lo:[0,0,1] neg_hi:[0,0,1]
	v_pk_fma_f32 v[16:17], v[30:31], v[36:37], v[16:17] op_sel:[0,0,1] op_sel_hi:[1,0,0]
	v_fmac_f32_e32 v57, v29, v82
	v_fma_f32 v56, v28, v82, -v2
	v_pk_add_f32 v[14:15], v[54:55], v[52:53]
	s_waitcnt vmcnt(7)
	v_mov_b32_e32 v16, v45
	ds_read_b128 v[2:5], v1 offset:912
	ds_read_b128 v[6:9], v1 offset:928
	;; [unrolled: 1-line block ×3, first 2 shown]
	v_pk_add_f32 v[14:15], v[14:15], v[56:57]
	v_mov_b32_e32 v19, v17
	v_pk_mul_f32 v[16:17], v[32:33], v[16:17] op_sel_hi:[1,0]
	v_pk_add_f32 v[14:15], v[14:15], v[18:19]
	s_waitcnt vmcnt(6)
	v_pk_fma_f32 v[18:19], v[32:33], v[44:45], v[16:17] op_sel:[0,0,1] op_sel_hi:[1,1,0] neg_lo:[0,0,1] neg_hi:[0,0,1]
	v_pk_fma_f32 v[16:17], v[32:33], v[44:45], v[16:17] op_sel:[0,0,1] op_sel_hi:[1,0,0]
	v_mov_b32_e32 v16, v43
	v_mov_b32_e32 v19, v17
	s_waitcnt lgkmcnt(2)
	v_pk_mul_f32 v[16:17], v[2:3], v[16:17] op_sel_hi:[1,0]
	v_pk_add_f32 v[14:15], v[14:15], v[18:19]
	v_pk_fma_f32 v[18:19], v[2:3], v[42:43], v[16:17] op_sel:[0,0,1] op_sel_hi:[1,1,0] neg_lo:[0,0,1] neg_hi:[0,0,1]
	v_pk_fma_f32 v[2:3], v[2:3], v[42:43], v[16:17] op_sel:[0,0,1] op_sel_hi:[1,0,0]
	v_mov_b32_e32 v19, v3
	v_pk_add_f32 v[2:3], v[14:15], v[18:19]
	v_mov_b32_e32 v14, v41
	v_pk_mul_f32 v[14:15], v[4:5], v[14:15] op_sel_hi:[1,0]
	v_pk_fma_f32 v[16:17], v[4:5], v[40:41], v[14:15] op_sel:[0,0,1] op_sel_hi:[1,1,0] neg_lo:[0,0,1] neg_hi:[0,0,1]
	v_pk_fma_f32 v[4:5], v[4:5], v[40:41], v[14:15] op_sel:[0,0,1] op_sel_hi:[1,0,0]
	v_mov_b32_e32 v4, v39
	v_mov_b32_e32 v17, v5
	s_waitcnt lgkmcnt(1)
	v_pk_mul_f32 v[4:5], v[6:7], v[4:5] op_sel_hi:[1,0]
	v_pk_fma_f32 v[14:15], v[6:7], v[38:39], v[4:5] op_sel:[0,0,1] op_sel_hi:[1,1,0] neg_lo:[0,0,1] neg_hi:[0,0,1]
	v_pk_fma_f32 v[4:5], v[6:7], v[38:39], v[4:5] op_sel:[0,0,1] op_sel_hi:[1,0,0]
	s_waitcnt vmcnt(1)
	v_mov_b32_e32 v4, v51
	v_mov_b32_e32 v15, v5
	v_pk_mul_f32 v[4:5], v[8:9], v[4:5] op_sel_hi:[1,0]
	s_waitcnt vmcnt(0)
	v_pk_fma_f32 v[6:7], v[8:9], v[50:51], v[4:5] op_sel:[0,0,1] op_sel_hi:[1,1,0] neg_lo:[0,0,1] neg_hi:[0,0,1]
	v_pk_fma_f32 v[4:5], v[8:9], v[50:51], v[4:5] op_sel:[0,0,1] op_sel_hi:[1,0,0]
	v_pk_add_f32 v[2:3], v[2:3], v[16:17]
	v_mov_b32_e32 v4, v49
	v_pk_add_f32 v[2:3], v[2:3], v[14:15]
	v_mov_b32_e32 v7, v5
	s_waitcnt lgkmcnt(0)
	v_pk_mul_f32 v[4:5], v[10:11], v[4:5] op_sel_hi:[1,0]
	v_pk_add_f32 v[2:3], v[2:3], v[6:7]
	v_pk_fma_f32 v[6:7], v[10:11], v[48:49], v[4:5] op_sel:[0,0,1] op_sel_hi:[1,1,0] neg_lo:[0,0,1] neg_hi:[0,0,1]
	v_pk_fma_f32 v[4:5], v[10:11], v[48:49], v[4:5] op_sel:[0,0,1] op_sel_hi:[1,0,0]
	v_mov_b32_e32 v4, v47
	v_mov_b32_e32 v7, v5
	v_pk_mul_f32 v[4:5], v[12:13], v[4:5] op_sel_hi:[1,0]
	v_pk_add_f32 v[2:3], v[2:3], v[6:7]
	v_pk_fma_f32 v[6:7], v[12:13], v[46:47], v[4:5] op_sel:[0,0,1] op_sel_hi:[1,1,0] neg_lo:[0,0,1] neg_hi:[0,0,1]
	v_pk_fma_f32 v[4:5], v[12:13], v[46:47], v[4:5] op_sel:[0,0,1] op_sel_hi:[1,0,0]
	v_mov_b32_e32 v7, v5
	v_pk_add_f32 v[2:3], v[2:3], v[6:7]
	v_pk_add_f32 v[2:3], v[34:35], v[2:3] neg_lo:[0,1] neg_hi:[0,1]
	buffer_store_dword v3, off, s[0:3], 0 offset:300
	buffer_store_dword v2, off, s[0:3], 0 offset:296
	s_and_saveexec_b64 s[4:5], vcc
	s_cbranch_execz .LBB123_301
; %bb.300:
	buffer_load_dword v2, off, s[0:3], 0 offset:288
	buffer_load_dword v3, off, s[0:3], 0 offset:292
	v_mov_b32_e32 v1, 0
	buffer_store_dword v1, off, s[0:3], 0 offset:288
	buffer_store_dword v1, off, s[0:3], 0 offset:292
	s_waitcnt vmcnt(2)
	ds_write_b64 v195, v[2:3]
.LBB123_301:
	s_or_b64 exec, exec, s[4:5]
	s_waitcnt lgkmcnt(0)
	; wave barrier
	s_waitcnt lgkmcnt(0)
	buffer_load_dword v50, off, s[0:3], 0 offset:300
	buffer_load_dword v54, off, s[0:3], 0 offset:308
	;; [unrolled: 1-line block ×32, first 2 shown]
	v_mov_b32_e32 v1, 0
	buffer_load_dword v37, off, s[0:3], 0 offset:444
	buffer_load_dword v36, off, s[0:3], 0 offset:440
	;; [unrolled: 1-line block ×13, first 2 shown]
	ds_read2_b64 v[2:5], v1 offset0:97 offset1:98
	ds_read2_b64 v[6:9], v1 offset0:99 offset1:100
	;; [unrolled: 1-line block ×8, first 2 shown]
	v_cmp_lt_u32_e32 vcc, 35, v0
	s_waitcnt vmcnt(44) lgkmcnt(7)
	v_mul_f32_e32 v44, v2, v50
	s_waitcnt vmcnt(43)
	v_mul_f32_e32 v51, v4, v54
	s_waitcnt vmcnt(42) lgkmcnt(6)
	v_mul_f32_e32 v52, v6, v56
	s_waitcnt vmcnt(41)
	v_mul_f32_e32 v53, v8, v58
	;; [unrolled: 4-line block ×6, first 2 shown]
	s_waitcnt vmcnt(32) lgkmcnt(1)
	v_mul_f32_e32 v91, v26, v67
	s_waitcnt vmcnt(31)
	v_fmac_f32_e32 v44, v3, v68
	s_waitcnt vmcnt(30)
	v_fmac_f32_e32 v51, v5, v69
	v_add_f32_e32 v44, 0, v44
	s_waitcnt vmcnt(29)
	v_fmac_f32_e32 v52, v7, v70
	v_add_f32_e32 v44, v44, v51
	;; [unrolled: 3-line block ×12, first 2 shown]
	v_add_f32_e32 v51, v44, v91
	buffer_load_dword v53, off, s[0:3], 0 offset:460
	buffer_load_dword v52, off, s[0:3], 0 offset:456
	;; [unrolled: 1-line block ×3, first 2 shown]
	v_mul_f32_e32 v3, v3, v50
	v_fma_f32 v2, v2, v68, -v3
	v_mul_f32_e32 v3, v5, v54
	v_add_f32_e32 v2, 0, v2
	v_fma_f32 v3, v4, v69, -v3
	v_add_f32_e32 v2, v2, v3
	v_mul_f32_e32 v3, v7, v56
	v_fma_f32 v3, v6, v70, -v3
	v_add_f32_e32 v2, v2, v3
	v_mul_f32_e32 v3, v9, v58
	v_fma_f32 v3, v8, v71, -v3
	v_add_f32_e32 v2, v2, v3
	v_mul_f32_e32 v3, v11, v59
	v_fma_f32 v3, v10, v72, -v3
	v_add_f32_e32 v2, v2, v3
	v_mul_f32_e32 v3, v13, v60
	v_fma_f32 v3, v12, v73, -v3
	v_add_f32_e32 v2, v2, v3
	v_mul_f32_e32 v3, v15, v61
	v_fma_f32 v3, v14, v74, -v3
	v_add_f32_e32 v2, v2, v3
	v_mul_f32_e32 v3, v17, v62
	v_fma_f32 v3, v16, v75, -v3
	v_add_f32_e32 v2, v2, v3
	v_mul_f32_e32 v3, v19, v63
	v_fma_f32 v3, v18, v76, -v3
	v_add_f32_e32 v2, v2, v3
	v_mul_f32_e32 v3, v21, v64
	v_fma_f32 v3, v20, v77, -v3
	v_add_f32_e32 v2, v2, v3
	v_mul_f32_e32 v3, v23, v65
	v_fma_f32 v3, v22, v78, -v3
	v_add_f32_e32 v2, v2, v3
	v_mul_f32_e32 v3, v25, v66
	v_fma_f32 v3, v24, v79, -v3
	v_add_f32_e32 v2, v2, v3
	v_mul_f32_e32 v3, v27, v67
	v_fma_f32 v3, v26, v80, -v3
	v_add_f32_e32 v50, v2, v3
	s_waitcnt vmcnt(21)
	v_mul_f32_e32 v2, v29, v81
	s_waitcnt vmcnt(9)
	v_mov_b32_e32 v18, v43
	v_mul_f32_e32 v55, v28, v81
	v_fma_f32 v54, v28, v82, -v2
	s_waitcnt lgkmcnt(0)
	v_mul_f32_e32 v2, v31, v83
	v_pk_mul_f32 v[18:19], v[32:33], v[18:19] op_sel_hi:[1,0]
	v_fmac_f32_e32 v55, v29, v82
	v_mul_f32_e32 v57, v30, v83
	v_fma_f32 v56, v30, v84, -v2
	ds_read2_b64 v[2:5], v1 offset0:113 offset1:114
	ds_read2_b64 v[6:9], v1 offset0:115 offset1:116
	;; [unrolled: 1-line block ×3, first 2 shown]
	ds_read_b64 v[14:15], v1 offset:952
	s_waitcnt vmcnt(8)
	v_pk_fma_f32 v[20:21], v[32:33], v[42:43], v[18:19] op_sel:[0,0,1] op_sel_hi:[1,1,0] neg_lo:[0,0,1] neg_hi:[0,0,1]
	v_pk_fma_f32 v[18:19], v[32:33], v[42:43], v[18:19] op_sel:[0,0,1] op_sel_hi:[1,0,0]
	v_fmac_f32_e32 v57, v31, v84
	v_pk_add_f32 v[16:17], v[50:51], v[54:55]
	v_mov_b32_e32 v18, v41
	v_pk_add_f32 v[16:17], v[16:17], v[56:57]
	v_mov_b32_e32 v21, v19
	s_waitcnt lgkmcnt(3)
	v_pk_mul_f32 v[18:19], v[2:3], v[18:19] op_sel_hi:[1,0]
	v_pk_add_f32 v[16:17], v[16:17], v[20:21]
	v_pk_fma_f32 v[20:21], v[2:3], v[40:41], v[18:19] op_sel:[0,0,1] op_sel_hi:[1,1,0] neg_lo:[0,0,1] neg_hi:[0,0,1]
	v_pk_fma_f32 v[2:3], v[2:3], v[40:41], v[18:19] op_sel:[0,0,1] op_sel_hi:[1,0,0]
	v_mov_b32_e32 v21, v3
	v_pk_add_f32 v[2:3], v[16:17], v[20:21]
	v_mov_b32_e32 v16, v39
	v_pk_mul_f32 v[16:17], v[4:5], v[16:17] op_sel_hi:[1,0]
	v_pk_fma_f32 v[18:19], v[4:5], v[38:39], v[16:17] op_sel:[0,0,1] op_sel_hi:[1,1,0] neg_lo:[0,0,1] neg_hi:[0,0,1]
	v_pk_fma_f32 v[4:5], v[4:5], v[38:39], v[16:17] op_sel:[0,0,1] op_sel_hi:[1,0,0]
	v_mov_b32_e32 v4, v37
	v_mov_b32_e32 v19, v5
	s_waitcnt lgkmcnt(2)
	v_pk_mul_f32 v[4:5], v[6:7], v[4:5] op_sel_hi:[1,0]
	v_pk_fma_f32 v[16:17], v[6:7], v[36:37], v[4:5] op_sel:[0,0,1] op_sel_hi:[1,1,0] neg_lo:[0,0,1] neg_hi:[0,0,1]
	v_pk_fma_f32 v[4:5], v[6:7], v[36:37], v[4:5] op_sel:[0,0,1] op_sel_hi:[1,0,0]
	s_waitcnt vmcnt(7)
	v_mov_b32_e32 v4, v45
	v_mov_b32_e32 v17, v5
	v_pk_mul_f32 v[4:5], v[8:9], v[4:5] op_sel_hi:[1,0]
	v_pk_add_f32 v[2:3], v[2:3], v[18:19]
	v_pk_add_f32 v[2:3], v[2:3], v[16:17]
	s_waitcnt vmcnt(0)
	v_pk_fma_f32 v[6:7], v[8:9], v[44:45], v[4:5] op_sel:[0,0,1] op_sel_hi:[1,1,0] neg_lo:[0,0,1] neg_hi:[0,0,1]
	v_pk_fma_f32 v[4:5], v[8:9], v[44:45], v[4:5] op_sel:[0,0,1] op_sel_hi:[1,0,0]
	v_mov_b32_e32 v4, v53
	v_mov_b32_e32 v7, v5
	s_waitcnt lgkmcnt(1)
	v_pk_mul_f32 v[4:5], v[10:11], v[4:5] op_sel_hi:[1,0]
	v_pk_add_f32 v[2:3], v[2:3], v[6:7]
	v_pk_fma_f32 v[6:7], v[10:11], v[52:53], v[4:5] op_sel:[0,0,1] op_sel_hi:[1,1,0] neg_lo:[0,0,1] neg_hi:[0,0,1]
	v_pk_fma_f32 v[4:5], v[10:11], v[52:53], v[4:5] op_sel:[0,0,1] op_sel_hi:[1,0,0]
	v_mov_b32_e32 v4, v49
	v_mov_b32_e32 v7, v5
	v_pk_mul_f32 v[4:5], v[12:13], v[4:5] op_sel_hi:[1,0]
	v_pk_add_f32 v[2:3], v[2:3], v[6:7]
	v_pk_fma_f32 v[6:7], v[12:13], v[48:49], v[4:5] op_sel:[0,0,1] op_sel_hi:[1,1,0] neg_lo:[0,0,1] neg_hi:[0,0,1]
	v_pk_fma_f32 v[4:5], v[12:13], v[48:49], v[4:5] op_sel:[0,0,1] op_sel_hi:[1,0,0]
	v_mov_b32_e32 v4, v47
	v_mov_b32_e32 v7, v5
	s_waitcnt lgkmcnt(0)
	v_pk_mul_f32 v[4:5], v[14:15], v[4:5] op_sel_hi:[1,0]
	v_pk_add_f32 v[2:3], v[2:3], v[6:7]
	v_pk_fma_f32 v[6:7], v[14:15], v[46:47], v[4:5] op_sel:[0,0,1] op_sel_hi:[1,1,0] neg_lo:[0,0,1] neg_hi:[0,0,1]
	v_pk_fma_f32 v[4:5], v[14:15], v[46:47], v[4:5] op_sel:[0,0,1] op_sel_hi:[1,0,0]
	v_mov_b32_e32 v7, v5
	v_pk_add_f32 v[2:3], v[2:3], v[6:7]
	v_pk_add_f32 v[2:3], v[34:35], v[2:3] neg_lo:[0,1] neg_hi:[0,1]
	buffer_store_dword v3, off, s[0:3], 0 offset:292
	buffer_store_dword v2, off, s[0:3], 0 offset:288
	s_and_saveexec_b64 s[4:5], vcc
	s_cbranch_execz .LBB123_303
; %bb.302:
	buffer_load_dword v2, off, s[0:3], 0 offset:280
	buffer_load_dword v3, off, s[0:3], 0 offset:284
	s_waitcnt vmcnt(0)
	ds_write_b64 v195, v[2:3]
	buffer_store_dword v1, off, s[0:3], 0 offset:280
	buffer_store_dword v1, off, s[0:3], 0 offset:284
.LBB123_303:
	s_or_b64 exec, exec, s[4:5]
	s_waitcnt lgkmcnt(0)
	; wave barrier
	s_waitcnt lgkmcnt(0)
	buffer_load_dword v50, off, s[0:3], 0 offset:292
	buffer_load_dword v52, off, s[0:3], 0 offset:300
	;; [unrolled: 1-line block ×34, first 2 shown]
	ds_read_b128 v[2:5], v1 offset:768
	ds_read_b128 v[6:9], v1 offset:784
	;; [unrolled: 1-line block ×8, first 2 shown]
	buffer_load_dword v37, off, s[0:3], 0 offset:436
	buffer_load_dword v36, off, s[0:3], 0 offset:432
	;; [unrolled: 1-line block ×9, first 2 shown]
	v_cmp_lt_u32_e32 vcc, 34, v0
	s_waitcnt vmcnt(42) lgkmcnt(7)
	v_mul_f32_e32 v42, v2, v50
	s_waitcnt vmcnt(41)
	v_mul_f32_e32 v46, v4, v52
	s_waitcnt vmcnt(40) lgkmcnt(6)
	v_mul_f32_e32 v47, v6, v54
	s_waitcnt vmcnt(39)
	v_mul_f32_e32 v48, v8, v58
	;; [unrolled: 4-line block ×7, first 2 shown]
	s_waitcnt vmcnt(28)
	v_fmac_f32_e32 v42, v3, v69
	s_waitcnt vmcnt(27)
	v_fmac_f32_e32 v46, v5, v70
	v_add_f32_e32 v42, 0, v42
	s_waitcnt vmcnt(26)
	v_fmac_f32_e32 v47, v7, v71
	v_add_f32_e32 v42, v42, v46
	;; [unrolled: 3-line block ×12, first 2 shown]
	v_add_f32_e32 v51, v42, v89
	buffer_load_dword v47, off, s[0:3], 0 offset:460
	buffer_load_dword v46, off, s[0:3], 0 offset:456
	;; [unrolled: 1-line block ×7, first 2 shown]
	v_mul_f32_e32 v3, v3, v50
	v_fma_f32 v2, v2, v69, -v3
	v_mul_f32_e32 v3, v5, v52
	v_add_f32_e32 v2, 0, v2
	v_fma_f32 v3, v4, v70, -v3
	v_add_f32_e32 v2, v2, v3
	v_mul_f32_e32 v3, v7, v54
	v_fma_f32 v3, v6, v71, -v3
	v_add_f32_e32 v2, v2, v3
	v_mul_f32_e32 v3, v9, v58
	;; [unrolled: 3-line block ×12, first 2 shown]
	s_waitcnt vmcnt(22)
	v_fma_f32 v3, v28, v82, -v3
	v_add_f32_e32 v50, v2, v3
	s_waitcnt vmcnt(21) lgkmcnt(0)
	v_mul_f32_e32 v2, v31, v83
	s_waitcnt vmcnt(20)
	v_fma_f32 v52, v30, v84, -v2
	s_waitcnt vmcnt(19)
	v_mul_f32_e32 v2, v33, v85
	s_waitcnt vmcnt(18)
	v_fma_f32 v54, v32, v86, -v2
	ds_read_b128 v[2:5], v1 offset:896
	ds_read_b128 v[6:9], v1 offset:912
	ds_read_b128 v[10:13], v1 offset:928
	ds_read_b128 v[14:17], v1 offset:944
	v_fmac_f32_e32 v90, v29, v82
	v_mul_f32_e32 v53, v30, v83
	s_waitcnt vmcnt(11)
	v_mov_b32_e32 v20, v41
	v_add_f32_e32 v51, v51, v90
	v_fmac_f32_e32 v53, v31, v84
	v_mul_f32_e32 v55, v32, v85
	s_waitcnt lgkmcnt(3)
	v_pk_mul_f32 v[20:21], v[2:3], v[20:21] op_sel_hi:[1,0]
	v_fmac_f32_e32 v55, v33, v86
	v_pk_add_f32 v[18:19], v[50:51], v[52:53]
	s_waitcnt vmcnt(10)
	v_pk_fma_f32 v[22:23], v[2:3], v[40:41], v[20:21] op_sel:[0,0,1] op_sel_hi:[1,1,0] neg_lo:[0,0,1] neg_hi:[0,0,1]
	v_pk_fma_f32 v[2:3], v[2:3], v[40:41], v[20:21] op_sel:[0,0,1] op_sel_hi:[1,0,0]
	v_pk_add_f32 v[18:19], v[18:19], v[54:55]
	v_mov_b32_e32 v23, v3
	v_pk_add_f32 v[2:3], v[18:19], v[22:23]
	v_mov_b32_e32 v18, v39
	v_pk_mul_f32 v[18:19], v[4:5], v[18:19] op_sel_hi:[1,0]
	v_pk_fma_f32 v[20:21], v[4:5], v[38:39], v[18:19] op_sel:[0,0,1] op_sel_hi:[1,1,0] neg_lo:[0,0,1] neg_hi:[0,0,1]
	v_pk_fma_f32 v[4:5], v[4:5], v[38:39], v[18:19] op_sel:[0,0,1] op_sel_hi:[1,0,0]
	v_mov_b32_e32 v4, v37
	v_mov_b32_e32 v21, v5
	s_waitcnt lgkmcnt(2)
	v_pk_mul_f32 v[4:5], v[6:7], v[4:5] op_sel_hi:[1,0]
	v_pk_fma_f32 v[18:19], v[6:7], v[36:37], v[4:5] op_sel:[0,0,1] op_sel_hi:[1,1,0] neg_lo:[0,0,1] neg_hi:[0,0,1]
	v_pk_fma_f32 v[4:5], v[6:7], v[36:37], v[4:5] op_sel:[0,0,1] op_sel_hi:[1,0,0]
	s_waitcnt vmcnt(9)
	v_mov_b32_e32 v4, v43
	v_mov_b32_e32 v19, v5
	v_pk_mul_f32 v[4:5], v[8:9], v[4:5] op_sel_hi:[1,0]
	v_pk_add_f32 v[2:3], v[2:3], v[20:21]
	v_pk_add_f32 v[2:3], v[2:3], v[18:19]
	s_waitcnt vmcnt(2)
	v_pk_fma_f32 v[6:7], v[8:9], v[42:43], v[4:5] op_sel:[0,0,1] op_sel_hi:[1,1,0] neg_lo:[0,0,1] neg_hi:[0,0,1]
	v_pk_fma_f32 v[4:5], v[8:9], v[42:43], v[4:5] op_sel:[0,0,1] op_sel_hi:[1,0,0]
	v_mov_b32_e32 v4, v49
	v_mov_b32_e32 v7, v5
	s_waitcnt lgkmcnt(1)
	v_pk_mul_f32 v[4:5], v[10:11], v[4:5] op_sel_hi:[1,0]
	v_pk_add_f32 v[2:3], v[2:3], v[6:7]
	v_pk_fma_f32 v[6:7], v[10:11], v[48:49], v[4:5] op_sel:[0,0,1] op_sel_hi:[1,1,0] neg_lo:[0,0,1] neg_hi:[0,0,1]
	v_pk_fma_f32 v[4:5], v[10:11], v[48:49], v[4:5] op_sel:[0,0,1] op_sel_hi:[1,0,0]
	v_mov_b32_e32 v4, v47
	v_mov_b32_e32 v7, v5
	v_pk_mul_f32 v[4:5], v[12:13], v[4:5] op_sel_hi:[1,0]
	v_pk_add_f32 v[2:3], v[2:3], v[6:7]
	v_pk_fma_f32 v[6:7], v[12:13], v[46:47], v[4:5] op_sel:[0,0,1] op_sel_hi:[1,1,0] neg_lo:[0,0,1] neg_hi:[0,0,1]
	v_pk_fma_f32 v[4:5], v[12:13], v[46:47], v[4:5] op_sel:[0,0,1] op_sel_hi:[1,0,0]
	v_mov_b32_e32 v4, v45
	v_mov_b32_e32 v7, v5
	s_waitcnt lgkmcnt(0)
	v_pk_mul_f32 v[4:5], v[14:15], v[4:5] op_sel_hi:[1,0]
	v_pk_add_f32 v[2:3], v[2:3], v[6:7]
	v_pk_fma_f32 v[6:7], v[14:15], v[44:45], v[4:5] op_sel:[0,0,1] op_sel_hi:[1,1,0] neg_lo:[0,0,1] neg_hi:[0,0,1]
	v_pk_fma_f32 v[4:5], v[14:15], v[44:45], v[4:5] op_sel:[0,0,1] op_sel_hi:[1,0,0]
	s_waitcnt vmcnt(1)
	v_mov_b32_e32 v4, v57
	v_mov_b32_e32 v7, v5
	v_pk_mul_f32 v[4:5], v[16:17], v[4:5] op_sel_hi:[1,0]
	v_pk_add_f32 v[2:3], v[2:3], v[6:7]
	s_waitcnt vmcnt(0)
	v_pk_fma_f32 v[6:7], v[16:17], v[56:57], v[4:5] op_sel:[0,0,1] op_sel_hi:[1,1,0] neg_lo:[0,0,1] neg_hi:[0,0,1]
	v_pk_fma_f32 v[4:5], v[16:17], v[56:57], v[4:5] op_sel:[0,0,1] op_sel_hi:[1,0,0]
	v_mov_b32_e32 v7, v5
	v_pk_add_f32 v[2:3], v[2:3], v[6:7]
	v_pk_add_f32 v[2:3], v[34:35], v[2:3] neg_lo:[0,1] neg_hi:[0,1]
	buffer_store_dword v3, off, s[0:3], 0 offset:284
	buffer_store_dword v2, off, s[0:3], 0 offset:280
	s_and_saveexec_b64 s[4:5], vcc
	s_cbranch_execz .LBB123_305
; %bb.304:
	buffer_load_dword v2, off, s[0:3], 0 offset:272
	buffer_load_dword v3, off, s[0:3], 0 offset:276
	v_mov_b32_e32 v1, 0
	buffer_store_dword v1, off, s[0:3], 0 offset:272
	buffer_store_dword v1, off, s[0:3], 0 offset:276
	s_waitcnt vmcnt(2)
	ds_write_b64 v195, v[2:3]
.LBB123_305:
	s_or_b64 exec, exec, s[4:5]
	s_waitcnt lgkmcnt(0)
	; wave barrier
	s_waitcnt lgkmcnt(0)
	buffer_load_dword v56, off, s[0:3], 0 offset:284
	buffer_load_dword v58, off, s[0:3], 0 offset:292
	;; [unrolled: 1-line block ×36, first 2 shown]
	v_mov_b32_e32 v1, 0
	buffer_load_dword v45, off, s[0:3], 0 offset:428
	buffer_load_dword v44, off, s[0:3], 0 offset:424
	;; [unrolled: 1-line block ×5, first 2 shown]
	ds_read2_b64 v[4:7], v1 offset0:95 offset1:96
	ds_read2_b64 v[8:11], v1 offset0:97 offset1:98
	;; [unrolled: 1-line block ×8, first 2 shown]
	v_cmp_lt_u32_e32 vcc, 33, v0
	s_waitcnt vmcnt(40) lgkmcnt(7)
	v_mul_f32_e32 v36, v4, v56
	s_waitcnt vmcnt(39)
	v_mul_f32_e32 v37, v6, v58
	s_waitcnt vmcnt(38) lgkmcnt(6)
	v_mul_f32_e32 v38, v8, v60
	s_waitcnt vmcnt(37)
	v_mul_f32_e32 v39, v10, v66
	;; [unrolled: 4-line block ×7, first 2 shown]
	s_waitcnt vmcnt(26) lgkmcnt(0)
	v_mul_f32_e32 v57, v32, v77
	s_waitcnt vmcnt(25)
	v_fmac_f32_e32 v36, v5, v78
	s_waitcnt vmcnt(24)
	v_fmac_f32_e32 v37, v7, v79
	v_add_f32_e32 v36, 0, v36
	s_waitcnt vmcnt(23)
	v_fmac_f32_e32 v38, v9, v80
	v_add_f32_e32 v36, v36, v37
	;; [unrolled: 3-line block ×13, first 2 shown]
	v_add_f32_e32 v40, v36, v54
	buffer_load_dword v51, off, s[0:3], 0 offset:460
	buffer_load_dword v50, off, s[0:3], 0 offset:456
	;; [unrolled: 1-line block ×7, first 2 shown]
	s_waitcnt vmcnt(18)
	v_fmac_f32_e32 v57, v33, v92
	ds_read2_b64 v[36:39], v1 offset0:111 offset1:112
	v_add_f32_e32 v57, v40, v57
	ds_read2_b64 v[40:43], v1 offset0:113 offset1:114
	buffer_load_dword v63, off, s[0:3], 0 offset:476
	buffer_load_dword v62, off, s[0:3], 0 offset:472
	;; [unrolled: 1-line block ×4, first 2 shown]
	v_mul_f32_e32 v5, v5, v56
	v_fma_f32 v4, v4, v78, -v5
	v_mul_f32_e32 v5, v7, v58
	v_add_f32_e32 v4, 0, v4
	v_fma_f32 v5, v6, v79, -v5
	v_add_f32_e32 v4, v4, v5
	v_mul_f32_e32 v5, v9, v60
	v_fma_f32 v5, v8, v80, -v5
	v_add_f32_e32 v4, v4, v5
	v_mul_f32_e32 v5, v11, v66
	;; [unrolled: 3-line block ×13, first 2 shown]
	v_fma_f32 v5, v32, v92, -v5
	s_waitcnt vmcnt(13)
	v_mov_b32_e32 v16, v47
	v_mul_f32_e32 v59, v34, v93
	v_add_f32_e32 v56, v4, v5
	v_mul_f32_e32 v4, v35, v93
	s_waitcnt lgkmcnt(1)
	v_pk_mul_f32 v[16:17], v[38:39], v[16:17] op_sel_hi:[1,0]
	v_fmac_f32_e32 v59, v35, v94
	v_mul_f32_e32 v61, v36, v95
	v_fma_f32 v58, v34, v94, -v4
	v_mul_f32_e32 v4, v37, v95
	s_waitcnt vmcnt(12)
	v_pk_fma_f32 v[18:19], v[38:39], v[46:47], v[16:17] op_sel:[0,0,1] op_sel_hi:[1,1,0] neg_lo:[0,0,1] neg_hi:[0,0,1]
	v_pk_fma_f32 v[16:17], v[38:39], v[46:47], v[16:17] op_sel:[0,0,1] op_sel_hi:[1,0,0]
	v_fmac_f32_e32 v61, v37, v96
	v_fma_f32 v60, v36, v96, -v4
	v_pk_add_f32 v[14:15], v[56:57], v[58:59]
	v_mov_b32_e32 v16, v45
	v_pk_add_f32 v[14:15], v[14:15], v[60:61]
	v_mov_b32_e32 v19, v17
	s_waitcnt lgkmcnt(0)
	v_pk_mul_f32 v[16:17], v[40:41], v[16:17] op_sel_hi:[1,0]
	v_pk_add_f32 v[14:15], v[14:15], v[18:19]
	v_pk_fma_f32 v[18:19], v[40:41], v[44:45], v[16:17] op_sel:[0,0,1] op_sel_hi:[1,1,0] neg_lo:[0,0,1] neg_hi:[0,0,1]
	v_pk_fma_f32 v[16:17], v[40:41], v[44:45], v[16:17] op_sel:[0,0,1] op_sel_hi:[1,0,0]
	s_waitcnt vmcnt(11)
	v_mov_b32_e32 v16, v49
	ds_read2_b64 v[4:7], v1 offset0:115 offset1:116
	ds_read2_b64 v[8:11], v1 offset0:117 offset1:118
	ds_read_b64 v[12:13], v1 offset:952
	v_mov_b32_e32 v19, v17
	v_pk_mul_f32 v[16:17], v[42:43], v[16:17] op_sel_hi:[1,0]
	v_pk_add_f32 v[14:15], v[14:15], v[18:19]
	s_waitcnt vmcnt(4)
	v_pk_fma_f32 v[18:19], v[42:43], v[48:49], v[16:17] op_sel:[0,0,1] op_sel_hi:[1,1,0] neg_lo:[0,0,1] neg_hi:[0,0,1]
	v_pk_fma_f32 v[16:17], v[42:43], v[48:49], v[16:17] op_sel:[0,0,1] op_sel_hi:[1,0,0]
	v_mov_b32_e32 v16, v55
	v_mov_b32_e32 v19, v17
	s_waitcnt lgkmcnt(2)
	v_pk_mul_f32 v[16:17], v[4:5], v[16:17] op_sel_hi:[1,0]
	v_pk_add_f32 v[14:15], v[14:15], v[18:19]
	v_pk_fma_f32 v[18:19], v[4:5], v[54:55], v[16:17] op_sel:[0,0,1] op_sel_hi:[1,1,0] neg_lo:[0,0,1] neg_hi:[0,0,1]
	v_pk_fma_f32 v[4:5], v[4:5], v[54:55], v[16:17] op_sel:[0,0,1] op_sel_hi:[1,0,0]
	v_mov_b32_e32 v19, v5
	v_pk_add_f32 v[4:5], v[14:15], v[18:19]
	v_mov_b32_e32 v14, v53
	v_pk_mul_f32 v[14:15], v[6:7], v[14:15] op_sel_hi:[1,0]
	v_pk_fma_f32 v[16:17], v[6:7], v[52:53], v[14:15] op_sel:[0,0,1] op_sel_hi:[1,1,0] neg_lo:[0,0,1] neg_hi:[0,0,1]
	v_pk_fma_f32 v[6:7], v[6:7], v[52:53], v[14:15] op_sel:[0,0,1] op_sel_hi:[1,0,0]
	v_mov_b32_e32 v6, v51
	v_mov_b32_e32 v17, v7
	s_waitcnt lgkmcnt(1)
	v_pk_mul_f32 v[6:7], v[8:9], v[6:7] op_sel_hi:[1,0]
	v_pk_fma_f32 v[14:15], v[8:9], v[50:51], v[6:7] op_sel:[0,0,1] op_sel_hi:[1,1,0] neg_lo:[0,0,1] neg_hi:[0,0,1]
	v_pk_fma_f32 v[6:7], v[8:9], v[50:51], v[6:7] op_sel:[0,0,1] op_sel_hi:[1,0,0]
	s_waitcnt vmcnt(1)
	v_mov_b32_e32 v6, v65
	v_mov_b32_e32 v15, v7
	v_pk_mul_f32 v[6:7], v[10:11], v[6:7] op_sel_hi:[1,0]
	s_waitcnt vmcnt(0)
	v_pk_fma_f32 v[8:9], v[10:11], v[64:65], v[6:7] op_sel:[0,0,1] op_sel_hi:[1,1,0] neg_lo:[0,0,1] neg_hi:[0,0,1]
	v_pk_fma_f32 v[6:7], v[10:11], v[64:65], v[6:7] op_sel:[0,0,1] op_sel_hi:[1,0,0]
	v_pk_add_f32 v[4:5], v[4:5], v[16:17]
	v_mov_b32_e32 v6, v63
	v_pk_add_f32 v[4:5], v[4:5], v[14:15]
	v_mov_b32_e32 v9, v7
	s_waitcnt lgkmcnt(0)
	v_pk_mul_f32 v[6:7], v[12:13], v[6:7] op_sel_hi:[1,0]
	v_pk_add_f32 v[4:5], v[4:5], v[8:9]
	v_pk_fma_f32 v[8:9], v[12:13], v[62:63], v[6:7] op_sel:[0,0,1] op_sel_hi:[1,1,0] neg_lo:[0,0,1] neg_hi:[0,0,1]
	v_pk_fma_f32 v[6:7], v[12:13], v[62:63], v[6:7] op_sel:[0,0,1] op_sel_hi:[1,0,0]
	v_mov_b32_e32 v9, v7
	v_pk_add_f32 v[4:5], v[4:5], v[8:9]
	v_pk_add_f32 v[2:3], v[2:3], v[4:5] neg_lo:[0,1] neg_hi:[0,1]
	buffer_store_dword v3, off, s[0:3], 0 offset:276
	buffer_store_dword v2, off, s[0:3], 0 offset:272
	s_and_saveexec_b64 s[4:5], vcc
	s_cbranch_execz .LBB123_307
; %bb.306:
	buffer_load_dword v2, off, s[0:3], 0 offset:264
	buffer_load_dword v3, off, s[0:3], 0 offset:268
	s_waitcnt vmcnt(0)
	ds_write_b64 v195, v[2:3]
	buffer_store_dword v1, off, s[0:3], 0 offset:264
	buffer_store_dword v1, off, s[0:3], 0 offset:268
.LBB123_307:
	s_or_b64 exec, exec, s[4:5]
	s_waitcnt lgkmcnt(0)
	; wave barrier
	s_waitcnt lgkmcnt(0)
	buffer_load_dword v54, off, s[0:3], 0 offset:276
	buffer_load_dword v56, off, s[0:3], 0 offset:284
	;; [unrolled: 1-line block ×38, first 2 shown]
	ds_read_b128 v[2:5], v1 offset:752
	ds_read_b128 v[6:9], v1 offset:768
	;; [unrolled: 1-line block ×8, first 2 shown]
	buffer_load_dword v45, off, s[0:3], 0 offset:420
	buffer_load_dword v44, off, s[0:3], 0 offset:416
	;; [unrolled: 1-line block ×4, first 2 shown]
	v_cmp_lt_u32_e32 vcc, 32, v0
	s_waitcnt vmcnt(41) lgkmcnt(7)
	v_mul_f32_e32 v34, v2, v54
	s_waitcnt vmcnt(40)
	v_mul_f32_e32 v35, v4, v56
	s_waitcnt vmcnt(39) lgkmcnt(6)
	v_mul_f32_e32 v36, v6, v58
	s_waitcnt vmcnt(38)
	v_mul_f32_e32 v37, v8, v66
	;; [unrolled: 4-line block ×7, first 2 shown]
	s_waitcnt vmcnt(27) lgkmcnt(0)
	v_mul_f32_e32 v55, v30, v77
	s_waitcnt vmcnt(26)
	v_fmac_f32_e32 v34, v3, v78
	s_waitcnt vmcnt(25)
	v_fmac_f32_e32 v35, v5, v79
	v_add_f32_e32 v34, 0, v34
	s_waitcnt vmcnt(24)
	v_fmac_f32_e32 v36, v7, v80
	v_add_f32_e32 v34, v34, v35
	;; [unrolled: 3-line block ×13, first 2 shown]
	v_add_f32_e32 v34, v34, v53
	buffer_load_dword v49, off, s[0:3], 0 offset:444
	buffer_load_dword v48, off, s[0:3], 0 offset:440
	;; [unrolled: 1-line block ×6, first 2 shown]
	s_waitcnt vmcnt(18)
	v_fmac_f32_e32 v55, v31, v92
	s_waitcnt vmcnt(17)
	v_mul_f32_e32 v39, v32, v93
	v_add_f32_e32 v38, v34, v55
	s_waitcnt vmcnt(16)
	v_fmac_f32_e32 v39, v33, v94
	ds_read_b128 v[34:37], v1 offset:880
	v_add_f32_e32 v55, v38, v39
	ds_read_b128 v[38:41], v1 offset:896
	buffer_load_dword v61, off, s[0:3], 0 offset:476
	buffer_load_dword v60, off, s[0:3], 0 offset:472
	;; [unrolled: 1-line block ×6, first 2 shown]
	v_mul_f32_e32 v3, v3, v54
	v_fma_f32 v2, v2, v78, -v3
	v_mul_f32_e32 v3, v5, v56
	v_add_f32_e32 v2, 0, v2
	v_fma_f32 v3, v4, v79, -v3
	v_add_f32_e32 v2, v2, v3
	v_mul_f32_e32 v3, v7, v58
	v_fma_f32 v3, v6, v80, -v3
	v_add_f32_e32 v2, v2, v3
	v_mul_f32_e32 v3, v9, v66
	;; [unrolled: 3-line block ×14, first 2 shown]
	v_fma_f32 v3, v32, v94, -v3
	s_waitcnt vmcnt(15)
	v_mov_b32_e32 v16, v45
	s_waitcnt lgkmcnt(1)
	v_mul_f32_e32 v57, v34, v95
	v_add_f32_e32 v54, v2, v3
	v_mul_f32_e32 v2, v35, v95
	s_waitcnt lgkmcnt(0)
	v_pk_mul_f32 v[16:17], v[38:39], v[16:17] op_sel_hi:[1,0]
	v_fmac_f32_e32 v57, v35, v96
	v_mul_f32_e32 v59, v36, v97
	v_fma_f32 v56, v34, v96, -v2
	v_mul_f32_e32 v2, v37, v97
	s_waitcnt vmcnt(14)
	v_pk_fma_f32 v[18:19], v[38:39], v[44:45], v[16:17] op_sel:[0,0,1] op_sel_hi:[1,1,0] neg_lo:[0,0,1] neg_hi:[0,0,1]
	v_pk_fma_f32 v[16:17], v[38:39], v[44:45], v[16:17] op_sel:[0,0,1] op_sel_hi:[1,0,0]
	v_fmac_f32_e32 v59, v37, v98
	v_fma_f32 v58, v36, v98, -v2
	v_pk_add_f32 v[14:15], v[54:55], v[56:57]
	ds_read_b128 v[2:5], v1 offset:912
	ds_read_b128 v[6:9], v1 offset:928
	;; [unrolled: 1-line block ×3, first 2 shown]
	v_pk_add_f32 v[14:15], v[14:15], v[58:59]
	v_mov_b32_e32 v19, v17
	v_pk_add_f32 v[14:15], v[14:15], v[18:19]
	s_waitcnt vmcnt(7)
	v_mov_b32_e32 v16, v53
	v_pk_mul_f32 v[16:17], v[40:41], v[16:17] op_sel_hi:[1,0]
	s_waitcnt vmcnt(6)
	v_pk_fma_f32 v[18:19], v[40:41], v[52:53], v[16:17] op_sel:[0,0,1] op_sel_hi:[1,1,0] neg_lo:[0,0,1] neg_hi:[0,0,1]
	v_pk_fma_f32 v[16:17], v[40:41], v[52:53], v[16:17] op_sel:[0,0,1] op_sel_hi:[1,0,0]
	v_mov_b32_e32 v16, v51
	v_mov_b32_e32 v19, v17
	s_waitcnt lgkmcnt(2)
	v_pk_mul_f32 v[16:17], v[2:3], v[16:17] op_sel_hi:[1,0]
	v_pk_add_f32 v[14:15], v[14:15], v[18:19]
	v_pk_fma_f32 v[18:19], v[2:3], v[50:51], v[16:17] op_sel:[0,0,1] op_sel_hi:[1,1,0] neg_lo:[0,0,1] neg_hi:[0,0,1]
	v_pk_fma_f32 v[2:3], v[2:3], v[50:51], v[16:17] op_sel:[0,0,1] op_sel_hi:[1,0,0]
	v_mov_b32_e32 v19, v3
	v_pk_add_f32 v[2:3], v[14:15], v[18:19]
	v_mov_b32_e32 v14, v49
	v_pk_mul_f32 v[14:15], v[4:5], v[14:15] op_sel_hi:[1,0]
	v_pk_fma_f32 v[16:17], v[4:5], v[48:49], v[14:15] op_sel:[0,0,1] op_sel_hi:[1,1,0] neg_lo:[0,0,1] neg_hi:[0,0,1]
	v_pk_fma_f32 v[4:5], v[4:5], v[48:49], v[14:15] op_sel:[0,0,1] op_sel_hi:[1,0,0]
	v_mov_b32_e32 v4, v47
	v_mov_b32_e32 v17, v5
	s_waitcnt lgkmcnt(1)
	v_pk_mul_f32 v[4:5], v[6:7], v[4:5] op_sel_hi:[1,0]
	v_pk_fma_f32 v[14:15], v[6:7], v[46:47], v[4:5] op_sel:[0,0,1] op_sel_hi:[1,1,0] neg_lo:[0,0,1] neg_hi:[0,0,1]
	v_pk_fma_f32 v[4:5], v[6:7], v[46:47], v[4:5] op_sel:[0,0,1] op_sel_hi:[1,0,0]
	s_waitcnt vmcnt(1)
	v_mov_b32_e32 v4, v65
	v_mov_b32_e32 v15, v5
	v_pk_mul_f32 v[4:5], v[8:9], v[4:5] op_sel_hi:[1,0]
	s_waitcnt vmcnt(0)
	v_pk_fma_f32 v[6:7], v[8:9], v[64:65], v[4:5] op_sel:[0,0,1] op_sel_hi:[1,1,0] neg_lo:[0,0,1] neg_hi:[0,0,1]
	v_pk_fma_f32 v[4:5], v[8:9], v[64:65], v[4:5] op_sel:[0,0,1] op_sel_hi:[1,0,0]
	v_pk_add_f32 v[2:3], v[2:3], v[16:17]
	v_mov_b32_e32 v4, v63
	v_pk_add_f32 v[2:3], v[2:3], v[14:15]
	v_mov_b32_e32 v7, v5
	s_waitcnt lgkmcnt(0)
	v_pk_mul_f32 v[4:5], v[10:11], v[4:5] op_sel_hi:[1,0]
	v_pk_add_f32 v[2:3], v[2:3], v[6:7]
	v_pk_fma_f32 v[6:7], v[10:11], v[62:63], v[4:5] op_sel:[0,0,1] op_sel_hi:[1,1,0] neg_lo:[0,0,1] neg_hi:[0,0,1]
	v_pk_fma_f32 v[4:5], v[10:11], v[62:63], v[4:5] op_sel:[0,0,1] op_sel_hi:[1,0,0]
	v_mov_b32_e32 v4, v61
	v_mov_b32_e32 v7, v5
	v_pk_mul_f32 v[4:5], v[12:13], v[4:5] op_sel_hi:[1,0]
	v_pk_add_f32 v[2:3], v[2:3], v[6:7]
	v_pk_fma_f32 v[6:7], v[12:13], v[60:61], v[4:5] op_sel:[0,0,1] op_sel_hi:[1,1,0] neg_lo:[0,0,1] neg_hi:[0,0,1]
	v_pk_fma_f32 v[4:5], v[12:13], v[60:61], v[4:5] op_sel:[0,0,1] op_sel_hi:[1,0,0]
	v_mov_b32_e32 v7, v5
	v_pk_add_f32 v[2:3], v[2:3], v[6:7]
	v_pk_add_f32 v[2:3], v[42:43], v[2:3] neg_lo:[0,1] neg_hi:[0,1]
	buffer_store_dword v3, off, s[0:3], 0 offset:268
	buffer_store_dword v2, off, s[0:3], 0 offset:264
	s_and_saveexec_b64 s[4:5], vcc
	s_cbranch_execz .LBB123_309
; %bb.308:
	buffer_load_dword v2, off, s[0:3], 0 offset:256
	buffer_load_dword v3, off, s[0:3], 0 offset:260
	v_mov_b32_e32 v1, 0
	buffer_store_dword v1, off, s[0:3], 0 offset:256
	buffer_store_dword v1, off, s[0:3], 0 offset:260
	s_waitcnt vmcnt(2)
	ds_write_b64 v195, v[2:3]
.LBB123_309:
	s_or_b64 exec, exec, s[4:5]
	s_waitcnt lgkmcnt(0)
	; wave barrier
	s_waitcnt lgkmcnt(0)
	buffer_load_dword v52, off, s[0:3], 0 offset:268
	buffer_load_dword v54, off, s[0:3], 0 offset:276
	;; [unrolled: 1-line block ×40, first 2 shown]
	v_mov_b32_e32 v1, 0
	ds_read2_b64 v[4:7], v1 offset0:93 offset1:94
	ds_read2_b64 v[8:11], v1 offset0:95 offset1:96
	;; [unrolled: 1-line block ×8, first 2 shown]
	v_cmp_lt_u32_e32 vcc, 31, v0
	s_waitcnt vmcnt(39) lgkmcnt(7)
	v_mul_f32_e32 v36, v4, v52
	s_waitcnt vmcnt(38)
	v_mul_f32_e32 v37, v6, v54
	s_waitcnt vmcnt(37) lgkmcnt(6)
	v_mul_f32_e32 v38, v8, v56
	s_waitcnt vmcnt(36)
	v_mul_f32_e32 v39, v10, v66
	;; [unrolled: 4-line block ×8, first 2 shown]
	s_waitcnt vmcnt(23)
	v_fmac_f32_e32 v36, v5, v79
	s_waitcnt vmcnt(22)
	v_fmac_f32_e32 v37, v7, v80
	v_add_f32_e32 v36, 0, v36
	s_waitcnt vmcnt(21)
	v_fmac_f32_e32 v38, v9, v81
	v_add_f32_e32 v36, v36, v37
	;; [unrolled: 3-line block ×14, first 2 shown]
	v_add_f32_e32 v36, v36, v50
	s_waitcnt vmcnt(8)
	v_fmac_f32_e32 v51, v35, v94
	v_add_f32_e32 v53, v36, v51
	ds_read2_b64 v[36:39], v1 offset0:109 offset1:110
	buffer_load_dword v45, off, s[0:3], 0 offset:420
	buffer_load_dword v47, off, s[0:3], 0 offset:444
	;; [unrolled: 1-line block ×8, first 2 shown]
	ds_read2_b64 v[40:43], v1 offset0:111 offset1:112
	buffer_load_dword v59, off, s[0:3], 0 offset:476
	buffer_load_dword v58, off, s[0:3], 0 offset:472
	;; [unrolled: 1-line block ×8, first 2 shown]
	v_mul_f32_e32 v5, v5, v52
	v_fma_f32 v4, v4, v79, -v5
	v_mul_f32_e32 v5, v7, v54
	v_add_f32_e32 v4, 0, v4
	v_fma_f32 v5, v6, v80, -v5
	v_add_f32_e32 v4, v4, v5
	v_mul_f32_e32 v5, v9, v56
	v_fma_f32 v5, v8, v81, -v5
	v_add_f32_e32 v4, v4, v5
	v_mul_f32_e32 v5, v11, v66
	;; [unrolled: 3-line block ×14, first 2 shown]
	v_fma_f32 v5, v34, v94, -v5
	v_add_f32_e32 v4, v4, v5
	s_waitcnt vmcnt(23) lgkmcnt(1)
	v_mul_f32_e32 v5, v37, v95
	v_mul_f32_e32 v55, v36, v95
	s_waitcnt vmcnt(22)
	v_fma_f32 v5, v36, v96, -v5
	v_fmac_f32_e32 v55, v37, v96
	v_add_f32_e32 v52, v4, v5
	s_waitcnt vmcnt(21)
	v_mul_f32_e32 v4, v39, v97
	v_add_f32_e32 v53, v53, v55
	v_mul_f32_e32 v55, v38, v97
	s_waitcnt vmcnt(20)
	v_fma_f32 v54, v38, v98, -v4
	s_waitcnt vmcnt(19) lgkmcnt(0)
	v_mul_f32_e32 v4, v41, v99
	v_fmac_f32_e32 v55, v39, v98
	v_mul_f32_e32 v57, v40, v99
	s_waitcnt vmcnt(18)
	v_fma_f32 v56, v40, v100, -v4
	ds_read2_b64 v[4:7], v1 offset0:113 offset1:114
	ds_read2_b64 v[8:11], v1 offset0:115 offset1:116
	;; [unrolled: 1-line block ×3, first 2 shown]
	ds_read_b64 v[16:17], v1 offset:952
	v_fmac_f32_e32 v57, v41, v100
	v_pk_add_f32 v[18:19], v[52:53], v[54:55]
	v_pk_add_f32 v[18:19], v[18:19], v[56:57]
	s_waitcnt vmcnt(15)
	v_mov_b32_e32 v20, v45
	v_pk_mul_f32 v[20:21], v[42:43], v[20:21] op_sel_hi:[1,0]
	s_waitcnt vmcnt(8)
	v_pk_fma_f32 v[22:23], v[42:43], v[44:45], v[20:21] op_sel:[0,0,1] op_sel_hi:[1,1,0] neg_lo:[0,0,1] neg_hi:[0,0,1]
	v_pk_fma_f32 v[20:21], v[42:43], v[44:45], v[20:21] op_sel:[0,0,1] op_sel_hi:[1,0,0]
	v_mov_b32_e32 v20, v51
	v_mov_b32_e32 v23, v21
	s_waitcnt lgkmcnt(3)
	v_pk_mul_f32 v[20:21], v[4:5], v[20:21] op_sel_hi:[1,0]
	v_pk_add_f32 v[18:19], v[18:19], v[22:23]
	v_pk_fma_f32 v[22:23], v[4:5], v[50:51], v[20:21] op_sel:[0,0,1] op_sel_hi:[1,1,0] neg_lo:[0,0,1] neg_hi:[0,0,1]
	v_pk_fma_f32 v[4:5], v[4:5], v[50:51], v[20:21] op_sel:[0,0,1] op_sel_hi:[1,0,0]
	v_mov_b32_e32 v23, v5
	v_pk_add_f32 v[4:5], v[18:19], v[22:23]
	v_mov_b32_e32 v18, v49
	v_pk_mul_f32 v[18:19], v[6:7], v[18:19] op_sel_hi:[1,0]
	v_pk_fma_f32 v[20:21], v[6:7], v[48:49], v[18:19] op_sel:[0,0,1] op_sel_hi:[1,1,0] neg_lo:[0,0,1] neg_hi:[0,0,1]
	v_pk_fma_f32 v[6:7], v[6:7], v[48:49], v[18:19] op_sel:[0,0,1] op_sel_hi:[1,0,0]
	v_mov_b32_e32 v6, v47
	v_mov_b32_e32 v21, v7
	s_waitcnt lgkmcnt(2)
	v_pk_mul_f32 v[6:7], v[8:9], v[6:7] op_sel_hi:[1,0]
	v_pk_fma_f32 v[18:19], v[8:9], v[46:47], v[6:7] op_sel:[0,0,1] op_sel_hi:[1,1,0] neg_lo:[0,0,1] neg_hi:[0,0,1]
	v_pk_fma_f32 v[6:7], v[8:9], v[46:47], v[6:7] op_sel:[0,0,1] op_sel_hi:[1,0,0]
	s_waitcnt vmcnt(1)
	v_mov_b32_e32 v6, v65
	v_mov_b32_e32 v19, v7
	v_pk_mul_f32 v[6:7], v[10:11], v[6:7] op_sel_hi:[1,0]
	s_waitcnt vmcnt(0)
	v_pk_fma_f32 v[8:9], v[10:11], v[64:65], v[6:7] op_sel:[0,0,1] op_sel_hi:[1,1,0] neg_lo:[0,0,1] neg_hi:[0,0,1]
	v_pk_fma_f32 v[6:7], v[10:11], v[64:65], v[6:7] op_sel:[0,0,1] op_sel_hi:[1,0,0]
	v_pk_add_f32 v[4:5], v[4:5], v[20:21]
	v_mov_b32_e32 v6, v63
	v_pk_add_f32 v[4:5], v[4:5], v[18:19]
	v_mov_b32_e32 v9, v7
	s_waitcnt lgkmcnt(1)
	v_pk_mul_f32 v[6:7], v[12:13], v[6:7] op_sel_hi:[1,0]
	v_pk_add_f32 v[4:5], v[4:5], v[8:9]
	v_pk_fma_f32 v[8:9], v[12:13], v[62:63], v[6:7] op_sel:[0,0,1] op_sel_hi:[1,1,0] neg_lo:[0,0,1] neg_hi:[0,0,1]
	v_pk_fma_f32 v[6:7], v[12:13], v[62:63], v[6:7] op_sel:[0,0,1] op_sel_hi:[1,0,0]
	v_mov_b32_e32 v6, v61
	v_mov_b32_e32 v9, v7
	v_pk_mul_f32 v[6:7], v[14:15], v[6:7] op_sel_hi:[1,0]
	v_pk_add_f32 v[4:5], v[4:5], v[8:9]
	v_pk_fma_f32 v[8:9], v[14:15], v[60:61], v[6:7] op_sel:[0,0,1] op_sel_hi:[1,1,0] neg_lo:[0,0,1] neg_hi:[0,0,1]
	v_pk_fma_f32 v[6:7], v[14:15], v[60:61], v[6:7] op_sel:[0,0,1] op_sel_hi:[1,0,0]
	v_mov_b32_e32 v6, v59
	v_mov_b32_e32 v9, v7
	s_waitcnt lgkmcnt(0)
	v_pk_mul_f32 v[6:7], v[16:17], v[6:7] op_sel_hi:[1,0]
	v_pk_add_f32 v[4:5], v[4:5], v[8:9]
	v_pk_fma_f32 v[8:9], v[16:17], v[58:59], v[6:7] op_sel:[0,0,1] op_sel_hi:[1,1,0] neg_lo:[0,0,1] neg_hi:[0,0,1]
	v_pk_fma_f32 v[6:7], v[16:17], v[58:59], v[6:7] op_sel:[0,0,1] op_sel_hi:[1,0,0]
	v_mov_b32_e32 v9, v7
	v_pk_add_f32 v[4:5], v[4:5], v[8:9]
	v_pk_add_f32 v[2:3], v[2:3], v[4:5] neg_lo:[0,1] neg_hi:[0,1]
	buffer_store_dword v3, off, s[0:3], 0 offset:260
	buffer_store_dword v2, off, s[0:3], 0 offset:256
	s_and_saveexec_b64 s[4:5], vcc
	s_cbranch_execz .LBB123_311
; %bb.310:
	buffer_load_dword v2, off, s[0:3], 0 offset:248
	buffer_load_dword v3, off, s[0:3], 0 offset:252
	s_waitcnt vmcnt(0)
	ds_write_b64 v195, v[2:3]
	buffer_store_dword v1, off, s[0:3], 0 offset:248
	buffer_store_dword v1, off, s[0:3], 0 offset:252
.LBB123_311:
	s_or_b64 exec, exec, s[4:5]
	s_waitcnt lgkmcnt(0)
	; wave barrier
	s_waitcnt lgkmcnt(0)
	buffer_load_dword v44, off, s[0:3], 0 offset:260
	buffer_load_dword v46, off, s[0:3], 0 offset:268
	;; [unrolled: 1-line block ×42, first 2 shown]
	ds_read_b128 v[4:7], v1 offset:736
	ds_read_b128 v[8:11], v1 offset:752
	;; [unrolled: 1-line block ×8, first 2 shown]
	v_cmp_lt_u32_e32 vcc, 30, v0
	s_waitcnt vmcnt(41) lgkmcnt(7)
	v_mul_f32_e32 v36, v4, v44
	s_waitcnt vmcnt(40)
	v_mul_f32_e32 v37, v6, v46
	s_waitcnt vmcnt(39) lgkmcnt(6)
	v_mul_f32_e32 v38, v8, v54
	s_waitcnt vmcnt(38)
	v_mul_f32_e32 v39, v10, v66
	;; [unrolled: 4-line block ×7, first 2 shown]
	s_waitcnt vmcnt(27) lgkmcnt(0)
	v_mul_f32_e32 v52, v32, v77
	s_waitcnt vmcnt(26)
	v_fmac_f32_e32 v36, v5, v78
	s_waitcnt vmcnt(25)
	v_fmac_f32_e32 v37, v7, v79
	v_add_f32_e32 v36, 0, v36
	s_waitcnt vmcnt(24)
	v_fmac_f32_e32 v38, v9, v80
	v_add_f32_e32 v36, v36, v37
	;; [unrolled: 3-line block ×14, first 2 shown]
	s_waitcnt vmcnt(11)
	v_mul_f32_e32 v41, v34, v93
	v_add_f32_e32 v40, v36, v52
	s_waitcnt vmcnt(10)
	v_fmac_f32_e32 v41, v35, v94
	ds_read_b128 v[36:39], v1 offset:864
	v_add_f32_e32 v45, v40, v41
	ds_read_b128 v[40:43], v1 offset:880
	buffer_load_dword v49, off, s[0:3], 0 offset:420
	buffer_load_dword v51, off, s[0:3], 0 offset:436
	;; [unrolled: 1-line block ×16, first 2 shown]
	v_mul_f32_e32 v5, v5, v44
	v_fma_f32 v4, v4, v78, -v5
	v_mul_f32_e32 v5, v7, v46
	v_add_f32_e32 v4, 0, v4
	v_fma_f32 v5, v6, v79, -v5
	v_add_f32_e32 v4, v4, v5
	v_mul_f32_e32 v5, v9, v54
	v_fma_f32 v5, v8, v80, -v5
	v_add_f32_e32 v4, v4, v5
	v_mul_f32_e32 v5, v11, v66
	;; [unrolled: 3-line block ×14, first 2 shown]
	v_fma_f32 v5, v34, v94, -v5
	v_add_f32_e32 v4, v4, v5
	s_waitcnt vmcnt(25) lgkmcnt(1)
	v_mul_f32_e32 v5, v37, v95
	s_waitcnt vmcnt(24)
	v_fma_f32 v5, v36, v96, -v5
	v_add_f32_e32 v4, v4, v5
	s_waitcnt vmcnt(23)
	v_mul_f32_e32 v5, v39, v97
	v_mul_f32_e32 v47, v36, v95
	s_waitcnt vmcnt(22)
	v_fma_f32 v5, v38, v98, -v5
	v_fmac_f32_e32 v47, v37, v96
	v_add_f32_e32 v44, v4, v5
	s_waitcnt vmcnt(21) lgkmcnt(0)
	v_mul_f32_e32 v4, v41, v99
	v_add_f32_e32 v45, v45, v47
	v_mul_f32_e32 v47, v38, v97
	s_waitcnt vmcnt(20)
	v_fma_f32 v46, v40, v100, -v4
	s_waitcnt vmcnt(19)
	v_mul_f32_e32 v4, v43, v101
	v_fmac_f32_e32 v47, v39, v98
	s_waitcnt vmcnt(18)
	v_fma_f32 v54, v42, v104, -v4
	ds_read_b128 v[4:7], v1 offset:896
	ds_read_b128 v[8:11], v1 offset:912
	;; [unrolled: 1-line block ×4, first 2 shown]
	v_add_f32_e32 v45, v45, v47
	v_mul_f32_e32 v47, v40, v99
	v_fmac_f32_e32 v47, v41, v100
	v_mul_f32_e32 v55, v42, v101
	v_fmac_f32_e32 v55, v43, v104
	v_pk_add_f32 v[20:21], v[44:45], v[46:47]
	v_pk_add_f32 v[20:21], v[20:21], v[54:55]
	s_waitcnt vmcnt(15)
	v_mov_b32_e32 v22, v49
	s_waitcnt lgkmcnt(3)
	v_pk_mul_f32 v[22:23], v[4:5], v[22:23] op_sel_hi:[1,0]
	s_waitcnt vmcnt(10)
	v_pk_fma_f32 v[24:25], v[4:5], v[48:49], v[22:23] op_sel:[0,0,1] op_sel_hi:[1,1,0] neg_lo:[0,0,1] neg_hi:[0,0,1]
	v_pk_fma_f32 v[4:5], v[4:5], v[48:49], v[22:23] op_sel:[0,0,1] op_sel_hi:[1,0,0]
	v_mov_b32_e32 v25, v5
	v_pk_add_f32 v[4:5], v[20:21], v[24:25]
	v_mov_b32_e32 v20, v53
	v_pk_mul_f32 v[20:21], v[6:7], v[20:21] op_sel_hi:[1,0]
	v_pk_fma_f32 v[22:23], v[6:7], v[52:53], v[20:21] op_sel:[0,0,1] op_sel_hi:[1,1,0] neg_lo:[0,0,1] neg_hi:[0,0,1]
	v_pk_fma_f32 v[6:7], v[6:7], v[52:53], v[20:21] op_sel:[0,0,1] op_sel_hi:[1,0,0]
	v_mov_b32_e32 v6, v51
	v_mov_b32_e32 v23, v7
	s_waitcnt lgkmcnt(2)
	v_pk_mul_f32 v[6:7], v[8:9], v[6:7] op_sel_hi:[1,0]
	v_pk_fma_f32 v[20:21], v[8:9], v[50:51], v[6:7] op_sel:[0,0,1] op_sel_hi:[1,1,0] neg_lo:[0,0,1] neg_hi:[0,0,1]
	v_pk_fma_f32 v[6:7], v[8:9], v[50:51], v[6:7] op_sel:[0,0,1] op_sel_hi:[1,0,0]
	s_waitcnt vmcnt(3)
	v_mov_b32_e32 v6, v63
	v_mov_b32_e32 v21, v7
	v_pk_mul_f32 v[6:7], v[10:11], v[6:7] op_sel_hi:[1,0]
	s_waitcnt vmcnt(2)
	v_pk_fma_f32 v[8:9], v[10:11], v[62:63], v[6:7] op_sel:[0,0,1] op_sel_hi:[1,1,0] neg_lo:[0,0,1] neg_hi:[0,0,1]
	v_pk_fma_f32 v[6:7], v[10:11], v[62:63], v[6:7] op_sel:[0,0,1] op_sel_hi:[1,0,0]
	v_pk_add_f32 v[4:5], v[4:5], v[22:23]
	v_mov_b32_e32 v6, v61
	v_pk_add_f32 v[4:5], v[4:5], v[20:21]
	v_mov_b32_e32 v9, v7
	s_waitcnt lgkmcnt(1)
	v_pk_mul_f32 v[6:7], v[12:13], v[6:7] op_sel_hi:[1,0]
	v_pk_add_f32 v[4:5], v[4:5], v[8:9]
	v_pk_fma_f32 v[8:9], v[12:13], v[60:61], v[6:7] op_sel:[0,0,1] op_sel_hi:[1,1,0] neg_lo:[0,0,1] neg_hi:[0,0,1]
	v_pk_fma_f32 v[6:7], v[12:13], v[60:61], v[6:7] op_sel:[0,0,1] op_sel_hi:[1,0,0]
	v_mov_b32_e32 v6, v59
	v_mov_b32_e32 v9, v7
	v_pk_mul_f32 v[6:7], v[14:15], v[6:7] op_sel_hi:[1,0]
	v_pk_add_f32 v[4:5], v[4:5], v[8:9]
	v_pk_fma_f32 v[8:9], v[14:15], v[58:59], v[6:7] op_sel:[0,0,1] op_sel_hi:[1,1,0] neg_lo:[0,0,1] neg_hi:[0,0,1]
	v_pk_fma_f32 v[6:7], v[14:15], v[58:59], v[6:7] op_sel:[0,0,1] op_sel_hi:[1,0,0]
	v_mov_b32_e32 v6, v57
	v_mov_b32_e32 v9, v7
	s_waitcnt lgkmcnt(0)
	v_pk_mul_f32 v[6:7], v[16:17], v[6:7] op_sel_hi:[1,0]
	v_pk_add_f32 v[4:5], v[4:5], v[8:9]
	v_pk_fma_f32 v[8:9], v[16:17], v[56:57], v[6:7] op_sel:[0,0,1] op_sel_hi:[1,1,0] neg_lo:[0,0,1] neg_hi:[0,0,1]
	v_pk_fma_f32 v[6:7], v[16:17], v[56:57], v[6:7] op_sel:[0,0,1] op_sel_hi:[1,0,0]
	s_waitcnt vmcnt(1)
	v_mov_b32_e32 v6, v65
	v_mov_b32_e32 v9, v7
	v_pk_mul_f32 v[6:7], v[18:19], v[6:7] op_sel_hi:[1,0]
	v_pk_add_f32 v[4:5], v[4:5], v[8:9]
	s_waitcnt vmcnt(0)
	v_pk_fma_f32 v[8:9], v[18:19], v[64:65], v[6:7] op_sel:[0,0,1] op_sel_hi:[1,1,0] neg_lo:[0,0,1] neg_hi:[0,0,1]
	v_pk_fma_f32 v[6:7], v[18:19], v[64:65], v[6:7] op_sel:[0,0,1] op_sel_hi:[1,0,0]
	v_mov_b32_e32 v9, v7
	v_pk_add_f32 v[4:5], v[4:5], v[8:9]
	v_pk_add_f32 v[2:3], v[2:3], v[4:5] neg_lo:[0,1] neg_hi:[0,1]
	buffer_store_dword v3, off, s[0:3], 0 offset:252
	buffer_store_dword v2, off, s[0:3], 0 offset:248
	s_and_saveexec_b64 s[4:5], vcc
	s_cbranch_execz .LBB123_313
; %bb.312:
	buffer_load_dword v2, off, s[0:3], 0 offset:240
	buffer_load_dword v3, off, s[0:3], 0 offset:244
	v_mov_b32_e32 v1, 0
	buffer_store_dword v1, off, s[0:3], 0 offset:240
	buffer_store_dword v1, off, s[0:3], 0 offset:244
	s_waitcnt vmcnt(2)
	ds_write_b64 v195, v[2:3]
.LBB123_313:
	s_or_b64 exec, exec, s[4:5]
	s_waitcnt lgkmcnt(0)
	; wave barrier
	s_waitcnt lgkmcnt(0)
	buffer_load_dword v52, off, s[0:3], 0 offset:252
	buffer_load_dword v58, off, s[0:3], 0 offset:260
	;; [unrolled: 1-line block ×44, first 2 shown]
	v_mov_b32_e32 v1, 0
	ds_read2_b64 v[4:7], v1 offset0:91 offset1:92
	ds_read2_b64 v[8:11], v1 offset0:93 offset1:94
	;; [unrolled: 1-line block ×8, first 2 shown]
	v_cmp_lt_u32_e32 vcc, 29, v0
	s_waitcnt vmcnt(43) lgkmcnt(7)
	v_mul_f32_e32 v36, v4, v52
	s_waitcnt vmcnt(42)
	v_mul_f32_e32 v37, v6, v58
	s_waitcnt vmcnt(41) lgkmcnt(6)
	v_mul_f32_e32 v38, v8, v60
	s_waitcnt vmcnt(40)
	v_mul_f32_e32 v39, v10, v74
	;; [unrolled: 4-line block ×7, first 2 shown]
	s_waitcnt vmcnt(29)
	v_fmac_f32_e32 v36, v5, v85
	s_waitcnt vmcnt(28)
	v_fmac_f32_e32 v37, v7, v86
	v_add_f32_e32 v36, 0, v36
	s_waitcnt vmcnt(27)
	v_fmac_f32_e32 v38, v9, v87
	v_add_f32_e32 v36, v36, v37
	;; [unrolled: 3-line block ×12, first 2 shown]
	v_add_f32_e32 v36, v36, v48
	s_waitcnt vmcnt(16)
	v_fmac_f32_e32 v49, v31, v98
	s_waitcnt vmcnt(15) lgkmcnt(0)
	v_mul_f32_e32 v37, v32, v99
	v_add_f32_e32 v36, v36, v49
	s_waitcnt vmcnt(14)
	v_fmac_f32_e32 v37, v33, v100
	v_add_f32_e32 v40, v36, v37
	ds_read2_b64 v[36:39], v1 offset0:107 offset1:108
	s_waitcnt vmcnt(13)
	v_mul_f32_e32 v41, v34, v101
	s_waitcnt vmcnt(12)
	v_fmac_f32_e32 v41, v35, v104
	v_add_f32_e32 v44, v40, v41
	ds_read2_b64 v[40:43], v1 offset0:109 offset1:110
	s_waitcnt vmcnt(11) lgkmcnt(1)
	v_mul_f32_e32 v45, v36, v105
	s_waitcnt vmcnt(10)
	v_fmac_f32_e32 v45, v37, v106
	v_add_f32_e32 v44, v44, v45
	s_waitcnt vmcnt(9)
	v_mul_f32_e32 v45, v38, v107
	s_waitcnt vmcnt(8)
	v_fmac_f32_e32 v45, v39, v108
	v_add_f32_e32 v44, v44, v45
	s_waitcnt vmcnt(7) lgkmcnt(0)
	v_mul_f32_e32 v45, v40, v109
	s_waitcnt vmcnt(6)
	v_fmac_f32_e32 v45, v41, v110
	v_add_f32_e32 v53, v44, v45
	ds_read2_b64 v[44:47], v1 offset0:111 offset1:112
	buffer_load_dword v55, off, s[0:3], 0 offset:428
	buffer_load_dword v54, off, s[0:3], 0 offset:424
	;; [unrolled: 1-line block ×4, first 2 shown]
	ds_read2_b64 v[48:51], v1 offset0:113 offset1:114
	buffer_load_dword v63, off, s[0:3], 0 offset:460
	buffer_load_dword v62, off, s[0:3], 0 offset:456
	;; [unrolled: 1-line block ×12, first 2 shown]
	v_mul_f32_e32 v5, v5, v52
	v_fma_f32 v4, v4, v85, -v5
	v_mul_f32_e32 v5, v7, v58
	v_add_f32_e32 v4, 0, v4
	v_fma_f32 v5, v6, v86, -v5
	v_add_f32_e32 v4, v4, v5
	v_mul_f32_e32 v5, v9, v60
	v_fma_f32 v5, v8, v87, -v5
	v_add_f32_e32 v4, v4, v5
	v_mul_f32_e32 v5, v11, v74
	;; [unrolled: 3-line block ×17, first 2 shown]
	v_fma_f32 v5, v40, v110, -v5
	s_waitcnt vmcnt(21)
	v_mul_f32_e32 v59, v42, v111
	v_add_f32_e32 v52, v4, v5
	v_mul_f32_e32 v4, v43, v111
	s_waitcnt vmcnt(20)
	v_fmac_f32_e32 v59, v43, v112
	s_waitcnt vmcnt(19) lgkmcnt(1)
	v_mul_f32_e32 v61, v44, v113
	v_fma_f32 v58, v42, v112, -v4
	v_mul_f32_e32 v4, v45, v113
	s_waitcnt vmcnt(18)
	v_fmac_f32_e32 v61, v45, v114
	v_fma_f32 v60, v44, v114, -v4
	v_pk_add_f32 v[14:15], v[52:53], v[58:59]
	v_pk_add_f32 v[14:15], v[14:15], v[60:61]
	ds_read2_b64 v[4:7], v1 offset0:115 offset1:116
	ds_read2_b64 v[8:11], v1 offset0:117 offset1:118
	ds_read_b64 v[12:13], v1 offset:952
	s_waitcnt vmcnt(13)
	v_mov_b32_e32 v16, v57
	v_pk_mul_f32 v[16:17], v[46:47], v[16:17] op_sel_hi:[1,0]
	s_waitcnt vmcnt(12)
	v_pk_fma_f32 v[18:19], v[46:47], v[56:57], v[16:17] op_sel:[0,0,1] op_sel_hi:[1,1,0] neg_lo:[0,0,1] neg_hi:[0,0,1]
	v_pk_fma_f32 v[16:17], v[46:47], v[56:57], v[16:17] op_sel:[0,0,1] op_sel_hi:[1,0,0]
	v_mov_b32_e32 v16, v55
	v_mov_b32_e32 v19, v17
	s_waitcnt lgkmcnt(3)
	v_pk_mul_f32 v[16:17], v[48:49], v[16:17] op_sel_hi:[1,0]
	v_pk_add_f32 v[14:15], v[14:15], v[18:19]
	v_pk_fma_f32 v[18:19], v[48:49], v[54:55], v[16:17] op_sel:[0,0,1] op_sel_hi:[1,1,0] neg_lo:[0,0,1] neg_hi:[0,0,1]
	v_pk_fma_f32 v[16:17], v[48:49], v[54:55], v[16:17] op_sel:[0,0,1] op_sel_hi:[1,0,0]
	s_waitcnt vmcnt(5)
	v_mov_b32_e32 v16, v69
	v_mov_b32_e32 v19, v17
	v_pk_mul_f32 v[16:17], v[50:51], v[16:17] op_sel_hi:[1,0]
	v_pk_add_f32 v[14:15], v[14:15], v[18:19]
	s_waitcnt vmcnt(4)
	v_pk_fma_f32 v[18:19], v[50:51], v[68:69], v[16:17] op_sel:[0,0,1] op_sel_hi:[1,1,0] neg_lo:[0,0,1] neg_hi:[0,0,1]
	v_pk_fma_f32 v[16:17], v[50:51], v[68:69], v[16:17] op_sel:[0,0,1] op_sel_hi:[1,0,0]
	v_mov_b32_e32 v16, v67
	v_mov_b32_e32 v19, v17
	s_waitcnt lgkmcnt(2)
	v_pk_mul_f32 v[16:17], v[4:5], v[16:17] op_sel_hi:[1,0]
	v_pk_add_f32 v[14:15], v[14:15], v[18:19]
	v_pk_fma_f32 v[18:19], v[4:5], v[66:67], v[16:17] op_sel:[0,0,1] op_sel_hi:[1,1,0] neg_lo:[0,0,1] neg_hi:[0,0,1]
	v_pk_fma_f32 v[4:5], v[4:5], v[66:67], v[16:17] op_sel:[0,0,1] op_sel_hi:[1,0,0]
	v_mov_b32_e32 v19, v5
	v_pk_add_f32 v[4:5], v[14:15], v[18:19]
	v_mov_b32_e32 v14, v65
	v_pk_mul_f32 v[14:15], v[6:7], v[14:15] op_sel_hi:[1,0]
	v_pk_fma_f32 v[16:17], v[6:7], v[64:65], v[14:15] op_sel:[0,0,1] op_sel_hi:[1,1,0] neg_lo:[0,0,1] neg_hi:[0,0,1]
	v_pk_fma_f32 v[6:7], v[6:7], v[64:65], v[14:15] op_sel:[0,0,1] op_sel_hi:[1,0,0]
	v_mov_b32_e32 v6, v63
	v_mov_b32_e32 v17, v7
	s_waitcnt lgkmcnt(1)
	v_pk_mul_f32 v[6:7], v[8:9], v[6:7] op_sel_hi:[1,0]
	v_pk_fma_f32 v[14:15], v[8:9], v[62:63], v[6:7] op_sel:[0,0,1] op_sel_hi:[1,1,0] neg_lo:[0,0,1] neg_hi:[0,0,1]
	v_pk_fma_f32 v[6:7], v[8:9], v[62:63], v[6:7] op_sel:[0,0,1] op_sel_hi:[1,0,0]
	s_waitcnt vmcnt(1)
	v_mov_b32_e32 v6, v73
	v_mov_b32_e32 v15, v7
	v_pk_mul_f32 v[6:7], v[10:11], v[6:7] op_sel_hi:[1,0]
	s_waitcnt vmcnt(0)
	v_pk_fma_f32 v[8:9], v[10:11], v[72:73], v[6:7] op_sel:[0,0,1] op_sel_hi:[1,1,0] neg_lo:[0,0,1] neg_hi:[0,0,1]
	v_pk_fma_f32 v[6:7], v[10:11], v[72:73], v[6:7] op_sel:[0,0,1] op_sel_hi:[1,0,0]
	v_pk_add_f32 v[4:5], v[4:5], v[16:17]
	v_mov_b32_e32 v6, v71
	v_pk_add_f32 v[4:5], v[4:5], v[14:15]
	v_mov_b32_e32 v9, v7
	s_waitcnt lgkmcnt(0)
	v_pk_mul_f32 v[6:7], v[12:13], v[6:7] op_sel_hi:[1,0]
	v_pk_add_f32 v[4:5], v[4:5], v[8:9]
	v_pk_fma_f32 v[8:9], v[12:13], v[70:71], v[6:7] op_sel:[0,0,1] op_sel_hi:[1,1,0] neg_lo:[0,0,1] neg_hi:[0,0,1]
	v_pk_fma_f32 v[6:7], v[12:13], v[70:71], v[6:7] op_sel:[0,0,1] op_sel_hi:[1,0,0]
	v_mov_b32_e32 v9, v7
	v_pk_add_f32 v[4:5], v[4:5], v[8:9]
	v_pk_add_f32 v[2:3], v[2:3], v[4:5] neg_lo:[0,1] neg_hi:[0,1]
	buffer_store_dword v3, off, s[0:3], 0 offset:244
	buffer_store_dword v2, off, s[0:3], 0 offset:240
	s_and_saveexec_b64 s[4:5], vcc
	s_cbranch_execz .LBB123_315
; %bb.314:
	buffer_load_dword v2, off, s[0:3], 0 offset:232
	buffer_load_dword v3, off, s[0:3], 0 offset:236
	s_waitcnt vmcnt(0)
	ds_write_b64 v195, v[2:3]
	buffer_store_dword v1, off, s[0:3], 0 offset:232
	buffer_store_dword v1, off, s[0:3], 0 offset:236
.LBB123_315:
	s_or_b64 exec, exec, s[4:5]
	s_waitcnt lgkmcnt(0)
	; wave barrier
	s_waitcnt lgkmcnt(0)
	buffer_load_dword v54, off, s[0:3], 0 offset:244
	buffer_load_dword v56, off, s[0:3], 0 offset:252
	;; [unrolled: 1-line block ×46, first 2 shown]
	ds_read_b128 v[4:7], v1 offset:720
	ds_read_b128 v[8:11], v1 offset:736
	;; [unrolled: 1-line block ×8, first 2 shown]
	v_cmp_lt_u32_e32 vcc, 28, v0
	s_waitcnt vmcnt(45) lgkmcnt(7)
	v_mul_f32_e32 v36, v4, v54
	s_waitcnt vmcnt(44)
	v_mul_f32_e32 v37, v6, v56
	s_waitcnt vmcnt(43) lgkmcnt(6)
	v_mul_f32_e32 v38, v8, v58
	s_waitcnt vmcnt(42)
	v_mul_f32_e32 v39, v10, v74
	;; [unrolled: 4-line block ×6, first 2 shown]
	s_waitcnt vmcnt(33) lgkmcnt(1)
	v_mul_f32_e32 v48, v28, v83
	s_waitcnt vmcnt(32)
	v_fmac_f32_e32 v36, v5, v84
	s_waitcnt vmcnt(31)
	v_fmac_f32_e32 v37, v7, v85
	v_add_f32_e32 v36, 0, v36
	s_waitcnt vmcnt(30)
	v_fmac_f32_e32 v38, v9, v86
	v_add_f32_e32 v36, v36, v37
	;; [unrolled: 3-line block ×12, first 2 shown]
	s_waitcnt vmcnt(19)
	v_mul_f32_e32 v37, v30, v97
	v_add_f32_e32 v36, v36, v48
	s_waitcnt vmcnt(18)
	v_fmac_f32_e32 v37, v31, v98
	v_add_f32_e32 v36, v36, v37
	s_waitcnt vmcnt(17) lgkmcnt(0)
	v_mul_f32_e32 v37, v32, v99
	s_waitcnt vmcnt(16)
	v_fmac_f32_e32 v37, v33, v100
	v_add_f32_e32 v40, v36, v37
	ds_read_b128 v[36:39], v1 offset:848
	s_waitcnt vmcnt(15)
	v_mul_f32_e32 v41, v34, v101
	s_waitcnt vmcnt(14)
	v_fmac_f32_e32 v41, v35, v104
	v_add_f32_e32 v44, v40, v41
	ds_read_b128 v[40:43], v1 offset:864
	buffer_load_dword v53, off, s[0:3], 0 offset:420
	buffer_load_dword v52, off, s[0:3], 0 offset:416
	s_waitcnt vmcnt(15) lgkmcnt(1)
	v_mul_f32_e32 v45, v36, v105
	s_waitcnt vmcnt(14)
	v_fmac_f32_e32 v45, v37, v106
	v_add_f32_e32 v44, v44, v45
	s_waitcnt vmcnt(13)
	v_mul_f32_e32 v45, v38, v107
	s_waitcnt vmcnt(12)
	v_fmac_f32_e32 v45, v39, v108
	v_add_f32_e32 v44, v44, v45
	s_waitcnt vmcnt(11) lgkmcnt(0)
	v_mul_f32_e32 v45, v40, v109
	s_waitcnt vmcnt(10)
	v_fmac_f32_e32 v45, v41, v110
	s_waitcnt vmcnt(9)
	v_mul_f32_e32 v49, v42, v111
	v_add_f32_e32 v48, v44, v45
	s_waitcnt vmcnt(8)
	v_fmac_f32_e32 v49, v43, v112
	ds_read_b128 v[44:47], v1 offset:880
	v_add_f32_e32 v55, v48, v49
	ds_read_b128 v[48:51], v1 offset:896
	buffer_load_dword v61, off, s[0:3], 0 offset:452
	buffer_load_dword v60, off, s[0:3], 0 offset:448
	;; [unrolled: 1-line block ×14, first 2 shown]
	v_mul_f32_e32 v5, v5, v54
	v_fma_f32 v4, v4, v84, -v5
	v_mul_f32_e32 v5, v7, v56
	v_add_f32_e32 v4, 0, v4
	v_fma_f32 v5, v6, v85, -v5
	v_add_f32_e32 v4, v4, v5
	v_mul_f32_e32 v5, v9, v58
	v_fma_f32 v5, v8, v86, -v5
	v_add_f32_e32 v4, v4, v5
	v_mul_f32_e32 v5, v11, v74
	;; [unrolled: 3-line block ×18, first 2 shown]
	v_fma_f32 v5, v42, v112, -v5
	s_waitcnt vmcnt(21) lgkmcnt(1)
	v_mul_f32_e32 v57, v44, v113
	v_add_f32_e32 v54, v4, v5
	v_mul_f32_e32 v4, v45, v113
	s_waitcnt vmcnt(20)
	v_fmac_f32_e32 v57, v45, v114
	s_waitcnt vmcnt(15)
	v_mov_b32_e32 v18, v53
	s_waitcnt lgkmcnt(0)
	v_pk_mul_f32 v[18:19], v[48:49], v[18:19] op_sel_hi:[1,0]
	v_mul_f32_e32 v59, v46, v115
	v_fma_f32 v56, v44, v114, -v4
	v_mul_f32_e32 v4, v47, v115
	s_waitcnt vmcnt(14)
	v_pk_fma_f32 v[20:21], v[48:49], v[52:53], v[18:19] op_sel:[0,0,1] op_sel_hi:[1,1,0] neg_lo:[0,0,1] neg_hi:[0,0,1]
	v_pk_fma_f32 v[18:19], v[48:49], v[52:53], v[18:19] op_sel:[0,0,1] op_sel_hi:[1,0,0]
	v_fmac_f32_e32 v59, v47, v116
	v_fma_f32 v58, v46, v116, -v4
	v_pk_add_f32 v[16:17], v[54:55], v[56:57]
	s_waitcnt vmcnt(7)
	v_mov_b32_e32 v18, v67
	ds_read_b128 v[4:7], v1 offset:912
	ds_read_b128 v[8:11], v1 offset:928
	;; [unrolled: 1-line block ×3, first 2 shown]
	v_pk_add_f32 v[16:17], v[16:17], v[58:59]
	v_mov_b32_e32 v21, v19
	v_pk_mul_f32 v[18:19], v[50:51], v[18:19] op_sel_hi:[1,0]
	v_pk_add_f32 v[16:17], v[16:17], v[20:21]
	s_waitcnt vmcnt(6)
	v_pk_fma_f32 v[20:21], v[50:51], v[66:67], v[18:19] op_sel:[0,0,1] op_sel_hi:[1,1,0] neg_lo:[0,0,1] neg_hi:[0,0,1]
	v_pk_fma_f32 v[18:19], v[50:51], v[66:67], v[18:19] op_sel:[0,0,1] op_sel_hi:[1,0,0]
	v_mov_b32_e32 v18, v65
	v_mov_b32_e32 v21, v19
	s_waitcnt lgkmcnt(2)
	v_pk_mul_f32 v[18:19], v[4:5], v[18:19] op_sel_hi:[1,0]
	v_pk_add_f32 v[16:17], v[16:17], v[20:21]
	v_pk_fma_f32 v[20:21], v[4:5], v[64:65], v[18:19] op_sel:[0,0,1] op_sel_hi:[1,1,0] neg_lo:[0,0,1] neg_hi:[0,0,1]
	v_pk_fma_f32 v[4:5], v[4:5], v[64:65], v[18:19] op_sel:[0,0,1] op_sel_hi:[1,0,0]
	v_mov_b32_e32 v21, v5
	v_pk_add_f32 v[4:5], v[16:17], v[20:21]
	v_mov_b32_e32 v16, v63
	v_pk_mul_f32 v[16:17], v[6:7], v[16:17] op_sel_hi:[1,0]
	v_pk_fma_f32 v[18:19], v[6:7], v[62:63], v[16:17] op_sel:[0,0,1] op_sel_hi:[1,1,0] neg_lo:[0,0,1] neg_hi:[0,0,1]
	v_pk_fma_f32 v[6:7], v[6:7], v[62:63], v[16:17] op_sel:[0,0,1] op_sel_hi:[1,0,0]
	v_mov_b32_e32 v6, v61
	v_mov_b32_e32 v19, v7
	s_waitcnt lgkmcnt(1)
	v_pk_mul_f32 v[6:7], v[8:9], v[6:7] op_sel_hi:[1,0]
	v_pk_fma_f32 v[16:17], v[8:9], v[60:61], v[6:7] op_sel:[0,0,1] op_sel_hi:[1,1,0] neg_lo:[0,0,1] neg_hi:[0,0,1]
	v_pk_fma_f32 v[6:7], v[8:9], v[60:61], v[6:7] op_sel:[0,0,1] op_sel_hi:[1,0,0]
	s_waitcnt vmcnt(1)
	v_mov_b32_e32 v6, v73
	v_mov_b32_e32 v17, v7
	v_pk_mul_f32 v[6:7], v[10:11], v[6:7] op_sel_hi:[1,0]
	s_waitcnt vmcnt(0)
	v_pk_fma_f32 v[8:9], v[10:11], v[72:73], v[6:7] op_sel:[0,0,1] op_sel_hi:[1,1,0] neg_lo:[0,0,1] neg_hi:[0,0,1]
	v_pk_fma_f32 v[6:7], v[10:11], v[72:73], v[6:7] op_sel:[0,0,1] op_sel_hi:[1,0,0]
	v_pk_add_f32 v[4:5], v[4:5], v[18:19]
	v_mov_b32_e32 v6, v71
	v_pk_add_f32 v[4:5], v[4:5], v[16:17]
	v_mov_b32_e32 v9, v7
	s_waitcnt lgkmcnt(0)
	v_pk_mul_f32 v[6:7], v[12:13], v[6:7] op_sel_hi:[1,0]
	v_pk_add_f32 v[4:5], v[4:5], v[8:9]
	v_pk_fma_f32 v[8:9], v[12:13], v[70:71], v[6:7] op_sel:[0,0,1] op_sel_hi:[1,1,0] neg_lo:[0,0,1] neg_hi:[0,0,1]
	v_pk_fma_f32 v[6:7], v[12:13], v[70:71], v[6:7] op_sel:[0,0,1] op_sel_hi:[1,0,0]
	v_mov_b32_e32 v6, v69
	v_mov_b32_e32 v9, v7
	v_pk_mul_f32 v[6:7], v[14:15], v[6:7] op_sel_hi:[1,0]
	v_pk_add_f32 v[4:5], v[4:5], v[8:9]
	v_pk_fma_f32 v[8:9], v[14:15], v[68:69], v[6:7] op_sel:[0,0,1] op_sel_hi:[1,1,0] neg_lo:[0,0,1] neg_hi:[0,0,1]
	v_pk_fma_f32 v[6:7], v[14:15], v[68:69], v[6:7] op_sel:[0,0,1] op_sel_hi:[1,0,0]
	v_mov_b32_e32 v9, v7
	v_pk_add_f32 v[4:5], v[4:5], v[8:9]
	v_pk_add_f32 v[2:3], v[2:3], v[4:5] neg_lo:[0,1] neg_hi:[0,1]
	buffer_store_dword v3, off, s[0:3], 0 offset:236
	buffer_store_dword v2, off, s[0:3], 0 offset:232
	s_and_saveexec_b64 s[4:5], vcc
	s_cbranch_execz .LBB123_317
; %bb.316:
	buffer_load_dword v2, off, s[0:3], 0 offset:224
	buffer_load_dword v3, off, s[0:3], 0 offset:228
	v_mov_b32_e32 v1, 0
	buffer_store_dword v1, off, s[0:3], 0 offset:224
	buffer_store_dword v1, off, s[0:3], 0 offset:228
	s_waitcnt vmcnt(2)
	ds_write_b64 v195, v[2:3]
.LBB123_317:
	s_or_b64 exec, exec, s[4:5]
	s_waitcnt lgkmcnt(0)
	; wave barrier
	s_waitcnt lgkmcnt(0)
	buffer_load_dword v52, off, s[0:3], 0 offset:236
	buffer_load_dword v54, off, s[0:3], 0 offset:244
	;; [unrolled: 1-line block ×48, first 2 shown]
	v_mov_b32_e32 v1, 0
	ds_read2_b64 v[4:7], v1 offset0:89 offset1:90
	ds_read2_b64 v[8:11], v1 offset0:91 offset1:92
	;; [unrolled: 1-line block ×6, first 2 shown]
	v_cmp_lt_u32_e32 vcc, 27, v0
	s_waitcnt vmcnt(47) lgkmcnt(5)
	v_mul_f32_e32 v28, v4, v52
	s_waitcnt vmcnt(46)
	v_mul_f32_e32 v29, v6, v54
	s_waitcnt vmcnt(45) lgkmcnt(4)
	v_mul_f32_e32 v30, v8, v56
	s_waitcnt vmcnt(44)
	v_mul_f32_e32 v31, v10, v74
	;; [unrolled: 4-line block ×6, first 2 shown]
	s_waitcnt vmcnt(35)
	v_fmac_f32_e32 v28, v5, v83
	s_waitcnt vmcnt(34)
	v_fmac_f32_e32 v29, v7, v84
	v_add_f32_e32 v28, 0, v28
	s_waitcnt vmcnt(33)
	v_fmac_f32_e32 v30, v9, v85
	v_add_f32_e32 v28, v28, v29
	;; [unrolled: 3-line block ×8, first 2 shown]
	v_add_f32_e32 v32, v28, v36
	ds_read2_b64 v[28:31], v1 offset0:101 offset1:102
	s_waitcnt vmcnt(26)
	v_fmac_f32_e32 v37, v23, v92
	s_waitcnt vmcnt(25)
	v_fmac_f32_e32 v38, v25, v93
	v_add_f32_e32 v32, v32, v37
	s_waitcnt vmcnt(24)
	v_fmac_f32_e32 v39, v27, v94
	v_add_f32_e32 v32, v32, v38
	v_add_f32_e32 v36, v32, v39
	ds_read2_b64 v[32:35], v1 offset0:103 offset1:104
	s_waitcnt vmcnt(23) lgkmcnt(1)
	v_mul_f32_e32 v37, v28, v95
	s_waitcnt vmcnt(22)
	v_fmac_f32_e32 v37, v29, v96
	v_add_f32_e32 v36, v36, v37
	s_waitcnt vmcnt(21)
	v_mul_f32_e32 v37, v30, v97
	s_waitcnt vmcnt(20)
	v_fmac_f32_e32 v37, v31, v98
	v_add_f32_e32 v36, v36, v37
	s_waitcnt vmcnt(19) lgkmcnt(0)
	v_mul_f32_e32 v37, v32, v99
	s_waitcnt vmcnt(18)
	v_fmac_f32_e32 v37, v33, v100
	v_add_f32_e32 v40, v36, v37
	ds_read2_b64 v[36:39], v1 offset0:105 offset1:106
	s_waitcnt vmcnt(17)
	v_mul_f32_e32 v41, v34, v101
	s_waitcnt vmcnt(16)
	v_fmac_f32_e32 v41, v35, v104
	v_add_f32_e32 v44, v40, v41
	ds_read2_b64 v[40:43], v1 offset0:107 offset1:108
	s_waitcnt vmcnt(15) lgkmcnt(1)
	v_mul_f32_e32 v45, v36, v105
	s_waitcnt vmcnt(14)
	v_fmac_f32_e32 v45, v37, v106
	v_add_f32_e32 v44, v44, v45
	s_waitcnt vmcnt(13)
	v_mul_f32_e32 v45, v38, v107
	s_waitcnt vmcnt(12)
	v_fmac_f32_e32 v45, v39, v108
	v_add_f32_e32 v44, v44, v45
	s_waitcnt vmcnt(11) lgkmcnt(0)
	v_mul_f32_e32 v45, v40, v109
	s_waitcnt vmcnt(10)
	v_fmac_f32_e32 v45, v41, v110
	s_waitcnt vmcnt(9)
	v_mul_f32_e32 v49, v42, v111
	v_add_f32_e32 v48, v44, v45
	s_waitcnt vmcnt(8)
	v_fmac_f32_e32 v49, v43, v112
	ds_read2_b64 v[44:47], v1 offset0:109 offset1:110
	v_add_f32_e32 v53, v48, v49
	ds_read2_b64 v[48:51], v1 offset0:111 offset1:112
	buffer_load_dword v59, off, s[0:3], 0 offset:444
	buffer_load_dword v58, off, s[0:3], 0 offset:440
	;; [unrolled: 1-line block ×16, first 2 shown]
	v_mul_f32_e32 v5, v5, v52
	v_fma_f32 v4, v4, v83, -v5
	v_mul_f32_e32 v5, v7, v54
	v_add_f32_e32 v4, 0, v4
	v_fma_f32 v5, v6, v84, -v5
	v_add_f32_e32 v4, v4, v5
	v_mul_f32_e32 v5, v9, v56
	v_fma_f32 v5, v8, v85, -v5
	v_add_f32_e32 v4, v4, v5
	v_mul_f32_e32 v5, v11, v74
	v_fma_f32 v5, v10, v86, -v5
	v_add_f32_e32 v4, v4, v5
	v_mul_f32_e32 v5, v13, v75
	v_fma_f32 v5, v12, v87, -v5
	v_add_f32_e32 v4, v4, v5
	v_mul_f32_e32 v5, v15, v76
	v_fma_f32 v5, v14, v88, -v5
	v_add_f32_e32 v4, v4, v5
	v_mul_f32_e32 v5, v17, v77
	v_fma_f32 v5, v16, v89, -v5
	v_add_f32_e32 v4, v4, v5
	v_mul_f32_e32 v5, v19, v78
	v_fma_f32 v5, v18, v90, -v5
	v_add_f32_e32 v4, v4, v5
	v_mul_f32_e32 v5, v21, v79
	v_fma_f32 v5, v20, v91, -v5
	v_add_f32_e32 v4, v4, v5
	v_mul_f32_e32 v5, v23, v80
	v_fma_f32 v5, v22, v92, -v5
	v_add_f32_e32 v4, v4, v5
	v_mul_f32_e32 v5, v25, v81
	v_fma_f32 v5, v24, v93, -v5
	v_add_f32_e32 v4, v4, v5
	v_mul_f32_e32 v5, v27, v82
	v_fma_f32 v5, v26, v94, -v5
	v_add_f32_e32 v4, v4, v5
	v_mul_f32_e32 v5, v29, v95
	v_fma_f32 v5, v28, v96, -v5
	v_add_f32_e32 v4, v4, v5
	v_mul_f32_e32 v5, v31, v97
	v_fma_f32 v5, v30, v98, -v5
	v_add_f32_e32 v4, v4, v5
	v_mul_f32_e32 v5, v33, v99
	v_fma_f32 v5, v32, v100, -v5
	v_add_f32_e32 v4, v4, v5
	v_mul_f32_e32 v5, v35, v101
	v_fma_f32 v5, v34, v104, -v5
	v_add_f32_e32 v4, v4, v5
	v_mul_f32_e32 v5, v37, v105
	v_fma_f32 v5, v36, v106, -v5
	v_add_f32_e32 v4, v4, v5
	v_mul_f32_e32 v5, v39, v107
	v_fma_f32 v5, v38, v108, -v5
	v_add_f32_e32 v4, v4, v5
	v_mul_f32_e32 v5, v41, v109
	v_fma_f32 v5, v40, v110, -v5
	v_add_f32_e32 v4, v4, v5
	v_mul_f32_e32 v5, v43, v111
	v_fma_f32 v5, v42, v112, -v5
	v_add_f32_e32 v4, v4, v5
	s_waitcnt vmcnt(22) lgkmcnt(1)
	v_mul_f32_e32 v5, v45, v114
	v_mul_f32_e32 v55, v44, v114
	v_fma_f32 v5, v44, v113, -v5
	v_fmac_f32_e32 v55, v45, v113
	v_add_f32_e32 v52, v4, v5
	s_waitcnt vmcnt(19)
	v_mul_f32_e32 v4, v47, v115
	v_add_f32_e32 v53, v53, v55
	v_mul_f32_e32 v55, v46, v115
	s_waitcnt vmcnt(18)
	v_fma_f32 v54, v46, v116, -v4
	s_waitcnt vmcnt(17) lgkmcnt(0)
	v_mul_f32_e32 v4, v49, v117
	s_waitcnt vmcnt(9)
	v_mov_b32_e32 v20, v65
	v_pk_mul_f32 v[20:21], v[50:51], v[20:21] op_sel_hi:[1,0]
	v_fmac_f32_e32 v55, v47, v116
	v_mul_f32_e32 v57, v48, v117
	v_fma_f32 v56, v48, v118, -v4
	ds_read2_b64 v[4:7], v1 offset0:113 offset1:114
	ds_read2_b64 v[8:11], v1 offset0:115 offset1:116
	;; [unrolled: 1-line block ×3, first 2 shown]
	ds_read_b64 v[16:17], v1 offset:952
	s_waitcnt vmcnt(8)
	v_pk_fma_f32 v[22:23], v[50:51], v[64:65], v[20:21] op_sel:[0,0,1] op_sel_hi:[1,1,0] neg_lo:[0,0,1] neg_hi:[0,0,1]
	v_pk_fma_f32 v[20:21], v[50:51], v[64:65], v[20:21] op_sel:[0,0,1] op_sel_hi:[1,0,0]
	v_fmac_f32_e32 v57, v49, v118
	v_pk_add_f32 v[18:19], v[52:53], v[54:55]
	v_mov_b32_e32 v20, v63
	v_pk_add_f32 v[18:19], v[18:19], v[56:57]
	v_mov_b32_e32 v23, v21
	s_waitcnt lgkmcnt(3)
	v_pk_mul_f32 v[20:21], v[4:5], v[20:21] op_sel_hi:[1,0]
	v_pk_add_f32 v[18:19], v[18:19], v[22:23]
	v_pk_fma_f32 v[22:23], v[4:5], v[62:63], v[20:21] op_sel:[0,0,1] op_sel_hi:[1,1,0] neg_lo:[0,0,1] neg_hi:[0,0,1]
	v_pk_fma_f32 v[4:5], v[4:5], v[62:63], v[20:21] op_sel:[0,0,1] op_sel_hi:[1,0,0]
	v_mov_b32_e32 v23, v5
	v_pk_add_f32 v[4:5], v[18:19], v[22:23]
	v_mov_b32_e32 v18, v61
	v_pk_mul_f32 v[18:19], v[6:7], v[18:19] op_sel_hi:[1,0]
	v_pk_fma_f32 v[20:21], v[6:7], v[60:61], v[18:19] op_sel:[0,0,1] op_sel_hi:[1,1,0] neg_lo:[0,0,1] neg_hi:[0,0,1]
	v_pk_fma_f32 v[6:7], v[6:7], v[60:61], v[18:19] op_sel:[0,0,1] op_sel_hi:[1,0,0]
	v_mov_b32_e32 v6, v59
	v_mov_b32_e32 v21, v7
	s_waitcnt lgkmcnt(2)
	v_pk_mul_f32 v[6:7], v[8:9], v[6:7] op_sel_hi:[1,0]
	v_pk_fma_f32 v[18:19], v[8:9], v[58:59], v[6:7] op_sel:[0,0,1] op_sel_hi:[1,1,0] neg_lo:[0,0,1] neg_hi:[0,0,1]
	v_pk_fma_f32 v[6:7], v[8:9], v[58:59], v[6:7] op_sel:[0,0,1] op_sel_hi:[1,0,0]
	s_waitcnt vmcnt(1)
	v_mov_b32_e32 v6, v73
	v_mov_b32_e32 v19, v7
	v_pk_mul_f32 v[6:7], v[10:11], v[6:7] op_sel_hi:[1,0]
	s_waitcnt vmcnt(0)
	v_pk_fma_f32 v[8:9], v[10:11], v[72:73], v[6:7] op_sel:[0,0,1] op_sel_hi:[1,1,0] neg_lo:[0,0,1] neg_hi:[0,0,1]
	v_pk_fma_f32 v[6:7], v[10:11], v[72:73], v[6:7] op_sel:[0,0,1] op_sel_hi:[1,0,0]
	v_pk_add_f32 v[4:5], v[4:5], v[20:21]
	v_mov_b32_e32 v6, v71
	v_pk_add_f32 v[4:5], v[4:5], v[18:19]
	v_mov_b32_e32 v9, v7
	s_waitcnt lgkmcnt(1)
	v_pk_mul_f32 v[6:7], v[12:13], v[6:7] op_sel_hi:[1,0]
	v_pk_add_f32 v[4:5], v[4:5], v[8:9]
	v_pk_fma_f32 v[8:9], v[12:13], v[70:71], v[6:7] op_sel:[0,0,1] op_sel_hi:[1,1,0] neg_lo:[0,0,1] neg_hi:[0,0,1]
	v_pk_fma_f32 v[6:7], v[12:13], v[70:71], v[6:7] op_sel:[0,0,1] op_sel_hi:[1,0,0]
	v_mov_b32_e32 v6, v69
	v_mov_b32_e32 v9, v7
	v_pk_mul_f32 v[6:7], v[14:15], v[6:7] op_sel_hi:[1,0]
	v_pk_add_f32 v[4:5], v[4:5], v[8:9]
	v_pk_fma_f32 v[8:9], v[14:15], v[68:69], v[6:7] op_sel:[0,0,1] op_sel_hi:[1,1,0] neg_lo:[0,0,1] neg_hi:[0,0,1]
	v_pk_fma_f32 v[6:7], v[14:15], v[68:69], v[6:7] op_sel:[0,0,1] op_sel_hi:[1,0,0]
	v_mov_b32_e32 v6, v67
	v_mov_b32_e32 v9, v7
	s_waitcnt lgkmcnt(0)
	v_pk_mul_f32 v[6:7], v[16:17], v[6:7] op_sel_hi:[1,0]
	v_pk_add_f32 v[4:5], v[4:5], v[8:9]
	v_pk_fma_f32 v[8:9], v[16:17], v[66:67], v[6:7] op_sel:[0,0,1] op_sel_hi:[1,1,0] neg_lo:[0,0,1] neg_hi:[0,0,1]
	v_pk_fma_f32 v[6:7], v[16:17], v[66:67], v[6:7] op_sel:[0,0,1] op_sel_hi:[1,0,0]
	v_mov_b32_e32 v9, v7
	v_pk_add_f32 v[4:5], v[4:5], v[8:9]
	v_pk_add_f32 v[2:3], v[2:3], v[4:5] neg_lo:[0,1] neg_hi:[0,1]
	buffer_store_dword v3, off, s[0:3], 0 offset:228
	buffer_store_dword v2, off, s[0:3], 0 offset:224
	s_and_saveexec_b64 s[4:5], vcc
	s_cbranch_execz .LBB123_319
; %bb.318:
	buffer_load_dword v2, off, s[0:3], 0 offset:216
	buffer_load_dword v3, off, s[0:3], 0 offset:220
	s_waitcnt vmcnt(0)
	ds_write_b64 v195, v[2:3]
	buffer_store_dword v1, off, s[0:3], 0 offset:216
	buffer_store_dword v1, off, s[0:3], 0 offset:220
.LBB123_319:
	s_or_b64 exec, exec, s[4:5]
	s_waitcnt lgkmcnt(0)
	; wave barrier
	s_waitcnt lgkmcnt(0)
	buffer_load_dword v52, off, s[0:3], 0 offset:228
	buffer_load_dword v54, off, s[0:3], 0 offset:236
	;; [unrolled: 1-line block ×48, first 2 shown]
	ds_read_b128 v[4:7], v1 offset:704
	ds_read_b128 v[8:11], v1 offset:720
	;; [unrolled: 1-line block ×6, first 2 shown]
	buffer_load_dword v119, off, s[0:3], 0 offset:408
	buffer_load_dword v120, off, s[0:3], 0 offset:412
	v_cmp_lt_u32_e32 vcc, 26, v0
	s_waitcnt vmcnt(49) lgkmcnt(5)
	v_mul_f32_e32 v28, v4, v52
	s_waitcnt vmcnt(48)
	v_mul_f32_e32 v29, v6, v54
	s_waitcnt vmcnt(47) lgkmcnt(4)
	v_mul_f32_e32 v30, v8, v62
	s_waitcnt vmcnt(46)
	v_mul_f32_e32 v31, v10, v74
	;; [unrolled: 4-line block ×6, first 2 shown]
	s_waitcnt vmcnt(37)
	v_fmac_f32_e32 v28, v5, v83
	s_waitcnt vmcnt(36)
	v_fmac_f32_e32 v29, v7, v84
	v_add_f32_e32 v28, 0, v28
	s_waitcnt vmcnt(35)
	v_fmac_f32_e32 v30, v9, v85
	v_add_f32_e32 v28, v28, v29
	s_waitcnt vmcnt(34)
	v_fmac_f32_e32 v31, v11, v86
	v_add_f32_e32 v28, v28, v30
	s_waitcnt vmcnt(33)
	v_fmac_f32_e32 v32, v13, v87
	v_add_f32_e32 v28, v28, v31
	s_waitcnt vmcnt(32)
	v_fmac_f32_e32 v33, v15, v88
	v_add_f32_e32 v28, v28, v32
	s_waitcnt vmcnt(31)
	v_fmac_f32_e32 v34, v17, v89
	v_add_f32_e32 v28, v28, v33
	s_waitcnt vmcnt(30)
	v_fmac_f32_e32 v35, v19, v90
	v_add_f32_e32 v28, v28, v34
	s_waitcnt vmcnt(29)
	v_fmac_f32_e32 v36, v21, v91
	v_add_f32_e32 v28, v28, v35
	s_waitcnt vmcnt(28)
	v_fmac_f32_e32 v37, v23, v92
	v_add_f32_e32 v28, v28, v36
	v_add_f32_e32 v32, v28, v37
	ds_read_b128 v[28:31], v1 offset:800
	s_waitcnt vmcnt(27)
	v_fmac_f32_e32 v38, v25, v93
	v_add_f32_e32 v32, v32, v38
	s_waitcnt vmcnt(26)
	v_fmac_f32_e32 v39, v27, v94
	v_add_f32_e32 v36, v32, v39
	ds_read_b128 v[32:35], v1 offset:816
	s_waitcnt vmcnt(25) lgkmcnt(1)
	v_mul_f32_e32 v37, v28, v95
	s_waitcnt vmcnt(24)
	v_fmac_f32_e32 v37, v29, v96
	v_add_f32_e32 v36, v36, v37
	s_waitcnt vmcnt(23)
	v_mul_f32_e32 v37, v30, v97
	s_waitcnt vmcnt(22)
	v_fmac_f32_e32 v37, v31, v98
	v_add_f32_e32 v36, v36, v37
	s_waitcnt vmcnt(21) lgkmcnt(0)
	v_mul_f32_e32 v37, v32, v99
	s_waitcnt vmcnt(20)
	v_fmac_f32_e32 v37, v33, v100
	v_add_f32_e32 v40, v36, v37
	ds_read_b128 v[36:39], v1 offset:832
	s_waitcnt vmcnt(19)
	v_mul_f32_e32 v41, v34, v101
	s_waitcnt vmcnt(18)
	v_fmac_f32_e32 v41, v35, v104
	v_add_f32_e32 v44, v40, v41
	ds_read_b128 v[40:43], v1 offset:848
	s_waitcnt vmcnt(17) lgkmcnt(1)
	v_mul_f32_e32 v45, v36, v105
	s_waitcnt vmcnt(16)
	v_fmac_f32_e32 v45, v37, v106
	v_add_f32_e32 v44, v44, v45
	s_waitcnt vmcnt(15)
	v_mul_f32_e32 v45, v38, v107
	s_waitcnt vmcnt(14)
	v_fmac_f32_e32 v45, v39, v108
	v_add_f32_e32 v44, v44, v45
	s_waitcnt vmcnt(13) lgkmcnt(0)
	v_mul_f32_e32 v45, v40, v109
	s_waitcnt vmcnt(12)
	v_fmac_f32_e32 v45, v41, v110
	s_waitcnt vmcnt(11)
	v_mul_f32_e32 v49, v42, v111
	v_add_f32_e32 v48, v44, v45
	s_waitcnt vmcnt(10)
	v_fmac_f32_e32 v49, v43, v112
	ds_read_b128 v[44:47], v1 offset:864
	v_add_f32_e32 v53, v48, v49
	ds_read_b128 v[48:51], v1 offset:880
	buffer_load_dword v57, off, s[0:3], 0 offset:436
	buffer_load_dword v56, off, s[0:3], 0 offset:432
	;; [unrolled: 1-line block ×16, first 2 shown]
	v_mul_f32_e32 v5, v5, v52
	v_fma_f32 v4, v4, v83, -v5
	v_mul_f32_e32 v5, v7, v54
	v_add_f32_e32 v4, 0, v4
	v_fma_f32 v5, v6, v84, -v5
	v_add_f32_e32 v4, v4, v5
	v_mul_f32_e32 v5, v9, v62
	v_fma_f32 v5, v8, v85, -v5
	v_add_f32_e32 v4, v4, v5
	v_mul_f32_e32 v5, v11, v74
	;; [unrolled: 3-line block ×18, first 2 shown]
	v_fma_f32 v5, v42, v112, -v5
	v_add_f32_e32 v4, v4, v5
	s_waitcnt vmcnt(23) lgkmcnt(1)
	v_mul_f32_e32 v5, v45, v113
	s_waitcnt vmcnt(22)
	v_fma_f32 v5, v44, v114, -v5
	v_add_f32_e32 v4, v4, v5
	s_waitcnt vmcnt(20)
	v_mul_f32_e32 v5, v47, v116
	v_mul_f32_e32 v55, v44, v113
	v_fma_f32 v5, v46, v115, -v5
	v_fmac_f32_e32 v55, v45, v114
	v_add_f32_e32 v52, v4, v5
	s_waitcnt vmcnt(18) lgkmcnt(0)
	v_mul_f32_e32 v4, v49, v118
	v_add_f32_e32 v53, v53, v55
	v_mul_f32_e32 v55, v46, v116
	v_fma_f32 v54, v48, v117, -v4
	s_waitcnt vmcnt(16)
	v_mul_f32_e32 v4, v51, v120
	v_fmac_f32_e32 v55, v47, v115
	v_fma_f32 v62, v50, v119, -v4
	ds_read_b128 v[4:7], v1 offset:896
	ds_read_b128 v[8:11], v1 offset:912
	ds_read_b128 v[12:15], v1 offset:928
	ds_read_b128 v[16:19], v1 offset:944
	v_add_f32_e32 v53, v53, v55
	v_mul_f32_e32 v55, v48, v118
	s_waitcnt vmcnt(11)
	v_mov_b32_e32 v22, v61
	v_fmac_f32_e32 v55, v49, v117
	v_mul_f32_e32 v63, v50, v120
	s_waitcnt lgkmcnt(3)
	v_pk_mul_f32 v[22:23], v[4:5], v[22:23] op_sel_hi:[1,0]
	v_fmac_f32_e32 v63, v51, v119
	v_pk_add_f32 v[20:21], v[52:53], v[54:55]
	s_waitcnt vmcnt(10)
	v_pk_fma_f32 v[24:25], v[4:5], v[60:61], v[22:23] op_sel:[0,0,1] op_sel_hi:[1,1,0] neg_lo:[0,0,1] neg_hi:[0,0,1]
	v_pk_fma_f32 v[4:5], v[4:5], v[60:61], v[22:23] op_sel:[0,0,1] op_sel_hi:[1,0,0]
	v_pk_add_f32 v[20:21], v[20:21], v[62:63]
	v_mov_b32_e32 v25, v5
	v_pk_add_f32 v[4:5], v[20:21], v[24:25]
	v_mov_b32_e32 v20, v59
	v_pk_mul_f32 v[20:21], v[6:7], v[20:21] op_sel_hi:[1,0]
	v_pk_fma_f32 v[22:23], v[6:7], v[58:59], v[20:21] op_sel:[0,0,1] op_sel_hi:[1,1,0] neg_lo:[0,0,1] neg_hi:[0,0,1]
	v_pk_fma_f32 v[6:7], v[6:7], v[58:59], v[20:21] op_sel:[0,0,1] op_sel_hi:[1,0,0]
	v_mov_b32_e32 v6, v57
	v_mov_b32_e32 v23, v7
	s_waitcnt lgkmcnt(2)
	v_pk_mul_f32 v[6:7], v[8:9], v[6:7] op_sel_hi:[1,0]
	v_pk_fma_f32 v[20:21], v[8:9], v[56:57], v[6:7] op_sel:[0,0,1] op_sel_hi:[1,1,0] neg_lo:[0,0,1] neg_hi:[0,0,1]
	v_pk_fma_f32 v[6:7], v[8:9], v[56:57], v[6:7] op_sel:[0,0,1] op_sel_hi:[1,0,0]
	s_waitcnt vmcnt(3)
	v_mov_b32_e32 v6, v71
	v_mov_b32_e32 v21, v7
	v_pk_mul_f32 v[6:7], v[10:11], v[6:7] op_sel_hi:[1,0]
	s_waitcnt vmcnt(2)
	v_pk_fma_f32 v[8:9], v[10:11], v[70:71], v[6:7] op_sel:[0,0,1] op_sel_hi:[1,1,0] neg_lo:[0,0,1] neg_hi:[0,0,1]
	v_pk_fma_f32 v[6:7], v[10:11], v[70:71], v[6:7] op_sel:[0,0,1] op_sel_hi:[1,0,0]
	v_pk_add_f32 v[4:5], v[4:5], v[22:23]
	v_mov_b32_e32 v6, v69
	v_pk_add_f32 v[4:5], v[4:5], v[20:21]
	v_mov_b32_e32 v9, v7
	s_waitcnt lgkmcnt(1)
	v_pk_mul_f32 v[6:7], v[12:13], v[6:7] op_sel_hi:[1,0]
	v_pk_add_f32 v[4:5], v[4:5], v[8:9]
	v_pk_fma_f32 v[8:9], v[12:13], v[68:69], v[6:7] op_sel:[0,0,1] op_sel_hi:[1,1,0] neg_lo:[0,0,1] neg_hi:[0,0,1]
	v_pk_fma_f32 v[6:7], v[12:13], v[68:69], v[6:7] op_sel:[0,0,1] op_sel_hi:[1,0,0]
	v_mov_b32_e32 v6, v67
	v_mov_b32_e32 v9, v7
	v_pk_mul_f32 v[6:7], v[14:15], v[6:7] op_sel_hi:[1,0]
	v_pk_add_f32 v[4:5], v[4:5], v[8:9]
	v_pk_fma_f32 v[8:9], v[14:15], v[66:67], v[6:7] op_sel:[0,0,1] op_sel_hi:[1,1,0] neg_lo:[0,0,1] neg_hi:[0,0,1]
	v_pk_fma_f32 v[6:7], v[14:15], v[66:67], v[6:7] op_sel:[0,0,1] op_sel_hi:[1,0,0]
	v_mov_b32_e32 v6, v65
	v_mov_b32_e32 v9, v7
	s_waitcnt lgkmcnt(0)
	v_pk_mul_f32 v[6:7], v[16:17], v[6:7] op_sel_hi:[1,0]
	v_pk_add_f32 v[4:5], v[4:5], v[8:9]
	v_pk_fma_f32 v[8:9], v[16:17], v[64:65], v[6:7] op_sel:[0,0,1] op_sel_hi:[1,1,0] neg_lo:[0,0,1] neg_hi:[0,0,1]
	v_pk_fma_f32 v[6:7], v[16:17], v[64:65], v[6:7] op_sel:[0,0,1] op_sel_hi:[1,0,0]
	s_waitcnt vmcnt(1)
	v_mov_b32_e32 v6, v73
	v_mov_b32_e32 v9, v7
	v_pk_mul_f32 v[6:7], v[18:19], v[6:7] op_sel_hi:[1,0]
	v_pk_add_f32 v[4:5], v[4:5], v[8:9]
	s_waitcnt vmcnt(0)
	v_pk_fma_f32 v[8:9], v[18:19], v[72:73], v[6:7] op_sel:[0,0,1] op_sel_hi:[1,1,0] neg_lo:[0,0,1] neg_hi:[0,0,1]
	v_pk_fma_f32 v[6:7], v[18:19], v[72:73], v[6:7] op_sel:[0,0,1] op_sel_hi:[1,0,0]
	v_mov_b32_e32 v9, v7
	v_pk_add_f32 v[4:5], v[4:5], v[8:9]
	v_pk_add_f32 v[2:3], v[2:3], v[4:5] neg_lo:[0,1] neg_hi:[0,1]
	buffer_store_dword v3, off, s[0:3], 0 offset:220
	buffer_store_dword v2, off, s[0:3], 0 offset:216
	s_and_saveexec_b64 s[4:5], vcc
	s_cbranch_execz .LBB123_321
; %bb.320:
	buffer_load_dword v2, off, s[0:3], 0 offset:208
	buffer_load_dword v3, off, s[0:3], 0 offset:212
	v_mov_b32_e32 v1, 0
	buffer_store_dword v1, off, s[0:3], 0 offset:208
	buffer_store_dword v1, off, s[0:3], 0 offset:212
	s_waitcnt vmcnt(2)
	ds_write_b64 v195, v[2:3]
.LBB123_321:
	s_or_b64 exec, exec, s[4:5]
	s_waitcnt lgkmcnt(0)
	; wave barrier
	s_waitcnt lgkmcnt(0)
	buffer_load_dword v60, off, s[0:3], 0 offset:220
	buffer_load_dword v66, off, s[0:3], 0 offset:228
	;; [unrolled: 1-line block ×52, first 2 shown]
	v_mov_b32_e32 v1, 0
	ds_read2_b64 v[4:7], v1 offset0:87 offset1:88
	ds_read2_b64 v[8:11], v1 offset0:89 offset1:90
	;; [unrolled: 1-line block ×6, first 2 shown]
	v_cmp_lt_u32_e32 vcc, 25, v0
	s_waitcnt vmcnt(51) lgkmcnt(5)
	v_mul_f32_e32 v28, v4, v60
	s_waitcnt vmcnt(50)
	v_mul_f32_e32 v29, v6, v66
	s_waitcnt vmcnt(49) lgkmcnt(4)
	v_mul_f32_e32 v30, v8, v68
	s_waitcnt vmcnt(48)
	v_mul_f32_e32 v31, v10, v82
	s_waitcnt vmcnt(47) lgkmcnt(3)
	v_mul_f32_e32 v32, v12, v83
	s_waitcnt vmcnt(46)
	v_mul_f32_e32 v33, v14, v84
	s_waitcnt vmcnt(45) lgkmcnt(2)
	v_mul_f32_e32 v34, v16, v85
	s_waitcnt vmcnt(44)
	v_mul_f32_e32 v35, v18, v86
	s_waitcnt vmcnt(43) lgkmcnt(1)
	v_mul_f32_e32 v36, v20, v87
	s_waitcnt vmcnt(42)
	v_mul_f32_e32 v37, v22, v88
	s_waitcnt vmcnt(41) lgkmcnt(0)
	v_mul_f32_e32 v38, v24, v89
	s_waitcnt vmcnt(40)
	v_fmac_f32_e32 v28, v5, v90
	s_waitcnt vmcnt(39)
	v_fmac_f32_e32 v29, v7, v91
	v_add_f32_e32 v28, 0, v28
	s_waitcnt vmcnt(38)
	v_fmac_f32_e32 v30, v9, v92
	v_add_f32_e32 v28, v28, v29
	;; [unrolled: 3-line block ×9, first 2 shown]
	v_add_f32_e32 v28, v28, v37
	s_waitcnt vmcnt(30)
	v_fmac_f32_e32 v38, v25, v100
	v_add_f32_e32 v32, v28, v38
	ds_read2_b64 v[28:31], v1 offset0:99 offset1:100
	s_waitcnt vmcnt(29)
	v_mul_f32_e32 v33, v26, v101
	s_waitcnt vmcnt(28)
	v_fmac_f32_e32 v33, v27, v104
	v_add_f32_e32 v36, v32, v33
	ds_read2_b64 v[32:35], v1 offset0:101 offset1:102
	s_waitcnt vmcnt(27) lgkmcnt(1)
	v_mul_f32_e32 v37, v28, v105
	s_waitcnt vmcnt(26)
	v_fmac_f32_e32 v37, v29, v106
	v_add_f32_e32 v36, v36, v37
	s_waitcnt vmcnt(25)
	v_mul_f32_e32 v37, v30, v107
	s_waitcnt vmcnt(24)
	v_fmac_f32_e32 v37, v31, v108
	v_add_f32_e32 v36, v36, v37
	s_waitcnt vmcnt(23) lgkmcnt(0)
	v_mul_f32_e32 v37, v32, v109
	s_waitcnt vmcnt(22)
	v_fmac_f32_e32 v37, v33, v110
	v_add_f32_e32 v40, v36, v37
	ds_read2_b64 v[36:39], v1 offset0:103 offset1:104
	s_waitcnt vmcnt(21)
	v_mul_f32_e32 v41, v34, v111
	s_waitcnt vmcnt(20)
	v_fmac_f32_e32 v41, v35, v112
	v_add_f32_e32 v44, v40, v41
	ds_read2_b64 v[40:43], v1 offset0:105 offset1:106
	s_waitcnt vmcnt(19) lgkmcnt(1)
	v_mul_f32_e32 v45, v36, v113
	s_waitcnt vmcnt(18)
	v_fmac_f32_e32 v45, v37, v114
	v_add_f32_e32 v44, v44, v45
	s_waitcnt vmcnt(17)
	v_mul_f32_e32 v45, v38, v115
	s_waitcnt vmcnt(16)
	v_fmac_f32_e32 v45, v39, v116
	v_add_f32_e32 v44, v44, v45
	s_waitcnt vmcnt(14) lgkmcnt(0)
	v_mul_f32_e32 v45, v40, v118
	v_fmac_f32_e32 v45, v41, v117
	v_add_f32_e32 v48, v44, v45
	ds_read2_b64 v[44:47], v1 offset0:107 offset1:108
	s_waitcnt vmcnt(10)
	v_mul_f32_e32 v49, v42, v120
	v_fmac_f32_e32 v49, v43, v119
	v_add_f32_e32 v52, v48, v49
	ds_read2_b64 v[48:51], v1 offset0:109 offset1:110
	s_waitcnt vmcnt(8) lgkmcnt(1)
	v_mul_f32_e32 v53, v44, v122
	v_fmac_f32_e32 v53, v45, v121
	v_add_f32_e32 v52, v52, v53
	s_waitcnt vmcnt(6)
	v_mul_f32_e32 v53, v46, v124
	v_fmac_f32_e32 v53, v47, v123
	v_add_f32_e32 v52, v52, v53
	s_waitcnt vmcnt(4) lgkmcnt(0)
	v_mul_f32_e32 v53, v48, v126
	v_fmac_f32_e32 v53, v49, v125
	v_add_f32_e32 v61, v52, v53
	ds_read2_b64 v[52:55], v1 offset0:111 offset1:112
	buffer_load_dword v63, off, s[0:3], 0 offset:428
	buffer_load_dword v62, off, s[0:3], 0 offset:424
	;; [unrolled: 1-line block ×4, first 2 shown]
	ds_read2_b64 v[56:59], v1 offset0:113 offset1:114
	buffer_load_dword v71, off, s[0:3], 0 offset:460
	buffer_load_dword v70, off, s[0:3], 0 offset:456
	;; [unrolled: 1-line block ×12, first 2 shown]
	v_mul_f32_e32 v5, v5, v60
	v_fma_f32 v4, v4, v90, -v5
	v_mul_f32_e32 v5, v7, v66
	v_add_f32_e32 v4, 0, v4
	v_fma_f32 v5, v6, v91, -v5
	v_add_f32_e32 v4, v4, v5
	v_mul_f32_e32 v5, v9, v68
	v_fma_f32 v5, v8, v92, -v5
	v_add_f32_e32 v4, v4, v5
	v_mul_f32_e32 v5, v11, v82
	;; [unrolled: 3-line block ×21, first 2 shown]
	v_fma_f32 v5, v48, v125, -v5
	s_waitcnt vmcnt(18)
	v_mul_f32_e32 v67, v50, v128
	v_add_f32_e32 v60, v4, v5
	v_mul_f32_e32 v4, v51, v128
	v_fmac_f32_e32 v67, v51, v127
	s_waitcnt vmcnt(16) lgkmcnt(1)
	v_mul_f32_e32 v69, v52, v130
	v_fma_f32 v66, v50, v127, -v4
	v_mul_f32_e32 v4, v53, v130
	v_fmac_f32_e32 v69, v53, v129
	s_waitcnt vmcnt(13)
	v_mov_b32_e32 v16, v65
	v_pk_mul_f32 v[16:17], v[54:55], v[16:17] op_sel_hi:[1,0]
	s_waitcnt vmcnt(12)
	v_pk_fma_f32 v[18:19], v[54:55], v[64:65], v[16:17] op_sel:[0,0,1] op_sel_hi:[1,1,0] neg_lo:[0,0,1] neg_hi:[0,0,1]
	v_pk_fma_f32 v[16:17], v[54:55], v[64:65], v[16:17] op_sel:[0,0,1] op_sel_hi:[1,0,0]
	v_fma_f32 v68, v52, v129, -v4
	v_pk_add_f32 v[14:15], v[60:61], v[66:67]
	v_mov_b32_e32 v16, v63
	v_pk_add_f32 v[14:15], v[14:15], v[68:69]
	v_mov_b32_e32 v19, v17
	s_waitcnt lgkmcnt(0)
	v_pk_mul_f32 v[16:17], v[56:57], v[16:17] op_sel_hi:[1,0]
	v_pk_add_f32 v[14:15], v[14:15], v[18:19]
	v_pk_fma_f32 v[18:19], v[56:57], v[62:63], v[16:17] op_sel:[0,0,1] op_sel_hi:[1,1,0] neg_lo:[0,0,1] neg_hi:[0,0,1]
	v_pk_fma_f32 v[16:17], v[56:57], v[62:63], v[16:17] op_sel:[0,0,1] op_sel_hi:[1,0,0]
	s_waitcnt vmcnt(5)
	v_mov_b32_e32 v16, v77
	ds_read2_b64 v[4:7], v1 offset0:115 offset1:116
	ds_read2_b64 v[8:11], v1 offset0:117 offset1:118
	ds_read_b64 v[12:13], v1 offset:952
	v_mov_b32_e32 v19, v17
	v_pk_mul_f32 v[16:17], v[58:59], v[16:17] op_sel_hi:[1,0]
	v_pk_add_f32 v[14:15], v[14:15], v[18:19]
	s_waitcnt vmcnt(4)
	v_pk_fma_f32 v[18:19], v[58:59], v[76:77], v[16:17] op_sel:[0,0,1] op_sel_hi:[1,1,0] neg_lo:[0,0,1] neg_hi:[0,0,1]
	v_pk_fma_f32 v[16:17], v[58:59], v[76:77], v[16:17] op_sel:[0,0,1] op_sel_hi:[1,0,0]
	v_mov_b32_e32 v16, v75
	v_mov_b32_e32 v19, v17
	s_waitcnt lgkmcnt(2)
	v_pk_mul_f32 v[16:17], v[4:5], v[16:17] op_sel_hi:[1,0]
	v_pk_add_f32 v[14:15], v[14:15], v[18:19]
	v_pk_fma_f32 v[18:19], v[4:5], v[74:75], v[16:17] op_sel:[0,0,1] op_sel_hi:[1,1,0] neg_lo:[0,0,1] neg_hi:[0,0,1]
	v_pk_fma_f32 v[4:5], v[4:5], v[74:75], v[16:17] op_sel:[0,0,1] op_sel_hi:[1,0,0]
	v_mov_b32_e32 v19, v5
	v_pk_add_f32 v[4:5], v[14:15], v[18:19]
	v_mov_b32_e32 v14, v73
	v_pk_mul_f32 v[14:15], v[6:7], v[14:15] op_sel_hi:[1,0]
	v_pk_fma_f32 v[16:17], v[6:7], v[72:73], v[14:15] op_sel:[0,0,1] op_sel_hi:[1,1,0] neg_lo:[0,0,1] neg_hi:[0,0,1]
	v_pk_fma_f32 v[6:7], v[6:7], v[72:73], v[14:15] op_sel:[0,0,1] op_sel_hi:[1,0,0]
	v_mov_b32_e32 v6, v71
	v_mov_b32_e32 v17, v7
	s_waitcnt lgkmcnt(1)
	v_pk_mul_f32 v[6:7], v[8:9], v[6:7] op_sel_hi:[1,0]
	v_pk_fma_f32 v[14:15], v[8:9], v[70:71], v[6:7] op_sel:[0,0,1] op_sel_hi:[1,1,0] neg_lo:[0,0,1] neg_hi:[0,0,1]
	v_pk_fma_f32 v[6:7], v[8:9], v[70:71], v[6:7] op_sel:[0,0,1] op_sel_hi:[1,0,0]
	s_waitcnt vmcnt(1)
	v_mov_b32_e32 v6, v81
	v_mov_b32_e32 v15, v7
	v_pk_mul_f32 v[6:7], v[10:11], v[6:7] op_sel_hi:[1,0]
	s_waitcnt vmcnt(0)
	v_pk_fma_f32 v[8:9], v[10:11], v[80:81], v[6:7] op_sel:[0,0,1] op_sel_hi:[1,1,0] neg_lo:[0,0,1] neg_hi:[0,0,1]
	v_pk_fma_f32 v[6:7], v[10:11], v[80:81], v[6:7] op_sel:[0,0,1] op_sel_hi:[1,0,0]
	v_pk_add_f32 v[4:5], v[4:5], v[16:17]
	v_mov_b32_e32 v6, v79
	v_pk_add_f32 v[4:5], v[4:5], v[14:15]
	v_mov_b32_e32 v9, v7
	s_waitcnt lgkmcnt(0)
	v_pk_mul_f32 v[6:7], v[12:13], v[6:7] op_sel_hi:[1,0]
	v_pk_add_f32 v[4:5], v[4:5], v[8:9]
	v_pk_fma_f32 v[8:9], v[12:13], v[78:79], v[6:7] op_sel:[0,0,1] op_sel_hi:[1,1,0] neg_lo:[0,0,1] neg_hi:[0,0,1]
	v_pk_fma_f32 v[6:7], v[12:13], v[78:79], v[6:7] op_sel:[0,0,1] op_sel_hi:[1,0,0]
	v_mov_b32_e32 v9, v7
	v_pk_add_f32 v[4:5], v[4:5], v[8:9]
	v_pk_add_f32 v[2:3], v[2:3], v[4:5] neg_lo:[0,1] neg_hi:[0,1]
	buffer_store_dword v3, off, s[0:3], 0 offset:212
	buffer_store_dword v2, off, s[0:3], 0 offset:208
	s_and_saveexec_b64 s[4:5], vcc
	s_cbranch_execz .LBB123_323
; %bb.322:
	buffer_load_dword v2, off, s[0:3], 0 offset:200
	buffer_load_dword v3, off, s[0:3], 0 offset:204
	s_waitcnt vmcnt(0)
	ds_write_b64 v195, v[2:3]
	buffer_store_dword v1, off, s[0:3], 0 offset:200
	buffer_store_dword v1, off, s[0:3], 0 offset:204
.LBB123_323:
	s_or_b64 exec, exec, s[4:5]
	s_waitcnt lgkmcnt(0)
	; wave barrier
	s_waitcnt lgkmcnt(0)
	buffer_load_dword v62, off, s[0:3], 0 offset:212
	buffer_load_dword v64, off, s[0:3], 0 offset:220
	;; [unrolled: 1-line block ×42, first 2 shown]
	ds_read_b128 v[4:7], v1 offset:688
	ds_read_b128 v[8:11], v1 offset:704
	buffer_load_dword v121, off, s[0:3], 0 offset:368
	buffer_load_dword v122, off, s[0:3], 0 offset:372
	ds_read_b128 v[12:15], v1 offset:720
	ds_read_b128 v[16:19], v1 offset:736
	buffer_load_dword v123, off, s[0:3], 0 offset:376
	buffer_load_dword v124, off, s[0:3], 0 offset:380
	;; [unrolled: 1-line block ×4, first 2 shown]
	ds_read_b128 v[20:23], v1 offset:752
	ds_read_b128 v[24:27], v1 offset:768
	buffer_load_dword v127, off, s[0:3], 0 offset:392
	buffer_load_dword v128, off, s[0:3], 0 offset:396
	;; [unrolled: 1-line block ×6, first 2 shown]
	v_cmp_lt_u32_e32 vcc, 24, v0
	s_waitcnt vmcnt(53) lgkmcnt(5)
	v_mul_f32_e32 v28, v4, v62
	s_waitcnt vmcnt(52)
	v_mul_f32_e32 v29, v6, v64
	s_waitcnt vmcnt(51) lgkmcnt(4)
	v_mul_f32_e32 v30, v8, v66
	s_waitcnt vmcnt(50)
	v_mul_f32_e32 v31, v10, v82
	;; [unrolled: 4-line block ×5, first 2 shown]
	s_waitcnt vmcnt(43)
	v_fmac_f32_e32 v28, v5, v89
	s_waitcnt vmcnt(42)
	v_fmac_f32_e32 v29, v7, v90
	v_add_f32_e32 v28, 0, v28
	s_waitcnt vmcnt(41)
	v_fmac_f32_e32 v30, v9, v91
	v_add_f32_e32 v28, v28, v29
	;; [unrolled: 3-line block ×9, first 2 shown]
	s_waitcnt vmcnt(33) lgkmcnt(0)
	v_mul_f32_e32 v29, v24, v99
	v_add_f32_e32 v28, v28, v37
	s_waitcnt vmcnt(32)
	v_fmac_f32_e32 v29, v25, v100
	v_add_f32_e32 v32, v28, v29
	ds_read_b128 v[28:31], v1 offset:784
	s_waitcnt vmcnt(31)
	v_mul_f32_e32 v33, v26, v101
	s_waitcnt vmcnt(30)
	v_fmac_f32_e32 v33, v27, v104
	v_add_f32_e32 v36, v32, v33
	ds_read_b128 v[32:35], v1 offset:800
	s_waitcnt vmcnt(29) lgkmcnt(1)
	v_mul_f32_e32 v37, v28, v105
	s_waitcnt vmcnt(28)
	v_fmac_f32_e32 v37, v29, v106
	v_add_f32_e32 v36, v36, v37
	s_waitcnt vmcnt(27)
	v_mul_f32_e32 v37, v30, v107
	s_waitcnt vmcnt(26)
	v_fmac_f32_e32 v37, v31, v108
	v_add_f32_e32 v36, v36, v37
	s_waitcnt vmcnt(25) lgkmcnt(0)
	v_mul_f32_e32 v37, v32, v109
	s_waitcnt vmcnt(24)
	v_fmac_f32_e32 v37, v33, v110
	v_add_f32_e32 v40, v36, v37
	ds_read_b128 v[36:39], v1 offset:816
	s_waitcnt vmcnt(23)
	v_mul_f32_e32 v41, v34, v111
	s_waitcnt vmcnt(22)
	v_fmac_f32_e32 v41, v35, v112
	v_add_f32_e32 v44, v40, v41
	ds_read_b128 v[40:43], v1 offset:832
	s_waitcnt vmcnt(21) lgkmcnt(1)
	v_mul_f32_e32 v45, v36, v113
	s_waitcnt vmcnt(20)
	v_fmac_f32_e32 v45, v37, v114
	v_add_f32_e32 v44, v44, v45
	s_waitcnt vmcnt(18)
	v_mul_f32_e32 v45, v38, v116
	v_fmac_f32_e32 v45, v39, v115
	v_add_f32_e32 v44, v44, v45
	s_waitcnt vmcnt(15) lgkmcnt(0)
	v_mul_f32_e32 v45, v40, v117
	s_waitcnt vmcnt(14)
	v_fmac_f32_e32 v45, v41, v118
	v_add_f32_e32 v48, v44, v45
	ds_read_b128 v[44:47], v1 offset:848
	s_waitcnt vmcnt(12)
	v_mul_f32_e32 v49, v42, v120
	v_fmac_f32_e32 v49, v43, v119
	v_add_f32_e32 v52, v48, v49
	ds_read_b128 v[48:51], v1 offset:864
	buffer_load_dword v61, off, s[0:3], 0 offset:420
	buffer_load_dword v60, off, s[0:3], 0 offset:416
	s_waitcnt vmcnt(12) lgkmcnt(1)
	v_mul_f32_e32 v53, v44, v122
	v_fmac_f32_e32 v53, v45, v121
	v_add_f32_e32 v52, v52, v53
	s_waitcnt vmcnt(10)
	v_mul_f32_e32 v53, v46, v124
	v_fmac_f32_e32 v53, v47, v123
	v_add_f32_e32 v52, v52, v53
	s_waitcnt vmcnt(8) lgkmcnt(0)
	v_mul_f32_e32 v53, v48, v126
	v_fmac_f32_e32 v53, v49, v125
	s_waitcnt vmcnt(6)
	v_mul_f32_e32 v57, v50, v128
	v_add_f32_e32 v56, v52, v53
	v_fmac_f32_e32 v57, v51, v127
	ds_read_b128 v[52:55], v1 offset:880
	v_add_f32_e32 v63, v56, v57
	ds_read_b128 v[56:59], v1 offset:896
	buffer_load_dword v69, off, s[0:3], 0 offset:452
	buffer_load_dword v68, off, s[0:3], 0 offset:448
	;; [unrolled: 1-line block ×14, first 2 shown]
	v_mul_f32_e32 v5, v5, v62
	v_fma_f32 v4, v4, v89, -v5
	v_mul_f32_e32 v5, v7, v64
	v_add_f32_e32 v4, 0, v4
	v_fma_f32 v5, v6, v90, -v5
	v_add_f32_e32 v4, v4, v5
	v_mul_f32_e32 v5, v9, v66
	v_fma_f32 v5, v8, v91, -v5
	v_add_f32_e32 v4, v4, v5
	v_mul_f32_e32 v5, v11, v82
	;; [unrolled: 3-line block ×22, first 2 shown]
	v_fma_f32 v5, v50, v127, -v5
	s_waitcnt vmcnt(15)
	v_mov_b32_e32 v18, v61
	s_waitcnt lgkmcnt(1)
	v_mul_f32_e32 v65, v52, v130
	v_add_f32_e32 v62, v4, v5
	v_mul_f32_e32 v4, v53, v130
	s_waitcnt lgkmcnt(0)
	v_pk_mul_f32 v[18:19], v[56:57], v[18:19] op_sel_hi:[1,0]
	v_fmac_f32_e32 v65, v53, v129
	v_mul_f32_e32 v67, v54, v132
	v_fma_f32 v64, v52, v129, -v4
	v_mul_f32_e32 v4, v55, v132
	s_waitcnt vmcnt(14)
	v_pk_fma_f32 v[20:21], v[56:57], v[60:61], v[18:19] op_sel:[0,0,1] op_sel_hi:[1,1,0] neg_lo:[0,0,1] neg_hi:[0,0,1]
	v_pk_fma_f32 v[18:19], v[56:57], v[60:61], v[18:19] op_sel:[0,0,1] op_sel_hi:[1,0,0]
	v_fmac_f32_e32 v67, v55, v131
	v_fma_f32 v66, v54, v131, -v4
	v_pk_add_f32 v[16:17], v[62:63], v[64:65]
	s_waitcnt vmcnt(7)
	v_mov_b32_e32 v18, v75
	ds_read_b128 v[4:7], v1 offset:912
	ds_read_b128 v[8:11], v1 offset:928
	;; [unrolled: 1-line block ×3, first 2 shown]
	v_pk_add_f32 v[16:17], v[16:17], v[66:67]
	v_mov_b32_e32 v21, v19
	v_pk_mul_f32 v[18:19], v[58:59], v[18:19] op_sel_hi:[1,0]
	v_pk_add_f32 v[16:17], v[16:17], v[20:21]
	s_waitcnt vmcnt(6)
	v_pk_fma_f32 v[20:21], v[58:59], v[74:75], v[18:19] op_sel:[0,0,1] op_sel_hi:[1,1,0] neg_lo:[0,0,1] neg_hi:[0,0,1]
	v_pk_fma_f32 v[18:19], v[58:59], v[74:75], v[18:19] op_sel:[0,0,1] op_sel_hi:[1,0,0]
	v_mov_b32_e32 v18, v73
	v_mov_b32_e32 v21, v19
	s_waitcnt lgkmcnt(2)
	v_pk_mul_f32 v[18:19], v[4:5], v[18:19] op_sel_hi:[1,0]
	v_pk_add_f32 v[16:17], v[16:17], v[20:21]
	v_pk_fma_f32 v[20:21], v[4:5], v[72:73], v[18:19] op_sel:[0,0,1] op_sel_hi:[1,1,0] neg_lo:[0,0,1] neg_hi:[0,0,1]
	v_pk_fma_f32 v[4:5], v[4:5], v[72:73], v[18:19] op_sel:[0,0,1] op_sel_hi:[1,0,0]
	v_mov_b32_e32 v21, v5
	v_pk_add_f32 v[4:5], v[16:17], v[20:21]
	v_mov_b32_e32 v16, v71
	v_pk_mul_f32 v[16:17], v[6:7], v[16:17] op_sel_hi:[1,0]
	v_pk_fma_f32 v[18:19], v[6:7], v[70:71], v[16:17] op_sel:[0,0,1] op_sel_hi:[1,1,0] neg_lo:[0,0,1] neg_hi:[0,0,1]
	v_pk_fma_f32 v[6:7], v[6:7], v[70:71], v[16:17] op_sel:[0,0,1] op_sel_hi:[1,0,0]
	v_mov_b32_e32 v6, v69
	v_mov_b32_e32 v19, v7
	s_waitcnt lgkmcnt(1)
	v_pk_mul_f32 v[6:7], v[8:9], v[6:7] op_sel_hi:[1,0]
	v_pk_fma_f32 v[16:17], v[8:9], v[68:69], v[6:7] op_sel:[0,0,1] op_sel_hi:[1,1,0] neg_lo:[0,0,1] neg_hi:[0,0,1]
	v_pk_fma_f32 v[6:7], v[8:9], v[68:69], v[6:7] op_sel:[0,0,1] op_sel_hi:[1,0,0]
	s_waitcnt vmcnt(1)
	v_mov_b32_e32 v6, v81
	v_mov_b32_e32 v17, v7
	v_pk_mul_f32 v[6:7], v[10:11], v[6:7] op_sel_hi:[1,0]
	s_waitcnt vmcnt(0)
	v_pk_fma_f32 v[8:9], v[10:11], v[80:81], v[6:7] op_sel:[0,0,1] op_sel_hi:[1,1,0] neg_lo:[0,0,1] neg_hi:[0,0,1]
	v_pk_fma_f32 v[6:7], v[10:11], v[80:81], v[6:7] op_sel:[0,0,1] op_sel_hi:[1,0,0]
	v_pk_add_f32 v[4:5], v[4:5], v[18:19]
	v_mov_b32_e32 v6, v79
	v_pk_add_f32 v[4:5], v[4:5], v[16:17]
	v_mov_b32_e32 v9, v7
	s_waitcnt lgkmcnt(0)
	v_pk_mul_f32 v[6:7], v[12:13], v[6:7] op_sel_hi:[1,0]
	v_pk_add_f32 v[4:5], v[4:5], v[8:9]
	v_pk_fma_f32 v[8:9], v[12:13], v[78:79], v[6:7] op_sel:[0,0,1] op_sel_hi:[1,1,0] neg_lo:[0,0,1] neg_hi:[0,0,1]
	v_pk_fma_f32 v[6:7], v[12:13], v[78:79], v[6:7] op_sel:[0,0,1] op_sel_hi:[1,0,0]
	v_mov_b32_e32 v6, v77
	v_mov_b32_e32 v9, v7
	v_pk_mul_f32 v[6:7], v[14:15], v[6:7] op_sel_hi:[1,0]
	v_pk_add_f32 v[4:5], v[4:5], v[8:9]
	v_pk_fma_f32 v[8:9], v[14:15], v[76:77], v[6:7] op_sel:[0,0,1] op_sel_hi:[1,1,0] neg_lo:[0,0,1] neg_hi:[0,0,1]
	v_pk_fma_f32 v[6:7], v[14:15], v[76:77], v[6:7] op_sel:[0,0,1] op_sel_hi:[1,0,0]
	v_mov_b32_e32 v9, v7
	v_pk_add_f32 v[4:5], v[4:5], v[8:9]
	v_pk_add_f32 v[2:3], v[2:3], v[4:5] neg_lo:[0,1] neg_hi:[0,1]
	buffer_store_dword v3, off, s[0:3], 0 offset:204
	buffer_store_dword v2, off, s[0:3], 0 offset:200
	s_and_saveexec_b64 s[4:5], vcc
	s_cbranch_execz .LBB123_325
; %bb.324:
	buffer_load_dword v2, off, s[0:3], 0 offset:192
	buffer_load_dword v3, off, s[0:3], 0 offset:196
	v_mov_b32_e32 v1, 0
	buffer_store_dword v1, off, s[0:3], 0 offset:192
	buffer_store_dword v1, off, s[0:3], 0 offset:196
	s_waitcnt vmcnt(2)
	ds_write_b64 v195, v[2:3]
.LBB123_325:
	s_or_b64 exec, exec, s[4:5]
	s_waitcnt lgkmcnt(0)
	; wave barrier
	s_waitcnt lgkmcnt(0)
	buffer_load_dword v60, off, s[0:3], 0 offset:204
	buffer_load_dword v62, off, s[0:3], 0 offset:212
	buffer_load_dword v64, off, s[0:3], 0 offset:220
	buffer_load_dword v82, off, s[0:3], 0 offset:228
	buffer_load_dword v83, off, s[0:3], 0 offset:236
	buffer_load_dword v84, off, s[0:3], 0 offset:244
	buffer_load_dword v85, off, s[0:3], 0 offset:252
	buffer_load_dword v86, off, s[0:3], 0 offset:260
	buffer_load_dword v87, off, s[0:3], 0 offset:268
	buffer_load_dword v88, off, s[0:3], 0 offset:200
	buffer_load_dword v89, off, s[0:3], 0 offset:208
	buffer_load_dword v90, off, s[0:3], 0 offset:216
	buffer_load_dword v91, off, s[0:3], 0 offset:224
	buffer_load_dword v92, off, s[0:3], 0 offset:232
	buffer_load_dword v93, off, s[0:3], 0 offset:240
	buffer_load_dword v94, off, s[0:3], 0 offset:248
	buffer_load_dword v95, off, s[0:3], 0 offset:256
	buffer_load_dword v96, off, s[0:3], 0 offset:264
	buffer_load_dword v97, off, s[0:3], 0 offset:276
	buffer_load_dword v98, off, s[0:3], 0 offset:272
	buffer_load_dword v99, off, s[0:3], 0 offset:284
	buffer_load_dword v100, off, s[0:3], 0 offset:280
	buffer_load_dword v101, off, s[0:3], 0 offset:292
	buffer_load_dword v104, off, s[0:3], 0 offset:288
	buffer_load_dword v105, off, s[0:3], 0 offset:300
	buffer_load_dword v106, off, s[0:3], 0 offset:296
	buffer_load_dword v107, off, s[0:3], 0 offset:308
	buffer_load_dword v108, off, s[0:3], 0 offset:304
	buffer_load_dword v109, off, s[0:3], 0 offset:316
	buffer_load_dword v110, off, s[0:3], 0 offset:312
	buffer_load_dword v111, off, s[0:3], 0 offset:320
	buffer_load_dword v112, off, s[0:3], 0 offset:324
	buffer_load_dword v2, off, s[0:3], 0 offset:192
	buffer_load_dword v3, off, s[0:3], 0 offset:196
	buffer_load_dword v113, off, s[0:3], 0 offset:328
	buffer_load_dword v114, off, s[0:3], 0 offset:332
	buffer_load_dword v115, off, s[0:3], 0 offset:336
	buffer_load_dword v116, off, s[0:3], 0 offset:340
	buffer_load_dword v117, off, s[0:3], 0 offset:344
	buffer_load_dword v118, off, s[0:3], 0 offset:348
	buffer_load_dword v119, off, s[0:3], 0 offset:352
	buffer_load_dword v120, off, s[0:3], 0 offset:356
	buffer_load_dword v121, off, s[0:3], 0 offset:360
	buffer_load_dword v122, off, s[0:3], 0 offset:364
	buffer_load_dword v123, off, s[0:3], 0 offset:368
	buffer_load_dword v124, off, s[0:3], 0 offset:372
	buffer_load_dword v125, off, s[0:3], 0 offset:376
	buffer_load_dword v126, off, s[0:3], 0 offset:380
	buffer_load_dword v127, off, s[0:3], 0 offset:384
	buffer_load_dword v128, off, s[0:3], 0 offset:388
	buffer_load_dword v129, off, s[0:3], 0 offset:392
	buffer_load_dword v130, off, s[0:3], 0 offset:396
	buffer_load_dword v131, off, s[0:3], 0 offset:400
	buffer_load_dword v132, off, s[0:3], 0 offset:404
	buffer_load_dword v133, off, s[0:3], 0 offset:408
	buffer_load_dword v134, off, s[0:3], 0 offset:412
	v_mov_b32_e32 v1, 0
	ds_read2_b64 v[4:7], v1 offset0:85 offset1:86
	ds_read2_b64 v[8:11], v1 offset0:87 offset1:88
	;; [unrolled: 1-line block ×6, first 2 shown]
	v_cmp_lt_u32_e32 vcc, 23, v0
	s_waitcnt vmcnt(55) lgkmcnt(5)
	v_mul_f32_e32 v28, v4, v60
	s_waitcnt vmcnt(54)
	v_mul_f32_e32 v29, v6, v62
	s_waitcnt vmcnt(53) lgkmcnt(4)
	v_mul_f32_e32 v30, v8, v64
	s_waitcnt vmcnt(52)
	v_mul_f32_e32 v31, v10, v82
	;; [unrolled: 4-line block ×4, first 2 shown]
	s_waitcnt vmcnt(47) lgkmcnt(1)
	v_mul_f32_e32 v36, v20, v87
	s_waitcnt vmcnt(46)
	v_fmac_f32_e32 v28, v5, v88
	s_waitcnt vmcnt(45)
	v_fmac_f32_e32 v29, v7, v89
	v_add_f32_e32 v28, 0, v28
	s_waitcnt vmcnt(44)
	v_fmac_f32_e32 v30, v9, v90
	v_add_f32_e32 v28, v28, v29
	;; [unrolled: 3-line block ×7, first 2 shown]
	v_add_f32_e32 v28, v28, v35
	s_waitcnt vmcnt(38)
	v_fmac_f32_e32 v36, v21, v96
	s_waitcnt vmcnt(37)
	v_mul_f32_e32 v29, v22, v97
	v_add_f32_e32 v28, v28, v36
	s_waitcnt vmcnt(36)
	v_fmac_f32_e32 v29, v23, v98
	v_add_f32_e32 v28, v28, v29
	s_waitcnt vmcnt(35) lgkmcnt(0)
	v_mul_f32_e32 v29, v24, v99
	s_waitcnt vmcnt(34)
	v_fmac_f32_e32 v29, v25, v100
	v_add_f32_e32 v32, v28, v29
	ds_read2_b64 v[28:31], v1 offset0:97 offset1:98
	s_waitcnt vmcnt(33)
	v_mul_f32_e32 v33, v26, v101
	s_waitcnt vmcnt(32)
	v_fmac_f32_e32 v33, v27, v104
	v_add_f32_e32 v36, v32, v33
	ds_read2_b64 v[32:35], v1 offset0:99 offset1:100
	s_waitcnt vmcnt(31) lgkmcnt(1)
	v_mul_f32_e32 v37, v28, v105
	s_waitcnt vmcnt(30)
	v_fmac_f32_e32 v37, v29, v106
	v_add_f32_e32 v36, v36, v37
	s_waitcnt vmcnt(29)
	v_mul_f32_e32 v37, v30, v107
	s_waitcnt vmcnt(28)
	v_fmac_f32_e32 v37, v31, v108
	v_add_f32_e32 v36, v36, v37
	s_waitcnt vmcnt(27) lgkmcnt(0)
	v_mul_f32_e32 v37, v32, v109
	s_waitcnt vmcnt(26)
	v_fmac_f32_e32 v37, v33, v110
	v_add_f32_e32 v40, v36, v37
	ds_read2_b64 v[36:39], v1 offset0:101 offset1:102
	s_waitcnt vmcnt(24)
	v_mul_f32_e32 v41, v34, v112
	v_fmac_f32_e32 v41, v35, v111
	v_add_f32_e32 v44, v40, v41
	ds_read2_b64 v[40:43], v1 offset0:103 offset1:104
	s_waitcnt vmcnt(20) lgkmcnt(1)
	v_mul_f32_e32 v45, v36, v114
	v_fmac_f32_e32 v45, v37, v113
	v_add_f32_e32 v44, v44, v45
	s_waitcnt vmcnt(18)
	v_mul_f32_e32 v45, v38, v116
	v_fmac_f32_e32 v45, v39, v115
	v_add_f32_e32 v44, v44, v45
	s_waitcnt vmcnt(16) lgkmcnt(0)
	v_mul_f32_e32 v45, v40, v118
	v_fmac_f32_e32 v45, v41, v117
	v_add_f32_e32 v48, v44, v45
	ds_read2_b64 v[44:47], v1 offset0:105 offset1:106
	s_waitcnt vmcnt(14)
	v_mul_f32_e32 v49, v42, v120
	v_fmac_f32_e32 v49, v43, v119
	v_add_f32_e32 v52, v48, v49
	ds_read2_b64 v[48:51], v1 offset0:107 offset1:108
	s_waitcnt vmcnt(12) lgkmcnt(1)
	v_mul_f32_e32 v53, v44, v122
	v_fmac_f32_e32 v53, v45, v121
	v_add_f32_e32 v52, v52, v53
	s_waitcnt vmcnt(10)
	v_mul_f32_e32 v53, v46, v124
	v_fmac_f32_e32 v53, v47, v123
	v_add_f32_e32 v52, v52, v53
	s_waitcnt vmcnt(8) lgkmcnt(0)
	v_mul_f32_e32 v53, v48, v126
	v_fmac_f32_e32 v53, v49, v125
	s_waitcnt vmcnt(6)
	v_mul_f32_e32 v57, v50, v128
	v_add_f32_e32 v56, v52, v53
	v_fmac_f32_e32 v57, v51, v127
	ds_read2_b64 v[52:55], v1 offset0:109 offset1:110
	v_add_f32_e32 v61, v56, v57
	ds_read2_b64 v[56:59], v1 offset0:111 offset1:112
	buffer_load_dword v67, off, s[0:3], 0 offset:444
	buffer_load_dword v66, off, s[0:3], 0 offset:440
	;; [unrolled: 1-line block ×16, first 2 shown]
	v_mul_f32_e32 v5, v5, v60
	v_fma_f32 v4, v4, v88, -v5
	v_mul_f32_e32 v5, v7, v62
	v_add_f32_e32 v4, 0, v4
	v_fma_f32 v5, v6, v89, -v5
	v_add_f32_e32 v4, v4, v5
	v_mul_f32_e32 v5, v9, v64
	v_fma_f32 v5, v8, v90, -v5
	v_add_f32_e32 v4, v4, v5
	v_mul_f32_e32 v5, v11, v82
	;; [unrolled: 3-line block ×22, first 2 shown]
	v_fma_f32 v5, v50, v127, -v5
	v_add_f32_e32 v4, v4, v5
	s_waitcnt vmcnt(20) lgkmcnt(1)
	v_mul_f32_e32 v5, v53, v130
	v_mul_f32_e32 v63, v52, v130
	v_fma_f32 v5, v52, v129, -v5
	v_fmac_f32_e32 v63, v53, v129
	v_add_f32_e32 v60, v4, v5
	s_waitcnt vmcnt(18)
	v_mul_f32_e32 v4, v55, v132
	s_waitcnt vmcnt(9)
	v_mov_b32_e32 v20, v73
	v_add_f32_e32 v61, v61, v63
	v_mul_f32_e32 v63, v54, v132
	v_fma_f32 v62, v54, v131, -v4
	s_waitcnt lgkmcnt(0)
	v_mul_f32_e32 v4, v57, v134
	v_pk_mul_f32 v[20:21], v[58:59], v[20:21] op_sel_hi:[1,0]
	v_fmac_f32_e32 v63, v55, v131
	v_mul_f32_e32 v65, v56, v134
	v_fma_f32 v64, v56, v133, -v4
	ds_read2_b64 v[4:7], v1 offset0:113 offset1:114
	ds_read2_b64 v[8:11], v1 offset0:115 offset1:116
	;; [unrolled: 1-line block ×3, first 2 shown]
	ds_read_b64 v[16:17], v1 offset:952
	s_waitcnt vmcnt(8)
	v_pk_fma_f32 v[22:23], v[58:59], v[72:73], v[20:21] op_sel:[0,0,1] op_sel_hi:[1,1,0] neg_lo:[0,0,1] neg_hi:[0,0,1]
	v_pk_fma_f32 v[20:21], v[58:59], v[72:73], v[20:21] op_sel:[0,0,1] op_sel_hi:[1,0,0]
	v_fmac_f32_e32 v65, v57, v133
	v_pk_add_f32 v[18:19], v[60:61], v[62:63]
	v_mov_b32_e32 v20, v71
	v_pk_add_f32 v[18:19], v[18:19], v[64:65]
	v_mov_b32_e32 v23, v21
	s_waitcnt lgkmcnt(3)
	v_pk_mul_f32 v[20:21], v[4:5], v[20:21] op_sel_hi:[1,0]
	v_pk_add_f32 v[18:19], v[18:19], v[22:23]
	v_pk_fma_f32 v[22:23], v[4:5], v[70:71], v[20:21] op_sel:[0,0,1] op_sel_hi:[1,1,0] neg_lo:[0,0,1] neg_hi:[0,0,1]
	v_pk_fma_f32 v[4:5], v[4:5], v[70:71], v[20:21] op_sel:[0,0,1] op_sel_hi:[1,0,0]
	v_mov_b32_e32 v23, v5
	v_pk_add_f32 v[4:5], v[18:19], v[22:23]
	v_mov_b32_e32 v18, v69
	v_pk_mul_f32 v[18:19], v[6:7], v[18:19] op_sel_hi:[1,0]
	v_pk_fma_f32 v[20:21], v[6:7], v[68:69], v[18:19] op_sel:[0,0,1] op_sel_hi:[1,1,0] neg_lo:[0,0,1] neg_hi:[0,0,1]
	v_pk_fma_f32 v[6:7], v[6:7], v[68:69], v[18:19] op_sel:[0,0,1] op_sel_hi:[1,0,0]
	v_mov_b32_e32 v6, v67
	v_mov_b32_e32 v21, v7
	s_waitcnt lgkmcnt(2)
	v_pk_mul_f32 v[6:7], v[8:9], v[6:7] op_sel_hi:[1,0]
	v_pk_fma_f32 v[18:19], v[8:9], v[66:67], v[6:7] op_sel:[0,0,1] op_sel_hi:[1,1,0] neg_lo:[0,0,1] neg_hi:[0,0,1]
	v_pk_fma_f32 v[6:7], v[8:9], v[66:67], v[6:7] op_sel:[0,0,1] op_sel_hi:[1,0,0]
	s_waitcnt vmcnt(1)
	v_mov_b32_e32 v6, v81
	v_mov_b32_e32 v19, v7
	v_pk_mul_f32 v[6:7], v[10:11], v[6:7] op_sel_hi:[1,0]
	s_waitcnt vmcnt(0)
	v_pk_fma_f32 v[8:9], v[10:11], v[80:81], v[6:7] op_sel:[0,0,1] op_sel_hi:[1,1,0] neg_lo:[0,0,1] neg_hi:[0,0,1]
	v_pk_fma_f32 v[6:7], v[10:11], v[80:81], v[6:7] op_sel:[0,0,1] op_sel_hi:[1,0,0]
	v_pk_add_f32 v[4:5], v[4:5], v[20:21]
	v_mov_b32_e32 v6, v79
	v_pk_add_f32 v[4:5], v[4:5], v[18:19]
	v_mov_b32_e32 v9, v7
	s_waitcnt lgkmcnt(1)
	v_pk_mul_f32 v[6:7], v[12:13], v[6:7] op_sel_hi:[1,0]
	v_pk_add_f32 v[4:5], v[4:5], v[8:9]
	v_pk_fma_f32 v[8:9], v[12:13], v[78:79], v[6:7] op_sel:[0,0,1] op_sel_hi:[1,1,0] neg_lo:[0,0,1] neg_hi:[0,0,1]
	v_pk_fma_f32 v[6:7], v[12:13], v[78:79], v[6:7] op_sel:[0,0,1] op_sel_hi:[1,0,0]
	v_mov_b32_e32 v6, v77
	v_mov_b32_e32 v9, v7
	v_pk_mul_f32 v[6:7], v[14:15], v[6:7] op_sel_hi:[1,0]
	v_pk_add_f32 v[4:5], v[4:5], v[8:9]
	v_pk_fma_f32 v[8:9], v[14:15], v[76:77], v[6:7] op_sel:[0,0,1] op_sel_hi:[1,1,0] neg_lo:[0,0,1] neg_hi:[0,0,1]
	v_pk_fma_f32 v[6:7], v[14:15], v[76:77], v[6:7] op_sel:[0,0,1] op_sel_hi:[1,0,0]
	v_mov_b32_e32 v6, v75
	v_mov_b32_e32 v9, v7
	s_waitcnt lgkmcnt(0)
	v_pk_mul_f32 v[6:7], v[16:17], v[6:7] op_sel_hi:[1,0]
	v_pk_add_f32 v[4:5], v[4:5], v[8:9]
	v_pk_fma_f32 v[8:9], v[16:17], v[74:75], v[6:7] op_sel:[0,0,1] op_sel_hi:[1,1,0] neg_lo:[0,0,1] neg_hi:[0,0,1]
	v_pk_fma_f32 v[6:7], v[16:17], v[74:75], v[6:7] op_sel:[0,0,1] op_sel_hi:[1,0,0]
	v_mov_b32_e32 v9, v7
	v_pk_add_f32 v[4:5], v[4:5], v[8:9]
	v_pk_add_f32 v[2:3], v[2:3], v[4:5] neg_lo:[0,1] neg_hi:[0,1]
	buffer_store_dword v3, off, s[0:3], 0 offset:196
	buffer_store_dword v2, off, s[0:3], 0 offset:192
	s_and_saveexec_b64 s[4:5], vcc
	s_cbranch_execz .LBB123_327
; %bb.326:
	buffer_load_dword v2, off, s[0:3], 0 offset:184
	buffer_load_dword v3, off, s[0:3], 0 offset:188
	s_waitcnt vmcnt(0)
	ds_write_b64 v195, v[2:3]
	buffer_store_dword v1, off, s[0:3], 0 offset:184
	buffer_store_dword v1, off, s[0:3], 0 offset:188
.LBB123_327:
	s_or_b64 exec, exec, s[4:5]
	s_waitcnt lgkmcnt(0)
	; wave barrier
	s_waitcnt lgkmcnt(0)
	buffer_load_dword v60, off, s[0:3], 0 offset:196
	buffer_load_dword v62, off, s[0:3], 0 offset:204
	;; [unrolled: 1-line block ×40, first 2 shown]
	ds_read_b128 v[4:7], v1 offset:672
	ds_read_b128 v[8:11], v1 offset:688
	;; [unrolled: 1-line block ×4, first 2 shown]
	buffer_load_dword v119, off, s[0:3], 0 offset:344
	buffer_load_dword v120, off, s[0:3], 0 offset:348
	ds_read_b128 v[20:23], v1 offset:736
	ds_read_b128 v[24:27], v1 offset:752
	buffer_load_dword v121, off, s[0:3], 0 offset:352
	buffer_load_dword v122, off, s[0:3], 0 offset:356
	;; [unrolled: 1-line block ×16, first 2 shown]
	v_cmp_lt_u32_e32 vcc, 22, v0
	s_waitcnt vmcnt(57) lgkmcnt(5)
	v_mul_f32_e32 v28, v4, v60
	s_waitcnt vmcnt(56)
	v_mul_f32_e32 v29, v6, v62
	s_waitcnt vmcnt(55) lgkmcnt(4)
	v_mul_f32_e32 v31, v10, v70
	s_waitcnt vmcnt(54) lgkmcnt(3)
	v_mul_f32_e32 v32, v12, v82
	s_waitcnt vmcnt(53)
	v_mul_f32_e32 v33, v14, v83
	s_waitcnt vmcnt(52)
	v_mul_f32_e32 v30, v8, v84
	s_waitcnt vmcnt(51) lgkmcnt(2)
	v_mul_f32_e32 v34, v16, v85
	s_waitcnt vmcnt(50)
	v_mul_f32_e32 v35, v18, v86
	s_waitcnt vmcnt(49)
	v_fmac_f32_e32 v30, v9, v87
	s_waitcnt vmcnt(48)
	v_fmac_f32_e32 v29, v7, v88
	s_waitcnt vmcnt(47)
	v_fmac_f32_e32 v28, v5, v89
	v_add_f32_e32 v28, 0, v28
	v_add_f32_e32 v28, v28, v29
	;; [unrolled: 1-line block ×3, first 2 shown]
	s_waitcnt vmcnt(43)
	v_fmac_f32_e32 v31, v11, v93
	v_fmac_f32_e32 v32, v13, v92
	v_add_f32_e32 v28, v28, v31
	v_fmac_f32_e32 v33, v15, v91
	v_add_f32_e32 v28, v28, v32
	;; [unrolled: 2-line block ×3, first 2 shown]
	s_waitcnt vmcnt(39)
	v_fmac_f32_e32 v35, v19, v97
	v_add_f32_e32 v28, v28, v34
	s_waitcnt vmcnt(38) lgkmcnt(1)
	v_mul_f32_e32 v29, v20, v98
	v_add_f32_e32 v28, v28, v35
	v_fmac_f32_e32 v29, v21, v96
	v_add_f32_e32 v28, v28, v29
	s_waitcnt vmcnt(37)
	v_mul_f32_e32 v29, v22, v99
	v_fmac_f32_e32 v29, v23, v95
	v_add_f32_e32 v28, v28, v29
	s_waitcnt vmcnt(36) lgkmcnt(0)
	v_mul_f32_e32 v29, v24, v100
	v_fmac_f32_e32 v29, v25, v94
	v_add_f32_e32 v32, v28, v29
	ds_read_b128 v[28:31], v1 offset:768
	s_waitcnt vmcnt(32)
	v_mul_f32_e32 v33, v26, v106
	s_waitcnt vmcnt(31)
	v_fmac_f32_e32 v33, v27, v107
	v_add_f32_e32 v36, v32, v33
	ds_read_b128 v[32:35], v1 offset:784
	s_waitcnt vmcnt(30) lgkmcnt(1)
	v_mul_f32_e32 v37, v28, v108
	v_fmac_f32_e32 v37, v29, v105
	v_add_f32_e32 v36, v36, v37
	s_waitcnt vmcnt(29)
	v_mul_f32_e32 v37, v30, v109
	v_fmac_f32_e32 v37, v31, v104
	v_add_f32_e32 v36, v36, v37
	s_waitcnt vmcnt(28) lgkmcnt(0)
	v_mul_f32_e32 v37, v32, v110
	v_fmac_f32_e32 v37, v33, v101
	v_add_f32_e32 v40, v36, v37
	ds_read_b128 v[36:39], v1 offset:800
	s_waitcnt vmcnt(21)
	v_mul_f32_e32 v41, v34, v117
	s_waitcnt vmcnt(20)
	v_fmac_f32_e32 v41, v35, v118
	v_add_f32_e32 v44, v40, v41
	ds_read_b128 v[40:43], v1 offset:816
	s_waitcnt lgkmcnt(1)
	v_mul_f32_e32 v45, v36, v112
	v_fmac_f32_e32 v45, v37, v111
	v_add_f32_e32 v44, v44, v45
	v_mul_f32_e32 v45, v38, v114
	v_fmac_f32_e32 v45, v39, v113
	v_add_f32_e32 v44, v44, v45
	s_waitcnt lgkmcnt(0)
	v_mul_f32_e32 v45, v40, v116
	v_fmac_f32_e32 v45, v41, v115
	v_add_f32_e32 v48, v44, v45
	ds_read_b128 v[44:47], v1 offset:832
	s_waitcnt vmcnt(16)
	v_mul_f32_e32 v49, v42, v120
	v_fmac_f32_e32 v49, v43, v119
	v_add_f32_e32 v52, v48, v49
	ds_read_b128 v[48:51], v1 offset:848
	s_waitcnt vmcnt(14) lgkmcnt(1)
	v_mul_f32_e32 v53, v44, v122
	v_fmac_f32_e32 v53, v45, v121
	v_add_f32_e32 v52, v52, v53
	s_waitcnt vmcnt(12)
	v_mul_f32_e32 v53, v46, v124
	v_fmac_f32_e32 v53, v47, v123
	v_add_f32_e32 v52, v52, v53
	s_waitcnt vmcnt(10) lgkmcnt(0)
	v_mul_f32_e32 v53, v48, v126
	v_fmac_f32_e32 v53, v49, v125
	s_waitcnt vmcnt(8)
	v_mul_f32_e32 v57, v50, v128
	v_add_f32_e32 v56, v52, v53
	v_fmac_f32_e32 v57, v51, v127
	ds_read_b128 v[52:55], v1 offset:864
	v_add_f32_e32 v61, v56, v57
	ds_read_b128 v[56:59], v1 offset:880
	buffer_load_dword v65, off, s[0:3], 0 offset:436
	buffer_load_dword v64, off, s[0:3], 0 offset:432
	;; [unrolled: 1-line block ×16, first 2 shown]
	v_mul_f32_e32 v5, v5, v60
	v_fma_f32 v4, v4, v89, -v5
	v_mul_f32_e32 v5, v7, v62
	v_add_f32_e32 v4, 0, v4
	v_fma_f32 v5, v6, v88, -v5
	v_add_f32_e32 v4, v4, v5
	v_mul_f32_e32 v5, v9, v84
	v_fma_f32 v5, v8, v87, -v5
	v_add_f32_e32 v4, v4, v5
	v_mul_f32_e32 v5, v11, v70
	;; [unrolled: 3-line block ×22, first 2 shown]
	v_fma_f32 v5, v50, v127, -v5
	v_add_f32_e32 v4, v4, v5
	s_waitcnt vmcnt(22) lgkmcnt(1)
	v_mul_f32_e32 v5, v53, v130
	v_fma_f32 v5, v52, v129, -v5
	v_add_f32_e32 v4, v4, v5
	s_waitcnt vmcnt(20)
	v_mul_f32_e32 v5, v55, v132
	v_mul_f32_e32 v63, v52, v130
	v_fma_f32 v5, v54, v131, -v5
	v_fmac_f32_e32 v63, v53, v129
	v_add_f32_e32 v60, v4, v5
	s_waitcnt vmcnt(18) lgkmcnt(0)
	v_mul_f32_e32 v4, v57, v134
	v_add_f32_e32 v61, v61, v63
	v_mul_f32_e32 v63, v54, v132
	v_fma_f32 v62, v56, v133, -v4
	s_waitcnt vmcnt(16)
	v_mul_f32_e32 v4, v59, v136
	v_fmac_f32_e32 v63, v55, v131
	v_fma_f32 v70, v58, v135, -v4
	ds_read_b128 v[4:7], v1 offset:896
	ds_read_b128 v[8:11], v1 offset:912
	;; [unrolled: 1-line block ×4, first 2 shown]
	v_add_f32_e32 v61, v61, v63
	v_mul_f32_e32 v63, v56, v134
	s_waitcnt vmcnt(11)
	v_mov_b32_e32 v22, v69
	v_fmac_f32_e32 v63, v57, v133
	v_mul_f32_e32 v71, v58, v136
	s_waitcnt lgkmcnt(3)
	v_pk_mul_f32 v[22:23], v[4:5], v[22:23] op_sel_hi:[1,0]
	v_fmac_f32_e32 v71, v59, v135
	v_pk_add_f32 v[20:21], v[60:61], v[62:63]
	s_waitcnt vmcnt(10)
	v_pk_fma_f32 v[24:25], v[4:5], v[68:69], v[22:23] op_sel:[0,0,1] op_sel_hi:[1,1,0] neg_lo:[0,0,1] neg_hi:[0,0,1]
	v_pk_fma_f32 v[4:5], v[4:5], v[68:69], v[22:23] op_sel:[0,0,1] op_sel_hi:[1,0,0]
	v_pk_add_f32 v[20:21], v[20:21], v[70:71]
	v_mov_b32_e32 v25, v5
	v_pk_add_f32 v[4:5], v[20:21], v[24:25]
	v_mov_b32_e32 v20, v67
	v_pk_mul_f32 v[20:21], v[6:7], v[20:21] op_sel_hi:[1,0]
	v_pk_fma_f32 v[22:23], v[6:7], v[66:67], v[20:21] op_sel:[0,0,1] op_sel_hi:[1,1,0] neg_lo:[0,0,1] neg_hi:[0,0,1]
	v_pk_fma_f32 v[6:7], v[6:7], v[66:67], v[20:21] op_sel:[0,0,1] op_sel_hi:[1,0,0]
	v_mov_b32_e32 v6, v65
	v_mov_b32_e32 v23, v7
	s_waitcnt lgkmcnt(2)
	v_pk_mul_f32 v[6:7], v[8:9], v[6:7] op_sel_hi:[1,0]
	v_pk_fma_f32 v[20:21], v[8:9], v[64:65], v[6:7] op_sel:[0,0,1] op_sel_hi:[1,1,0] neg_lo:[0,0,1] neg_hi:[0,0,1]
	v_pk_fma_f32 v[6:7], v[8:9], v[64:65], v[6:7] op_sel:[0,0,1] op_sel_hi:[1,0,0]
	s_waitcnt vmcnt(3)
	v_mov_b32_e32 v6, v79
	v_mov_b32_e32 v21, v7
	v_pk_mul_f32 v[6:7], v[10:11], v[6:7] op_sel_hi:[1,0]
	s_waitcnt vmcnt(2)
	v_pk_fma_f32 v[8:9], v[10:11], v[78:79], v[6:7] op_sel:[0,0,1] op_sel_hi:[1,1,0] neg_lo:[0,0,1] neg_hi:[0,0,1]
	v_pk_fma_f32 v[6:7], v[10:11], v[78:79], v[6:7] op_sel:[0,0,1] op_sel_hi:[1,0,0]
	v_pk_add_f32 v[4:5], v[4:5], v[22:23]
	v_mov_b32_e32 v6, v77
	v_pk_add_f32 v[4:5], v[4:5], v[20:21]
	v_mov_b32_e32 v9, v7
	s_waitcnt lgkmcnt(1)
	v_pk_mul_f32 v[6:7], v[12:13], v[6:7] op_sel_hi:[1,0]
	v_pk_add_f32 v[4:5], v[4:5], v[8:9]
	v_pk_fma_f32 v[8:9], v[12:13], v[76:77], v[6:7] op_sel:[0,0,1] op_sel_hi:[1,1,0] neg_lo:[0,0,1] neg_hi:[0,0,1]
	v_pk_fma_f32 v[6:7], v[12:13], v[76:77], v[6:7] op_sel:[0,0,1] op_sel_hi:[1,0,0]
	v_mov_b32_e32 v6, v75
	v_mov_b32_e32 v9, v7
	v_pk_mul_f32 v[6:7], v[14:15], v[6:7] op_sel_hi:[1,0]
	v_pk_add_f32 v[4:5], v[4:5], v[8:9]
	v_pk_fma_f32 v[8:9], v[14:15], v[74:75], v[6:7] op_sel:[0,0,1] op_sel_hi:[1,1,0] neg_lo:[0,0,1] neg_hi:[0,0,1]
	v_pk_fma_f32 v[6:7], v[14:15], v[74:75], v[6:7] op_sel:[0,0,1] op_sel_hi:[1,0,0]
	v_mov_b32_e32 v6, v73
	v_mov_b32_e32 v9, v7
	s_waitcnt lgkmcnt(0)
	v_pk_mul_f32 v[6:7], v[16:17], v[6:7] op_sel_hi:[1,0]
	v_pk_add_f32 v[4:5], v[4:5], v[8:9]
	v_pk_fma_f32 v[8:9], v[16:17], v[72:73], v[6:7] op_sel:[0,0,1] op_sel_hi:[1,1,0] neg_lo:[0,0,1] neg_hi:[0,0,1]
	v_pk_fma_f32 v[6:7], v[16:17], v[72:73], v[6:7] op_sel:[0,0,1] op_sel_hi:[1,0,0]
	s_waitcnt vmcnt(1)
	v_mov_b32_e32 v6, v81
	v_mov_b32_e32 v9, v7
	v_pk_mul_f32 v[6:7], v[18:19], v[6:7] op_sel_hi:[1,0]
	v_pk_add_f32 v[4:5], v[4:5], v[8:9]
	s_waitcnt vmcnt(0)
	v_pk_fma_f32 v[8:9], v[18:19], v[80:81], v[6:7] op_sel:[0,0,1] op_sel_hi:[1,1,0] neg_lo:[0,0,1] neg_hi:[0,0,1]
	v_pk_fma_f32 v[6:7], v[18:19], v[80:81], v[6:7] op_sel:[0,0,1] op_sel_hi:[1,0,0]
	v_mov_b32_e32 v9, v7
	v_pk_add_f32 v[4:5], v[4:5], v[8:9]
	v_pk_add_f32 v[2:3], v[2:3], v[4:5] neg_lo:[0,1] neg_hi:[0,1]
	buffer_store_dword v3, off, s[0:3], 0 offset:188
	buffer_store_dword v2, off, s[0:3], 0 offset:184
	s_and_saveexec_b64 s[4:5], vcc
	s_cbranch_execz .LBB123_329
; %bb.328:
	buffer_load_dword v2, off, s[0:3], 0 offset:176
	buffer_load_dword v3, off, s[0:3], 0 offset:180
	v_mov_b32_e32 v1, 0
	buffer_store_dword v1, off, s[0:3], 0 offset:176
	buffer_store_dword v1, off, s[0:3], 0 offset:180
	s_waitcnt vmcnt(2)
	ds_write_b64 v195, v[2:3]
.LBB123_329:
	s_or_b64 exec, exec, s[4:5]
	v_mov_b32_e32 v86, 0
	s_waitcnt lgkmcnt(0)
	; wave barrier
	s_waitcnt lgkmcnt(0)
	ds_read2_b64 v[2:5], v86 offset0:83 offset1:84
	buffer_load_dword v62, off, s[0:3], 0 offset:176
	buffer_load_dword v63, off, s[0:3], 0 offset:180
	;; [unrolled: 1-line block ×16, first 2 shown]
	ds_read2_b64 v[10:13], v86 offset0:85 offset1:86
	ds_read2_b64 v[14:17], v86 offset0:87 offset1:88
	ds_read2_b64 v[18:21], v86 offset0:89 offset1:90
	buffer_load_dword v97, off, s[0:3], 0 offset:240
	buffer_load_dword v98, off, s[0:3], 0 offset:244
	ds_read2_b64 v[22:25], v86 offset0:91 offset1:92
	buffer_load_dword v99, off, s[0:3], 0 offset:248
	buffer_load_dword v100, off, s[0:3], 0 offset:252
	buffer_load_dword v101, off, s[0:3], 0 offset:256
	buffer_load_dword v104, off, s[0:3], 0 offset:260
	ds_read2_b64 v[26:29], v86 offset0:93 offset1:94
	buffer_load_dword v105, off, s[0:3], 0 offset:264
	buffer_load_dword v106, off, s[0:3], 0 offset:268
	;; [unrolled: 5-line block ×10, first 2 shown]
	buffer_load_dword v139, off, s[0:3], 0 offset:400
	buffer_load_dword v140, off, s[0:3], 0 offset:404
	v_cmp_lt_u32_e32 vcc, 21, v0
	s_waitcnt vmcnt(54) lgkmcnt(13)
	v_mul_f32_e32 v6, v2, v70
	v_fmac_f32_e32 v6, v3, v1
	s_waitcnt vmcnt(52)
	v_mul_f32_e32 v7, v4, v88
	v_add_f32_e32 v6, 0, v6
	v_fmac_f32_e32 v7, v5, v64
	v_add_f32_e32 v6, v6, v7
	s_waitcnt vmcnt(50) lgkmcnt(12)
	v_mul_f32_e32 v7, v10, v90
	v_fmac_f32_e32 v7, v11, v66
	v_add_f32_e32 v6, v6, v7
	s_waitcnt vmcnt(48)
	v_mul_f32_e32 v7, v12, v92
	v_fmac_f32_e32 v7, v13, v87
	v_add_f32_e32 v6, v6, v7
	s_waitcnt vmcnt(46) lgkmcnt(11)
	v_mul_f32_e32 v7, v14, v94
	v_fmac_f32_e32 v7, v15, v89
	v_add_f32_e32 v6, v6, v7
	s_waitcnt vmcnt(44)
	v_mul_f32_e32 v7, v16, v95
	;; [unrolled: 8-line block ×12, first 2 shown]
	v_fmac_f32_e32 v7, v57, v135
	v_add_f32_e32 v6, v6, v7
	s_waitcnt vmcnt(2) lgkmcnt(0)
	v_mul_f32_e32 v7, v58, v138
	v_fmac_f32_e32 v7, v59, v137
	v_add_f32_e32 v65, v6, v7
	ds_read2_b64 v[6:9], v86 offset0:111 offset1:112
	buffer_load_dword v141, off, s[0:3], 0 offset:408
	buffer_load_dword v142, off, s[0:3], 0 offset:412
	buffer_load_dword v69, off, s[0:3], 0 offset:420
	buffer_load_dword v68, off, s[0:3], 0 offset:416
	buffer_load_dword v85, off, s[0:3], 0 offset:428
	buffer_load_dword v84, off, s[0:3], 0 offset:424
	buffer_load_dword v83, off, s[0:3], 0 offset:436
	buffer_load_dword v82, off, s[0:3], 0 offset:432
	buffer_load_dword v81, off, s[0:3], 0 offset:444
	buffer_load_dword v80, off, s[0:3], 0 offset:440
	buffer_load_dword v79, off, s[0:3], 0 offset:452
	buffer_load_dword v78, off, s[0:3], 0 offset:448
	buffer_load_dword v77, off, s[0:3], 0 offset:460
	buffer_load_dword v76, off, s[0:3], 0 offset:456
	buffer_load_dword v75, off, s[0:3], 0 offset:468
	buffer_load_dword v74, off, s[0:3], 0 offset:464
	buffer_load_dword v73, off, s[0:3], 0 offset:476
	buffer_load_dword v72, off, s[0:3], 0 offset:472
	v_mul_f32_e32 v3, v3, v70
	v_fma_f32 v1, v2, v1, -v3
	v_mul_f32_e32 v2, v5, v88
	v_add_f32_e32 v1, 0, v1
	v_fma_f32 v2, v4, v64, -v2
	v_add_f32_e32 v1, v1, v2
	v_mul_f32_e32 v2, v11, v90
	v_fma_f32 v2, v10, v66, -v2
	v_add_f32_e32 v1, v1, v2
	v_mul_f32_e32 v2, v13, v92
	;; [unrolled: 3-line block ×25, first 2 shown]
	v_fma_f32 v2, v58, v137, -v2
	s_waitcnt vmcnt(18)
	v_mul_f32_e32 v67, v60, v140
	v_add_f32_e32 v64, v1, v2
	v_mul_f32_e32 v1, v61, v140
	s_waitcnt vmcnt(15)
	v_mov_b32_e32 v20, v69
	v_fmac_f32_e32 v67, v61, v139
	s_waitcnt lgkmcnt(0)
	v_mul_f32_e32 v71, v6, v142
	v_fma_f32 v66, v60, v139, -v1
	v_mul_f32_e32 v1, v7, v142
	v_pk_mul_f32 v[20:21], v[8:9], v[20:21] op_sel_hi:[1,0]
	v_fmac_f32_e32 v71, v7, v141
	v_fma_f32 v70, v6, v141, -v1
	v_pk_add_f32 v[18:19], v[64:65], v[66:67]
	s_waitcnt vmcnt(14)
	v_pk_fma_f32 v[22:23], v[8:9], v[68:69], v[20:21] op_sel:[0,0,1] op_sel_hi:[1,1,0] neg_lo:[0,0,1] neg_hi:[0,0,1]
	v_pk_fma_f32 v[8:9], v[8:9], v[68:69], v[20:21] op_sel:[0,0,1] op_sel_hi:[1,0,0]
	ds_read2_b64 v[2:5], v86 offset0:113 offset1:114
	ds_read2_b64 v[10:13], v86 offset0:115 offset1:116
	;; [unrolled: 1-line block ×3, first 2 shown]
	ds_read_b64 v[6:7], v86 offset:952
	v_pk_add_f32 v[18:19], v[18:19], v[70:71]
	v_mov_b32_e32 v23, v9
	v_pk_add_f32 v[8:9], v[18:19], v[22:23]
	s_waitcnt vmcnt(13)
	v_mov_b32_e32 v18, v85
	s_waitcnt lgkmcnt(3)
	v_pk_mul_f32 v[18:19], v[2:3], v[18:19] op_sel_hi:[1,0]
	s_waitcnt vmcnt(12)
	v_pk_fma_f32 v[20:21], v[2:3], v[84:85], v[18:19] op_sel:[0,0,1] op_sel_hi:[1,1,0] neg_lo:[0,0,1] neg_hi:[0,0,1]
	v_pk_fma_f32 v[2:3], v[2:3], v[84:85], v[18:19] op_sel:[0,0,1] op_sel_hi:[1,0,0]
	v_mov_b32_e32 v21, v3
	v_pk_add_f32 v[2:3], v[8:9], v[20:21]
	s_waitcnt vmcnt(11)
	v_mov_b32_e32 v8, v83
	v_pk_mul_f32 v[8:9], v[4:5], v[8:9] op_sel_hi:[1,0]
	s_waitcnt vmcnt(10)
	v_pk_fma_f32 v[18:19], v[4:5], v[82:83], v[8:9] op_sel:[0,0,1] op_sel_hi:[1,1,0] neg_lo:[0,0,1] neg_hi:[0,0,1]
	v_pk_fma_f32 v[4:5], v[4:5], v[82:83], v[8:9] op_sel:[0,0,1] op_sel_hi:[1,0,0]
	s_waitcnt vmcnt(9)
	v_mov_b32_e32 v4, v81
	v_mov_b32_e32 v19, v5
	s_waitcnt lgkmcnt(2)
	v_pk_mul_f32 v[4:5], v[10:11], v[4:5] op_sel_hi:[1,0]
	s_waitcnt vmcnt(8)
	v_pk_fma_f32 v[8:9], v[10:11], v[80:81], v[4:5] op_sel:[0,0,1] op_sel_hi:[1,1,0] neg_lo:[0,0,1] neg_hi:[0,0,1]
	v_pk_fma_f32 v[4:5], v[10:11], v[80:81], v[4:5] op_sel:[0,0,1] op_sel_hi:[1,0,0]
	s_waitcnt vmcnt(7)
	v_mov_b32_e32 v4, v79
	v_pk_add_f32 v[2:3], v[2:3], v[18:19]
	v_mov_b32_e32 v9, v5
	v_pk_mul_f32 v[4:5], v[12:13], v[4:5] op_sel_hi:[1,0]
	v_pk_add_f32 v[2:3], v[2:3], v[8:9]
	s_waitcnt vmcnt(6)
	v_pk_fma_f32 v[8:9], v[12:13], v[78:79], v[4:5] op_sel:[0,0,1] op_sel_hi:[1,1,0] neg_lo:[0,0,1] neg_hi:[0,0,1]
	v_pk_fma_f32 v[4:5], v[12:13], v[78:79], v[4:5] op_sel:[0,0,1] op_sel_hi:[1,0,0]
	s_waitcnt vmcnt(5)
	v_mov_b32_e32 v4, v77
	v_mov_b32_e32 v9, v5
	s_waitcnt lgkmcnt(1)
	v_pk_mul_f32 v[4:5], v[14:15], v[4:5] op_sel_hi:[1,0]
	v_pk_add_f32 v[2:3], v[2:3], v[8:9]
	s_waitcnt vmcnt(4)
	v_pk_fma_f32 v[8:9], v[14:15], v[76:77], v[4:5] op_sel:[0,0,1] op_sel_hi:[1,1,0] neg_lo:[0,0,1] neg_hi:[0,0,1]
	v_pk_fma_f32 v[4:5], v[14:15], v[76:77], v[4:5] op_sel:[0,0,1] op_sel_hi:[1,0,0]
	s_waitcnt vmcnt(3)
	v_mov_b32_e32 v4, v75
	v_mov_b32_e32 v9, v5
	v_pk_mul_f32 v[4:5], v[16:17], v[4:5] op_sel_hi:[1,0]
	v_pk_add_f32 v[2:3], v[2:3], v[8:9]
	s_waitcnt vmcnt(2)
	v_pk_fma_f32 v[8:9], v[16:17], v[74:75], v[4:5] op_sel:[0,0,1] op_sel_hi:[1,1,0] neg_lo:[0,0,1] neg_hi:[0,0,1]
	v_pk_fma_f32 v[4:5], v[16:17], v[74:75], v[4:5] op_sel:[0,0,1] op_sel_hi:[1,0,0]
	s_waitcnt vmcnt(1)
	v_mov_b32_e32 v4, v73
	v_mov_b32_e32 v9, v5
	s_waitcnt lgkmcnt(0)
	v_pk_mul_f32 v[4:5], v[6:7], v[4:5] op_sel_hi:[1,0]
	v_pk_add_f32 v[2:3], v[2:3], v[8:9]
	s_waitcnt vmcnt(0)
	v_pk_fma_f32 v[8:9], v[6:7], v[72:73], v[4:5] op_sel:[0,0,1] op_sel_hi:[1,1,0] neg_lo:[0,0,1] neg_hi:[0,0,1]
	v_pk_fma_f32 v[4:5], v[6:7], v[72:73], v[4:5] op_sel:[0,0,1] op_sel_hi:[1,0,0]
	v_mov_b32_e32 v9, v5
	v_pk_add_f32 v[2:3], v[2:3], v[8:9]
	v_pk_add_f32 v[2:3], v[62:63], v[2:3] neg_lo:[0,1] neg_hi:[0,1]
	buffer_store_dword v3, off, s[0:3], 0 offset:180
	buffer_store_dword v2, off, s[0:3], 0 offset:176
	s_and_saveexec_b64 s[4:5], vcc
	s_cbranch_execz .LBB123_331
; %bb.330:
	buffer_load_dword v2, off, s[0:3], 0 offset:168
	buffer_load_dword v3, off, s[0:3], 0 offset:172
	s_waitcnt vmcnt(0)
	ds_write_b64 v195, v[2:3]
	buffer_store_dword v86, off, s[0:3], 0 offset:168
	buffer_store_dword v86, off, s[0:3], 0 offset:172
.LBB123_331:
	s_or_b64 exec, exec, s[4:5]
	s_waitcnt lgkmcnt(0)
	; wave barrier
	s_waitcnt lgkmcnt(0)
	buffer_load_dword v1, off, s[0:3], 0 offset:180
	buffer_load_dword v70, off, s[0:3], 0 offset:188
	;; [unrolled: 1-line block ×32, first 2 shown]
	ds_read_b128 v[16:19], v86 offset:656
	ds_read_b128 v[6:9], v86 offset:672
	buffer_load_dword v119, off, s[0:3], 0 offset:296
	buffer_load_dword v120, off, s[0:3], 0 offset:300
	ds_read_b128 v[10:13], v86 offset:688
	ds_read_b128 v[2:5], v86 offset:704
	buffer_load_dword v121, off, s[0:3], 0 offset:304
	buffer_load_dword v122, off, s[0:3], 0 offset:308
	;; [unrolled: 1-line block ×28, first 2 shown]
	v_cmp_lt_u32_e32 vcc, 20, v0
	s_waitcnt vmcnt(61) lgkmcnt(3)
	v_mul_f32_e32 v20, v16, v1
	s_waitcnt vmcnt(60)
	v_mul_f32_e32 v21, v18, v70
	s_waitcnt vmcnt(59) lgkmcnt(2)
	v_mul_f32_e32 v23, v8, v72
	s_waitcnt vmcnt(58) lgkmcnt(1)
	v_mul_f32_e32 v24, v10, v74
	s_waitcnt vmcnt(57)
	v_mul_f32_e32 v25, v12, v87
	s_waitcnt vmcnt(56)
	;; [unrolled: 2-line block ×3, first 2 shown]
	v_fmac_f32_e32 v22, v7, v93
	s_waitcnt vmcnt(54)
	v_fmac_f32_e32 v21, v19, v94
	s_waitcnt vmcnt(53)
	v_fmac_f32_e32 v20, v17, v95
	v_add_f32_e32 v20, 0, v20
	v_add_f32_e32 v20, v20, v21
	;; [unrolled: 1-line block ×3, first 2 shown]
	s_waitcnt vmcnt(49)
	v_fmac_f32_e32 v24, v11, v99
	s_waitcnt vmcnt(48)
	v_fmac_f32_e32 v23, v9, v100
	v_add_f32_e32 v20, v20, v23
	s_waitcnt lgkmcnt(0)
	v_mul_f32_e32 v26, v2, v96
	v_fmac_f32_e32 v25, v13, v98
	v_add_f32_e32 v20, v20, v24
	v_fmac_f32_e32 v26, v3, v97
	v_add_f32_e32 v20, v20, v25
	v_add_f32_e32 v24, v20, v26
	ds_read_b128 v[20:23], v86 offset:720
	s_waitcnt vmcnt(44)
	v_mul_f32_e32 v25, v4, v106
	s_waitcnt vmcnt(43)
	v_fmac_f32_e32 v25, v5, v107
	v_add_f32_e32 v28, v24, v25
	ds_read_b128 v[24:27], v86 offset:736
	s_waitcnt vmcnt(42) lgkmcnt(1)
	v_mul_f32_e32 v29, v20, v108
	v_fmac_f32_e32 v29, v21, v105
	v_add_f32_e32 v28, v28, v29
	s_waitcnt vmcnt(41)
	v_mul_f32_e32 v29, v22, v109
	v_fmac_f32_e32 v29, v23, v104
	v_add_f32_e32 v28, v28, v29
	s_waitcnt vmcnt(40) lgkmcnt(0)
	v_mul_f32_e32 v29, v24, v110
	v_fmac_f32_e32 v29, v25, v101
	v_add_f32_e32 v32, v28, v29
	ds_read_b128 v[28:31], v86 offset:752
	s_waitcnt vmcnt(34)
	v_mul_f32_e32 v33, v26, v116
	s_waitcnt vmcnt(33)
	v_fmac_f32_e32 v33, v27, v117
	v_add_f32_e32 v36, v32, v33
	ds_read_b128 v[32:35], v86 offset:768
	s_waitcnt vmcnt(32) lgkmcnt(1)
	v_mul_f32_e32 v37, v28, v118
	v_fmac_f32_e32 v37, v29, v115
	v_add_f32_e32 v36, v36, v37
	v_mul_f32_e32 v37, v30, v112
	v_fmac_f32_e32 v37, v31, v111
	v_add_f32_e32 v36, v36, v37
	s_waitcnt lgkmcnt(0)
	v_mul_f32_e32 v37, v32, v114
	v_fmac_f32_e32 v37, v33, v113
	v_add_f32_e32 v40, v36, v37
	ds_read_b128 v[36:39], v86 offset:784
	s_waitcnt vmcnt(28)
	v_mul_f32_e32 v41, v34, v120
	v_fmac_f32_e32 v41, v35, v119
	v_add_f32_e32 v44, v40, v41
	ds_read_b128 v[40:43], v86 offset:800
	s_waitcnt vmcnt(26) lgkmcnt(1)
	v_mul_f32_e32 v45, v36, v122
	v_fmac_f32_e32 v45, v37, v121
	v_add_f32_e32 v44, v44, v45
	s_waitcnt vmcnt(24)
	v_mul_f32_e32 v45, v38, v124
	v_fmac_f32_e32 v45, v39, v123
	v_add_f32_e32 v44, v44, v45
	s_waitcnt vmcnt(22) lgkmcnt(0)
	v_mul_f32_e32 v45, v40, v126
	v_fmac_f32_e32 v45, v41, v125
	v_add_f32_e32 v48, v44, v45
	ds_read_b128 v[44:47], v86 offset:816
	s_waitcnt vmcnt(20)
	v_mul_f32_e32 v49, v42, v128
	v_fmac_f32_e32 v49, v43, v127
	v_add_f32_e32 v52, v48, v49
	ds_read_b128 v[48:51], v86 offset:832
	s_waitcnt vmcnt(18) lgkmcnt(1)
	v_mul_f32_e32 v53, v44, v130
	v_fmac_f32_e32 v53, v45, v129
	v_add_f32_e32 v52, v52, v53
	s_waitcnt vmcnt(16)
	v_mul_f32_e32 v53, v46, v132
	v_fmac_f32_e32 v53, v47, v131
	v_add_f32_e32 v52, v52, v53
	s_waitcnt vmcnt(14) lgkmcnt(0)
	v_mul_f32_e32 v53, v48, v134
	v_fmac_f32_e32 v53, v49, v133
	v_add_f32_e32 v56, v52, v53
	ds_read_b128 v[52:55], v86 offset:848
	s_waitcnt vmcnt(12)
	v_mul_f32_e32 v57, v50, v136
	v_fmac_f32_e32 v57, v51, v135
	v_add_f32_e32 v60, v56, v57
	ds_read_b128 v[56:59], v86 offset:864
	buffer_load_dword v69, off, s[0:3], 0 offset:420
	buffer_load_dword v68, off, s[0:3], 0 offset:416
	s_waitcnt vmcnt(12) lgkmcnt(1)
	v_mul_f32_e32 v61, v52, v138
	v_fmac_f32_e32 v61, v53, v137
	v_add_f32_e32 v60, v60, v61
	s_waitcnt vmcnt(10)
	v_mul_f32_e32 v61, v54, v140
	v_fmac_f32_e32 v61, v55, v139
	v_add_f32_e32 v60, v60, v61
	s_waitcnt vmcnt(8) lgkmcnt(0)
	v_mul_f32_e32 v61, v56, v142
	v_fmac_f32_e32 v61, v57, v141
	s_waitcnt vmcnt(6)
	v_mul_f32_e32 v65, v58, v144
	v_add_f32_e32 v64, v60, v61
	v_fmac_f32_e32 v65, v59, v143
	ds_read_b128 v[60:63], v86 offset:880
	v_add_f32_e32 v71, v64, v65
	ds_read_b128 v[64:67], v86 offset:896
	buffer_load_dword v77, off, s[0:3], 0 offset:452
	buffer_load_dword v76, off, s[0:3], 0 offset:448
	;; [unrolled: 1-line block ×14, first 2 shown]
	v_mul_f32_e32 v1, v17, v1
	v_fma_f32 v1, v16, v95, -v1
	v_mul_f32_e32 v16, v19, v70
	v_add_f32_e32 v1, 0, v1
	v_fma_f32 v16, v18, v94, -v16
	v_mul_f32_e32 v7, v7, v92
	v_add_f32_e32 v1, v1, v16
	v_fma_f32 v6, v6, v93, -v7
	v_add_f32_e32 v1, v1, v6
	v_mul_f32_e32 v6, v9, v72
	v_fma_f32 v6, v8, v100, -v6
	v_add_f32_e32 v1, v1, v6
	v_mul_f32_e32 v6, v11, v74
	;; [unrolled: 3-line block ×3, first 2 shown]
	v_fma_f32 v6, v12, v98, -v6
	v_mul_f32_e32 v3, v3, v96
	v_add_f32_e32 v1, v1, v6
	v_fma_f32 v2, v2, v97, -v3
	v_add_f32_e32 v1, v1, v2
	v_mul_f32_e32 v2, v5, v106
	v_fma_f32 v2, v4, v107, -v2
	v_add_f32_e32 v1, v1, v2
	v_mul_f32_e32 v2, v21, v108
	;; [unrolled: 3-line block ×21, first 2 shown]
	v_fma_f32 v2, v58, v143, -v2
	s_waitcnt vmcnt(15)
	v_mov_b32_e32 v18, v69
	s_waitcnt lgkmcnt(1)
	v_mul_f32_e32 v73, v60, v146
	v_add_f32_e32 v70, v1, v2
	v_mul_f32_e32 v1, v61, v146
	s_waitcnt lgkmcnt(0)
	v_pk_mul_f32 v[18:19], v[64:65], v[18:19] op_sel_hi:[1,0]
	v_fmac_f32_e32 v73, v61, v145
	v_mul_f32_e32 v75, v62, v148
	v_fma_f32 v72, v60, v145, -v1
	v_mul_f32_e32 v1, v63, v148
	s_waitcnt vmcnt(14)
	v_pk_fma_f32 v[20:21], v[64:65], v[68:69], v[18:19] op_sel:[0,0,1] op_sel_hi:[1,1,0] neg_lo:[0,0,1] neg_hi:[0,0,1]
	v_pk_fma_f32 v[18:19], v[64:65], v[68:69], v[18:19] op_sel:[0,0,1] op_sel_hi:[1,0,0]
	v_fmac_f32_e32 v75, v63, v147
	v_fma_f32 v74, v62, v147, -v1
	v_pk_add_f32 v[16:17], v[70:71], v[72:73]
	s_waitcnt vmcnt(7)
	v_mov_b32_e32 v18, v83
	ds_read_b128 v[2:5], v86 offset:912
	ds_read_b128 v[6:9], v86 offset:928
	;; [unrolled: 1-line block ×3, first 2 shown]
	v_pk_add_f32 v[16:17], v[16:17], v[74:75]
	v_mov_b32_e32 v21, v19
	v_pk_mul_f32 v[18:19], v[66:67], v[18:19] op_sel_hi:[1,0]
	v_pk_add_f32 v[16:17], v[16:17], v[20:21]
	s_waitcnt vmcnt(6)
	v_pk_fma_f32 v[20:21], v[66:67], v[82:83], v[18:19] op_sel:[0,0,1] op_sel_hi:[1,1,0] neg_lo:[0,0,1] neg_hi:[0,0,1]
	v_pk_fma_f32 v[18:19], v[66:67], v[82:83], v[18:19] op_sel:[0,0,1] op_sel_hi:[1,0,0]
	v_mov_b32_e32 v18, v81
	v_mov_b32_e32 v21, v19
	s_waitcnt lgkmcnt(2)
	v_pk_mul_f32 v[18:19], v[2:3], v[18:19] op_sel_hi:[1,0]
	v_pk_add_f32 v[16:17], v[16:17], v[20:21]
	v_pk_fma_f32 v[20:21], v[2:3], v[80:81], v[18:19] op_sel:[0,0,1] op_sel_hi:[1,1,0] neg_lo:[0,0,1] neg_hi:[0,0,1]
	v_pk_fma_f32 v[2:3], v[2:3], v[80:81], v[18:19] op_sel:[0,0,1] op_sel_hi:[1,0,0]
	v_mov_b32_e32 v21, v3
	v_pk_add_f32 v[2:3], v[16:17], v[20:21]
	v_mov_b32_e32 v16, v79
	v_pk_mul_f32 v[16:17], v[4:5], v[16:17] op_sel_hi:[1,0]
	v_pk_fma_f32 v[18:19], v[4:5], v[78:79], v[16:17] op_sel:[0,0,1] op_sel_hi:[1,1,0] neg_lo:[0,0,1] neg_hi:[0,0,1]
	v_pk_fma_f32 v[4:5], v[4:5], v[78:79], v[16:17] op_sel:[0,0,1] op_sel_hi:[1,0,0]
	v_mov_b32_e32 v4, v77
	v_mov_b32_e32 v19, v5
	s_waitcnt lgkmcnt(1)
	v_pk_mul_f32 v[4:5], v[6:7], v[4:5] op_sel_hi:[1,0]
	v_pk_fma_f32 v[16:17], v[6:7], v[76:77], v[4:5] op_sel:[0,0,1] op_sel_hi:[1,1,0] neg_lo:[0,0,1] neg_hi:[0,0,1]
	v_pk_fma_f32 v[4:5], v[6:7], v[76:77], v[4:5] op_sel:[0,0,1] op_sel_hi:[1,0,0]
	s_waitcnt vmcnt(1)
	v_mov_b32_e32 v4, v91
	v_mov_b32_e32 v17, v5
	v_pk_mul_f32 v[4:5], v[8:9], v[4:5] op_sel_hi:[1,0]
	s_waitcnt vmcnt(0)
	v_pk_fma_f32 v[6:7], v[8:9], v[90:91], v[4:5] op_sel:[0,0,1] op_sel_hi:[1,1,0] neg_lo:[0,0,1] neg_hi:[0,0,1]
	v_pk_fma_f32 v[4:5], v[8:9], v[90:91], v[4:5] op_sel:[0,0,1] op_sel_hi:[1,0,0]
	v_pk_add_f32 v[2:3], v[2:3], v[18:19]
	v_mov_b32_e32 v4, v89
	v_pk_add_f32 v[2:3], v[2:3], v[16:17]
	v_mov_b32_e32 v7, v5
	s_waitcnt lgkmcnt(0)
	v_pk_mul_f32 v[4:5], v[10:11], v[4:5] op_sel_hi:[1,0]
	v_pk_add_f32 v[2:3], v[2:3], v[6:7]
	v_pk_fma_f32 v[6:7], v[10:11], v[88:89], v[4:5] op_sel:[0,0,1] op_sel_hi:[1,1,0] neg_lo:[0,0,1] neg_hi:[0,0,1]
	v_pk_fma_f32 v[4:5], v[10:11], v[88:89], v[4:5] op_sel:[0,0,1] op_sel_hi:[1,0,0]
	v_mov_b32_e32 v4, v85
	v_mov_b32_e32 v7, v5
	v_pk_mul_f32 v[4:5], v[12:13], v[4:5] op_sel_hi:[1,0]
	v_pk_add_f32 v[2:3], v[2:3], v[6:7]
	v_pk_fma_f32 v[6:7], v[12:13], v[84:85], v[4:5] op_sel:[0,0,1] op_sel_hi:[1,1,0] neg_lo:[0,0,1] neg_hi:[0,0,1]
	v_pk_fma_f32 v[4:5], v[12:13], v[84:85], v[4:5] op_sel:[0,0,1] op_sel_hi:[1,0,0]
	v_mov_b32_e32 v7, v5
	v_pk_add_f32 v[2:3], v[2:3], v[6:7]
	v_pk_add_f32 v[2:3], v[14:15], v[2:3] neg_lo:[0,1] neg_hi:[0,1]
	buffer_store_dword v3, off, s[0:3], 0 offset:172
	buffer_store_dword v2, off, s[0:3], 0 offset:168
	s_and_saveexec_b64 s[4:5], vcc
	s_cbranch_execz .LBB123_333
; %bb.332:
	buffer_load_dword v2, off, s[0:3], 0 offset:160
	buffer_load_dword v3, off, s[0:3], 0 offset:164
	v_mov_b32_e32 v1, 0
	buffer_store_dword v1, off, s[0:3], 0 offset:160
	buffer_store_dword v1, off, s[0:3], 0 offset:164
	s_waitcnt vmcnt(2)
	ds_write_b64 v195, v[2:3]
.LBB123_333:
	s_or_b64 exec, exec, s[4:5]
	s_waitcnt lgkmcnt(0)
	; wave barrier
	s_waitcnt lgkmcnt(0)
	buffer_load_dword v68, off, s[0:3], 0 offset:172
	buffer_load_dword v70, off, s[0:3], 0 offset:180
	;; [unrolled: 1-line block ×48, first 2 shown]
	v_mov_b32_e32 v1, 0
	ds_read2_b64 v[2:5], v1 offset0:81 offset1:82
	buffer_load_dword v135, off, s[0:3], 0 offset:352
	buffer_load_dword v136, off, s[0:3], 0 offset:356
	;; [unrolled: 1-line block ×8, first 2 shown]
	ds_read2_b64 v[8:11], v1 offset0:83 offset1:84
	ds_read2_b64 v[12:15], v1 offset0:85 offset1:86
	;; [unrolled: 1-line block ×3, first 2 shown]
	buffer_load_dword v143, off, s[0:3], 0 offset:384
	buffer_load_dword v144, off, s[0:3], 0 offset:388
	;; [unrolled: 1-line block ×8, first 2 shown]
	v_cmp_lt_u32_e32 vcc, 19, v0
	s_waitcnt vmcnt(62) lgkmcnt(3)
	v_mul_f32_e32 v20, v2, v68
	v_mul_f32_e32 v21, v4, v70
	s_waitcnt vmcnt(61) lgkmcnt(2)
	v_mul_f32_e32 v23, v10, v72
	s_waitcnt vmcnt(60) lgkmcnt(1)
	v_mul_f32_e32 v24, v12, v90
	s_waitcnt vmcnt(59)
	v_mul_f32_e32 v25, v14, v91
	s_waitcnt vmcnt(58)
	;; [unrolled: 2-line block ×3, first 2 shown]
	v_fmac_f32_e32 v22, v9, v93
	s_waitcnt vmcnt(56)
	v_fmac_f32_e32 v21, v5, v94
	s_waitcnt vmcnt(55)
	v_fmac_f32_e32 v20, v3, v95
	v_add_f32_e32 v20, 0, v20
	v_add_f32_e32 v20, v20, v21
	;; [unrolled: 1-line block ×3, first 2 shown]
	s_waitcnt vmcnt(51)
	v_fmac_f32_e32 v24, v13, v99
	s_waitcnt vmcnt(50)
	v_fmac_f32_e32 v23, v11, v100
	v_add_f32_e32 v20, v20, v23
	s_waitcnt lgkmcnt(0)
	v_mul_f32_e32 v26, v16, v96
	v_fmac_f32_e32 v25, v15, v98
	v_add_f32_e32 v20, v20, v24
	v_fmac_f32_e32 v26, v17, v97
	v_add_f32_e32 v20, v20, v25
	v_add_f32_e32 v24, v20, v26
	ds_read2_b64 v[20:23], v1 offset0:89 offset1:90
	s_waitcnt vmcnt(45)
	v_mul_f32_e32 v25, v18, v107
	s_waitcnt vmcnt(44)
	v_fmac_f32_e32 v25, v19, v108
	v_add_f32_e32 v28, v24, v25
	ds_read2_b64 v[24:27], v1 offset0:91 offset1:92
	s_waitcnt vmcnt(43) lgkmcnt(1)
	v_mul_f32_e32 v29, v20, v109
	v_fmac_f32_e32 v29, v21, v106
	v_add_f32_e32 v28, v28, v29
	s_waitcnt vmcnt(42)
	v_mul_f32_e32 v29, v22, v110
	v_fmac_f32_e32 v29, v23, v105
	v_add_f32_e32 v28, v28, v29
	s_waitcnt lgkmcnt(0)
	v_mul_f32_e32 v29, v24, v104
	v_fmac_f32_e32 v29, v25, v101
	v_add_f32_e32 v32, v28, v29
	ds_read2_b64 v[28:31], v1 offset0:93 offset1:94
	s_waitcnt vmcnt(38)
	v_mul_f32_e32 v33, v26, v112
	v_fmac_f32_e32 v33, v27, v111
	v_add_f32_e32 v36, v32, v33
	ds_read2_b64 v[32:35], v1 offset0:95 offset1:96
	s_waitcnt vmcnt(36) lgkmcnt(1)
	v_mul_f32_e32 v37, v28, v114
	v_fmac_f32_e32 v37, v29, v113
	v_add_f32_e32 v36, v36, v37
	s_waitcnt vmcnt(34)
	v_mul_f32_e32 v37, v30, v116
	v_fmac_f32_e32 v37, v31, v115
	v_add_f32_e32 v36, v36, v37
	s_waitcnt vmcnt(32) lgkmcnt(0)
	v_mul_f32_e32 v37, v32, v118
	v_fmac_f32_e32 v37, v33, v117
	v_add_f32_e32 v40, v36, v37
	ds_read2_b64 v[36:39], v1 offset0:97 offset1:98
	s_waitcnt vmcnt(30)
	v_mul_f32_e32 v41, v34, v120
	v_fmac_f32_e32 v41, v35, v119
	v_add_f32_e32 v44, v40, v41
	ds_read2_b64 v[40:43], v1 offset0:99 offset1:100
	s_waitcnt vmcnt(28) lgkmcnt(1)
	v_mul_f32_e32 v45, v36, v122
	v_fmac_f32_e32 v45, v37, v121
	v_add_f32_e32 v44, v44, v45
	s_waitcnt vmcnt(26)
	v_mul_f32_e32 v45, v38, v124
	v_fmac_f32_e32 v45, v39, v123
	v_add_f32_e32 v44, v44, v45
	s_waitcnt vmcnt(24) lgkmcnt(0)
	;; [unrolled: 18-line block ×4, first 2 shown]
	v_mul_f32_e32 v61, v56, v142
	v_fmac_f32_e32 v61, v57, v141
	s_waitcnt vmcnt(6)
	v_mul_f32_e32 v65, v58, v144
	v_add_f32_e32 v64, v60, v61
	v_fmac_f32_e32 v65, v59, v143
	ds_read2_b64 v[60:63], v1 offset0:109 offset1:110
	v_add_f32_e32 v69, v64, v65
	ds_read2_b64 v[64:67], v1 offset0:111 offset1:112
	buffer_load_dword v75, off, s[0:3], 0 offset:444
	buffer_load_dword v74, off, s[0:3], 0 offset:440
	;; [unrolled: 1-line block ×16, first 2 shown]
	v_mul_f32_e32 v3, v3, v68
	v_fma_f32 v2, v2, v95, -v3
	v_mul_f32_e32 v3, v5, v70
	v_add_f32_e32 v2, 0, v2
	v_fma_f32 v3, v4, v94, -v3
	v_add_f32_e32 v2, v2, v3
	v_mul_f32_e32 v3, v9, v92
	v_fma_f32 v3, v8, v93, -v3
	v_add_f32_e32 v2, v2, v3
	v_mul_f32_e32 v3, v11, v72
	;; [unrolled: 3-line block ×26, first 2 shown]
	v_fma_f32 v3, v58, v143, -v3
	v_add_f32_e32 v2, v2, v3
	s_waitcnt vmcnt(20) lgkmcnt(1)
	v_mul_f32_e32 v3, v61, v146
	v_mul_f32_e32 v71, v60, v146
	v_fma_f32 v3, v60, v145, -v3
	v_fmac_f32_e32 v71, v61, v145
	v_add_f32_e32 v68, v2, v3
	s_waitcnt vmcnt(18)
	v_mul_f32_e32 v2, v63, v148
	s_waitcnt vmcnt(9)
	v_mov_b32_e32 v20, v81
	v_add_f32_e32 v69, v69, v71
	v_mul_f32_e32 v71, v62, v148
	v_fma_f32 v70, v62, v147, -v2
	s_waitcnt lgkmcnt(0)
	v_mul_f32_e32 v2, v65, v150
	v_pk_mul_f32 v[20:21], v[66:67], v[20:21] op_sel_hi:[1,0]
	v_fmac_f32_e32 v71, v63, v147
	v_mul_f32_e32 v73, v64, v150
	v_fma_f32 v72, v64, v149, -v2
	ds_read2_b64 v[2:5], v1 offset0:113 offset1:114
	ds_read2_b64 v[8:11], v1 offset0:115 offset1:116
	;; [unrolled: 1-line block ×3, first 2 shown]
	ds_read_b64 v[16:17], v1 offset:952
	s_waitcnt vmcnt(8)
	v_pk_fma_f32 v[22:23], v[66:67], v[80:81], v[20:21] op_sel:[0,0,1] op_sel_hi:[1,1,0] neg_lo:[0,0,1] neg_hi:[0,0,1]
	v_pk_fma_f32 v[20:21], v[66:67], v[80:81], v[20:21] op_sel:[0,0,1] op_sel_hi:[1,0,0]
	v_fmac_f32_e32 v73, v65, v149
	v_pk_add_f32 v[18:19], v[68:69], v[70:71]
	v_mov_b32_e32 v20, v79
	v_pk_add_f32 v[18:19], v[18:19], v[72:73]
	v_mov_b32_e32 v23, v21
	s_waitcnt lgkmcnt(3)
	v_pk_mul_f32 v[20:21], v[2:3], v[20:21] op_sel_hi:[1,0]
	v_pk_add_f32 v[18:19], v[18:19], v[22:23]
	v_pk_fma_f32 v[22:23], v[2:3], v[78:79], v[20:21] op_sel:[0,0,1] op_sel_hi:[1,1,0] neg_lo:[0,0,1] neg_hi:[0,0,1]
	v_pk_fma_f32 v[2:3], v[2:3], v[78:79], v[20:21] op_sel:[0,0,1] op_sel_hi:[1,0,0]
	v_mov_b32_e32 v23, v3
	v_pk_add_f32 v[2:3], v[18:19], v[22:23]
	v_mov_b32_e32 v18, v77
	v_pk_mul_f32 v[18:19], v[4:5], v[18:19] op_sel_hi:[1,0]
	v_pk_fma_f32 v[20:21], v[4:5], v[76:77], v[18:19] op_sel:[0,0,1] op_sel_hi:[1,1,0] neg_lo:[0,0,1] neg_hi:[0,0,1]
	v_pk_fma_f32 v[4:5], v[4:5], v[76:77], v[18:19] op_sel:[0,0,1] op_sel_hi:[1,0,0]
	v_mov_b32_e32 v4, v75
	v_mov_b32_e32 v21, v5
	s_waitcnt lgkmcnt(2)
	v_pk_mul_f32 v[4:5], v[8:9], v[4:5] op_sel_hi:[1,0]
	v_pk_fma_f32 v[18:19], v[8:9], v[74:75], v[4:5] op_sel:[0,0,1] op_sel_hi:[1,1,0] neg_lo:[0,0,1] neg_hi:[0,0,1]
	v_pk_fma_f32 v[4:5], v[8:9], v[74:75], v[4:5] op_sel:[0,0,1] op_sel_hi:[1,0,0]
	s_waitcnt vmcnt(1)
	v_mov_b32_e32 v4, v89
	v_mov_b32_e32 v19, v5
	v_pk_mul_f32 v[4:5], v[10:11], v[4:5] op_sel_hi:[1,0]
	s_waitcnt vmcnt(0)
	v_pk_fma_f32 v[8:9], v[10:11], v[88:89], v[4:5] op_sel:[0,0,1] op_sel_hi:[1,1,0] neg_lo:[0,0,1] neg_hi:[0,0,1]
	v_pk_fma_f32 v[4:5], v[10:11], v[88:89], v[4:5] op_sel:[0,0,1] op_sel_hi:[1,0,0]
	v_pk_add_f32 v[2:3], v[2:3], v[20:21]
	v_mov_b32_e32 v4, v87
	v_pk_add_f32 v[2:3], v[2:3], v[18:19]
	v_mov_b32_e32 v9, v5
	s_waitcnt lgkmcnt(1)
	v_pk_mul_f32 v[4:5], v[12:13], v[4:5] op_sel_hi:[1,0]
	v_pk_add_f32 v[2:3], v[2:3], v[8:9]
	v_pk_fma_f32 v[8:9], v[12:13], v[86:87], v[4:5] op_sel:[0,0,1] op_sel_hi:[1,1,0] neg_lo:[0,0,1] neg_hi:[0,0,1]
	v_pk_fma_f32 v[4:5], v[12:13], v[86:87], v[4:5] op_sel:[0,0,1] op_sel_hi:[1,0,0]
	v_mov_b32_e32 v4, v85
	v_mov_b32_e32 v9, v5
	v_pk_mul_f32 v[4:5], v[14:15], v[4:5] op_sel_hi:[1,0]
	v_pk_add_f32 v[2:3], v[2:3], v[8:9]
	v_pk_fma_f32 v[8:9], v[14:15], v[84:85], v[4:5] op_sel:[0,0,1] op_sel_hi:[1,1,0] neg_lo:[0,0,1] neg_hi:[0,0,1]
	v_pk_fma_f32 v[4:5], v[14:15], v[84:85], v[4:5] op_sel:[0,0,1] op_sel_hi:[1,0,0]
	v_mov_b32_e32 v4, v83
	v_mov_b32_e32 v9, v5
	s_waitcnt lgkmcnt(0)
	v_pk_mul_f32 v[4:5], v[16:17], v[4:5] op_sel_hi:[1,0]
	v_pk_add_f32 v[2:3], v[2:3], v[8:9]
	v_pk_fma_f32 v[8:9], v[16:17], v[82:83], v[4:5] op_sel:[0,0,1] op_sel_hi:[1,1,0] neg_lo:[0,0,1] neg_hi:[0,0,1]
	v_pk_fma_f32 v[4:5], v[16:17], v[82:83], v[4:5] op_sel:[0,0,1] op_sel_hi:[1,0,0]
	v_mov_b32_e32 v9, v5
	v_pk_add_f32 v[2:3], v[2:3], v[8:9]
	v_pk_add_f32 v[2:3], v[6:7], v[2:3] neg_lo:[0,1] neg_hi:[0,1]
	buffer_store_dword v3, off, s[0:3], 0 offset:164
	buffer_store_dword v2, off, s[0:3], 0 offset:160
	s_and_saveexec_b64 s[4:5], vcc
	s_cbranch_execz .LBB123_335
; %bb.334:
	buffer_load_dword v2, off, s[0:3], 0 offset:152
	buffer_load_dword v3, off, s[0:3], 0 offset:156
	s_waitcnt vmcnt(0)
	ds_write_b64 v195, v[2:3]
	buffer_store_dword v1, off, s[0:3], 0 offset:152
	buffer_store_dword v1, off, s[0:3], 0 offset:156
.LBB123_335:
	s_or_b64 exec, exec, s[4:5]
	s_waitcnt lgkmcnt(0)
	; wave barrier
	s_waitcnt lgkmcnt(0)
	buffer_load_dword v68, off, s[0:3], 0 offset:164
	buffer_load_dword v70, off, s[0:3], 0 offset:172
	;; [unrolled: 1-line block ×26, first 2 shown]
	ds_read_b128 v[14:17], v1 offset:640
	ds_read_b128 v[6:9], v1 offset:656
	buffer_load_dword v113, off, s[0:3], 0 offset:256
	buffer_load_dword v114, off, s[0:3], 0 offset:260
	ds_read_b128 v[10:13], v1 offset:672
	ds_read_b128 v[2:5], v1 offset:688
	buffer_load_dword v115, off, s[0:3], 0 offset:264
	buffer_load_dword v116, off, s[0:3], 0 offset:268
	;; [unrolled: 1-line block ×32, first 2 shown]
	v_cmp_lt_u32_e32 vcc, 18, v0
	s_waitcnt vmcnt(59) lgkmcnt(3)
	v_mul_f32_e32 v20, v14, v68
	s_waitcnt vmcnt(58)
	v_mul_f32_e32 v21, v16, v70
	s_waitcnt vmcnt(57) lgkmcnt(2)
	v_mul_f32_e32 v23, v8, v78
	s_waitcnt vmcnt(56) lgkmcnt(1)
	v_mul_f32_e32 v24, v10, v90
	s_waitcnt vmcnt(55)
	v_mul_f32_e32 v25, v12, v91
	s_waitcnt vmcnt(54)
	v_mul_f32_e32 v22, v6, v92
	s_waitcnt vmcnt(53) lgkmcnt(0)
	v_mul_f32_e32 v26, v2, v93
	s_waitcnt vmcnt(52)
	v_mul_f32_e32 v27, v4, v94
	s_waitcnt vmcnt(51)
	v_fmac_f32_e32 v22, v7, v95
	s_waitcnt vmcnt(50)
	v_fmac_f32_e32 v21, v17, v96
	;; [unrolled: 2-line block ×3, first 2 shown]
	v_add_f32_e32 v20, 0, v20
	v_add_f32_e32 v20, v20, v21
	v_add_f32_e32 v20, v20, v22
	s_waitcnt vmcnt(45)
	v_fmac_f32_e32 v23, v9, v101
	v_fmac_f32_e32 v24, v11, v100
	v_add_f32_e32 v20, v20, v23
	v_fmac_f32_e32 v25, v13, v99
	v_add_f32_e32 v20, v20, v24
	;; [unrolled: 2-line block ×3, first 2 shown]
	v_add_f32_e32 v24, v20, v26
	ds_read_b128 v[20:23], v1 offset:704
	s_waitcnt vmcnt(41)
	v_fmac_f32_e32 v27, v5, v107
	buffer_load_dword v147, off, s[0:3], 0 offset:392
	buffer_load_dword v148, off, s[0:3], 0 offset:396
	v_add_f32_e32 v28, v24, v27
	buffer_load_dword v149, off, s[0:3], 0 offset:400
	buffer_load_dword v150, off, s[0:3], 0 offset:404
	ds_read_b128 v[24:27], v1 offset:720
	s_waitcnt vmcnt(44) lgkmcnt(1)
	v_mul_f32_e32 v29, v20, v108
	v_fmac_f32_e32 v29, v21, v106
	v_add_f32_e32 v28, v28, v29
	s_waitcnt vmcnt(43)
	v_mul_f32_e32 v29, v22, v109
	v_fmac_f32_e32 v29, v23, v105
	v_add_f32_e32 v28, v28, v29
	s_waitcnt vmcnt(42) lgkmcnt(0)
	v_mul_f32_e32 v29, v24, v110
	v_fmac_f32_e32 v29, v25, v104
	buffer_load_dword v151, off, s[0:3], 0 offset:408
	buffer_load_dword v152, off, s[0:3], 0 offset:412
	v_add_f32_e32 v32, v28, v29
	ds_read_b128 v[28:31], v1 offset:736
	s_waitcnt vmcnt(40)
	v_mul_f32_e32 v33, v26, v112
	v_fmac_f32_e32 v33, v27, v111
	v_add_f32_e32 v36, v32, v33
	ds_read_b128 v[32:35], v1 offset:752
	s_waitcnt vmcnt(38) lgkmcnt(1)
	v_mul_f32_e32 v37, v28, v114
	v_fmac_f32_e32 v37, v29, v113
	v_add_f32_e32 v36, v36, v37
	s_waitcnt vmcnt(36)
	v_mul_f32_e32 v37, v30, v116
	v_fmac_f32_e32 v37, v31, v115
	v_add_f32_e32 v36, v36, v37
	s_waitcnt vmcnt(34) lgkmcnt(0)
	v_mul_f32_e32 v37, v32, v118
	v_fmac_f32_e32 v37, v33, v117
	v_add_f32_e32 v40, v36, v37
	ds_read_b128 v[36:39], v1 offset:768
	s_waitcnt vmcnt(32)
	v_mul_f32_e32 v41, v34, v120
	v_fmac_f32_e32 v41, v35, v119
	v_add_f32_e32 v44, v40, v41
	ds_read_b128 v[40:43], v1 offset:784
	s_waitcnt vmcnt(30) lgkmcnt(1)
	v_mul_f32_e32 v45, v36, v122
	v_fmac_f32_e32 v45, v37, v121
	v_add_f32_e32 v44, v44, v45
	s_waitcnt vmcnt(28)
	v_mul_f32_e32 v45, v38, v124
	v_fmac_f32_e32 v45, v39, v123
	v_add_f32_e32 v44, v44, v45
	s_waitcnt vmcnt(26) lgkmcnt(0)
	v_mul_f32_e32 v45, v40, v126
	v_fmac_f32_e32 v45, v41, v125
	;; [unrolled: 18-line block ×4, first 2 shown]
	s_waitcnt vmcnt(8)
	v_mul_f32_e32 v65, v58, v144
	v_add_f32_e32 v64, v60, v61
	v_fmac_f32_e32 v65, v59, v143
	ds_read_b128 v[60:63], v1 offset:864
	v_add_f32_e32 v69, v64, v65
	ds_read_b128 v[64:67], v1 offset:880
	buffer_load_dword v73, off, s[0:3], 0 offset:436
	buffer_load_dword v72, off, s[0:3], 0 offset:432
	;; [unrolled: 1-line block ×16, first 2 shown]
	v_mul_f32_e32 v15, v15, v68
	v_fma_f32 v14, v14, v97, -v15
	v_mul_f32_e32 v15, v17, v70
	v_add_f32_e32 v14, 0, v14
	v_fma_f32 v15, v16, v96, -v15
	v_mul_f32_e32 v7, v7, v92
	v_add_f32_e32 v14, v14, v15
	;; [unrolled: 3-line block ×3, first 2 shown]
	v_fma_f32 v7, v8, v101, -v7
	v_add_f32_e32 v6, v6, v7
	v_mul_f32_e32 v7, v11, v90
	v_fma_f32 v7, v10, v100, -v7
	v_add_f32_e32 v6, v6, v7
	v_mul_f32_e32 v7, v13, v91
	v_fma_f32 v7, v12, v99, -v7
	v_mul_f32_e32 v3, v3, v93
	v_add_f32_e32 v6, v6, v7
	v_fma_f32 v2, v2, v98, -v3
	v_mul_f32_e32 v3, v5, v94
	v_add_f32_e32 v2, v6, v2
	v_fma_f32 v3, v4, v107, -v3
	v_add_f32_e32 v2, v2, v3
	v_mul_f32_e32 v3, v21, v108
	v_fma_f32 v3, v20, v106, -v3
	v_add_f32_e32 v2, v2, v3
	v_mul_f32_e32 v3, v23, v109
	;; [unrolled: 3-line block ×20, first 2 shown]
	v_fma_f32 v3, v58, v143, -v3
	v_add_f32_e32 v2, v2, v3
	s_waitcnt vmcnt(22) lgkmcnt(1)
	v_mul_f32_e32 v3, v61, v146
	v_fma_f32 v3, v60, v145, -v3
	v_add_f32_e32 v2, v2, v3
	s_waitcnt vmcnt(20)
	v_mul_f32_e32 v3, v63, v148
	v_mul_f32_e32 v71, v60, v146
	v_fma_f32 v3, v62, v147, -v3
	v_fmac_f32_e32 v71, v61, v145
	v_add_f32_e32 v68, v2, v3
	s_waitcnt vmcnt(18) lgkmcnt(0)
	v_mul_f32_e32 v2, v65, v150
	v_add_f32_e32 v69, v69, v71
	v_mul_f32_e32 v71, v62, v148
	v_fma_f32 v70, v64, v149, -v2
	s_waitcnt vmcnt(16)
	v_mul_f32_e32 v2, v67, v152
	v_fmac_f32_e32 v71, v63, v147
	v_fma_f32 v78, v66, v151, -v2
	ds_read_b128 v[2:5], v1 offset:896
	ds_read_b128 v[6:9], v1 offset:912
	;; [unrolled: 1-line block ×4, first 2 shown]
	v_add_f32_e32 v69, v69, v71
	v_mul_f32_e32 v71, v64, v150
	s_waitcnt vmcnt(11)
	v_mov_b32_e32 v22, v77
	v_fmac_f32_e32 v71, v65, v149
	v_mul_f32_e32 v79, v66, v152
	s_waitcnt lgkmcnt(3)
	v_pk_mul_f32 v[22:23], v[2:3], v[22:23] op_sel_hi:[1,0]
	v_fmac_f32_e32 v79, v67, v151
	v_pk_add_f32 v[20:21], v[68:69], v[70:71]
	s_waitcnt vmcnt(10)
	v_pk_fma_f32 v[24:25], v[2:3], v[76:77], v[22:23] op_sel:[0,0,1] op_sel_hi:[1,1,0] neg_lo:[0,0,1] neg_hi:[0,0,1]
	v_pk_fma_f32 v[2:3], v[2:3], v[76:77], v[22:23] op_sel:[0,0,1] op_sel_hi:[1,0,0]
	v_pk_add_f32 v[20:21], v[20:21], v[78:79]
	v_mov_b32_e32 v25, v3
	v_pk_add_f32 v[2:3], v[20:21], v[24:25]
	v_mov_b32_e32 v20, v75
	v_pk_mul_f32 v[20:21], v[4:5], v[20:21] op_sel_hi:[1,0]
	v_pk_fma_f32 v[22:23], v[4:5], v[74:75], v[20:21] op_sel:[0,0,1] op_sel_hi:[1,1,0] neg_lo:[0,0,1] neg_hi:[0,0,1]
	v_pk_fma_f32 v[4:5], v[4:5], v[74:75], v[20:21] op_sel:[0,0,1] op_sel_hi:[1,0,0]
	v_mov_b32_e32 v4, v73
	v_mov_b32_e32 v23, v5
	s_waitcnt lgkmcnt(2)
	v_pk_mul_f32 v[4:5], v[6:7], v[4:5] op_sel_hi:[1,0]
	v_pk_fma_f32 v[20:21], v[6:7], v[72:73], v[4:5] op_sel:[0,0,1] op_sel_hi:[1,1,0] neg_lo:[0,0,1] neg_hi:[0,0,1]
	v_pk_fma_f32 v[4:5], v[6:7], v[72:73], v[4:5] op_sel:[0,0,1] op_sel_hi:[1,0,0]
	s_waitcnt vmcnt(3)
	v_mov_b32_e32 v4, v87
	v_mov_b32_e32 v21, v5
	v_pk_mul_f32 v[4:5], v[8:9], v[4:5] op_sel_hi:[1,0]
	s_waitcnt vmcnt(2)
	v_pk_fma_f32 v[6:7], v[8:9], v[86:87], v[4:5] op_sel:[0,0,1] op_sel_hi:[1,1,0] neg_lo:[0,0,1] neg_hi:[0,0,1]
	v_pk_fma_f32 v[4:5], v[8:9], v[86:87], v[4:5] op_sel:[0,0,1] op_sel_hi:[1,0,0]
	v_pk_add_f32 v[2:3], v[2:3], v[22:23]
	v_mov_b32_e32 v4, v85
	v_pk_add_f32 v[2:3], v[2:3], v[20:21]
	v_mov_b32_e32 v7, v5
	s_waitcnt lgkmcnt(1)
	v_pk_mul_f32 v[4:5], v[10:11], v[4:5] op_sel_hi:[1,0]
	v_pk_add_f32 v[2:3], v[2:3], v[6:7]
	v_pk_fma_f32 v[6:7], v[10:11], v[84:85], v[4:5] op_sel:[0,0,1] op_sel_hi:[1,1,0] neg_lo:[0,0,1] neg_hi:[0,0,1]
	v_pk_fma_f32 v[4:5], v[10:11], v[84:85], v[4:5] op_sel:[0,0,1] op_sel_hi:[1,0,0]
	v_mov_b32_e32 v4, v83
	v_mov_b32_e32 v7, v5
	v_pk_mul_f32 v[4:5], v[12:13], v[4:5] op_sel_hi:[1,0]
	v_pk_add_f32 v[2:3], v[2:3], v[6:7]
	v_pk_fma_f32 v[6:7], v[12:13], v[82:83], v[4:5] op_sel:[0,0,1] op_sel_hi:[1,1,0] neg_lo:[0,0,1] neg_hi:[0,0,1]
	v_pk_fma_f32 v[4:5], v[12:13], v[82:83], v[4:5] op_sel:[0,0,1] op_sel_hi:[1,0,0]
	v_mov_b32_e32 v4, v81
	v_mov_b32_e32 v7, v5
	s_waitcnt lgkmcnt(0)
	v_pk_mul_f32 v[4:5], v[14:15], v[4:5] op_sel_hi:[1,0]
	v_pk_add_f32 v[2:3], v[2:3], v[6:7]
	v_pk_fma_f32 v[6:7], v[14:15], v[80:81], v[4:5] op_sel:[0,0,1] op_sel_hi:[1,1,0] neg_lo:[0,0,1] neg_hi:[0,0,1]
	v_pk_fma_f32 v[4:5], v[14:15], v[80:81], v[4:5] op_sel:[0,0,1] op_sel_hi:[1,0,0]
	s_waitcnt vmcnt(1)
	v_mov_b32_e32 v4, v89
	v_mov_b32_e32 v7, v5
	v_pk_mul_f32 v[4:5], v[16:17], v[4:5] op_sel_hi:[1,0]
	v_pk_add_f32 v[2:3], v[2:3], v[6:7]
	s_waitcnt vmcnt(0)
	v_pk_fma_f32 v[6:7], v[16:17], v[88:89], v[4:5] op_sel:[0,0,1] op_sel_hi:[1,1,0] neg_lo:[0,0,1] neg_hi:[0,0,1]
	v_pk_fma_f32 v[4:5], v[16:17], v[88:89], v[4:5] op_sel:[0,0,1] op_sel_hi:[1,0,0]
	v_mov_b32_e32 v7, v5
	v_pk_add_f32 v[2:3], v[2:3], v[6:7]
	v_pk_add_f32 v[2:3], v[18:19], v[2:3] neg_lo:[0,1] neg_hi:[0,1]
	buffer_store_dword v3, off, s[0:3], 0 offset:156
	buffer_store_dword v2, off, s[0:3], 0 offset:152
	s_and_saveexec_b64 s[4:5], vcc
	s_cbranch_execz .LBB123_337
; %bb.336:
	buffer_load_dword v2, off, s[0:3], 0 offset:144
	buffer_load_dword v3, off, s[0:3], 0 offset:148
	v_mov_b32_e32 v1, 0
	buffer_store_dword v1, off, s[0:3], 0 offset:144
	buffer_store_dword v1, off, s[0:3], 0 offset:148
	s_waitcnt vmcnt(2)
	ds_write_b64 v195, v[2:3]
.LBB123_337:
	s_or_b64 exec, exec, s[4:5]
	v_mov_b32_e32 v94, 0
	s_waitcnt lgkmcnt(0)
	; wave barrier
	s_waitcnt lgkmcnt(0)
	ds_read2_b64 v[2:5], v94 offset0:79 offset1:80
	buffer_load_dword v70, off, s[0:3], 0 offset:144
	buffer_load_dword v71, off, s[0:3], 0 offset:148
	;; [unrolled: 1-line block ×16, first 2 shown]
	v_cmp_lt_u32_e32 vcc, 17, v0
	s_waitcnt vmcnt(12) lgkmcnt(0)
	v_mul_f32_e32 v6, v2, v78
	v_fmac_f32_e32 v6, v3, v1
	s_waitcnt vmcnt(10)
	v_mul_f32_e32 v7, v4, v96
	v_add_f32_e32 v6, 0, v6
	v_fmac_f32_e32 v7, v5, v72
	v_add_f32_e32 v10, v6, v7
	ds_read2_b64 v[6:9], v94 offset0:81 offset1:82
	v_mul_f32_e32 v3, v3, v78
	v_fma_f32 v1, v2, v1, -v3
	v_mul_f32_e32 v2, v5, v96
	v_add_f32_e32 v1, 0, v1
	s_waitcnt vmcnt(8) lgkmcnt(0)
	v_mul_f32_e32 v11, v6, v98
	v_fmac_f32_e32 v11, v7, v74
	v_add_f32_e32 v10, v10, v11
	s_waitcnt vmcnt(6)
	v_mul_f32_e32 v11, v8, v100
	v_fmac_f32_e32 v11, v9, v95
	v_add_f32_e32 v14, v10, v11
	ds_read2_b64 v[10:13], v94 offset0:83 offset1:84
	v_fma_f32 v2, v4, v72, -v2
	v_add_f32_e32 v1, v1, v2
	v_mul_f32_e32 v2, v7, v98
	v_fma_f32 v2, v6, v74, -v2
	s_waitcnt vmcnt(4) lgkmcnt(0)
	v_mul_f32_e32 v15, v10, v104
	v_fmac_f32_e32 v15, v11, v97
	v_add_f32_e32 v14, v14, v15
	s_waitcnt vmcnt(2)
	v_mul_f32_e32 v15, v12, v105
	v_fmac_f32_e32 v15, v13, v99
	v_add_f32_e32 v18, v14, v15
	ds_read2_b64 v[14:17], v94 offset0:85 offset1:86
	buffer_load_dword v107, off, s[0:3], 0 offset:208
	buffer_load_dword v108, off, s[0:3], 0 offset:212
	v_add_f32_e32 v1, v1, v2
	v_mul_f32_e32 v2, v9, v100
	v_fma_f32 v2, v8, v95, -v2
	s_waitcnt vmcnt(2) lgkmcnt(0)
	v_mul_f32_e32 v19, v14, v106
	v_fmac_f32_e32 v19, v15, v101
	v_add_f32_e32 v18, v18, v19
	v_add_f32_e32 v1, v1, v2
	v_mul_f32_e32 v2, v11, v104
	v_fma_f32 v2, v10, v97, -v2
	v_add_f32_e32 v1, v1, v2
	v_mul_f32_e32 v2, v13, v105
	v_fma_f32 v2, v12, v99, -v2
	v_add_f32_e32 v1, v1, v2
	v_mul_f32_e32 v2, v15, v106
	v_fma_f32 v2, v14, v101, -v2
	v_add_f32_e32 v1, v1, v2
	s_waitcnt vmcnt(0)
	v_mul_f32_e32 v19, v16, v108
	v_fmac_f32_e32 v19, v17, v107
	v_add_f32_e32 v22, v18, v19
	ds_read2_b64 v[18:21], v94 offset0:87 offset1:88
	buffer_load_dword v109, off, s[0:3], 0 offset:216
	buffer_load_dword v110, off, s[0:3], 0 offset:220
	buffer_load_dword v111, off, s[0:3], 0 offset:224
	buffer_load_dword v112, off, s[0:3], 0 offset:228
	ds_read2_b64 v[26:29], v94 offset0:89 offset1:90
	buffer_load_dword v113, off, s[0:3], 0 offset:232
	buffer_load_dword v114, off, s[0:3], 0 offset:236
	buffer_load_dword v115, off, s[0:3], 0 offset:240
	buffer_load_dword v116, off, s[0:3], 0 offset:244
	;; [unrolled: 5-line block ×12, first 2 shown]
	v_mul_f32_e32 v2, v17, v108
	v_fma_f32 v2, v16, v107, -v2
	v_add_f32_e32 v1, v1, v2
	s_waitcnt vmcnt(46) lgkmcnt(11)
	v_mul_f32_e32 v23, v18, v110
	v_fmac_f32_e32 v23, v19, v109
	v_add_f32_e32 v22, v22, v23
	s_waitcnt vmcnt(44)
	v_mul_f32_e32 v23, v20, v112
	v_fmac_f32_e32 v23, v21, v111
	v_add_f32_e32 v22, v22, v23
	s_waitcnt vmcnt(42) lgkmcnt(10)
	v_mul_f32_e32 v23, v26, v114
	v_fmac_f32_e32 v23, v27, v113
	v_add_f32_e32 v22, v22, v23
	s_waitcnt vmcnt(40)
	v_mul_f32_e32 v23, v28, v116
	v_fmac_f32_e32 v23, v29, v115
	v_add_f32_e32 v22, v22, v23
	s_waitcnt vmcnt(38) lgkmcnt(9)
	v_mul_f32_e32 v23, v30, v118
	v_fmac_f32_e32 v23, v31, v117
	v_add_f32_e32 v22, v22, v23
	s_waitcnt vmcnt(36)
	v_mul_f32_e32 v23, v32, v120
	v_fmac_f32_e32 v23, v33, v119
	v_add_f32_e32 v22, v22, v23
	s_waitcnt vmcnt(34) lgkmcnt(8)
	v_mul_f32_e32 v23, v34, v122
	v_fmac_f32_e32 v23, v35, v121
	v_add_f32_e32 v22, v22, v23
	s_waitcnt vmcnt(32)
	v_mul_f32_e32 v23, v36, v124
	v_fmac_f32_e32 v23, v37, v123
	v_add_f32_e32 v22, v22, v23
	s_waitcnt vmcnt(30) lgkmcnt(7)
	v_mul_f32_e32 v23, v38, v126
	v_fmac_f32_e32 v23, v39, v125
	v_add_f32_e32 v22, v22, v23
	s_waitcnt vmcnt(28)
	v_mul_f32_e32 v23, v40, v128
	v_fmac_f32_e32 v23, v41, v127
	v_add_f32_e32 v22, v22, v23
	s_waitcnt vmcnt(26) lgkmcnt(6)
	v_mul_f32_e32 v23, v42, v130
	v_fmac_f32_e32 v23, v43, v129
	v_add_f32_e32 v22, v22, v23
	s_waitcnt vmcnt(24)
	v_mul_f32_e32 v23, v44, v132
	v_fmac_f32_e32 v23, v45, v131
	v_add_f32_e32 v22, v22, v23
	s_waitcnt vmcnt(22) lgkmcnt(5)
	v_mul_f32_e32 v23, v46, v134
	v_fmac_f32_e32 v23, v47, v133
	v_add_f32_e32 v22, v22, v23
	s_waitcnt vmcnt(20)
	v_mul_f32_e32 v23, v48, v136
	v_fmac_f32_e32 v23, v49, v135
	v_add_f32_e32 v22, v22, v23
	s_waitcnt vmcnt(18) lgkmcnt(4)
	v_mul_f32_e32 v23, v50, v138
	v_fmac_f32_e32 v23, v51, v137
	v_add_f32_e32 v22, v22, v23
	s_waitcnt vmcnt(16)
	v_mul_f32_e32 v23, v52, v140
	v_fmac_f32_e32 v23, v53, v139
	v_add_f32_e32 v22, v22, v23
	s_waitcnt vmcnt(14) lgkmcnt(3)
	v_mul_f32_e32 v23, v54, v142
	v_fmac_f32_e32 v23, v55, v141
	v_add_f32_e32 v22, v22, v23
	s_waitcnt vmcnt(12)
	v_mul_f32_e32 v23, v56, v144
	v_fmac_f32_e32 v23, v57, v143
	v_add_f32_e32 v22, v22, v23
	s_waitcnt vmcnt(10) lgkmcnt(2)
	v_mul_f32_e32 v23, v58, v146
	v_fmac_f32_e32 v23, v59, v145
	v_add_f32_e32 v22, v22, v23
	s_waitcnt vmcnt(8)
	v_mul_f32_e32 v23, v60, v148
	v_fmac_f32_e32 v23, v61, v147
	v_add_f32_e32 v22, v22, v23
	s_waitcnt vmcnt(6) lgkmcnt(1)
	v_mul_f32_e32 v23, v62, v150
	v_fmac_f32_e32 v23, v63, v149
	v_add_f32_e32 v22, v22, v23
	s_waitcnt vmcnt(4)
	v_mul_f32_e32 v23, v64, v152
	v_fmac_f32_e32 v23, v65, v151
	v_add_f32_e32 v22, v22, v23
	s_waitcnt vmcnt(2) lgkmcnt(0)
	v_mul_f32_e32 v23, v66, v154
	v_fmac_f32_e32 v23, v67, v153
	v_add_f32_e32 v73, v22, v23
	ds_read2_b64 v[22:25], v94 offset0:111 offset1:112
	buffer_load_dword v157, off, s[0:3], 0 offset:408
	buffer_load_dword v158, off, s[0:3], 0 offset:412
	;; [unrolled: 1-line block ×18, first 2 shown]
	v_mul_f32_e32 v2, v19, v110
	v_fma_f32 v2, v18, v109, -v2
	v_add_f32_e32 v1, v1, v2
	v_mul_f32_e32 v2, v21, v112
	v_fma_f32 v2, v20, v111, -v2
	v_add_f32_e32 v1, v1, v2
	v_mul_f32_e32 v2, v27, v114
	v_fma_f32 v2, v26, v113, -v2
	v_add_f32_e32 v1, v1, v2
	v_mul_f32_e32 v2, v29, v116
	v_fma_f32 v2, v28, v115, -v2
	v_add_f32_e32 v1, v1, v2
	v_mul_f32_e32 v2, v31, v118
	v_fma_f32 v2, v30, v117, -v2
	v_add_f32_e32 v1, v1, v2
	v_mul_f32_e32 v2, v33, v120
	v_fma_f32 v2, v32, v119, -v2
	v_add_f32_e32 v1, v1, v2
	v_mul_f32_e32 v2, v35, v122
	v_fma_f32 v2, v34, v121, -v2
	v_add_f32_e32 v1, v1, v2
	v_mul_f32_e32 v2, v37, v124
	v_fma_f32 v2, v36, v123, -v2
	v_add_f32_e32 v1, v1, v2
	v_mul_f32_e32 v2, v39, v126
	v_fma_f32 v2, v38, v125, -v2
	v_add_f32_e32 v1, v1, v2
	v_mul_f32_e32 v2, v41, v128
	v_fma_f32 v2, v40, v127, -v2
	v_add_f32_e32 v1, v1, v2
	v_mul_f32_e32 v2, v43, v130
	v_fma_f32 v2, v42, v129, -v2
	v_add_f32_e32 v1, v1, v2
	v_mul_f32_e32 v2, v45, v132
	v_fma_f32 v2, v44, v131, -v2
	v_add_f32_e32 v1, v1, v2
	v_mul_f32_e32 v2, v47, v134
	v_fma_f32 v2, v46, v133, -v2
	v_add_f32_e32 v1, v1, v2
	v_mul_f32_e32 v2, v49, v136
	v_fma_f32 v2, v48, v135, -v2
	v_add_f32_e32 v1, v1, v2
	v_mul_f32_e32 v2, v51, v138
	v_fma_f32 v2, v50, v137, -v2
	v_add_f32_e32 v1, v1, v2
	v_mul_f32_e32 v2, v53, v140
	v_fma_f32 v2, v52, v139, -v2
	v_add_f32_e32 v1, v1, v2
	v_mul_f32_e32 v2, v55, v142
	v_fma_f32 v2, v54, v141, -v2
	v_add_f32_e32 v1, v1, v2
	v_mul_f32_e32 v2, v57, v144
	v_fma_f32 v2, v56, v143, -v2
	v_add_f32_e32 v1, v1, v2
	v_mul_f32_e32 v2, v59, v146
	v_fma_f32 v2, v58, v145, -v2
	v_add_f32_e32 v1, v1, v2
	v_mul_f32_e32 v2, v61, v148
	v_fma_f32 v2, v60, v147, -v2
	v_add_f32_e32 v1, v1, v2
	v_mul_f32_e32 v2, v63, v150
	v_fma_f32 v2, v62, v149, -v2
	v_add_f32_e32 v1, v1, v2
	v_mul_f32_e32 v2, v65, v152
	v_fma_f32 v2, v64, v151, -v2
	v_add_f32_e32 v1, v1, v2
	v_mul_f32_e32 v2, v67, v154
	v_fma_f32 v2, v66, v153, -v2
	s_waitcnt vmcnt(15)
	v_mov_b32_e32 v18, v77
	v_mul_f32_e32 v75, v68, v156
	v_add_f32_e32 v72, v1, v2
	v_mul_f32_e32 v1, v69, v156
	s_waitcnt lgkmcnt(0)
	v_pk_mul_f32 v[18:19], v[24:25], v[18:19] op_sel_hi:[1,0]
	v_fmac_f32_e32 v75, v69, v155
	v_fma_f32 v74, v68, v155, -v1
	ds_read2_b64 v[2:5], v94 offset0:113 offset1:114
	ds_read2_b64 v[6:9], v94 offset0:115 offset1:116
	;; [unrolled: 1-line block ×3, first 2 shown]
	ds_read_b64 v[14:15], v94 offset:952
	s_waitcnt vmcnt(14)
	v_pk_fma_f32 v[20:21], v[24:25], v[76:77], v[18:19] op_sel:[0,0,1] op_sel_hi:[1,1,0] neg_lo:[0,0,1] neg_hi:[0,0,1]
	v_pk_fma_f32 v[18:19], v[24:25], v[76:77], v[18:19] op_sel:[0,0,1] op_sel_hi:[1,0,0]
	v_mul_f32_e32 v79, v22, v158
	v_mul_f32_e32 v1, v23, v158
	v_fmac_f32_e32 v79, v23, v157
	v_fma_f32 v78, v22, v157, -v1
	v_pk_add_f32 v[16:17], v[72:73], v[74:75]
	s_waitcnt vmcnt(13)
	v_mov_b32_e32 v18, v93
	v_pk_add_f32 v[16:17], v[16:17], v[78:79]
	v_mov_b32_e32 v21, v19
	s_waitcnt lgkmcnt(3)
	v_pk_mul_f32 v[18:19], v[2:3], v[18:19] op_sel_hi:[1,0]
	v_pk_add_f32 v[16:17], v[16:17], v[20:21]
	s_waitcnt vmcnt(12)
	v_pk_fma_f32 v[20:21], v[2:3], v[92:93], v[18:19] op_sel:[0,0,1] op_sel_hi:[1,1,0] neg_lo:[0,0,1] neg_hi:[0,0,1]
	v_pk_fma_f32 v[2:3], v[2:3], v[92:93], v[18:19] op_sel:[0,0,1] op_sel_hi:[1,0,0]
	v_mov_b32_e32 v21, v3
	v_pk_add_f32 v[2:3], v[16:17], v[20:21]
	s_waitcnt vmcnt(11)
	v_mov_b32_e32 v16, v91
	v_pk_mul_f32 v[16:17], v[4:5], v[16:17] op_sel_hi:[1,0]
	s_waitcnt vmcnt(10)
	v_pk_fma_f32 v[18:19], v[4:5], v[90:91], v[16:17] op_sel:[0,0,1] op_sel_hi:[1,1,0] neg_lo:[0,0,1] neg_hi:[0,0,1]
	v_pk_fma_f32 v[4:5], v[4:5], v[90:91], v[16:17] op_sel:[0,0,1] op_sel_hi:[1,0,0]
	s_waitcnt vmcnt(9)
	v_mov_b32_e32 v4, v89
	v_mov_b32_e32 v19, v5
	s_waitcnt lgkmcnt(2)
	v_pk_mul_f32 v[4:5], v[6:7], v[4:5] op_sel_hi:[1,0]
	s_waitcnt vmcnt(8)
	v_pk_fma_f32 v[16:17], v[6:7], v[88:89], v[4:5] op_sel:[0,0,1] op_sel_hi:[1,1,0] neg_lo:[0,0,1] neg_hi:[0,0,1]
	v_pk_fma_f32 v[4:5], v[6:7], v[88:89], v[4:5] op_sel:[0,0,1] op_sel_hi:[1,0,0]
	s_waitcnt vmcnt(7)
	v_mov_b32_e32 v4, v87
	v_mov_b32_e32 v17, v5
	v_pk_mul_f32 v[4:5], v[8:9], v[4:5] op_sel_hi:[1,0]
	s_waitcnt vmcnt(6)
	v_pk_fma_f32 v[6:7], v[8:9], v[86:87], v[4:5] op_sel:[0,0,1] op_sel_hi:[1,1,0] neg_lo:[0,0,1] neg_hi:[0,0,1]
	v_pk_fma_f32 v[4:5], v[8:9], v[86:87], v[4:5] op_sel:[0,0,1] op_sel_hi:[1,0,0]
	v_pk_add_f32 v[2:3], v[2:3], v[18:19]
	s_waitcnt vmcnt(5)
	v_mov_b32_e32 v4, v85
	v_pk_add_f32 v[2:3], v[2:3], v[16:17]
	v_mov_b32_e32 v7, v5
	s_waitcnt lgkmcnt(1)
	v_pk_mul_f32 v[4:5], v[10:11], v[4:5] op_sel_hi:[1,0]
	v_pk_add_f32 v[2:3], v[2:3], v[6:7]
	s_waitcnt vmcnt(4)
	v_pk_fma_f32 v[6:7], v[10:11], v[84:85], v[4:5] op_sel:[0,0,1] op_sel_hi:[1,1,0] neg_lo:[0,0,1] neg_hi:[0,0,1]
	v_pk_fma_f32 v[4:5], v[10:11], v[84:85], v[4:5] op_sel:[0,0,1] op_sel_hi:[1,0,0]
	s_waitcnt vmcnt(3)
	v_mov_b32_e32 v4, v83
	v_mov_b32_e32 v7, v5
	v_pk_mul_f32 v[4:5], v[12:13], v[4:5] op_sel_hi:[1,0]
	v_pk_add_f32 v[2:3], v[2:3], v[6:7]
	s_waitcnt vmcnt(2)
	v_pk_fma_f32 v[6:7], v[12:13], v[82:83], v[4:5] op_sel:[0,0,1] op_sel_hi:[1,1,0] neg_lo:[0,0,1] neg_hi:[0,0,1]
	v_pk_fma_f32 v[4:5], v[12:13], v[82:83], v[4:5] op_sel:[0,0,1] op_sel_hi:[1,0,0]
	s_waitcnt vmcnt(1)
	v_mov_b32_e32 v4, v81
	v_mov_b32_e32 v7, v5
	s_waitcnt lgkmcnt(0)
	v_pk_mul_f32 v[4:5], v[14:15], v[4:5] op_sel_hi:[1,0]
	v_pk_add_f32 v[2:3], v[2:3], v[6:7]
	s_waitcnt vmcnt(0)
	v_pk_fma_f32 v[6:7], v[14:15], v[80:81], v[4:5] op_sel:[0,0,1] op_sel_hi:[1,1,0] neg_lo:[0,0,1] neg_hi:[0,0,1]
	v_pk_fma_f32 v[4:5], v[14:15], v[80:81], v[4:5] op_sel:[0,0,1] op_sel_hi:[1,0,0]
	v_mov_b32_e32 v7, v5
	v_pk_add_f32 v[2:3], v[2:3], v[6:7]
	v_pk_add_f32 v[2:3], v[70:71], v[2:3] neg_lo:[0,1] neg_hi:[0,1]
	buffer_store_dword v3, off, s[0:3], 0 offset:148
	buffer_store_dword v2, off, s[0:3], 0 offset:144
	s_and_saveexec_b64 s[4:5], vcc
	s_cbranch_execz .LBB123_339
; %bb.338:
	buffer_load_dword v2, off, s[0:3], 0 offset:136
	buffer_load_dword v3, off, s[0:3], 0 offset:140
	s_waitcnt vmcnt(0)
	ds_write_b64 v195, v[2:3]
	buffer_store_dword v94, off, s[0:3], 0 offset:136
	buffer_store_dword v94, off, s[0:3], 0 offset:140
.LBB123_339:
	s_or_b64 exec, exec, s[4:5]
	s_waitcnt lgkmcnt(0)
	; wave barrier
	s_waitcnt lgkmcnt(0)
	buffer_load_dword v1, off, s[0:3], 0 offset:148
	buffer_load_dword v78, off, s[0:3], 0 offset:156
	;; [unrolled: 1-line block ×24, first 2 shown]
	ds_read_b128 v[22:25], v94 offset:624
	ds_read_b128 v[18:21], v94 offset:640
	;; [unrolled: 1-line block ×4, first 2 shown]
	buffer_load_dword v119, off, s[0:3], 0 offset:232
	buffer_load_dword v120, off, s[0:3], 0 offset:236
	ds_read_b128 v[10:13], v94 offset:688
	ds_read_b128 v[2:5], v94 offset:704
	buffer_load_dword v121, off, s[0:3], 0 offset:240
	buffer_load_dword v122, off, s[0:3], 0 offset:244
	;; [unrolled: 1-line block ×44, first 2 shown]
	v_cmp_lt_u32_e32 vcc, 16, v0
	s_waitcnt vmcnt(62) lgkmcnt(5)
	v_mul_f32_e32 v28, v22, v1
	v_mul_f32_e32 v29, v24, v78
	s_waitcnt lgkmcnt(4)
	v_mul_f32_e32 v31, v20, v80
	s_waitcnt lgkmcnt(3)
	v_mul_f32_e32 v32, v14, v82
	v_mul_f32_e32 v33, v16, v95
	;; [unrolled: 1-line block ×3, first 2 shown]
	s_waitcnt lgkmcnt(2)
	v_mul_f32_e32 v34, v6, v101
	v_mul_f32_e32 v35, v8, v104
	s_waitcnt vmcnt(61)
	v_fmac_f32_e32 v30, v19, v105
	s_waitcnt vmcnt(60)
	v_fmac_f32_e32 v29, v25, v106
	s_waitcnt vmcnt(59)
	v_fmac_f32_e32 v28, v23, v107
	v_add_f32_e32 v28, 0, v28
	v_add_f32_e32 v28, v28, v29
	v_add_f32_e32 v28, v28, v30
	s_waitcnt vmcnt(55)
	v_fmac_f32_e32 v31, v21, v111
	v_fmac_f32_e32 v32, v15, v110
	v_add_f32_e32 v28, v28, v31
	v_fmac_f32_e32 v33, v17, v109
	v_add_f32_e32 v28, v28, v32
	;; [unrolled: 2-line block ×3, first 2 shown]
	s_waitcnt vmcnt(51)
	v_fmac_f32_e32 v35, v9, v115
	v_add_f32_e32 v28, v28, v34
	s_waitcnt vmcnt(50) lgkmcnt(1)
	v_mul_f32_e32 v29, v10, v116
	v_add_f32_e32 v28, v28, v35
	v_fmac_f32_e32 v29, v11, v114
	v_add_f32_e32 v28, v28, v29
	s_waitcnt vmcnt(49)
	v_mul_f32_e32 v29, v12, v117
	v_fmac_f32_e32 v29, v13, v113
	v_add_f32_e32 v28, v28, v29
	s_waitcnt vmcnt(48) lgkmcnt(0)
	v_mul_f32_e32 v29, v2, v118
	v_fmac_f32_e32 v29, v3, v112
	v_add_f32_e32 v32, v28, v29
	ds_read_b128 v[28:31], v94 offset:720
	s_waitcnt vmcnt(44)
	v_mul_f32_e32 v33, v4, v120
	v_fmac_f32_e32 v33, v5, v119
	v_add_f32_e32 v36, v32, v33
	ds_read_b128 v[32:35], v94 offset:736
	s_waitcnt vmcnt(42) lgkmcnt(1)
	v_mul_f32_e32 v37, v28, v122
	v_fmac_f32_e32 v37, v29, v121
	v_add_f32_e32 v36, v36, v37
	s_waitcnt vmcnt(40)
	v_mul_f32_e32 v37, v30, v124
	v_fmac_f32_e32 v37, v31, v123
	v_add_f32_e32 v36, v36, v37
	s_waitcnt vmcnt(38) lgkmcnt(0)
	v_mul_f32_e32 v37, v32, v126
	v_fmac_f32_e32 v37, v33, v125
	v_add_f32_e32 v40, v36, v37
	ds_read_b128 v[36:39], v94 offset:752
	s_waitcnt vmcnt(36)
	v_mul_f32_e32 v41, v34, v128
	v_fmac_f32_e32 v41, v35, v127
	v_add_f32_e32 v44, v40, v41
	ds_read_b128 v[40:43], v94 offset:768
	s_waitcnt vmcnt(34) lgkmcnt(1)
	v_mul_f32_e32 v45, v36, v130
	;; [unrolled: 18-line block ×4, first 2 shown]
	v_fmac_f32_e32 v61, v53, v145
	v_add_f32_e32 v60, v60, v61
	s_waitcnt vmcnt(16)
	v_mul_f32_e32 v61, v54, v148
	v_fmac_f32_e32 v61, v55, v147
	v_add_f32_e32 v60, v60, v61
	s_waitcnt vmcnt(14) lgkmcnt(0)
	v_mul_f32_e32 v61, v56, v150
	v_fmac_f32_e32 v61, v57, v149
	v_add_f32_e32 v64, v60, v61
	ds_read_b128 v[60:63], v94 offset:848
	s_waitcnt vmcnt(12)
	v_mul_f32_e32 v65, v58, v152
	v_fmac_f32_e32 v65, v59, v151
	v_add_f32_e32 v68, v64, v65
	ds_read_b128 v[64:67], v94 offset:864
	buffer_load_dword v77, off, s[0:3], 0 offset:420
	buffer_load_dword v76, off, s[0:3], 0 offset:416
	s_waitcnt vmcnt(12) lgkmcnt(1)
	v_mul_f32_e32 v69, v60, v154
	v_fmac_f32_e32 v69, v61, v153
	v_add_f32_e32 v68, v68, v69
	s_waitcnt vmcnt(10)
	v_mul_f32_e32 v69, v62, v156
	v_fmac_f32_e32 v69, v63, v155
	v_add_f32_e32 v68, v68, v69
	s_waitcnt vmcnt(8) lgkmcnt(0)
	v_mul_f32_e32 v69, v64, v158
	v_fmac_f32_e32 v69, v65, v157
	s_waitcnt vmcnt(6)
	v_mul_f32_e32 v73, v66, v160
	v_add_f32_e32 v72, v68, v69
	v_fmac_f32_e32 v73, v67, v159
	ds_read_b128 v[68:71], v94 offset:880
	v_add_f32_e32 v79, v72, v73
	ds_read_b128 v[72:75], v94 offset:896
	buffer_load_dword v85, off, s[0:3], 0 offset:452
	buffer_load_dword v84, off, s[0:3], 0 offset:448
	;; [unrolled: 1-line block ×14, first 2 shown]
	v_mul_f32_e32 v1, v23, v1
	v_fma_f32 v1, v22, v107, -v1
	v_mul_f32_e32 v22, v25, v78
	v_add_f32_e32 v1, 0, v1
	v_fma_f32 v22, v24, v106, -v22
	v_mul_f32_e32 v19, v19, v100
	v_add_f32_e32 v1, v1, v22
	v_fma_f32 v18, v18, v105, -v19
	v_add_f32_e32 v1, v1, v18
	v_mul_f32_e32 v18, v21, v80
	v_fma_f32 v18, v20, v111, -v18
	v_mul_f32_e32 v15, v15, v82
	v_add_f32_e32 v1, v1, v18
	v_fma_f32 v14, v14, v110, -v15
	v_add_f32_e32 v1, v1, v14
	v_mul_f32_e32 v14, v17, v95
	;; [unrolled: 6-line block ×3, first 2 shown]
	v_fma_f32 v6, v8, v115, -v6
	v_add_f32_e32 v1, v1, v6
	v_mul_f32_e32 v6, v11, v116
	v_fma_f32 v6, v10, v114, -v6
	v_add_f32_e32 v1, v1, v6
	v_mul_f32_e32 v6, v13, v117
	v_fma_f32 v6, v12, v113, -v6
	v_mul_f32_e32 v3, v3, v118
	v_add_f32_e32 v1, v1, v6
	v_fma_f32 v2, v2, v112, -v3
	v_add_f32_e32 v1, v1, v2
	v_mul_f32_e32 v2, v5, v120
	v_fma_f32 v2, v4, v119, -v2
	v_add_f32_e32 v1, v1, v2
	v_mul_f32_e32 v2, v29, v122
	;; [unrolled: 3-line block ×21, first 2 shown]
	v_fma_f32 v2, v66, v159, -v2
	s_waitcnt vmcnt(15)
	v_mov_b32_e32 v16, v77
	s_waitcnt lgkmcnt(1)
	v_mul_f32_e32 v81, v68, v162
	v_add_f32_e32 v78, v1, v2
	v_mul_f32_e32 v1, v69, v162
	s_waitcnt lgkmcnt(0)
	v_pk_mul_f32 v[16:17], v[72:73], v[16:17] op_sel_hi:[1,0]
	v_fmac_f32_e32 v81, v69, v161
	v_mul_f32_e32 v83, v70, v164
	v_fma_f32 v80, v68, v161, -v1
	v_mul_f32_e32 v1, v71, v164
	s_waitcnt vmcnt(14)
	v_pk_fma_f32 v[18:19], v[72:73], v[76:77], v[16:17] op_sel:[0,0,1] op_sel_hi:[1,1,0] neg_lo:[0,0,1] neg_hi:[0,0,1]
	v_pk_fma_f32 v[16:17], v[72:73], v[76:77], v[16:17] op_sel:[0,0,1] op_sel_hi:[1,0,0]
	v_fmac_f32_e32 v83, v71, v163
	v_fma_f32 v82, v70, v163, -v1
	v_pk_add_f32 v[14:15], v[78:79], v[80:81]
	s_waitcnt vmcnt(7)
	v_mov_b32_e32 v16, v91
	ds_read_b128 v[2:5], v94 offset:912
	ds_read_b128 v[6:9], v94 offset:928
	;; [unrolled: 1-line block ×3, first 2 shown]
	v_pk_add_f32 v[14:15], v[14:15], v[82:83]
	v_mov_b32_e32 v19, v17
	v_pk_mul_f32 v[16:17], v[74:75], v[16:17] op_sel_hi:[1,0]
	v_pk_add_f32 v[14:15], v[14:15], v[18:19]
	s_waitcnt vmcnt(6)
	v_pk_fma_f32 v[18:19], v[74:75], v[90:91], v[16:17] op_sel:[0,0,1] op_sel_hi:[1,1,0] neg_lo:[0,0,1] neg_hi:[0,0,1]
	v_pk_fma_f32 v[16:17], v[74:75], v[90:91], v[16:17] op_sel:[0,0,1] op_sel_hi:[1,0,0]
	v_mov_b32_e32 v16, v89
	v_mov_b32_e32 v19, v17
	s_waitcnt lgkmcnt(2)
	v_pk_mul_f32 v[16:17], v[2:3], v[16:17] op_sel_hi:[1,0]
	v_pk_add_f32 v[14:15], v[14:15], v[18:19]
	v_pk_fma_f32 v[18:19], v[2:3], v[88:89], v[16:17] op_sel:[0,0,1] op_sel_hi:[1,1,0] neg_lo:[0,0,1] neg_hi:[0,0,1]
	v_pk_fma_f32 v[2:3], v[2:3], v[88:89], v[16:17] op_sel:[0,0,1] op_sel_hi:[1,0,0]
	v_mov_b32_e32 v19, v3
	v_pk_add_f32 v[2:3], v[14:15], v[18:19]
	v_mov_b32_e32 v14, v87
	v_pk_mul_f32 v[14:15], v[4:5], v[14:15] op_sel_hi:[1,0]
	v_pk_fma_f32 v[16:17], v[4:5], v[86:87], v[14:15] op_sel:[0,0,1] op_sel_hi:[1,1,0] neg_lo:[0,0,1] neg_hi:[0,0,1]
	v_pk_fma_f32 v[4:5], v[4:5], v[86:87], v[14:15] op_sel:[0,0,1] op_sel_hi:[1,0,0]
	v_mov_b32_e32 v4, v85
	v_mov_b32_e32 v17, v5
	s_waitcnt lgkmcnt(1)
	v_pk_mul_f32 v[4:5], v[6:7], v[4:5] op_sel_hi:[1,0]
	v_pk_fma_f32 v[14:15], v[6:7], v[84:85], v[4:5] op_sel:[0,0,1] op_sel_hi:[1,1,0] neg_lo:[0,0,1] neg_hi:[0,0,1]
	v_pk_fma_f32 v[4:5], v[6:7], v[84:85], v[4:5] op_sel:[0,0,1] op_sel_hi:[1,0,0]
	s_waitcnt vmcnt(1)
	v_mov_b32_e32 v4, v99
	v_mov_b32_e32 v15, v5
	v_pk_mul_f32 v[4:5], v[8:9], v[4:5] op_sel_hi:[1,0]
	s_waitcnt vmcnt(0)
	v_pk_fma_f32 v[6:7], v[8:9], v[98:99], v[4:5] op_sel:[0,0,1] op_sel_hi:[1,1,0] neg_lo:[0,0,1] neg_hi:[0,0,1]
	v_pk_fma_f32 v[4:5], v[8:9], v[98:99], v[4:5] op_sel:[0,0,1] op_sel_hi:[1,0,0]
	v_pk_add_f32 v[2:3], v[2:3], v[16:17]
	v_mov_b32_e32 v4, v97
	v_pk_add_f32 v[2:3], v[2:3], v[14:15]
	v_mov_b32_e32 v7, v5
	s_waitcnt lgkmcnt(0)
	v_pk_mul_f32 v[4:5], v[10:11], v[4:5] op_sel_hi:[1,0]
	v_pk_add_f32 v[2:3], v[2:3], v[6:7]
	v_pk_fma_f32 v[6:7], v[10:11], v[96:97], v[4:5] op_sel:[0,0,1] op_sel_hi:[1,1,0] neg_lo:[0,0,1] neg_hi:[0,0,1]
	v_pk_fma_f32 v[4:5], v[10:11], v[96:97], v[4:5] op_sel:[0,0,1] op_sel_hi:[1,0,0]
	v_mov_b32_e32 v4, v93
	v_mov_b32_e32 v7, v5
	v_pk_mul_f32 v[4:5], v[12:13], v[4:5] op_sel_hi:[1,0]
	v_pk_add_f32 v[2:3], v[2:3], v[6:7]
	v_pk_fma_f32 v[6:7], v[12:13], v[92:93], v[4:5] op_sel:[0,0,1] op_sel_hi:[1,1,0] neg_lo:[0,0,1] neg_hi:[0,0,1]
	v_pk_fma_f32 v[4:5], v[12:13], v[92:93], v[4:5] op_sel:[0,0,1] op_sel_hi:[1,0,0]
	v_mov_b32_e32 v7, v5
	v_pk_add_f32 v[2:3], v[2:3], v[6:7]
	v_pk_add_f32 v[2:3], v[26:27], v[2:3] neg_lo:[0,1] neg_hi:[0,1]
	buffer_store_dword v3, off, s[0:3], 0 offset:140
	buffer_store_dword v2, off, s[0:3], 0 offset:136
	s_and_saveexec_b64 s[4:5], vcc
	s_cbranch_execz .LBB123_341
; %bb.340:
	buffer_load_dword v2, off, s[0:3], 0 offset:128
	buffer_load_dword v3, off, s[0:3], 0 offset:132
	v_mov_b32_e32 v1, 0
	buffer_store_dword v1, off, s[0:3], 0 offset:128
	buffer_store_dword v1, off, s[0:3], 0 offset:132
	s_waitcnt vmcnt(2)
	ds_write_b64 v195, v[2:3]
.LBB123_341:
	s_or_b64 exec, exec, s[4:5]
	s_waitcnt lgkmcnt(0)
	; wave barrier
	s_waitcnt lgkmcnt(0)
	buffer_load_dword v76, off, s[0:3], 0 offset:140
	buffer_load_dword v78, off, s[0:3], 0 offset:148
	;; [unrolled: 1-line block ×56, first 2 shown]
	v_mov_b32_e32 v1, 0
	ds_read2_b64 v[4:7], v1 offset0:77 offset1:78
	ds_read2_b64 v[8:11], v1 offset0:79 offset1:80
	;; [unrolled: 1-line block ×6, first 2 shown]
	buffer_load_dword v151, off, s[0:3], 0 offset:352
	buffer_load_dword v152, off, s[0:3], 0 offset:356
	;; [unrolled: 1-line block ×16, first 2 shown]
	v_cmp_lt_u32_e32 vcc, 15, v0
	s_waitcnt vmcnt(62) lgkmcnt(5)
	v_mul_f32_e32 v28, v4, v76
	v_mul_f32_e32 v29, v6, v78
	s_waitcnt lgkmcnt(4)
	v_mul_f32_e32 v31, v10, v80
	s_waitcnt lgkmcnt(3)
	v_mul_f32_e32 v32, v12, v98
	v_mul_f32_e32 v33, v14, v99
	;; [unrolled: 1-line block ×3, first 2 shown]
	s_waitcnt lgkmcnt(2)
	v_mul_f32_e32 v34, v16, v101
	v_mul_f32_e32 v35, v18, v104
	s_waitcnt lgkmcnt(1)
	v_mul_f32_e32 v36, v20, v105
	v_fmac_f32_e32 v30, v9, v106
	s_waitcnt vmcnt(61)
	v_fmac_f32_e32 v29, v7, v107
	s_waitcnt vmcnt(60)
	v_fmac_f32_e32 v28, v5, v108
	v_add_f32_e32 v28, 0, v28
	v_add_f32_e32 v28, v28, v29
	;; [unrolled: 1-line block ×3, first 2 shown]
	s_waitcnt vmcnt(56)
	v_fmac_f32_e32 v31, v11, v112
	v_fmac_f32_e32 v32, v13, v111
	v_add_f32_e32 v28, v28, v31
	v_fmac_f32_e32 v33, v15, v110
	v_add_f32_e32 v28, v28, v32
	;; [unrolled: 2-line block ×3, first 2 shown]
	s_waitcnt vmcnt(52)
	v_fmac_f32_e32 v35, v19, v116
	v_add_f32_e32 v28, v28, v34
	v_add_f32_e32 v28, v28, v35
	v_fmac_f32_e32 v36, v21, v115
	s_waitcnt vmcnt(51)
	v_mul_f32_e32 v29, v22, v117
	v_add_f32_e32 v28, v28, v36
	v_fmac_f32_e32 v29, v23, v114
	v_add_f32_e32 v28, v28, v29
	s_waitcnt vmcnt(50) lgkmcnt(0)
	v_mul_f32_e32 v29, v24, v118
	v_fmac_f32_e32 v29, v25, v113
	v_add_f32_e32 v32, v28, v29
	ds_read2_b64 v[28:31], v1 offset0:89 offset1:90
	s_waitcnt vmcnt(46)
	v_mul_f32_e32 v33, v26, v120
	v_fmac_f32_e32 v33, v27, v119
	v_add_f32_e32 v36, v32, v33
	ds_read2_b64 v[32:35], v1 offset0:91 offset1:92
	s_waitcnt vmcnt(44) lgkmcnt(1)
	v_mul_f32_e32 v37, v28, v122
	v_fmac_f32_e32 v37, v29, v121
	v_add_f32_e32 v36, v36, v37
	s_waitcnt vmcnt(42)
	v_mul_f32_e32 v37, v30, v124
	v_fmac_f32_e32 v37, v31, v123
	v_add_f32_e32 v36, v36, v37
	s_waitcnt vmcnt(40) lgkmcnt(0)
	v_mul_f32_e32 v37, v32, v126
	v_fmac_f32_e32 v37, v33, v125
	v_add_f32_e32 v40, v36, v37
	ds_read2_b64 v[36:39], v1 offset0:93 offset1:94
	s_waitcnt vmcnt(38)
	v_mul_f32_e32 v41, v34, v128
	v_fmac_f32_e32 v41, v35, v127
	v_add_f32_e32 v44, v40, v41
	ds_read2_b64 v[40:43], v1 offset0:95 offset1:96
	s_waitcnt vmcnt(36) lgkmcnt(1)
	v_mul_f32_e32 v45, v36, v130
	v_fmac_f32_e32 v45, v37, v129
	v_add_f32_e32 v44, v44, v45
	s_waitcnt vmcnt(34)
	v_mul_f32_e32 v45, v38, v132
	;; [unrolled: 18-line block ×5, first 2 shown]
	v_fmac_f32_e32 v69, v63, v155
	v_add_f32_e32 v68, v68, v69
	s_waitcnt vmcnt(8) lgkmcnt(0)
	v_mul_f32_e32 v69, v64, v158
	v_fmac_f32_e32 v69, v65, v157
	s_waitcnt vmcnt(6)
	v_mul_f32_e32 v73, v66, v160
	v_add_f32_e32 v72, v68, v69
	v_fmac_f32_e32 v73, v67, v159
	ds_read2_b64 v[68:71], v1 offset0:109 offset1:110
	v_add_f32_e32 v77, v72, v73
	ds_read2_b64 v[72:75], v1 offset0:111 offset1:112
	buffer_load_dword v83, off, s[0:3], 0 offset:444
	buffer_load_dword v82, off, s[0:3], 0 offset:440
	;; [unrolled: 1-line block ×16, first 2 shown]
	v_mul_f32_e32 v5, v5, v76
	v_fma_f32 v4, v4, v108, -v5
	v_mul_f32_e32 v5, v7, v78
	v_add_f32_e32 v4, 0, v4
	v_fma_f32 v5, v6, v107, -v5
	v_add_f32_e32 v4, v4, v5
	v_mul_f32_e32 v5, v9, v100
	v_fma_f32 v5, v8, v106, -v5
	v_add_f32_e32 v4, v4, v5
	v_mul_f32_e32 v5, v11, v80
	;; [unrolled: 3-line block ×30, first 2 shown]
	v_fma_f32 v5, v66, v159, -v5
	v_add_f32_e32 v4, v4, v5
	s_waitcnt vmcnt(20) lgkmcnt(1)
	v_mul_f32_e32 v5, v69, v162
	v_mul_f32_e32 v79, v68, v162
	v_fma_f32 v5, v68, v161, -v5
	v_fmac_f32_e32 v79, v69, v161
	v_add_f32_e32 v76, v4, v5
	s_waitcnt vmcnt(18)
	v_mul_f32_e32 v4, v71, v164
	s_waitcnt vmcnt(9)
	v_mov_b32_e32 v20, v89
	v_add_f32_e32 v77, v77, v79
	v_mul_f32_e32 v79, v70, v164
	v_fma_f32 v78, v70, v163, -v4
	s_waitcnt lgkmcnt(0)
	v_mul_f32_e32 v4, v73, v166
	v_pk_mul_f32 v[20:21], v[74:75], v[20:21] op_sel_hi:[1,0]
	v_fmac_f32_e32 v79, v71, v163
	v_mul_f32_e32 v81, v72, v166
	v_fma_f32 v80, v72, v165, -v4
	ds_read2_b64 v[4:7], v1 offset0:113 offset1:114
	ds_read2_b64 v[8:11], v1 offset0:115 offset1:116
	ds_read2_b64 v[12:15], v1 offset0:117 offset1:118
	ds_read_b64 v[16:17], v1 offset:952
	s_waitcnt vmcnt(8)
	v_pk_fma_f32 v[22:23], v[74:75], v[88:89], v[20:21] op_sel:[0,0,1] op_sel_hi:[1,1,0] neg_lo:[0,0,1] neg_hi:[0,0,1]
	v_pk_fma_f32 v[20:21], v[74:75], v[88:89], v[20:21] op_sel:[0,0,1] op_sel_hi:[1,0,0]
	v_fmac_f32_e32 v81, v73, v165
	v_pk_add_f32 v[18:19], v[76:77], v[78:79]
	v_mov_b32_e32 v20, v87
	v_pk_add_f32 v[18:19], v[18:19], v[80:81]
	v_mov_b32_e32 v23, v21
	s_waitcnt lgkmcnt(3)
	v_pk_mul_f32 v[20:21], v[4:5], v[20:21] op_sel_hi:[1,0]
	v_pk_add_f32 v[18:19], v[18:19], v[22:23]
	v_pk_fma_f32 v[22:23], v[4:5], v[86:87], v[20:21] op_sel:[0,0,1] op_sel_hi:[1,1,0] neg_lo:[0,0,1] neg_hi:[0,0,1]
	v_pk_fma_f32 v[4:5], v[4:5], v[86:87], v[20:21] op_sel:[0,0,1] op_sel_hi:[1,0,0]
	v_mov_b32_e32 v23, v5
	v_pk_add_f32 v[4:5], v[18:19], v[22:23]
	v_mov_b32_e32 v18, v85
	v_pk_mul_f32 v[18:19], v[6:7], v[18:19] op_sel_hi:[1,0]
	v_pk_fma_f32 v[20:21], v[6:7], v[84:85], v[18:19] op_sel:[0,0,1] op_sel_hi:[1,1,0] neg_lo:[0,0,1] neg_hi:[0,0,1]
	v_pk_fma_f32 v[6:7], v[6:7], v[84:85], v[18:19] op_sel:[0,0,1] op_sel_hi:[1,0,0]
	v_mov_b32_e32 v6, v83
	v_mov_b32_e32 v21, v7
	s_waitcnt lgkmcnt(2)
	v_pk_mul_f32 v[6:7], v[8:9], v[6:7] op_sel_hi:[1,0]
	v_pk_fma_f32 v[18:19], v[8:9], v[82:83], v[6:7] op_sel:[0,0,1] op_sel_hi:[1,1,0] neg_lo:[0,0,1] neg_hi:[0,0,1]
	v_pk_fma_f32 v[6:7], v[8:9], v[82:83], v[6:7] op_sel:[0,0,1] op_sel_hi:[1,0,0]
	s_waitcnt vmcnt(1)
	v_mov_b32_e32 v6, v97
	v_mov_b32_e32 v19, v7
	v_pk_mul_f32 v[6:7], v[10:11], v[6:7] op_sel_hi:[1,0]
	s_waitcnt vmcnt(0)
	v_pk_fma_f32 v[8:9], v[10:11], v[96:97], v[6:7] op_sel:[0,0,1] op_sel_hi:[1,1,0] neg_lo:[0,0,1] neg_hi:[0,0,1]
	v_pk_fma_f32 v[6:7], v[10:11], v[96:97], v[6:7] op_sel:[0,0,1] op_sel_hi:[1,0,0]
	v_pk_add_f32 v[4:5], v[4:5], v[20:21]
	v_mov_b32_e32 v6, v95
	v_pk_add_f32 v[4:5], v[4:5], v[18:19]
	v_mov_b32_e32 v9, v7
	s_waitcnt lgkmcnt(1)
	v_pk_mul_f32 v[6:7], v[12:13], v[6:7] op_sel_hi:[1,0]
	v_pk_add_f32 v[4:5], v[4:5], v[8:9]
	v_pk_fma_f32 v[8:9], v[12:13], v[94:95], v[6:7] op_sel:[0,0,1] op_sel_hi:[1,1,0] neg_lo:[0,0,1] neg_hi:[0,0,1]
	v_pk_fma_f32 v[6:7], v[12:13], v[94:95], v[6:7] op_sel:[0,0,1] op_sel_hi:[1,0,0]
	v_mov_b32_e32 v6, v93
	v_mov_b32_e32 v9, v7
	v_pk_mul_f32 v[6:7], v[14:15], v[6:7] op_sel_hi:[1,0]
	v_pk_add_f32 v[4:5], v[4:5], v[8:9]
	v_pk_fma_f32 v[8:9], v[14:15], v[92:93], v[6:7] op_sel:[0,0,1] op_sel_hi:[1,1,0] neg_lo:[0,0,1] neg_hi:[0,0,1]
	v_pk_fma_f32 v[6:7], v[14:15], v[92:93], v[6:7] op_sel:[0,0,1] op_sel_hi:[1,0,0]
	v_mov_b32_e32 v6, v91
	v_mov_b32_e32 v9, v7
	s_waitcnt lgkmcnt(0)
	v_pk_mul_f32 v[6:7], v[16:17], v[6:7] op_sel_hi:[1,0]
	v_pk_add_f32 v[4:5], v[4:5], v[8:9]
	v_pk_fma_f32 v[8:9], v[16:17], v[90:91], v[6:7] op_sel:[0,0,1] op_sel_hi:[1,1,0] neg_lo:[0,0,1] neg_hi:[0,0,1]
	v_pk_fma_f32 v[6:7], v[16:17], v[90:91], v[6:7] op_sel:[0,0,1] op_sel_hi:[1,0,0]
	v_mov_b32_e32 v9, v7
	v_pk_add_f32 v[4:5], v[4:5], v[8:9]
	v_pk_add_f32 v[2:3], v[2:3], v[4:5] neg_lo:[0,1] neg_hi:[0,1]
	buffer_store_dword v3, off, s[0:3], 0 offset:132
	buffer_store_dword v2, off, s[0:3], 0 offset:128
	s_and_saveexec_b64 s[4:5], vcc
	s_cbranch_execz .LBB123_343
; %bb.342:
	buffer_load_dword v2, off, s[0:3], 0 offset:120
	buffer_load_dword v3, off, s[0:3], 0 offset:124
	s_waitcnt vmcnt(0)
	ds_write_b64 v195, v[2:3]
	buffer_store_dword v1, off, s[0:3], 0 offset:120
	buffer_store_dword v1, off, s[0:3], 0 offset:124
.LBB123_343:
	s_or_b64 exec, exec, s[4:5]
	s_waitcnt lgkmcnt(0)
	; wave barrier
	s_waitcnt lgkmcnt(0)
	buffer_load_dword v76, off, s[0:3], 0 offset:132
	buffer_load_dword v78, off, s[0:3], 0 offset:140
	;; [unrolled: 1-line block ×26, first 2 shown]
	ds_read_b128 v[22:25], v1 offset:608
	ds_read_b128 v[18:21], v1 offset:624
	;; [unrolled: 1-line block ×6, first 2 shown]
	buffer_load_dword v121, off, s[0:3], 0 offset:224
	buffer_load_dword v122, off, s[0:3], 0 offset:228
	;; [unrolled: 1-line block ×42, first 2 shown]
	v_cmp_lt_u32_e32 vcc, 14, v0
	s_waitcnt vmcnt(62) lgkmcnt(5)
	v_mul_f32_e32 v28, v22, v76
	v_mul_f32_e32 v29, v24, v78
	s_waitcnt lgkmcnt(4)
	v_mul_f32_e32 v31, v20, v86
	s_waitcnt lgkmcnt(3)
	v_mul_f32_e32 v32, v14, v98
	v_mul_f32_e32 v33, v16, v99
	;; [unrolled: 1-line block ×3, first 2 shown]
	s_waitcnt vmcnt(61) lgkmcnt(2)
	v_mul_f32_e32 v34, v10, v101
	s_waitcnt vmcnt(60)
	v_mul_f32_e32 v35, v12, v104
	s_waitcnt vmcnt(59) lgkmcnt(1)
	v_mul_f32_e32 v36, v6, v105
	s_waitcnt vmcnt(58)
	v_fmac_f32_e32 v30, v19, v106
	s_waitcnt vmcnt(57)
	v_fmac_f32_e32 v29, v25, v107
	;; [unrolled: 2-line block ×3, first 2 shown]
	v_add_f32_e32 v28, 0, v28
	v_add_f32_e32 v28, v28, v29
	;; [unrolled: 1-line block ×3, first 2 shown]
	s_waitcnt vmcnt(52)
	v_fmac_f32_e32 v31, v21, v112
	v_fmac_f32_e32 v32, v15, v111
	v_add_f32_e32 v28, v28, v31
	v_fmac_f32_e32 v33, v17, v110
	v_add_f32_e32 v28, v28, v32
	;; [unrolled: 2-line block ×3, first 2 shown]
	s_waitcnt vmcnt(48)
	v_fmac_f32_e32 v35, v13, v116
	v_add_f32_e32 v28, v28, v34
	v_fmac_f32_e32 v36, v7, v115
	v_add_f32_e32 v28, v28, v35
	s_waitcnt vmcnt(47)
	v_mul_f32_e32 v29, v8, v117
	v_add_f32_e32 v28, v28, v36
	v_fmac_f32_e32 v29, v9, v114
	v_add_f32_e32 v28, v28, v29
	s_waitcnt vmcnt(46) lgkmcnt(0)
	v_mul_f32_e32 v29, v2, v118
	v_fmac_f32_e32 v29, v3, v113
	v_add_f32_e32 v32, v28, v29
	ds_read_b128 v[28:31], v1 offset:704
	s_waitcnt vmcnt(42)
	v_mul_f32_e32 v33, v4, v120
	v_fmac_f32_e32 v33, v5, v119
	buffer_load_dword v163, off, s[0:3], 0 offset:392
	buffer_load_dword v164, off, s[0:3], 0 offset:396
	v_add_f32_e32 v36, v32, v33
	buffer_load_dword v165, off, s[0:3], 0 offset:400
	buffer_load_dword v166, off, s[0:3], 0 offset:404
	ds_read_b128 v[32:35], v1 offset:720
	s_waitcnt vmcnt(44) lgkmcnt(1)
	v_mul_f32_e32 v37, v28, v122
	v_fmac_f32_e32 v37, v29, v121
	v_add_f32_e32 v36, v36, v37
	s_waitcnt vmcnt(42)
	v_mul_f32_e32 v37, v30, v124
	v_fmac_f32_e32 v37, v31, v123
	v_add_f32_e32 v36, v36, v37
	s_waitcnt vmcnt(40) lgkmcnt(0)
	v_mul_f32_e32 v37, v32, v126
	v_fmac_f32_e32 v37, v33, v125
	buffer_load_dword v167, off, s[0:3], 0 offset:408
	buffer_load_dword v168, off, s[0:3], 0 offset:412
	v_add_f32_e32 v40, v36, v37
	ds_read_b128 v[36:39], v1 offset:736
	s_waitcnt vmcnt(40)
	v_mul_f32_e32 v41, v34, v128
	v_fmac_f32_e32 v41, v35, v127
	v_add_f32_e32 v44, v40, v41
	ds_read_b128 v[40:43], v1 offset:752
	s_waitcnt vmcnt(38) lgkmcnt(1)
	v_mul_f32_e32 v45, v36, v130
	v_fmac_f32_e32 v45, v37, v129
	v_add_f32_e32 v44, v44, v45
	s_waitcnt vmcnt(36)
	v_mul_f32_e32 v45, v38, v132
	v_fmac_f32_e32 v45, v39, v131
	v_add_f32_e32 v44, v44, v45
	s_waitcnt vmcnt(34) lgkmcnt(0)
	v_mul_f32_e32 v45, v40, v134
	v_fmac_f32_e32 v45, v41, v133
	v_add_f32_e32 v48, v44, v45
	ds_read_b128 v[44:47], v1 offset:768
	s_waitcnt vmcnt(32)
	v_mul_f32_e32 v49, v42, v136
	v_fmac_f32_e32 v49, v43, v135
	v_add_f32_e32 v52, v48, v49
	ds_read_b128 v[48:51], v1 offset:784
	s_waitcnt vmcnt(30) lgkmcnt(1)
	v_mul_f32_e32 v53, v44, v138
	v_fmac_f32_e32 v53, v45, v137
	v_add_f32_e32 v52, v52, v53
	s_waitcnt vmcnt(28)
	v_mul_f32_e32 v53, v46, v140
	v_fmac_f32_e32 v53, v47, v139
	v_add_f32_e32 v52, v52, v53
	s_waitcnt vmcnt(26) lgkmcnt(0)
	v_mul_f32_e32 v53, v48, v142
	v_fmac_f32_e32 v53, v49, v141
	;; [unrolled: 18-line block ×4, first 2 shown]
	s_waitcnt vmcnt(8)
	v_mul_f32_e32 v73, v66, v160
	v_add_f32_e32 v72, v68, v69
	v_fmac_f32_e32 v73, v67, v159
	ds_read_b128 v[68:71], v1 offset:864
	v_add_f32_e32 v77, v72, v73
	ds_read_b128 v[72:75], v1 offset:880
	buffer_load_dword v81, off, s[0:3], 0 offset:436
	buffer_load_dword v80, off, s[0:3], 0 offset:432
	;; [unrolled: 1-line block ×16, first 2 shown]
	v_mul_f32_e32 v23, v23, v76
	v_fma_f32 v22, v22, v108, -v23
	v_mul_f32_e32 v23, v25, v78
	v_add_f32_e32 v22, 0, v22
	v_fma_f32 v23, v24, v107, -v23
	v_mul_f32_e32 v19, v19, v100
	v_add_f32_e32 v22, v22, v23
	;; [unrolled: 3-line block ×11, first 2 shown]
	v_fma_f32 v3, v4, v119, -v3
	v_add_f32_e32 v2, v2, v3
	v_mul_f32_e32 v3, v29, v122
	v_fma_f32 v3, v28, v121, -v3
	v_add_f32_e32 v2, v2, v3
	v_mul_f32_e32 v3, v31, v124
	;; [unrolled: 3-line block ×20, first 2 shown]
	v_fma_f32 v3, v66, v159, -v3
	v_add_f32_e32 v2, v2, v3
	s_waitcnt vmcnt(22) lgkmcnt(1)
	v_mul_f32_e32 v3, v69, v162
	v_fma_f32 v3, v68, v161, -v3
	v_add_f32_e32 v2, v2, v3
	s_waitcnt vmcnt(20)
	v_mul_f32_e32 v3, v71, v164
	v_mul_f32_e32 v79, v68, v162
	v_fma_f32 v3, v70, v163, -v3
	v_fmac_f32_e32 v79, v69, v161
	v_add_f32_e32 v76, v2, v3
	s_waitcnt vmcnt(18) lgkmcnt(0)
	v_mul_f32_e32 v2, v73, v166
	v_add_f32_e32 v77, v77, v79
	v_mul_f32_e32 v79, v70, v164
	v_fma_f32 v78, v72, v165, -v2
	s_waitcnt vmcnt(16)
	v_mul_f32_e32 v2, v75, v168
	v_fmac_f32_e32 v79, v71, v163
	v_fma_f32 v86, v74, v167, -v2
	ds_read_b128 v[2:5], v1 offset:896
	ds_read_b128 v[6:9], v1 offset:912
	;; [unrolled: 1-line block ×4, first 2 shown]
	v_add_f32_e32 v77, v77, v79
	v_mul_f32_e32 v79, v72, v166
	s_waitcnt vmcnt(11)
	v_mov_b32_e32 v20, v85
	v_fmac_f32_e32 v79, v73, v165
	v_mul_f32_e32 v87, v74, v168
	s_waitcnt lgkmcnt(3)
	v_pk_mul_f32 v[20:21], v[2:3], v[20:21] op_sel_hi:[1,0]
	v_fmac_f32_e32 v87, v75, v167
	v_pk_add_f32 v[18:19], v[76:77], v[78:79]
	s_waitcnt vmcnt(10)
	v_pk_fma_f32 v[22:23], v[2:3], v[84:85], v[20:21] op_sel:[0,0,1] op_sel_hi:[1,1,0] neg_lo:[0,0,1] neg_hi:[0,0,1]
	v_pk_fma_f32 v[2:3], v[2:3], v[84:85], v[20:21] op_sel:[0,0,1] op_sel_hi:[1,0,0]
	v_pk_add_f32 v[18:19], v[18:19], v[86:87]
	v_mov_b32_e32 v23, v3
	v_pk_add_f32 v[2:3], v[18:19], v[22:23]
	v_mov_b32_e32 v18, v83
	v_pk_mul_f32 v[18:19], v[4:5], v[18:19] op_sel_hi:[1,0]
	v_pk_fma_f32 v[20:21], v[4:5], v[82:83], v[18:19] op_sel:[0,0,1] op_sel_hi:[1,1,0] neg_lo:[0,0,1] neg_hi:[0,0,1]
	v_pk_fma_f32 v[4:5], v[4:5], v[82:83], v[18:19] op_sel:[0,0,1] op_sel_hi:[1,0,0]
	v_mov_b32_e32 v4, v81
	v_mov_b32_e32 v21, v5
	s_waitcnt lgkmcnt(2)
	v_pk_mul_f32 v[4:5], v[6:7], v[4:5] op_sel_hi:[1,0]
	v_pk_fma_f32 v[18:19], v[6:7], v[80:81], v[4:5] op_sel:[0,0,1] op_sel_hi:[1,1,0] neg_lo:[0,0,1] neg_hi:[0,0,1]
	v_pk_fma_f32 v[4:5], v[6:7], v[80:81], v[4:5] op_sel:[0,0,1] op_sel_hi:[1,0,0]
	s_waitcnt vmcnt(3)
	v_mov_b32_e32 v4, v95
	v_mov_b32_e32 v19, v5
	v_pk_mul_f32 v[4:5], v[8:9], v[4:5] op_sel_hi:[1,0]
	s_waitcnt vmcnt(2)
	v_pk_fma_f32 v[6:7], v[8:9], v[94:95], v[4:5] op_sel:[0,0,1] op_sel_hi:[1,1,0] neg_lo:[0,0,1] neg_hi:[0,0,1]
	v_pk_fma_f32 v[4:5], v[8:9], v[94:95], v[4:5] op_sel:[0,0,1] op_sel_hi:[1,0,0]
	v_pk_add_f32 v[2:3], v[2:3], v[20:21]
	v_mov_b32_e32 v4, v93
	v_pk_add_f32 v[2:3], v[2:3], v[18:19]
	v_mov_b32_e32 v7, v5
	s_waitcnt lgkmcnt(1)
	v_pk_mul_f32 v[4:5], v[10:11], v[4:5] op_sel_hi:[1,0]
	v_pk_add_f32 v[2:3], v[2:3], v[6:7]
	v_pk_fma_f32 v[6:7], v[10:11], v[92:93], v[4:5] op_sel:[0,0,1] op_sel_hi:[1,1,0] neg_lo:[0,0,1] neg_hi:[0,0,1]
	v_pk_fma_f32 v[4:5], v[10:11], v[92:93], v[4:5] op_sel:[0,0,1] op_sel_hi:[1,0,0]
	v_mov_b32_e32 v4, v91
	v_mov_b32_e32 v7, v5
	v_pk_mul_f32 v[4:5], v[12:13], v[4:5] op_sel_hi:[1,0]
	v_pk_add_f32 v[2:3], v[2:3], v[6:7]
	v_pk_fma_f32 v[6:7], v[12:13], v[90:91], v[4:5] op_sel:[0,0,1] op_sel_hi:[1,1,0] neg_lo:[0,0,1] neg_hi:[0,0,1]
	v_pk_fma_f32 v[4:5], v[12:13], v[90:91], v[4:5] op_sel:[0,0,1] op_sel_hi:[1,0,0]
	v_mov_b32_e32 v4, v89
	v_mov_b32_e32 v7, v5
	s_waitcnt lgkmcnt(0)
	v_pk_mul_f32 v[4:5], v[14:15], v[4:5] op_sel_hi:[1,0]
	v_pk_add_f32 v[2:3], v[2:3], v[6:7]
	v_pk_fma_f32 v[6:7], v[14:15], v[88:89], v[4:5] op_sel:[0,0,1] op_sel_hi:[1,1,0] neg_lo:[0,0,1] neg_hi:[0,0,1]
	v_pk_fma_f32 v[4:5], v[14:15], v[88:89], v[4:5] op_sel:[0,0,1] op_sel_hi:[1,0,0]
	s_waitcnt vmcnt(1)
	v_mov_b32_e32 v4, v97
	v_mov_b32_e32 v7, v5
	v_pk_mul_f32 v[4:5], v[16:17], v[4:5] op_sel_hi:[1,0]
	v_pk_add_f32 v[2:3], v[2:3], v[6:7]
	s_waitcnt vmcnt(0)
	v_pk_fma_f32 v[6:7], v[16:17], v[96:97], v[4:5] op_sel:[0,0,1] op_sel_hi:[1,1,0] neg_lo:[0,0,1] neg_hi:[0,0,1]
	v_pk_fma_f32 v[4:5], v[16:17], v[96:97], v[4:5] op_sel:[0,0,1] op_sel_hi:[1,0,0]
	v_mov_b32_e32 v7, v5
	v_pk_add_f32 v[2:3], v[2:3], v[6:7]
	v_pk_add_f32 v[2:3], v[26:27], v[2:3] neg_lo:[0,1] neg_hi:[0,1]
	buffer_store_dword v3, off, s[0:3], 0 offset:124
	buffer_store_dword v2, off, s[0:3], 0 offset:120
	s_and_saveexec_b64 s[4:5], vcc
	s_cbranch_execz .LBB123_345
; %bb.344:
	buffer_load_dword v2, off, s[0:3], 0 offset:112
	buffer_load_dword v3, off, s[0:3], 0 offset:116
	v_mov_b32_e32 v1, 0
	buffer_store_dword v1, off, s[0:3], 0 offset:112
	buffer_store_dword v1, off, s[0:3], 0 offset:116
	s_waitcnt vmcnt(2)
	ds_write_b64 v195, v[2:3]
.LBB123_345:
	s_or_b64 exec, exec, s[4:5]
	v_mov_b32_e32 v222, 0
	s_waitcnt lgkmcnt(0)
	; wave barrier
	s_waitcnt lgkmcnt(0)
	ds_read2_b64 v[2:5], v222 offset0:75 offset1:76
	buffer_load_dword v78, off, s[0:3], 0 offset:112
	buffer_load_dword v79, off, s[0:3], 0 offset:116
	;; [unrolled: 1-line block ×16, first 2 shown]
	v_cmp_lt_u32_e32 vcc, 13, v0
	s_waitcnt vmcnt(12) lgkmcnt(0)
	v_mul_f32_e32 v6, v2, v86
	v_fmac_f32_e32 v6, v3, v1
	s_waitcnt vmcnt(10)
	v_mul_f32_e32 v7, v4, v105
	v_add_f32_e32 v6, 0, v6
	v_fmac_f32_e32 v7, v5, v80
	v_add_f32_e32 v10, v6, v7
	ds_read2_b64 v[6:9], v222 offset0:77 offset1:78
	v_mul_f32_e32 v3, v3, v86
	v_fma_f32 v1, v2, v1, -v3
	v_mul_f32_e32 v2, v5, v105
	v_add_f32_e32 v1, 0, v1
	s_waitcnt vmcnt(8) lgkmcnt(0)
	v_mul_f32_e32 v11, v6, v107
	v_fmac_f32_e32 v11, v7, v82
	v_add_f32_e32 v10, v10, v11
	s_waitcnt vmcnt(6)
	v_mul_f32_e32 v11, v8, v109
	v_fmac_f32_e32 v11, v9, v104
	v_add_f32_e32 v14, v10, v11
	ds_read2_b64 v[10:13], v222 offset0:79 offset1:80
	v_fma_f32 v2, v4, v80, -v2
	v_add_f32_e32 v1, v1, v2
	v_mul_f32_e32 v2, v7, v107
	v_fma_f32 v2, v6, v82, -v2
	s_waitcnt vmcnt(4) lgkmcnt(0)
	v_mul_f32_e32 v15, v10, v111
	v_fmac_f32_e32 v15, v11, v106
	v_add_f32_e32 v14, v14, v15
	s_waitcnt vmcnt(2)
	v_mul_f32_e32 v15, v12, v112
	v_fmac_f32_e32 v15, v13, v108
	v_add_f32_e32 v18, v14, v15
	ds_read2_b64 v[14:17], v222 offset0:81 offset1:82
	buffer_load_dword v114, off, s[0:3], 0 offset:176
	buffer_load_dword v115, off, s[0:3], 0 offset:180
	v_add_f32_e32 v1, v1, v2
	v_mul_f32_e32 v2, v9, v109
	v_fma_f32 v2, v8, v104, -v2
	s_waitcnt vmcnt(2) lgkmcnt(0)
	v_mul_f32_e32 v19, v14, v113
	v_fmac_f32_e32 v19, v15, v110
	v_add_f32_e32 v18, v18, v19
	v_add_f32_e32 v1, v1, v2
	v_mul_f32_e32 v2, v11, v111
	v_fma_f32 v2, v10, v106, -v2
	v_add_f32_e32 v1, v1, v2
	v_mul_f32_e32 v2, v13, v112
	v_fma_f32 v2, v12, v108, -v2
	;; [unrolled: 3-line block ×3, first 2 shown]
	v_add_f32_e32 v1, v1, v2
	s_waitcnt vmcnt(0)
	v_mul_f32_e32 v19, v16, v115
	v_fmac_f32_e32 v19, v17, v114
	v_add_f32_e32 v22, v18, v19
	ds_read2_b64 v[18:21], v222 offset0:83 offset1:84
	buffer_load_dword v116, off, s[0:3], 0 offset:184
	buffer_load_dword v117, off, s[0:3], 0 offset:188
	buffer_load_dword v118, off, s[0:3], 0 offset:192
	buffer_load_dword v119, off, s[0:3], 0 offset:196
	v_mul_f32_e32 v2, v17, v115
	v_fma_f32 v2, v16, v114, -v2
	v_add_f32_e32 v1, v1, v2
	s_waitcnt vmcnt(2) lgkmcnt(0)
	v_mul_f32_e32 v23, v18, v117
	v_fmac_f32_e32 v23, v19, v116
	v_add_f32_e32 v22, v22, v23
	s_waitcnt vmcnt(0)
	v_mul_f32_e32 v23, v20, v119
	v_fmac_f32_e32 v23, v21, v118
	v_add_f32_e32 v26, v22, v23
	ds_read2_b64 v[22:25], v222 offset0:85 offset1:86
	buffer_load_dword v120, off, s[0:3], 0 offset:200
	buffer_load_dword v121, off, s[0:3], 0 offset:204
	buffer_load_dword v122, off, s[0:3], 0 offset:208
	buffer_load_dword v123, off, s[0:3], 0 offset:212
	ds_read2_b64 v[30:33], v222 offset0:87 offset1:88
	buffer_load_dword v124, off, s[0:3], 0 offset:216
	buffer_load_dword v125, off, s[0:3], 0 offset:220
	buffer_load_dword v126, off, s[0:3], 0 offset:224
	buffer_load_dword v127, off, s[0:3], 0 offset:228
	;; [unrolled: 5-line block ×13, first 2 shown]
	v_mul_f32_e32 v2, v19, v117
	v_fma_f32 v2, v18, v116, -v2
	v_add_f32_e32 v1, v1, v2
	v_mul_f32_e32 v2, v21, v119
	v_fma_f32 v2, v20, v118, -v2
	v_add_f32_e32 v1, v1, v2
	s_waitcnt vmcnt(50) lgkmcnt(12)
	v_mul_f32_e32 v27, v22, v121
	v_fmac_f32_e32 v27, v23, v120
	v_add_f32_e32 v26, v26, v27
	s_waitcnt vmcnt(48)
	v_mul_f32_e32 v27, v24, v123
	v_fmac_f32_e32 v27, v25, v122
	v_add_f32_e32 v26, v26, v27
	s_waitcnt vmcnt(46) lgkmcnt(11)
	v_mul_f32_e32 v27, v30, v125
	v_fmac_f32_e32 v27, v31, v124
	v_add_f32_e32 v26, v26, v27
	s_waitcnt vmcnt(44)
	v_mul_f32_e32 v27, v32, v127
	v_fmac_f32_e32 v27, v33, v126
	;; [unrolled: 8-line block ×12, first 2 shown]
	v_add_f32_e32 v26, v26, v27
	s_waitcnt vmcnt(2) lgkmcnt(0)
	v_mul_f32_e32 v27, v74, v169
	v_fmac_f32_e32 v27, v75, v168
	v_add_f32_e32 v81, v26, v27
	ds_read2_b64 v[26:29], v222 offset0:111 offset1:112
	buffer_load_dword v172, off, s[0:3], 0 offset:408
	buffer_load_dword v173, off, s[0:3], 0 offset:412
	;; [unrolled: 1-line block ×18, first 2 shown]
	v_mul_f32_e32 v2, v23, v121
	v_fma_f32 v2, v22, v120, -v2
	v_add_f32_e32 v1, v1, v2
	v_mul_f32_e32 v2, v25, v123
	v_fma_f32 v2, v24, v122, -v2
	v_add_f32_e32 v1, v1, v2
	;; [unrolled: 3-line block ×24, first 2 shown]
	v_mul_f32_e32 v2, v75, v169
	v_fma_f32 v2, v74, v168, -v2
	s_waitcnt vmcnt(15)
	v_mov_b32_e32 v18, v85
	v_mul_f32_e32 v83, v76, v171
	v_add_f32_e32 v80, v1, v2
	v_mul_f32_e32 v1, v77, v171
	s_waitcnt lgkmcnt(0)
	v_pk_mul_f32 v[18:19], v[28:29], v[18:19] op_sel_hi:[1,0]
	v_fmac_f32_e32 v83, v77, v170
	v_mul_f32_e32 v87, v26, v173
	v_fma_f32 v82, v76, v170, -v1
	v_mul_f32_e32 v1, v27, v173
	ds_read2_b64 v[2:5], v222 offset0:113 offset1:114
	ds_read2_b64 v[6:9], v222 offset0:115 offset1:116
	;; [unrolled: 1-line block ×3, first 2 shown]
	ds_read_b64 v[14:15], v222 offset:952
	s_waitcnt vmcnt(14)
	v_pk_fma_f32 v[20:21], v[28:29], v[84:85], v[18:19] op_sel:[0,0,1] op_sel_hi:[1,1,0] neg_lo:[0,0,1] neg_hi:[0,0,1]
	v_pk_fma_f32 v[18:19], v[28:29], v[84:85], v[18:19] op_sel:[0,0,1] op_sel_hi:[1,0,0]
	v_fmac_f32_e32 v87, v27, v172
	v_fma_f32 v86, v26, v172, -v1
	v_pk_add_f32 v[16:17], v[80:81], v[82:83]
	s_waitcnt vmcnt(13)
	v_mov_b32_e32 v18, v101
	v_pk_add_f32 v[16:17], v[16:17], v[86:87]
	v_mov_b32_e32 v21, v19
	s_waitcnt lgkmcnt(3)
	v_pk_mul_f32 v[18:19], v[2:3], v[18:19] op_sel_hi:[1,0]
	v_pk_add_f32 v[16:17], v[16:17], v[20:21]
	s_waitcnt vmcnt(12)
	v_pk_fma_f32 v[20:21], v[2:3], v[100:101], v[18:19] op_sel:[0,0,1] op_sel_hi:[1,1,0] neg_lo:[0,0,1] neg_hi:[0,0,1]
	v_pk_fma_f32 v[2:3], v[2:3], v[100:101], v[18:19] op_sel:[0,0,1] op_sel_hi:[1,0,0]
	v_mov_b32_e32 v21, v3
	v_pk_add_f32 v[2:3], v[16:17], v[20:21]
	s_waitcnt vmcnt(11)
	v_mov_b32_e32 v16, v99
	v_pk_mul_f32 v[16:17], v[4:5], v[16:17] op_sel_hi:[1,0]
	s_waitcnt vmcnt(10)
	v_pk_fma_f32 v[18:19], v[4:5], v[98:99], v[16:17] op_sel:[0,0,1] op_sel_hi:[1,1,0] neg_lo:[0,0,1] neg_hi:[0,0,1]
	v_pk_fma_f32 v[4:5], v[4:5], v[98:99], v[16:17] op_sel:[0,0,1] op_sel_hi:[1,0,0]
	s_waitcnt vmcnt(9)
	v_mov_b32_e32 v4, v97
	v_mov_b32_e32 v19, v5
	s_waitcnt lgkmcnt(2)
	v_pk_mul_f32 v[4:5], v[6:7], v[4:5] op_sel_hi:[1,0]
	s_waitcnt vmcnt(8)
	v_pk_fma_f32 v[16:17], v[6:7], v[96:97], v[4:5] op_sel:[0,0,1] op_sel_hi:[1,1,0] neg_lo:[0,0,1] neg_hi:[0,0,1]
	v_pk_fma_f32 v[4:5], v[6:7], v[96:97], v[4:5] op_sel:[0,0,1] op_sel_hi:[1,0,0]
	s_waitcnt vmcnt(7)
	v_mov_b32_e32 v4, v95
	v_mov_b32_e32 v17, v5
	v_pk_mul_f32 v[4:5], v[8:9], v[4:5] op_sel_hi:[1,0]
	s_waitcnt vmcnt(6)
	v_pk_fma_f32 v[6:7], v[8:9], v[94:95], v[4:5] op_sel:[0,0,1] op_sel_hi:[1,1,0] neg_lo:[0,0,1] neg_hi:[0,0,1]
	v_pk_fma_f32 v[4:5], v[8:9], v[94:95], v[4:5] op_sel:[0,0,1] op_sel_hi:[1,0,0]
	v_pk_add_f32 v[2:3], v[2:3], v[18:19]
	s_waitcnt vmcnt(5)
	v_mov_b32_e32 v4, v93
	v_pk_add_f32 v[2:3], v[2:3], v[16:17]
	v_mov_b32_e32 v7, v5
	s_waitcnt lgkmcnt(1)
	v_pk_mul_f32 v[4:5], v[10:11], v[4:5] op_sel_hi:[1,0]
	v_pk_add_f32 v[2:3], v[2:3], v[6:7]
	s_waitcnt vmcnt(4)
	v_pk_fma_f32 v[6:7], v[10:11], v[92:93], v[4:5] op_sel:[0,0,1] op_sel_hi:[1,1,0] neg_lo:[0,0,1] neg_hi:[0,0,1]
	v_pk_fma_f32 v[4:5], v[10:11], v[92:93], v[4:5] op_sel:[0,0,1] op_sel_hi:[1,0,0]
	s_waitcnt vmcnt(3)
	v_mov_b32_e32 v4, v91
	v_mov_b32_e32 v7, v5
	v_pk_mul_f32 v[4:5], v[12:13], v[4:5] op_sel_hi:[1,0]
	v_pk_add_f32 v[2:3], v[2:3], v[6:7]
	s_waitcnt vmcnt(2)
	v_pk_fma_f32 v[6:7], v[12:13], v[90:91], v[4:5] op_sel:[0,0,1] op_sel_hi:[1,1,0] neg_lo:[0,0,1] neg_hi:[0,0,1]
	v_pk_fma_f32 v[4:5], v[12:13], v[90:91], v[4:5] op_sel:[0,0,1] op_sel_hi:[1,0,0]
	s_waitcnt vmcnt(1)
	v_mov_b32_e32 v4, v89
	v_mov_b32_e32 v7, v5
	s_waitcnt lgkmcnt(0)
	v_pk_mul_f32 v[4:5], v[14:15], v[4:5] op_sel_hi:[1,0]
	v_pk_add_f32 v[2:3], v[2:3], v[6:7]
	s_waitcnt vmcnt(0)
	v_pk_fma_f32 v[6:7], v[14:15], v[88:89], v[4:5] op_sel:[0,0,1] op_sel_hi:[1,1,0] neg_lo:[0,0,1] neg_hi:[0,0,1]
	v_pk_fma_f32 v[4:5], v[14:15], v[88:89], v[4:5] op_sel:[0,0,1] op_sel_hi:[1,0,0]
	v_mov_b32_e32 v7, v5
	v_pk_add_f32 v[2:3], v[2:3], v[6:7]
	v_pk_add_f32 v[2:3], v[78:79], v[2:3] neg_lo:[0,1] neg_hi:[0,1]
	buffer_store_dword v3, off, s[0:3], 0 offset:116
	buffer_store_dword v2, off, s[0:3], 0 offset:112
	s_and_saveexec_b64 s[4:5], vcc
	s_cbranch_execz .LBB123_347
; %bb.346:
	buffer_load_dword v2, off, s[0:3], 0 offset:104
	buffer_load_dword v3, off, s[0:3], 0 offset:108
	s_waitcnt vmcnt(0)
	ds_write_b64 v195, v[2:3]
	buffer_store_dword v222, off, s[0:3], 0 offset:104
	buffer_store_dword v222, off, s[0:3], 0 offset:108
.LBB123_347:
	s_or_b64 exec, exec, s[4:5]
	s_waitcnt lgkmcnt(0)
	; wave barrier
	s_waitcnt lgkmcnt(0)
	buffer_load_dword v1, off, s[0:3], 0 offset:116
	buffer_load_dword v86, off, s[0:3], 0 offset:124
	buffer_load_dword v88, off, s[0:3], 0 offset:140
	buffer_load_dword v90, off, s[0:3], 0 offset:148
	buffer_load_dword v108, off, s[0:3], 0 offset:156
	buffer_load_dword v109, off, s[0:3], 0 offset:132
	buffer_load_dword v110, off, s[0:3], 0 offset:164
	buffer_load_dword v111, off, s[0:3], 0 offset:172
	buffer_load_dword v112, off, s[0:3], 0 offset:180
	buffer_load_dword v113, off, s[0:3], 0 offset:188
	buffer_load_dword v114, off, s[0:3], 0 offset:128
	buffer_load_dword v115, off, s[0:3], 0 offset:120
	buffer_load_dword v116, off, s[0:3], 0 offset:112
	buffer_load_dword v117, off, s[0:3], 0 offset:160
	buffer_load_dword v118, off, s[0:3], 0 offset:152
	buffer_load_dword v119, off, s[0:3], 0 offset:144
	buffer_load_dword v120, off, s[0:3], 0 offset:136
	buffer_load_dword v121, off, s[0:3], 0 offset:192
	buffer_load_dword v122, off, s[0:3], 0 offset:184
	buffer_load_dword v123, off, s[0:3], 0 offset:176
	buffer_load_dword v124, off, s[0:3], 0 offset:168
	buffer_load_dword v125, off, s[0:3], 0 offset:196
	buffer_load_dword v126, off, s[0:3], 0 offset:204
	buffer_load_dword v127, off, s[0:3], 0 offset:208
	buffer_load_dword v128, off, s[0:3], 0 offset:212
	buffer_load_dword v129, off, s[0:3], 0 offset:216
	buffer_load_dword v130, off, s[0:3], 0 offset:220
	buffer_load_dword v131, off, s[0:3], 0 offset:224
	buffer_load_dword v132, off, s[0:3], 0 offset:228
	buffer_load_dword v133, off, s[0:3], 0 offset:200
	buffer_load_dword v26, off, s[0:3], 0 offset:104
	buffer_load_dword v27, off, s[0:3], 0 offset:108
	ds_read_b128 v[22:25], v222 offset:592
	ds_read_b128 v[18:21], v222 offset:608
	;; [unrolled: 1-line block ×6, first 2 shown]
	buffer_load_dword v134, off, s[0:3], 0 offset:232
	buffer_load_dword v135, off, s[0:3], 0 offset:236
	;; [unrolled: 1-line block ×32, first 2 shown]
	v_cmp_lt_u32_e32 vcc, 12, v0
	s_waitcnt vmcnt(62) lgkmcnt(5)
	v_mul_f32_e32 v28, v22, v1
	v_mul_f32_e32 v29, v24, v86
	s_waitcnt vmcnt(61) lgkmcnt(4)
	v_mul_f32_e32 v31, v20, v88
	s_waitcnt vmcnt(60) lgkmcnt(3)
	v_mul_f32_e32 v32, v14, v90
	s_waitcnt vmcnt(59)
	v_mul_f32_e32 v33, v16, v108
	s_waitcnt vmcnt(58)
	v_mul_f32_e32 v30, v18, v109
	s_waitcnt vmcnt(57) lgkmcnt(2)
	v_mul_f32_e32 v34, v10, v110
	s_waitcnt vmcnt(56)
	v_mul_f32_e32 v35, v12, v111
	s_waitcnt vmcnt(55) lgkmcnt(1)
	v_mul_f32_e32 v36, v6, v112
	s_waitcnt vmcnt(54)
	v_mul_f32_e32 v37, v8, v113
	s_waitcnt vmcnt(53)
	v_fmac_f32_e32 v30, v19, v114
	s_waitcnt vmcnt(52)
	v_fmac_f32_e32 v29, v25, v115
	;; [unrolled: 2-line block ×3, first 2 shown]
	v_add_f32_e32 v28, 0, v28
	v_add_f32_e32 v28, v28, v29
	;; [unrolled: 1-line block ×3, first 2 shown]
	s_waitcnt vmcnt(47)
	v_fmac_f32_e32 v31, v21, v120
	v_fmac_f32_e32 v32, v15, v119
	v_add_f32_e32 v28, v28, v31
	v_fmac_f32_e32 v33, v17, v118
	v_add_f32_e32 v28, v28, v32
	v_fmac_f32_e32 v34, v11, v117
	v_add_f32_e32 v28, v28, v33
	s_waitcnt vmcnt(43)
	v_fmac_f32_e32 v35, v13, v124
	v_add_f32_e32 v28, v28, v34
	v_fmac_f32_e32 v36, v7, v123
	v_add_f32_e32 v28, v28, v35
	;; [unrolled: 2-line block ×3, first 2 shown]
	s_waitcnt vmcnt(42) lgkmcnt(0)
	v_mul_f32_e32 v29, v2, v125
	v_add_f32_e32 v28, v28, v37
	v_fmac_f32_e32 v29, v3, v121
	v_add_f32_e32 v32, v28, v29
	ds_read_b128 v[28:31], v222 offset:688
	buffer_load_dword v166, off, s[0:3], 0 offset:360
	buffer_load_dword v167, off, s[0:3], 0 offset:364
	s_waitcnt vmcnt(43)
	v_mul_f32_e32 v33, v4, v126
	s_waitcnt vmcnt(36)
	v_fmac_f32_e32 v33, v5, v133
	v_add_f32_e32 v36, v32, v33
	ds_read_b128 v[32:35], v222 offset:704
	buffer_load_dword v168, off, s[0:3], 0 offset:368
	buffer_load_dword v169, off, s[0:3], 0 offset:372
	;; [unrolled: 1-line block ×8, first 2 shown]
	s_waitcnt lgkmcnt(1)
	v_mul_f32_e32 v37, v28, v128
	v_fmac_f32_e32 v37, v29, v127
	v_add_f32_e32 v36, v36, v37
	v_mul_f32_e32 v37, v30, v130
	v_fmac_f32_e32 v37, v31, v129
	v_add_f32_e32 v36, v36, v37
	s_waitcnt lgkmcnt(0)
	v_mul_f32_e32 v37, v32, v132
	v_fmac_f32_e32 v37, v33, v131
	v_add_f32_e32 v40, v36, v37
	buffer_load_dword v176, off, s[0:3], 0 offset:400
	buffer_load_dword v177, off, s[0:3], 0 offset:404
	;; [unrolled: 1-line block ×4, first 2 shown]
	ds_read_b128 v[36:39], v222 offset:720
	s_waitcnt vmcnt(44)
	v_mul_f32_e32 v41, v34, v135
	v_fmac_f32_e32 v41, v35, v134
	v_add_f32_e32 v44, v40, v41
	ds_read_b128 v[40:43], v222 offset:736
	s_waitcnt vmcnt(42) lgkmcnt(1)
	v_mul_f32_e32 v45, v36, v137
	v_fmac_f32_e32 v45, v37, v136
	v_add_f32_e32 v44, v44, v45
	s_waitcnt vmcnt(40)
	v_mul_f32_e32 v45, v38, v139
	v_fmac_f32_e32 v45, v39, v138
	v_add_f32_e32 v44, v44, v45
	s_waitcnt vmcnt(38) lgkmcnt(0)
	v_mul_f32_e32 v45, v40, v141
	v_fmac_f32_e32 v45, v41, v140
	v_add_f32_e32 v48, v44, v45
	ds_read_b128 v[44:47], v222 offset:752
	s_waitcnt vmcnt(36)
	v_mul_f32_e32 v49, v42, v143
	v_fmac_f32_e32 v49, v43, v142
	v_add_f32_e32 v52, v48, v49
	ds_read_b128 v[48:51], v222 offset:768
	s_waitcnt vmcnt(34) lgkmcnt(1)
	v_mul_f32_e32 v53, v44, v145
	v_fmac_f32_e32 v53, v45, v144
	v_add_f32_e32 v52, v52, v53
	s_waitcnt vmcnt(32)
	v_mul_f32_e32 v53, v46, v147
	v_fmac_f32_e32 v53, v47, v146
	v_add_f32_e32 v52, v52, v53
	s_waitcnt vmcnt(30) lgkmcnt(0)
	v_mul_f32_e32 v53, v48, v149
	v_fmac_f32_e32 v53, v49, v148
	v_add_f32_e32 v56, v52, v53
	;; [unrolled: 18-line block ×4, first 2 shown]
	ds_read_b128 v[68:71], v222 offset:848
	v_mul_f32_e32 v1, v23, v1
	v_fma_f32 v1, v22, v116, -v1
	v_mul_f32_e32 v22, v25, v86
	v_add_f32_e32 v1, 0, v1
	s_waitcnt vmcnt(12)
	v_mul_f32_e32 v73, v66, v167
	v_fmac_f32_e32 v73, v67, v166
	v_add_f32_e32 v76, v72, v73
	ds_read_b128 v[72:75], v222 offset:864
	buffer_load_dword v85, off, s[0:3], 0 offset:420
	buffer_load_dword v84, off, s[0:3], 0 offset:416
	s_waitcnt vmcnt(12) lgkmcnt(1)
	v_mul_f32_e32 v77, v68, v169
	v_fmac_f32_e32 v77, v69, v168
	v_add_f32_e32 v76, v76, v77
	s_waitcnt vmcnt(10)
	v_mul_f32_e32 v77, v70, v171
	v_fmac_f32_e32 v77, v71, v170
	v_add_f32_e32 v76, v76, v77
	s_waitcnt vmcnt(8) lgkmcnt(0)
	v_mul_f32_e32 v77, v72, v173
	v_fmac_f32_e32 v77, v73, v172
	s_waitcnt vmcnt(6)
	v_mul_f32_e32 v81, v74, v175
	v_add_f32_e32 v80, v76, v77
	v_fmac_f32_e32 v81, v75, v174
	ds_read_b128 v[76:79], v222 offset:880
	v_add_f32_e32 v87, v80, v81
	ds_read_b128 v[80:83], v222 offset:896
	buffer_load_dword v93, off, s[0:3], 0 offset:452
	buffer_load_dword v92, off, s[0:3], 0 offset:448
	;; [unrolled: 1-line block ×14, first 2 shown]
	v_fma_f32 v22, v24, v115, -v22
	v_mul_f32_e32 v19, v19, v109
	v_add_f32_e32 v1, v1, v22
	v_fma_f32 v18, v18, v114, -v19
	v_add_f32_e32 v1, v1, v18
	v_mul_f32_e32 v18, v21, v88
	v_fma_f32 v18, v20, v120, -v18
	v_mul_f32_e32 v15, v15, v90
	v_add_f32_e32 v1, v1, v18
	v_fma_f32 v14, v14, v119, -v15
	v_add_f32_e32 v1, v1, v14
	v_mul_f32_e32 v14, v17, v108
	;; [unrolled: 6-line block ×5, first 2 shown]
	v_fma_f32 v2, v4, v133, -v2
	v_add_f32_e32 v1, v1, v2
	v_mul_f32_e32 v2, v29, v128
	v_fma_f32 v2, v28, v127, -v2
	v_add_f32_e32 v1, v1, v2
	v_mul_f32_e32 v2, v31, v130
	;; [unrolled: 3-line block ×24, first 2 shown]
	v_fma_f32 v2, v74, v174, -v2
	s_waitcnt vmcnt(15)
	v_mov_b32_e32 v16, v85
	s_waitcnt lgkmcnt(1)
	v_mul_f32_e32 v89, v76, v177
	v_add_f32_e32 v86, v1, v2
	v_mul_f32_e32 v1, v77, v177
	s_waitcnt lgkmcnt(0)
	v_pk_mul_f32 v[16:17], v[80:81], v[16:17] op_sel_hi:[1,0]
	v_fmac_f32_e32 v89, v77, v176
	v_mul_f32_e32 v91, v78, v224
	v_fma_f32 v88, v76, v176, -v1
	v_mul_f32_e32 v1, v79, v224
	s_waitcnt vmcnt(14)
	v_pk_fma_f32 v[18:19], v[80:81], v[84:85], v[16:17] op_sel:[0,0,1] op_sel_hi:[1,1,0] neg_lo:[0,0,1] neg_hi:[0,0,1]
	v_pk_fma_f32 v[16:17], v[80:81], v[84:85], v[16:17] op_sel:[0,0,1] op_sel_hi:[1,0,0]
	v_fmac_f32_e32 v91, v79, v223
	v_fma_f32 v90, v78, v223, -v1
	v_pk_add_f32 v[14:15], v[86:87], v[88:89]
	s_waitcnt vmcnt(7)
	v_mov_b32_e32 v16, v99
	ds_read_b128 v[2:5], v222 offset:912
	ds_read_b128 v[6:9], v222 offset:928
	;; [unrolled: 1-line block ×3, first 2 shown]
	v_pk_add_f32 v[14:15], v[14:15], v[90:91]
	v_mov_b32_e32 v19, v17
	v_pk_mul_f32 v[16:17], v[82:83], v[16:17] op_sel_hi:[1,0]
	v_pk_add_f32 v[14:15], v[14:15], v[18:19]
	s_waitcnt vmcnt(6)
	v_pk_fma_f32 v[18:19], v[82:83], v[98:99], v[16:17] op_sel:[0,0,1] op_sel_hi:[1,1,0] neg_lo:[0,0,1] neg_hi:[0,0,1]
	v_pk_fma_f32 v[16:17], v[82:83], v[98:99], v[16:17] op_sel:[0,0,1] op_sel_hi:[1,0,0]
	v_mov_b32_e32 v16, v97
	v_mov_b32_e32 v19, v17
	s_waitcnt lgkmcnt(2)
	v_pk_mul_f32 v[16:17], v[2:3], v[16:17] op_sel_hi:[1,0]
	v_pk_add_f32 v[14:15], v[14:15], v[18:19]
	v_pk_fma_f32 v[18:19], v[2:3], v[96:97], v[16:17] op_sel:[0,0,1] op_sel_hi:[1,1,0] neg_lo:[0,0,1] neg_hi:[0,0,1]
	v_pk_fma_f32 v[2:3], v[2:3], v[96:97], v[16:17] op_sel:[0,0,1] op_sel_hi:[1,0,0]
	v_mov_b32_e32 v19, v3
	v_pk_add_f32 v[2:3], v[14:15], v[18:19]
	v_mov_b32_e32 v14, v95
	v_pk_mul_f32 v[14:15], v[4:5], v[14:15] op_sel_hi:[1,0]
	v_pk_fma_f32 v[16:17], v[4:5], v[94:95], v[14:15] op_sel:[0,0,1] op_sel_hi:[1,1,0] neg_lo:[0,0,1] neg_hi:[0,0,1]
	v_pk_fma_f32 v[4:5], v[4:5], v[94:95], v[14:15] op_sel:[0,0,1] op_sel_hi:[1,0,0]
	v_mov_b32_e32 v4, v93
	v_mov_b32_e32 v17, v5
	s_waitcnt lgkmcnt(1)
	v_pk_mul_f32 v[4:5], v[6:7], v[4:5] op_sel_hi:[1,0]
	v_pk_fma_f32 v[14:15], v[6:7], v[92:93], v[4:5] op_sel:[0,0,1] op_sel_hi:[1,1,0] neg_lo:[0,0,1] neg_hi:[0,0,1]
	v_pk_fma_f32 v[4:5], v[6:7], v[92:93], v[4:5] op_sel:[0,0,1] op_sel_hi:[1,0,0]
	s_waitcnt vmcnt(1)
	v_mov_b32_e32 v4, v107
	v_mov_b32_e32 v15, v5
	v_pk_mul_f32 v[4:5], v[8:9], v[4:5] op_sel_hi:[1,0]
	s_waitcnt vmcnt(0)
	v_pk_fma_f32 v[6:7], v[8:9], v[106:107], v[4:5] op_sel:[0,0,1] op_sel_hi:[1,1,0] neg_lo:[0,0,1] neg_hi:[0,0,1]
	v_pk_fma_f32 v[4:5], v[8:9], v[106:107], v[4:5] op_sel:[0,0,1] op_sel_hi:[1,0,0]
	v_pk_add_f32 v[2:3], v[2:3], v[16:17]
	v_mov_b32_e32 v4, v105
	v_pk_add_f32 v[2:3], v[2:3], v[14:15]
	v_mov_b32_e32 v7, v5
	s_waitcnt lgkmcnt(0)
	v_pk_mul_f32 v[4:5], v[10:11], v[4:5] op_sel_hi:[1,0]
	v_pk_add_f32 v[2:3], v[2:3], v[6:7]
	v_pk_fma_f32 v[6:7], v[10:11], v[104:105], v[4:5] op_sel:[0,0,1] op_sel_hi:[1,1,0] neg_lo:[0,0,1] neg_hi:[0,0,1]
	v_pk_fma_f32 v[4:5], v[10:11], v[104:105], v[4:5] op_sel:[0,0,1] op_sel_hi:[1,0,0]
	v_mov_b32_e32 v4, v101
	v_mov_b32_e32 v7, v5
	v_pk_mul_f32 v[4:5], v[12:13], v[4:5] op_sel_hi:[1,0]
	v_pk_add_f32 v[2:3], v[2:3], v[6:7]
	v_pk_fma_f32 v[6:7], v[12:13], v[100:101], v[4:5] op_sel:[0,0,1] op_sel_hi:[1,1,0] neg_lo:[0,0,1] neg_hi:[0,0,1]
	v_pk_fma_f32 v[4:5], v[12:13], v[100:101], v[4:5] op_sel:[0,0,1] op_sel_hi:[1,0,0]
	v_mov_b32_e32 v7, v5
	v_pk_add_f32 v[2:3], v[2:3], v[6:7]
	v_pk_add_f32 v[2:3], v[26:27], v[2:3] neg_lo:[0,1] neg_hi:[0,1]
	buffer_store_dword v3, off, s[0:3], 0 offset:108
	buffer_store_dword v2, off, s[0:3], 0 offset:104
	s_and_saveexec_b64 s[4:5], vcc
	s_cbranch_execz .LBB123_349
; %bb.348:
	buffer_load_dword v2, off, s[0:3], 0 offset:96
	buffer_load_dword v3, off, s[0:3], 0 offset:100
	v_mov_b32_e32 v1, 0
	buffer_store_dword v1, off, s[0:3], 0 offset:96
	buffer_store_dword v1, off, s[0:3], 0 offset:100
	s_waitcnt vmcnt(2)
	ds_write_b64 v195, v[2:3]
.LBB123_349:
	s_or_b64 exec, exec, s[4:5]
	s_waitcnt lgkmcnt(0)
	; wave barrier
	s_waitcnt lgkmcnt(0)
	buffer_load_dword v33, off, s[0:3], 0 offset:108
	buffer_load_dword v32, off, s[0:3], 0 offset:116
	;; [unrolled: 1-line block ×48, first 2 shown]
	v_mov_b32_e32 v1, 0
	ds_read2_b64 v[22:25], v1 offset0:73 offset1:74
	ds_read2_b64 v[18:21], v1 offset0:75 offset1:76
	;; [unrolled: 1-line block ×6, first 2 shown]
	buffer_load_dword v151, off, s[0:3], 0 offset:288
	buffer_load_dword v152, off, s[0:3], 0 offset:292
	;; [unrolled: 1-line block ×12, first 2 shown]
	v_cmp_lt_u32_e32 vcc, 11, v0
	s_waitcnt vmcnt(59) lgkmcnt(5)
	v_mul_f32_e32 v35, v22, v33
	s_waitcnt vmcnt(58)
	v_mul_f32_e32 v36, v24, v32
	s_waitcnt vmcnt(57) lgkmcnt(4)
	v_mul_f32_e32 v38, v20, v31
	s_waitcnt vmcnt(56) lgkmcnt(3)
	v_mul_f32_e32 v39, v14, v30
	s_waitcnt vmcnt(55)
	v_mul_f32_e32 v40, v16, v28
	s_waitcnt vmcnt(54)
	v_mul_f32_e32 v37, v18, v34
	s_waitcnt vmcnt(53) lgkmcnt(2)
	v_mul_f32_e32 v41, v10, v29
	s_waitcnt vmcnt(52)
	v_mul_f32_e32 v42, v12, v92
	s_waitcnt vmcnt(51) lgkmcnt(1)
	v_mul_f32_e32 v43, v6, v94
	s_waitcnt vmcnt(50)
	v_mul_f32_e32 v44, v8, v114
	s_waitcnt vmcnt(49)
	v_fmac_f32_e32 v37, v19, v115
	s_waitcnt vmcnt(48)
	v_fmac_f32_e32 v36, v25, v116
	;; [unrolled: 2-line block ×3, first 2 shown]
	v_add_f32_e32 v35, 0, v35
	v_add_f32_e32 v35, v35, v36
	;; [unrolled: 1-line block ×3, first 2 shown]
	s_waitcnt vmcnt(43)
	v_fmac_f32_e32 v38, v21, v121
	v_fmac_f32_e32 v39, v15, v120
	v_add_f32_e32 v35, v35, v38
	v_fmac_f32_e32 v40, v17, v119
	v_add_f32_e32 v35, v35, v39
	;; [unrolled: 2-line block ×3, first 2 shown]
	s_waitcnt vmcnt(39)
	v_fmac_f32_e32 v42, v13, v125
	v_add_f32_e32 v35, v35, v41
	v_fmac_f32_e32 v43, v7, v124
	v_add_f32_e32 v35, v35, v42
	;; [unrolled: 2-line block ×3, first 2 shown]
	s_waitcnt vmcnt(38) lgkmcnt(0)
	v_mul_f32_e32 v36, v2, v126
	v_add_f32_e32 v35, v35, v44
	v_fmac_f32_e32 v36, v3, v122
	v_add_f32_e32 v35, v35, v36
	ds_read2_b64 v[36:39], v1 offset0:85 offset1:86
	buffer_load_dword v163, off, s[0:3], 0 offset:336
	buffer_load_dword v164, off, s[0:3], 0 offset:340
	;; [unrolled: 1-line block ×4, first 2 shown]
	s_waitcnt vmcnt(35)
	v_mul_f32_e32 v40, v4, v133
	s_waitcnt vmcnt(34)
	v_fmac_f32_e32 v40, v5, v134
	v_add_f32_e32 v35, v35, v40
	ds_read2_b64 v[40:43], v1 offset0:87 offset1:88
	buffer_load_dword v167, off, s[0:3], 0 offset:352
	buffer_load_dword v168, off, s[0:3], 0 offset:356
	;; [unrolled: 1-line block ×10, first 2 shown]
	s_waitcnt lgkmcnt(1)
	v_mul_f32_e32 v44, v36, v128
	v_fmac_f32_e32 v44, v37, v127
	v_add_f32_e32 v35, v35, v44
	v_mul_f32_e32 v44, v38, v130
	v_fmac_f32_e32 v44, v39, v129
	v_add_f32_e32 v35, v35, v44
	s_waitcnt lgkmcnt(0)
	v_mul_f32_e32 v44, v40, v132
	v_fmac_f32_e32 v44, v41, v131
	v_add_f32_e32 v35, v35, v44
	buffer_load_dword v177, off, s[0:3], 0 offset:392
	buffer_load_dword v222, off, s[0:3], 0 offset:396
	;; [unrolled: 1-line block ×6, first 2 shown]
	ds_read2_b64 v[44:47], v1 offset0:89 offset1:90
	s_waitcnt vmcnt(46)
	v_mul_f32_e32 v48, v42, v136
	v_fmac_f32_e32 v48, v43, v135
	v_add_f32_e32 v35, v35, v48
	ds_read2_b64 v[48:51], v1 offset0:91 offset1:92
	s_waitcnt vmcnt(44) lgkmcnt(1)
	v_mul_f32_e32 v52, v44, v138
	v_fmac_f32_e32 v52, v45, v137
	v_add_f32_e32 v35, v35, v52
	s_waitcnt vmcnt(42)
	v_mul_f32_e32 v52, v46, v140
	v_fmac_f32_e32 v52, v47, v139
	v_add_f32_e32 v35, v35, v52
	s_waitcnt vmcnt(40) lgkmcnt(0)
	v_mul_f32_e32 v52, v48, v142
	v_fmac_f32_e32 v52, v49, v141
	v_add_f32_e32 v35, v35, v52
	ds_read2_b64 v[52:55], v1 offset0:93 offset1:94
	s_waitcnt vmcnt(38)
	v_mul_f32_e32 v56, v50, v144
	v_fmac_f32_e32 v56, v51, v143
	v_add_f32_e32 v35, v35, v56
	ds_read2_b64 v[56:59], v1 offset0:95 offset1:96
	s_waitcnt vmcnt(36) lgkmcnt(1)
	v_mul_f32_e32 v60, v52, v146
	v_fmac_f32_e32 v60, v53, v145
	v_add_f32_e32 v35, v35, v60
	s_waitcnt vmcnt(34)
	v_mul_f32_e32 v60, v54, v148
	v_fmac_f32_e32 v60, v55, v147
	v_add_f32_e32 v35, v35, v60
	s_waitcnt vmcnt(32) lgkmcnt(0)
	v_mul_f32_e32 v60, v56, v150
	v_fmac_f32_e32 v60, v57, v149
	v_add_f32_e32 v35, v35, v60
	ds_read2_b64 v[60:63], v1 offset0:97 offset1:98
	s_waitcnt vmcnt(30)
	v_mul_f32_e32 v64, v58, v152
	v_fmac_f32_e32 v64, v59, v151
	v_add_f32_e32 v35, v35, v64
	ds_read2_b64 v[64:67], v1 offset0:99 offset1:100
	s_waitcnt vmcnt(28) lgkmcnt(1)
	v_mul_f32_e32 v68, v60, v154
	v_fmac_f32_e32 v68, v61, v153
	v_add_f32_e32 v35, v35, v68
	s_waitcnt vmcnt(26)
	v_mul_f32_e32 v68, v62, v156
	v_fmac_f32_e32 v68, v63, v155
	v_add_f32_e32 v35, v35, v68
	s_waitcnt vmcnt(24) lgkmcnt(0)
	v_mul_f32_e32 v68, v64, v158
	v_fmac_f32_e32 v68, v65, v157
	v_add_f32_e32 v35, v35, v68
	ds_read2_b64 v[68:71], v1 offset0:101 offset1:102
	s_waitcnt vmcnt(22)
	v_mul_f32_e32 v72, v66, v160
	v_fmac_f32_e32 v72, v67, v159
	v_add_f32_e32 v35, v35, v72
	ds_read2_b64 v[72:75], v1 offset0:103 offset1:104
	s_waitcnt vmcnt(20) lgkmcnt(1)
	v_mul_f32_e32 v76, v68, v162
	v_fmac_f32_e32 v76, v69, v161
	v_add_f32_e32 v35, v35, v76
	v_mul_f32_e32 v23, v23, v33
	v_fma_f32 v22, v22, v117, -v23
	v_mul_f32_e32 v23, v25, v32
	v_add_f32_e32 v22, 0, v22
	v_fma_f32 v23, v24, v116, -v23
	v_mul_f32_e32 v19, v19, v34
	v_add_f32_e32 v22, v22, v23
	v_fma_f32 v18, v18, v115, -v19
	v_mul_f32_e32 v19, v21, v31
	s_waitcnt vmcnt(18)
	v_mul_f32_e32 v76, v70, v164
	v_fmac_f32_e32 v76, v71, v163
	v_add_f32_e32 v35, v35, v76
	s_waitcnt vmcnt(16) lgkmcnt(0)
	v_mul_f32_e32 v76, v72, v166
	v_fmac_f32_e32 v76, v73, v165
	v_add_f32_e32 v35, v35, v76
	ds_read2_b64 v[76:79], v1 offset0:105 offset1:106
	s_waitcnt vmcnt(14)
	v_mul_f32_e32 v80, v74, v168
	v_fmac_f32_e32 v80, v75, v167
	v_add_f32_e32 v35, v35, v80
	ds_read2_b64 v[80:83], v1 offset0:107 offset1:108
	s_waitcnt vmcnt(12) lgkmcnt(1)
	v_mul_f32_e32 v84, v76, v170
	v_fmac_f32_e32 v84, v77, v169
	v_add_f32_e32 v35, v35, v84
	s_waitcnt vmcnt(10)
	v_mul_f32_e32 v84, v78, v172
	v_fmac_f32_e32 v84, v79, v171
	v_add_f32_e32 v35, v35, v84
	s_waitcnt vmcnt(8) lgkmcnt(0)
	v_mul_f32_e32 v84, v80, v174
	v_fmac_f32_e32 v84, v81, v173
	s_waitcnt vmcnt(6)
	v_mul_f32_e32 v88, v82, v176
	v_add_f32_e32 v35, v35, v84
	v_fmac_f32_e32 v88, v83, v175
	ds_read2_b64 v[84:87], v1 offset0:109 offset1:110
	v_add_f32_e32 v35, v35, v88
	ds_read2_b64 v[88:91], v1 offset0:111 offset1:112
	buffer_load_dword v97, off, s[0:3], 0 offset:444
	buffer_load_dword v96, off, s[0:3], 0 offset:440
	;; [unrolled: 1-line block ×16, first 2 shown]
	v_add_f32_e32 v18, v22, v18
	v_fma_f32 v19, v20, v121, -v19
	v_mul_f32_e32 v15, v15, v30
	v_add_f32_e32 v18, v18, v19
	v_fma_f32 v14, v14, v120, -v15
	v_mul_f32_e32 v15, v17, v28
	;; [unrolled: 3-line block ×8, first 2 shown]
	v_add_f32_e32 v2, v6, v2
	v_fma_f32 v3, v4, v134, -v3
	v_add_f32_e32 v2, v2, v3
	v_mul_f32_e32 v3, v37, v128
	v_fma_f32 v3, v36, v127, -v3
	v_add_f32_e32 v2, v2, v3
	v_mul_f32_e32 v3, v39, v130
	;; [unrolled: 3-line block ×24, first 2 shown]
	v_fma_f32 v3, v82, v175, -v3
	v_add_f32_e32 v2, v2, v3
	s_waitcnt vmcnt(20) lgkmcnt(1)
	v_mul_f32_e32 v3, v85, v222
	v_mul_f32_e32 v93, v84, v222
	v_fma_f32 v3, v84, v177, -v3
	v_fmac_f32_e32 v93, v85, v177
	v_add_f32_e32 v34, v2, v3
	s_waitcnt vmcnt(18)
	v_mul_f32_e32 v2, v87, v224
	s_waitcnt vmcnt(9)
	v_mov_b32_e32 v18, v105
	v_add_f32_e32 v35, v35, v93
	v_mul_f32_e32 v93, v86, v224
	v_fma_f32 v92, v86, v223, -v2
	s_waitcnt lgkmcnt(0)
	v_mul_f32_e32 v2, v89, v226
	v_pk_mul_f32 v[18:19], v[90:91], v[18:19] op_sel_hi:[1,0]
	v_fmac_f32_e32 v93, v87, v223
	v_mul_f32_e32 v95, v88, v226
	v_fma_f32 v94, v88, v225, -v2
	ds_read2_b64 v[2:5], v1 offset0:113 offset1:114
	ds_read2_b64 v[6:9], v1 offset0:115 offset1:116
	;; [unrolled: 1-line block ×3, first 2 shown]
	ds_read_b64 v[14:15], v1 offset:952
	s_waitcnt vmcnt(8)
	v_pk_fma_f32 v[20:21], v[90:91], v[104:105], v[18:19] op_sel:[0,0,1] op_sel_hi:[1,1,0] neg_lo:[0,0,1] neg_hi:[0,0,1]
	v_pk_fma_f32 v[18:19], v[90:91], v[104:105], v[18:19] op_sel:[0,0,1] op_sel_hi:[1,0,0]
	v_fmac_f32_e32 v95, v89, v225
	v_pk_add_f32 v[16:17], v[34:35], v[92:93]
	v_mov_b32_e32 v18, v101
	v_pk_add_f32 v[16:17], v[16:17], v[94:95]
	v_mov_b32_e32 v21, v19
	s_waitcnt lgkmcnt(3)
	v_pk_mul_f32 v[18:19], v[2:3], v[18:19] op_sel_hi:[1,0]
	v_pk_add_f32 v[16:17], v[16:17], v[20:21]
	v_pk_fma_f32 v[20:21], v[2:3], v[100:101], v[18:19] op_sel:[0,0,1] op_sel_hi:[1,1,0] neg_lo:[0,0,1] neg_hi:[0,0,1]
	v_pk_fma_f32 v[2:3], v[2:3], v[100:101], v[18:19] op_sel:[0,0,1] op_sel_hi:[1,0,0]
	v_mov_b32_e32 v21, v3
	v_pk_add_f32 v[2:3], v[16:17], v[20:21]
	v_mov_b32_e32 v16, v99
	v_pk_mul_f32 v[16:17], v[4:5], v[16:17] op_sel_hi:[1,0]
	v_pk_fma_f32 v[18:19], v[4:5], v[98:99], v[16:17] op_sel:[0,0,1] op_sel_hi:[1,1,0] neg_lo:[0,0,1] neg_hi:[0,0,1]
	v_pk_fma_f32 v[4:5], v[4:5], v[98:99], v[16:17] op_sel:[0,0,1] op_sel_hi:[1,0,0]
	v_mov_b32_e32 v4, v97
	v_mov_b32_e32 v19, v5
	s_waitcnt lgkmcnt(2)
	v_pk_mul_f32 v[4:5], v[6:7], v[4:5] op_sel_hi:[1,0]
	v_pk_fma_f32 v[16:17], v[6:7], v[96:97], v[4:5] op_sel:[0,0,1] op_sel_hi:[1,1,0] neg_lo:[0,0,1] neg_hi:[0,0,1]
	v_pk_fma_f32 v[4:5], v[6:7], v[96:97], v[4:5] op_sel:[0,0,1] op_sel_hi:[1,0,0]
	s_waitcnt vmcnt(1)
	v_mov_b32_e32 v4, v113
	v_mov_b32_e32 v17, v5
	v_pk_mul_f32 v[4:5], v[8:9], v[4:5] op_sel_hi:[1,0]
	s_waitcnt vmcnt(0)
	v_pk_fma_f32 v[6:7], v[8:9], v[112:113], v[4:5] op_sel:[0,0,1] op_sel_hi:[1,1,0] neg_lo:[0,0,1] neg_hi:[0,0,1]
	v_pk_fma_f32 v[4:5], v[8:9], v[112:113], v[4:5] op_sel:[0,0,1] op_sel_hi:[1,0,0]
	v_pk_add_f32 v[2:3], v[2:3], v[18:19]
	v_mov_b32_e32 v4, v111
	v_pk_add_f32 v[2:3], v[2:3], v[16:17]
	v_mov_b32_e32 v7, v5
	s_waitcnt lgkmcnt(1)
	v_pk_mul_f32 v[4:5], v[10:11], v[4:5] op_sel_hi:[1,0]
	v_pk_add_f32 v[2:3], v[2:3], v[6:7]
	v_pk_fma_f32 v[6:7], v[10:11], v[110:111], v[4:5] op_sel:[0,0,1] op_sel_hi:[1,1,0] neg_lo:[0,0,1] neg_hi:[0,0,1]
	v_pk_fma_f32 v[4:5], v[10:11], v[110:111], v[4:5] op_sel:[0,0,1] op_sel_hi:[1,0,0]
	v_mov_b32_e32 v4, v109
	v_mov_b32_e32 v7, v5
	v_pk_mul_f32 v[4:5], v[12:13], v[4:5] op_sel_hi:[1,0]
	v_pk_add_f32 v[2:3], v[2:3], v[6:7]
	v_pk_fma_f32 v[6:7], v[12:13], v[108:109], v[4:5] op_sel:[0,0,1] op_sel_hi:[1,1,0] neg_lo:[0,0,1] neg_hi:[0,0,1]
	v_pk_fma_f32 v[4:5], v[12:13], v[108:109], v[4:5] op_sel:[0,0,1] op_sel_hi:[1,0,0]
	v_mov_b32_e32 v4, v107
	v_mov_b32_e32 v7, v5
	s_waitcnt lgkmcnt(0)
	v_pk_mul_f32 v[4:5], v[14:15], v[4:5] op_sel_hi:[1,0]
	v_pk_add_f32 v[2:3], v[2:3], v[6:7]
	v_pk_fma_f32 v[6:7], v[14:15], v[106:107], v[4:5] op_sel:[0,0,1] op_sel_hi:[1,1,0] neg_lo:[0,0,1] neg_hi:[0,0,1]
	v_pk_fma_f32 v[4:5], v[14:15], v[106:107], v[4:5] op_sel:[0,0,1] op_sel_hi:[1,0,0]
	v_mov_b32_e32 v7, v5
	v_pk_add_f32 v[2:3], v[2:3], v[6:7]
	v_pk_add_f32 v[2:3], v[26:27], v[2:3] neg_lo:[0,1] neg_hi:[0,1]
	buffer_store_dword v3, off, s[0:3], 0 offset:100
	buffer_store_dword v2, off, s[0:3], 0 offset:96
	s_and_saveexec_b64 s[4:5], vcc
	s_cbranch_execz .LBB123_351
; %bb.350:
	buffer_load_dword v2, off, s[0:3], 0 offset:88
	buffer_load_dword v3, off, s[0:3], 0 offset:92
	s_waitcnt vmcnt(0)
	ds_write_b64 v195, v[2:3]
	buffer_store_dword v1, off, s[0:3], 0 offset:88
	buffer_store_dword v1, off, s[0:3], 0 offset:92
.LBB123_351:
	s_or_b64 exec, exec, s[4:5]
	s_waitcnt lgkmcnt(0)
	; wave barrier
	s_waitcnt lgkmcnt(0)
	buffer_load_dword v41, off, s[0:3], 0 offset:100
	buffer_load_dword v40, off, s[0:3], 0 offset:108
	;; [unrolled: 1-line block ×32, first 2 shown]
	ds_read_b128 v[22:25], v1 offset:576
	ds_read_b128 v[18:21], v1 offset:592
	;; [unrolled: 1-line block ×6, first 2 shown]
	buffer_load_dword v135, off, s[0:3], 0 offset:216
	buffer_load_dword v136, off, s[0:3], 0 offset:220
	;; [unrolled: 1-line block ×26, first 2 shown]
	v_cmp_lt_u32_e32 vcc, 10, v0
	s_waitcnt vmcnt(57) lgkmcnt(5)
	v_mul_f32_e32 v26, v22, v41
	s_waitcnt vmcnt(56)
	v_mul_f32_e32 v27, v24, v40
	s_waitcnt vmcnt(55) lgkmcnt(4)
	v_mul_f32_e32 v29, v20, v39
	s_waitcnt vmcnt(54) lgkmcnt(3)
	v_mul_f32_e32 v30, v14, v38
	s_waitcnt vmcnt(53)
	v_mul_f32_e32 v31, v16, v36
	s_waitcnt vmcnt(52)
	v_mul_f32_e32 v28, v18, v42
	s_waitcnt vmcnt(51) lgkmcnt(2)
	v_mul_f32_e32 v32, v10, v37
	s_waitcnt vmcnt(50)
	v_mul_f32_e32 v33, v12, v43
	s_waitcnt vmcnt(49) lgkmcnt(1)
	;; [unrolled: 4-line block ×3, first 2 shown]
	v_mul_f32_e32 v46, v2, v104
	s_waitcnt vmcnt(46)
	v_fmac_f32_e32 v28, v19, v116
	s_waitcnt vmcnt(45)
	v_fmac_f32_e32 v27, v25, v117
	;; [unrolled: 2-line block ×3, first 2 shown]
	v_add_f32_e32 v26, 0, v26
	v_add_f32_e32 v26, v26, v27
	;; [unrolled: 1-line block ×3, first 2 shown]
	s_waitcnt vmcnt(40)
	v_fmac_f32_e32 v29, v21, v122
	v_fmac_f32_e32 v30, v15, v121
	v_add_f32_e32 v26, v26, v29
	v_fmac_f32_e32 v31, v17, v120
	v_add_f32_e32 v26, v26, v30
	;; [unrolled: 2-line block ×3, first 2 shown]
	s_waitcnt vmcnt(36)
	v_fmac_f32_e32 v33, v13, v126
	v_add_f32_e32 v26, v26, v32
	v_fmac_f32_e32 v44, v7, v125
	v_add_f32_e32 v26, v26, v33
	;; [unrolled: 2-line block ×4, first 2 shown]
	s_waitcnt vmcnt(30)
	v_mul_f32_e32 v27, v4, v132
	v_add_f32_e32 v26, v26, v46
	s_waitcnt vmcnt(29)
	v_fmac_f32_e32 v27, v5, v133
	v_add_f32_e32 v44, v26, v27
	ds_read_b128 v[26:29], v1 offset:672
	buffer_load_dword v161, off, s[0:3], 0 offset:320
	buffer_load_dword v162, off, s[0:3], 0 offset:324
	ds_read_b128 v[30:33], v1 offset:688
	buffer_load_dword v163, off, s[0:3], 0 offset:328
	buffer_load_dword v164, off, s[0:3], 0 offset:332
	;; [unrolled: 1-line block ×14, first 2 shown]
	s_waitcnt vmcnt(44) lgkmcnt(1)
	v_mul_f32_e32 v45, v26, v134
	v_fmac_f32_e32 v45, v27, v131
	v_add_f32_e32 v44, v44, v45
	v_mul_f32_e32 v45, v28, v128
	v_fmac_f32_e32 v45, v29, v127
	v_add_f32_e32 v44, v44, v45
	s_waitcnt lgkmcnt(0)
	v_mul_f32_e32 v45, v30, v130
	v_fmac_f32_e32 v45, v31, v129
	v_add_f32_e32 v48, v44, v45
	buffer_load_dword v177, off, s[0:3], 0 offset:384
	buffer_load_dword v222, off, s[0:3], 0 offset:388
	ds_read_b128 v[44:47], v1 offset:704
	s_waitcnt vmcnt(42)
	v_mul_f32_e32 v49, v32, v136
	v_fmac_f32_e32 v49, v33, v135
	buffer_load_dword v223, off, s[0:3], 0 offset:392
	buffer_load_dword v224, off, s[0:3], 0 offset:396
	v_add_f32_e32 v52, v48, v49
	buffer_load_dword v225, off, s[0:3], 0 offset:400
	buffer_load_dword v226, off, s[0:3], 0 offset:404
	ds_read_b128 v[48:51], v1 offset:720
	s_waitcnt vmcnt(44) lgkmcnt(1)
	v_mul_f32_e32 v53, v44, v138
	v_fmac_f32_e32 v53, v45, v137
	v_add_f32_e32 v52, v52, v53
	s_waitcnt vmcnt(42)
	v_mul_f32_e32 v53, v46, v140
	v_fmac_f32_e32 v53, v47, v139
	v_add_f32_e32 v52, v52, v53
	s_waitcnt vmcnt(40) lgkmcnt(0)
	v_mul_f32_e32 v53, v48, v142
	v_fmac_f32_e32 v53, v49, v141
	buffer_load_dword v227, off, s[0:3], 0 offset:408
	buffer_load_dword v228, off, s[0:3], 0 offset:412
	v_add_f32_e32 v56, v52, v53
	ds_read_b128 v[52:55], v1 offset:736
	s_waitcnt vmcnt(40)
	v_mul_f32_e32 v57, v50, v144
	v_fmac_f32_e32 v57, v51, v143
	v_add_f32_e32 v60, v56, v57
	ds_read_b128 v[56:59], v1 offset:752
	s_waitcnt vmcnt(38) lgkmcnt(1)
	v_mul_f32_e32 v61, v52, v146
	v_fmac_f32_e32 v61, v53, v145
	v_add_f32_e32 v60, v60, v61
	s_waitcnt vmcnt(36)
	v_mul_f32_e32 v61, v54, v148
	v_fmac_f32_e32 v61, v55, v147
	v_add_f32_e32 v60, v60, v61
	s_waitcnt vmcnt(34) lgkmcnt(0)
	v_mul_f32_e32 v61, v56, v150
	v_fmac_f32_e32 v61, v57, v149
	v_add_f32_e32 v64, v60, v61
	ds_read_b128 v[60:63], v1 offset:768
	s_waitcnt vmcnt(32)
	v_mul_f32_e32 v65, v58, v152
	v_fmac_f32_e32 v65, v59, v151
	v_add_f32_e32 v68, v64, v65
	ds_read_b128 v[64:67], v1 offset:784
	s_waitcnt vmcnt(30) lgkmcnt(1)
	v_mul_f32_e32 v69, v60, v154
	v_fmac_f32_e32 v69, v61, v153
	v_add_f32_e32 v68, v68, v69
	s_waitcnt vmcnt(28)
	v_mul_f32_e32 v69, v62, v156
	v_fmac_f32_e32 v69, v63, v155
	v_add_f32_e32 v68, v68, v69
	s_waitcnt vmcnt(26) lgkmcnt(0)
	v_mul_f32_e32 v69, v64, v158
	v_fmac_f32_e32 v69, v65, v157
	v_add_f32_e32 v72, v68, v69
	ds_read_b128 v[68:71], v1 offset:800
	s_waitcnt vmcnt(24)
	v_mul_f32_e32 v73, v66, v160
	v_fmac_f32_e32 v73, v67, v159
	v_add_f32_e32 v76, v72, v73
	ds_read_b128 v[72:75], v1 offset:816
	v_mul_f32_e32 v23, v23, v41
	v_fma_f32 v22, v22, v118, -v23
	v_mul_f32_e32 v23, v25, v40
	v_add_f32_e32 v22, 0, v22
	v_fma_f32 v23, v24, v117, -v23
	v_mul_f32_e32 v19, v19, v42
	v_add_f32_e32 v22, v22, v23
	;; [unrolled: 3-line block ×3, first 2 shown]
	v_fma_f32 v19, v20, v122, -v19
	s_waitcnt vmcnt(22) lgkmcnt(1)
	v_mul_f32_e32 v77, v68, v162
	v_fmac_f32_e32 v77, v69, v161
	v_add_f32_e32 v76, v76, v77
	s_waitcnt vmcnt(20)
	v_mul_f32_e32 v77, v70, v164
	v_fmac_f32_e32 v77, v71, v163
	v_add_f32_e32 v76, v76, v77
	s_waitcnt vmcnt(18) lgkmcnt(0)
	v_mul_f32_e32 v77, v72, v166
	v_fmac_f32_e32 v77, v73, v165
	v_add_f32_e32 v80, v76, v77
	ds_read_b128 v[76:79], v1 offset:832
	s_waitcnt vmcnt(16)
	v_mul_f32_e32 v81, v74, v168
	v_fmac_f32_e32 v81, v75, v167
	v_add_f32_e32 v84, v80, v81
	ds_read_b128 v[80:83], v1 offset:848
	s_waitcnt vmcnt(14) lgkmcnt(1)
	v_mul_f32_e32 v85, v76, v170
	v_fmac_f32_e32 v85, v77, v169
	v_add_f32_e32 v84, v84, v85
	s_waitcnt vmcnt(12)
	v_mul_f32_e32 v85, v78, v172
	v_fmac_f32_e32 v85, v79, v171
	v_add_f32_e32 v84, v84, v85
	s_waitcnt vmcnt(10) lgkmcnt(0)
	v_mul_f32_e32 v85, v80, v174
	v_fmac_f32_e32 v85, v81, v173
	s_waitcnt vmcnt(8)
	v_mul_f32_e32 v89, v82, v176
	v_add_f32_e32 v88, v84, v85
	v_fmac_f32_e32 v89, v83, v175
	ds_read_b128 v[84:87], v1 offset:864
	v_add_f32_e32 v93, v88, v89
	ds_read_b128 v[88:91], v1 offset:880
	buffer_load_dword v97, off, s[0:3], 0 offset:436
	buffer_load_dword v96, off, s[0:3], 0 offset:432
	;; [unrolled: 1-line block ×16, first 2 shown]
	v_mul_f32_e32 v15, v15, v38
	v_add_f32_e32 v18, v18, v19
	v_fma_f32 v14, v14, v121, -v15
	v_mul_f32_e32 v15, v17, v36
	v_add_f32_e32 v14, v18, v14
	v_fma_f32 v15, v16, v120, -v15
	;; [unrolled: 3-line block ×8, first 2 shown]
	v_add_f32_e32 v2, v2, v3
	v_mul_f32_e32 v3, v27, v134
	v_fma_f32 v3, v26, v131, -v3
	v_add_f32_e32 v2, v2, v3
	v_mul_f32_e32 v3, v29, v128
	v_fma_f32 v3, v28, v127, -v3
	;; [unrolled: 3-line block ×24, first 2 shown]
	v_add_f32_e32 v2, v2, v3
	s_waitcnt vmcnt(22) lgkmcnt(1)
	v_mul_f32_e32 v3, v85, v222
	v_fma_f32 v3, v84, v177, -v3
	v_add_f32_e32 v2, v2, v3
	s_waitcnt vmcnt(20)
	v_mul_f32_e32 v3, v87, v224
	v_mul_f32_e32 v95, v84, v222
	v_fma_f32 v3, v86, v223, -v3
	v_fmac_f32_e32 v95, v85, v177
	v_add_f32_e32 v92, v2, v3
	s_waitcnt vmcnt(18) lgkmcnt(0)
	v_mul_f32_e32 v2, v89, v226
	v_add_f32_e32 v93, v93, v95
	v_mul_f32_e32 v95, v86, v224
	v_fma_f32 v94, v88, v225, -v2
	s_waitcnt vmcnt(16)
	v_mul_f32_e32 v2, v91, v228
	v_fmac_f32_e32 v95, v87, v223
	v_fma_f32 v104, v90, v227, -v2
	ds_read_b128 v[2:5], v1 offset:896
	ds_read_b128 v[6:9], v1 offset:912
	ds_read_b128 v[10:13], v1 offset:928
	ds_read_b128 v[14:17], v1 offset:944
	v_add_f32_e32 v93, v93, v95
	v_mul_f32_e32 v95, v88, v226
	s_waitcnt vmcnt(11)
	v_mov_b32_e32 v20, v101
	v_fmac_f32_e32 v95, v89, v225
	v_mul_f32_e32 v105, v90, v228
	s_waitcnt lgkmcnt(3)
	v_pk_mul_f32 v[20:21], v[2:3], v[20:21] op_sel_hi:[1,0]
	v_fmac_f32_e32 v105, v91, v227
	v_pk_add_f32 v[18:19], v[92:93], v[94:95]
	s_waitcnt vmcnt(10)
	v_pk_fma_f32 v[22:23], v[2:3], v[100:101], v[20:21] op_sel:[0,0,1] op_sel_hi:[1,1,0] neg_lo:[0,0,1] neg_hi:[0,0,1]
	v_pk_fma_f32 v[2:3], v[2:3], v[100:101], v[20:21] op_sel:[0,0,1] op_sel_hi:[1,0,0]
	v_pk_add_f32 v[18:19], v[18:19], v[104:105]
	v_mov_b32_e32 v23, v3
	v_pk_add_f32 v[2:3], v[18:19], v[22:23]
	v_mov_b32_e32 v18, v99
	v_pk_mul_f32 v[18:19], v[4:5], v[18:19] op_sel_hi:[1,0]
	v_pk_fma_f32 v[20:21], v[4:5], v[98:99], v[18:19] op_sel:[0,0,1] op_sel_hi:[1,1,0] neg_lo:[0,0,1] neg_hi:[0,0,1]
	v_pk_fma_f32 v[4:5], v[4:5], v[98:99], v[18:19] op_sel:[0,0,1] op_sel_hi:[1,0,0]
	v_mov_b32_e32 v4, v97
	v_mov_b32_e32 v21, v5
	s_waitcnt lgkmcnt(2)
	v_pk_mul_f32 v[4:5], v[6:7], v[4:5] op_sel_hi:[1,0]
	v_pk_fma_f32 v[18:19], v[6:7], v[96:97], v[4:5] op_sel:[0,0,1] op_sel_hi:[1,1,0] neg_lo:[0,0,1] neg_hi:[0,0,1]
	v_pk_fma_f32 v[4:5], v[6:7], v[96:97], v[4:5] op_sel:[0,0,1] op_sel_hi:[1,0,0]
	s_waitcnt vmcnt(3)
	v_mov_b32_e32 v4, v113
	v_mov_b32_e32 v19, v5
	v_pk_mul_f32 v[4:5], v[8:9], v[4:5] op_sel_hi:[1,0]
	s_waitcnt vmcnt(2)
	v_pk_fma_f32 v[6:7], v[8:9], v[112:113], v[4:5] op_sel:[0,0,1] op_sel_hi:[1,1,0] neg_lo:[0,0,1] neg_hi:[0,0,1]
	v_pk_fma_f32 v[4:5], v[8:9], v[112:113], v[4:5] op_sel:[0,0,1] op_sel_hi:[1,0,0]
	v_pk_add_f32 v[2:3], v[2:3], v[20:21]
	v_mov_b32_e32 v4, v111
	v_pk_add_f32 v[2:3], v[2:3], v[18:19]
	v_mov_b32_e32 v7, v5
	s_waitcnt lgkmcnt(1)
	v_pk_mul_f32 v[4:5], v[10:11], v[4:5] op_sel_hi:[1,0]
	v_pk_add_f32 v[2:3], v[2:3], v[6:7]
	v_pk_fma_f32 v[6:7], v[10:11], v[110:111], v[4:5] op_sel:[0,0,1] op_sel_hi:[1,1,0] neg_lo:[0,0,1] neg_hi:[0,0,1]
	v_pk_fma_f32 v[4:5], v[10:11], v[110:111], v[4:5] op_sel:[0,0,1] op_sel_hi:[1,0,0]
	v_mov_b32_e32 v4, v109
	v_mov_b32_e32 v7, v5
	v_pk_mul_f32 v[4:5], v[12:13], v[4:5] op_sel_hi:[1,0]
	v_pk_add_f32 v[2:3], v[2:3], v[6:7]
	v_pk_fma_f32 v[6:7], v[12:13], v[108:109], v[4:5] op_sel:[0,0,1] op_sel_hi:[1,1,0] neg_lo:[0,0,1] neg_hi:[0,0,1]
	v_pk_fma_f32 v[4:5], v[12:13], v[108:109], v[4:5] op_sel:[0,0,1] op_sel_hi:[1,0,0]
	v_mov_b32_e32 v4, v107
	v_mov_b32_e32 v7, v5
	s_waitcnt lgkmcnt(0)
	v_pk_mul_f32 v[4:5], v[14:15], v[4:5] op_sel_hi:[1,0]
	v_pk_add_f32 v[2:3], v[2:3], v[6:7]
	v_pk_fma_f32 v[6:7], v[14:15], v[106:107], v[4:5] op_sel:[0,0,1] op_sel_hi:[1,1,0] neg_lo:[0,0,1] neg_hi:[0,0,1]
	v_pk_fma_f32 v[4:5], v[14:15], v[106:107], v[4:5] op_sel:[0,0,1] op_sel_hi:[1,0,0]
	s_waitcnt vmcnt(1)
	v_mov_b32_e32 v4, v115
	v_mov_b32_e32 v7, v5
	v_pk_mul_f32 v[4:5], v[16:17], v[4:5] op_sel_hi:[1,0]
	v_pk_add_f32 v[2:3], v[2:3], v[6:7]
	s_waitcnt vmcnt(0)
	v_pk_fma_f32 v[6:7], v[16:17], v[114:115], v[4:5] op_sel:[0,0,1] op_sel_hi:[1,1,0] neg_lo:[0,0,1] neg_hi:[0,0,1]
	v_pk_fma_f32 v[4:5], v[16:17], v[114:115], v[4:5] op_sel:[0,0,1] op_sel_hi:[1,0,0]
	v_mov_b32_e32 v7, v5
	v_pk_add_f32 v[2:3], v[2:3], v[6:7]
	v_pk_add_f32 v[2:3], v[34:35], v[2:3] neg_lo:[0,1] neg_hi:[0,1]
	buffer_store_dword v3, off, s[0:3], 0 offset:92
	buffer_store_dword v2, off, s[0:3], 0 offset:88
	s_and_saveexec_b64 s[4:5], vcc
	s_cbranch_execz .LBB123_353
; %bb.352:
	buffer_load_dword v2, off, s[0:3], 0 offset:80
	buffer_load_dword v3, off, s[0:3], 0 offset:84
	v_mov_b32_e32 v1, 0
	buffer_store_dword v1, off, s[0:3], 0 offset:80
	buffer_store_dword v1, off, s[0:3], 0 offset:84
	s_waitcnt vmcnt(2)
	ds_write_b64 v195, v[2:3]
.LBB123_353:
	s_or_b64 exec, exec, s[4:5]
	v_mov_b32_e32 v230, 0
	s_waitcnt lgkmcnt(0)
	; wave barrier
	s_waitcnt lgkmcnt(0)
	ds_read2_b64 v[2:5], v230 offset0:71 offset1:72
	buffer_load_dword v86, off, s[0:3], 0 offset:80
	buffer_load_dword v87, off, s[0:3], 0 offset:84
	;; [unrolled: 1-line block ×16, first 2 shown]
	v_cmp_lt_u32_e32 vcc, 9, v0
	s_waitcnt vmcnt(12) lgkmcnt(0)
	v_mul_f32_e32 v6, v2, v94
	v_fmac_f32_e32 v6, v3, v1
	s_waitcnt vmcnt(10)
	v_mul_f32_e32 v7, v4, v105
	v_add_f32_e32 v6, 0, v6
	v_fmac_f32_e32 v7, v5, v88
	v_add_f32_e32 v10, v6, v7
	ds_read2_b64 v[6:9], v230 offset0:73 offset1:74
	v_mul_f32_e32 v3, v3, v94
	v_fma_f32 v1, v2, v1, -v3
	v_mul_f32_e32 v2, v5, v105
	v_add_f32_e32 v1, 0, v1
	s_waitcnt vmcnt(8) lgkmcnt(0)
	v_mul_f32_e32 v11, v6, v107
	v_fmac_f32_e32 v11, v7, v90
	v_add_f32_e32 v10, v10, v11
	s_waitcnt vmcnt(6)
	v_mul_f32_e32 v11, v8, v109
	v_fmac_f32_e32 v11, v9, v104
	v_add_f32_e32 v14, v10, v11
	ds_read2_b64 v[10:13], v230 offset0:75 offset1:76
	v_fma_f32 v2, v4, v88, -v2
	v_add_f32_e32 v1, v1, v2
	v_mul_f32_e32 v2, v7, v107
	v_fma_f32 v2, v6, v90, -v2
	s_waitcnt vmcnt(4) lgkmcnt(0)
	v_mul_f32_e32 v15, v10, v111
	v_fmac_f32_e32 v15, v11, v106
	v_add_f32_e32 v14, v14, v15
	s_waitcnt vmcnt(2)
	v_mul_f32_e32 v15, v12, v112
	v_fmac_f32_e32 v15, v13, v108
	v_add_f32_e32 v18, v14, v15
	ds_read2_b64 v[14:17], v230 offset0:77 offset1:78
	buffer_load_dword v114, off, s[0:3], 0 offset:144
	buffer_load_dword v115, off, s[0:3], 0 offset:148
	v_add_f32_e32 v1, v1, v2
	v_mul_f32_e32 v2, v9, v109
	v_fma_f32 v2, v8, v104, -v2
	s_waitcnt vmcnt(2) lgkmcnt(0)
	v_mul_f32_e32 v19, v14, v113
	v_fmac_f32_e32 v19, v15, v110
	v_add_f32_e32 v18, v18, v19
	v_add_f32_e32 v1, v1, v2
	v_mul_f32_e32 v2, v11, v111
	v_fma_f32 v2, v10, v106, -v2
	v_add_f32_e32 v1, v1, v2
	v_mul_f32_e32 v2, v13, v112
	v_fma_f32 v2, v12, v108, -v2
	;; [unrolled: 3-line block ×3, first 2 shown]
	v_add_f32_e32 v1, v1, v2
	s_waitcnt vmcnt(0)
	v_mul_f32_e32 v19, v16, v115
	v_fmac_f32_e32 v19, v17, v114
	v_add_f32_e32 v22, v18, v19
	ds_read2_b64 v[18:21], v230 offset0:79 offset1:80
	buffer_load_dword v116, off, s[0:3], 0 offset:152
	buffer_load_dword v117, off, s[0:3], 0 offset:156
	;; [unrolled: 1-line block ×4, first 2 shown]
	v_mul_f32_e32 v2, v17, v115
	v_fma_f32 v2, v16, v114, -v2
	v_add_f32_e32 v1, v1, v2
	s_waitcnt vmcnt(2) lgkmcnt(0)
	v_mul_f32_e32 v23, v18, v117
	v_fmac_f32_e32 v23, v19, v116
	v_add_f32_e32 v22, v22, v23
	s_waitcnt vmcnt(0)
	v_mul_f32_e32 v23, v20, v119
	v_fmac_f32_e32 v23, v21, v118
	v_add_f32_e32 v26, v22, v23
	ds_read2_b64 v[22:25], v230 offset0:81 offset1:82
	buffer_load_dword v120, off, s[0:3], 0 offset:168
	buffer_load_dword v121, off, s[0:3], 0 offset:172
	;; [unrolled: 1-line block ×4, first 2 shown]
	v_mul_f32_e32 v2, v19, v117
	v_fma_f32 v2, v18, v116, -v2
	v_add_f32_e32 v1, v1, v2
	v_mul_f32_e32 v2, v21, v119
	v_fma_f32 v2, v20, v118, -v2
	v_add_f32_e32 v1, v1, v2
	s_waitcnt vmcnt(2) lgkmcnt(0)
	v_mul_f32_e32 v27, v22, v121
	v_fmac_f32_e32 v27, v23, v120
	v_add_f32_e32 v26, v26, v27
	s_waitcnt vmcnt(0)
	v_mul_f32_e32 v27, v24, v123
	v_fmac_f32_e32 v27, v25, v122
	v_add_f32_e32 v30, v26, v27
	ds_read2_b64 v[26:29], v230 offset0:83 offset1:84
	buffer_load_dword v124, off, s[0:3], 0 offset:184
	buffer_load_dword v125, off, s[0:3], 0 offset:188
	;; [unrolled: 1-line block ×4, first 2 shown]
	v_mul_f32_e32 v2, v23, v121
	v_fma_f32 v2, v22, v120, -v2
	v_add_f32_e32 v1, v1, v2
	v_mul_f32_e32 v2, v25, v123
	v_fma_f32 v2, v24, v122, -v2
	v_add_f32_e32 v1, v1, v2
	s_waitcnt vmcnt(2) lgkmcnt(0)
	v_mul_f32_e32 v31, v26, v125
	v_fmac_f32_e32 v31, v27, v124
	v_add_f32_e32 v30, v30, v31
	s_waitcnt vmcnt(0)
	v_mul_f32_e32 v31, v28, v127
	v_fmac_f32_e32 v31, v29, v126
	v_add_f32_e32 v34, v30, v31
	ds_read2_b64 v[30:33], v230 offset0:85 offset1:86
	buffer_load_dword v128, off, s[0:3], 0 offset:200
	buffer_load_dword v129, off, s[0:3], 0 offset:204
	buffer_load_dword v130, off, s[0:3], 0 offset:208
	buffer_load_dword v131, off, s[0:3], 0 offset:212
	ds_read2_b64 v[38:41], v230 offset0:87 offset1:88
	buffer_load_dword v132, off, s[0:3], 0 offset:216
	buffer_load_dword v133, off, s[0:3], 0 offset:220
	buffer_load_dword v134, off, s[0:3], 0 offset:224
	buffer_load_dword v135, off, s[0:3], 0 offset:228
	ds_read2_b64 v[42:45], v230 offset0:89 offset1:90
	buffer_load_dword v136, off, s[0:3], 0 offset:232
	buffer_load_dword v137, off, s[0:3], 0 offset:236
	buffer_load_dword v138, off, s[0:3], 0 offset:240
	buffer_load_dword v139, off, s[0:3], 0 offset:244
	ds_read2_b64 v[46:49], v230 offset0:91 offset1:92
	buffer_load_dword v140, off, s[0:3], 0 offset:248
	buffer_load_dword v141, off, s[0:3], 0 offset:252
	buffer_load_dword v142, off, s[0:3], 0 offset:256
	buffer_load_dword v143, off, s[0:3], 0 offset:260
	ds_read2_b64 v[50:53], v230 offset0:93 offset1:94
	buffer_load_dword v144, off, s[0:3], 0 offset:264
	buffer_load_dword v145, off, s[0:3], 0 offset:268
	buffer_load_dword v146, off, s[0:3], 0 offset:272
	buffer_load_dword v147, off, s[0:3], 0 offset:276
	ds_read2_b64 v[54:57], v230 offset0:95 offset1:96
	buffer_load_dword v148, off, s[0:3], 0 offset:280
	buffer_load_dword v149, off, s[0:3], 0 offset:284
	buffer_load_dword v150, off, s[0:3], 0 offset:288
	buffer_load_dword v151, off, s[0:3], 0 offset:292
	ds_read2_b64 v[58:61], v230 offset0:97 offset1:98
	buffer_load_dword v152, off, s[0:3], 0 offset:296
	buffer_load_dword v153, off, s[0:3], 0 offset:300
	buffer_load_dword v154, off, s[0:3], 0 offset:304
	buffer_load_dword v155, off, s[0:3], 0 offset:308
	ds_read2_b64 v[62:65], v230 offset0:99 offset1:100
	buffer_load_dword v156, off, s[0:3], 0 offset:312
	buffer_load_dword v157, off, s[0:3], 0 offset:316
	buffer_load_dword v158, off, s[0:3], 0 offset:320
	buffer_load_dword v159, off, s[0:3], 0 offset:324
	ds_read2_b64 v[66:69], v230 offset0:101 offset1:102
	buffer_load_dword v160, off, s[0:3], 0 offset:328
	buffer_load_dword v161, off, s[0:3], 0 offset:332
	buffer_load_dword v162, off, s[0:3], 0 offset:336
	buffer_load_dword v163, off, s[0:3], 0 offset:340
	ds_read2_b64 v[70:73], v230 offset0:103 offset1:104
	buffer_load_dword v164, off, s[0:3], 0 offset:344
	buffer_load_dword v165, off, s[0:3], 0 offset:348
	buffer_load_dword v166, off, s[0:3], 0 offset:352
	buffer_load_dword v167, off, s[0:3], 0 offset:356
	ds_read2_b64 v[74:77], v230 offset0:105 offset1:106
	buffer_load_dword v168, off, s[0:3], 0 offset:360
	buffer_load_dword v169, off, s[0:3], 0 offset:364
	buffer_load_dword v170, off, s[0:3], 0 offset:368
	buffer_load_dword v171, off, s[0:3], 0 offset:372
	ds_read2_b64 v[78:81], v230 offset0:107 offset1:108
	buffer_load_dword v172, off, s[0:3], 0 offset:376
	buffer_load_dword v173, off, s[0:3], 0 offset:380
	buffer_load_dword v174, off, s[0:3], 0 offset:384
	buffer_load_dword v175, off, s[0:3], 0 offset:388
	ds_read2_b64 v[82:85], v230 offset0:109 offset1:110
	buffer_load_dword v176, off, s[0:3], 0 offset:392
	buffer_load_dword v177, off, s[0:3], 0 offset:396
	buffer_load_dword v231, off, s[0:3], 0 offset:400
	buffer_load_dword v232, off, s[0:3], 0 offset:404
	v_mul_f32_e32 v2, v27, v125
	v_fma_f32 v2, v26, v124, -v2
	v_add_f32_e32 v1, v1, v2
	v_mul_f32_e32 v2, v29, v127
	v_fma_f32 v2, v28, v126, -v2
	v_add_f32_e32 v1, v1, v2
	s_waitcnt vmcnt(50) lgkmcnt(12)
	v_mul_f32_e32 v35, v30, v129
	v_fmac_f32_e32 v35, v31, v128
	v_add_f32_e32 v34, v34, v35
	s_waitcnt vmcnt(48)
	v_mul_f32_e32 v35, v32, v131
	v_fmac_f32_e32 v35, v33, v130
	v_add_f32_e32 v34, v34, v35
	s_waitcnt vmcnt(46) lgkmcnt(11)
	v_mul_f32_e32 v35, v38, v133
	v_fmac_f32_e32 v35, v39, v132
	v_add_f32_e32 v34, v34, v35
	s_waitcnt vmcnt(44)
	v_mul_f32_e32 v35, v40, v135
	v_fmac_f32_e32 v35, v41, v134
	;; [unrolled: 8-line block ×12, first 2 shown]
	v_add_f32_e32 v34, v34, v35
	s_waitcnt vmcnt(2) lgkmcnt(0)
	v_mul_f32_e32 v35, v82, v177
	v_fmac_f32_e32 v35, v83, v176
	v_add_f32_e32 v89, v34, v35
	ds_read2_b64 v[34:37], v230 offset0:111 offset1:112
	buffer_load_dword v233, off, s[0:3], 0 offset:408
	buffer_load_dword v234, off, s[0:3], 0 offset:412
	buffer_load_dword v93, off, s[0:3], 0 offset:420
	buffer_load_dword v92, off, s[0:3], 0 offset:416
	buffer_load_dword v229, off, s[0:3], 0 offset:428
	buffer_load_dword v228, off, s[0:3], 0 offset:424
	buffer_load_dword v227, off, s[0:3], 0 offset:436
	buffer_load_dword v226, off, s[0:3], 0 offset:432
	buffer_load_dword v225, off, s[0:3], 0 offset:444
	buffer_load_dword v224, off, s[0:3], 0 offset:440
	buffer_load_dword v223, off, s[0:3], 0 offset:452
	buffer_load_dword v222, off, s[0:3], 0 offset:448
	buffer_load_dword v101, off, s[0:3], 0 offset:460
	buffer_load_dword v100, off, s[0:3], 0 offset:456
	buffer_load_dword v99, off, s[0:3], 0 offset:468
	buffer_load_dword v98, off, s[0:3], 0 offset:464
	buffer_load_dword v97, off, s[0:3], 0 offset:476
	buffer_load_dword v96, off, s[0:3], 0 offset:472
	v_mul_f32_e32 v2, v31, v129
	v_fma_f32 v2, v30, v128, -v2
	v_add_f32_e32 v1, v1, v2
	v_mul_f32_e32 v2, v33, v131
	v_fma_f32 v2, v32, v130, -v2
	v_add_f32_e32 v1, v1, v2
	;; [unrolled: 3-line block ×24, first 2 shown]
	v_mul_f32_e32 v2, v83, v177
	v_fma_f32 v2, v82, v176, -v2
	s_waitcnt vmcnt(15)
	v_mov_b32_e32 v18, v93
	v_mul_f32_e32 v91, v84, v232
	v_add_f32_e32 v88, v1, v2
	v_mul_f32_e32 v1, v85, v232
	s_waitcnt lgkmcnt(0)
	v_pk_mul_f32 v[18:19], v[36:37], v[18:19] op_sel_hi:[1,0]
	v_fmac_f32_e32 v91, v85, v231
	v_mul_f32_e32 v95, v34, v234
	v_fma_f32 v90, v84, v231, -v1
	v_mul_f32_e32 v1, v35, v234
	ds_read2_b64 v[2:5], v230 offset0:113 offset1:114
	ds_read2_b64 v[6:9], v230 offset0:115 offset1:116
	;; [unrolled: 1-line block ×3, first 2 shown]
	ds_read_b64 v[14:15], v230 offset:952
	s_waitcnt vmcnt(14)
	v_pk_fma_f32 v[20:21], v[36:37], v[92:93], v[18:19] op_sel:[0,0,1] op_sel_hi:[1,1,0] neg_lo:[0,0,1] neg_hi:[0,0,1]
	v_pk_fma_f32 v[18:19], v[36:37], v[92:93], v[18:19] op_sel:[0,0,1] op_sel_hi:[1,0,0]
	v_fmac_f32_e32 v95, v35, v233
	v_fma_f32 v94, v34, v233, -v1
	v_pk_add_f32 v[16:17], v[88:89], v[90:91]
	s_waitcnt vmcnt(13)
	v_mov_b32_e32 v18, v229
	v_pk_add_f32 v[16:17], v[16:17], v[94:95]
	v_mov_b32_e32 v21, v19
	s_waitcnt lgkmcnt(3)
	v_pk_mul_f32 v[18:19], v[2:3], v[18:19] op_sel_hi:[1,0]
	v_pk_add_f32 v[16:17], v[16:17], v[20:21]
	s_waitcnt vmcnt(12)
	v_pk_fma_f32 v[20:21], v[2:3], v[228:229], v[18:19] op_sel:[0,0,1] op_sel_hi:[1,1,0] neg_lo:[0,0,1] neg_hi:[0,0,1]
	v_pk_fma_f32 v[2:3], v[2:3], v[228:229], v[18:19] op_sel:[0,0,1] op_sel_hi:[1,0,0]
	v_mov_b32_e32 v21, v3
	v_pk_add_f32 v[2:3], v[16:17], v[20:21]
	s_waitcnt vmcnt(11)
	v_mov_b32_e32 v16, v227
	v_pk_mul_f32 v[16:17], v[4:5], v[16:17] op_sel_hi:[1,0]
	s_waitcnt vmcnt(10)
	v_pk_fma_f32 v[18:19], v[4:5], v[226:227], v[16:17] op_sel:[0,0,1] op_sel_hi:[1,1,0] neg_lo:[0,0,1] neg_hi:[0,0,1]
	v_pk_fma_f32 v[4:5], v[4:5], v[226:227], v[16:17] op_sel:[0,0,1] op_sel_hi:[1,0,0]
	s_waitcnt vmcnt(9)
	v_mov_b32_e32 v4, v225
	v_mov_b32_e32 v19, v5
	s_waitcnt lgkmcnt(2)
	v_pk_mul_f32 v[4:5], v[6:7], v[4:5] op_sel_hi:[1,0]
	s_waitcnt vmcnt(8)
	v_pk_fma_f32 v[16:17], v[6:7], v[224:225], v[4:5] op_sel:[0,0,1] op_sel_hi:[1,1,0] neg_lo:[0,0,1] neg_hi:[0,0,1]
	v_pk_fma_f32 v[4:5], v[6:7], v[224:225], v[4:5] op_sel:[0,0,1] op_sel_hi:[1,0,0]
	s_waitcnt vmcnt(7)
	v_mov_b32_e32 v4, v223
	v_mov_b32_e32 v17, v5
	v_pk_mul_f32 v[4:5], v[8:9], v[4:5] op_sel_hi:[1,0]
	s_waitcnt vmcnt(6)
	v_pk_fma_f32 v[6:7], v[8:9], v[222:223], v[4:5] op_sel:[0,0,1] op_sel_hi:[1,1,0] neg_lo:[0,0,1] neg_hi:[0,0,1]
	v_pk_fma_f32 v[4:5], v[8:9], v[222:223], v[4:5] op_sel:[0,0,1] op_sel_hi:[1,0,0]
	v_pk_add_f32 v[2:3], v[2:3], v[18:19]
	s_waitcnt vmcnt(5)
	v_mov_b32_e32 v4, v101
	v_pk_add_f32 v[2:3], v[2:3], v[16:17]
	v_mov_b32_e32 v7, v5
	s_waitcnt lgkmcnt(1)
	v_pk_mul_f32 v[4:5], v[10:11], v[4:5] op_sel_hi:[1,0]
	v_pk_add_f32 v[2:3], v[2:3], v[6:7]
	s_waitcnt vmcnt(4)
	v_pk_fma_f32 v[6:7], v[10:11], v[100:101], v[4:5] op_sel:[0,0,1] op_sel_hi:[1,1,0] neg_lo:[0,0,1] neg_hi:[0,0,1]
	v_pk_fma_f32 v[4:5], v[10:11], v[100:101], v[4:5] op_sel:[0,0,1] op_sel_hi:[1,0,0]
	s_waitcnt vmcnt(3)
	v_mov_b32_e32 v4, v99
	v_mov_b32_e32 v7, v5
	v_pk_mul_f32 v[4:5], v[12:13], v[4:5] op_sel_hi:[1,0]
	v_pk_add_f32 v[2:3], v[2:3], v[6:7]
	s_waitcnt vmcnt(2)
	v_pk_fma_f32 v[6:7], v[12:13], v[98:99], v[4:5] op_sel:[0,0,1] op_sel_hi:[1,1,0] neg_lo:[0,0,1] neg_hi:[0,0,1]
	v_pk_fma_f32 v[4:5], v[12:13], v[98:99], v[4:5] op_sel:[0,0,1] op_sel_hi:[1,0,0]
	s_waitcnt vmcnt(1)
	v_mov_b32_e32 v4, v97
	v_mov_b32_e32 v7, v5
	s_waitcnt lgkmcnt(0)
	v_pk_mul_f32 v[4:5], v[14:15], v[4:5] op_sel_hi:[1,0]
	v_pk_add_f32 v[2:3], v[2:3], v[6:7]
	s_waitcnt vmcnt(0)
	v_pk_fma_f32 v[6:7], v[14:15], v[96:97], v[4:5] op_sel:[0,0,1] op_sel_hi:[1,1,0] neg_lo:[0,0,1] neg_hi:[0,0,1]
	v_pk_fma_f32 v[4:5], v[14:15], v[96:97], v[4:5] op_sel:[0,0,1] op_sel_hi:[1,0,0]
	v_mov_b32_e32 v7, v5
	v_pk_add_f32 v[2:3], v[2:3], v[6:7]
	v_pk_add_f32 v[2:3], v[86:87], v[2:3] neg_lo:[0,1] neg_hi:[0,1]
	buffer_store_dword v3, off, s[0:3], 0 offset:84
	buffer_store_dword v2, off, s[0:3], 0 offset:80
	s_and_saveexec_b64 s[4:5], vcc
	s_cbranch_execz .LBB123_355
; %bb.354:
	buffer_load_dword v2, off, s[0:3], 0 offset:72
	buffer_load_dword v3, off, s[0:3], 0 offset:76
	s_waitcnt vmcnt(0)
	ds_write_b64 v195, v[2:3]
	buffer_store_dword v230, off, s[0:3], 0 offset:72
	buffer_store_dword v230, off, s[0:3], 0 offset:76
.LBB123_355:
	s_or_b64 exec, exec, s[4:5]
	s_waitcnt lgkmcnt(0)
	; wave barrier
	s_waitcnt lgkmcnt(0)
	buffer_load_dword v40, off, s[0:3], 0 offset:84
	buffer_load_dword v39, off, s[0:3], 0 offset:92
	;; [unrolled: 1-line block ×32, first 2 shown]
	ds_read_b128 v[22:25], v230 offset:560
	ds_read_b128 v[18:21], v230 offset:576
	;; [unrolled: 1-line block ×6, first 2 shown]
	buffer_load_dword v142, off, s[0:3], 0 offset:200
	buffer_load_dword v143, off, s[0:3], 0 offset:204
	;; [unrolled: 1-line block ×20, first 2 shown]
	v_cmp_lt_u32_e32 vcc, 8, v0
	s_waitcnt vmcnt(51) lgkmcnt(5)
	v_mul_f32_e32 v26, v22, v40
	s_waitcnt vmcnt(50)
	v_mul_f32_e32 v27, v24, v39
	s_waitcnt vmcnt(49) lgkmcnt(4)
	v_mul_f32_e32 v29, v20, v38
	s_waitcnt vmcnt(48) lgkmcnt(3)
	v_mul_f32_e32 v30, v14, v37
	s_waitcnt vmcnt(47)
	v_mul_f32_e32 v31, v16, v36
	s_waitcnt vmcnt(46) lgkmcnt(2)
	v_mul_f32_e32 v32, v10, v1
	s_waitcnt vmcnt(45)
	v_mul_f32_e32 v28, v18, v41
	s_waitcnt vmcnt(44)
	v_mul_f32_e32 v33, v12, v42
	s_waitcnt vmcnt(43) lgkmcnt(1)
	v_mul_f32_e32 v47, v6, v43
	s_waitcnt vmcnt(42)
	v_mul_f32_e32 v48, v8, v44
	s_waitcnt vmcnt(41) lgkmcnt(0)
	v_mul_f32_e32 v49, v2, v45
	s_waitcnt vmcnt(40)
	v_mul_f32_e32 v50, v4, v46
	s_waitcnt vmcnt(39)
	v_fmac_f32_e32 v28, v19, v108
	s_waitcnt vmcnt(38)
	v_fmac_f32_e32 v27, v25, v110
	;; [unrolled: 2-line block ×3, first 2 shown]
	v_add_f32_e32 v26, 0, v26
	v_add_f32_e32 v26, v26, v27
	;; [unrolled: 1-line block ×3, first 2 shown]
	s_waitcnt vmcnt(33)
	v_fmac_f32_e32 v29, v21, v130
	v_fmac_f32_e32 v30, v15, v129
	v_add_f32_e32 v26, v26, v29
	v_fmac_f32_e32 v31, v17, v128
	v_add_f32_e32 v26, v26, v30
	;; [unrolled: 2-line block ×3, first 2 shown]
	s_waitcnt vmcnt(29)
	v_fmac_f32_e32 v33, v13, v134
	v_add_f32_e32 v26, v26, v32
	v_fmac_f32_e32 v47, v7, v133
	v_add_f32_e32 v26, v26, v33
	;; [unrolled: 2-line block ×4, first 2 shown]
	v_add_f32_e32 v30, v26, v49
	ds_read_b128 v[26:29], v230 offset:656
	buffer_load_dword v162, off, s[0:3], 0 offset:280
	buffer_load_dword v163, off, s[0:3], 0 offset:284
	;; [unrolled: 1-line block ×4, first 2 shown]
	s_waitcnt vmcnt(28)
	v_fmac_f32_e32 v50, v5, v139
	v_add_f32_e32 v47, v30, v50
	ds_read_b128 v[30:33], v230 offset:672
	buffer_load_dword v166, off, s[0:3], 0 offset:296
	buffer_load_dword v167, off, s[0:3], 0 offset:300
	;; [unrolled: 1-line block ×12, first 2 shown]
	s_waitcnt vmcnt(39) lgkmcnt(1)
	v_mul_f32_e32 v48, v26, v140
	v_fmac_f32_e32 v48, v27, v138
	buffer_load_dword v222, off, s[0:3], 0 offset:344
	buffer_load_dword v223, off, s[0:3], 0 offset:348
	v_add_f32_e32 v47, v47, v48
	s_waitcnt vmcnt(40)
	v_mul_f32_e32 v48, v28, v141
	v_fmac_f32_e32 v48, v29, v137
	buffer_load_dword v224, off, s[0:3], 0 offset:352
	buffer_load_dword v225, off, s[0:3], 0 offset:356
	v_add_f32_e32 v47, v47, v48
	s_waitcnt lgkmcnt(0)
	v_mul_f32_e32 v48, v30, v136
	v_fmac_f32_e32 v48, v31, v135
	v_add_f32_e32 v47, v47, v48
	ds_read_b128 v[48:51], v230 offset:688
	buffer_load_dword v226, off, s[0:3], 0 offset:360
	buffer_load_dword v227, off, s[0:3], 0 offset:364
	s_waitcnt vmcnt(40)
	v_mul_f32_e32 v52, v32, v143
	v_fmac_f32_e32 v52, v33, v142
	v_add_f32_e32 v47, v47, v52
	ds_read_b128 v[52:55], v230 offset:704
	buffer_load_dword v228, off, s[0:3], 0 offset:368
	buffer_load_dword v229, off, s[0:3], 0 offset:372
	;; [unrolled: 1-line block ×8, first 2 shown]
	s_waitcnt vmcnt(46) lgkmcnt(1)
	v_mul_f32_e32 v56, v48, v145
	v_fmac_f32_e32 v56, v49, v144
	v_add_f32_e32 v47, v47, v56
	s_waitcnt vmcnt(44)
	v_mul_f32_e32 v56, v50, v147
	v_fmac_f32_e32 v56, v51, v146
	v_add_f32_e32 v47, v47, v56
	s_waitcnt vmcnt(42) lgkmcnt(0)
	v_mul_f32_e32 v56, v52, v149
	v_fmac_f32_e32 v56, v53, v148
	v_add_f32_e32 v47, v47, v56
	buffer_load_dword v237, off, s[0:3], 0 offset:400
	buffer_load_dword v238, off, s[0:3], 0 offset:404
	;; [unrolled: 1-line block ×4, first 2 shown]
	ds_read_b128 v[56:59], v230 offset:720
	s_waitcnt vmcnt(44)
	v_mul_f32_e32 v60, v54, v151
	v_fmac_f32_e32 v60, v55, v150
	v_add_f32_e32 v47, v47, v60
	ds_read_b128 v[60:63], v230 offset:736
	s_waitcnt vmcnt(42) lgkmcnt(1)
	v_mul_f32_e32 v64, v56, v153
	v_fmac_f32_e32 v64, v57, v152
	v_add_f32_e32 v47, v47, v64
	s_waitcnt vmcnt(40)
	v_mul_f32_e32 v64, v58, v155
	v_fmac_f32_e32 v64, v59, v154
	v_add_f32_e32 v47, v47, v64
	s_waitcnt vmcnt(38) lgkmcnt(0)
	v_mul_f32_e32 v64, v60, v157
	v_fmac_f32_e32 v64, v61, v156
	v_add_f32_e32 v47, v47, v64
	ds_read_b128 v[64:67], v230 offset:752
	s_waitcnt vmcnt(36)
	v_mul_f32_e32 v68, v62, v159
	v_fmac_f32_e32 v68, v63, v158
	v_add_f32_e32 v47, v47, v68
	ds_read_b128 v[68:71], v230 offset:768
	s_waitcnt vmcnt(34) lgkmcnt(1)
	v_mul_f32_e32 v72, v64, v161
	v_fmac_f32_e32 v72, v65, v160
	v_add_f32_e32 v47, v47, v72
	v_mul_f32_e32 v23, v23, v40
	v_fma_f32 v22, v22, v126, -v23
	v_mul_f32_e32 v23, v25, v39
	v_add_f32_e32 v22, 0, v22
	v_fma_f32 v23, v24, v110, -v23
	v_mul_f32_e32 v19, v19, v41
	v_add_f32_e32 v22, v22, v23
	;; [unrolled: 3-line block ×5, first 2 shown]
	s_waitcnt vmcnt(32)
	v_mul_f32_e32 v72, v66, v163
	v_fmac_f32_e32 v72, v67, v162
	v_add_f32_e32 v47, v47, v72
	s_waitcnt vmcnt(30) lgkmcnt(0)
	v_mul_f32_e32 v72, v68, v165
	v_fmac_f32_e32 v72, v69, v164
	v_add_f32_e32 v47, v47, v72
	ds_read_b128 v[72:75], v230 offset:784
	s_waitcnt vmcnt(28)
	v_mul_f32_e32 v76, v70, v167
	v_fmac_f32_e32 v76, v71, v166
	v_add_f32_e32 v47, v47, v76
	ds_read_b128 v[76:79], v230 offset:800
	s_waitcnt vmcnt(26) lgkmcnt(1)
	v_mul_f32_e32 v80, v72, v169
	v_fmac_f32_e32 v80, v73, v168
	v_add_f32_e32 v47, v47, v80
	s_waitcnt vmcnt(24)
	v_mul_f32_e32 v80, v74, v171
	v_fmac_f32_e32 v80, v75, v170
	v_add_f32_e32 v47, v47, v80
	s_waitcnt vmcnt(22) lgkmcnt(0)
	v_mul_f32_e32 v80, v76, v173
	v_fmac_f32_e32 v80, v77, v172
	v_add_f32_e32 v47, v47, v80
	ds_read_b128 v[80:83], v230 offset:816
	s_waitcnt vmcnt(20)
	v_mul_f32_e32 v84, v78, v175
	v_fmac_f32_e32 v84, v79, v174
	v_add_f32_e32 v47, v47, v84
	ds_read_b128 v[84:87], v230 offset:832
	s_waitcnt vmcnt(18) lgkmcnt(1)
	v_mul_f32_e32 v88, v80, v177
	v_fmac_f32_e32 v88, v81, v176
	v_add_f32_e32 v47, v47, v88
	s_waitcnt vmcnt(16)
	v_mul_f32_e32 v88, v82, v223
	v_fmac_f32_e32 v88, v83, v222
	v_add_f32_e32 v47, v47, v88
	s_waitcnt vmcnt(14) lgkmcnt(0)
	v_mul_f32_e32 v88, v84, v225
	v_fmac_f32_e32 v88, v85, v224
	v_add_f32_e32 v47, v47, v88
	ds_read_b128 v[88:91], v230 offset:848
	s_waitcnt vmcnt(12)
	v_mul_f32_e32 v92, v86, v227
	v_fmac_f32_e32 v92, v87, v226
	v_add_f32_e32 v47, v47, v92
	ds_read_b128 v[92:95], v230 offset:864
	buffer_load_dword v101, off, s[0:3], 0 offset:420
	buffer_load_dword v100, off, s[0:3], 0 offset:416
	s_waitcnt vmcnt(12) lgkmcnt(1)
	v_mul_f32_e32 v96, v88, v229
	v_fmac_f32_e32 v96, v89, v228
	v_add_f32_e32 v47, v47, v96
	s_waitcnt vmcnt(10)
	v_mul_f32_e32 v96, v90, v232
	v_fmac_f32_e32 v96, v91, v231
	v_add_f32_e32 v47, v47, v96
	s_waitcnt vmcnt(8) lgkmcnt(0)
	v_mul_f32_e32 v96, v92, v234
	v_fmac_f32_e32 v96, v93, v233
	s_waitcnt vmcnt(6)
	v_mul_f32_e32 v104, v94, v236
	v_add_f32_e32 v47, v47, v96
	v_fmac_f32_e32 v104, v95, v235
	ds_read_b128 v[96:99], v230 offset:880
	v_add_f32_e32 v47, v47, v104
	ds_read_b128 v[104:107], v230 offset:896
	buffer_load_dword v113, off, s[0:3], 0 offset:452
	buffer_load_dword v112, off, s[0:3], 0 offset:448
	;; [unrolled: 1-line block ×14, first 2 shown]
	v_fma_f32 v15, v16, v128, -v15
	v_mul_f32_e32 v1, v11, v1
	v_add_f32_e32 v14, v14, v15
	v_fma_f32 v1, v10, v127, -v1
	v_mul_f32_e32 v10, v13, v42
	v_add_f32_e32 v1, v14, v1
	;; [unrolled: 3-line block ×3, first 2 shown]
	v_fma_f32 v6, v6, v133, -v7
	v_add_f32_e32 v1, v1, v6
	v_mul_f32_e32 v6, v9, v44
	v_fma_f32 v6, v8, v132, -v6
	v_mul_f32_e32 v3, v3, v45
	v_add_f32_e32 v1, v1, v6
	v_fma_f32 v2, v2, v131, -v3
	v_add_f32_e32 v1, v1, v2
	v_mul_f32_e32 v2, v5, v46
	v_fma_f32 v2, v4, v139, -v2
	v_add_f32_e32 v1, v1, v2
	v_mul_f32_e32 v2, v27, v140
	;; [unrolled: 3-line block ×29, first 2 shown]
	v_fma_f32 v2, v94, v235, -v2
	s_waitcnt vmcnt(15)
	v_mov_b32_e32 v16, v101
	s_waitcnt lgkmcnt(1)
	v_mul_f32_e32 v109, v96, v238
	v_add_f32_e32 v46, v1, v2
	v_mul_f32_e32 v1, v97, v238
	s_waitcnt lgkmcnt(0)
	v_pk_mul_f32 v[16:17], v[104:105], v[16:17] op_sel_hi:[1,0]
	v_fmac_f32_e32 v109, v97, v237
	v_mul_f32_e32 v111, v98, v240
	v_fma_f32 v108, v96, v237, -v1
	v_mul_f32_e32 v1, v99, v240
	s_waitcnt vmcnt(14)
	v_pk_fma_f32 v[18:19], v[104:105], v[100:101], v[16:17] op_sel:[0,0,1] op_sel_hi:[1,1,0] neg_lo:[0,0,1] neg_hi:[0,0,1]
	v_pk_fma_f32 v[16:17], v[104:105], v[100:101], v[16:17] op_sel:[0,0,1] op_sel_hi:[1,0,0]
	v_fmac_f32_e32 v111, v99, v239
	v_fma_f32 v110, v98, v239, -v1
	v_pk_add_f32 v[14:15], v[46:47], v[108:109]
	s_waitcnt vmcnt(7)
	v_mov_b32_e32 v16, v119
	ds_read_b128 v[2:5], v230 offset:912
	ds_read_b128 v[6:9], v230 offset:928
	;; [unrolled: 1-line block ×3, first 2 shown]
	v_pk_add_f32 v[14:15], v[14:15], v[110:111]
	v_mov_b32_e32 v19, v17
	v_pk_mul_f32 v[16:17], v[106:107], v[16:17] op_sel_hi:[1,0]
	v_pk_add_f32 v[14:15], v[14:15], v[18:19]
	s_waitcnt vmcnt(6)
	v_pk_fma_f32 v[18:19], v[106:107], v[118:119], v[16:17] op_sel:[0,0,1] op_sel_hi:[1,1,0] neg_lo:[0,0,1] neg_hi:[0,0,1]
	v_pk_fma_f32 v[16:17], v[106:107], v[118:119], v[16:17] op_sel:[0,0,1] op_sel_hi:[1,0,0]
	v_mov_b32_e32 v16, v117
	v_mov_b32_e32 v19, v17
	s_waitcnt lgkmcnt(2)
	v_pk_mul_f32 v[16:17], v[2:3], v[16:17] op_sel_hi:[1,0]
	v_pk_add_f32 v[14:15], v[14:15], v[18:19]
	v_pk_fma_f32 v[18:19], v[2:3], v[116:117], v[16:17] op_sel:[0,0,1] op_sel_hi:[1,1,0] neg_lo:[0,0,1] neg_hi:[0,0,1]
	v_pk_fma_f32 v[2:3], v[2:3], v[116:117], v[16:17] op_sel:[0,0,1] op_sel_hi:[1,0,0]
	v_mov_b32_e32 v19, v3
	v_pk_add_f32 v[2:3], v[14:15], v[18:19]
	v_mov_b32_e32 v14, v115
	v_pk_mul_f32 v[14:15], v[4:5], v[14:15] op_sel_hi:[1,0]
	v_pk_fma_f32 v[16:17], v[4:5], v[114:115], v[14:15] op_sel:[0,0,1] op_sel_hi:[1,1,0] neg_lo:[0,0,1] neg_hi:[0,0,1]
	v_pk_fma_f32 v[4:5], v[4:5], v[114:115], v[14:15] op_sel:[0,0,1] op_sel_hi:[1,0,0]
	v_mov_b32_e32 v4, v113
	v_mov_b32_e32 v17, v5
	s_waitcnt lgkmcnt(1)
	v_pk_mul_f32 v[4:5], v[6:7], v[4:5] op_sel_hi:[1,0]
	v_pk_fma_f32 v[14:15], v[6:7], v[112:113], v[4:5] op_sel:[0,0,1] op_sel_hi:[1,1,0] neg_lo:[0,0,1] neg_hi:[0,0,1]
	v_pk_fma_f32 v[4:5], v[6:7], v[112:113], v[4:5] op_sel:[0,0,1] op_sel_hi:[1,0,0]
	s_waitcnt vmcnt(1)
	v_mov_b32_e32 v4, v125
	v_mov_b32_e32 v15, v5
	v_pk_mul_f32 v[4:5], v[8:9], v[4:5] op_sel_hi:[1,0]
	s_waitcnt vmcnt(0)
	v_pk_fma_f32 v[6:7], v[8:9], v[124:125], v[4:5] op_sel:[0,0,1] op_sel_hi:[1,1,0] neg_lo:[0,0,1] neg_hi:[0,0,1]
	v_pk_fma_f32 v[4:5], v[8:9], v[124:125], v[4:5] op_sel:[0,0,1] op_sel_hi:[1,0,0]
	v_pk_add_f32 v[2:3], v[2:3], v[16:17]
	v_mov_b32_e32 v4, v123
	v_pk_add_f32 v[2:3], v[2:3], v[14:15]
	v_mov_b32_e32 v7, v5
	s_waitcnt lgkmcnt(0)
	v_pk_mul_f32 v[4:5], v[10:11], v[4:5] op_sel_hi:[1,0]
	v_pk_add_f32 v[2:3], v[2:3], v[6:7]
	v_pk_fma_f32 v[6:7], v[10:11], v[122:123], v[4:5] op_sel:[0,0,1] op_sel_hi:[1,1,0] neg_lo:[0,0,1] neg_hi:[0,0,1]
	v_pk_fma_f32 v[4:5], v[10:11], v[122:123], v[4:5] op_sel:[0,0,1] op_sel_hi:[1,0,0]
	v_mov_b32_e32 v4, v121
	v_mov_b32_e32 v7, v5
	v_pk_mul_f32 v[4:5], v[12:13], v[4:5] op_sel_hi:[1,0]
	v_pk_add_f32 v[2:3], v[2:3], v[6:7]
	v_pk_fma_f32 v[6:7], v[12:13], v[120:121], v[4:5] op_sel:[0,0,1] op_sel_hi:[1,1,0] neg_lo:[0,0,1] neg_hi:[0,0,1]
	v_pk_fma_f32 v[4:5], v[12:13], v[120:121], v[4:5] op_sel:[0,0,1] op_sel_hi:[1,0,0]
	v_mov_b32_e32 v7, v5
	v_pk_add_f32 v[2:3], v[2:3], v[6:7]
	v_pk_add_f32 v[2:3], v[34:35], v[2:3] neg_lo:[0,1] neg_hi:[0,1]
	buffer_store_dword v3, off, s[0:3], 0 offset:76
	buffer_store_dword v2, off, s[0:3], 0 offset:72
	s_and_saveexec_b64 s[4:5], vcc
	s_cbranch_execz .LBB123_357
; %bb.356:
	buffer_load_dword v2, off, s[0:3], 0 offset:64
	buffer_load_dword v3, off, s[0:3], 0 offset:68
	v_mov_b32_e32 v1, 0
	buffer_store_dword v1, off, s[0:3], 0 offset:64
	buffer_store_dword v1, off, s[0:3], 0 offset:68
	s_waitcnt vmcnt(2)
	ds_write_b64 v195, v[2:3]
.LBB123_357:
	s_or_b64 exec, exec, s[4:5]
	s_waitcnt lgkmcnt(0)
	; wave barrier
	s_waitcnt lgkmcnt(0)
	buffer_load_dword v45, off, s[0:3], 0 offset:76
	buffer_load_dword v44, off, s[0:3], 0 offset:84
	;; [unrolled: 1-line block ×32, first 2 shown]
	v_mov_b32_e32 v1, 0
	buffer_load_dword v143, off, s[0:3], 0 offset:192
	buffer_load_dword v144, off, s[0:3], 0 offset:196
	;; [unrolled: 1-line block ×16, first 2 shown]
	ds_read2_b64 v[22:25], v1 offset0:69 offset1:70
	ds_read2_b64 v[18:21], v1 offset0:71 offset1:72
	ds_read2_b64 v[14:17], v1 offset0:73 offset1:74
	ds_read2_b64 v[10:13], v1 offset0:75 offset1:76
	ds_read2_b64 v[6:9], v1 offset0:77 offset1:78
	ds_read2_b64 v[2:5], v1 offset0:79 offset1:80
	buffer_load_dword v159, off, s[0:3], 0 offset:256
	buffer_load_dword v160, off, s[0:3], 0 offset:260
	v_cmp_lt_u32_e32 vcc, 7, v0
	s_waitcnt vmcnt(49) lgkmcnt(5)
	v_mul_f32_e32 v26, v22, v45
	s_waitcnt vmcnt(48)
	v_mul_f32_e32 v27, v24, v44
	s_waitcnt vmcnt(47) lgkmcnt(4)
	v_mul_f32_e32 v29, v20, v43
	s_waitcnt vmcnt(46) lgkmcnt(3)
	v_mul_f32_e32 v30, v14, v42
	s_waitcnt vmcnt(45)
	v_mul_f32_e32 v31, v16, v41
	s_waitcnt vmcnt(44) lgkmcnt(2)
	v_mul_f32_e32 v32, v10, v40
	s_waitcnt vmcnt(43)
	v_mul_f32_e32 v28, v18, v46
	s_waitcnt vmcnt(42)
	v_mul_f32_e32 v33, v12, v47
	s_waitcnt vmcnt(41) lgkmcnt(1)
	v_mul_f32_e32 v34, v6, v48
	s_waitcnt vmcnt(40)
	v_mul_f32_e32 v35, v8, v49
	s_waitcnt vmcnt(39) lgkmcnt(0)
	v_mul_f32_e32 v36, v2, v50
	s_waitcnt vmcnt(38)
	v_mul_f32_e32 v37, v4, v51
	s_waitcnt vmcnt(37)
	v_fmac_f32_e32 v28, v19, v57
	s_waitcnt vmcnt(36)
	v_fmac_f32_e32 v27, v25, v60
	s_waitcnt vmcnt(35)
	v_fmac_f32_e32 v26, v23, v100
	v_add_f32_e32 v26, 0, v26
	v_add_f32_e32 v26, v26, v27
	;; [unrolled: 1-line block ×3, first 2 shown]
	s_waitcnt vmcnt(31)
	v_fmac_f32_e32 v29, v21, v62
	v_fmac_f32_e32 v30, v15, v59
	v_add_f32_e32 v26, v26, v29
	v_fmac_f32_e32 v31, v17, v56
	v_add_f32_e32 v26, v26, v30
	;; [unrolled: 2-line block ×3, first 2 shown]
	s_waitcnt vmcnt(27)
	v_fmac_f32_e32 v33, v13, v58
	v_add_f32_e32 v26, v26, v32
	v_fmac_f32_e32 v34, v7, v55
	v_add_f32_e32 v26, v26, v33
	;; [unrolled: 2-line block ×4, first 2 shown]
	s_waitcnt vmcnt(22)
	v_fmac_f32_e32 v37, v5, v140
	v_add_f32_e32 v26, v26, v36
	v_add_f32_e32 v34, v26, v37
	ds_read2_b64 v[26:29], v1 offset0:81 offset1:82
	buffer_load_dword v161, off, s[0:3], 0 offset:264
	buffer_load_dword v162, off, s[0:3], 0 offset:268
	ds_read2_b64 v[30:33], v1 offset0:83 offset1:84
	buffer_load_dword v163, off, s[0:3], 0 offset:272
	buffer_load_dword v164, off, s[0:3], 0 offset:276
	;; [unrolled: 1-line block ×14, first 2 shown]
	s_waitcnt vmcnt(37) lgkmcnt(1)
	v_mul_f32_e32 v35, v26, v141
	v_fmac_f32_e32 v35, v27, v139
	v_add_f32_e32 v34, v34, v35
	s_waitcnt vmcnt(36)
	v_mul_f32_e32 v35, v28, v142
	v_fmac_f32_e32 v35, v29, v138
	v_add_f32_e32 v34, v34, v35
	s_waitcnt lgkmcnt(0)
	v_mul_f32_e32 v35, v30, v120
	v_fmac_f32_e32 v35, v31, v61
	v_add_f32_e32 v63, v34, v35
	buffer_load_dword v177, off, s[0:3], 0 offset:328
	buffer_load_dword v222, off, s[0:3], 0 offset:332
	ds_read2_b64 v[34:37], v1 offset0:85 offset1:86
	s_waitcnt vmcnt(34)
	v_mul_f32_e32 v64, v32, v144
	v_fmac_f32_e32 v64, v33, v143
	buffer_load_dword v223, off, s[0:3], 0 offset:336
	buffer_load_dword v224, off, s[0:3], 0 offset:340
	v_add_f32_e32 v63, v63, v64
	buffer_load_dword v225, off, s[0:3], 0 offset:344
	buffer_load_dword v226, off, s[0:3], 0 offset:348
	ds_read2_b64 v[64:67], v1 offset0:87 offset1:88
	s_waitcnt vmcnt(36) lgkmcnt(1)
	v_mul_f32_e32 v68, v34, v146
	v_fmac_f32_e32 v68, v35, v145
	v_add_f32_e32 v63, v63, v68
	s_waitcnt vmcnt(34)
	v_mul_f32_e32 v68, v36, v148
	v_fmac_f32_e32 v68, v37, v147
	v_add_f32_e32 v63, v63, v68
	s_waitcnt vmcnt(32) lgkmcnt(0)
	v_mul_f32_e32 v68, v64, v150
	v_fmac_f32_e32 v68, v65, v149
	buffer_load_dword v227, off, s[0:3], 0 offset:352
	buffer_load_dword v228, off, s[0:3], 0 offset:356
	;; [unrolled: 1-line block ×10, first 2 shown]
	v_add_f32_e32 v63, v63, v68
	buffer_load_dword v237, off, s[0:3], 0 offset:392
	buffer_load_dword v238, off, s[0:3], 0 offset:396
	;; [unrolled: 1-line block ×6, first 2 shown]
	ds_read2_b64 v[68:71], v1 offset0:89 offset1:90
	s_waitcnt vmcnt(46)
	v_mul_f32_e32 v72, v66, v152
	v_fmac_f32_e32 v72, v67, v151
	v_add_f32_e32 v63, v63, v72
	ds_read2_b64 v[72:75], v1 offset0:91 offset1:92
	s_waitcnt vmcnt(44) lgkmcnt(1)
	v_mul_f32_e32 v76, v68, v154
	v_fmac_f32_e32 v76, v69, v153
	v_add_f32_e32 v63, v63, v76
	s_waitcnt vmcnt(42)
	v_mul_f32_e32 v76, v70, v156
	v_fmac_f32_e32 v76, v71, v155
	v_add_f32_e32 v63, v63, v76
	s_waitcnt vmcnt(40) lgkmcnt(0)
	v_mul_f32_e32 v76, v72, v158
	v_fmac_f32_e32 v76, v73, v157
	v_add_f32_e32 v63, v63, v76
	ds_read2_b64 v[76:79], v1 offset0:93 offset1:94
	s_waitcnt vmcnt(38)
	v_mul_f32_e32 v80, v74, v160
	v_fmac_f32_e32 v80, v75, v159
	v_add_f32_e32 v63, v63, v80
	ds_read2_b64 v[80:83], v1 offset0:95 offset1:96
	ds_read2_b64 v[104:107], v1 offset0:105 offset1:106
	;; [unrolled: 1-line block ×5, first 2 shown]
	v_mul_f32_e32 v23, v23, v45
	v_fma_f32 v22, v22, v100, -v23
	v_mul_f32_e32 v23, v25, v44
	v_add_f32_e32 v22, 0, v22
	v_fma_f32 v23, v24, v60, -v23
	v_mul_f32_e32 v19, v19, v46
	v_add_f32_e32 v22, v22, v23
	;; [unrolled: 3-line block ×5, first 2 shown]
	s_waitcnt vmcnt(36) lgkmcnt(5)
	v_mul_f32_e32 v84, v76, v162
	v_fmac_f32_e32 v84, v77, v161
	v_add_f32_e32 v63, v63, v84
	s_waitcnt vmcnt(34)
	v_mul_f32_e32 v84, v78, v164
	v_fmac_f32_e32 v84, v79, v163
	v_add_f32_e32 v63, v63, v84
	s_waitcnt vmcnt(32) lgkmcnt(4)
	v_mul_f32_e32 v84, v80, v166
	v_fmac_f32_e32 v84, v81, v165
	v_add_f32_e32 v63, v63, v84
	ds_read2_b64 v[84:87], v1 offset0:97 offset1:98
	s_waitcnt vmcnt(30)
	v_mul_f32_e32 v88, v82, v168
	v_fmac_f32_e32 v88, v83, v167
	v_add_f32_e32 v63, v63, v88
	ds_read2_b64 v[88:91], v1 offset0:99 offset1:100
	s_waitcnt vmcnt(28) lgkmcnt(1)
	v_mul_f32_e32 v92, v84, v170
	v_fmac_f32_e32 v92, v85, v169
	v_add_f32_e32 v63, v63, v92
	s_waitcnt vmcnt(26)
	v_mul_f32_e32 v92, v86, v172
	v_fmac_f32_e32 v92, v87, v171
	v_add_f32_e32 v63, v63, v92
	s_waitcnt vmcnt(24) lgkmcnt(0)
	v_mul_f32_e32 v92, v88, v174
	v_fmac_f32_e32 v92, v89, v173
	s_waitcnt vmcnt(22)
	v_mul_f32_e32 v96, v90, v176
	v_add_f32_e32 v63, v63, v92
	v_fmac_f32_e32 v96, v91, v175
	ds_read2_b64 v[92:95], v1 offset0:101 offset1:102
	v_add_f32_e32 v63, v63, v96
	ds_read2_b64 v[96:99], v1 offset0:103 offset1:104
	buffer_load_dword v123, off, s[0:3], 0 offset:444
	buffer_load_dword v122, off, s[0:3], 0 offset:440
	buffer_load_dword v125, off, s[0:3], 0 offset:436
	buffer_load_dword v124, off, s[0:3], 0 offset:432
	buffer_load_dword v127, off, s[0:3], 0 offset:428
	buffer_load_dword v126, off, s[0:3], 0 offset:424
	buffer_load_dword v129, off, s[0:3], 0 offset:420
	buffer_load_dword v128, off, s[0:3], 0 offset:416
	buffer_load_dword v131, off, s[0:3], 0 offset:476
	buffer_load_dword v130, off, s[0:3], 0 offset:472
	buffer_load_dword v133, off, s[0:3], 0 offset:468
	buffer_load_dword v132, off, s[0:3], 0 offset:464
	buffer_load_dword v135, off, s[0:3], 0 offset:460
	buffer_load_dword v134, off, s[0:3], 0 offset:456
	buffer_load_dword v137, off, s[0:3], 0 offset:452
	buffer_load_dword v136, off, s[0:3], 0 offset:448
	v_fma_f32 v15, v16, v56, -v15
	v_mul_f32_e32 v11, v11, v40
	v_add_f32_e32 v14, v14, v15
	v_fma_f32 v10, v10, v54, -v11
	v_mul_f32_e32 v11, v13, v47
	v_add_f32_e32 v10, v14, v10
	;; [unrolled: 3-line block ×6, first 2 shown]
	v_fma_f32 v3, v4, v140, -v3
	v_add_f32_e32 v2, v2, v3
	v_mul_f32_e32 v3, v27, v141
	v_fma_f32 v3, v26, v139, -v3
	v_add_f32_e32 v2, v2, v3
	v_mul_f32_e32 v3, v29, v142
	;; [unrolled: 3-line block ×20, first 2 shown]
	v_fma_f32 v3, v90, v175, -v3
	v_add_f32_e32 v2, v2, v3
	s_waitcnt vmcnt(36) lgkmcnt(1)
	v_mul_f32_e32 v3, v93, v222
	v_mul_f32_e32 v101, v92, v222
	v_fma_f32 v3, v92, v177, -v3
	v_fmac_f32_e32 v101, v93, v177
	v_add_f32_e32 v2, v2, v3
	s_waitcnt vmcnt(34)
	v_mul_f32_e32 v3, v95, v224
	v_add_f32_e32 v63, v63, v101
	v_mul_f32_e32 v101, v94, v224
	v_fma_f32 v3, v94, v223, -v3
	v_fmac_f32_e32 v101, v95, v223
	v_add_f32_e32 v2, v2, v3
	s_waitcnt vmcnt(32) lgkmcnt(0)
	v_mul_f32_e32 v3, v97, v226
	v_add_f32_e32 v63, v63, v101
	v_mul_f32_e32 v101, v96, v226
	v_fma_f32 v3, v96, v225, -v3
	v_fmac_f32_e32 v101, v97, v225
	v_add_f32_e32 v2, v2, v3
	s_waitcnt vmcnt(30)
	v_mul_f32_e32 v3, v99, v228
	v_add_f32_e32 v63, v63, v101
	v_mul_f32_e32 v101, v98, v228
	v_fma_f32 v3, v98, v227, -v3
	v_fmac_f32_e32 v101, v99, v227
	v_add_f32_e32 v2, v2, v3
	s_waitcnt vmcnt(28)
	;; [unrolled: 7-line block ×7, first 2 shown]
	v_mul_f32_e32 v2, v115, v240
	s_waitcnt vmcnt(9)
	v_mov_b32_e32 v18, v129
	v_add_f32_e32 v63, v63, v101
	v_mul_f32_e32 v101, v114, v240
	v_fma_f32 v100, v114, v239, -v2
	v_mul_f32_e32 v2, v117, v242
	v_pk_mul_f32 v[18:19], v[118:119], v[18:19] op_sel_hi:[1,0]
	v_fmac_f32_e32 v101, v115, v239
	v_mul_f32_e32 v121, v116, v242
	v_fma_f32 v120, v116, v241, -v2
	ds_read2_b64 v[2:5], v1 offset0:113 offset1:114
	ds_read2_b64 v[6:9], v1 offset0:115 offset1:116
	;; [unrolled: 1-line block ×3, first 2 shown]
	ds_read_b64 v[14:15], v1 offset:952
	s_waitcnt vmcnt(8)
	v_pk_fma_f32 v[20:21], v[118:119], v[128:129], v[18:19] op_sel:[0,0,1] op_sel_hi:[1,1,0] neg_lo:[0,0,1] neg_hi:[0,0,1]
	v_pk_fma_f32 v[18:19], v[118:119], v[128:129], v[18:19] op_sel:[0,0,1] op_sel_hi:[1,0,0]
	v_fmac_f32_e32 v121, v117, v241
	v_pk_add_f32 v[16:17], v[62:63], v[100:101]
	v_mov_b32_e32 v18, v127
	v_pk_add_f32 v[16:17], v[16:17], v[120:121]
	v_mov_b32_e32 v21, v19
	s_waitcnt lgkmcnt(3)
	v_pk_mul_f32 v[18:19], v[2:3], v[18:19] op_sel_hi:[1,0]
	v_pk_add_f32 v[16:17], v[16:17], v[20:21]
	v_pk_fma_f32 v[20:21], v[2:3], v[126:127], v[18:19] op_sel:[0,0,1] op_sel_hi:[1,1,0] neg_lo:[0,0,1] neg_hi:[0,0,1]
	v_pk_fma_f32 v[2:3], v[2:3], v[126:127], v[18:19] op_sel:[0,0,1] op_sel_hi:[1,0,0]
	v_mov_b32_e32 v21, v3
	v_pk_add_f32 v[2:3], v[16:17], v[20:21]
	v_mov_b32_e32 v16, v125
	v_pk_mul_f32 v[16:17], v[4:5], v[16:17] op_sel_hi:[1,0]
	v_pk_fma_f32 v[18:19], v[4:5], v[124:125], v[16:17] op_sel:[0,0,1] op_sel_hi:[1,1,0] neg_lo:[0,0,1] neg_hi:[0,0,1]
	v_pk_fma_f32 v[4:5], v[4:5], v[124:125], v[16:17] op_sel:[0,0,1] op_sel_hi:[1,0,0]
	v_mov_b32_e32 v4, v123
	v_mov_b32_e32 v19, v5
	s_waitcnt lgkmcnt(2)
	v_pk_mul_f32 v[4:5], v[6:7], v[4:5] op_sel_hi:[1,0]
	v_pk_fma_f32 v[16:17], v[6:7], v[122:123], v[4:5] op_sel:[0,0,1] op_sel_hi:[1,1,0] neg_lo:[0,0,1] neg_hi:[0,0,1]
	v_pk_fma_f32 v[4:5], v[6:7], v[122:123], v[4:5] op_sel:[0,0,1] op_sel_hi:[1,0,0]
	s_waitcnt vmcnt(1)
	v_mov_b32_e32 v4, v137
	v_mov_b32_e32 v17, v5
	v_pk_mul_f32 v[4:5], v[8:9], v[4:5] op_sel_hi:[1,0]
	s_waitcnt vmcnt(0)
	v_pk_fma_f32 v[6:7], v[8:9], v[136:137], v[4:5] op_sel:[0,0,1] op_sel_hi:[1,1,0] neg_lo:[0,0,1] neg_hi:[0,0,1]
	v_pk_fma_f32 v[4:5], v[8:9], v[136:137], v[4:5] op_sel:[0,0,1] op_sel_hi:[1,0,0]
	v_pk_add_f32 v[2:3], v[2:3], v[18:19]
	v_mov_b32_e32 v4, v135
	v_pk_add_f32 v[2:3], v[2:3], v[16:17]
	v_mov_b32_e32 v7, v5
	s_waitcnt lgkmcnt(1)
	v_pk_mul_f32 v[4:5], v[10:11], v[4:5] op_sel_hi:[1,0]
	v_pk_add_f32 v[2:3], v[2:3], v[6:7]
	v_pk_fma_f32 v[6:7], v[10:11], v[134:135], v[4:5] op_sel:[0,0,1] op_sel_hi:[1,1,0] neg_lo:[0,0,1] neg_hi:[0,0,1]
	v_pk_fma_f32 v[4:5], v[10:11], v[134:135], v[4:5] op_sel:[0,0,1] op_sel_hi:[1,0,0]
	v_mov_b32_e32 v4, v133
	v_mov_b32_e32 v7, v5
	v_pk_mul_f32 v[4:5], v[12:13], v[4:5] op_sel_hi:[1,0]
	v_pk_add_f32 v[2:3], v[2:3], v[6:7]
	v_pk_fma_f32 v[6:7], v[12:13], v[132:133], v[4:5] op_sel:[0,0,1] op_sel_hi:[1,1,0] neg_lo:[0,0,1] neg_hi:[0,0,1]
	v_pk_fma_f32 v[4:5], v[12:13], v[132:133], v[4:5] op_sel:[0,0,1] op_sel_hi:[1,0,0]
	v_mov_b32_e32 v4, v131
	v_mov_b32_e32 v7, v5
	s_waitcnt lgkmcnt(0)
	v_pk_mul_f32 v[4:5], v[14:15], v[4:5] op_sel_hi:[1,0]
	v_pk_add_f32 v[2:3], v[2:3], v[6:7]
	v_pk_fma_f32 v[6:7], v[14:15], v[130:131], v[4:5] op_sel:[0,0,1] op_sel_hi:[1,1,0] neg_lo:[0,0,1] neg_hi:[0,0,1]
	v_pk_fma_f32 v[4:5], v[14:15], v[130:131], v[4:5] op_sel:[0,0,1] op_sel_hi:[1,0,0]
	v_mov_b32_e32 v7, v5
	v_pk_add_f32 v[2:3], v[2:3], v[6:7]
	v_pk_add_f32 v[2:3], v[38:39], v[2:3] neg_lo:[0,1] neg_hi:[0,1]
	buffer_store_dword v3, off, s[0:3], 0 offset:68
	buffer_store_dword v2, off, s[0:3], 0 offset:64
	s_and_saveexec_b64 s[4:5], vcc
	s_cbranch_execz .LBB123_359
; %bb.358:
	buffer_load_dword v2, off, s[0:3], 0 offset:56
	buffer_load_dword v3, off, s[0:3], 0 offset:60
	s_waitcnt vmcnt(0)
	ds_write_b64 v195, v[2:3]
	buffer_store_dword v1, off, s[0:3], 0 offset:56
	buffer_store_dword v1, off, s[0:3], 0 offset:60
.LBB123_359:
	s_or_b64 exec, exec, s[4:5]
	s_waitcnt lgkmcnt(0)
	; wave barrier
	s_waitcnt lgkmcnt(0)
	buffer_load_dword v49, off, s[0:3], 0 offset:68
	buffer_load_dword v48, off, s[0:3], 0 offset:76
	;; [unrolled: 1-line block ×32, first 2 shown]
	ds_read_b128 v[26:29], v1 offset:544
	ds_read_b128 v[22:25], v1 offset:560
	;; [unrolled: 1-line block ×4, first 2 shown]
	buffer_load_dword v143, off, s[0:3], 0 offset:184
	buffer_load_dword v144, off, s[0:3], 0 offset:188
	ds_read_b128 v[14:17], v1 offset:608
	ds_read_b128 v[6:9], v1 offset:624
	;; [unrolled: 1-line block ×3, first 2 shown]
	buffer_load_dword v145, off, s[0:3], 0 offset:192
	buffer_load_dword v146, off, s[0:3], 0 offset:196
	;; [unrolled: 1-line block ×16, first 2 shown]
	v_cmp_lt_u32_e32 vcc, 6, v0
	s_waitcnt vmcnt(49) lgkmcnt(6)
	v_mul_f32_e32 v30, v26, v49
	s_waitcnt vmcnt(48)
	v_mul_f32_e32 v31, v28, v48
	s_waitcnt vmcnt(47) lgkmcnt(5)
	v_mul_f32_e32 v33, v24, v47
	s_waitcnt vmcnt(46) lgkmcnt(4)
	v_mul_f32_e32 v34, v18, v46
	s_waitcnt vmcnt(45)
	v_mul_f32_e32 v35, v20, v44
	s_waitcnt vmcnt(44)
	v_mul_f32_e32 v32, v22, v50
	s_waitcnt vmcnt(43) lgkmcnt(3)
	v_mul_f32_e32 v36, v10, v45
	s_waitcnt vmcnt(42)
	v_mul_f32_e32 v37, v12, v51
	s_waitcnt vmcnt(41) lgkmcnt(2)
	;; [unrolled: 4-line block ×3, first 2 shown]
	v_mul_f32_e32 v40, v6, v54
	s_waitcnt vmcnt(38)
	v_mul_f32_e32 v41, v8, v55
	s_waitcnt vmcnt(37)
	v_fmac_f32_e32 v32, v23, v61
	s_waitcnt vmcnt(36)
	v_fmac_f32_e32 v31, v29, v64
	;; [unrolled: 2-line block ×3, first 2 shown]
	v_add_f32_e32 v30, 0, v30
	v_add_f32_e32 v30, v30, v31
	;; [unrolled: 1-line block ×3, first 2 shown]
	s_waitcnt vmcnt(31)
	v_fmac_f32_e32 v33, v25, v65
	v_fmac_f32_e32 v34, v19, v63
	v_add_f32_e32 v30, v30, v33
	v_fmac_f32_e32 v35, v21, v60
	v_add_f32_e32 v30, v30, v34
	;; [unrolled: 2-line block ×3, first 2 shown]
	s_waitcnt vmcnt(27)
	v_fmac_f32_e32 v37, v13, v62
	v_add_f32_e32 v30, v30, v36
	v_fmac_f32_e32 v38, v15, v59
	v_add_f32_e32 v30, v30, v37
	v_fmac_f32_e32 v39, v17, v57
	v_add_f32_e32 v30, v30, v38
	v_fmac_f32_e32 v40, v7, v56
	v_add_f32_e32 v30, v30, v39
	s_waitcnt vmcnt(23)
	v_fmac_f32_e32 v41, v9, v139
	v_add_f32_e32 v30, v30, v40
	v_add_f32_e32 v34, v30, v41
	ds_read_b128 v[30:33], v1 offset:656
	buffer_load_dword v161, off, s[0:3], 0 offset:256
	buffer_load_dword v162, off, s[0:3], 0 offset:260
	;; [unrolled: 1-line block ×16, first 2 shown]
	s_waitcnt vmcnt(38) lgkmcnt(1)
	v_mul_f32_e32 v35, v2, v140
	v_fmac_f32_e32 v35, v3, v138
	v_add_f32_e32 v34, v34, v35
	s_waitcnt vmcnt(37)
	v_mul_f32_e32 v35, v4, v141
	v_fmac_f32_e32 v35, v5, v126
	v_add_f32_e32 v34, v34, v35
	s_waitcnt vmcnt(36) lgkmcnt(0)
	v_mul_f32_e32 v35, v30, v142
	v_fmac_f32_e32 v35, v31, v66
	v_add_f32_e32 v34, v34, v35
	s_waitcnt vmcnt(32)
	v_mul_f32_e32 v35, v32, v144
	v_fmac_f32_e32 v35, v33, v143
	v_add_f32_e32 v67, v34, v35
	ds_read_b128 v[34:37], v1 offset:672
	buffer_load_dword v177, off, s[0:3], 0 offset:320
	buffer_load_dword v222, off, s[0:3], 0 offset:324
	ds_read_b128 v[38:41], v1 offset:688
	buffer_load_dword v223, off, s[0:3], 0 offset:328
	buffer_load_dword v224, off, s[0:3], 0 offset:332
	;; [unrolled: 1-line block ×4, first 2 shown]
	s_waitcnt vmcnt(36) lgkmcnt(1)
	v_mul_f32_e32 v68, v34, v146
	v_fmac_f32_e32 v68, v35, v145
	v_add_f32_e32 v67, v67, v68
	s_waitcnt vmcnt(34)
	v_mul_f32_e32 v68, v36, v148
	v_fmac_f32_e32 v68, v37, v147
	v_add_f32_e32 v67, v67, v68
	s_waitcnt vmcnt(32) lgkmcnt(0)
	v_mul_f32_e32 v68, v38, v150
	v_fmac_f32_e32 v68, v39, v149
	buffer_load_dword v227, off, s[0:3], 0 offset:344
	buffer_load_dword v228, off, s[0:3], 0 offset:348
	;; [unrolled: 1-line block ×8, first 2 shown]
	v_add_f32_e32 v67, v67, v68
	buffer_load_dword v235, off, s[0:3], 0 offset:376
	buffer_load_dword v236, off, s[0:3], 0 offset:380
	;; [unrolled: 1-line block ×4, first 2 shown]
	ds_read_b128 v[68:71], v1 offset:704
	s_waitcnt vmcnt(42)
	v_mul_f32_e32 v72, v40, v152
	v_fmac_f32_e32 v72, v41, v151
	buffer_load_dword v239, off, s[0:3], 0 offset:392
	buffer_load_dword v240, off, s[0:3], 0 offset:396
	v_add_f32_e32 v67, v67, v72
	buffer_load_dword v241, off, s[0:3], 0 offset:400
	buffer_load_dword v242, off, s[0:3], 0 offset:404
	ds_read_b128 v[72:75], v1 offset:720
	s_waitcnt vmcnt(44) lgkmcnt(1)
	v_mul_f32_e32 v76, v68, v154
	v_fmac_f32_e32 v76, v69, v153
	v_add_f32_e32 v67, v67, v76
	s_waitcnt vmcnt(42)
	v_mul_f32_e32 v76, v70, v156
	v_fmac_f32_e32 v76, v71, v155
	v_add_f32_e32 v67, v67, v76
	s_waitcnt vmcnt(40) lgkmcnt(0)
	v_mul_f32_e32 v76, v72, v158
	v_fmac_f32_e32 v76, v73, v157
	buffer_load_dword v243, off, s[0:3], 0 offset:408
	buffer_load_dword v244, off, s[0:3], 0 offset:412
	v_add_f32_e32 v67, v67, v76
	ds_read_b128 v[76:79], v1 offset:736
	s_waitcnt vmcnt(40)
	v_mul_f32_e32 v80, v74, v160
	v_fmac_f32_e32 v80, v75, v159
	v_add_f32_e32 v67, v67, v80
	ds_read_b128 v[80:83], v1 offset:752
	ds_read_b128 v[104:107], v1 offset:832
	;; [unrolled: 1-line block ×5, first 2 shown]
	v_mul_f32_e32 v27, v27, v49
	v_fma_f32 v26, v26, v100, -v27
	v_mul_f32_e32 v27, v29, v48
	v_add_f32_e32 v26, 0, v26
	v_fma_f32 v27, v28, v64, -v27
	v_mul_f32_e32 v23, v23, v50
	v_add_f32_e32 v26, v26, v27
	;; [unrolled: 3-line block ×4, first 2 shown]
	v_fma_f32 v18, v18, v63, -v19
	s_waitcnt vmcnt(38) lgkmcnt(5)
	v_mul_f32_e32 v84, v76, v162
	v_fmac_f32_e32 v84, v77, v161
	v_add_f32_e32 v67, v67, v84
	s_waitcnt vmcnt(36)
	v_mul_f32_e32 v84, v78, v164
	v_fmac_f32_e32 v84, v79, v163
	v_add_f32_e32 v67, v67, v84
	s_waitcnt vmcnt(34) lgkmcnt(4)
	v_mul_f32_e32 v84, v80, v166
	v_fmac_f32_e32 v84, v81, v165
	v_add_f32_e32 v67, v67, v84
	ds_read_b128 v[84:87], v1 offset:768
	s_waitcnt vmcnt(32)
	v_mul_f32_e32 v88, v82, v168
	v_fmac_f32_e32 v88, v83, v167
	v_add_f32_e32 v67, v67, v88
	ds_read_b128 v[88:91], v1 offset:784
	s_waitcnt vmcnt(30) lgkmcnt(1)
	v_mul_f32_e32 v92, v84, v170
	v_fmac_f32_e32 v92, v85, v169
	v_add_f32_e32 v67, v67, v92
	s_waitcnt vmcnt(28)
	v_mul_f32_e32 v92, v86, v172
	v_fmac_f32_e32 v92, v87, v171
	v_add_f32_e32 v67, v67, v92
	s_waitcnt vmcnt(26) lgkmcnt(0)
	v_mul_f32_e32 v92, v88, v174
	v_fmac_f32_e32 v92, v89, v173
	s_waitcnt vmcnt(24)
	v_mul_f32_e32 v96, v90, v176
	v_add_f32_e32 v67, v67, v92
	v_fmac_f32_e32 v96, v91, v175
	ds_read_b128 v[92:95], v1 offset:800
	v_add_f32_e32 v67, v67, v96
	ds_read_b128 v[96:99], v1 offset:816
	buffer_load_dword v121, off, s[0:3], 0 offset:436
	buffer_load_dword v120, off, s[0:3], 0 offset:432
	;; [unrolled: 1-line block ×6, first 2 shown]
	v_mul_f32_e32 v19, v21, v44
	v_add_f32_e32 v18, v22, v18
	v_fma_f32 v19, v20, v60, -v19
	v_mul_f32_e32 v11, v11, v45
	v_add_f32_e32 v18, v18, v19
	v_fma_f32 v10, v10, v58, -v11
	;; [unrolled: 3-line block ×3, first 2 shown]
	buffer_load_dword v129, off, s[0:3], 0 offset:468
	buffer_load_dword v128, off, s[0:3], 0 offset:464
	;; [unrolled: 1-line block ×10, first 2 shown]
	v_add_f32_e32 v10, v10, v11
	v_mul_f32_e32 v11, v15, v52
	v_fma_f32 v11, v14, v59, -v11
	v_add_f32_e32 v10, v10, v11
	v_mul_f32_e32 v11, v17, v53
	v_fma_f32 v11, v16, v57, -v11
	v_mul_f32_e32 v7, v7, v54
	v_add_f32_e32 v10, v10, v11
	v_fma_f32 v6, v6, v56, -v7
	v_mul_f32_e32 v7, v9, v55
	v_add_f32_e32 v6, v10, v6
	;; [unrolled: 3-line block ×4, first 2 shown]
	v_fma_f32 v3, v4, v126, -v3
	v_add_f32_e32 v2, v2, v3
	v_mul_f32_e32 v3, v31, v142
	v_fma_f32 v3, v30, v66, -v3
	v_add_f32_e32 v2, v2, v3
	v_mul_f32_e32 v3, v33, v144
	;; [unrolled: 3-line block ×18, first 2 shown]
	v_fma_f32 v3, v90, v175, -v3
	v_add_f32_e32 v2, v2, v3
	s_waitcnt vmcnt(38) lgkmcnt(1)
	v_mul_f32_e32 v3, v93, v222
	v_fma_f32 v3, v92, v177, -v3
	v_add_f32_e32 v2, v2, v3
	s_waitcnt vmcnt(36)
	v_mul_f32_e32 v3, v95, v224
	v_mul_f32_e32 v101, v92, v222
	v_fma_f32 v3, v94, v223, -v3
	v_fmac_f32_e32 v101, v93, v177
	v_add_f32_e32 v2, v2, v3
	s_waitcnt vmcnt(34) lgkmcnt(0)
	v_mul_f32_e32 v3, v97, v226
	v_add_f32_e32 v67, v67, v101
	v_mul_f32_e32 v101, v94, v224
	v_fma_f32 v3, v96, v225, -v3
	v_fmac_f32_e32 v101, v95, v223
	v_add_f32_e32 v2, v2, v3
	s_waitcnt vmcnt(32)
	v_mul_f32_e32 v3, v99, v228
	v_add_f32_e32 v67, v67, v101
	v_mul_f32_e32 v101, v96, v226
	v_fma_f32 v3, v98, v227, -v3
	v_fmac_f32_e32 v101, v97, v225
	v_add_f32_e32 v2, v2, v3
	s_waitcnt vmcnt(30)
	;; [unrolled: 7-line block ×8, first 2 shown]
	v_mul_f32_e32 v2, v117, v242
	v_add_f32_e32 v67, v67, v101
	v_mul_f32_e32 v101, v114, v240
	v_fma_f32 v100, v116, v241, -v2
	s_waitcnt vmcnt(16)
	v_mul_f32_e32 v2, v119, v244
	v_fmac_f32_e32 v101, v115, v239
	v_fma_f32 v126, v118, v243, -v2
	ds_read_b128 v[2:5], v1 offset:896
	ds_read_b128 v[6:9], v1 offset:912
	;; [unrolled: 1-line block ×4, first 2 shown]
	v_add_f32_e32 v67, v67, v101
	v_mul_f32_e32 v101, v116, v242
	s_waitcnt vmcnt(11)
	v_mov_b32_e32 v20, v125
	v_fmac_f32_e32 v101, v117, v241
	v_mul_f32_e32 v127, v118, v244
	s_waitcnt lgkmcnt(3)
	v_pk_mul_f32 v[20:21], v[2:3], v[20:21] op_sel_hi:[1,0]
	v_fmac_f32_e32 v127, v119, v243
	v_pk_add_f32 v[18:19], v[66:67], v[100:101]
	s_waitcnt vmcnt(10)
	v_pk_fma_f32 v[22:23], v[2:3], v[124:125], v[20:21] op_sel:[0,0,1] op_sel_hi:[1,1,0] neg_lo:[0,0,1] neg_hi:[0,0,1]
	v_pk_fma_f32 v[2:3], v[2:3], v[124:125], v[20:21] op_sel:[0,0,1] op_sel_hi:[1,0,0]
	v_pk_add_f32 v[18:19], v[18:19], v[126:127]
	v_mov_b32_e32 v23, v3
	v_pk_add_f32 v[2:3], v[18:19], v[22:23]
	v_mov_b32_e32 v18, v123
	v_pk_mul_f32 v[18:19], v[4:5], v[18:19] op_sel_hi:[1,0]
	v_pk_fma_f32 v[20:21], v[4:5], v[122:123], v[18:19] op_sel:[0,0,1] op_sel_hi:[1,1,0] neg_lo:[0,0,1] neg_hi:[0,0,1]
	v_pk_fma_f32 v[4:5], v[4:5], v[122:123], v[18:19] op_sel:[0,0,1] op_sel_hi:[1,0,0]
	v_mov_b32_e32 v4, v121
	v_mov_b32_e32 v21, v5
	s_waitcnt lgkmcnt(2)
	v_pk_mul_f32 v[4:5], v[6:7], v[4:5] op_sel_hi:[1,0]
	v_pk_fma_f32 v[18:19], v[6:7], v[120:121], v[4:5] op_sel:[0,0,1] op_sel_hi:[1,1,0] neg_lo:[0,0,1] neg_hi:[0,0,1]
	v_pk_fma_f32 v[4:5], v[6:7], v[120:121], v[4:5] op_sel:[0,0,1] op_sel_hi:[1,0,0]
	s_waitcnt vmcnt(3)
	v_mov_b32_e32 v4, v135
	v_mov_b32_e32 v19, v5
	v_pk_mul_f32 v[4:5], v[8:9], v[4:5] op_sel_hi:[1,0]
	s_waitcnt vmcnt(2)
	v_pk_fma_f32 v[6:7], v[8:9], v[134:135], v[4:5] op_sel:[0,0,1] op_sel_hi:[1,1,0] neg_lo:[0,0,1] neg_hi:[0,0,1]
	v_pk_fma_f32 v[4:5], v[8:9], v[134:135], v[4:5] op_sel:[0,0,1] op_sel_hi:[1,0,0]
	v_pk_add_f32 v[2:3], v[2:3], v[20:21]
	v_mov_b32_e32 v4, v133
	v_pk_add_f32 v[2:3], v[2:3], v[18:19]
	v_mov_b32_e32 v7, v5
	s_waitcnt lgkmcnt(1)
	v_pk_mul_f32 v[4:5], v[10:11], v[4:5] op_sel_hi:[1,0]
	v_pk_add_f32 v[2:3], v[2:3], v[6:7]
	v_pk_fma_f32 v[6:7], v[10:11], v[132:133], v[4:5] op_sel:[0,0,1] op_sel_hi:[1,1,0] neg_lo:[0,0,1] neg_hi:[0,0,1]
	v_pk_fma_f32 v[4:5], v[10:11], v[132:133], v[4:5] op_sel:[0,0,1] op_sel_hi:[1,0,0]
	v_mov_b32_e32 v4, v131
	v_mov_b32_e32 v7, v5
	v_pk_mul_f32 v[4:5], v[12:13], v[4:5] op_sel_hi:[1,0]
	v_pk_add_f32 v[2:3], v[2:3], v[6:7]
	v_pk_fma_f32 v[6:7], v[12:13], v[130:131], v[4:5] op_sel:[0,0,1] op_sel_hi:[1,1,0] neg_lo:[0,0,1] neg_hi:[0,0,1]
	v_pk_fma_f32 v[4:5], v[12:13], v[130:131], v[4:5] op_sel:[0,0,1] op_sel_hi:[1,0,0]
	v_mov_b32_e32 v4, v129
	v_mov_b32_e32 v7, v5
	s_waitcnt lgkmcnt(0)
	v_pk_mul_f32 v[4:5], v[14:15], v[4:5] op_sel_hi:[1,0]
	v_pk_add_f32 v[2:3], v[2:3], v[6:7]
	v_pk_fma_f32 v[6:7], v[14:15], v[128:129], v[4:5] op_sel:[0,0,1] op_sel_hi:[1,1,0] neg_lo:[0,0,1] neg_hi:[0,0,1]
	v_pk_fma_f32 v[4:5], v[14:15], v[128:129], v[4:5] op_sel:[0,0,1] op_sel_hi:[1,0,0]
	s_waitcnt vmcnt(1)
	v_mov_b32_e32 v4, v137
	v_mov_b32_e32 v7, v5
	v_pk_mul_f32 v[4:5], v[16:17], v[4:5] op_sel_hi:[1,0]
	v_pk_add_f32 v[2:3], v[2:3], v[6:7]
	s_waitcnt vmcnt(0)
	v_pk_fma_f32 v[6:7], v[16:17], v[136:137], v[4:5] op_sel:[0,0,1] op_sel_hi:[1,1,0] neg_lo:[0,0,1] neg_hi:[0,0,1]
	v_pk_fma_f32 v[4:5], v[16:17], v[136:137], v[4:5] op_sel:[0,0,1] op_sel_hi:[1,0,0]
	v_mov_b32_e32 v7, v5
	v_pk_add_f32 v[2:3], v[2:3], v[6:7]
	v_pk_add_f32 v[2:3], v[42:43], v[2:3] neg_lo:[0,1] neg_hi:[0,1]
	buffer_store_dword v3, off, s[0:3], 0 offset:60
	buffer_store_dword v2, off, s[0:3], 0 offset:56
	s_and_saveexec_b64 s[4:5], vcc
	s_cbranch_execz .LBB123_361
; %bb.360:
	buffer_load_dword v2, off, s[0:3], 0 offset:48
	buffer_load_dword v3, off, s[0:3], 0 offset:52
	v_mov_b32_e32 v1, 0
	buffer_store_dword v1, off, s[0:3], 0 offset:48
	buffer_store_dword v1, off, s[0:3], 0 offset:52
	s_waitcnt vmcnt(2)
	ds_write_b64 v195, v[2:3]
.LBB123_361:
	s_or_b64 exec, exec, s[4:5]
	v_mov_b32_e32 v238, 0
	s_waitcnt lgkmcnt(0)
	; wave barrier
	s_waitcnt lgkmcnt(0)
	ds_read2_b64 v[2:5], v238 offset0:67 offset1:68
	buffer_load_dword v94, off, s[0:3], 0 offset:48
	buffer_load_dword v95, off, s[0:3], 0 offset:52
	;; [unrolled: 1-line block ×16, first 2 shown]
	v_cmp_lt_u32_e32 vcc, 5, v0
	s_waitcnt vmcnt(12) lgkmcnt(0)
	v_mul_f32_e32 v6, v2, v104
	v_fmac_f32_e32 v6, v3, v1
	s_waitcnt vmcnt(10)
	v_mul_f32_e32 v7, v4, v106
	v_add_f32_e32 v6, 0, v6
	v_fmac_f32_e32 v7, v5, v96
	v_add_f32_e32 v10, v6, v7
	ds_read2_b64 v[6:9], v238 offset0:69 offset1:70
	v_mul_f32_e32 v3, v3, v104
	v_fma_f32 v1, v2, v1, -v3
	v_mul_f32_e32 v2, v5, v106
	v_add_f32_e32 v1, 0, v1
	s_waitcnt vmcnt(8) lgkmcnt(0)
	v_mul_f32_e32 v11, v6, v222
	v_fmac_f32_e32 v11, v7, v98
	v_add_f32_e32 v10, v10, v11
	s_waitcnt vmcnt(6)
	v_mul_f32_e32 v11, v8, v240
	v_fmac_f32_e32 v11, v9, v105
	v_add_f32_e32 v14, v10, v11
	ds_read2_b64 v[10:13], v238 offset0:71 offset1:72
	v_fma_f32 v2, v4, v96, -v2
	v_add_f32_e32 v1, v1, v2
	v_mul_f32_e32 v2, v7, v222
	v_fma_f32 v2, v6, v98, -v2
	s_waitcnt vmcnt(4) lgkmcnt(0)
	v_mul_f32_e32 v15, v10, v242
	v_fmac_f32_e32 v15, v11, v107
	v_add_f32_e32 v14, v14, v15
	s_waitcnt vmcnt(2)
	v_mul_f32_e32 v15, v12, v243
	v_fmac_f32_e32 v15, v13, v239
	v_add_f32_e32 v18, v14, v15
	ds_read2_b64 v[14:17], v238 offset0:73 offset1:74
	buffer_load_dword v108, off, s[0:3], 0 offset:112
	buffer_load_dword v109, off, s[0:3], 0 offset:116
	v_add_f32_e32 v1, v1, v2
	v_mul_f32_e32 v2, v9, v240
	v_fma_f32 v2, v8, v105, -v2
	s_waitcnt vmcnt(2) lgkmcnt(0)
	v_mul_f32_e32 v19, v14, v244
	v_fmac_f32_e32 v19, v15, v241
	v_add_f32_e32 v18, v18, v19
	v_add_f32_e32 v1, v1, v2
	v_mul_f32_e32 v2, v11, v242
	v_fma_f32 v2, v10, v107, -v2
	v_add_f32_e32 v1, v1, v2
	v_mul_f32_e32 v2, v13, v243
	v_fma_f32 v2, v12, v239, -v2
	;; [unrolled: 3-line block ×3, first 2 shown]
	v_add_f32_e32 v1, v1, v2
	s_waitcnt vmcnt(0)
	v_mul_f32_e32 v19, v16, v109
	v_fmac_f32_e32 v19, v17, v108
	v_add_f32_e32 v22, v18, v19
	ds_read2_b64 v[18:21], v238 offset0:75 offset1:76
	buffer_load_dword v110, off, s[0:3], 0 offset:120
	buffer_load_dword v111, off, s[0:3], 0 offset:124
	;; [unrolled: 1-line block ×4, first 2 shown]
	v_mul_f32_e32 v2, v17, v109
	v_fma_f32 v2, v16, v108, -v2
	v_add_f32_e32 v1, v1, v2
	s_waitcnt vmcnt(2) lgkmcnt(0)
	v_mul_f32_e32 v23, v18, v111
	v_fmac_f32_e32 v23, v19, v110
	v_add_f32_e32 v22, v22, v23
	s_waitcnt vmcnt(0)
	v_mul_f32_e32 v23, v20, v113
	v_fmac_f32_e32 v23, v21, v112
	v_add_f32_e32 v26, v22, v23
	ds_read2_b64 v[22:25], v238 offset0:77 offset1:78
	buffer_load_dword v114, off, s[0:3], 0 offset:136
	buffer_load_dword v115, off, s[0:3], 0 offset:140
	buffer_load_dword v116, off, s[0:3], 0 offset:144
	buffer_load_dword v117, off, s[0:3], 0 offset:148
	v_mul_f32_e32 v2, v19, v111
	v_fma_f32 v2, v18, v110, -v2
	v_add_f32_e32 v1, v1, v2
	v_mul_f32_e32 v2, v21, v113
	v_fma_f32 v2, v20, v112, -v2
	v_add_f32_e32 v1, v1, v2
	s_waitcnt vmcnt(2) lgkmcnt(0)
	v_mul_f32_e32 v27, v22, v115
	v_fmac_f32_e32 v27, v23, v114
	v_add_f32_e32 v26, v26, v27
	s_waitcnt vmcnt(0)
	v_mul_f32_e32 v27, v24, v117
	v_fmac_f32_e32 v27, v25, v116
	v_add_f32_e32 v30, v26, v27
	ds_read2_b64 v[26:29], v238 offset0:79 offset1:80
	buffer_load_dword v118, off, s[0:3], 0 offset:152
	buffer_load_dword v119, off, s[0:3], 0 offset:156
	buffer_load_dword v120, off, s[0:3], 0 offset:160
	buffer_load_dword v121, off, s[0:3], 0 offset:164
	v_mul_f32_e32 v2, v23, v115
	v_fma_f32 v2, v22, v114, -v2
	v_add_f32_e32 v1, v1, v2
	;; [unrolled: 19-line block ×4, first 2 shown]
	v_mul_f32_e32 v2, v33, v125
	v_fma_f32 v2, v32, v124, -v2
	v_add_f32_e32 v1, v1, v2
	s_waitcnt vmcnt(2) lgkmcnt(0)
	v_mul_f32_e32 v39, v34, v127
	v_fmac_f32_e32 v39, v35, v126
	v_add_f32_e32 v38, v38, v39
	s_waitcnt vmcnt(0)
	v_mul_f32_e32 v39, v36, v129
	v_fmac_f32_e32 v39, v37, v128
	v_add_f32_e32 v42, v38, v39
	ds_read2_b64 v[38:41], v238 offset0:85 offset1:86
	buffer_load_dword v130, off, s[0:3], 0 offset:200
	buffer_load_dword v131, off, s[0:3], 0 offset:204
	buffer_load_dword v132, off, s[0:3], 0 offset:208
	buffer_load_dword v133, off, s[0:3], 0 offset:212
	ds_read2_b64 v[46:49], v238 offset0:87 offset1:88
	buffer_load_dword v134, off, s[0:3], 0 offset:216
	buffer_load_dword v135, off, s[0:3], 0 offset:220
	buffer_load_dword v136, off, s[0:3], 0 offset:224
	buffer_load_dword v137, off, s[0:3], 0 offset:228
	;; [unrolled: 5-line block ×13, first 2 shown]
	v_mul_f32_e32 v2, v35, v127
	v_fma_f32 v2, v34, v126, -v2
	v_add_f32_e32 v1, v1, v2
	v_mul_f32_e32 v2, v37, v129
	v_fma_f32 v2, v36, v128, -v2
	v_add_f32_e32 v1, v1, v2
	s_waitcnt vmcnt(50) lgkmcnt(12)
	v_mul_f32_e32 v43, v38, v131
	v_fmac_f32_e32 v43, v39, v130
	v_add_f32_e32 v42, v42, v43
	s_waitcnt vmcnt(48)
	v_mul_f32_e32 v43, v40, v133
	v_fmac_f32_e32 v43, v41, v132
	v_add_f32_e32 v42, v42, v43
	s_waitcnt vmcnt(46) lgkmcnt(11)
	v_mul_f32_e32 v43, v46, v135
	v_fmac_f32_e32 v43, v47, v134
	v_add_f32_e32 v42, v42, v43
	s_waitcnt vmcnt(44)
	v_mul_f32_e32 v43, v48, v137
	v_fmac_f32_e32 v43, v49, v136
	;; [unrolled: 8-line block ×12, first 2 shown]
	v_add_f32_e32 v42, v42, v43
	s_waitcnt vmcnt(2) lgkmcnt(0)
	v_mul_f32_e32 v43, v90, v246
	v_fmac_f32_e32 v43, v91, v177
	v_add_f32_e32 v97, v42, v43
	ds_read2_b64 v[42:45], v238 offset0:111 offset1:112
	buffer_load_dword v249, off, s[0:3], 0 offset:408
	buffer_load_dword v250, off, s[0:3], 0 offset:412
	;; [unrolled: 1-line block ×18, first 2 shown]
	v_mul_f32_e32 v2, v39, v131
	v_fma_f32 v2, v38, v130, -v2
	v_add_f32_e32 v1, v1, v2
	v_mul_f32_e32 v2, v41, v133
	v_fma_f32 v2, v40, v132, -v2
	v_add_f32_e32 v1, v1, v2
	;; [unrolled: 3-line block ×24, first 2 shown]
	v_mul_f32_e32 v2, v91, v246
	v_fma_f32 v2, v90, v177, -v2
	s_waitcnt vmcnt(15)
	v_mov_b32_e32 v18, v101
	v_mul_f32_e32 v99, v92, v248
	v_add_f32_e32 v96, v1, v2
	v_mul_f32_e32 v1, v93, v248
	s_waitcnt lgkmcnt(0)
	v_pk_mul_f32 v[18:19], v[44:45], v[18:19] op_sel_hi:[1,0]
	v_fmac_f32_e32 v99, v93, v247
	v_mul_f32_e32 v223, v42, v250
	v_fma_f32 v98, v92, v247, -v1
	v_mul_f32_e32 v1, v43, v250
	ds_read2_b64 v[2:5], v238 offset0:113 offset1:114
	ds_read2_b64 v[6:9], v238 offset0:115 offset1:116
	;; [unrolled: 1-line block ×3, first 2 shown]
	ds_read_b64 v[14:15], v238 offset:952
	s_waitcnt vmcnt(14)
	v_pk_fma_f32 v[20:21], v[44:45], v[100:101], v[18:19] op_sel:[0,0,1] op_sel_hi:[1,1,0] neg_lo:[0,0,1] neg_hi:[0,0,1]
	v_pk_fma_f32 v[18:19], v[44:45], v[100:101], v[18:19] op_sel:[0,0,1] op_sel_hi:[1,0,0]
	v_fmac_f32_e32 v223, v43, v249
	v_fma_f32 v222, v42, v249, -v1
	v_pk_add_f32 v[16:17], v[96:97], v[98:99]
	s_waitcnt vmcnt(13)
	v_mov_b32_e32 v18, v237
	v_pk_add_f32 v[16:17], v[16:17], v[222:223]
	v_mov_b32_e32 v21, v19
	s_waitcnt lgkmcnt(3)
	v_pk_mul_f32 v[18:19], v[2:3], v[18:19] op_sel_hi:[1,0]
	v_pk_add_f32 v[16:17], v[16:17], v[20:21]
	s_waitcnt vmcnt(12)
	v_pk_fma_f32 v[20:21], v[2:3], v[236:237], v[18:19] op_sel:[0,0,1] op_sel_hi:[1,1,0] neg_lo:[0,0,1] neg_hi:[0,0,1]
	v_pk_fma_f32 v[2:3], v[2:3], v[236:237], v[18:19] op_sel:[0,0,1] op_sel_hi:[1,0,0]
	v_mov_b32_e32 v21, v3
	v_pk_add_f32 v[2:3], v[16:17], v[20:21]
	s_waitcnt vmcnt(11)
	v_mov_b32_e32 v16, v235
	v_pk_mul_f32 v[16:17], v[4:5], v[16:17] op_sel_hi:[1,0]
	s_waitcnt vmcnt(10)
	v_pk_fma_f32 v[18:19], v[4:5], v[234:235], v[16:17] op_sel:[0,0,1] op_sel_hi:[1,1,0] neg_lo:[0,0,1] neg_hi:[0,0,1]
	v_pk_fma_f32 v[4:5], v[4:5], v[234:235], v[16:17] op_sel:[0,0,1] op_sel_hi:[1,0,0]
	s_waitcnt vmcnt(9)
	v_mov_b32_e32 v4, v233
	v_mov_b32_e32 v19, v5
	s_waitcnt lgkmcnt(2)
	v_pk_mul_f32 v[4:5], v[6:7], v[4:5] op_sel_hi:[1,0]
	s_waitcnt vmcnt(8)
	v_pk_fma_f32 v[16:17], v[6:7], v[232:233], v[4:5] op_sel:[0,0,1] op_sel_hi:[1,1,0] neg_lo:[0,0,1] neg_hi:[0,0,1]
	v_pk_fma_f32 v[4:5], v[6:7], v[232:233], v[4:5] op_sel:[0,0,1] op_sel_hi:[1,0,0]
	s_waitcnt vmcnt(7)
	v_mov_b32_e32 v4, v231
	v_mov_b32_e32 v17, v5
	v_pk_mul_f32 v[4:5], v[8:9], v[4:5] op_sel_hi:[1,0]
	s_waitcnt vmcnt(6)
	v_pk_fma_f32 v[6:7], v[8:9], v[230:231], v[4:5] op_sel:[0,0,1] op_sel_hi:[1,1,0] neg_lo:[0,0,1] neg_hi:[0,0,1]
	v_pk_fma_f32 v[4:5], v[8:9], v[230:231], v[4:5] op_sel:[0,0,1] op_sel_hi:[1,0,0]
	v_pk_add_f32 v[2:3], v[2:3], v[18:19]
	s_waitcnt vmcnt(5)
	v_mov_b32_e32 v4, v229
	v_pk_add_f32 v[2:3], v[2:3], v[16:17]
	v_mov_b32_e32 v7, v5
	s_waitcnt lgkmcnt(1)
	v_pk_mul_f32 v[4:5], v[10:11], v[4:5] op_sel_hi:[1,0]
	v_pk_add_f32 v[2:3], v[2:3], v[6:7]
	s_waitcnt vmcnt(4)
	v_pk_fma_f32 v[6:7], v[10:11], v[228:229], v[4:5] op_sel:[0,0,1] op_sel_hi:[1,1,0] neg_lo:[0,0,1] neg_hi:[0,0,1]
	v_pk_fma_f32 v[4:5], v[10:11], v[228:229], v[4:5] op_sel:[0,0,1] op_sel_hi:[1,0,0]
	s_waitcnt vmcnt(3)
	v_mov_b32_e32 v4, v227
	v_mov_b32_e32 v7, v5
	v_pk_mul_f32 v[4:5], v[12:13], v[4:5] op_sel_hi:[1,0]
	v_pk_add_f32 v[2:3], v[2:3], v[6:7]
	s_waitcnt vmcnt(2)
	v_pk_fma_f32 v[6:7], v[12:13], v[226:227], v[4:5] op_sel:[0,0,1] op_sel_hi:[1,1,0] neg_lo:[0,0,1] neg_hi:[0,0,1]
	v_pk_fma_f32 v[4:5], v[12:13], v[226:227], v[4:5] op_sel:[0,0,1] op_sel_hi:[1,0,0]
	s_waitcnt vmcnt(1)
	v_mov_b32_e32 v4, v225
	v_mov_b32_e32 v7, v5
	s_waitcnt lgkmcnt(0)
	v_pk_mul_f32 v[4:5], v[14:15], v[4:5] op_sel_hi:[1,0]
	v_pk_add_f32 v[2:3], v[2:3], v[6:7]
	s_waitcnt vmcnt(0)
	v_pk_fma_f32 v[6:7], v[14:15], v[224:225], v[4:5] op_sel:[0,0,1] op_sel_hi:[1,1,0] neg_lo:[0,0,1] neg_hi:[0,0,1]
	v_pk_fma_f32 v[4:5], v[14:15], v[224:225], v[4:5] op_sel:[0,0,1] op_sel_hi:[1,0,0]
	v_mov_b32_e32 v7, v5
	v_pk_add_f32 v[2:3], v[2:3], v[6:7]
	v_pk_add_f32 v[2:3], v[94:95], v[2:3] neg_lo:[0,1] neg_hi:[0,1]
	buffer_store_dword v3, off, s[0:3], 0 offset:52
	buffer_store_dword v2, off, s[0:3], 0 offset:48
	s_and_saveexec_b64 s[4:5], vcc
	s_cbranch_execz .LBB123_363
; %bb.362:
	buffer_load_dword v2, off, s[0:3], 0 offset:40
	buffer_load_dword v3, off, s[0:3], 0 offset:44
	s_waitcnt vmcnt(0)
	ds_write_b64 v195, v[2:3]
	buffer_store_dword v238, off, s[0:3], 0 offset:40
	buffer_store_dword v238, off, s[0:3], 0 offset:44
.LBB123_363:
	s_or_b64 exec, exec, s[4:5]
	s_waitcnt lgkmcnt(0)
	; wave barrier
	s_waitcnt lgkmcnt(0)
	buffer_load_dword v48, off, s[0:3], 0 offset:52
	buffer_load_dword v47, off, s[0:3], 0 offset:60
	buffer_load_dword v46, off, s[0:3], 0 offset:76
	buffer_load_dword v45, off, s[0:3], 0 offset:84
	buffer_load_dword v1, off, s[0:3], 0 offset:92
	buffer_load_dword v49, off, s[0:3], 0 offset:68
	buffer_load_dword v44, off, s[0:3], 0 offset:100
	buffer_load_dword v110, off, s[0:3], 0 offset:108
	buffer_load_dword v112, off, s[0:3], 0 offset:116
	buffer_load_dword v114, off, s[0:3], 0 offset:124
	buffer_load_dword v130, off, s[0:3], 0 offset:132
	buffer_load_dword v131, off, s[0:3], 0 offset:140
	buffer_load_dword v132, off, s[0:3], 0 offset:64
	buffer_load_dword v133, off, s[0:3], 0 offset:56
	buffer_load_dword v134, off, s[0:3], 0 offset:48
	buffer_load_dword v135, off, s[0:3], 0 offset:96
	buffer_load_dword v136, off, s[0:3], 0 offset:88
	buffer_load_dword v137, off, s[0:3], 0 offset:80
	buffer_load_dword v138, off, s[0:3], 0 offset:72
	buffer_load_dword v139, off, s[0:3], 0 offset:128
	buffer_load_dword v140, off, s[0:3], 0 offset:120
	buffer_load_dword v141, off, s[0:3], 0 offset:112
	buffer_load_dword v142, off, s[0:3], 0 offset:104
	buffer_load_dword v143, off, s[0:3], 0 offset:160
	buffer_load_dword v144, off, s[0:3], 0 offset:152
	buffer_load_dword v145, off, s[0:3], 0 offset:144
	buffer_load_dword v146, off, s[0:3], 0 offset:136
	buffer_load_dword v147, off, s[0:3], 0 offset:148
	buffer_load_dword v148, off, s[0:3], 0 offset:156
	buffer_load_dword v149, off, s[0:3], 0 offset:164
	buffer_load_dword v150, off, s[0:3], 0 offset:168
	buffer_load_dword v151, off, s[0:3], 0 offset:172
	buffer_load_dword v42, off, s[0:3], 0 offset:40
	buffer_load_dword v43, off, s[0:3], 0 offset:44
	ds_read_b128 v[30:33], v238 offset:528
	ds_read_b128 v[26:29], v238 offset:544
	;; [unrolled: 1-line block ×6, first 2 shown]
	buffer_load_dword v152, off, s[0:3], 0 offset:176
	buffer_load_dword v153, off, s[0:3], 0 offset:180
	ds_read_b128 v[10:13], v238 offset:624
	ds_read_b128 v[2:5], v238 offset:640
	buffer_load_dword v154, off, s[0:3], 0 offset:184
	buffer_load_dword v155, off, s[0:3], 0 offset:188
	;; [unrolled: 1-line block ×24, first 2 shown]
	v_cmp_lt_u32_e32 vcc, 4, v0
	s_waitcnt vmcnt(59) lgkmcnt(7)
	v_mul_f32_e32 v34, v30, v48
	s_waitcnt vmcnt(58)
	v_mul_f32_e32 v35, v32, v47
	s_waitcnt vmcnt(57) lgkmcnt(6)
	v_mul_f32_e32 v37, v28, v46
	s_waitcnt vmcnt(56) lgkmcnt(5)
	v_mul_f32_e32 v38, v22, v45
	s_waitcnt vmcnt(55)
	v_mul_f32_e32 v39, v24, v1
	s_waitcnt vmcnt(54)
	v_mul_f32_e32 v36, v26, v49
	s_waitcnt vmcnt(53) lgkmcnt(4)
	v_mul_f32_e32 v40, v18, v44
	s_waitcnt vmcnt(52)
	v_mul_f32_e32 v41, v20, v110
	s_waitcnt vmcnt(51) lgkmcnt(3)
	;; [unrolled: 4-line block ×3, first 2 shown]
	v_mul_f32_e32 v52, v6, v130
	s_waitcnt vmcnt(48)
	v_mul_f32_e32 v53, v8, v131
	s_waitcnt vmcnt(47)
	v_fmac_f32_e32 v36, v27, v132
	s_waitcnt vmcnt(46)
	v_fmac_f32_e32 v35, v33, v133
	;; [unrolled: 2-line block ×3, first 2 shown]
	v_add_f32_e32 v34, 0, v34
	v_add_f32_e32 v34, v34, v35
	;; [unrolled: 1-line block ×3, first 2 shown]
	s_waitcnt vmcnt(41)
	v_fmac_f32_e32 v37, v29, v138
	v_fmac_f32_e32 v38, v23, v137
	v_add_f32_e32 v34, v34, v37
	v_fmac_f32_e32 v39, v25, v136
	v_add_f32_e32 v34, v34, v38
	;; [unrolled: 2-line block ×3, first 2 shown]
	s_waitcnt vmcnt(37)
	v_fmac_f32_e32 v41, v21, v142
	v_add_f32_e32 v34, v34, v40
	v_fmac_f32_e32 v50, v15, v141
	v_add_f32_e32 v34, v34, v41
	;; [unrolled: 2-line block ×4, first 2 shown]
	s_waitcnt vmcnt(33)
	v_fmac_f32_e32 v53, v9, v146
	v_add_f32_e32 v34, v34, v52
	s_waitcnt vmcnt(32) lgkmcnt(1)
	v_mul_f32_e32 v35, v10, v147
	v_add_f32_e32 v34, v34, v53
	v_fmac_f32_e32 v35, v11, v145
	v_add_f32_e32 v34, v34, v35
	s_waitcnt vmcnt(31)
	v_mul_f32_e32 v35, v12, v148
	v_fmac_f32_e32 v35, v13, v144
	v_add_f32_e32 v34, v34, v35
	s_waitcnt vmcnt(30) lgkmcnt(0)
	v_mul_f32_e32 v35, v2, v149
	v_fmac_f32_e32 v35, v3, v143
	v_add_f32_e32 v38, v34, v35
	ds_read_b128 v[34:37], v238 offset:656
	buffer_load_dword v222, off, s[0:3], 0 offset:280
	buffer_load_dword v223, off, s[0:3], 0 offset:284
	;; [unrolled: 1-line block ×4, first 2 shown]
	s_waitcnt vmcnt(32)
	v_mul_f32_e32 v39, v4, v151
	v_fmac_f32_e32 v39, v5, v150
	v_add_f32_e32 v50, v38, v39
	ds_read_b128 v[38:41], v238 offset:672
	buffer_load_dword v226, off, s[0:3], 0 offset:296
	buffer_load_dword v227, off, s[0:3], 0 offset:300
	;; [unrolled: 1-line block ×12, first 2 shown]
	s_waitcnt vmcnt(40) lgkmcnt(1)
	v_mul_f32_e32 v51, v34, v153
	v_fmac_f32_e32 v51, v35, v152
	buffer_load_dword v239, off, s[0:3], 0 offset:344
	buffer_load_dword v240, off, s[0:3], 0 offset:348
	v_add_f32_e32 v50, v50, v51
	s_waitcnt vmcnt(40)
	v_mul_f32_e32 v51, v36, v155
	v_fmac_f32_e32 v51, v37, v154
	buffer_load_dword v241, off, s[0:3], 0 offset:352
	buffer_load_dword v242, off, s[0:3], 0 offset:356
	v_add_f32_e32 v50, v50, v51
	s_waitcnt vmcnt(40) lgkmcnt(0)
	v_mul_f32_e32 v51, v38, v157
	v_fmac_f32_e32 v51, v39, v156
	v_add_f32_e32 v54, v50, v51
	ds_read_b128 v[50:53], v238 offset:688
	buffer_load_dword v243, off, s[0:3], 0 offset:360
	buffer_load_dword v244, off, s[0:3], 0 offset:364
	s_waitcnt vmcnt(40)
	v_mul_f32_e32 v55, v40, v159
	v_fmac_f32_e32 v55, v41, v158
	v_add_f32_e32 v58, v54, v55
	ds_read_b128 v[54:57], v238 offset:704
	buffer_load_dword v245, off, s[0:3], 0 offset:368
	buffer_load_dword v246, off, s[0:3], 0 offset:372
	;; [unrolled: 1-line block ×8, first 2 shown]
	s_waitcnt vmcnt(46) lgkmcnt(1)
	v_mul_f32_e32 v59, v50, v161
	v_fmac_f32_e32 v59, v51, v160
	v_add_f32_e32 v58, v58, v59
	s_waitcnt vmcnt(44)
	v_mul_f32_e32 v59, v52, v163
	v_fmac_f32_e32 v59, v53, v162
	v_add_f32_e32 v58, v58, v59
	s_waitcnt vmcnt(42) lgkmcnt(0)
	v_mul_f32_e32 v59, v54, v165
	v_fmac_f32_e32 v59, v55, v164
	v_add_f32_e32 v62, v58, v59
	buffer_load_dword v253, off, s[0:3], 0 offset:400
	buffer_load_dword v254, off, s[0:3], 0 offset:404
	;; [unrolled: 1-line block ×4, first 2 shown]
	ds_read_b128 v[58:61], v238 offset:720
	s_waitcnt vmcnt(44)
	v_mul_f32_e32 v63, v56, v167
	v_fmac_f32_e32 v63, v57, v166
	v_add_f32_e32 v66, v62, v63
	ds_read_b128 v[62:65], v238 offset:736
	s_waitcnt vmcnt(42) lgkmcnt(1)
	v_mul_f32_e32 v67, v58, v169
	v_fmac_f32_e32 v67, v59, v168
	v_add_f32_e32 v66, v66, v67
	s_waitcnt vmcnt(40)
	v_mul_f32_e32 v67, v60, v171
	v_fmac_f32_e32 v67, v61, v170
	v_add_f32_e32 v66, v66, v67
	s_waitcnt vmcnt(38) lgkmcnt(0)
	v_mul_f32_e32 v67, v62, v173
	v_fmac_f32_e32 v67, v63, v172
	v_add_f32_e32 v70, v66, v67
	ds_read_b128 v[66:69], v238 offset:752
	s_waitcnt vmcnt(36)
	v_mul_f32_e32 v71, v64, v175
	v_fmac_f32_e32 v71, v65, v174
	v_add_f32_e32 v74, v70, v71
	ds_read_b128 v[70:73], v238 offset:768
	s_waitcnt vmcnt(34) lgkmcnt(1)
	v_mul_f32_e32 v75, v66, v177
	v_fmac_f32_e32 v75, v67, v176
	v_add_f32_e32 v74, v74, v75
	v_mul_f32_e32 v31, v31, v48
	v_fma_f32 v30, v30, v134, -v31
	v_mul_f32_e32 v31, v33, v47
	v_add_f32_e32 v30, 0, v30
	v_fma_f32 v31, v32, v133, -v31
	v_mul_f32_e32 v27, v27, v49
	v_add_f32_e32 v30, v30, v31
	;; [unrolled: 3-line block ×4, first 2 shown]
	v_fma_f32 v22, v22, v137, -v23
	v_mul_f32_e32 v1, v25, v1
	s_waitcnt vmcnt(32)
	v_mul_f32_e32 v75, v68, v223
	v_fmac_f32_e32 v75, v69, v222
	v_add_f32_e32 v74, v74, v75
	s_waitcnt vmcnt(30) lgkmcnt(0)
	v_mul_f32_e32 v75, v70, v225
	v_fmac_f32_e32 v75, v71, v224
	v_add_f32_e32 v78, v74, v75
	ds_read_b128 v[74:77], v238 offset:784
	s_waitcnt vmcnt(28)
	v_mul_f32_e32 v79, v72, v227
	v_fmac_f32_e32 v79, v73, v226
	v_add_f32_e32 v82, v78, v79
	ds_read_b128 v[78:81], v238 offset:800
	s_waitcnt vmcnt(26) lgkmcnt(1)
	v_mul_f32_e32 v83, v74, v229
	v_fmac_f32_e32 v83, v75, v228
	v_add_f32_e32 v82, v82, v83
	s_waitcnt vmcnt(24)
	v_mul_f32_e32 v83, v76, v231
	v_fmac_f32_e32 v83, v77, v230
	v_add_f32_e32 v82, v82, v83
	s_waitcnt vmcnt(22) lgkmcnt(0)
	v_mul_f32_e32 v83, v78, v233
	v_fmac_f32_e32 v83, v79, v232
	v_add_f32_e32 v86, v82, v83
	ds_read_b128 v[82:85], v238 offset:816
	s_waitcnt vmcnt(20)
	v_mul_f32_e32 v87, v80, v235
	v_fmac_f32_e32 v87, v81, v234
	v_add_f32_e32 v90, v86, v87
	ds_read_b128 v[86:89], v238 offset:832
	s_waitcnt vmcnt(18) lgkmcnt(1)
	v_mul_f32_e32 v91, v82, v237
	v_fmac_f32_e32 v91, v83, v236
	v_add_f32_e32 v90, v90, v91
	s_waitcnt vmcnt(16)
	v_mul_f32_e32 v91, v84, v240
	v_fmac_f32_e32 v91, v85, v239
	v_add_f32_e32 v90, v90, v91
	s_waitcnt vmcnt(14) lgkmcnt(0)
	v_mul_f32_e32 v91, v86, v242
	v_fmac_f32_e32 v91, v87, v241
	v_add_f32_e32 v94, v90, v91
	ds_read_b128 v[90:93], v238 offset:848
	s_waitcnt vmcnt(12)
	v_mul_f32_e32 v95, v88, v244
	v_fmac_f32_e32 v95, v89, v243
	v_add_f32_e32 v98, v94, v95
	ds_read_b128 v[94:97], v238 offset:864
	buffer_load_dword v109, off, s[0:3], 0 offset:420
	buffer_load_dword v108, off, s[0:3], 0 offset:416
	s_waitcnt vmcnt(12) lgkmcnt(1)
	v_mul_f32_e32 v99, v90, v246
	v_fmac_f32_e32 v99, v91, v245
	v_add_f32_e32 v98, v98, v99
	s_waitcnt vmcnt(10)
	v_mul_f32_e32 v99, v92, v248
	v_fmac_f32_e32 v99, v93, v247
	v_add_f32_e32 v98, v98, v99
	s_waitcnt vmcnt(8) lgkmcnt(0)
	v_mul_f32_e32 v99, v94, v250
	v_fmac_f32_e32 v99, v95, v249
	s_waitcnt vmcnt(6)
	v_mul_f32_e32 v105, v96, v252
	v_add_f32_e32 v22, v26, v22
	v_fma_f32 v1, v24, v136, -v1
	v_mul_f32_e32 v19, v19, v44
	v_add_f32_e32 v104, v98, v99
	v_fmac_f32_e32 v105, v97, v251
	v_add_f32_e32 v1, v22, v1
	v_fma_f32 v18, v18, v135, -v19
	ds_read_b128 v[98:101], v238 offset:880
	v_add_f32_e32 v111, v104, v105
	ds_read_b128 v[104:107], v238 offset:896
	buffer_load_dword v117, off, s[0:3], 0 offset:452
	buffer_load_dword v116, off, s[0:3], 0 offset:448
	;; [unrolled: 1-line block ×14, first 2 shown]
	v_add_f32_e32 v1, v1, v18
	v_mul_f32_e32 v18, v21, v110
	v_fma_f32 v18, v20, v142, -v18
	v_mul_f32_e32 v15, v15, v112
	v_add_f32_e32 v1, v1, v18
	v_fma_f32 v14, v14, v141, -v15
	v_add_f32_e32 v1, v1, v14
	v_mul_f32_e32 v14, v17, v114
	v_fma_f32 v14, v16, v140, -v14
	v_mul_f32_e32 v7, v7, v130
	v_add_f32_e32 v1, v1, v14
	v_fma_f32 v6, v6, v139, -v7
	v_add_f32_e32 v1, v1, v6
	v_mul_f32_e32 v6, v9, v131
	v_fma_f32 v6, v8, v146, -v6
	v_add_f32_e32 v1, v1, v6
	v_mul_f32_e32 v6, v11, v147
	;; [unrolled: 3-line block ×3, first 2 shown]
	v_fma_f32 v6, v12, v144, -v6
	v_mul_f32_e32 v3, v3, v149
	v_add_f32_e32 v1, v1, v6
	v_fma_f32 v2, v2, v143, -v3
	v_add_f32_e32 v1, v1, v2
	v_mul_f32_e32 v2, v5, v151
	v_fma_f32 v2, v4, v150, -v2
	v_add_f32_e32 v1, v1, v2
	v_mul_f32_e32 v2, v35, v153
	;; [unrolled: 3-line block ×29, first 2 shown]
	v_fma_f32 v2, v96, v251, -v2
	s_waitcnt vmcnt(15)
	v_mov_b32_e32 v16, v109
	s_waitcnt lgkmcnt(1)
	v_mul_f32_e32 v113, v98, v254
	v_add_f32_e32 v110, v1, v2
	v_mul_f32_e32 v1, v99, v254
	s_waitcnt lgkmcnt(0)
	v_pk_mul_f32 v[16:17], v[104:105], v[16:17] op_sel_hi:[1,0]
	v_fmac_f32_e32 v113, v99, v253
	v_mul_f32_e32 v115, v100, v178
	v_fma_f32 v112, v98, v253, -v1
	v_mul_f32_e32 v1, v101, v178
	s_waitcnt vmcnt(14)
	v_pk_fma_f32 v[18:19], v[104:105], v[108:109], v[16:17] op_sel:[0,0,1] op_sel_hi:[1,1,0] neg_lo:[0,0,1] neg_hi:[0,0,1]
	v_pk_fma_f32 v[16:17], v[104:105], v[108:109], v[16:17] op_sel:[0,0,1] op_sel_hi:[1,0,0]
	v_fmac_f32_e32 v115, v101, v255
	v_fma_f32 v114, v100, v255, -v1
	v_pk_add_f32 v[14:15], v[110:111], v[112:113]
	s_waitcnt vmcnt(7)
	v_mov_b32_e32 v16, v123
	ds_read_b128 v[2:5], v238 offset:912
	ds_read_b128 v[6:9], v238 offset:928
	;; [unrolled: 1-line block ×3, first 2 shown]
	v_pk_add_f32 v[14:15], v[14:15], v[114:115]
	v_mov_b32_e32 v19, v17
	v_pk_mul_f32 v[16:17], v[106:107], v[16:17] op_sel_hi:[1,0]
	v_pk_add_f32 v[14:15], v[14:15], v[18:19]
	s_waitcnt vmcnt(6)
	v_pk_fma_f32 v[18:19], v[106:107], v[122:123], v[16:17] op_sel:[0,0,1] op_sel_hi:[1,1,0] neg_lo:[0,0,1] neg_hi:[0,0,1]
	v_pk_fma_f32 v[16:17], v[106:107], v[122:123], v[16:17] op_sel:[0,0,1] op_sel_hi:[1,0,0]
	v_mov_b32_e32 v16, v121
	v_mov_b32_e32 v19, v17
	s_waitcnt lgkmcnt(2)
	v_pk_mul_f32 v[16:17], v[2:3], v[16:17] op_sel_hi:[1,0]
	v_pk_add_f32 v[14:15], v[14:15], v[18:19]
	v_pk_fma_f32 v[18:19], v[2:3], v[120:121], v[16:17] op_sel:[0,0,1] op_sel_hi:[1,1,0] neg_lo:[0,0,1] neg_hi:[0,0,1]
	v_pk_fma_f32 v[2:3], v[2:3], v[120:121], v[16:17] op_sel:[0,0,1] op_sel_hi:[1,0,0]
	v_mov_b32_e32 v19, v3
	v_pk_add_f32 v[2:3], v[14:15], v[18:19]
	v_mov_b32_e32 v14, v119
	v_pk_mul_f32 v[14:15], v[4:5], v[14:15] op_sel_hi:[1,0]
	v_pk_fma_f32 v[16:17], v[4:5], v[118:119], v[14:15] op_sel:[0,0,1] op_sel_hi:[1,1,0] neg_lo:[0,0,1] neg_hi:[0,0,1]
	v_pk_fma_f32 v[4:5], v[4:5], v[118:119], v[14:15] op_sel:[0,0,1] op_sel_hi:[1,0,0]
	v_mov_b32_e32 v4, v117
	v_mov_b32_e32 v17, v5
	s_waitcnt lgkmcnt(1)
	v_pk_mul_f32 v[4:5], v[6:7], v[4:5] op_sel_hi:[1,0]
	v_pk_fma_f32 v[14:15], v[6:7], v[116:117], v[4:5] op_sel:[0,0,1] op_sel_hi:[1,1,0] neg_lo:[0,0,1] neg_hi:[0,0,1]
	v_pk_fma_f32 v[4:5], v[6:7], v[116:117], v[4:5] op_sel:[0,0,1] op_sel_hi:[1,0,0]
	s_waitcnt vmcnt(1)
	v_mov_b32_e32 v4, v129
	v_mov_b32_e32 v15, v5
	v_pk_mul_f32 v[4:5], v[8:9], v[4:5] op_sel_hi:[1,0]
	s_waitcnt vmcnt(0)
	v_pk_fma_f32 v[6:7], v[8:9], v[128:129], v[4:5] op_sel:[0,0,1] op_sel_hi:[1,1,0] neg_lo:[0,0,1] neg_hi:[0,0,1]
	v_pk_fma_f32 v[4:5], v[8:9], v[128:129], v[4:5] op_sel:[0,0,1] op_sel_hi:[1,0,0]
	v_pk_add_f32 v[2:3], v[2:3], v[16:17]
	v_mov_b32_e32 v4, v127
	v_pk_add_f32 v[2:3], v[2:3], v[14:15]
	v_mov_b32_e32 v7, v5
	s_waitcnt lgkmcnt(0)
	v_pk_mul_f32 v[4:5], v[10:11], v[4:5] op_sel_hi:[1,0]
	v_pk_add_f32 v[2:3], v[2:3], v[6:7]
	v_pk_fma_f32 v[6:7], v[10:11], v[126:127], v[4:5] op_sel:[0,0,1] op_sel_hi:[1,1,0] neg_lo:[0,0,1] neg_hi:[0,0,1]
	v_pk_fma_f32 v[4:5], v[10:11], v[126:127], v[4:5] op_sel:[0,0,1] op_sel_hi:[1,0,0]
	v_mov_b32_e32 v4, v125
	v_mov_b32_e32 v7, v5
	v_pk_mul_f32 v[4:5], v[12:13], v[4:5] op_sel_hi:[1,0]
	v_pk_add_f32 v[2:3], v[2:3], v[6:7]
	v_pk_fma_f32 v[6:7], v[12:13], v[124:125], v[4:5] op_sel:[0,0,1] op_sel_hi:[1,1,0] neg_lo:[0,0,1] neg_hi:[0,0,1]
	v_pk_fma_f32 v[4:5], v[12:13], v[124:125], v[4:5] op_sel:[0,0,1] op_sel_hi:[1,0,0]
	v_mov_b32_e32 v7, v5
	v_pk_add_f32 v[2:3], v[2:3], v[6:7]
	v_pk_add_f32 v[2:3], v[42:43], v[2:3] neg_lo:[0,1] neg_hi:[0,1]
	buffer_store_dword v3, off, s[0:3], 0 offset:44
	buffer_store_dword v2, off, s[0:3], 0 offset:40
	s_and_saveexec_b64 s[4:5], vcc
	s_cbranch_execz .LBB123_365
; %bb.364:
	buffer_load_dword v2, off, s[0:3], 0 offset:32
	buffer_load_dword v3, off, s[0:3], 0 offset:36
	v_mov_b32_e32 v1, 0
	buffer_store_dword v1, off, s[0:3], 0 offset:32
	buffer_store_dword v1, off, s[0:3], 0 offset:36
	s_waitcnt vmcnt(2)
	ds_write_b64 v195, v[2:3]
.LBB123_365:
	s_or_b64 exec, exec, s[4:5]
	s_waitcnt lgkmcnt(0)
	; wave barrier
	s_waitcnt lgkmcnt(0)
	buffer_load_dword v57, off, s[0:3], 0 offset:44
	buffer_load_dword v56, off, s[0:3], 0 offset:52
	;; [unrolled: 1-line block ×48, first 2 shown]
	v_mov_b32_e32 v52, 0
	ds_read2_b64 v[22:25], v52 offset0:65 offset1:66
	ds_read2_b64 v[18:21], v52 offset0:67 offset1:68
	;; [unrolled: 1-line block ×6, first 2 shown]
	v_cmp_lt_u32_e32 vcc, 3, v0
	s_waitcnt vmcnt(47) lgkmcnt(5)
	v_mul_f32_e32 v26, v22, v57
	s_waitcnt vmcnt(46)
	v_mul_f32_e32 v27, v24, v56
	s_waitcnt vmcnt(45) lgkmcnt(4)
	v_mul_f32_e32 v29, v20, v55
	s_waitcnt vmcnt(44) lgkmcnt(3)
	v_mul_f32_e32 v30, v14, v54
	s_waitcnt vmcnt(43)
	v_mul_f32_e32 v31, v16, v1
	s_waitcnt vmcnt(42)
	v_mul_f32_e32 v28, v18, v58
	s_waitcnt vmcnt(41) lgkmcnt(2)
	v_mul_f32_e32 v32, v10, v53
	s_waitcnt vmcnt(40)
	v_mul_f32_e32 v33, v12, v59
	s_waitcnt vmcnt(39) lgkmcnt(1)
	;; [unrolled: 4-line block ×3, first 2 shown]
	v_mul_f32_e32 v36, v2, v62
	s_waitcnt vmcnt(36)
	v_mul_f32_e32 v37, v4, v63
	s_waitcnt vmcnt(35)
	v_fmac_f32_e32 v28, v19, v69
	s_waitcnt vmcnt(34)
	v_fmac_f32_e32 v27, v25, v72
	;; [unrolled: 2-line block ×3, first 2 shown]
	v_add_f32_e32 v26, 0, v26
	v_add_f32_e32 v26, v26, v27
	;; [unrolled: 1-line block ×3, first 2 shown]
	s_waitcnt vmcnt(29)
	v_fmac_f32_e32 v29, v21, v74
	v_fmac_f32_e32 v30, v15, v71
	v_add_f32_e32 v26, v26, v29
	v_fmac_f32_e32 v31, v17, v68
	v_add_f32_e32 v26, v26, v30
	;; [unrolled: 2-line block ×3, first 2 shown]
	s_waitcnt vmcnt(25)
	v_fmac_f32_e32 v33, v13, v70
	v_add_f32_e32 v26, v26, v32
	v_fmac_f32_e32 v34, v7, v67
	v_add_f32_e32 v26, v26, v33
	;; [unrolled: 2-line block ×4, first 2 shown]
	s_waitcnt vmcnt(21)
	v_fmac_f32_e32 v37, v5, v81
	v_add_f32_e32 v30, v30, v36
	ds_read2_b64 v[26:29], v52 offset0:77 offset1:78
	v_add_f32_e32 v34, v30, v37
	ds_read2_b64 v[30:33], v52 offset0:79 offset1:80
	buffer_load_dword v167, off, s[0:3], 0 offset:224
	buffer_load_dword v168, off, s[0:3], 0 offset:228
	;; [unrolled: 1-line block ×6, first 2 shown]
	s_waitcnt vmcnt(26) lgkmcnt(1)
	v_mul_f32_e32 v35, v26, v80
	v_fmac_f32_e32 v35, v27, v78
	buffer_load_dword v173, off, s[0:3], 0 offset:248
	buffer_load_dword v174, off, s[0:3], 0 offset:252
	v_add_f32_e32 v34, v34, v35
	s_waitcnt vmcnt(27)
	v_mul_f32_e32 v35, v28, v79
	v_fmac_f32_e32 v35, v29, v76
	v_add_f32_e32 v34, v34, v35
	s_waitcnt vmcnt(26) lgkmcnt(0)
	v_mul_f32_e32 v35, v30, v77
	v_fmac_f32_e32 v35, v31, v73
	buffer_load_dword v175, off, s[0:3], 0 offset:256
	buffer_load_dword v176, off, s[0:3], 0 offset:260
	v_add_f32_e32 v34, v34, v35
	s_waitcnt vmcnt(21)
	v_mul_f32_e32 v35, v32, v140
	s_waitcnt vmcnt(20)
	v_fmac_f32_e32 v35, v33, v142
	v_add_f32_e32 v42, v34, v35
	ds_read2_b64 v[34:37], v52 offset0:81 offset1:82
	buffer_load_dword v177, off, s[0:3], 0 offset:264
	buffer_load_dword v178, off, s[0:3], 0 offset:268
	ds_read2_b64 v[38:41], v52 offset0:83 offset1:84
	buffer_load_dword v179, off, s[0:3], 0 offset:272
	buffer_load_dword v222, off, s[0:3], 0 offset:276
	;; [unrolled: 1-line block ×12, first 2 shown]
	s_waitcnt lgkmcnt(1)
	v_mul_f32_e32 v43, v34, v83
	v_fmac_f32_e32 v43, v35, v82
	buffer_load_dword v233, off, s[0:3], 0 offset:320
	buffer_load_dword v234, off, s[0:3], 0 offset:324
	v_add_f32_e32 v42, v42, v43
	v_mul_f32_e32 v43, v36, v85
	v_fmac_f32_e32 v43, v37, v84
	v_add_f32_e32 v42, v42, v43
	s_waitcnt lgkmcnt(0)
	v_mul_f32_e32 v43, v38, v87
	buffer_load_dword v235, off, s[0:3], 0 offset:328
	buffer_load_dword v236, off, s[0:3], 0 offset:332
	v_fmac_f32_e32 v43, v39, v86
	v_add_f32_e32 v46, v42, v43
	ds_read2_b64 v[42:45], v52 offset0:85 offset1:86
	buffer_load_dword v237, off, s[0:3], 0 offset:336
	buffer_load_dword v238, off, s[0:3], 0 offset:340
	;; [unrolled: 1-line block ×4, first 2 shown]
	s_waitcnt vmcnt(38)
	v_mul_f32_e32 v47, v40, v160
	v_fmac_f32_e32 v47, v41, v88
	v_add_f32_e32 v89, v46, v47
	ds_read2_b64 v[46:49], v52 offset0:87 offset1:88
	buffer_load_dword v241, off, s[0:3], 0 offset:352
	buffer_load_dword v242, off, s[0:3], 0 offset:356
	;; [unrolled: 1-line block ×10, first 2 shown]
	s_waitcnt vmcnt(46) lgkmcnt(1)
	v_mul_f32_e32 v90, v42, v162
	v_fmac_f32_e32 v90, v43, v161
	v_add_f32_e32 v89, v89, v90
	s_waitcnt vmcnt(44)
	v_mul_f32_e32 v90, v44, v164
	v_fmac_f32_e32 v90, v45, v163
	v_add_f32_e32 v89, v89, v90
	s_waitcnt vmcnt(42) lgkmcnt(0)
	v_mul_f32_e32 v90, v46, v166
	v_fmac_f32_e32 v90, v47, v165
	v_add_f32_e32 v89, v89, v90
	buffer_load_dword v251, off, s[0:3], 0 offset:392
	buffer_load_dword v252, off, s[0:3], 0 offset:396
	buffer_load_dword v253, off, s[0:3], 0 offset:400
	buffer_load_dword v254, off, s[0:3], 0 offset:404
	buffer_load_dword v255, off, s[0:3], 0 offset:408
	buffer_load_dword v180, off, s[0:3], 0 offset:412
	ds_read2_b64 v[90:93], v52 offset0:89 offset1:90
	v_mul_f32_e32 v23, v23, v57
	v_fma_f32 v22, v22, v75, -v23
	v_mul_f32_e32 v23, v25, v56
	v_add_f32_e32 v22, 0, v22
	v_fma_f32 v23, v24, v72, -v23
	v_mul_f32_e32 v19, v19, v58
	v_add_f32_e32 v22, v22, v23
	v_fma_f32 v18, v18, v69, -v19
	v_mul_f32_e32 v19, v21, v55
	v_add_f32_e32 v18, v22, v18
	v_fma_f32 v19, v20, v74, -v19
	v_mul_f32_e32 v15, v15, v54
	v_add_f32_e32 v18, v18, v19
	v_fma_f32 v14, v14, v71, -v15
	v_mul_f32_e32 v1, v17, v1
	v_add_f32_e32 v14, v18, v14
	v_fma_f32 v1, v16, v68, -v1
	v_mul_f32_e32 v11, v11, v53
	v_add_f32_e32 v1, v14, v1
	v_fma_f32 v10, v10, v66, -v11
	s_waitcnt vmcnt(46)
	v_mul_f32_e32 v94, v48, v168
	v_fmac_f32_e32 v94, v49, v167
	v_add_f32_e32 v89, v89, v94
	ds_read2_b64 v[94:97], v52 offset0:91 offset1:92
	s_waitcnt vmcnt(44) lgkmcnt(1)
	v_mul_f32_e32 v98, v90, v170
	v_fmac_f32_e32 v98, v91, v169
	v_add_f32_e32 v89, v89, v98
	s_waitcnt vmcnt(42)
	v_mul_f32_e32 v98, v92, v172
	v_fmac_f32_e32 v98, v93, v171
	v_add_f32_e32 v89, v89, v98
	s_waitcnt vmcnt(40) lgkmcnt(0)
	v_mul_f32_e32 v98, v94, v174
	v_fmac_f32_e32 v98, v95, v173
	v_add_f32_e32 v89, v89, v98
	ds_read2_b64 v[98:101], v52 offset0:93 offset1:94
	s_waitcnt vmcnt(38)
	v_mul_f32_e32 v104, v96, v176
	v_fmac_f32_e32 v104, v97, v175
	v_add_f32_e32 v89, v89, v104
	ds_read2_b64 v[104:107], v52 offset0:95 offset1:96
	s_waitcnt vmcnt(36) lgkmcnt(1)
	v_mul_f32_e32 v108, v98, v178
	v_fmac_f32_e32 v108, v99, v177
	v_add_f32_e32 v89, v89, v108
	s_waitcnt vmcnt(34)
	v_mul_f32_e32 v108, v100, v222
	v_fmac_f32_e32 v108, v101, v179
	v_add_f32_e32 v89, v89, v108
	s_waitcnt vmcnt(32) lgkmcnt(0)
	v_mul_f32_e32 v108, v104, v224
	v_fmac_f32_e32 v108, v105, v223
	v_add_f32_e32 v89, v89, v108
	ds_read2_b64 v[108:111], v52 offset0:97 offset1:98
	s_waitcnt vmcnt(30)
	v_mul_f32_e32 v112, v106, v226
	v_fmac_f32_e32 v112, v107, v225
	v_add_f32_e32 v89, v89, v112
	ds_read2_b64 v[112:115], v52 offset0:99 offset1:100
	s_waitcnt vmcnt(28) lgkmcnt(1)
	v_mul_f32_e32 v116, v108, v228
	v_fmac_f32_e32 v116, v109, v227
	v_add_f32_e32 v89, v89, v116
	s_waitcnt vmcnt(26)
	v_mul_f32_e32 v116, v110, v230
	v_fmac_f32_e32 v116, v111, v229
	v_add_f32_e32 v89, v89, v116
	s_waitcnt vmcnt(24) lgkmcnt(0)
	v_mul_f32_e32 v116, v112, v232
	v_fmac_f32_e32 v116, v113, v231
	v_add_f32_e32 v89, v89, v116
	ds_read2_b64 v[116:119], v52 offset0:101 offset1:102
	s_waitcnt vmcnt(22)
	v_mul_f32_e32 v120, v114, v234
	v_fmac_f32_e32 v120, v115, v233
	v_add_f32_e32 v89, v89, v120
	ds_read2_b64 v[120:123], v52 offset0:103 offset1:104
	s_waitcnt vmcnt(20) lgkmcnt(1)
	v_mul_f32_e32 v124, v116, v236
	v_fmac_f32_e32 v124, v117, v235
	v_add_f32_e32 v89, v89, v124
	s_waitcnt vmcnt(18)
	v_mul_f32_e32 v124, v118, v238
	v_fmac_f32_e32 v124, v119, v237
	v_add_f32_e32 v89, v89, v124
	s_waitcnt vmcnt(16) lgkmcnt(0)
	v_mul_f32_e32 v124, v120, v240
	v_fmac_f32_e32 v124, v121, v239
	v_add_f32_e32 v89, v89, v124
	ds_read2_b64 v[124:127], v52 offset0:105 offset1:106
	s_waitcnt vmcnt(14)
	v_mul_f32_e32 v128, v122, v242
	v_fmac_f32_e32 v128, v123, v241
	v_add_f32_e32 v89, v89, v128
	ds_read2_b64 v[128:131], v52 offset0:107 offset1:108
	s_waitcnt vmcnt(12) lgkmcnt(1)
	v_mul_f32_e32 v132, v124, v244
	v_fmac_f32_e32 v132, v125, v243
	v_add_f32_e32 v89, v89, v132
	s_waitcnt vmcnt(10)
	v_mul_f32_e32 v132, v126, v246
	v_fmac_f32_e32 v132, v127, v245
	v_add_f32_e32 v89, v89, v132
	s_waitcnt vmcnt(8) lgkmcnt(0)
	v_mul_f32_e32 v132, v128, v248
	v_fmac_f32_e32 v132, v129, v247
	s_waitcnt vmcnt(6)
	v_mul_f32_e32 v136, v130, v250
	v_add_f32_e32 v1, v1, v10
	v_mul_f32_e32 v10, v13, v59
	v_add_f32_e32 v89, v89, v132
	v_fmac_f32_e32 v136, v131, v249
	v_fma_f32 v10, v12, v70, -v10
	v_mul_f32_e32 v7, v7, v60
	ds_read2_b64 v[132:135], v52 offset0:109 offset1:110
	v_add_f32_e32 v89, v89, v136
	ds_read2_b64 v[136:139], v52 offset0:111 offset1:112
	buffer_load_dword v145, off, s[0:3], 0 offset:444
	buffer_load_dword v144, off, s[0:3], 0 offset:440
	;; [unrolled: 1-line block ×16, first 2 shown]
	v_add_f32_e32 v1, v1, v10
	v_fma_f32 v6, v6, v67, -v7
	v_add_f32_e32 v1, v1, v6
	v_mul_f32_e32 v6, v9, v61
	v_fma_f32 v6, v8, v65, -v6
	v_mul_f32_e32 v3, v3, v62
	v_add_f32_e32 v1, v1, v6
	v_fma_f32 v2, v2, v64, -v3
	v_add_f32_e32 v1, v1, v2
	v_mul_f32_e32 v2, v5, v63
	v_fma_f32 v2, v4, v81, -v2
	v_add_f32_e32 v1, v1, v2
	v_mul_f32_e32 v2, v27, v80
	;; [unrolled: 3-line block ×33, first 2 shown]
	v_fma_f32 v2, v130, v249, -v2
	s_waitcnt vmcnt(20) lgkmcnt(1)
	v_mul_f32_e32 v141, v132, v252
	v_add_f32_e32 v1, v1, v2
	v_mul_f32_e32 v2, v133, v252
	v_fmac_f32_e32 v141, v133, v251
	v_fma_f32 v2, v132, v251, -v2
	s_waitcnt vmcnt(9)
	v_mov_b32_e32 v18, v151
	v_add_f32_e32 v89, v89, v141
	v_mul_f32_e32 v141, v134, v254
	v_add_f32_e32 v88, v1, v2
	v_mul_f32_e32 v1, v135, v254
	s_waitcnt lgkmcnt(0)
	v_pk_mul_f32 v[18:19], v[138:139], v[18:19] op_sel_hi:[1,0]
	v_fmac_f32_e32 v141, v135, v253
	v_mul_f32_e32 v143, v136, v180
	v_fma_f32 v140, v134, v253, -v1
	v_mul_f32_e32 v1, v137, v180
	ds_read2_b64 v[2:5], v52 offset0:113 offset1:114
	ds_read2_b64 v[6:9], v52 offset0:115 offset1:116
	;; [unrolled: 1-line block ×3, first 2 shown]
	ds_read_b64 v[14:15], v52 offset:952
	s_waitcnt vmcnt(8)
	v_pk_fma_f32 v[20:21], v[138:139], v[150:151], v[18:19] op_sel:[0,0,1] op_sel_hi:[1,1,0] neg_lo:[0,0,1] neg_hi:[0,0,1]
	v_pk_fma_f32 v[18:19], v[138:139], v[150:151], v[18:19] op_sel:[0,0,1] op_sel_hi:[1,0,0]
	v_fmac_f32_e32 v143, v137, v255
	v_fma_f32 v142, v136, v255, -v1
	v_pk_add_f32 v[16:17], v[88:89], v[140:141]
	v_mov_b32_e32 v18, v149
	v_pk_add_f32 v[16:17], v[16:17], v[142:143]
	v_mov_b32_e32 v21, v19
	s_waitcnt lgkmcnt(3)
	v_pk_mul_f32 v[18:19], v[2:3], v[18:19] op_sel_hi:[1,0]
	v_pk_add_f32 v[16:17], v[16:17], v[20:21]
	v_pk_fma_f32 v[20:21], v[2:3], v[148:149], v[18:19] op_sel:[0,0,1] op_sel_hi:[1,1,0] neg_lo:[0,0,1] neg_hi:[0,0,1]
	v_pk_fma_f32 v[2:3], v[2:3], v[148:149], v[18:19] op_sel:[0,0,1] op_sel_hi:[1,0,0]
	v_mov_b32_e32 v21, v3
	v_pk_add_f32 v[2:3], v[16:17], v[20:21]
	v_mov_b32_e32 v16, v147
	v_pk_mul_f32 v[16:17], v[4:5], v[16:17] op_sel_hi:[1,0]
	v_pk_fma_f32 v[18:19], v[4:5], v[146:147], v[16:17] op_sel:[0,0,1] op_sel_hi:[1,1,0] neg_lo:[0,0,1] neg_hi:[0,0,1]
	v_pk_fma_f32 v[4:5], v[4:5], v[146:147], v[16:17] op_sel:[0,0,1] op_sel_hi:[1,0,0]
	v_mov_b32_e32 v4, v145
	v_mov_b32_e32 v19, v5
	s_waitcnt lgkmcnt(2)
	v_pk_mul_f32 v[4:5], v[6:7], v[4:5] op_sel_hi:[1,0]
	v_pk_fma_f32 v[16:17], v[6:7], v[144:145], v[4:5] op_sel:[0,0,1] op_sel_hi:[1,1,0] neg_lo:[0,0,1] neg_hi:[0,0,1]
	v_pk_fma_f32 v[4:5], v[6:7], v[144:145], v[4:5] op_sel:[0,0,1] op_sel_hi:[1,0,0]
	s_waitcnt vmcnt(1)
	v_mov_b32_e32 v4, v159
	v_mov_b32_e32 v17, v5
	v_pk_mul_f32 v[4:5], v[8:9], v[4:5] op_sel_hi:[1,0]
	s_waitcnt vmcnt(0)
	v_pk_fma_f32 v[6:7], v[8:9], v[158:159], v[4:5] op_sel:[0,0,1] op_sel_hi:[1,1,0] neg_lo:[0,0,1] neg_hi:[0,0,1]
	v_pk_fma_f32 v[4:5], v[8:9], v[158:159], v[4:5] op_sel:[0,0,1] op_sel_hi:[1,0,0]
	v_pk_add_f32 v[2:3], v[2:3], v[18:19]
	v_mov_b32_e32 v4, v157
	v_pk_add_f32 v[2:3], v[2:3], v[16:17]
	v_mov_b32_e32 v7, v5
	s_waitcnt lgkmcnt(1)
	v_pk_mul_f32 v[4:5], v[10:11], v[4:5] op_sel_hi:[1,0]
	v_pk_add_f32 v[2:3], v[2:3], v[6:7]
	v_pk_fma_f32 v[6:7], v[10:11], v[156:157], v[4:5] op_sel:[0,0,1] op_sel_hi:[1,1,0] neg_lo:[0,0,1] neg_hi:[0,0,1]
	v_pk_fma_f32 v[4:5], v[10:11], v[156:157], v[4:5] op_sel:[0,0,1] op_sel_hi:[1,0,0]
	v_mov_b32_e32 v4, v155
	v_mov_b32_e32 v7, v5
	v_pk_mul_f32 v[4:5], v[12:13], v[4:5] op_sel_hi:[1,0]
	v_pk_add_f32 v[2:3], v[2:3], v[6:7]
	v_pk_fma_f32 v[6:7], v[12:13], v[154:155], v[4:5] op_sel:[0,0,1] op_sel_hi:[1,1,0] neg_lo:[0,0,1] neg_hi:[0,0,1]
	v_pk_fma_f32 v[4:5], v[12:13], v[154:155], v[4:5] op_sel:[0,0,1] op_sel_hi:[1,0,0]
	v_mov_b32_e32 v4, v153
	v_mov_b32_e32 v7, v5
	s_waitcnt lgkmcnt(0)
	v_pk_mul_f32 v[4:5], v[14:15], v[4:5] op_sel_hi:[1,0]
	v_pk_add_f32 v[2:3], v[2:3], v[6:7]
	v_pk_fma_f32 v[6:7], v[14:15], v[152:153], v[4:5] op_sel:[0,0,1] op_sel_hi:[1,1,0] neg_lo:[0,0,1] neg_hi:[0,0,1]
	v_pk_fma_f32 v[4:5], v[14:15], v[152:153], v[4:5] op_sel:[0,0,1] op_sel_hi:[1,0,0]
	v_mov_b32_e32 v7, v5
	v_pk_add_f32 v[2:3], v[2:3], v[6:7]
	v_pk_add_f32 v[2:3], v[50:51], v[2:3] neg_lo:[0,1] neg_hi:[0,1]
	buffer_store_dword v3, off, s[0:3], 0 offset:36
	buffer_store_dword v2, off, s[0:3], 0 offset:32
	s_and_saveexec_b64 s[4:5], vcc
	s_cbranch_execz .LBB123_367
; %bb.366:
	buffer_load_dword v2, off, s[0:3], 0 offset:24
	buffer_load_dword v3, off, s[0:3], 0 offset:28
	s_waitcnt vmcnt(0)
	ds_write_b64 v195, v[2:3]
	buffer_store_dword v52, off, s[0:3], 0 offset:24
	buffer_store_dword v52, off, s[0:3], 0 offset:28
.LBB123_367:
	s_or_b64 exec, exec, s[4:5]
	s_waitcnt lgkmcnt(0)
	; wave barrier
	s_waitcnt lgkmcnt(0)
	buffer_load_dword v57, off, s[0:3], 0 offset:36
	buffer_load_dword v56, off, s[0:3], 0 offset:44
	;; [unrolled: 1-line block ×40, first 2 shown]
	ds_read_b128 v[26:29], v52 offset:512
	ds_read_b128 v[22:25], v52 offset:528
	;; [unrolled: 1-line block ×7, first 2 shown]
	buffer_load_dword v90, off, s[0:3], 0 offset:184
	buffer_load_dword v91, off, s[0:3], 0 offset:188
	;; [unrolled: 1-line block ×10, first 2 shown]
	v_cmp_lt_u32_e32 vcc, 2, v0
	s_waitcnt vmcnt(49) lgkmcnt(6)
	v_mul_f32_e32 v30, v26, v57
	s_waitcnt vmcnt(48)
	v_mul_f32_e32 v31, v28, v56
	s_waitcnt vmcnt(47) lgkmcnt(5)
	v_mul_f32_e32 v33, v24, v55
	s_waitcnt vmcnt(46) lgkmcnt(4)
	v_mul_f32_e32 v34, v18, v54
	s_waitcnt vmcnt(45)
	v_mul_f32_e32 v35, v20, v1
	s_waitcnt vmcnt(44)
	v_mul_f32_e32 v32, v22, v58
	s_waitcnt vmcnt(43) lgkmcnt(3)
	v_mul_f32_e32 v36, v14, v53
	s_waitcnt vmcnt(42)
	v_mul_f32_e32 v37, v16, v59
	s_waitcnt vmcnt(41) lgkmcnt(2)
	;; [unrolled: 4-line block ×3, first 2 shown]
	v_mul_f32_e32 v40, v6, v62
	s_waitcnt vmcnt(38)
	v_mul_f32_e32 v41, v8, v63
	s_waitcnt vmcnt(37)
	v_fmac_f32_e32 v32, v23, v69
	s_waitcnt vmcnt(36)
	v_fmac_f32_e32 v31, v29, v72
	;; [unrolled: 2-line block ×3, first 2 shown]
	v_add_f32_e32 v30, 0, v30
	v_add_f32_e32 v30, v30, v31
	;; [unrolled: 1-line block ×3, first 2 shown]
	s_waitcnt vmcnt(31)
	v_fmac_f32_e32 v33, v25, v74
	v_fmac_f32_e32 v34, v19, v71
	v_add_f32_e32 v30, v30, v33
	v_fmac_f32_e32 v35, v21, v68
	v_add_f32_e32 v30, v30, v34
	;; [unrolled: 2-line block ×3, first 2 shown]
	s_waitcnt vmcnt(27)
	v_fmac_f32_e32 v37, v17, v70
	v_add_f32_e32 v30, v30, v36
	v_fmac_f32_e32 v38, v11, v67
	v_add_f32_e32 v30, v30, v37
	;; [unrolled: 2-line block ×4, first 2 shown]
	s_waitcnt vmcnt(23)
	v_fmac_f32_e32 v41, v9, v81
	v_add_f32_e32 v30, v30, v40
	v_add_f32_e32 v34, v30, v41
	ds_read_b128 v[30:33], v52 offset:624
	s_waitcnt vmcnt(22) lgkmcnt(1)
	v_mul_f32_e32 v35, v2, v80
	buffer_load_dword v169, off, s[0:3], 0 offset:224
	buffer_load_dword v170, off, s[0:3], 0 offset:228
	v_fmac_f32_e32 v35, v3, v78
	v_add_f32_e32 v34, v34, v35
	s_waitcnt vmcnt(23)
	v_mul_f32_e32 v35, v4, v79
	buffer_load_dword v171, off, s[0:3], 0 offset:232
	buffer_load_dword v172, off, s[0:3], 0 offset:236
	v_fmac_f32_e32 v35, v5, v76
	v_add_f32_e32 v34, v34, v35
	s_waitcnt vmcnt(24) lgkmcnt(0)
	v_mul_f32_e32 v35, v30, v77
	buffer_load_dword v173, off, s[0:3], 0 offset:240
	buffer_load_dword v174, off, s[0:3], 0 offset:244
	v_fmac_f32_e32 v35, v31, v73
	v_add_f32_e32 v38, v34, v35
	s_waitcnt vmcnt(19)
	v_mul_f32_e32 v39, v32, v89
	ds_read_b128 v[34:37], v52 offset:640
	buffer_load_dword v175, off, s[0:3], 0 offset:248
	buffer_load_dword v176, off, s[0:3], 0 offset:252
	s_waitcnt vmcnt(20)
	v_fmac_f32_e32 v39, v33, v88
	v_add_f32_e32 v42, v38, v39
	ds_read_b128 v[38:41], v52 offset:656
	buffer_load_dword v177, off, s[0:3], 0 offset:256
	buffer_load_dword v178, off, s[0:3], 0 offset:260
	;; [unrolled: 1-line block ×8, first 2 shown]
	s_waitcnt lgkmcnt(1)
	v_mul_f32_e32 v43, v34, v83
	buffer_load_dword v225, off, s[0:3], 0 offset:288
	buffer_load_dword v226, off, s[0:3], 0 offset:292
	v_fmac_f32_e32 v43, v35, v82
	v_add_f32_e32 v42, v42, v43
	v_mul_f32_e32 v43, v36, v85
	buffer_load_dword v227, off, s[0:3], 0 offset:296
	buffer_load_dword v228, off, s[0:3], 0 offset:300
	v_fmac_f32_e32 v43, v37, v84
	v_add_f32_e32 v42, v42, v43
	s_waitcnt lgkmcnt(0)
	v_mul_f32_e32 v43, v38, v87
	buffer_load_dword v229, off, s[0:3], 0 offset:304
	buffer_load_dword v230, off, s[0:3], 0 offset:308
	v_fmac_f32_e32 v43, v39, v86
	v_add_f32_e32 v42, v42, v43
	s_waitcnt vmcnt(30)
	v_mul_f32_e32 v43, v40, v91
	buffer_load_dword v231, off, s[0:3], 0 offset:312
	buffer_load_dword v232, off, s[0:3], 0 offset:316
	v_fmac_f32_e32 v43, v41, v90
	v_add_f32_e32 v95, v42, v43
	ds_read_b128 v[42:45], v52 offset:672
	buffer_load_dword v233, off, s[0:3], 0 offset:320
	buffer_load_dword v234, off, s[0:3], 0 offset:324
	ds_read_b128 v[46:49], v52 offset:688
	buffer_load_dword v235, off, s[0:3], 0 offset:328
	buffer_load_dword v236, off, s[0:3], 0 offset:332
	;; [unrolled: 1-line block ×10, first 2 shown]
	s_waitcnt vmcnt(42) lgkmcnt(1)
	v_mul_f32_e32 v96, v42, v93
	buffer_load_dword v245, off, s[0:3], 0 offset:368
	buffer_load_dword v246, off, s[0:3], 0 offset:372
	v_fmac_f32_e32 v96, v43, v92
	v_add_f32_e32 v95, v95, v96
	s_waitcnt vmcnt(42)
	v_mul_f32_e32 v96, v44, v100
	buffer_load_dword v247, off, s[0:3], 0 offset:376
	buffer_load_dword v248, off, s[0:3], 0 offset:380
	v_fmac_f32_e32 v96, v45, v94
	v_add_f32_e32 v95, v95, v96
	s_waitcnt vmcnt(42) lgkmcnt(0)
	v_mul_f32_e32 v96, v46, v166
	buffer_load_dword v249, off, s[0:3], 0 offset:384
	buffer_load_dword v250, off, s[0:3], 0 offset:388
	v_fmac_f32_e32 v96, v47, v154
	v_mul_f32_e32 v27, v27, v57
	v_add_f32_e32 v95, v95, v96
	ds_read_b128 v[96:99], v52 offset:704
	buffer_load_dword v251, off, s[0:3], 0 offset:392
	buffer_load_dword v252, off, s[0:3], 0 offset:396
	v_fma_f32 v26, v26, v75, -v27
	v_mul_f32_e32 v27, v29, v56
	v_add_f32_e32 v26, 0, v26
	v_fma_f32 v27, v28, v72, -v27
	v_mul_f32_e32 v23, v23, v58
	v_add_f32_e32 v26, v26, v27
	v_fma_f32 v22, v22, v69, -v23
	v_mul_f32_e32 v23, v25, v55
	buffer_load_dword v253, off, s[0:3], 0 offset:400
	buffer_load_dword v254, off, s[0:3], 0 offset:404
	v_add_f32_e32 v22, v26, v22
	v_fma_f32 v23, v24, v74, -v23
	v_mul_f32_e32 v19, v19, v54
	ds_read_b128 v[104:107], v52 offset:720
	buffer_load_dword v255, off, s[0:3], 0 offset:408
	buffer_load_dword v182, off, s[0:3], 0 offset:412
	ds_read_b128 v[108:111], v52 offset:736
	ds_read_b128 v[112:115], v52 offset:752
	;; [unrolled: 1-line block ×10, first 2 shown]
	buffer_load_dword v149, off, s[0:3], 0 offset:436
	buffer_load_dword v148, off, s[0:3], 0 offset:432
	;; [unrolled: 1-line block ×6, first 2 shown]
	v_add_f32_e32 v22, v22, v23
	v_fma_f32 v18, v18, v71, -v19
	v_mul_f32_e32 v1, v21, v1
	v_add_f32_e32 v18, v22, v18
	v_fma_f32 v1, v20, v68, -v1
	v_mul_f32_e32 v15, v15, v53
	v_add_f32_e32 v1, v18, v1
	v_fma_f32 v14, v14, v66, -v15
	v_add_f32_e32 v1, v1, v14
	v_mul_f32_e32 v14, v17, v59
	v_fma_f32 v14, v16, v70, -v14
	v_mul_f32_e32 v11, v11, v60
	v_add_f32_e32 v1, v1, v14
	v_fma_f32 v10, v10, v67, -v11
	v_add_f32_e32 v1, v1, v10
	v_mul_f32_e32 v10, v13, v61
	;; [unrolled: 6-line block ×3, first 2 shown]
	v_fma_f32 v6, v8, v81, -v6
	v_mul_f32_e32 v3, v3, v80
	v_add_f32_e32 v1, v1, v6
	v_fma_f32 v2, v2, v78, -v3
	buffer_load_dword v157, off, s[0:3], 0 offset:468
	buffer_load_dword v156, off, s[0:3], 0 offset:464
	;; [unrolled: 1-line block ×10, first 2 shown]
	v_add_f32_e32 v1, v1, v2
	v_mul_f32_e32 v2, v5, v79
	v_fma_f32 v2, v4, v76, -v2
	v_add_f32_e32 v1, v1, v2
	v_mul_f32_e32 v2, v31, v77
	v_fma_f32 v2, v30, v73, -v2
	;; [unrolled: 3-line block ×10, first 2 shown]
	v_add_f32_e32 v1, v1, v2
	s_waitcnt vmcnt(62)
	v_mul_f32_e32 v2, v49, v168
	v_mul_f32_e32 v101, v48, v168
	v_fma_f32 v2, v48, v167, -v2
	v_fmac_f32_e32 v101, v49, v167
	v_add_f32_e32 v1, v1, v2
	s_waitcnt lgkmcnt(11)
	v_mul_f32_e32 v2, v97, v170
	v_add_f32_e32 v95, v95, v101
	v_mul_f32_e32 v101, v96, v170
	v_fma_f32 v2, v96, v169, -v2
	v_fmac_f32_e32 v101, v97, v169
	v_add_f32_e32 v1, v1, v2
	s_waitcnt vmcnt(60)
	v_mul_f32_e32 v2, v99, v172
	v_add_f32_e32 v95, v95, v101
	v_mul_f32_e32 v101, v98, v172
	v_fma_f32 v2, v98, v171, -v2
	v_fmac_f32_e32 v101, v99, v171
	v_add_f32_e32 v1, v1, v2
	s_waitcnt vmcnt(58) lgkmcnt(10)
	v_mul_f32_e32 v2, v105, v174
	v_add_f32_e32 v95, v95, v101
	v_mul_f32_e32 v101, v104, v174
	v_fma_f32 v2, v104, v173, -v2
	v_fmac_f32_e32 v101, v105, v173
	v_add_f32_e32 v1, v1, v2
	s_waitcnt vmcnt(56)
	v_mul_f32_e32 v2, v107, v176
	v_add_f32_e32 v95, v95, v101
	v_mul_f32_e32 v101, v106, v176
	v_fma_f32 v2, v106, v175, -v2
	v_fmac_f32_e32 v101, v107, v175
	v_add_f32_e32 v1, v1, v2
	s_waitcnt vmcnt(54) lgkmcnt(9)
	;; [unrolled: 14-line block ×10, first 2 shown]
	v_mul_f32_e32 v2, v141, v250
	v_add_f32_e32 v95, v95, v101
	v_mul_f32_e32 v101, v140, v250
	v_fma_f32 v2, v140, v249, -v2
	v_fmac_f32_e32 v101, v141, v249
	v_add_f32_e32 v1, v1, v2
	s_waitcnt vmcnt(20)
	v_mul_f32_e32 v2, v143, v252
	v_add_f32_e32 v95, v95, v101
	v_mul_f32_e32 v101, v142, v252
	v_fma_f32 v2, v142, v251, -v2
	v_fmac_f32_e32 v101, v143, v251
	v_add_f32_e32 v94, v1, v2
	ds_read_b128 v[2:5], v52 offset:896
	ds_read_b128 v[6:9], v52 offset:912
	;; [unrolled: 1-line block ×4, first 2 shown]
	v_add_f32_e32 v95, v95, v101
	s_waitcnt vmcnt(18) lgkmcnt(4)
	v_mul_f32_e32 v101, v144, v254
	v_mul_f32_e32 v1, v145, v254
	s_waitcnt vmcnt(11)
	v_mov_b32_e32 v20, v153
	v_fmac_f32_e32 v101, v145, v253
	v_mul_f32_e32 v155, v146, v182
	v_fma_f32 v100, v144, v253, -v1
	v_mul_f32_e32 v1, v147, v182
	s_waitcnt lgkmcnt(3)
	v_pk_mul_f32 v[20:21], v[2:3], v[20:21] op_sel_hi:[1,0]
	v_fmac_f32_e32 v155, v147, v255
	v_fma_f32 v154, v146, v255, -v1
	v_pk_add_f32 v[18:19], v[94:95], v[100:101]
	s_waitcnt vmcnt(10)
	v_pk_fma_f32 v[22:23], v[2:3], v[152:153], v[20:21] op_sel:[0,0,1] op_sel_hi:[1,1,0] neg_lo:[0,0,1] neg_hi:[0,0,1]
	v_pk_fma_f32 v[2:3], v[2:3], v[152:153], v[20:21] op_sel:[0,0,1] op_sel_hi:[1,0,0]
	v_pk_add_f32 v[18:19], v[18:19], v[154:155]
	v_mov_b32_e32 v23, v3
	v_pk_add_f32 v[2:3], v[18:19], v[22:23]
	v_mov_b32_e32 v18, v151
	v_pk_mul_f32 v[18:19], v[4:5], v[18:19] op_sel_hi:[1,0]
	v_pk_fma_f32 v[20:21], v[4:5], v[150:151], v[18:19] op_sel:[0,0,1] op_sel_hi:[1,1,0] neg_lo:[0,0,1] neg_hi:[0,0,1]
	v_pk_fma_f32 v[4:5], v[4:5], v[150:151], v[18:19] op_sel:[0,0,1] op_sel_hi:[1,0,0]
	v_mov_b32_e32 v4, v149
	v_mov_b32_e32 v21, v5
	s_waitcnt lgkmcnt(2)
	v_pk_mul_f32 v[4:5], v[6:7], v[4:5] op_sel_hi:[1,0]
	v_pk_fma_f32 v[18:19], v[6:7], v[148:149], v[4:5] op_sel:[0,0,1] op_sel_hi:[1,1,0] neg_lo:[0,0,1] neg_hi:[0,0,1]
	v_pk_fma_f32 v[4:5], v[6:7], v[148:149], v[4:5] op_sel:[0,0,1] op_sel_hi:[1,0,0]
	s_waitcnt vmcnt(3)
	v_mov_b32_e32 v4, v163
	v_mov_b32_e32 v19, v5
	v_pk_mul_f32 v[4:5], v[8:9], v[4:5] op_sel_hi:[1,0]
	s_waitcnt vmcnt(2)
	v_pk_fma_f32 v[6:7], v[8:9], v[162:163], v[4:5] op_sel:[0,0,1] op_sel_hi:[1,1,0] neg_lo:[0,0,1] neg_hi:[0,0,1]
	v_pk_fma_f32 v[4:5], v[8:9], v[162:163], v[4:5] op_sel:[0,0,1] op_sel_hi:[1,0,0]
	v_pk_add_f32 v[2:3], v[2:3], v[20:21]
	v_mov_b32_e32 v4, v161
	v_pk_add_f32 v[2:3], v[2:3], v[18:19]
	v_mov_b32_e32 v7, v5
	s_waitcnt lgkmcnt(1)
	v_pk_mul_f32 v[4:5], v[10:11], v[4:5] op_sel_hi:[1,0]
	v_pk_add_f32 v[2:3], v[2:3], v[6:7]
	v_pk_fma_f32 v[6:7], v[10:11], v[160:161], v[4:5] op_sel:[0,0,1] op_sel_hi:[1,1,0] neg_lo:[0,0,1] neg_hi:[0,0,1]
	v_pk_fma_f32 v[4:5], v[10:11], v[160:161], v[4:5] op_sel:[0,0,1] op_sel_hi:[1,0,0]
	v_mov_b32_e32 v4, v159
	v_mov_b32_e32 v7, v5
	v_pk_mul_f32 v[4:5], v[12:13], v[4:5] op_sel_hi:[1,0]
	v_pk_add_f32 v[2:3], v[2:3], v[6:7]
	v_pk_fma_f32 v[6:7], v[12:13], v[158:159], v[4:5] op_sel:[0,0,1] op_sel_hi:[1,1,0] neg_lo:[0,0,1] neg_hi:[0,0,1]
	v_pk_fma_f32 v[4:5], v[12:13], v[158:159], v[4:5] op_sel:[0,0,1] op_sel_hi:[1,0,0]
	v_mov_b32_e32 v4, v157
	v_mov_b32_e32 v7, v5
	s_waitcnt lgkmcnt(0)
	v_pk_mul_f32 v[4:5], v[14:15], v[4:5] op_sel_hi:[1,0]
	v_pk_add_f32 v[2:3], v[2:3], v[6:7]
	v_pk_fma_f32 v[6:7], v[14:15], v[156:157], v[4:5] op_sel:[0,0,1] op_sel_hi:[1,1,0] neg_lo:[0,0,1] neg_hi:[0,0,1]
	v_pk_fma_f32 v[4:5], v[14:15], v[156:157], v[4:5] op_sel:[0,0,1] op_sel_hi:[1,0,0]
	s_waitcnt vmcnt(1)
	v_mov_b32_e32 v4, v165
	v_mov_b32_e32 v7, v5
	v_pk_mul_f32 v[4:5], v[16:17], v[4:5] op_sel_hi:[1,0]
	v_pk_add_f32 v[2:3], v[2:3], v[6:7]
	s_waitcnt vmcnt(0)
	v_pk_fma_f32 v[6:7], v[16:17], v[164:165], v[4:5] op_sel:[0,0,1] op_sel_hi:[1,1,0] neg_lo:[0,0,1] neg_hi:[0,0,1]
	v_pk_fma_f32 v[4:5], v[16:17], v[164:165], v[4:5] op_sel:[0,0,1] op_sel_hi:[1,0,0]
	v_mov_b32_e32 v7, v5
	v_pk_add_f32 v[2:3], v[2:3], v[6:7]
	v_pk_add_f32 v[2:3], v[50:51], v[2:3] neg_lo:[0,1] neg_hi:[0,1]
	buffer_store_dword v3, off, s[0:3], 0 offset:28
	buffer_store_dword v2, off, s[0:3], 0 offset:24
	s_and_saveexec_b64 s[4:5], vcc
	s_cbranch_execz .LBB123_369
; %bb.368:
	buffer_load_dword v2, off, s[0:3], 0 offset:16
	buffer_load_dword v3, off, s[0:3], 0 offset:20
	v_mov_b32_e32 v1, 0
	buffer_store_dword v1, off, s[0:3], 0 offset:16
	buffer_store_dword v1, off, s[0:3], 0 offset:20
	s_waitcnt vmcnt(2)
	ds_write_b64 v195, v[2:3]
.LBB123_369:
	s_or_b64 exec, exec, s[4:5]
	v_mov_b32_e32 v246, 0
	s_waitcnt lgkmcnt(0)
	; wave barrier
	s_waitcnt lgkmcnt(0)
	ds_read2_b64 v[2:5], v246 offset0:63 offset1:64
	buffer_load_dword v222, off, s[0:3], 0 offset:16
	buffer_load_dword v223, off, s[0:3], 0 offset:20
	;; [unrolled: 1-line block ×16, first 2 shown]
	v_cmp_lt_u32_e32 vcc, 1, v0
	s_waitcnt vmcnt(12) lgkmcnt(0)
	v_mul_f32_e32 v6, v2, v247
	v_fmac_f32_e32 v6, v3, v224
	s_waitcnt vmcnt(10)
	v_mul_f32_e32 v7, v4, v249
	v_add_f32_e32 v6, 0, v6
	v_fmac_f32_e32 v7, v5, v226
	v_add_f32_e32 v10, v6, v7
	ds_read2_b64 v[6:9], v246 offset0:65 offset1:66
	v_mul_f32_e32 v3, v3, v247
	v_fma_f32 v2, v2, v224, -v3
	v_mul_f32_e32 v3, v5, v249
	v_add_f32_e32 v2, 0, v2
	s_waitcnt vmcnt(8) lgkmcnt(0)
	v_mul_f32_e32 v11, v6, v251
	v_fmac_f32_e32 v11, v7, v230
	v_add_f32_e32 v10, v10, v11
	s_waitcnt vmcnt(6)
	v_mul_f32_e32 v11, v8, v253
	v_fmac_f32_e32 v11, v9, v248
	v_add_f32_e32 v14, v10, v11
	ds_read2_b64 v[10:13], v246 offset0:67 offset1:68
	v_fma_f32 v3, v4, v226, -v3
	v_add_f32_e32 v2, v2, v3
	v_mul_f32_e32 v3, v7, v251
	v_fma_f32 v3, v6, v230, -v3
	s_waitcnt vmcnt(4) lgkmcnt(0)
	v_mul_f32_e32 v15, v10, v255
	v_fmac_f32_e32 v15, v11, v250
	v_add_f32_e32 v14, v14, v15
	s_waitcnt vmcnt(2)
	v_mul_f32_e32 v15, v12, v1
	v_fmac_f32_e32 v15, v13, v252
	v_add_f32_e32 v18, v14, v15
	ds_read2_b64 v[14:17], v246 offset0:69 offset1:70
	buffer_load_dword v105, off, s[0:3], 0 offset:80
	buffer_load_dword v106, off, s[0:3], 0 offset:84
	v_add_f32_e32 v2, v2, v3
	v_mul_f32_e32 v3, v9, v253
	v_fma_f32 v3, v8, v248, -v3
	s_waitcnt vmcnt(2) lgkmcnt(0)
	v_mul_f32_e32 v19, v14, v104
	v_fmac_f32_e32 v19, v15, v254
	v_add_f32_e32 v18, v18, v19
	v_add_f32_e32 v2, v2, v3
	v_mul_f32_e32 v3, v11, v255
	v_fma_f32 v3, v10, v250, -v3
	v_mul_f32_e32 v1, v13, v1
	v_add_f32_e32 v2, v2, v3
	v_fma_f32 v1, v12, v252, -v1
	v_add_f32_e32 v1, v2, v1
	v_mul_f32_e32 v2, v15, v104
	v_fma_f32 v2, v14, v254, -v2
	v_add_f32_e32 v1, v1, v2
	s_waitcnt vmcnt(0)
	v_mul_f32_e32 v19, v16, v106
	v_fmac_f32_e32 v19, v17, v105
	v_add_f32_e32 v22, v18, v19
	ds_read2_b64 v[18:21], v246 offset0:71 offset1:72
	buffer_load_dword v107, off, s[0:3], 0 offset:88
	buffer_load_dword v108, off, s[0:3], 0 offset:92
	;; [unrolled: 1-line block ×4, first 2 shown]
	v_mul_f32_e32 v2, v17, v106
	v_fma_f32 v2, v16, v105, -v2
	v_add_f32_e32 v1, v1, v2
	s_waitcnt vmcnt(2) lgkmcnt(0)
	v_mul_f32_e32 v23, v18, v108
	v_fmac_f32_e32 v23, v19, v107
	v_add_f32_e32 v22, v22, v23
	s_waitcnt vmcnt(0)
	v_mul_f32_e32 v23, v20, v110
	v_fmac_f32_e32 v23, v21, v109
	v_add_f32_e32 v26, v22, v23
	ds_read2_b64 v[22:25], v246 offset0:73 offset1:74
	buffer_load_dword v111, off, s[0:3], 0 offset:104
	buffer_load_dword v112, off, s[0:3], 0 offset:108
	buffer_load_dword v113, off, s[0:3], 0 offset:112
	buffer_load_dword v114, off, s[0:3], 0 offset:116
	v_mul_f32_e32 v2, v19, v108
	v_fma_f32 v2, v18, v107, -v2
	v_add_f32_e32 v1, v1, v2
	v_mul_f32_e32 v2, v21, v110
	v_fma_f32 v2, v20, v109, -v2
	v_add_f32_e32 v1, v1, v2
	s_waitcnt vmcnt(2) lgkmcnt(0)
	v_mul_f32_e32 v27, v22, v112
	v_fmac_f32_e32 v27, v23, v111
	v_add_f32_e32 v26, v26, v27
	s_waitcnt vmcnt(0)
	v_mul_f32_e32 v27, v24, v114
	v_fmac_f32_e32 v27, v25, v113
	v_add_f32_e32 v30, v26, v27
	ds_read2_b64 v[26:29], v246 offset0:75 offset1:76
	buffer_load_dword v115, off, s[0:3], 0 offset:120
	buffer_load_dword v116, off, s[0:3], 0 offset:124
	buffer_load_dword v117, off, s[0:3], 0 offset:128
	buffer_load_dword v118, off, s[0:3], 0 offset:132
	v_mul_f32_e32 v2, v23, v112
	v_fma_f32 v2, v22, v111, -v2
	v_add_f32_e32 v1, v1, v2
	;; [unrolled: 19-line block ×6, first 2 shown]
	v_mul_f32_e32 v2, v41, v130
	v_fma_f32 v2, v40, v129, -v2
	v_add_f32_e32 v1, v1, v2
	s_waitcnt vmcnt(2) lgkmcnt(0)
	v_mul_f32_e32 v47, v42, v132
	v_fmac_f32_e32 v47, v43, v131
	v_add_f32_e32 v46, v46, v47
	s_waitcnt vmcnt(0)
	v_mul_f32_e32 v47, v44, v134
	v_fmac_f32_e32 v47, v45, v133
	v_add_f32_e32 v50, v46, v47
	ds_read2_b64 v[46:49], v246 offset0:85 offset1:86
	buffer_load_dword v135, off, s[0:3], 0 offset:200
	buffer_load_dword v136, off, s[0:3], 0 offset:204
	buffer_load_dword v137, off, s[0:3], 0 offset:208
	buffer_load_dword v138, off, s[0:3], 0 offset:212
	ds_read2_b64 v[54:57], v246 offset0:87 offset1:88
	buffer_load_dword v139, off, s[0:3], 0 offset:216
	buffer_load_dword v140, off, s[0:3], 0 offset:220
	buffer_load_dword v141, off, s[0:3], 0 offset:224
	buffer_load_dword v142, off, s[0:3], 0 offset:228
	;; [unrolled: 5-line block ×13, first 2 shown]
	v_mul_f32_e32 v2, v43, v132
	v_fma_f32 v2, v42, v131, -v2
	v_add_f32_e32 v1, v1, v2
	v_mul_f32_e32 v2, v45, v134
	v_fma_f32 v2, v44, v133, -v2
	v_add_f32_e32 v1, v1, v2
	s_waitcnt vmcnt(50) lgkmcnt(12)
	v_mul_f32_e32 v51, v46, v136
	v_fmac_f32_e32 v51, v47, v135
	v_add_f32_e32 v50, v50, v51
	s_waitcnt vmcnt(48)
	v_mul_f32_e32 v51, v48, v138
	v_fmac_f32_e32 v51, v49, v137
	v_add_f32_e32 v50, v50, v51
	s_waitcnt vmcnt(46) lgkmcnt(11)
	v_mul_f32_e32 v51, v54, v140
	v_fmac_f32_e32 v51, v55, v139
	v_add_f32_e32 v50, v50, v51
	s_waitcnt vmcnt(44)
	v_mul_f32_e32 v51, v56, v142
	v_fmac_f32_e32 v51, v57, v141
	;; [unrolled: 8-line block ×12, first 2 shown]
	v_add_f32_e32 v50, v50, v51
	s_waitcnt vmcnt(2) lgkmcnt(0)
	v_mul_f32_e32 v51, v98, v184
	v_fmac_f32_e32 v51, v99, v183
	v_add_f32_e32 v225, v50, v51
	ds_read2_b64 v[50:53], v246 offset0:111 offset1:112
	buffer_load_dword v187, off, s[0:3], 0 offset:408
	buffer_load_dword v188, off, s[0:3], 0 offset:412
	;; [unrolled: 1-line block ×18, first 2 shown]
	v_mul_f32_e32 v2, v47, v136
	v_fma_f32 v2, v46, v135, -v2
	v_add_f32_e32 v1, v1, v2
	v_mul_f32_e32 v2, v49, v138
	v_fma_f32 v2, v48, v137, -v2
	v_add_f32_e32 v1, v1, v2
	;; [unrolled: 3-line block ×24, first 2 shown]
	v_mul_f32_e32 v2, v99, v184
	v_fma_f32 v2, v98, v183, -v2
	s_waitcnt vmcnt(15)
	v_mov_b32_e32 v18, v229
	v_mul_f32_e32 v227, v100, v186
	v_add_f32_e32 v224, v1, v2
	v_mul_f32_e32 v1, v101, v186
	s_waitcnt lgkmcnt(0)
	v_pk_mul_f32 v[18:19], v[52:53], v[18:19] op_sel_hi:[1,0]
	v_fmac_f32_e32 v227, v101, v185
	v_mul_f32_e32 v231, v50, v188
	v_fma_f32 v226, v100, v185, -v1
	v_mul_f32_e32 v1, v51, v188
	ds_read2_b64 v[2:5], v246 offset0:113 offset1:114
	ds_read2_b64 v[6:9], v246 offset0:115 offset1:116
	;; [unrolled: 1-line block ×3, first 2 shown]
	ds_read_b64 v[14:15], v246 offset:952
	s_waitcnt vmcnt(14)
	v_pk_fma_f32 v[20:21], v[52:53], v[228:229], v[18:19] op_sel:[0,0,1] op_sel_hi:[1,1,0] neg_lo:[0,0,1] neg_hi:[0,0,1]
	v_pk_fma_f32 v[18:19], v[52:53], v[228:229], v[18:19] op_sel:[0,0,1] op_sel_hi:[1,0,0]
	v_fmac_f32_e32 v231, v51, v187
	v_fma_f32 v230, v50, v187, -v1
	v_pk_add_f32 v[16:17], v[224:225], v[226:227]
	s_waitcnt vmcnt(13)
	v_mov_b32_e32 v18, v245
	v_pk_add_f32 v[16:17], v[16:17], v[230:231]
	v_mov_b32_e32 v21, v19
	s_waitcnt lgkmcnt(3)
	v_pk_mul_f32 v[18:19], v[2:3], v[18:19] op_sel_hi:[1,0]
	v_pk_add_f32 v[16:17], v[16:17], v[20:21]
	s_waitcnt vmcnt(12)
	v_pk_fma_f32 v[20:21], v[2:3], v[244:245], v[18:19] op_sel:[0,0,1] op_sel_hi:[1,1,0] neg_lo:[0,0,1] neg_hi:[0,0,1]
	v_pk_fma_f32 v[2:3], v[2:3], v[244:245], v[18:19] op_sel:[0,0,1] op_sel_hi:[1,0,0]
	v_mov_b32_e32 v21, v3
	v_pk_add_f32 v[2:3], v[16:17], v[20:21]
	s_waitcnt vmcnt(11)
	v_mov_b32_e32 v16, v243
	v_pk_mul_f32 v[16:17], v[4:5], v[16:17] op_sel_hi:[1,0]
	s_waitcnt vmcnt(10)
	v_pk_fma_f32 v[18:19], v[4:5], v[242:243], v[16:17] op_sel:[0,0,1] op_sel_hi:[1,1,0] neg_lo:[0,0,1] neg_hi:[0,0,1]
	v_pk_fma_f32 v[4:5], v[4:5], v[242:243], v[16:17] op_sel:[0,0,1] op_sel_hi:[1,0,0]
	s_waitcnt vmcnt(9)
	v_mov_b32_e32 v4, v241
	v_mov_b32_e32 v19, v5
	s_waitcnt lgkmcnt(2)
	v_pk_mul_f32 v[4:5], v[6:7], v[4:5] op_sel_hi:[1,0]
	s_waitcnt vmcnt(8)
	v_pk_fma_f32 v[16:17], v[6:7], v[240:241], v[4:5] op_sel:[0,0,1] op_sel_hi:[1,1,0] neg_lo:[0,0,1] neg_hi:[0,0,1]
	v_pk_fma_f32 v[4:5], v[6:7], v[240:241], v[4:5] op_sel:[0,0,1] op_sel_hi:[1,0,0]
	s_waitcnt vmcnt(7)
	v_mov_b32_e32 v4, v239
	v_mov_b32_e32 v17, v5
	v_pk_mul_f32 v[4:5], v[8:9], v[4:5] op_sel_hi:[1,0]
	s_waitcnt vmcnt(6)
	v_pk_fma_f32 v[6:7], v[8:9], v[238:239], v[4:5] op_sel:[0,0,1] op_sel_hi:[1,1,0] neg_lo:[0,0,1] neg_hi:[0,0,1]
	v_pk_fma_f32 v[4:5], v[8:9], v[238:239], v[4:5] op_sel:[0,0,1] op_sel_hi:[1,0,0]
	v_pk_add_f32 v[2:3], v[2:3], v[18:19]
	s_waitcnt vmcnt(5)
	v_mov_b32_e32 v4, v237
	v_pk_add_f32 v[2:3], v[2:3], v[16:17]
	v_mov_b32_e32 v7, v5
	s_waitcnt lgkmcnt(1)
	v_pk_mul_f32 v[4:5], v[10:11], v[4:5] op_sel_hi:[1,0]
	v_pk_add_f32 v[2:3], v[2:3], v[6:7]
	s_waitcnt vmcnt(4)
	v_pk_fma_f32 v[6:7], v[10:11], v[236:237], v[4:5] op_sel:[0,0,1] op_sel_hi:[1,1,0] neg_lo:[0,0,1] neg_hi:[0,0,1]
	v_pk_fma_f32 v[4:5], v[10:11], v[236:237], v[4:5] op_sel:[0,0,1] op_sel_hi:[1,0,0]
	s_waitcnt vmcnt(3)
	v_mov_b32_e32 v4, v235
	v_mov_b32_e32 v7, v5
	v_pk_mul_f32 v[4:5], v[12:13], v[4:5] op_sel_hi:[1,0]
	v_pk_add_f32 v[2:3], v[2:3], v[6:7]
	s_waitcnt vmcnt(2)
	v_pk_fma_f32 v[6:7], v[12:13], v[234:235], v[4:5] op_sel:[0,0,1] op_sel_hi:[1,1,0] neg_lo:[0,0,1] neg_hi:[0,0,1]
	v_pk_fma_f32 v[4:5], v[12:13], v[234:235], v[4:5] op_sel:[0,0,1] op_sel_hi:[1,0,0]
	s_waitcnt vmcnt(1)
	v_mov_b32_e32 v4, v233
	v_mov_b32_e32 v7, v5
	s_waitcnt lgkmcnt(0)
	v_pk_mul_f32 v[4:5], v[14:15], v[4:5] op_sel_hi:[1,0]
	v_pk_add_f32 v[2:3], v[2:3], v[6:7]
	s_waitcnt vmcnt(0)
	v_pk_fma_f32 v[6:7], v[14:15], v[232:233], v[4:5] op_sel:[0,0,1] op_sel_hi:[1,1,0] neg_lo:[0,0,1] neg_hi:[0,0,1]
	v_pk_fma_f32 v[4:5], v[14:15], v[232:233], v[4:5] op_sel:[0,0,1] op_sel_hi:[1,0,0]
	v_mov_b32_e32 v7, v5
	v_pk_add_f32 v[2:3], v[2:3], v[6:7]
	v_pk_add_f32 v[2:3], v[222:223], v[2:3] neg_lo:[0,1] neg_hi:[0,1]
	buffer_store_dword v3, off, s[0:3], 0 offset:20
	buffer_store_dword v2, off, s[0:3], 0 offset:16
	s_and_saveexec_b64 s[4:5], vcc
	s_cbranch_execz .LBB123_371
; %bb.370:
	buffer_load_dword v2, off, s[0:3], 0 offset:8
	buffer_load_dword v3, off, s[0:3], 0 offset:12
	s_waitcnt vmcnt(0)
	ds_write_b64 v195, v[2:3]
	buffer_store_dword v246, off, s[0:3], 0 offset:8
	buffer_store_dword v246, off, s[0:3], 0 offset:12
.LBB123_371:
	s_or_b64 exec, exec, s[4:5]
	s_waitcnt lgkmcnt(0)
	; wave barrier
	s_waitcnt lgkmcnt(0)
	buffer_load_dword v64, off, s[0:3], 0 offset:20
	buffer_load_dword v63, off, s[0:3], 0 offset:28
	;; [unrolled: 1-line block ×40, first 2 shown]
	ds_read_b128 v[22:25], v246 offset:496
	ds_read_b128 v[18:21], v246 offset:512
	;; [unrolled: 1-line block ×6, first 2 shown]
	buffer_load_dword v97, off, s[0:3], 0 offset:168
	buffer_load_dword v98, off, s[0:3], 0 offset:172
	;; [unrolled: 1-line block ×10, first 2 shown]
	v_cmp_ne_u32_e32 vcc, 0, v0
	s_waitcnt vmcnt(49) lgkmcnt(5)
	v_mul_f32_e32 v26, v22, v64
	s_waitcnt vmcnt(48)
	v_mul_f32_e32 v27, v24, v63
	s_waitcnt vmcnt(47) lgkmcnt(4)
	v_mul_f32_e32 v29, v20, v62
	s_waitcnt vmcnt(46) lgkmcnt(3)
	v_mul_f32_e32 v30, v14, v61
	s_waitcnt vmcnt(45)
	v_mul_f32_e32 v31, v16, v1
	s_waitcnt vmcnt(44)
	v_mul_f32_e32 v28, v18, v65
	s_waitcnt vmcnt(43) lgkmcnt(2)
	v_mul_f32_e32 v32, v10, v60
	s_waitcnt vmcnt(42)
	v_mul_f32_e32 v33, v12, v66
	s_waitcnt vmcnt(41) lgkmcnt(1)
	;; [unrolled: 4-line block ×3, first 2 shown]
	v_mul_f32_e32 v36, v2, v69
	s_waitcnt vmcnt(38)
	v_mul_f32_e32 v37, v4, v70
	s_waitcnt vmcnt(37)
	v_fmac_f32_e32 v28, v19, v76
	s_waitcnt vmcnt(36)
	v_fmac_f32_e32 v27, v25, v79
	;; [unrolled: 2-line block ×3, first 2 shown]
	v_add_f32_e32 v26, 0, v26
	v_add_f32_e32 v26, v26, v27
	;; [unrolled: 1-line block ×3, first 2 shown]
	s_waitcnt vmcnt(31)
	v_fmac_f32_e32 v29, v21, v81
	v_fmac_f32_e32 v30, v15, v78
	v_add_f32_e32 v26, v26, v29
	v_fmac_f32_e32 v31, v17, v75
	v_add_f32_e32 v26, v26, v30
	;; [unrolled: 2-line block ×3, first 2 shown]
	s_waitcnt vmcnt(27)
	v_fmac_f32_e32 v33, v13, v77
	v_add_f32_e32 v26, v26, v32
	v_fmac_f32_e32 v34, v7, v74
	v_add_f32_e32 v26, v26, v33
	;; [unrolled: 2-line block ×3, first 2 shown]
	v_add_f32_e32 v30, v26, v35
	ds_read_b128 v[26:29], v246 offset:592
	v_fmac_f32_e32 v36, v3, v71
	v_add_f32_e32 v30, v30, v36
	s_waitcnt vmcnt(23)
	v_fmac_f32_e32 v37, v5, v88
	v_add_f32_e32 v34, v30, v37
	ds_read_b128 v[30:33], v246 offset:608
	s_waitcnt vmcnt(22) lgkmcnt(1)
	v_mul_f32_e32 v35, v26, v87
	buffer_load_dword v160, off, s[0:3], 0 offset:208
	buffer_load_dword v162, off, s[0:3], 0 offset:212
	v_fmac_f32_e32 v35, v27, v85
	v_add_f32_e32 v34, v34, v35
	s_waitcnt vmcnt(23)
	v_mul_f32_e32 v35, v28, v86
	buffer_load_dword v178, off, s[0:3], 0 offset:216
	buffer_load_dword v179, off, s[0:3], 0 offset:220
	v_fmac_f32_e32 v35, v29, v83
	v_add_f32_e32 v34, v34, v35
	s_waitcnt vmcnt(24) lgkmcnt(0)
	v_mul_f32_e32 v35, v30, v84
	buffer_load_dword v180, off, s[0:3], 0 offset:224
	buffer_load_dword v181, off, s[0:3], 0 offset:228
	v_fmac_f32_e32 v35, v31, v80
	v_add_f32_e32 v34, v34, v35
	s_waitcnt vmcnt(20)
	v_mul_f32_e32 v35, v32, v96
	s_waitcnt vmcnt(19)
	v_fmac_f32_e32 v35, v33, v95
	ds_read_b128 v[38:41], v246 offset:624
	v_add_f32_e32 v42, v34, v35
	ds_read_b128 v[34:37], v246 offset:640
	buffer_load_dword v182, off, s[0:3], 0 offset:232
	buffer_load_dword v183, off, s[0:3], 0 offset:236
	;; [unrolled: 1-line block ×8, first 2 shown]
	s_waitcnt vmcnt(26) lgkmcnt(1)
	v_mul_f32_e32 v43, v38, v94
	v_fmac_f32_e32 v43, v39, v93
	buffer_load_dword v222, off, s[0:3], 0 offset:264
	buffer_load_dword v223, off, s[0:3], 0 offset:268
	v_add_f32_e32 v42, v42, v43
	v_mul_f32_e32 v43, v40, v90
	v_fmac_f32_e32 v43, v41, v89
	v_add_f32_e32 v42, v42, v43
	s_waitcnt lgkmcnt(0)
	v_mul_f32_e32 v43, v34, v92
	buffer_load_dword v224, off, s[0:3], 0 offset:272
	buffer_load_dword v225, off, s[0:3], 0 offset:276
	v_fmac_f32_e32 v43, v35, v91
	v_add_f32_e32 v46, v42, v43
	ds_read_b128 v[42:45], v246 offset:656
	buffer_load_dword v226, off, s[0:3], 0 offset:280
	buffer_load_dword v227, off, s[0:3], 0 offset:284
	;; [unrolled: 1-line block ×4, first 2 shown]
	s_waitcnt vmcnt(30)
	v_mul_f32_e32 v47, v36, v98
	v_fmac_f32_e32 v47, v37, v97
	v_add_f32_e32 v50, v46, v47
	ds_read_b128 v[46:49], v246 offset:672
	buffer_load_dword v230, off, s[0:3], 0 offset:296
	buffer_load_dword v231, off, s[0:3], 0 offset:300
	;; [unrolled: 1-line block ×12, first 2 shown]
	s_waitcnt vmcnt(40) lgkmcnt(1)
	v_mul_f32_e32 v51, v42, v100
	v_fmac_f32_e32 v51, v43, v99
	buffer_load_dword v242, off, s[0:3], 0 offset:344
	buffer_load_dword v243, off, s[0:3], 0 offset:348
	v_add_f32_e32 v50, v50, v51
	s_waitcnt vmcnt(40)
	v_mul_f32_e32 v51, v44, v104
	v_fmac_f32_e32 v51, v45, v101
	buffer_load_dword v244, off, s[0:3], 0 offset:352
	buffer_load_dword v245, off, s[0:3], 0 offset:356
	v_add_f32_e32 v50, v50, v51
	s_waitcnt vmcnt(40) lgkmcnt(0)
	v_mul_f32_e32 v51, v46, v106
	v_fmac_f32_e32 v51, v47, v105
	v_add_f32_e32 v54, v50, v51
	ds_read_b128 v[50:53], v246 offset:688
	buffer_load_dword v247, off, s[0:3], 0 offset:360
	buffer_load_dword v248, off, s[0:3], 0 offset:364
	s_waitcnt vmcnt(40)
	v_mul_f32_e32 v55, v48, v108
	v_fmac_f32_e32 v55, v49, v107
	v_add_f32_e32 v109, v54, v55
	ds_read_b128 v[54:57], v246 offset:704
	buffer_load_dword v249, off, s[0:3], 0 offset:368
	buffer_load_dword v250, off, s[0:3], 0 offset:372
	;; [unrolled: 1-line block ×12, first 2 shown]
	v_mul_f32_e32 v23, v23, v64
	v_fma_f32 v22, v22, v82, -v23
	v_mul_f32_e32 v23, v25, v63
	v_add_f32_e32 v22, 0, v22
	v_fma_f32 v23, v24, v79, -v23
	v_mul_f32_e32 v19, v19, v65
	v_add_f32_e32 v22, v22, v23
	;; [unrolled: 3-line block ×4, first 2 shown]
	v_fma_f32 v14, v14, v78, -v15
	s_waitcnt vmcnt(50) lgkmcnt(1)
	v_mul_f32_e32 v110, v50, v162
	v_fmac_f32_e32 v110, v51, v160
	v_add_f32_e32 v109, v109, v110
	v_mul_f32_e32 v1, v17, v1
	s_waitcnt vmcnt(48)
	v_mul_f32_e32 v110, v52, v179
	v_fmac_f32_e32 v110, v53, v178
	v_add_f32_e32 v109, v109, v110
	v_add_f32_e32 v14, v18, v14
	s_waitcnt vmcnt(46) lgkmcnt(0)
	v_mul_f32_e32 v110, v54, v181
	v_fmac_f32_e32 v110, v55, v180
	v_add_f32_e32 v109, v109, v110
	ds_read_b128 v[110:113], v246 offset:720
	v_fma_f32 v1, v16, v75, -v1
	v_mul_f32_e32 v11, v11, v60
	v_add_f32_e32 v1, v14, v1
	v_fma_f32 v10, v10, v73, -v11
	s_waitcnt vmcnt(44)
	v_mul_f32_e32 v114, v56, v183
	v_fmac_f32_e32 v114, v57, v182
	v_add_f32_e32 v109, v109, v114
	ds_read_b128 v[114:117], v246 offset:736
	s_waitcnt vmcnt(42) lgkmcnt(1)
	v_mul_f32_e32 v118, v110, v185
	v_fmac_f32_e32 v118, v111, v184
	v_add_f32_e32 v109, v109, v118
	s_waitcnt vmcnt(40)
	v_mul_f32_e32 v118, v112, v187
	v_fmac_f32_e32 v118, v113, v186
	v_add_f32_e32 v109, v109, v118
	s_waitcnt vmcnt(38) lgkmcnt(0)
	v_mul_f32_e32 v118, v114, v189
	v_fmac_f32_e32 v118, v115, v188
	v_add_f32_e32 v109, v109, v118
	ds_read_b128 v[118:121], v246 offset:752
	s_waitcnt vmcnt(36)
	v_mul_f32_e32 v122, v116, v223
	v_fmac_f32_e32 v122, v117, v222
	v_add_f32_e32 v109, v109, v122
	ds_read_b128 v[122:125], v246 offset:768
	s_waitcnt vmcnt(34) lgkmcnt(1)
	v_mul_f32_e32 v126, v118, v225
	v_fmac_f32_e32 v126, v119, v224
	v_add_f32_e32 v109, v109, v126
	s_waitcnt vmcnt(32)
	v_mul_f32_e32 v126, v120, v227
	v_fmac_f32_e32 v126, v121, v226
	v_add_f32_e32 v109, v109, v126
	s_waitcnt vmcnt(30) lgkmcnt(0)
	v_mul_f32_e32 v126, v122, v229
	v_fmac_f32_e32 v126, v123, v228
	v_add_f32_e32 v109, v109, v126
	ds_read_b128 v[126:129], v246 offset:784
	;; [unrolled: 18-line block ×4, first 2 shown]
	s_waitcnt vmcnt(12)
	v_mul_f32_e32 v146, v140, v248
	v_fmac_f32_e32 v146, v141, v247
	v_add_f32_e32 v109, v109, v146
	ds_read_b128 v[146:149], v246 offset:864
	buffer_load_dword v159, off, s[0:3], 0 offset:420
	buffer_load_dword v158, off, s[0:3], 0 offset:416
	v_add_f32_e32 v1, v1, v10
	v_mul_f32_e32 v10, v13, v66
	v_fma_f32 v10, v12, v77, -v10
	v_mul_f32_e32 v7, v7, v67
	s_waitcnt vmcnt(12) lgkmcnt(1)
	v_mul_f32_e32 v150, v142, v250
	v_add_f32_e32 v1, v1, v10
	v_fma_f32 v6, v6, v74, -v7
	v_fmac_f32_e32 v150, v143, v249
	v_add_f32_e32 v1, v1, v6
	v_mul_f32_e32 v6, v9, v68
	v_add_f32_e32 v109, v109, v150
	s_waitcnt vmcnt(10)
	v_mul_f32_e32 v150, v144, v252
	v_fma_f32 v6, v8, v72, -v6
	v_mul_f32_e32 v3, v3, v69
	v_fmac_f32_e32 v150, v145, v251
	v_add_f32_e32 v1, v1, v6
	v_fma_f32 v2, v2, v71, -v3
	v_add_f32_e32 v109, v109, v150
	s_waitcnt vmcnt(8) lgkmcnt(0)
	v_mul_f32_e32 v150, v146, v254
	v_add_f32_e32 v1, v1, v2
	v_mul_f32_e32 v2, v5, v70
	v_fmac_f32_e32 v150, v147, v253
	s_waitcnt vmcnt(6)
	v_mul_f32_e32 v154, v148, v190
	v_fma_f32 v2, v4, v88, -v2
	v_add_f32_e32 v109, v109, v150
	v_fmac_f32_e32 v154, v149, v255
	v_add_f32_e32 v1, v1, v2
	v_mul_f32_e32 v2, v27, v87
	ds_read_b128 v[150:153], v246 offset:880
	v_add_f32_e32 v109, v109, v154
	ds_read_b128 v[154:157], v246 offset:896
	buffer_load_dword v165, off, s[0:3], 0 offset:452
	buffer_load_dword v164, off, s[0:3], 0 offset:448
	buffer_load_dword v167, off, s[0:3], 0 offset:444
	buffer_load_dword v166, off, s[0:3], 0 offset:440
	buffer_load_dword v169, off, s[0:3], 0 offset:436
	buffer_load_dword v168, off, s[0:3], 0 offset:432
	buffer_load_dword v171, off, s[0:3], 0 offset:428
	buffer_load_dword v170, off, s[0:3], 0 offset:424
	buffer_load_dword v173, off, s[0:3], 0 offset:476
	buffer_load_dword v172, off, s[0:3], 0 offset:472
	buffer_load_dword v175, off, s[0:3], 0 offset:468
	buffer_load_dword v174, off, s[0:3], 0 offset:464
	buffer_load_dword v177, off, s[0:3], 0 offset:460
	buffer_load_dword v176, off, s[0:3], 0 offset:456
	v_fma_f32 v2, v26, v85, -v2
	v_add_f32_e32 v1, v1, v2
	v_mul_f32_e32 v2, v29, v86
	v_fma_f32 v2, v28, v83, -v2
	v_add_f32_e32 v1, v1, v2
	v_mul_f32_e32 v2, v31, v84
	;; [unrolled: 3-line block ×35, first 2 shown]
	v_fma_f32 v2, v148, v255, -v2
	s_waitcnt vmcnt(15)
	v_mov_b32_e32 v16, v159
	s_waitcnt lgkmcnt(1)
	v_mul_f32_e32 v161, v150, v192
	v_add_f32_e32 v108, v1, v2
	v_mul_f32_e32 v1, v151, v192
	s_waitcnt lgkmcnt(0)
	v_pk_mul_f32 v[16:17], v[154:155], v[16:17] op_sel_hi:[1,0]
	v_fmac_f32_e32 v161, v151, v191
	v_mul_f32_e32 v163, v152, v194
	v_fma_f32 v160, v150, v191, -v1
	v_mul_f32_e32 v1, v153, v194
	s_waitcnt vmcnt(14)
	v_pk_fma_f32 v[18:19], v[154:155], v[158:159], v[16:17] op_sel:[0,0,1] op_sel_hi:[1,1,0] neg_lo:[0,0,1] neg_hi:[0,0,1]
	v_pk_fma_f32 v[16:17], v[154:155], v[158:159], v[16:17] op_sel:[0,0,1] op_sel_hi:[1,0,0]
	v_fmac_f32_e32 v163, v153, v193
	v_fma_f32 v162, v152, v193, -v1
	v_pk_add_f32 v[14:15], v[108:109], v[160:161]
	s_waitcnt vmcnt(7)
	v_mov_b32_e32 v16, v171
	ds_read_b128 v[2:5], v246 offset:912
	ds_read_b128 v[6:9], v246 offset:928
	;; [unrolled: 1-line block ×3, first 2 shown]
	v_pk_add_f32 v[14:15], v[14:15], v[162:163]
	v_mov_b32_e32 v19, v17
	v_pk_mul_f32 v[16:17], v[156:157], v[16:17] op_sel_hi:[1,0]
	v_pk_add_f32 v[14:15], v[14:15], v[18:19]
	s_waitcnt vmcnt(6)
	v_pk_fma_f32 v[18:19], v[156:157], v[170:171], v[16:17] op_sel:[0,0,1] op_sel_hi:[1,1,0] neg_lo:[0,0,1] neg_hi:[0,0,1]
	v_pk_fma_f32 v[16:17], v[156:157], v[170:171], v[16:17] op_sel:[0,0,1] op_sel_hi:[1,0,0]
	v_mov_b32_e32 v16, v169
	v_mov_b32_e32 v19, v17
	s_waitcnt lgkmcnt(2)
	v_pk_mul_f32 v[16:17], v[2:3], v[16:17] op_sel_hi:[1,0]
	v_pk_add_f32 v[14:15], v[14:15], v[18:19]
	v_pk_fma_f32 v[18:19], v[2:3], v[168:169], v[16:17] op_sel:[0,0,1] op_sel_hi:[1,1,0] neg_lo:[0,0,1] neg_hi:[0,0,1]
	v_pk_fma_f32 v[2:3], v[2:3], v[168:169], v[16:17] op_sel:[0,0,1] op_sel_hi:[1,0,0]
	v_mov_b32_e32 v19, v3
	v_pk_add_f32 v[2:3], v[14:15], v[18:19]
	v_mov_b32_e32 v14, v167
	v_pk_mul_f32 v[14:15], v[4:5], v[14:15] op_sel_hi:[1,0]
	v_pk_fma_f32 v[16:17], v[4:5], v[166:167], v[14:15] op_sel:[0,0,1] op_sel_hi:[1,1,0] neg_lo:[0,0,1] neg_hi:[0,0,1]
	v_pk_fma_f32 v[4:5], v[4:5], v[166:167], v[14:15] op_sel:[0,0,1] op_sel_hi:[1,0,0]
	v_mov_b32_e32 v4, v165
	v_mov_b32_e32 v17, v5
	s_waitcnt lgkmcnt(1)
	v_pk_mul_f32 v[4:5], v[6:7], v[4:5] op_sel_hi:[1,0]
	v_pk_fma_f32 v[14:15], v[6:7], v[164:165], v[4:5] op_sel:[0,0,1] op_sel_hi:[1,1,0] neg_lo:[0,0,1] neg_hi:[0,0,1]
	v_pk_fma_f32 v[4:5], v[6:7], v[164:165], v[4:5] op_sel:[0,0,1] op_sel_hi:[1,0,0]
	s_waitcnt vmcnt(1)
	v_mov_b32_e32 v4, v177
	v_mov_b32_e32 v15, v5
	v_pk_mul_f32 v[4:5], v[8:9], v[4:5] op_sel_hi:[1,0]
	s_waitcnt vmcnt(0)
	v_pk_fma_f32 v[6:7], v[8:9], v[176:177], v[4:5] op_sel:[0,0,1] op_sel_hi:[1,1,0] neg_lo:[0,0,1] neg_hi:[0,0,1]
	v_pk_fma_f32 v[4:5], v[8:9], v[176:177], v[4:5] op_sel:[0,0,1] op_sel_hi:[1,0,0]
	v_pk_add_f32 v[2:3], v[2:3], v[16:17]
	v_mov_b32_e32 v4, v175
	v_pk_add_f32 v[2:3], v[2:3], v[14:15]
	v_mov_b32_e32 v7, v5
	s_waitcnt lgkmcnt(0)
	v_pk_mul_f32 v[4:5], v[10:11], v[4:5] op_sel_hi:[1,0]
	v_pk_add_f32 v[2:3], v[2:3], v[6:7]
	v_pk_fma_f32 v[6:7], v[10:11], v[174:175], v[4:5] op_sel:[0,0,1] op_sel_hi:[1,1,0] neg_lo:[0,0,1] neg_hi:[0,0,1]
	v_pk_fma_f32 v[4:5], v[10:11], v[174:175], v[4:5] op_sel:[0,0,1] op_sel_hi:[1,0,0]
	v_mov_b32_e32 v4, v173
	v_mov_b32_e32 v7, v5
	v_pk_mul_f32 v[4:5], v[12:13], v[4:5] op_sel_hi:[1,0]
	v_pk_add_f32 v[2:3], v[2:3], v[6:7]
	v_pk_fma_f32 v[6:7], v[12:13], v[172:173], v[4:5] op_sel:[0,0,1] op_sel_hi:[1,1,0] neg_lo:[0,0,1] neg_hi:[0,0,1]
	v_pk_fma_f32 v[4:5], v[12:13], v[172:173], v[4:5] op_sel:[0,0,1] op_sel_hi:[1,0,0]
	v_mov_b32_e32 v7, v5
	v_pk_add_f32 v[2:3], v[2:3], v[6:7]
	v_pk_add_f32 v[2:3], v[58:59], v[2:3] neg_lo:[0,1] neg_hi:[0,1]
	buffer_store_dword v3, off, s[0:3], 0 offset:12
	buffer_store_dword v2, off, s[0:3], 0 offset:8
	s_and_saveexec_b64 s[4:5], vcc
	s_cbranch_execz .LBB123_373
; %bb.372:
	buffer_load_dword v0, off, s[0:3], 0
	buffer_load_dword v1, off, s[0:3], 0 offset:4
	v_mov_b32_e32 v2, 0
	buffer_store_dword v2, off, s[0:3], 0
	buffer_store_dword v2, off, s[0:3], 0 offset:4
	s_waitcnt vmcnt(2)
	ds_write_b64 v195, v[0:1]
.LBB123_373:
	s_or_b64 exec, exec, s[4:5]
	s_waitcnt lgkmcnt(0)
	; wave barrier
	s_waitcnt lgkmcnt(0)
	buffer_load_dword v64, off, s[0:3], 0 offset:12
	buffer_load_dword v63, off, s[0:3], 0 offset:20
	;; [unrolled: 1-line block ×32, first 2 shown]
	buffer_load_dword v56, off, s[0:3], 0
	buffer_load_dword v57, off, s[0:3], 0 offset:4
	buffer_load_dword v91, off, s[0:3], 0 offset:136
	;; [unrolled: 1-line block ×15, first 2 shown]
	v_mov_b32_e32 v58, 0
	ds_read2_b64 v[20:23], v58 offset0:61 offset1:62
	ds_read2_b64 v[16:19], v58 offset0:63 offset1:64
	;; [unrolled: 1-line block ×6, first 2 shown]
	buffer_load_dword v156, off, s[0:3], 0 offset:192
	buffer_load_dword v158, off, s[0:3], 0 offset:196
	s_and_b64 vcc, exec, s[16:17]
	s_waitcnt vmcnt(49) lgkmcnt(5)
	v_mul_f32_e32 v24, v20, v64
	s_waitcnt vmcnt(48)
	v_mul_f32_e32 v25, v22, v63
	s_waitcnt vmcnt(47) lgkmcnt(4)
	v_mul_f32_e32 v27, v18, v62
	s_waitcnt vmcnt(46) lgkmcnt(3)
	v_mul_f32_e32 v28, v12, v61
	s_waitcnt vmcnt(45)
	v_mul_f32_e32 v29, v14, v59
	s_waitcnt vmcnt(44)
	v_mul_f32_e32 v26, v16, v65
	s_waitcnt vmcnt(43) lgkmcnt(2)
	v_mul_f32_e32 v30, v8, v60
	s_waitcnt vmcnt(42)
	v_mul_f32_e32 v31, v10, v66
	s_waitcnt vmcnt(41) lgkmcnt(1)
	;; [unrolled: 4-line block ×3, first 2 shown]
	v_mul_f32_e32 v34, v0, v69
	s_waitcnt vmcnt(38)
	v_mul_f32_e32 v35, v2, v70
	s_waitcnt vmcnt(37)
	v_fmac_f32_e32 v26, v17, v76
	s_waitcnt vmcnt(36)
	v_fmac_f32_e32 v25, v23, v79
	;; [unrolled: 2-line block ×3, first 2 shown]
	v_add_f32_e32 v24, 0, v24
	v_add_f32_e32 v24, v24, v25
	;; [unrolled: 1-line block ×3, first 2 shown]
	s_waitcnt vmcnt(31)
	v_fmac_f32_e32 v27, v19, v81
	v_fmac_f32_e32 v28, v13, v78
	v_add_f32_e32 v24, v24, v27
	v_fmac_f32_e32 v29, v15, v75
	v_add_f32_e32 v24, v24, v28
	;; [unrolled: 2-line block ×3, first 2 shown]
	s_waitcnt vmcnt(27)
	v_fmac_f32_e32 v31, v11, v77
	v_add_f32_e32 v24, v24, v30
	v_fmac_f32_e32 v32, v5, v74
	v_add_f32_e32 v24, v24, v31
	v_fmac_f32_e32 v33, v7, v72
	v_add_f32_e32 v24, v24, v32
	v_fmac_f32_e32 v34, v1, v71
	v_add_f32_e32 v24, v24, v33
	v_add_f32_e32 v28, v24, v34
	ds_read2_b64 v[24:27], v58 offset0:73 offset1:74
	s_waitcnt vmcnt(23)
	v_fmac_f32_e32 v35, v3, v90
	v_add_f32_e32 v32, v28, v35
	buffer_load_dword v176, off, s[0:3], 0 offset:200
	buffer_load_dword v177, off, s[0:3], 0 offset:204
	ds_read2_b64 v[28:31], v58 offset0:75 offset1:76
	s_waitcnt vmcnt(24) lgkmcnt(1)
	v_mul_f32_e32 v33, v24, v89
	v_fmac_f32_e32 v33, v25, v85
	v_add_f32_e32 v32, v32, v33
	s_waitcnt vmcnt(23)
	v_mul_f32_e32 v33, v26, v87
	buffer_load_dword v178, off, s[0:3], 0 offset:208
	buffer_load_dword v179, off, s[0:3], 0 offset:212
	v_fmac_f32_e32 v33, v27, v83
	v_add_f32_e32 v32, v32, v33
	s_waitcnt vmcnt(24) lgkmcnt(0)
	v_mul_f32_e32 v33, v28, v84
	buffer_load_dword v180, off, s[0:3], 0 offset:216
	buffer_load_dword v181, off, s[0:3], 0 offset:220
	v_fmac_f32_e32 v33, v29, v80
	v_add_f32_e32 v32, v32, v33
	s_waitcnt vmcnt(24)
	v_mul_f32_e32 v33, v30, v88
	v_fmac_f32_e32 v33, v31, v86
	ds_read2_b64 v[36:39], v58 offset0:77 offset1:78
	v_add_f32_e32 v40, v32, v33
	ds_read2_b64 v[32:35], v58 offset0:79 offset1:80
	buffer_load_dword v182, off, s[0:3], 0 offset:224
	buffer_load_dword v183, off, s[0:3], 0 offset:228
	;; [unrolled: 1-line block ×6, first 2 shown]
	s_waitcnt vmcnt(26) lgkmcnt(1)
	v_mul_f32_e32 v41, v36, v92
	v_fmac_f32_e32 v41, v37, v91
	buffer_load_dword v188, off, s[0:3], 0 offset:248
	buffer_load_dword v189, off, s[0:3], 0 offset:252
	v_add_f32_e32 v40, v40, v41
	s_waitcnt vmcnt(26)
	v_mul_f32_e32 v41, v38, v94
	v_fmac_f32_e32 v41, v39, v93
	v_add_f32_e32 v40, v40, v41
	s_waitcnt vmcnt(24) lgkmcnt(0)
	v_mul_f32_e32 v41, v32, v96
	v_fmac_f32_e32 v41, v33, v95
	buffer_load_dword v190, off, s[0:3], 0 offset:256
	buffer_load_dword v191, off, s[0:3], 0 offset:260
	v_add_f32_e32 v40, v40, v41
	s_waitcnt vmcnt(24)
	v_mul_f32_e32 v41, v34, v98
	v_fmac_f32_e32 v41, v35, v97
	v_add_f32_e32 v48, v40, v41
	ds_read2_b64 v[40:43], v58 offset0:81 offset1:82
	buffer_load_dword v192, off, s[0:3], 0 offset:264
	buffer_load_dword v193, off, s[0:3], 0 offset:268
	ds_read2_b64 v[44:47], v58 offset0:83 offset1:84
	buffer_load_dword v194, off, s[0:3], 0 offset:272
	buffer_load_dword v195, off, s[0:3], 0 offset:276
	;; [unrolled: 1-line block ×12, first 2 shown]
	s_waitcnt vmcnt(36) lgkmcnt(1)
	v_mul_f32_e32 v49, v40, v100
	v_fmac_f32_e32 v49, v41, v99
	buffer_load_dword v232, off, s[0:3], 0 offset:320
	buffer_load_dword v233, off, s[0:3], 0 offset:324
	v_add_f32_e32 v48, v48, v49
	s_waitcnt vmcnt(36)
	v_mul_f32_e32 v49, v42, v104
	v_fmac_f32_e32 v49, v43, v101
	v_add_f32_e32 v48, v48, v49
	s_waitcnt vmcnt(34) lgkmcnt(0)
	v_mul_f32_e32 v49, v44, v106
	buffer_load_dword v234, off, s[0:3], 0 offset:328
	buffer_load_dword v235, off, s[0:3], 0 offset:332
	v_fmac_f32_e32 v49, v45, v105
	v_add_f32_e32 v52, v48, v49
	ds_read2_b64 v[48:51], v58 offset0:85 offset1:86
	buffer_load_dword v236, off, s[0:3], 0 offset:336
	buffer_load_dword v237, off, s[0:3], 0 offset:340
	;; [unrolled: 1-line block ×4, first 2 shown]
	s_waitcnt vmcnt(38)
	v_mul_f32_e32 v53, v46, v158
	v_fmac_f32_e32 v53, v47, v156
	v_add_f32_e32 v107, v52, v53
	ds_read2_b64 v[52:55], v58 offset0:87 offset1:88
	buffer_load_dword v240, off, s[0:3], 0 offset:352
	buffer_load_dword v241, off, s[0:3], 0 offset:356
	;; [unrolled: 1-line block ×16, first 2 shown]
	v_mul_f32_e32 v21, v21, v64
	v_fma_f32 v20, v20, v82, -v21
	v_mul_f32_e32 v21, v23, v63
	v_add_f32_e32 v20, 0, v20
	v_fma_f32 v21, v22, v79, -v21
	v_mul_f32_e32 v17, v17, v65
	v_add_f32_e32 v20, v20, v21
	;; [unrolled: 3-line block ×3, first 2 shown]
	v_fma_f32 v17, v18, v81, -v17
	v_mul_f32_e32 v13, v13, v61
	s_waitcnt vmcnt(52) lgkmcnt(1)
	v_mul_f32_e32 v108, v48, v177
	v_fmac_f32_e32 v108, v49, v176
	v_add_f32_e32 v107, v107, v108
	v_add_f32_e32 v16, v16, v17
	v_fma_f32 v12, v12, v78, -v13
	v_mul_f32_e32 v13, v15, v59
	s_waitcnt vmcnt(50)
	v_mul_f32_e32 v108, v50, v179
	v_fmac_f32_e32 v108, v51, v178
	v_add_f32_e32 v107, v107, v108
	v_add_f32_e32 v12, v16, v12
	s_waitcnt vmcnt(48) lgkmcnt(0)
	v_mul_f32_e32 v108, v52, v181
	v_fmac_f32_e32 v108, v53, v180
	v_add_f32_e32 v107, v107, v108
	ds_read2_b64 v[108:111], v58 offset0:89 offset1:90
	v_fma_f32 v13, v14, v75, -v13
	v_mul_f32_e32 v9, v9, v60
	v_add_f32_e32 v12, v12, v13
	v_fma_f32 v8, v8, v73, -v9
	s_waitcnt vmcnt(46)
	v_mul_f32_e32 v112, v54, v183
	v_fmac_f32_e32 v112, v55, v182
	v_add_f32_e32 v107, v107, v112
	ds_read2_b64 v[112:115], v58 offset0:91 offset1:92
	s_waitcnt vmcnt(44) lgkmcnt(1)
	v_mul_f32_e32 v116, v108, v185
	v_fmac_f32_e32 v116, v109, v184
	v_add_f32_e32 v107, v107, v116
	s_waitcnt vmcnt(42)
	v_mul_f32_e32 v116, v110, v187
	v_fmac_f32_e32 v116, v111, v186
	v_add_f32_e32 v107, v107, v116
	s_waitcnt vmcnt(40) lgkmcnt(0)
	v_mul_f32_e32 v116, v112, v189
	v_fmac_f32_e32 v116, v113, v188
	v_add_f32_e32 v107, v107, v116
	ds_read2_b64 v[116:119], v58 offset0:93 offset1:94
	s_waitcnt vmcnt(38)
	v_mul_f32_e32 v120, v114, v191
	v_fmac_f32_e32 v120, v115, v190
	v_add_f32_e32 v107, v107, v120
	ds_read2_b64 v[120:123], v58 offset0:95 offset1:96
	s_waitcnt vmcnt(36) lgkmcnt(1)
	v_mul_f32_e32 v124, v116, v193
	v_fmac_f32_e32 v124, v117, v192
	v_add_f32_e32 v107, v107, v124
	s_waitcnt vmcnt(34)
	v_mul_f32_e32 v124, v118, v195
	v_fmac_f32_e32 v124, v119, v194
	v_add_f32_e32 v107, v107, v124
	s_waitcnt vmcnt(32) lgkmcnt(0)
	v_mul_f32_e32 v124, v120, v223
	v_fmac_f32_e32 v124, v121, v222
	v_add_f32_e32 v107, v107, v124
	ds_read2_b64 v[124:127], v58 offset0:97 offset1:98
	;; [unrolled: 18-line block ×4, first 2 shown]
	s_waitcnt vmcnt(14)
	v_mul_f32_e32 v144, v138, v241
	v_fmac_f32_e32 v144, v139, v240
	v_mul_f32_e32 v9, v11, v66
	v_add_f32_e32 v107, v107, v144
	ds_read2_b64 v[144:147], v58 offset0:107 offset1:108
	v_add_f32_e32 v8, v12, v8
	v_fma_f32 v9, v10, v77, -v9
	v_mul_f32_e32 v5, v5, v67
	s_waitcnt vmcnt(12) lgkmcnt(1)
	v_mul_f32_e32 v148, v140, v243
	v_add_f32_e32 v8, v8, v9
	v_fma_f32 v4, v4, v74, -v5
	v_mul_f32_e32 v5, v7, v68
	v_fmac_f32_e32 v148, v141, v242
	v_add_f32_e32 v4, v8, v4
	v_fma_f32 v5, v6, v72, -v5
	v_mul_f32_e32 v1, v1, v69
	v_add_f32_e32 v107, v107, v148
	s_waitcnt vmcnt(10)
	v_mul_f32_e32 v148, v142, v245
	v_add_f32_e32 v4, v4, v5
	v_fma_f32 v0, v0, v71, -v1
	v_mul_f32_e32 v1, v3, v70
	v_fmac_f32_e32 v148, v143, v244
	v_add_f32_e32 v0, v4, v0
	v_fma_f32 v1, v2, v90, -v1
	v_add_f32_e32 v107, v107, v148
	s_waitcnt vmcnt(8) lgkmcnt(0)
	v_mul_f32_e32 v148, v144, v247
	v_add_f32_e32 v0, v0, v1
	v_mul_f32_e32 v1, v25, v89
	v_fmac_f32_e32 v148, v145, v246
	s_waitcnt vmcnt(6)
	v_mul_f32_e32 v152, v146, v249
	v_fma_f32 v1, v24, v85, -v1
	v_add_f32_e32 v107, v107, v148
	v_fmac_f32_e32 v152, v147, v248
	v_add_f32_e32 v0, v0, v1
	v_mul_f32_e32 v1, v27, v87
	ds_read2_b64 v[148:151], v58 offset0:109 offset1:110
	v_add_f32_e32 v107, v107, v152
	ds_read2_b64 v[152:155], v58 offset0:111 offset1:112
	buffer_load_dword v161, off, s[0:3], 0 offset:444
	buffer_load_dword v160, off, s[0:3], 0 offset:440
	;; [unrolled: 1-line block ×16, first 2 shown]
	v_fma_f32 v1, v26, v83, -v1
	v_add_f32_e32 v0, v0, v1
	v_mul_f32_e32 v1, v29, v84
	v_fma_f32 v1, v28, v80, -v1
	v_add_f32_e32 v0, v0, v1
	v_mul_f32_e32 v1, v31, v88
	;; [unrolled: 3-line block ×34, first 2 shown]
	v_fma_f32 v1, v146, v248, -v1
	v_add_f32_e32 v0, v0, v1
	s_waitcnt vmcnt(20) lgkmcnt(1)
	v_mul_f32_e32 v1, v149, v251
	v_mul_f32_e32 v157, v148, v251
	v_fma_f32 v1, v148, v250, -v1
	v_fmac_f32_e32 v157, v149, v250
	v_add_f32_e32 v106, v0, v1
	s_waitcnt vmcnt(18)
	v_mul_f32_e32 v0, v151, v253
	s_waitcnt vmcnt(9)
	v_mov_b32_e32 v16, v167
	v_add_f32_e32 v107, v107, v157
	v_mul_f32_e32 v157, v150, v253
	v_fma_f32 v156, v150, v252, -v0
	s_waitcnt lgkmcnt(0)
	v_mul_f32_e32 v0, v153, v255
	v_pk_mul_f32 v[16:17], v[154:155], v[16:17] op_sel_hi:[1,0]
	v_fmac_f32_e32 v157, v151, v252
	v_mul_f32_e32 v159, v152, v255
	v_fma_f32 v158, v152, v254, -v0
	ds_read2_b64 v[0:3], v58 offset0:113 offset1:114
	ds_read2_b64 v[4:7], v58 offset0:115 offset1:116
	;; [unrolled: 1-line block ×3, first 2 shown]
	ds_read_b64 v[12:13], v58 offset:952
	s_waitcnt vmcnt(8)
	v_pk_fma_f32 v[18:19], v[154:155], v[166:167], v[16:17] op_sel:[0,0,1] op_sel_hi:[1,1,0] neg_lo:[0,0,1] neg_hi:[0,0,1]
	v_pk_fma_f32 v[16:17], v[154:155], v[166:167], v[16:17] op_sel:[0,0,1] op_sel_hi:[1,0,0]
	v_fmac_f32_e32 v159, v153, v254
	v_pk_add_f32 v[14:15], v[106:107], v[156:157]
	v_mov_b32_e32 v16, v165
	v_pk_add_f32 v[14:15], v[14:15], v[158:159]
	v_mov_b32_e32 v19, v17
	s_waitcnt lgkmcnt(3)
	v_pk_mul_f32 v[16:17], v[0:1], v[16:17] op_sel_hi:[1,0]
	v_pk_add_f32 v[14:15], v[14:15], v[18:19]
	v_pk_fma_f32 v[18:19], v[0:1], v[164:165], v[16:17] op_sel:[0,0,1] op_sel_hi:[1,1,0] neg_lo:[0,0,1] neg_hi:[0,0,1]
	v_pk_fma_f32 v[0:1], v[0:1], v[164:165], v[16:17] op_sel:[0,0,1] op_sel_hi:[1,0,0]
	v_mov_b32_e32 v19, v1
	v_pk_add_f32 v[0:1], v[14:15], v[18:19]
	v_mov_b32_e32 v14, v163
	v_pk_mul_f32 v[14:15], v[2:3], v[14:15] op_sel_hi:[1,0]
	v_pk_fma_f32 v[16:17], v[2:3], v[162:163], v[14:15] op_sel:[0,0,1] op_sel_hi:[1,1,0] neg_lo:[0,0,1] neg_hi:[0,0,1]
	v_pk_fma_f32 v[2:3], v[2:3], v[162:163], v[14:15] op_sel:[0,0,1] op_sel_hi:[1,0,0]
	v_mov_b32_e32 v2, v161
	v_mov_b32_e32 v17, v3
	s_waitcnt lgkmcnt(2)
	v_pk_mul_f32 v[2:3], v[4:5], v[2:3] op_sel_hi:[1,0]
	v_pk_fma_f32 v[14:15], v[4:5], v[160:161], v[2:3] op_sel:[0,0,1] op_sel_hi:[1,1,0] neg_lo:[0,0,1] neg_hi:[0,0,1]
	v_pk_fma_f32 v[2:3], v[4:5], v[160:161], v[2:3] op_sel:[0,0,1] op_sel_hi:[1,0,0]
	s_waitcnt vmcnt(1)
	v_mov_b32_e32 v2, v175
	v_mov_b32_e32 v15, v3
	v_pk_mul_f32 v[2:3], v[6:7], v[2:3] op_sel_hi:[1,0]
	s_waitcnt vmcnt(0)
	v_pk_fma_f32 v[4:5], v[6:7], v[174:175], v[2:3] op_sel:[0,0,1] op_sel_hi:[1,1,0] neg_lo:[0,0,1] neg_hi:[0,0,1]
	v_pk_fma_f32 v[2:3], v[6:7], v[174:175], v[2:3] op_sel:[0,0,1] op_sel_hi:[1,0,0]
	v_pk_add_f32 v[0:1], v[0:1], v[16:17]
	v_mov_b32_e32 v2, v173
	v_pk_add_f32 v[0:1], v[0:1], v[14:15]
	v_mov_b32_e32 v5, v3
	s_waitcnt lgkmcnt(1)
	v_pk_mul_f32 v[2:3], v[8:9], v[2:3] op_sel_hi:[1,0]
	v_pk_add_f32 v[0:1], v[0:1], v[4:5]
	v_pk_fma_f32 v[4:5], v[8:9], v[172:173], v[2:3] op_sel:[0,0,1] op_sel_hi:[1,1,0] neg_lo:[0,0,1] neg_hi:[0,0,1]
	v_pk_fma_f32 v[2:3], v[8:9], v[172:173], v[2:3] op_sel:[0,0,1] op_sel_hi:[1,0,0]
	v_mov_b32_e32 v2, v171
	v_mov_b32_e32 v5, v3
	v_pk_mul_f32 v[2:3], v[10:11], v[2:3] op_sel_hi:[1,0]
	v_pk_add_f32 v[0:1], v[0:1], v[4:5]
	v_pk_fma_f32 v[4:5], v[10:11], v[170:171], v[2:3] op_sel:[0,0,1] op_sel_hi:[1,1,0] neg_lo:[0,0,1] neg_hi:[0,0,1]
	v_pk_fma_f32 v[2:3], v[10:11], v[170:171], v[2:3] op_sel:[0,0,1] op_sel_hi:[1,0,0]
	v_mov_b32_e32 v2, v169
	v_mov_b32_e32 v5, v3
	s_waitcnt lgkmcnt(0)
	v_pk_mul_f32 v[2:3], v[12:13], v[2:3] op_sel_hi:[1,0]
	v_pk_add_f32 v[0:1], v[0:1], v[4:5]
	v_pk_fma_f32 v[4:5], v[12:13], v[168:169], v[2:3] op_sel:[0,0,1] op_sel_hi:[1,1,0] neg_lo:[0,0,1] neg_hi:[0,0,1]
	v_pk_fma_f32 v[2:3], v[12:13], v[168:169], v[2:3] op_sel:[0,0,1] op_sel_hi:[1,0,0]
	v_mov_b32_e32 v5, v3
	v_pk_add_f32 v[0:1], v[0:1], v[4:5]
	v_pk_add_f32 v[0:1], v[56:57], v[0:1] neg_lo:[0,1] neg_hi:[0,1]
	buffer_store_dword v1, off, s[0:3], 0 offset:4
	buffer_store_dword v0, off, s[0:3], 0
	s_cbranch_vccz .LBB123_493
; %bb.374:
	v_pk_mov_b32 v[0:1], s[10:11], s[10:11] op_sel:[0,1]
	flat_load_dword v0, v[0:1] offset:232
	s_waitcnt vmcnt(0) lgkmcnt(0)
	v_add_u32_e32 v0, -1, v0
	v_cmp_ne_u32_e32 vcc, 58, v0
	s_and_saveexec_b64 s[4:5], vcc
	s_cbranch_execz .LBB123_376
; %bb.375:
	v_mov_b32_e32 v1, 0
	v_lshl_add_u32 v0, v0, 3, v1
	buffer_load_dword v1, v0, s[0:3], 0 offen
	buffer_load_dword v2, v0, s[0:3], 0 offen offset:4
	buffer_load_dword v3, off, s[0:3], 0 offset:468
	buffer_load_dword v4, off, s[0:3], 0 offset:464
	s_waitcnt vmcnt(3)
	buffer_store_dword v1, off, s[0:3], 0 offset:464
	s_waitcnt vmcnt(3)
	buffer_store_dword v2, off, s[0:3], 0 offset:468
	s_waitcnt vmcnt(3)
	buffer_store_dword v3, v0, s[0:3], 0 offen offset:4
	s_waitcnt vmcnt(3)
	buffer_store_dword v4, v0, s[0:3], 0 offen
.LBB123_376:
	s_or_b64 exec, exec, s[4:5]
	v_pk_mov_b32 v[0:1], s[10:11], s[10:11] op_sel:[0,1]
	flat_load_dword v0, v[0:1] offset:228
	s_waitcnt vmcnt(0) lgkmcnt(0)
	v_add_u32_e32 v0, -1, v0
	v_cmp_ne_u32_e32 vcc, 57, v0
	s_and_saveexec_b64 s[4:5], vcc
	s_cbranch_execz .LBB123_378
; %bb.377:
	v_mov_b32_e32 v1, 0
	v_lshl_add_u32 v0, v0, 3, v1
	buffer_load_dword v1, v0, s[0:3], 0 offen
	buffer_load_dword v2, v0, s[0:3], 0 offen offset:4
	buffer_load_dword v3, off, s[0:3], 0 offset:456
	buffer_load_dword v4, off, s[0:3], 0 offset:460
	s_waitcnt vmcnt(3)
	buffer_store_dword v1, off, s[0:3], 0 offset:456
	s_waitcnt vmcnt(3)
	buffer_store_dword v2, off, s[0:3], 0 offset:460
	s_waitcnt vmcnt(3)
	buffer_store_dword v3, v0, s[0:3], 0 offen
	s_waitcnt vmcnt(3)
	buffer_store_dword v4, v0, s[0:3], 0 offen offset:4
.LBB123_378:
	s_or_b64 exec, exec, s[4:5]
	v_pk_mov_b32 v[0:1], s[10:11], s[10:11] op_sel:[0,1]
	flat_load_dword v0, v[0:1] offset:224
	s_waitcnt vmcnt(0) lgkmcnt(0)
	v_add_u32_e32 v0, -1, v0
	v_cmp_ne_u32_e32 vcc, 56, v0
	s_and_saveexec_b64 s[4:5], vcc
	s_cbranch_execz .LBB123_380
; %bb.379:
	v_mov_b32_e32 v1, 0
	v_lshl_add_u32 v0, v0, 3, v1
	buffer_load_dword v1, v0, s[0:3], 0 offen
	buffer_load_dword v2, v0, s[0:3], 0 offen offset:4
	buffer_load_dword v3, off, s[0:3], 0 offset:452
	buffer_load_dword v4, off, s[0:3], 0 offset:448
	s_waitcnt vmcnt(3)
	buffer_store_dword v1, off, s[0:3], 0 offset:448
	s_waitcnt vmcnt(3)
	buffer_store_dword v2, off, s[0:3], 0 offset:452
	s_waitcnt vmcnt(3)
	buffer_store_dword v3, v0, s[0:3], 0 offen offset:4
	s_waitcnt vmcnt(3)
	buffer_store_dword v4, v0, s[0:3], 0 offen
.LBB123_380:
	s_or_b64 exec, exec, s[4:5]
	v_pk_mov_b32 v[0:1], s[10:11], s[10:11] op_sel:[0,1]
	flat_load_dword v0, v[0:1] offset:220
	s_waitcnt vmcnt(0) lgkmcnt(0)
	v_add_u32_e32 v0, -1, v0
	v_cmp_ne_u32_e32 vcc, 55, v0
	s_and_saveexec_b64 s[4:5], vcc
	s_cbranch_execz .LBB123_382
; %bb.381:
	v_mov_b32_e32 v1, 0
	v_lshl_add_u32 v0, v0, 3, v1
	buffer_load_dword v1, v0, s[0:3], 0 offen
	buffer_load_dword v2, v0, s[0:3], 0 offen offset:4
	buffer_load_dword v3, off, s[0:3], 0 offset:440
	buffer_load_dword v4, off, s[0:3], 0 offset:444
	s_waitcnt vmcnt(3)
	buffer_store_dword v1, off, s[0:3], 0 offset:440
	s_waitcnt vmcnt(3)
	buffer_store_dword v2, off, s[0:3], 0 offset:444
	s_waitcnt vmcnt(3)
	buffer_store_dword v3, v0, s[0:3], 0 offen
	s_waitcnt vmcnt(3)
	buffer_store_dword v4, v0, s[0:3], 0 offen offset:4
.LBB123_382:
	s_or_b64 exec, exec, s[4:5]
	;; [unrolled: 48-line block ×29, first 2 shown]
	v_pk_mov_b32 v[0:1], s[10:11], s[10:11] op_sel:[0,1]
	flat_load_dword v2, v[0:1]
	s_nop 0
	buffer_load_dword v0, off, s[0:3], 0
	buffer_load_dword v1, off, s[0:3], 0 offset:4
	s_waitcnt vmcnt(0) lgkmcnt(0)
	v_add_u32_e32 v2, -1, v2
	v_cmp_ne_u32_e32 vcc, 0, v2
	s_and_saveexec_b64 s[4:5], vcc
	s_cbranch_execz .LBB123_492
; %bb.491:
	v_mov_b32_e32 v3, 0
	v_lshl_add_u32 v2, v2, 3, v3
	buffer_load_dword v3, v2, s[0:3], 0 offen offset:4
	buffer_load_dword v4, v2, s[0:3], 0 offen
	s_waitcnt vmcnt(1)
	buffer_store_dword v3, off, s[0:3], 0 offset:4
	s_waitcnt vmcnt(1)
	buffer_store_dword v4, off, s[0:3], 0
	buffer_store_dword v1, v2, s[0:3], 0 offen offset:4
	buffer_store_dword v0, v2, s[0:3], 0 offen
	buffer_load_dword v0, off, s[0:3], 0
	s_nop 0
	buffer_load_dword v1, off, s[0:3], 0 offset:4
.LBB123_492:
	s_or_b64 exec, exec, s[4:5]
.LBB123_493:
	buffer_load_dword v2, off, s[0:3], 0 offset:8
	buffer_load_dword v3, off, s[0:3], 0 offset:12
	;; [unrolled: 1-line block ×118, first 2 shown]
	s_waitcnt vmcnt(62)
	global_store_dwordx2 v[102:103], v[0:1], off
	v_accvgpr_read_b32 v0, a0
	v_accvgpr_read_b32 v1, a1
	global_store_dwordx2 v[0:1], v[2:3], off
	v_accvgpr_read_b32 v0, a2
	v_accvgpr_read_b32 v1, a3
	;; [unrolled: 3-line block ×29, first 2 shown]
	s_waitcnt vmcnt(62)
	global_store_dwordx2 v[0:1], v[58:59], off
	v_accvgpr_read_b32 v0, a64
	v_accvgpr_read_b32 v1, a65
	global_store_dwordx2 v[0:1], v[60:61], off
	v_accvgpr_read_b32 v0, a66
	v_accvgpr_read_b32 v1, a67
	;; [unrolled: 3-line block ×14, first 2 shown]
	s_waitcnt vmcnt(62)
	global_store_dwordx2 v[0:1], v[86:87], off
	global_store_dwordx2 v[196:197], v[88:89], off
	;; [unrolled: 1-line block ×7, first 2 shown]
	s_waitcnt vmcnt(62)
	global_store_dwordx2 v[208:209], v[100:101], off
	global_store_dwordx2 v[210:211], v[104:105], off
	;; [unrolled: 1-line block ×4, first 2 shown]
	s_waitcnt vmcnt(62)
	global_store_dwordx2 v[216:217], v[110:111], off
	global_store_dwordx2 v[218:219], v[112:113], off
	s_waitcnt vmcnt(62)
	global_store_dwordx2 v[220:221], v[114:115], off
	v_accvgpr_read_b32 v0, a32
	v_accvgpr_read_b32 v1, a33
	s_waitcnt vmcnt(61)
	global_store_dwordx2 v[0:1], v[116:117], off
	v_accvgpr_read_b32 v0, a34
	v_accvgpr_read_b32 v1, a35
	;; [unrolled: 4-line block ×3, first 2 shown]
	s_waitcnt vmcnt(59)
	global_store_dwordx2 v[0:1], v[120:121], off
	s_endpgm
	.section	.rodata,"a",@progbits
	.p2align	6, 0x0
	.amdhsa_kernel _ZN9rocsolver6v33100L18getri_kernel_smallILi60E19rocblas_complex_numIfEPKPS3_EEvT1_iilPiilS8_bb
		.amdhsa_group_segment_fixed_size 964
		.amdhsa_private_segment_fixed_size 496
		.amdhsa_kernarg_size 60
		.amdhsa_user_sgpr_count 8
		.amdhsa_user_sgpr_private_segment_buffer 1
		.amdhsa_user_sgpr_dispatch_ptr 0
		.amdhsa_user_sgpr_queue_ptr 0
		.amdhsa_user_sgpr_kernarg_segment_ptr 1
		.amdhsa_user_sgpr_dispatch_id 0
		.amdhsa_user_sgpr_flat_scratch_init 1
		.amdhsa_user_sgpr_kernarg_preload_length 0
		.amdhsa_user_sgpr_kernarg_preload_offset 0
		.amdhsa_user_sgpr_private_segment_size 0
		.amdhsa_uses_dynamic_stack 0
		.amdhsa_system_sgpr_private_segment_wavefront_offset 1
		.amdhsa_system_sgpr_workgroup_id_x 1
		.amdhsa_system_sgpr_workgroup_id_y 0
		.amdhsa_system_sgpr_workgroup_id_z 0
		.amdhsa_system_sgpr_workgroup_info 0
		.amdhsa_system_vgpr_workitem_id 0
		.amdhsa_next_free_vgpr 348
		.amdhsa_next_free_sgpr 22
		.amdhsa_accum_offset 256
		.amdhsa_reserve_vcc 1
		.amdhsa_reserve_flat_scratch 1
		.amdhsa_float_round_mode_32 0
		.amdhsa_float_round_mode_16_64 0
		.amdhsa_float_denorm_mode_32 3
		.amdhsa_float_denorm_mode_16_64 3
		.amdhsa_dx10_clamp 1
		.amdhsa_ieee_mode 1
		.amdhsa_fp16_overflow 0
		.amdhsa_tg_split 0
		.amdhsa_exception_fp_ieee_invalid_op 0
		.amdhsa_exception_fp_denorm_src 0
		.amdhsa_exception_fp_ieee_div_zero 0
		.amdhsa_exception_fp_ieee_overflow 0
		.amdhsa_exception_fp_ieee_underflow 0
		.amdhsa_exception_fp_ieee_inexact 0
		.amdhsa_exception_int_div_zero 0
	.end_amdhsa_kernel
	.section	.text._ZN9rocsolver6v33100L18getri_kernel_smallILi60E19rocblas_complex_numIfEPKPS3_EEvT1_iilPiilS8_bb,"axG",@progbits,_ZN9rocsolver6v33100L18getri_kernel_smallILi60E19rocblas_complex_numIfEPKPS3_EEvT1_iilPiilS8_bb,comdat
.Lfunc_end123:
	.size	_ZN9rocsolver6v33100L18getri_kernel_smallILi60E19rocblas_complex_numIfEPKPS3_EEvT1_iilPiilS8_bb, .Lfunc_end123-_ZN9rocsolver6v33100L18getri_kernel_smallILi60E19rocblas_complex_numIfEPKPS3_EEvT1_iilPiilS8_bb
                                        ; -- End function
	.section	.AMDGPU.csdata,"",@progbits
; Kernel info:
; codeLenInByte = 134620
; NumSgprs: 28
; NumVgprs: 256
; NumAgprs: 92
; TotalNumVgprs: 348
; ScratchSize: 496
; MemoryBound: 0
; FloatMode: 240
; IeeeMode: 1
; LDSByteSize: 964 bytes/workgroup (compile time only)
; SGPRBlocks: 3
; VGPRBlocks: 43
; NumSGPRsForWavesPerEU: 28
; NumVGPRsForWavesPerEU: 348
; AccumOffset: 256
; Occupancy: 1
; WaveLimiterHint : 1
; COMPUTE_PGM_RSRC2:SCRATCH_EN: 1
; COMPUTE_PGM_RSRC2:USER_SGPR: 8
; COMPUTE_PGM_RSRC2:TRAP_HANDLER: 0
; COMPUTE_PGM_RSRC2:TGID_X_EN: 1
; COMPUTE_PGM_RSRC2:TGID_Y_EN: 0
; COMPUTE_PGM_RSRC2:TGID_Z_EN: 0
; COMPUTE_PGM_RSRC2:TIDIG_COMP_CNT: 0
; COMPUTE_PGM_RSRC3_GFX90A:ACCUM_OFFSET: 63
; COMPUTE_PGM_RSRC3_GFX90A:TG_SPLIT: 0
	.section	.text._ZN9rocsolver6v33100L18getri_kernel_smallILi61E19rocblas_complex_numIfEPKPS3_EEvT1_iilPiilS8_bb,"axG",@progbits,_ZN9rocsolver6v33100L18getri_kernel_smallILi61E19rocblas_complex_numIfEPKPS3_EEvT1_iilPiilS8_bb,comdat
	.globl	_ZN9rocsolver6v33100L18getri_kernel_smallILi61E19rocblas_complex_numIfEPKPS3_EEvT1_iilPiilS8_bb ; -- Begin function _ZN9rocsolver6v33100L18getri_kernel_smallILi61E19rocblas_complex_numIfEPKPS3_EEvT1_iilPiilS8_bb
	.p2align	8
	.type	_ZN9rocsolver6v33100L18getri_kernel_smallILi61E19rocblas_complex_numIfEPKPS3_EEvT1_iilPiilS8_bb,@function
_ZN9rocsolver6v33100L18getri_kernel_smallILi61E19rocblas_complex_numIfEPKPS3_EEvT1_iilPiilS8_bb: ; @_ZN9rocsolver6v33100L18getri_kernel_smallILi61E19rocblas_complex_numIfEPKPS3_EEvT1_iilPiilS8_bb
; %bb.0:
	s_add_u32 flat_scratch_lo, s6, s9
	s_addc_u32 flat_scratch_hi, s7, 0
	s_add_u32 s0, s0, s9
	s_addc_u32 s1, s1, 0
	v_cmp_gt_u32_e32 vcc, 61, v0
	s_and_saveexec_b64 s[6:7], vcc
	s_cbranch_execz .LBB124_258
; %bb.1:
	s_load_dword s18, s[4:5], 0x38
	s_load_dwordx2 s[6:7], s[4:5], 0x0
	s_load_dwordx4 s[12:15], s[4:5], 0x28
	s_waitcnt lgkmcnt(0)
	s_bitcmp1_b32 s18, 8
	s_cselect_b64 s[16:17], -1, 0
	s_ashr_i32 s9, s8, 31
	s_lshl_b64 s[10:11], s[8:9], 3
	s_add_u32 s6, s6, s10
	s_addc_u32 s7, s7, s11
	s_load_dwordx2 s[6:7], s[6:7], 0x0
	s_bfe_u32 s10, s18, 0x10008
	s_cmp_eq_u32 s10, 0
                                        ; implicit-def: $sgpr10_sgpr11
	s_cbranch_scc1 .LBB124_3
; %bb.2:
	s_load_dword s10, s[4:5], 0x20
	s_load_dwordx2 s[20:21], s[4:5], 0x18
	s_mul_i32 s11, s8, s13
	s_mul_hi_u32 s13, s8, s12
	s_add_i32 s13, s13, s11
	s_mul_i32 s19, s9, s12
	s_add_i32 s13, s13, s19
	s_mul_i32 s12, s8, s12
	s_waitcnt lgkmcnt(0)
	s_ashr_i32 s11, s10, 31
	s_lshl_b64 s[12:13], s[12:13], 2
	s_add_u32 s12, s20, s12
	s_addc_u32 s13, s21, s13
	s_lshl_b64 s[10:11], s[10:11], 2
	s_add_u32 s10, s12, s10
	s_addc_u32 s11, s13, s11
.LBB124_3:
	s_load_dwordx2 s[4:5], s[4:5], 0x8
	v_lshlrev_b32_e32 v82, 3, v0
	s_waitcnt lgkmcnt(0)
	s_ashr_i32 s13, s4, 31
	s_mov_b32 s12, s4
	s_lshl_b64 s[12:13], s[12:13], 3
	s_add_u32 s6, s6, s12
	s_addc_u32 s7, s7, s13
	v_mov_b32_e32 v1, s7
	v_add_co_u32_e32 v102, vcc, s6, v82
	s_ashr_i32 s13, s5, 31
	s_mov_b32 s12, s5
	s_add_i32 s4, s5, s5
	v_addc_co_u32_e32 v103, vcc, 0, v1, vcc
	s_lshl_b64 s[12:13], s[12:13], 3
	v_add_u32_e32 v2, s4, v0
	v_mov_b32_e32 v1, s13
	v_add_co_u32_e32 v8, vcc, s12, v102
	v_ashrrev_i32_e32 v3, 31, v2
	v_addc_co_u32_e32 v9, vcc, v103, v1, vcc
	v_lshlrev_b64 v[6:7], 3, v[2:3]
	v_add_u32_e32 v2, s5, v2
	v_mov_b32_e32 v1, s7
	v_add_co_u32_e32 v10, vcc, s6, v6
	v_ashrrev_i32_e32 v3, 31, v2
	v_addc_co_u32_e32 v11, vcc, v1, v7, vcc
	v_lshlrev_b64 v[6:7], 3, v[2:3]
	v_add_u32_e32 v2, s5, v2
	v_add_co_u32_e32 v14, vcc, s6, v6
	v_ashrrev_i32_e32 v3, 31, v2
	v_addc_co_u32_e32 v15, vcc, v1, v7, vcc
	v_lshlrev_b64 v[6:7], 3, v[2:3]
	v_add_co_u32_e32 v6, vcc, s6, v6
	v_add_u32_e32 v2, s5, v2
	v_addc_co_u32_e32 v7, vcc, v1, v7, vcc
	v_accvgpr_write_b32 a0, v8
	v_accvgpr_write_b32 a2, v10
	;; [unrolled: 1-line block ×4, first 2 shown]
	v_ashrrev_i32_e32 v3, 31, v2
	global_load_dwordx2 v[4:5], v82, s[6:7]
	v_accvgpr_write_b32 a1, v9
	global_load_dwordx2 v[12:13], v[8:9], off
	v_accvgpr_write_b32 a3, v11
	global_load_dwordx2 v[10:11], v[10:11], off
	v_accvgpr_write_b32 a5, v15
	v_accvgpr_write_b32 a7, v7
	global_load_dwordx2 v[6:7], v[6:7], off
	s_bitcmp0_b32 s18, 0
	global_load_dwordx2 v[8:9], v[14:15], off
	v_lshlrev_b64 v[14:15], 3, v[2:3]
	v_add_u32_e32 v2, s5, v2
	v_add_co_u32_e32 v16, vcc, s6, v14
	v_ashrrev_i32_e32 v3, 31, v2
	v_addc_co_u32_e32 v17, vcc, v1, v15, vcc
	v_lshlrev_b64 v[14:15], 3, v[2:3]
	v_add_u32_e32 v2, s5, v2
	v_add_co_u32_e32 v18, vcc, s6, v14
	v_ashrrev_i32_e32 v3, 31, v2
	v_addc_co_u32_e32 v19, vcc, v1, v15, vcc
	;; [unrolled: 5-line block ×3, first 2 shown]
	v_lshlrev_b64 v[14:15], 3, v[2:3]
	v_add_co_u32_e32 v22, vcc, s6, v14
	v_add_u32_e32 v2, s5, v2
	v_addc_co_u32_e32 v23, vcc, v1, v15, vcc
	v_accvgpr_write_b32 a8, v16
	v_accvgpr_write_b32 a10, v18
	;; [unrolled: 1-line block ×4, first 2 shown]
	v_ashrrev_i32_e32 v3, 31, v2
	v_accvgpr_write_b32 a9, v17
	global_load_dwordx2 v[14:15], v[16:17], off
	v_accvgpr_write_b32 a11, v19
	global_load_dwordx2 v[16:17], v[18:19], off
	v_accvgpr_write_b32 a13, v21
	global_load_dwordx2 v[18:19], v[20:21], off
	v_accvgpr_write_b32 a15, v23
	global_load_dwordx2 v[20:21], v[22:23], off
	v_lshlrev_b64 v[22:23], 3, v[2:3]
	v_add_u32_e32 v2, s5, v2
	v_add_co_u32_e32 v24, vcc, s6, v22
	v_ashrrev_i32_e32 v3, 31, v2
	v_addc_co_u32_e32 v25, vcc, v1, v23, vcc
	v_lshlrev_b64 v[22:23], 3, v[2:3]
	v_add_u32_e32 v2, s5, v2
	v_add_co_u32_e32 v26, vcc, s6, v22
	v_ashrrev_i32_e32 v3, 31, v2
	v_addc_co_u32_e32 v27, vcc, v1, v23, vcc
	v_lshlrev_b64 v[22:23], 3, v[2:3]
	v_add_u32_e32 v2, s5, v2
	v_add_co_u32_e32 v28, vcc, s6, v22
	v_ashrrev_i32_e32 v3, 31, v2
	v_addc_co_u32_e32 v29, vcc, v1, v23, vcc
	v_lshlrev_b64 v[22:23], 3, v[2:3]
	v_add_co_u32_e32 v30, vcc, s6, v22
	v_add_u32_e32 v2, s5, v2
	v_addc_co_u32_e32 v31, vcc, v1, v23, vcc
	v_accvgpr_write_b32 a16, v24
	v_accvgpr_write_b32 a18, v26
	;; [unrolled: 1-line block ×4, first 2 shown]
	v_ashrrev_i32_e32 v3, 31, v2
	v_accvgpr_write_b32 a17, v25
	global_load_dwordx2 v[22:23], v[24:25], off
	v_accvgpr_write_b32 a19, v27
	global_load_dwordx2 v[24:25], v[26:27], off
	;; [unrolled: 2-line block ×4, first 2 shown]
	v_lshlrev_b64 v[30:31], 3, v[2:3]
	v_add_u32_e32 v2, s5, v2
	v_add_co_u32_e32 v32, vcc, s6, v30
	v_ashrrev_i32_e32 v3, 31, v2
	v_addc_co_u32_e32 v33, vcc, v1, v31, vcc
	v_lshlrev_b64 v[30:31], 3, v[2:3]
	v_add_u32_e32 v2, s5, v2
	v_add_co_u32_e32 v34, vcc, s6, v30
	v_ashrrev_i32_e32 v3, 31, v2
	v_addc_co_u32_e32 v35, vcc, v1, v31, vcc
	;; [unrolled: 5-line block ×3, first 2 shown]
	v_lshlrev_b64 v[30:31], 3, v[2:3]
	v_add_co_u32_e32 v38, vcc, s6, v30
	v_add_u32_e32 v2, s5, v2
	v_addc_co_u32_e32 v39, vcc, v1, v31, vcc
	v_accvgpr_write_b32 a24, v32
	global_load_dwordx2 v[30:31], v[32:33], off
	v_accvgpr_write_b32 a26, v34
	v_accvgpr_write_b32 a28, v36
	;; [unrolled: 1-line block ×3, first 2 shown]
	v_ashrrev_i32_e32 v3, 31, v2
	v_accvgpr_write_b32 a25, v33
	v_accvgpr_write_b32 a27, v35
	global_load_dwordx2 v[32:33], v[34:35], off
	v_accvgpr_write_b32 a29, v37
	global_load_dwordx2 v[34:35], v[36:37], off
	;; [unrolled: 2-line block ×3, first 2 shown]
	v_lshlrev_b64 v[38:39], 3, v[2:3]
	v_add_u32_e32 v2, s5, v2
	v_add_co_u32_e32 v40, vcc, s6, v38
	v_ashrrev_i32_e32 v3, 31, v2
	v_addc_co_u32_e32 v41, vcc, v1, v39, vcc
	v_lshlrev_b64 v[38:39], 3, v[2:3]
	v_add_u32_e32 v2, s5, v2
	v_add_co_u32_e32 v42, vcc, s6, v38
	v_ashrrev_i32_e32 v3, 31, v2
	v_addc_co_u32_e32 v43, vcc, v1, v39, vcc
	v_lshlrev_b64 v[38:39], 3, v[2:3]
	v_add_co_u32_e32 v44, vcc, s6, v38
	v_addc_co_u32_e32 v45, vcc, v1, v39, vcc
	v_accvgpr_write_b32 a32, v40
	v_accvgpr_write_b32 a34, v42
	;; [unrolled: 1-line block ×4, first 2 shown]
	global_load_dwordx2 v[38:39], v[40:41], off
	v_accvgpr_write_b32 a35, v43
	global_load_dwordx2 v[40:41], v[42:43], off
	v_accvgpr_write_b32 a37, v45
	global_load_dwordx2 v[42:43], v[44:45], off
	v_add_u32_e32 v44, s5, v2
	v_ashrrev_i32_e32 v45, 31, v44
	v_lshlrev_b64 v[2:3], 3, v[44:45]
	v_add_co_u32_e32 v2, vcc, s6, v2
	v_addc_co_u32_e32 v3, vcc, v1, v3, vcc
	v_accvgpr_write_b32 a39, v3
	v_accvgpr_write_b32 a38, v2
	global_load_dwordx2 v[2:3], v[2:3], off
	s_waitcnt vmcnt(20)
	buffer_store_dword v5, off, s[0:3], 0 offset:4
	buffer_store_dword v4, off, s[0:3], 0
	s_waitcnt vmcnt(21)
	buffer_store_dword v13, off, s[0:3], 0 offset:12
	buffer_store_dword v12, off, s[0:3], 0 offset:8
	s_waitcnt vmcnt(22)
	buffer_store_dword v11, off, s[0:3], 0 offset:20
	buffer_store_dword v10, off, s[0:3], 0 offset:16
	s_waitcnt vmcnt(22)
	buffer_store_dword v9, off, s[0:3], 0 offset:28
	buffer_store_dword v8, off, s[0:3], 0 offset:24
	buffer_store_dword v7, off, s[0:3], 0 offset:36
	buffer_store_dword v6, off, s[0:3], 0 offset:32
	s_waitcnt vmcnt(25)
	buffer_store_dword v15, off, s[0:3], 0 offset:44
	buffer_store_dword v14, off, s[0:3], 0 offset:40
	s_waitcnt vmcnt(26)
	;; [unrolled: 3-line block ×16, first 2 shown]
	buffer_store_dword v3, off, s[0:3], 0 offset:164
	v_add_u32_e32 v4, s5, v44
	v_ashrrev_i32_e32 v5, 31, v4
	v_lshlrev_b64 v[6:7], 3, v[4:5]
	v_add_u32_e32 v4, s5, v4
	v_add_co_u32_e32 v8, vcc, s6, v6
	v_ashrrev_i32_e32 v5, 31, v4
	v_addc_co_u32_e32 v9, vcc, v1, v7, vcc
	v_lshlrev_b64 v[6:7], 3, v[4:5]
	v_add_u32_e32 v4, s5, v4
	v_add_co_u32_e32 v14, vcc, s6, v6
	v_ashrrev_i32_e32 v5, 31, v4
	v_addc_co_u32_e32 v15, vcc, v1, v7, vcc
	v_lshlrev_b64 v[6:7], 3, v[4:5]
	v_add_u32_e32 v12, s5, v4
	v_add_co_u32_e32 v6, vcc, s6, v6
	v_ashrrev_i32_e32 v13, 31, v12
	v_addc_co_u32_e32 v7, vcc, v1, v7, vcc
	v_lshlrev_b64 v[4:5], 3, v[12:13]
	v_add_u32_e32 v12, s5, v12
	v_add_co_u32_e32 v4, vcc, s6, v4
	v_accvgpr_write_b32 a41, v9
	v_accvgpr_write_b32 a43, v15
	v_accvgpr_write_b32 a45, v7
	v_ashrrev_i32_e32 v13, 31, v12
	v_addc_co_u32_e32 v5, vcc, v1, v5, vcc
	v_accvgpr_write_b32 a40, v8
	global_load_dwordx2 v[10:11], v[8:9], off
	v_accvgpr_write_b32 a42, v14
	v_accvgpr_write_b32 a44, v6
	global_load_dwordx2 v[6:7], v[6:7], off
	v_accvgpr_write_b32 a47, v5
	global_load_dwordx2 v[8:9], v[14:15], off
	v_lshlrev_b64 v[14:15], 3, v[12:13]
	v_add_u32_e32 v12, s5, v12
	v_add_co_u32_e32 v16, vcc, s6, v14
	v_ashrrev_i32_e32 v13, 31, v12
	v_addc_co_u32_e32 v17, vcc, v1, v15, vcc
	v_lshlrev_b64 v[14:15], 3, v[12:13]
	v_add_u32_e32 v12, s5, v12
	v_add_co_u32_e32 v22, vcc, s6, v14
	v_ashrrev_i32_e32 v13, 31, v12
	v_addc_co_u32_e32 v23, vcc, v1, v15, vcc
	v_lshlrev_b64 v[14:15], 3, v[12:13]
	v_add_u32_e32 v20, s5, v12
	v_add_co_u32_e32 v14, vcc, s6, v14
	v_ashrrev_i32_e32 v21, 31, v20
	v_addc_co_u32_e32 v15, vcc, v1, v15, vcc
	v_lshlrev_b64 v[12:13], 3, v[20:21]
	v_add_u32_e32 v20, s5, v20
	v_add_co_u32_e32 v12, vcc, s6, v12
	v_accvgpr_write_b32 a49, v17
	v_accvgpr_write_b32 a51, v23
	v_accvgpr_write_b32 a53, v15
	v_ashrrev_i32_e32 v21, 31, v20
	v_addc_co_u32_e32 v13, vcc, v1, v13, vcc
	v_accvgpr_write_b32 a48, v16
	global_load_dwordx2 v[18:19], v[16:17], off
	v_accvgpr_write_b32 a50, v22
	v_accvgpr_write_b32 a52, v14
	global_load_dwordx2 v[14:15], v[14:15], off
	v_accvgpr_write_b32 a55, v13
	global_load_dwordx2 v[16:17], v[22:23], off
	;; [unrolled: 30-line block ×7, first 2 shown]
	v_lshlrev_b64 v[62:63], 3, v[60:61]
	v_add_u32_e32 v60, s5, v60
	v_add_co_u32_e32 v200, vcc, s6, v62
	v_ashrrev_i32_e32 v61, 31, v60
	v_addc_co_u32_e32 v201, vcc, v1, v63, vcc
	v_lshlrev_b64 v[62:63], 3, v[60:61]
	v_add_u32_e32 v60, s5, v60
	v_add_co_u32_e32 v202, vcc, s6, v62
	v_ashrrev_i32_e32 v61, 31, v60
	v_addc_co_u32_e32 v203, vcc, v1, v63, vcc
	;; [unrolled: 5-line block ×10, first 2 shown]
	v_lshlrev_b64 v[76:77], 3, v[84:85]
	v_add_co_u32_e32 v220, vcc, s6, v76
	v_accvgpr_write_b32 a46, v4
	global_load_dwordx2 v[4:5], v[4:5], off
	v_accvgpr_write_b32 a54, v12
	global_load_dwordx2 v[12:13], v[12:13], off
	;; [unrolled: 2-line block ×7, first 2 shown]
	s_nop 0
	global_load_dwordx2 v[66:67], v[200:201], off
	global_load_dwordx2 v[64:65], v[202:203], off
	;; [unrolled: 1-line block ×8, first 2 shown]
	v_addc_co_u32_e32 v221, vcc, v1, v77, vcc
	global_load_dwordx2 v[80:81], v[216:217], off
	global_load_dwordx2 v[78:79], v[218:219], off
	;; [unrolled: 1-line block ×3, first 2 shown]
	v_add_u32_e32 v84, s5, v84
	v_ashrrev_i32_e32 v85, 31, v84
	v_lshlrev_b64 v[84:85], 3, v[84:85]
	v_add_co_u32_e32 v222, vcc, s6, v84
	v_addc_co_u32_e32 v223, vcc, v1, v85, vcc
	global_load_dwordx2 v[84:85], v[222:223], off
	s_mov_b64 s[6:7], -1
	buffer_store_dword v2, off, s[0:3], 0 offset:160
	s_waitcnt vmcnt(40)
	buffer_store_dword v10, off, s[0:3], 0 offset:168
	buffer_store_dword v11, off, s[0:3], 0 offset:172
	s_waitcnt vmcnt(40)
	buffer_store_dword v8, off, s[0:3], 0 offset:176
	buffer_store_dword v9, off, s[0:3], 0 offset:180
	buffer_store_dword v6, off, s[0:3], 0 offset:184
	buffer_store_dword v7, off, s[0:3], 0 offset:188
	s_waitcnt vmcnt(25)
	buffer_store_dword v4, off, s[0:3], 0 offset:192
	buffer_store_dword v5, off, s[0:3], 0 offset:196
	buffer_store_dword v19, off, s[0:3], 0 offset:204
	buffer_store_dword v18, off, s[0:3], 0 offset:200
	buffer_store_dword v17, off, s[0:3], 0 offset:212
	buffer_store_dword v16, off, s[0:3], 0 offset:208
	buffer_store_dword v14, off, s[0:3], 0 offset:216
	buffer_store_dword v15, off, s[0:3], 0 offset:220
	s_waitcnt vmcnt(32)
	buffer_store_dword v12, off, s[0:3], 0 offset:224
	buffer_store_dword v13, off, s[0:3], 0 offset:228
	buffer_store_dword v26, off, s[0:3], 0 offset:232
	buffer_store_dword v27, off, s[0:3], 0 offset:236
	buffer_store_dword v24, off, s[0:3], 0 offset:240
	buffer_store_dword v25, off, s[0:3], 0 offset:244
	buffer_store_dword v23, off, s[0:3], 0 offset:252
	buffer_store_dword v22, off, s[0:3], 0 offset:248
	s_waitcnt vmcnt(39)
	buffer_store_dword v21, off, s[0:3], 0 offset:260
	buffer_store_dword v20, off, s[0:3], 0 offset:256
	buffer_store_dword v34, off, s[0:3], 0 offset:264
	buffer_store_dword v35, off, s[0:3], 0 offset:268
	buffer_store_dword v32, off, s[0:3], 0 offset:272
	buffer_store_dword v33, off, s[0:3], 0 offset:276
	buffer_store_dword v30, off, s[0:3], 0 offset:280
	buffer_store_dword v31, off, s[0:3], 0 offset:284
	s_waitcnt vmcnt(46)
	buffer_store_dword v28, off, s[0:3], 0 offset:288
	buffer_store_dword v29, off, s[0:3], 0 offset:292
	buffer_store_dword v43, off, s[0:3], 0 offset:300
	buffer_store_dword v42, off, s[0:3], 0 offset:296
	buffer_store_dword v41, off, s[0:3], 0 offset:308
	buffer_store_dword v40, off, s[0:3], 0 offset:304
	buffer_store_dword v38, off, s[0:3], 0 offset:312
	buffer_store_dword v39, off, s[0:3], 0 offset:316
	s_waitcnt vmcnt(53)
	buffer_store_dword v36, off, s[0:3], 0 offset:320
	buffer_store_dword v37, off, s[0:3], 0 offset:324
	buffer_store_dword v50, off, s[0:3], 0 offset:328
	buffer_store_dword v51, off, s[0:3], 0 offset:332
	buffer_store_dword v48, off, s[0:3], 0 offset:336
	buffer_store_dword v49, off, s[0:3], 0 offset:340
	buffer_store_dword v47, off, s[0:3], 0 offset:348
	buffer_store_dword v46, off, s[0:3], 0 offset:344
	s_waitcnt vmcnt(60)
	buffer_store_dword v45, off, s[0:3], 0 offset:356
	buffer_store_dword v44, off, s[0:3], 0 offset:352
	buffer_store_dword v58, off, s[0:3], 0 offset:360
	buffer_store_dword v59, off, s[0:3], 0 offset:364
	buffer_store_dword v56, off, s[0:3], 0 offset:368
	buffer_store_dword v57, off, s[0:3], 0 offset:372
	buffer_store_dword v54, off, s[0:3], 0 offset:376
	buffer_store_dword v55, off, s[0:3], 0 offset:380
	s_waitcnt vmcnt(62)
	buffer_store_dword v52, off, s[0:3], 0 offset:384
	buffer_store_dword v53, off, s[0:3], 0 offset:388
	buffer_store_dword v67, off, s[0:3], 0 offset:396
	buffer_store_dword v66, off, s[0:3], 0 offset:392
	buffer_store_dword v65, off, s[0:3], 0 offset:404
	buffer_store_dword v64, off, s[0:3], 0 offset:400
	;; [unrolled: 1-line block ×8, first 2 shown]
	s_waitcnt vmcnt(62)
	buffer_store_dword v72, off, s[0:3], 0 offset:432
	buffer_store_dword v73, off, s[0:3], 0 offset:436
	;; [unrolled: 1-line block ×14, first 2 shown]
	s_cbranch_scc1 .LBB124_256
; %bb.4:
	v_cmp_eq_u32_e64 s[4:5], 0, v0
	s_and_saveexec_b64 s[6:7], s[4:5]
	s_cbranch_execz .LBB124_6
; %bb.5:
	v_mov_b32_e32 v1, 0
	ds_write_b32 v1, v1 offset:488
.LBB124_6:
	s_or_b64 exec, exec, s[6:7]
	v_mov_b32_e32 v1, 0
	v_lshl_add_u32 v6, v0, 3, v1
	s_waitcnt lgkmcnt(0)
	; wave barrier
	s_waitcnt lgkmcnt(0)
	buffer_load_dword v1, v6, s[0:3], 0 offen
	buffer_load_dword v2, v6, s[0:3], 0 offen offset:4
	s_waitcnt vmcnt(1)
	v_cmp_eq_f32_e32 vcc, 0, v1
	s_waitcnt vmcnt(0)
	v_cmp_eq_f32_e64 s[6:7], 0, v2
	s_and_b64 s[6:7], vcc, s[6:7]
	s_and_saveexec_b64 s[12:13], s[6:7]
	s_cbranch_execz .LBB124_10
; %bb.7:
	v_mov_b32_e32 v1, 0
	ds_read_b32 v3, v1 offset:488
	v_add_u32_e32 v2, 1, v0
	s_waitcnt lgkmcnt(0)
	v_readfirstlane_b32 s6, v3
	s_cmp_eq_u32 s6, 0
	s_cselect_b64 s[18:19], -1, 0
	v_cmp_gt_i32_e32 vcc, s6, v2
	s_or_b64 s[18:19], s[18:19], vcc
	s_and_b64 exec, exec, s[18:19]
	s_cbranch_execz .LBB124_10
; %bb.8:
	s_mov_b64 s[18:19], 0
	v_mov_b32_e32 v3, s6
.LBB124_9:                              ; =>This Inner Loop Header: Depth=1
	ds_cmpst_rtn_b32 v3, v1, v3, v2 offset:488
	s_waitcnt lgkmcnt(0)
	v_cmp_ne_u32_e32 vcc, 0, v3
	v_cmp_le_i32_e64 s[6:7], v3, v2
	s_and_b64 s[6:7], vcc, s[6:7]
	s_and_b64 s[6:7], exec, s[6:7]
	s_or_b64 s[18:19], s[6:7], s[18:19]
	s_andn2_b64 exec, exec, s[18:19]
	s_cbranch_execnz .LBB124_9
.LBB124_10:
	s_or_b64 exec, exec, s[12:13]
	v_mov_b32_e32 v2, 0
	s_waitcnt lgkmcnt(0)
	; wave barrier
	ds_read_b32 v1, v2 offset:488
	s_and_saveexec_b64 s[6:7], s[4:5]
	s_cbranch_execz .LBB124_12
; %bb.11:
	s_lshl_b64 s[12:13], s[8:9], 2
	s_add_u32 s12, s14, s12
	s_addc_u32 s13, s15, s13
	s_waitcnt lgkmcnt(0)
	global_store_dword v2, v1, s[12:13]
.LBB124_12:
	s_or_b64 exec, exec, s[6:7]
	s_waitcnt lgkmcnt(0)
	v_cmp_ne_u32_e32 vcc, 0, v1
	s_mov_b64 s[6:7], 0
	s_cbranch_vccnz .LBB124_256
; %bb.13:
	buffer_load_dword v7, v6, s[0:3], 0 offen offset:4
	buffer_load_dword v3, v6, s[0:3], 0 offen
	s_waitcnt vmcnt(1)
	v_cmp_gt_f32_e32 vcc, 0, v7
	v_cndmask_b32_e64 v1, v7, -v7, vcc
	s_waitcnt vmcnt(0)
	v_cmp_gt_f32_e32 vcc, 0, v3
	v_cndmask_b32_e64 v2, v3, -v3, vcc
	v_cmp_ngt_f32_e32 vcc, v2, v1
                                        ; implicit-def: $vgpr1
                                        ; implicit-def: $vgpr2
	s_and_saveexec_b64 s[6:7], vcc
	s_xor_b64 s[6:7], exec, s[6:7]
                                        ; implicit-def: $vgpr4_vgpr5
	s_cbranch_execz .LBB124_15
; %bb.14:
	v_div_scale_f32 v1, s[12:13], v7, v7, v3
	v_rcp_f32_e32 v2, v1
	v_div_scale_f32 v4, vcc, v3, v7, v3
	v_fma_f32 v5, -v1, v2, 1.0
	v_fmac_f32_e32 v2, v5, v2
	v_mul_f32_e32 v5, v4, v2
	v_fma_f32 v8, -v1, v5, v4
	v_fmac_f32_e32 v5, v8, v2
	v_fma_f32 v1, -v1, v5, v4
	v_div_fmas_f32 v1, v1, v2, v5
	v_div_fixup_f32 v2, v1, v7, v3
	v_fmac_f32_e32 v7, v3, v2
	v_div_scale_f32 v1, s[12:13], v7, v7, -1.0
	v_rcp_f32_e32 v3, v1
	v_fma_f32 v4, -v1, v3, 1.0
	v_fmac_f32_e32 v3, v4, v3
	v_div_scale_f32 v4, vcc, -1.0, v7, -1.0
	v_mul_f32_e32 v5, v4, v3
	v_fma_f32 v8, -v1, v5, v4
	v_fmac_f32_e32 v5, v8, v3
	v_fma_f32 v1, -v1, v5, v4
	v_div_fmas_f32 v1, v1, v3, v5
	v_div_fixup_f32 v1, v1, v7, -1.0
	v_mul_f32_e32 v2, v2, v1
	v_xor_b32_e32 v4, 0x80000000, v2
                                        ; implicit-def: $vgpr3
                                        ; implicit-def: $vgpr7
.LBB124_15:
	s_andn2_saveexec_b64 s[6:7], s[6:7]
	s_cbranch_execz .LBB124_17
; %bb.16:
	v_div_scale_f32 v1, s[12:13], v3, v3, v7
	v_rcp_f32_e32 v2, v1
	v_div_scale_f32 v4, vcc, v7, v3, v7
	v_fma_f32 v5, -v1, v2, 1.0
	v_fmac_f32_e32 v2, v5, v2
	v_mul_f32_e32 v5, v4, v2
	v_fma_f32 v8, -v1, v5, v4
	v_fmac_f32_e32 v5, v8, v2
	v_fma_f32 v1, -v1, v5, v4
	v_div_fmas_f32 v1, v1, v2, v5
	v_div_fixup_f32 v1, v1, v3, v7
	v_fmac_f32_e32 v3, v7, v1
	v_div_scale_f32 v2, s[12:13], v3, v3, 1.0
	v_rcp_f32_e32 v4, v2
	v_fma_f32 v5, -v2, v4, 1.0
	v_fmac_f32_e32 v4, v5, v4
	v_div_scale_f32 v5, vcc, 1.0, v3, 1.0
	v_mul_f32_e32 v7, v5, v4
	v_fma_f32 v8, -v2, v7, v5
	v_fmac_f32_e32 v7, v8, v4
	v_fma_f32 v2, -v2, v7, v5
	v_div_fmas_f32 v2, v2, v4, v7
	v_div_fixup_f32 v4, v2, v3, 1.0
	v_xor_b32_e32 v2, 0x80000000, v4
	v_mul_f32_e64 v1, v1, -v4
.LBB124_17:
	s_or_b64 exec, exec, s[6:7]
	buffer_store_dword v1, v6, s[0:3], 0 offen offset:4
	buffer_store_dword v4, v6, s[0:3], 0 offen
	buffer_load_dword v5, off, s[0:3], 0 offset:12
	s_nop 0
	buffer_load_dword v4, off, s[0:3], 0 offset:8
	v_xor_b32_e32 v3, 0x80000000, v1
	v_add_u32_e32 v1, 0x1f0, v82
	s_waitcnt vmcnt(0)
	ds_write2_b64 v82, v[2:3], v[4:5] offset1:62
	s_waitcnt lgkmcnt(0)
	; wave barrier
	s_waitcnt lgkmcnt(0)
	s_and_saveexec_b64 s[6:7], s[4:5]
	s_cbranch_execz .LBB124_19
; %bb.18:
	buffer_load_dword v7, v6, s[0:3], 0 offen offset:4
	buffer_load_dword v8, v6, s[0:3], 0 offen
	ds_read_b64 v[2:3], v1
	v_mov_b32_e32 v4, 0
	ds_read_b64 v[4:5], v4 offset:8
	s_waitcnt vmcnt(1) lgkmcnt(1)
	v_mul_f32_e32 v9, v3, v7
	v_mul_f32_e32 v7, v2, v7
	s_waitcnt vmcnt(0)
	v_fmac_f32_e32 v7, v3, v8
	v_fma_f32 v2, v2, v8, -v9
	v_add_f32_e32 v3, 0, v7
	v_add_f32_e32 v2, 0, v2
	s_waitcnt lgkmcnt(0)
	v_mul_f32_e32 v7, v3, v5
	v_mul_f32_e32 v5, v2, v5
	v_fma_f32 v2, v2, v4, -v7
	v_fmac_f32_e32 v5, v3, v4
	buffer_store_dword v2, off, s[0:3], 0 offset:8
	buffer_store_dword v5, off, s[0:3], 0 offset:12
.LBB124_19:
	s_or_b64 exec, exec, s[6:7]
	s_waitcnt lgkmcnt(0)
	; wave barrier
	buffer_load_dword v2, off, s[0:3], 0 offset:16
	buffer_load_dword v3, off, s[0:3], 0 offset:20
	v_cmp_gt_u32_e32 vcc, 2, v0
	s_waitcnt vmcnt(0)
	ds_write_b64 v1, v[2:3]
	s_waitcnt lgkmcnt(0)
	; wave barrier
	s_waitcnt lgkmcnt(0)
	s_and_saveexec_b64 s[6:7], vcc
	s_cbranch_execz .LBB124_23
; %bb.20:
	buffer_load_dword v4, v6, s[0:3], 0 offen offset:4
	buffer_load_dword v5, v6, s[0:3], 0 offen
	ds_read_b64 v[2:3], v1
	s_waitcnt vmcnt(1) lgkmcnt(0)
	v_mul_f32_e32 v6, v3, v4
	v_mul_f32_e32 v4, v2, v4
	s_waitcnt vmcnt(0)
	v_fma_f32 v2, v2, v5, -v6
	v_fmac_f32_e32 v4, v3, v5
	v_add_f32_e32 v3, 0, v2
	v_add_f32_e32 v2, 0, v4
	s_and_saveexec_b64 s[12:13], s[4:5]
	s_cbranch_execz .LBB124_22
; %bb.21:
	buffer_load_dword v6, off, s[0:3], 0 offset:12
	buffer_load_dword v7, off, s[0:3], 0 offset:8
	v_mov_b32_e32 v4, 0
	ds_read_b64 v[4:5], v4 offset:504
	s_waitcnt vmcnt(1) lgkmcnt(0)
	v_mul_f32_e32 v8, v4, v6
	v_mul_f32_e32 v6, v5, v6
	s_waitcnt vmcnt(0)
	v_fmac_f32_e32 v8, v5, v7
	v_fma_f32 v4, v4, v7, -v6
	v_add_f32_e32 v2, v2, v8
	v_add_f32_e32 v3, v3, v4
.LBB124_22:
	s_or_b64 exec, exec, s[12:13]
	v_mov_b32_e32 v4, 0
	ds_read_b64 v[4:5], v4 offset:16
	s_waitcnt lgkmcnt(0)
	v_mul_f32_e32 v6, v2, v5
	v_mul_f32_e32 v5, v3, v5
	v_fma_f32 v3, v3, v4, -v6
	v_fmac_f32_e32 v5, v2, v4
	buffer_store_dword v3, off, s[0:3], 0 offset:16
	buffer_store_dword v5, off, s[0:3], 0 offset:20
.LBB124_23:
	s_or_b64 exec, exec, s[6:7]
	s_waitcnt lgkmcnt(0)
	; wave barrier
	buffer_load_dword v2, off, s[0:3], 0 offset:24
	buffer_load_dword v3, off, s[0:3], 0 offset:28
	v_cmp_gt_u32_e32 vcc, 3, v0
	s_waitcnt vmcnt(0)
	ds_write_b64 v1, v[2:3]
	v_add_u32_e32 v2, -1, v0
	s_waitcnt lgkmcnt(0)
	; wave barrier
	s_waitcnt lgkmcnt(0)
	s_and_saveexec_b64 s[4:5], vcc
	s_cbranch_execz .LBB124_27
; %bb.24:
	v_add_u32_e32 v4, -1, v0
	v_add_u32_e32 v5, 0x1f0, v82
	v_add_u32_e32 v6, 0, v82
	s_mov_b64 s[6:7], 0
	v_mov_b32_e32 v3, 0
	v_mov_b32_e32 v7, 0
.LBB124_25:                             ; =>This Inner Loop Header: Depth=1
	buffer_load_dword v10, v6, s[0:3], 0 offen offset:4
	buffer_load_dword v11, v6, s[0:3], 0 offen
	ds_read_b64 v[8:9], v5
	v_add_u32_e32 v4, 1, v4
	v_cmp_lt_u32_e32 vcc, 1, v4
	v_add_u32_e32 v5, 8, v5
	v_add_u32_e32 v6, 8, v6
	s_or_b64 s[6:7], vcc, s[6:7]
	s_waitcnt vmcnt(1) lgkmcnt(0)
	v_mul_f32_e32 v12, v9, v10
	v_mul_f32_e32 v10, v8, v10
	s_waitcnt vmcnt(0)
	v_fma_f32 v8, v8, v11, -v12
	v_fmac_f32_e32 v10, v9, v11
	v_add_f32_e32 v7, v7, v8
	v_add_f32_e32 v3, v3, v10
	s_andn2_b64 exec, exec, s[6:7]
	s_cbranch_execnz .LBB124_25
; %bb.26:
	s_or_b64 exec, exec, s[6:7]
	v_mov_b32_e32 v4, 0
	ds_read_b64 v[4:5], v4 offset:24
	s_waitcnt lgkmcnt(0)
	v_mul_f32_e32 v6, v3, v5
	v_mul_f32_e32 v5, v7, v5
	v_fma_f32 v6, v7, v4, -v6
	v_fmac_f32_e32 v5, v3, v4
	buffer_store_dword v6, off, s[0:3], 0 offset:24
	buffer_store_dword v5, off, s[0:3], 0 offset:28
.LBB124_27:
	s_or_b64 exec, exec, s[4:5]
	s_waitcnt lgkmcnt(0)
	; wave barrier
	buffer_load_dword v4, off, s[0:3], 0 offset:32
	buffer_load_dword v5, off, s[0:3], 0 offset:36
	v_cmp_gt_u32_e32 vcc, 4, v0
	s_waitcnt vmcnt(0)
	ds_write_b64 v1, v[4:5]
	s_waitcnt lgkmcnt(0)
	; wave barrier
	s_waitcnt lgkmcnt(0)
	s_and_saveexec_b64 s[4:5], vcc
	s_cbranch_execz .LBB124_31
; %bb.28:
	v_add_u32_e32 v4, -1, v0
	v_add_u32_e32 v5, 0x1f0, v82
	v_add_u32_e32 v6, 0, v82
	s_mov_b64 s[6:7], 0
	v_mov_b32_e32 v3, 0
	v_mov_b32_e32 v7, 0
.LBB124_29:                             ; =>This Inner Loop Header: Depth=1
	buffer_load_dword v10, v6, s[0:3], 0 offen offset:4
	buffer_load_dword v11, v6, s[0:3], 0 offen
	ds_read_b64 v[8:9], v5
	v_add_u32_e32 v4, 1, v4
	v_cmp_lt_u32_e32 vcc, 2, v4
	v_add_u32_e32 v5, 8, v5
	v_add_u32_e32 v6, 8, v6
	s_or_b64 s[6:7], vcc, s[6:7]
	s_waitcnt vmcnt(1) lgkmcnt(0)
	v_mul_f32_e32 v12, v9, v10
	v_mul_f32_e32 v10, v8, v10
	s_waitcnt vmcnt(0)
	v_fma_f32 v8, v8, v11, -v12
	v_fmac_f32_e32 v10, v9, v11
	v_add_f32_e32 v7, v7, v8
	v_add_f32_e32 v3, v3, v10
	s_andn2_b64 exec, exec, s[6:7]
	s_cbranch_execnz .LBB124_29
; %bb.30:
	s_or_b64 exec, exec, s[6:7]
	v_mov_b32_e32 v4, 0
	ds_read_b64 v[4:5], v4 offset:32
	s_waitcnt lgkmcnt(0)
	v_mul_f32_e32 v6, v3, v5
	v_mul_f32_e32 v5, v7, v5
	v_fma_f32 v6, v7, v4, -v6
	v_fmac_f32_e32 v5, v3, v4
	buffer_store_dword v6, off, s[0:3], 0 offset:32
	buffer_store_dword v5, off, s[0:3], 0 offset:36
.LBB124_31:
	s_or_b64 exec, exec, s[4:5]
	s_waitcnt lgkmcnt(0)
	; wave barrier
	buffer_load_dword v4, off, s[0:3], 0 offset:40
	buffer_load_dword v5, off, s[0:3], 0 offset:44
	v_cmp_gt_u32_e32 vcc, 5, v0
	s_waitcnt vmcnt(0)
	ds_write_b64 v1, v[4:5]
	;; [unrolled: 51-line block ×19, first 2 shown]
	s_waitcnt lgkmcnt(0)
	; wave barrier
	s_waitcnt lgkmcnt(0)
	s_and_saveexec_b64 s[4:5], vcc
	s_cbranch_execz .LBB124_103
; %bb.100:
	v_add_u32_e32 v4, -1, v0
	v_add_u32_e32 v5, 0x1f0, v82
	v_add_u32_e32 v6, 0, v82
	s_mov_b64 s[6:7], 0
	v_mov_b32_e32 v3, 0
	v_mov_b32_e32 v7, 0
.LBB124_101:                            ; =>This Inner Loop Header: Depth=1
	buffer_load_dword v10, v6, s[0:3], 0 offen offset:4
	buffer_load_dword v11, v6, s[0:3], 0 offen
	ds_read_b64 v[8:9], v5
	v_add_u32_e32 v4, 1, v4
	v_cmp_lt_u32_e32 vcc, 20, v4
	v_add_u32_e32 v5, 8, v5
	v_add_u32_e32 v6, 8, v6
	s_or_b64 s[6:7], vcc, s[6:7]
	s_waitcnt vmcnt(1) lgkmcnt(0)
	v_mul_f32_e32 v12, v9, v10
	v_mul_f32_e32 v10, v8, v10
	s_waitcnt vmcnt(0)
	v_fma_f32 v8, v8, v11, -v12
	v_fmac_f32_e32 v10, v9, v11
	v_add_f32_e32 v7, v7, v8
	v_add_f32_e32 v3, v3, v10
	s_andn2_b64 exec, exec, s[6:7]
	s_cbranch_execnz .LBB124_101
; %bb.102:
	s_or_b64 exec, exec, s[6:7]
	v_mov_b32_e32 v4, 0
	ds_read_b64 v[4:5], v4 offset:176
	s_waitcnt lgkmcnt(0)
	v_mul_f32_e32 v6, v3, v5
	v_mul_f32_e32 v5, v7, v5
	v_fma_f32 v6, v7, v4, -v6
	v_fmac_f32_e32 v5, v3, v4
	buffer_store_dword v6, off, s[0:3], 0 offset:176
	buffer_store_dword v5, off, s[0:3], 0 offset:180
.LBB124_103:
	s_or_b64 exec, exec, s[4:5]
	s_waitcnt lgkmcnt(0)
	; wave barrier
	buffer_load_dword v4, off, s[0:3], 0 offset:184
	buffer_load_dword v5, off, s[0:3], 0 offset:188
	v_cmp_gt_u32_e32 vcc, 23, v0
	s_waitcnt vmcnt(0)
	ds_write_b64 v1, v[4:5]
	s_waitcnt lgkmcnt(0)
	; wave barrier
	s_waitcnt lgkmcnt(0)
	s_and_saveexec_b64 s[4:5], vcc
	s_cbranch_execz .LBB124_107
; %bb.104:
	v_add_u32_e32 v4, -1, v0
	v_add_u32_e32 v5, 0x1f0, v82
	v_add_u32_e32 v6, 0, v82
	s_mov_b64 s[6:7], 0
	v_mov_b32_e32 v3, 0
	v_mov_b32_e32 v7, 0
.LBB124_105:                            ; =>This Inner Loop Header: Depth=1
	buffer_load_dword v10, v6, s[0:3], 0 offen offset:4
	buffer_load_dword v11, v6, s[0:3], 0 offen
	ds_read_b64 v[8:9], v5
	v_add_u32_e32 v4, 1, v4
	v_cmp_lt_u32_e32 vcc, 21, v4
	v_add_u32_e32 v5, 8, v5
	v_add_u32_e32 v6, 8, v6
	s_or_b64 s[6:7], vcc, s[6:7]
	s_waitcnt vmcnt(1) lgkmcnt(0)
	v_mul_f32_e32 v12, v9, v10
	v_mul_f32_e32 v10, v8, v10
	s_waitcnt vmcnt(0)
	v_fma_f32 v8, v8, v11, -v12
	v_fmac_f32_e32 v10, v9, v11
	v_add_f32_e32 v7, v7, v8
	v_add_f32_e32 v3, v3, v10
	s_andn2_b64 exec, exec, s[6:7]
	s_cbranch_execnz .LBB124_105
; %bb.106:
	s_or_b64 exec, exec, s[6:7]
	v_mov_b32_e32 v4, 0
	ds_read_b64 v[4:5], v4 offset:184
	s_waitcnt lgkmcnt(0)
	v_mul_f32_e32 v6, v3, v5
	v_mul_f32_e32 v5, v7, v5
	v_fma_f32 v6, v7, v4, -v6
	v_fmac_f32_e32 v5, v3, v4
	buffer_store_dword v6, off, s[0:3], 0 offset:184
	buffer_store_dword v5, off, s[0:3], 0 offset:188
.LBB124_107:
	s_or_b64 exec, exec, s[4:5]
	s_waitcnt lgkmcnt(0)
	; wave barrier
	buffer_load_dword v4, off, s[0:3], 0 offset:192
	buffer_load_dword v5, off, s[0:3], 0 offset:196
	v_cmp_gt_u32_e32 vcc, 24, v0
	s_waitcnt vmcnt(0)
	ds_write_b64 v1, v[4:5]
	;; [unrolled: 51-line block ×37, first 2 shown]
	s_waitcnt lgkmcnt(0)
	; wave barrier
	s_waitcnt lgkmcnt(0)
	s_and_saveexec_b64 s[4:5], vcc
	s_cbranch_execz .LBB124_251
; %bb.248:
	v_add_u32_e32 v4, -1, v0
	v_add_u32_e32 v5, 0x1f0, v82
	v_add_u32_e32 v6, 0, v82
	s_mov_b64 s[6:7], 0
	v_mov_b32_e32 v3, 0
	v_mov_b32_e32 v7, 0
.LBB124_249:                            ; =>This Inner Loop Header: Depth=1
	buffer_load_dword v10, v6, s[0:3], 0 offen offset:4
	buffer_load_dword v11, v6, s[0:3], 0 offen
	ds_read_b64 v[8:9], v5
	v_add_u32_e32 v4, 1, v4
	v_cmp_lt_u32_e32 vcc, 57, v4
	v_add_u32_e32 v5, 8, v5
	v_add_u32_e32 v6, 8, v6
	s_or_b64 s[6:7], vcc, s[6:7]
	s_waitcnt vmcnt(1) lgkmcnt(0)
	v_mul_f32_e32 v12, v9, v10
	v_mul_f32_e32 v10, v8, v10
	s_waitcnt vmcnt(0)
	v_fma_f32 v8, v8, v11, -v12
	v_fmac_f32_e32 v10, v9, v11
	v_add_f32_e32 v7, v7, v8
	v_add_f32_e32 v3, v3, v10
	s_andn2_b64 exec, exec, s[6:7]
	s_cbranch_execnz .LBB124_249
; %bb.250:
	s_or_b64 exec, exec, s[6:7]
	v_mov_b32_e32 v4, 0
	ds_read_b64 v[4:5], v4 offset:472
	s_waitcnt lgkmcnt(0)
	v_mul_f32_e32 v6, v3, v5
	v_mul_f32_e32 v5, v7, v5
	v_fma_f32 v6, v7, v4, -v6
	v_fmac_f32_e32 v5, v3, v4
	buffer_store_dword v6, off, s[0:3], 0 offset:472
	buffer_store_dword v5, off, s[0:3], 0 offset:476
.LBB124_251:
	s_or_b64 exec, exec, s[4:5]
	s_waitcnt lgkmcnt(0)
	; wave barrier
	buffer_load_dword v4, off, s[0:3], 0 offset:480
	buffer_load_dword v5, off, s[0:3], 0 offset:484
	v_cmp_ne_u32_e32 vcc, 60, v0
	s_waitcnt vmcnt(0)
	ds_write_b64 v1, v[4:5]
	s_waitcnt lgkmcnt(0)
	; wave barrier
	s_waitcnt lgkmcnt(0)
	s_and_saveexec_b64 s[4:5], vcc
	s_cbranch_execz .LBB124_255
; %bb.252:
	v_add_u32_e32 v3, 0x1f0, v82
	v_add_u32_e32 v4, 0, v82
	s_mov_b64 s[6:7], 0
	v_mov_b32_e32 v1, 0
	v_mov_b32_e32 v5, 0
.LBB124_253:                            ; =>This Inner Loop Header: Depth=1
	buffer_load_dword v8, v4, s[0:3], 0 offen offset:4
	buffer_load_dword v9, v4, s[0:3], 0 offen
	ds_read_b64 v[6:7], v3
	v_add_u32_e32 v2, 1, v2
	v_cmp_lt_u32_e32 vcc, 58, v2
	v_add_u32_e32 v3, 8, v3
	v_add_u32_e32 v4, 8, v4
	s_or_b64 s[6:7], vcc, s[6:7]
	s_waitcnt vmcnt(1) lgkmcnt(0)
	v_mul_f32_e32 v10, v7, v8
	v_mul_f32_e32 v8, v6, v8
	s_waitcnt vmcnt(0)
	v_fma_f32 v6, v6, v9, -v10
	v_fmac_f32_e32 v8, v7, v9
	v_add_f32_e32 v5, v5, v6
	v_add_f32_e32 v1, v1, v8
	s_andn2_b64 exec, exec, s[6:7]
	s_cbranch_execnz .LBB124_253
; %bb.254:
	s_or_b64 exec, exec, s[6:7]
	v_mov_b32_e32 v2, 0
	ds_read_b64 v[2:3], v2 offset:480
	s_waitcnt lgkmcnt(0)
	v_mul_f32_e32 v4, v1, v3
	v_mul_f32_e32 v3, v5, v3
	v_fma_f32 v4, v5, v2, -v4
	v_fmac_f32_e32 v3, v1, v2
	buffer_store_dword v4, off, s[0:3], 0 offset:480
	buffer_store_dword v3, off, s[0:3], 0 offset:484
.LBB124_255:
	s_or_b64 exec, exec, s[4:5]
	s_mov_b64 s[6:7], -1
	s_waitcnt lgkmcnt(0)
	; wave barrier
.LBB124_256:
	s_and_b64 vcc, exec, s[6:7]
	s_cbranch_vccz .LBB124_258
; %bb.257:
	s_lshl_b64 s[4:5], s[8:9], 2
	s_add_u32 s4, s14, s4
	s_addc_u32 s5, s15, s5
	v_mov_b32_e32 v1, 0
	global_load_dword v1, v1, s[4:5]
	s_waitcnt vmcnt(0)
	v_cmp_ne_u32_e32 vcc, 0, v1
	s_cbranch_vccz .LBB124_259
.LBB124_258:
	s_endpgm
.LBB124_259:
	v_mov_b32_e32 v1, 0x1f0
	v_lshl_add_u32 v199, v0, 3, v1
	v_cmp_eq_u32_e32 vcc, 60, v0
	s_and_saveexec_b64 s[4:5], vcc
	s_cbranch_execz .LBB124_261
; %bb.260:
	buffer_load_dword v2, off, s[0:3], 0 offset:472
	buffer_load_dword v3, off, s[0:3], 0 offset:476
	v_mov_b32_e32 v1, 0
	buffer_store_dword v1, off, s[0:3], 0 offset:472
	buffer_store_dword v1, off, s[0:3], 0 offset:476
	s_waitcnt vmcnt(2)
	ds_write_b64 v199, v[2:3]
.LBB124_261:
	s_or_b64 exec, exec, s[4:5]
	s_waitcnt lgkmcnt(0)
	; wave barrier
	s_waitcnt lgkmcnt(0)
	buffer_load_dword v3, off, s[0:3], 0 offset:484
	buffer_load_dword v2, off, s[0:3], 0 offset:480
	;; [unrolled: 1-line block ×4, first 2 shown]
	v_mov_b32_e32 v1, 0
	ds_read_b64 v[6:7], v1 offset:976
	v_cmp_lt_u32_e32 vcc, 58, v0
	s_waitcnt vmcnt(3)
	v_mov_b32_e32 v8, v3
	s_waitcnt lgkmcnt(0)
	v_pk_mul_f32 v[8:9], v[6:7], v[8:9] op_sel_hi:[1,0]
	s_waitcnt vmcnt(2)
	v_pk_fma_f32 v[10:11], v[6:7], v[2:3], v[8:9] op_sel:[0,0,1] op_sel_hi:[1,1,0] neg_lo:[0,0,1] neg_hi:[0,0,1]
	v_pk_fma_f32 v[2:3], v[6:7], v[2:3], v[8:9] op_sel:[0,0,1] op_sel_hi:[1,0,0]
	v_mov_b32_e32 v11, v3
	v_pk_add_f32 v[2:3], v[10:11], 0 op_sel_hi:[1,0]
	s_waitcnt vmcnt(0)
	v_pk_add_f32 v[2:3], v[4:5], v[2:3] neg_lo:[0,1] neg_hi:[0,1]
	buffer_store_dword v2, off, s[0:3], 0 offset:472
	buffer_store_dword v3, off, s[0:3], 0 offset:476
	s_and_saveexec_b64 s[4:5], vcc
	s_cbranch_execz .LBB124_263
; %bb.262:
	buffer_load_dword v2, off, s[0:3], 0 offset:464
	buffer_load_dword v3, off, s[0:3], 0 offset:468
	s_waitcnt vmcnt(0)
	ds_write_b64 v199, v[2:3]
	buffer_store_dword v1, off, s[0:3], 0 offset:464
	buffer_store_dword v1, off, s[0:3], 0 offset:468
.LBB124_263:
	s_or_b64 exec, exec, s[4:5]
	s_waitcnt lgkmcnt(0)
	; wave barrier
	s_waitcnt lgkmcnt(0)
	buffer_load_dword v7, off, s[0:3], 0 offset:476
	buffer_load_dword v9, off, s[0:3], 0 offset:484
	;; [unrolled: 1-line block ×6, first 2 shown]
	ds_read2_b64 v[2:5], v1 offset0:121 offset1:122
	v_cmp_lt_u32_e32 vcc, 57, v0
	s_waitcnt vmcnt(5)
	v_mov_b32_e32 v12, v7
	s_waitcnt vmcnt(4)
	v_mov_b32_e32 v14, v9
	s_waitcnt lgkmcnt(0)
	v_pk_mul_f32 v[12:13], v[2:3], v[12:13] op_sel_hi:[1,0]
	v_pk_mul_f32 v[14:15], v[4:5], v[14:15] op_sel_hi:[1,0]
	s_waitcnt vmcnt(3)
	v_pk_fma_f32 v[16:17], v[2:3], v[6:7], v[12:13] op_sel:[0,0,1] op_sel_hi:[1,1,0] neg_lo:[0,0,1] neg_hi:[0,0,1]
	v_pk_fma_f32 v[2:3], v[2:3], v[6:7], v[12:13] op_sel:[0,0,1] op_sel_hi:[1,0,0]
	s_waitcnt vmcnt(2)
	v_pk_fma_f32 v[6:7], v[4:5], v[8:9], v[14:15] op_sel:[0,0,1] op_sel_hi:[1,1,0] neg_lo:[0,0,1] neg_hi:[0,0,1]
	v_pk_fma_f32 v[4:5], v[4:5], v[8:9], v[14:15] op_sel:[0,0,1] op_sel_hi:[1,0,0]
	v_mov_b32_e32 v17, v3
	v_mov_b32_e32 v7, v5
	v_pk_add_f32 v[2:3], v[16:17], 0 op_sel_hi:[1,0]
	v_pk_add_f32 v[2:3], v[2:3], v[6:7]
	s_waitcnt vmcnt(0)
	v_pk_add_f32 v[2:3], v[10:11], v[2:3] neg_lo:[0,1] neg_hi:[0,1]
	buffer_store_dword v2, off, s[0:3], 0 offset:464
	buffer_store_dword v3, off, s[0:3], 0 offset:468
	s_and_saveexec_b64 s[4:5], vcc
	s_cbranch_execz .LBB124_265
; %bb.264:
	buffer_load_dword v2, off, s[0:3], 0 offset:456
	buffer_load_dword v3, off, s[0:3], 0 offset:460
	v_mov_b32_e32 v1, 0
	buffer_store_dword v1, off, s[0:3], 0 offset:456
	buffer_store_dword v1, off, s[0:3], 0 offset:460
	s_waitcnt vmcnt(2)
	ds_write_b64 v199, v[2:3]
.LBB124_265:
	s_or_b64 exec, exec, s[4:5]
	s_waitcnt lgkmcnt(0)
	; wave barrier
	s_waitcnt lgkmcnt(0)
	buffer_load_dword v7, off, s[0:3], 0 offset:468
	buffer_load_dword v9, off, s[0:3], 0 offset:476
	;; [unrolled: 1-line block ×8, first 2 shown]
	v_mov_b32_e32 v1, 0
	ds_read_b128 v[2:5], v1 offset:960
	ds_read_b64 v[14:15], v1 offset:976
	v_cmp_lt_u32_e32 vcc, 56, v0
	s_waitcnt vmcnt(7)
	v_mov_b32_e32 v16, v7
	s_waitcnt vmcnt(6)
	v_mov_b32_e32 v18, v9
	s_waitcnt lgkmcnt(1)
	v_pk_mul_f32 v[16:17], v[2:3], v[16:17] op_sel_hi:[1,0]
	s_waitcnt vmcnt(5)
	v_mov_b32_e32 v20, v11
	v_pk_mul_f32 v[18:19], v[4:5], v[18:19] op_sel_hi:[1,0]
	s_waitcnt vmcnt(4)
	v_pk_fma_f32 v[22:23], v[2:3], v[6:7], v[16:17] op_sel:[0,0,1] op_sel_hi:[1,1,0] neg_lo:[0,0,1] neg_hi:[0,0,1]
	v_pk_fma_f32 v[2:3], v[2:3], v[6:7], v[16:17] op_sel:[0,0,1] op_sel_hi:[1,0,0]
	s_waitcnt lgkmcnt(0)
	v_pk_mul_f32 v[20:21], v[14:15], v[20:21] op_sel_hi:[1,0]
	s_waitcnt vmcnt(3)
	v_pk_fma_f32 v[6:7], v[4:5], v[8:9], v[18:19] op_sel:[0,0,1] op_sel_hi:[1,1,0] neg_lo:[0,0,1] neg_hi:[0,0,1]
	v_pk_fma_f32 v[4:5], v[4:5], v[8:9], v[18:19] op_sel:[0,0,1] op_sel_hi:[1,0,0]
	v_mov_b32_e32 v23, v3
	s_waitcnt vmcnt(2)
	v_pk_fma_f32 v[8:9], v[14:15], v[10:11], v[20:21] op_sel:[0,0,1] op_sel_hi:[1,1,0] neg_lo:[0,0,1] neg_hi:[0,0,1]
	v_pk_fma_f32 v[10:11], v[14:15], v[10:11], v[20:21] op_sel:[0,0,1] op_sel_hi:[1,0,0]
	v_mov_b32_e32 v7, v5
	v_pk_add_f32 v[2:3], v[22:23], 0 op_sel_hi:[1,0]
	v_mov_b32_e32 v9, v11
	v_pk_add_f32 v[2:3], v[2:3], v[6:7]
	v_pk_add_f32 v[2:3], v[2:3], v[8:9]
	s_waitcnt vmcnt(0)
	v_pk_add_f32 v[2:3], v[12:13], v[2:3] neg_lo:[0,1] neg_hi:[0,1]
	buffer_store_dword v2, off, s[0:3], 0 offset:456
	buffer_store_dword v3, off, s[0:3], 0 offset:460
	s_and_saveexec_b64 s[4:5], vcc
	s_cbranch_execz .LBB124_267
; %bb.266:
	buffer_load_dword v2, off, s[0:3], 0 offset:448
	buffer_load_dword v3, off, s[0:3], 0 offset:452
	s_waitcnt vmcnt(0)
	ds_write_b64 v199, v[2:3]
	buffer_store_dword v1, off, s[0:3], 0 offset:448
	buffer_store_dword v1, off, s[0:3], 0 offset:452
.LBB124_267:
	s_or_b64 exec, exec, s[4:5]
	s_waitcnt lgkmcnt(0)
	; wave barrier
	s_waitcnt lgkmcnt(0)
	buffer_load_dword v11, off, s[0:3], 0 offset:460
	buffer_load_dword v13, off, s[0:3], 0 offset:468
	;; [unrolled: 1-line block ×10, first 2 shown]
	ds_read2_b64 v[2:5], v1 offset0:119 offset1:120
	ds_read2_b64 v[6:9], v1 offset0:121 offset1:122
	v_cmp_lt_u32_e32 vcc, 55, v0
	s_waitcnt vmcnt(9)
	v_mov_b32_e32 v20, v11
	s_waitcnt vmcnt(8)
	v_mov_b32_e32 v22, v13
	s_waitcnt lgkmcnt(1)
	v_pk_mul_f32 v[20:21], v[2:3], v[20:21] op_sel_hi:[1,0]
	s_waitcnt vmcnt(7)
	v_mov_b32_e32 v24, v15
	v_pk_mul_f32 v[22:23], v[4:5], v[22:23] op_sel_hi:[1,0]
	s_waitcnt vmcnt(5)
	v_pk_fma_f32 v[28:29], v[2:3], v[10:11], v[20:21] op_sel:[0,0,1] op_sel_hi:[1,1,0] neg_lo:[0,0,1] neg_hi:[0,0,1]
	v_pk_fma_f32 v[2:3], v[2:3], v[10:11], v[20:21] op_sel:[0,0,1] op_sel_hi:[1,0,0]
	v_mov_b32_e32 v26, v17
	s_waitcnt lgkmcnt(0)
	v_pk_mul_f32 v[24:25], v[6:7], v[24:25] op_sel_hi:[1,0]
	s_waitcnt vmcnt(4)
	v_pk_fma_f32 v[10:11], v[4:5], v[12:13], v[22:23] op_sel:[0,0,1] op_sel_hi:[1,1,0] neg_lo:[0,0,1] neg_hi:[0,0,1]
	v_pk_fma_f32 v[4:5], v[4:5], v[12:13], v[22:23] op_sel:[0,0,1] op_sel_hi:[1,0,0]
	v_mov_b32_e32 v29, v3
	v_pk_mul_f32 v[26:27], v[8:9], v[26:27] op_sel_hi:[1,0]
	s_waitcnt vmcnt(3)
	v_pk_fma_f32 v[12:13], v[6:7], v[14:15], v[24:25] op_sel:[0,0,1] op_sel_hi:[1,1,0] neg_lo:[0,0,1] neg_hi:[0,0,1]
	v_pk_fma_f32 v[6:7], v[6:7], v[14:15], v[24:25] op_sel:[0,0,1] op_sel_hi:[1,0,0]
	v_mov_b32_e32 v11, v5
	v_pk_add_f32 v[2:3], v[28:29], 0 op_sel_hi:[1,0]
	s_waitcnt vmcnt(2)
	v_pk_fma_f32 v[14:15], v[8:9], v[16:17], v[26:27] op_sel:[0,0,1] op_sel_hi:[1,1,0] neg_lo:[0,0,1] neg_hi:[0,0,1]
	v_pk_fma_f32 v[8:9], v[8:9], v[16:17], v[26:27] op_sel:[0,0,1] op_sel_hi:[1,0,0]
	v_mov_b32_e32 v13, v7
	v_pk_add_f32 v[2:3], v[2:3], v[10:11]
	v_mov_b32_e32 v15, v9
	v_pk_add_f32 v[2:3], v[2:3], v[12:13]
	v_pk_add_f32 v[2:3], v[2:3], v[14:15]
	s_waitcnt vmcnt(0)
	v_pk_add_f32 v[2:3], v[18:19], v[2:3] neg_lo:[0,1] neg_hi:[0,1]
	buffer_store_dword v2, off, s[0:3], 0 offset:448
	buffer_store_dword v3, off, s[0:3], 0 offset:452
	s_and_saveexec_b64 s[4:5], vcc
	s_cbranch_execz .LBB124_269
; %bb.268:
	buffer_load_dword v2, off, s[0:3], 0 offset:440
	buffer_load_dword v3, off, s[0:3], 0 offset:444
	v_mov_b32_e32 v1, 0
	buffer_store_dword v1, off, s[0:3], 0 offset:440
	buffer_store_dword v1, off, s[0:3], 0 offset:444
	s_waitcnt vmcnt(2)
	ds_write_b64 v199, v[2:3]
.LBB124_269:
	s_or_b64 exec, exec, s[4:5]
	s_waitcnt lgkmcnt(0)
	; wave barrier
	s_waitcnt lgkmcnt(0)
	buffer_load_dword v11, off, s[0:3], 0 offset:452
	buffer_load_dword v13, off, s[0:3], 0 offset:460
	;; [unrolled: 1-line block ×12, first 2 shown]
	v_mov_b32_e32 v1, 0
	ds_read_b128 v[2:5], v1 offset:944
	ds_read_b128 v[6:9], v1 offset:960
	ds_read_b64 v[22:23], v1 offset:976
	v_cmp_lt_u32_e32 vcc, 54, v0
	s_waitcnt vmcnt(11)
	v_mov_b32_e32 v24, v11
	s_waitcnt vmcnt(10)
	v_mov_b32_e32 v26, v13
	s_waitcnt lgkmcnt(2)
	v_pk_mul_f32 v[24:25], v[2:3], v[24:25] op_sel_hi:[1,0]
	s_waitcnt vmcnt(9)
	v_mov_b32_e32 v28, v15
	v_pk_mul_f32 v[26:27], v[4:5], v[26:27] op_sel_hi:[1,0]
	s_waitcnt vmcnt(6)
	v_pk_fma_f32 v[34:35], v[2:3], v[10:11], v[24:25] op_sel:[0,0,1] op_sel_hi:[1,1,0] neg_lo:[0,0,1] neg_hi:[0,0,1]
	v_pk_fma_f32 v[2:3], v[2:3], v[10:11], v[24:25] op_sel:[0,0,1] op_sel_hi:[1,0,0]
	v_mov_b32_e32 v30, v17
	s_waitcnt lgkmcnt(1)
	v_pk_mul_f32 v[28:29], v[6:7], v[28:29] op_sel_hi:[1,0]
	s_waitcnt vmcnt(5)
	v_pk_fma_f32 v[10:11], v[4:5], v[12:13], v[26:27] op_sel:[0,0,1] op_sel_hi:[1,1,0] neg_lo:[0,0,1] neg_hi:[0,0,1]
	v_pk_fma_f32 v[4:5], v[4:5], v[12:13], v[26:27] op_sel:[0,0,1] op_sel_hi:[1,0,0]
	v_mov_b32_e32 v35, v3
	v_mov_b32_e32 v32, v19
	v_pk_mul_f32 v[30:31], v[8:9], v[30:31] op_sel_hi:[1,0]
	s_waitcnt vmcnt(4)
	v_pk_fma_f32 v[12:13], v[6:7], v[14:15], v[28:29] op_sel:[0,0,1] op_sel_hi:[1,1,0] neg_lo:[0,0,1] neg_hi:[0,0,1]
	v_pk_fma_f32 v[6:7], v[6:7], v[14:15], v[28:29] op_sel:[0,0,1] op_sel_hi:[1,0,0]
	v_mov_b32_e32 v11, v5
	v_pk_add_f32 v[2:3], v[34:35], 0 op_sel_hi:[1,0]
	s_waitcnt lgkmcnt(0)
	v_pk_mul_f32 v[32:33], v[22:23], v[32:33] op_sel_hi:[1,0]
	s_waitcnt vmcnt(3)
	v_pk_fma_f32 v[14:15], v[8:9], v[16:17], v[30:31] op_sel:[0,0,1] op_sel_hi:[1,1,0] neg_lo:[0,0,1] neg_hi:[0,0,1]
	v_pk_fma_f32 v[8:9], v[8:9], v[16:17], v[30:31] op_sel:[0,0,1] op_sel_hi:[1,0,0]
	v_mov_b32_e32 v13, v7
	v_pk_add_f32 v[2:3], v[2:3], v[10:11]
	s_waitcnt vmcnt(2)
	v_pk_fma_f32 v[16:17], v[22:23], v[18:19], v[32:33] op_sel:[0,0,1] op_sel_hi:[1,1,0] neg_lo:[0,0,1] neg_hi:[0,0,1]
	v_pk_fma_f32 v[18:19], v[22:23], v[18:19], v[32:33] op_sel:[0,0,1] op_sel_hi:[1,0,0]
	v_mov_b32_e32 v15, v9
	v_pk_add_f32 v[2:3], v[2:3], v[12:13]
	v_mov_b32_e32 v17, v19
	v_pk_add_f32 v[2:3], v[2:3], v[14:15]
	v_pk_add_f32 v[2:3], v[2:3], v[16:17]
	s_waitcnt vmcnt(0)
	v_pk_add_f32 v[2:3], v[20:21], v[2:3] neg_lo:[0,1] neg_hi:[0,1]
	buffer_store_dword v2, off, s[0:3], 0 offset:440
	buffer_store_dword v3, off, s[0:3], 0 offset:444
	s_and_saveexec_b64 s[4:5], vcc
	s_cbranch_execz .LBB124_271
; %bb.270:
	buffer_load_dword v2, off, s[0:3], 0 offset:432
	buffer_load_dword v3, off, s[0:3], 0 offset:436
	s_waitcnt vmcnt(0)
	ds_write_b64 v199, v[2:3]
	buffer_store_dword v1, off, s[0:3], 0 offset:432
	buffer_store_dword v1, off, s[0:3], 0 offset:436
.LBB124_271:
	s_or_b64 exec, exec, s[4:5]
	s_waitcnt lgkmcnt(0)
	; wave barrier
	s_waitcnt lgkmcnt(0)
	buffer_load_dword v15, off, s[0:3], 0 offset:444
	buffer_load_dword v17, off, s[0:3], 0 offset:452
	;; [unrolled: 1-line block ×14, first 2 shown]
	ds_read2_b64 v[2:5], v1 offset0:117 offset1:118
	ds_read2_b64 v[6:9], v1 offset0:119 offset1:120
	;; [unrolled: 1-line block ×3, first 2 shown]
	v_cmp_lt_u32_e32 vcc, 53, v0
	s_waitcnt vmcnt(13)
	v_mov_b32_e32 v28, v15
	s_waitcnt vmcnt(12)
	v_mov_b32_e32 v30, v17
	s_waitcnt lgkmcnt(2)
	v_pk_mul_f32 v[28:29], v[2:3], v[28:29] op_sel_hi:[1,0]
	s_waitcnt vmcnt(11)
	v_mov_b32_e32 v32, v19
	v_pk_mul_f32 v[30:31], v[4:5], v[30:31] op_sel_hi:[1,0]
	s_waitcnt vmcnt(10)
	v_mov_b32_e32 v34, v21
	s_waitcnt vmcnt(7)
	v_pk_fma_f32 v[40:41], v[2:3], v[14:15], v[28:29] op_sel:[0,0,1] op_sel_hi:[1,1,0] neg_lo:[0,0,1] neg_hi:[0,0,1]
	v_pk_fma_f32 v[2:3], v[2:3], v[14:15], v[28:29] op_sel:[0,0,1] op_sel_hi:[1,0,0]
	s_waitcnt lgkmcnt(1)
	v_pk_mul_f32 v[32:33], v[6:7], v[32:33] op_sel_hi:[1,0]
	s_waitcnt vmcnt(6)
	v_pk_fma_f32 v[14:15], v[4:5], v[16:17], v[30:31] op_sel:[0,0,1] op_sel_hi:[1,1,0] neg_lo:[0,0,1] neg_hi:[0,0,1]
	v_pk_fma_f32 v[4:5], v[4:5], v[16:17], v[30:31] op_sel:[0,0,1] op_sel_hi:[1,0,0]
	v_mov_b32_e32 v41, v3
	v_mov_b32_e32 v36, v23
	v_pk_mul_f32 v[34:35], v[8:9], v[34:35] op_sel_hi:[1,0]
	s_waitcnt vmcnt(5)
	v_pk_fma_f32 v[16:17], v[6:7], v[18:19], v[32:33] op_sel:[0,0,1] op_sel_hi:[1,1,0] neg_lo:[0,0,1] neg_hi:[0,0,1]
	v_pk_fma_f32 v[6:7], v[6:7], v[18:19], v[32:33] op_sel:[0,0,1] op_sel_hi:[1,0,0]
	v_mov_b32_e32 v15, v5
	v_pk_add_f32 v[2:3], v[40:41], 0 op_sel_hi:[1,0]
	v_mov_b32_e32 v38, v25
	s_waitcnt lgkmcnt(0)
	v_pk_mul_f32 v[36:37], v[10:11], v[36:37] op_sel_hi:[1,0]
	s_waitcnt vmcnt(4)
	v_pk_fma_f32 v[18:19], v[8:9], v[20:21], v[34:35] op_sel:[0,0,1] op_sel_hi:[1,1,0] neg_lo:[0,0,1] neg_hi:[0,0,1]
	v_pk_fma_f32 v[8:9], v[8:9], v[20:21], v[34:35] op_sel:[0,0,1] op_sel_hi:[1,0,0]
	v_mov_b32_e32 v17, v7
	v_pk_add_f32 v[2:3], v[2:3], v[14:15]
	v_pk_mul_f32 v[38:39], v[12:13], v[38:39] op_sel_hi:[1,0]
	s_waitcnt vmcnt(3)
	v_pk_fma_f32 v[20:21], v[10:11], v[22:23], v[36:37] op_sel:[0,0,1] op_sel_hi:[1,1,0] neg_lo:[0,0,1] neg_hi:[0,0,1]
	v_pk_fma_f32 v[10:11], v[10:11], v[22:23], v[36:37] op_sel:[0,0,1] op_sel_hi:[1,0,0]
	v_mov_b32_e32 v19, v9
	v_pk_add_f32 v[2:3], v[2:3], v[16:17]
	s_waitcnt vmcnt(2)
	v_pk_fma_f32 v[22:23], v[12:13], v[24:25], v[38:39] op_sel:[0,0,1] op_sel_hi:[1,1,0] neg_lo:[0,0,1] neg_hi:[0,0,1]
	v_pk_fma_f32 v[12:13], v[12:13], v[24:25], v[38:39] op_sel:[0,0,1] op_sel_hi:[1,0,0]
	v_mov_b32_e32 v21, v11
	v_pk_add_f32 v[2:3], v[2:3], v[18:19]
	v_mov_b32_e32 v23, v13
	v_pk_add_f32 v[2:3], v[2:3], v[20:21]
	v_pk_add_f32 v[2:3], v[2:3], v[22:23]
	s_waitcnt vmcnt(0)
	v_pk_add_f32 v[2:3], v[26:27], v[2:3] neg_lo:[0,1] neg_hi:[0,1]
	buffer_store_dword v2, off, s[0:3], 0 offset:432
	buffer_store_dword v3, off, s[0:3], 0 offset:436
	s_and_saveexec_b64 s[4:5], vcc
	s_cbranch_execz .LBB124_273
; %bb.272:
	buffer_load_dword v2, off, s[0:3], 0 offset:424
	buffer_load_dword v3, off, s[0:3], 0 offset:428
	v_mov_b32_e32 v1, 0
	buffer_store_dword v1, off, s[0:3], 0 offset:424
	buffer_store_dword v1, off, s[0:3], 0 offset:428
	s_waitcnt vmcnt(2)
	ds_write_b64 v199, v[2:3]
.LBB124_273:
	s_or_b64 exec, exec, s[4:5]
	s_waitcnt lgkmcnt(0)
	; wave barrier
	s_waitcnt lgkmcnt(0)
	buffer_load_dword v14, off, s[0:3], 0 offset:424
	buffer_load_dword v15, off, s[0:3], 0 offset:428
	;; [unrolled: 1-line block ×16, first 2 shown]
	v_mov_b32_e32 v1, 0
	ds_read_b128 v[2:5], v1 offset:928
	ds_read_b128 v[6:9], v1 offset:944
	;; [unrolled: 1-line block ×3, first 2 shown]
	ds_read_b64 v[30:31], v1 offset:976
	v_cmp_lt_u32_e32 vcc, 52, v0
	s_waitcnt vmcnt(12)
	v_mov_b32_e32 v32, v17
	s_waitcnt lgkmcnt(3)
	v_pk_mul_f32 v[32:33], v[2:3], v[32:33] op_sel_hi:[1,0]
	v_pk_fma_f32 v[34:35], v[2:3], v[16:17], v[32:33] op_sel:[0,0,1] op_sel_hi:[1,1,0] neg_lo:[0,0,1] neg_hi:[0,0,1]
	v_pk_fma_f32 v[2:3], v[2:3], v[16:17], v[32:33] op_sel:[0,0,1] op_sel_hi:[1,0,0]
	s_waitcnt vmcnt(10)
	v_mov_b32_e32 v16, v19
	v_pk_mul_f32 v[16:17], v[4:5], v[16:17] op_sel_hi:[1,0]
	v_pk_fma_f32 v[32:33], v[4:5], v[18:19], v[16:17] op_sel:[0,0,1] op_sel_hi:[1,1,0] neg_lo:[0,0,1] neg_hi:[0,0,1]
	v_pk_fma_f32 v[4:5], v[4:5], v[18:19], v[16:17] op_sel:[0,0,1] op_sel_hi:[1,0,0]
	s_waitcnt vmcnt(8)
	v_mov_b32_e32 v4, v21
	v_mov_b32_e32 v33, v5
	s_waitcnt lgkmcnt(2)
	v_pk_mul_f32 v[4:5], v[6:7], v[4:5] op_sel_hi:[1,0]
	v_pk_fma_f32 v[16:17], v[6:7], v[20:21], v[4:5] op_sel:[0,0,1] op_sel_hi:[1,1,0] neg_lo:[0,0,1] neg_hi:[0,0,1]
	v_pk_fma_f32 v[4:5], v[6:7], v[20:21], v[4:5] op_sel:[0,0,1] op_sel_hi:[1,0,0]
	s_waitcnt vmcnt(6)
	v_mov_b32_e32 v4, v23
	v_mov_b32_e32 v35, v3
	;; [unrolled: 1-line block ×3, first 2 shown]
	v_pk_mul_f32 v[4:5], v[8:9], v[4:5] op_sel_hi:[1,0]
	v_pk_add_f32 v[2:3], v[34:35], 0 op_sel_hi:[1,0]
	v_pk_fma_f32 v[6:7], v[8:9], v[22:23], v[4:5] op_sel:[0,0,1] op_sel_hi:[1,1,0] neg_lo:[0,0,1] neg_hi:[0,0,1]
	v_pk_fma_f32 v[4:5], v[8:9], v[22:23], v[4:5] op_sel:[0,0,1] op_sel_hi:[1,0,0]
	v_pk_add_f32 v[2:3], v[2:3], v[32:33]
	s_waitcnt vmcnt(4)
	v_mov_b32_e32 v4, v25
	v_pk_add_f32 v[2:3], v[2:3], v[16:17]
	v_mov_b32_e32 v7, v5
	s_waitcnt lgkmcnt(1)
	v_pk_mul_f32 v[4:5], v[10:11], v[4:5] op_sel_hi:[1,0]
	v_pk_add_f32 v[2:3], v[2:3], v[6:7]
	v_pk_fma_f32 v[6:7], v[10:11], v[24:25], v[4:5] op_sel:[0,0,1] op_sel_hi:[1,1,0] neg_lo:[0,0,1] neg_hi:[0,0,1]
	v_pk_fma_f32 v[4:5], v[10:11], v[24:25], v[4:5] op_sel:[0,0,1] op_sel_hi:[1,0,0]
	s_waitcnt vmcnt(2)
	v_mov_b32_e32 v4, v27
	v_mov_b32_e32 v7, v5
	v_pk_mul_f32 v[4:5], v[12:13], v[4:5] op_sel_hi:[1,0]
	v_pk_add_f32 v[2:3], v[2:3], v[6:7]
	v_pk_fma_f32 v[6:7], v[12:13], v[26:27], v[4:5] op_sel:[0,0,1] op_sel_hi:[1,1,0] neg_lo:[0,0,1] neg_hi:[0,0,1]
	v_pk_fma_f32 v[4:5], v[12:13], v[26:27], v[4:5] op_sel:[0,0,1] op_sel_hi:[1,0,0]
	s_waitcnt vmcnt(0)
	v_mov_b32_e32 v4, v29
	v_mov_b32_e32 v7, v5
	s_waitcnt lgkmcnt(0)
	v_pk_mul_f32 v[4:5], v[30:31], v[4:5] op_sel_hi:[1,0]
	v_pk_add_f32 v[2:3], v[2:3], v[6:7]
	v_pk_fma_f32 v[6:7], v[30:31], v[28:29], v[4:5] op_sel:[0,0,1] op_sel_hi:[1,1,0] neg_lo:[0,0,1] neg_hi:[0,0,1]
	v_pk_fma_f32 v[4:5], v[30:31], v[28:29], v[4:5] op_sel:[0,0,1] op_sel_hi:[1,0,0]
	v_mov_b32_e32 v7, v5
	v_pk_add_f32 v[2:3], v[2:3], v[6:7]
	v_pk_add_f32 v[2:3], v[14:15], v[2:3] neg_lo:[0,1] neg_hi:[0,1]
	buffer_store_dword v2, off, s[0:3], 0 offset:424
	buffer_store_dword v3, off, s[0:3], 0 offset:428
	s_and_saveexec_b64 s[4:5], vcc
	s_cbranch_execz .LBB124_275
; %bb.274:
	buffer_load_dword v2, off, s[0:3], 0 offset:416
	buffer_load_dword v3, off, s[0:3], 0 offset:420
	s_waitcnt vmcnt(0)
	ds_write_b64 v199, v[2:3]
	buffer_store_dword v1, off, s[0:3], 0 offset:416
	buffer_store_dword v1, off, s[0:3], 0 offset:420
.LBB124_275:
	s_or_b64 exec, exec, s[4:5]
	s_waitcnt lgkmcnt(0)
	; wave barrier
	s_waitcnt lgkmcnt(0)
	buffer_load_dword v18, off, s[0:3], 0 offset:416
	buffer_load_dword v19, off, s[0:3], 0 offset:420
	;; [unrolled: 1-line block ×16, first 2 shown]
	ds_read2_b64 v[2:5], v1 offset0:115 offset1:116
	buffer_load_dword v35, off, s[0:3], 0 offset:484
	buffer_load_dword v34, off, s[0:3], 0 offset:480
	ds_read2_b64 v[6:9], v1 offset0:117 offset1:118
	ds_read2_b64 v[10:13], v1 offset0:119 offset1:120
	;; [unrolled: 1-line block ×3, first 2 shown]
	v_cmp_lt_u32_e32 vcc, 51, v0
	s_waitcnt vmcnt(14)
	v_mov_b32_e32 v36, v21
	s_waitcnt lgkmcnt(3)
	v_pk_mul_f32 v[36:37], v[2:3], v[36:37] op_sel_hi:[1,0]
	v_pk_fma_f32 v[38:39], v[2:3], v[20:21], v[36:37] op_sel:[0,0,1] op_sel_hi:[1,1,0] neg_lo:[0,0,1] neg_hi:[0,0,1]
	v_pk_fma_f32 v[2:3], v[2:3], v[20:21], v[36:37] op_sel:[0,0,1] op_sel_hi:[1,0,0]
	s_waitcnt vmcnt(12)
	v_mov_b32_e32 v20, v23
	v_pk_mul_f32 v[20:21], v[4:5], v[20:21] op_sel_hi:[1,0]
	v_pk_fma_f32 v[36:37], v[4:5], v[22:23], v[20:21] op_sel:[0,0,1] op_sel_hi:[1,1,0] neg_lo:[0,0,1] neg_hi:[0,0,1]
	v_pk_fma_f32 v[4:5], v[4:5], v[22:23], v[20:21] op_sel:[0,0,1] op_sel_hi:[1,0,0]
	s_waitcnt vmcnt(10)
	v_mov_b32_e32 v4, v25
	v_mov_b32_e32 v37, v5
	s_waitcnt lgkmcnt(2)
	v_pk_mul_f32 v[4:5], v[6:7], v[4:5] op_sel_hi:[1,0]
	v_pk_fma_f32 v[20:21], v[6:7], v[24:25], v[4:5] op_sel:[0,0,1] op_sel_hi:[1,1,0] neg_lo:[0,0,1] neg_hi:[0,0,1]
	v_pk_fma_f32 v[4:5], v[6:7], v[24:25], v[4:5] op_sel:[0,0,1] op_sel_hi:[1,0,0]
	s_waitcnt vmcnt(8)
	v_mov_b32_e32 v4, v27
	v_mov_b32_e32 v39, v3
	;; [unrolled: 1-line block ×3, first 2 shown]
	v_pk_mul_f32 v[4:5], v[8:9], v[4:5] op_sel_hi:[1,0]
	v_pk_add_f32 v[2:3], v[38:39], 0 op_sel_hi:[1,0]
	v_pk_fma_f32 v[6:7], v[8:9], v[26:27], v[4:5] op_sel:[0,0,1] op_sel_hi:[1,1,0] neg_lo:[0,0,1] neg_hi:[0,0,1]
	v_pk_fma_f32 v[4:5], v[8:9], v[26:27], v[4:5] op_sel:[0,0,1] op_sel_hi:[1,0,0]
	v_pk_add_f32 v[2:3], v[2:3], v[36:37]
	s_waitcnt vmcnt(6)
	v_mov_b32_e32 v4, v29
	v_pk_add_f32 v[2:3], v[2:3], v[20:21]
	v_mov_b32_e32 v7, v5
	s_waitcnt lgkmcnt(1)
	v_pk_mul_f32 v[4:5], v[10:11], v[4:5] op_sel_hi:[1,0]
	v_pk_add_f32 v[2:3], v[2:3], v[6:7]
	v_pk_fma_f32 v[6:7], v[10:11], v[28:29], v[4:5] op_sel:[0,0,1] op_sel_hi:[1,1,0] neg_lo:[0,0,1] neg_hi:[0,0,1]
	v_pk_fma_f32 v[4:5], v[10:11], v[28:29], v[4:5] op_sel:[0,0,1] op_sel_hi:[1,0,0]
	s_waitcnt vmcnt(4)
	v_mov_b32_e32 v4, v31
	v_mov_b32_e32 v7, v5
	v_pk_mul_f32 v[4:5], v[12:13], v[4:5] op_sel_hi:[1,0]
	v_pk_add_f32 v[2:3], v[2:3], v[6:7]
	v_pk_fma_f32 v[6:7], v[12:13], v[30:31], v[4:5] op_sel:[0,0,1] op_sel_hi:[1,1,0] neg_lo:[0,0,1] neg_hi:[0,0,1]
	v_pk_fma_f32 v[4:5], v[12:13], v[30:31], v[4:5] op_sel:[0,0,1] op_sel_hi:[1,0,0]
	s_waitcnt vmcnt(2)
	v_mov_b32_e32 v4, v33
	v_mov_b32_e32 v7, v5
	s_waitcnt lgkmcnt(0)
	v_pk_mul_f32 v[4:5], v[14:15], v[4:5] op_sel_hi:[1,0]
	v_pk_add_f32 v[2:3], v[2:3], v[6:7]
	v_pk_fma_f32 v[6:7], v[14:15], v[32:33], v[4:5] op_sel:[0,0,1] op_sel_hi:[1,1,0] neg_lo:[0,0,1] neg_hi:[0,0,1]
	v_pk_fma_f32 v[4:5], v[14:15], v[32:33], v[4:5] op_sel:[0,0,1] op_sel_hi:[1,0,0]
	s_waitcnt vmcnt(1)
	v_mov_b32_e32 v4, v35
	v_mov_b32_e32 v7, v5
	v_pk_mul_f32 v[4:5], v[16:17], v[4:5] op_sel_hi:[1,0]
	v_pk_add_f32 v[2:3], v[2:3], v[6:7]
	s_waitcnt vmcnt(0)
	v_pk_fma_f32 v[6:7], v[16:17], v[34:35], v[4:5] op_sel:[0,0,1] op_sel_hi:[1,1,0] neg_lo:[0,0,1] neg_hi:[0,0,1]
	v_pk_fma_f32 v[4:5], v[16:17], v[34:35], v[4:5] op_sel:[0,0,1] op_sel_hi:[1,0,0]
	v_mov_b32_e32 v7, v5
	v_pk_add_f32 v[2:3], v[2:3], v[6:7]
	v_pk_add_f32 v[2:3], v[18:19], v[2:3] neg_lo:[0,1] neg_hi:[0,1]
	buffer_store_dword v2, off, s[0:3], 0 offset:416
	buffer_store_dword v3, off, s[0:3], 0 offset:420
	s_and_saveexec_b64 s[4:5], vcc
	s_cbranch_execz .LBB124_277
; %bb.276:
	buffer_load_dword v2, off, s[0:3], 0 offset:408
	buffer_load_dword v3, off, s[0:3], 0 offset:412
	v_mov_b32_e32 v1, 0
	buffer_store_dword v1, off, s[0:3], 0 offset:408
	buffer_store_dword v1, off, s[0:3], 0 offset:412
	s_waitcnt vmcnt(2)
	ds_write_b64 v199, v[2:3]
.LBB124_277:
	s_or_b64 exec, exec, s[4:5]
	v_mov_b32_e32 v1, 0
	s_waitcnt lgkmcnt(0)
	; wave barrier
	s_waitcnt lgkmcnt(0)
	ds_read_b128 v[2:5], v1 offset:912
	ds_read_b128 v[6:9], v1 offset:928
	;; [unrolled: 1-line block ×4, first 2 shown]
	buffer_load_dword v18, off, s[0:3], 0 offset:408
	buffer_load_dword v19, off, s[0:3], 0 offset:412
	;; [unrolled: 1-line block ×20, first 2 shown]
	v_cmp_lt_u32_e32 vcc, 50, v0
	s_waitcnt vmcnt(16) lgkmcnt(3)
	v_mul_f32_e32 v33, v2, v38
	v_fmac_f32_e32 v33, v3, v32
	v_mul_f32_e32 v3, v3, v38
	s_waitcnt vmcnt(14)
	v_mov_b32_e32 v38, v21
	v_pk_mul_f32 v[38:39], v[4:5], v[38:39] op_sel_hi:[1,0]
	v_fma_f32 v32, v2, v32, -v3
	v_pk_fma_f32 v[40:41], v[4:5], v[20:21], v[38:39] op_sel:[0,0,1] op_sel_hi:[1,1,0] neg_lo:[0,0,1] neg_hi:[0,0,1]
	v_pk_fma_f32 v[4:5], v[4:5], v[20:21], v[38:39] op_sel:[0,0,1] op_sel_hi:[1,0,0]
	s_waitcnt vmcnt(12)
	v_mov_b32_e32 v20, v23
	v_pk_add_f32 v[32:33], v[32:33], 0 op_sel_hi:[1,0]
	v_mov_b32_e32 v41, v5
	s_waitcnt lgkmcnt(2)
	v_pk_mul_f32 v[20:21], v[6:7], v[20:21] op_sel_hi:[1,0]
	v_pk_add_f32 v[4:5], v[32:33], v[40:41]
	v_pk_fma_f32 v[32:33], v[6:7], v[22:23], v[20:21] op_sel:[0,0,1] op_sel_hi:[1,1,0] neg_lo:[0,0,1] neg_hi:[0,0,1]
	v_pk_fma_f32 v[6:7], v[6:7], v[22:23], v[20:21] op_sel:[0,0,1] op_sel_hi:[1,0,0]
	s_waitcnt vmcnt(10)
	v_mov_b32_e32 v6, v25
	v_mov_b32_e32 v33, v7
	v_pk_mul_f32 v[6:7], v[8:9], v[6:7] op_sel_hi:[1,0]
	v_pk_fma_f32 v[20:21], v[8:9], v[24:25], v[6:7] op_sel:[0,0,1] op_sel_hi:[1,1,0] neg_lo:[0,0,1] neg_hi:[0,0,1]
	v_pk_fma_f32 v[6:7], v[8:9], v[24:25], v[6:7] op_sel:[0,0,1] op_sel_hi:[1,0,0]
	s_waitcnt vmcnt(8)
	v_mov_b32_e32 v6, v27
	v_mov_b32_e32 v21, v7
	s_waitcnt lgkmcnt(1)
	v_pk_mul_f32 v[6:7], v[10:11], v[6:7] op_sel_hi:[1,0]
	v_pk_fma_f32 v[8:9], v[10:11], v[26:27], v[6:7] op_sel:[0,0,1] op_sel_hi:[1,1,0] neg_lo:[0,0,1] neg_hi:[0,0,1]
	v_pk_fma_f32 v[6:7], v[10:11], v[26:27], v[6:7] op_sel:[0,0,1] op_sel_hi:[1,0,0]
	v_pk_add_f32 v[4:5], v[4:5], v[32:33]
	s_waitcnt vmcnt(6)
	v_mov_b32_e32 v6, v29
	v_pk_add_f32 v[4:5], v[4:5], v[20:21]
	v_mov_b32_e32 v9, v7
	v_pk_mul_f32 v[6:7], v[12:13], v[6:7] op_sel_hi:[1,0]
	v_pk_add_f32 v[4:5], v[4:5], v[8:9]
	v_pk_fma_f32 v[8:9], v[12:13], v[28:29], v[6:7] op_sel:[0,0,1] op_sel_hi:[1,1,0] neg_lo:[0,0,1] neg_hi:[0,0,1]
	v_pk_fma_f32 v[6:7], v[12:13], v[28:29], v[6:7] op_sel:[0,0,1] op_sel_hi:[1,0,0]
	s_waitcnt vmcnt(4)
	v_mov_b32_e32 v6, v31
	v_mov_b32_e32 v9, v7
	s_waitcnt lgkmcnt(0)
	v_pk_mul_f32 v[6:7], v[14:15], v[6:7] op_sel_hi:[1,0]
	ds_read_b64 v[2:3], v1 offset:976
	v_pk_add_f32 v[4:5], v[4:5], v[8:9]
	v_pk_fma_f32 v[8:9], v[14:15], v[30:31], v[6:7] op_sel:[0,0,1] op_sel_hi:[1,1,0] neg_lo:[0,0,1] neg_hi:[0,0,1]
	v_pk_fma_f32 v[6:7], v[14:15], v[30:31], v[6:7] op_sel:[0,0,1] op_sel_hi:[1,0,0]
	s_waitcnt vmcnt(3)
	v_mov_b32_e32 v6, v35
	v_mov_b32_e32 v9, v7
	v_pk_mul_f32 v[6:7], v[16:17], v[6:7] op_sel_hi:[1,0]
	v_pk_add_f32 v[4:5], v[4:5], v[8:9]
	s_waitcnt vmcnt(2)
	v_pk_fma_f32 v[8:9], v[16:17], v[34:35], v[6:7] op_sel:[0,0,1] op_sel_hi:[1,1,0] neg_lo:[0,0,1] neg_hi:[0,0,1]
	v_pk_fma_f32 v[6:7], v[16:17], v[34:35], v[6:7] op_sel:[0,0,1] op_sel_hi:[1,0,0]
	s_waitcnt vmcnt(1)
	v_mov_b32_e32 v6, v37
	v_mov_b32_e32 v9, v7
	s_waitcnt lgkmcnt(0)
	v_pk_mul_f32 v[6:7], v[2:3], v[6:7] op_sel_hi:[1,0]
	v_pk_add_f32 v[4:5], v[4:5], v[8:9]
	s_waitcnt vmcnt(0)
	v_pk_fma_f32 v[8:9], v[2:3], v[36:37], v[6:7] op_sel:[0,0,1] op_sel_hi:[1,1,0] neg_lo:[0,0,1] neg_hi:[0,0,1]
	v_pk_fma_f32 v[2:3], v[2:3], v[36:37], v[6:7] op_sel:[0,0,1] op_sel_hi:[1,0,0]
	v_mov_b32_e32 v9, v3
	v_pk_add_f32 v[2:3], v[4:5], v[8:9]
	v_pk_add_f32 v[2:3], v[18:19], v[2:3] neg_lo:[0,1] neg_hi:[0,1]
	buffer_store_dword v2, off, s[0:3], 0 offset:408
	buffer_store_dword v3, off, s[0:3], 0 offset:412
	s_and_saveexec_b64 s[4:5], vcc
	s_cbranch_execz .LBB124_279
; %bb.278:
	buffer_load_dword v2, off, s[0:3], 0 offset:400
	buffer_load_dword v3, off, s[0:3], 0 offset:404
	s_waitcnt vmcnt(0)
	ds_write_b64 v199, v[2:3]
	buffer_store_dword v1, off, s[0:3], 0 offset:400
	buffer_store_dword v1, off, s[0:3], 0 offset:404
.LBB124_279:
	s_or_b64 exec, exec, s[4:5]
	s_waitcnt lgkmcnt(0)
	; wave barrier
	s_waitcnt lgkmcnt(0)
	ds_read2_b64 v[2:5], v1 offset0:113 offset1:114
	buffer_load_dword v18, off, s[0:3], 0 offset:400
	buffer_load_dword v19, off, s[0:3], 0 offset:404
	;; [unrolled: 1-line block ×16, first 2 shown]
	ds_read2_b64 v[6:9], v1 offset0:115 offset1:116
	buffer_load_dword v35, off, s[0:3], 0 offset:468
	buffer_load_dword v34, off, s[0:3], 0 offset:464
	;; [unrolled: 1-line block ×6, first 2 shown]
	v_cmp_lt_u32_e32 vcc, 49, v0
	s_waitcnt vmcnt(18) lgkmcnt(1)
	v_mul_f32_e32 v31, v2, v11
	v_fmac_f32_e32 v31, v3, v10
	v_mul_f32_e32 v3, v3, v11
	s_waitcnt vmcnt(16)
	v_mul_f32_e32 v33, v4, v13
	v_fma_f32 v30, v2, v10, -v3
	v_mul_f32_e32 v2, v5, v13
	v_fmac_f32_e32 v33, v5, v12
	v_fma_f32 v32, v4, v12, -v2
	v_pk_add_f32 v[30:31], v[30:31], 0 op_sel_hi:[1,0]
	v_pk_add_f32 v[30:31], v[30:31], v[32:33]
	s_waitcnt vmcnt(14)
	v_mov_b32_e32 v32, v21
	s_waitcnt lgkmcnt(0)
	v_pk_mul_f32 v[32:33], v[6:7], v[32:33] op_sel_hi:[1,0]
	v_pk_fma_f32 v[40:41], v[6:7], v[20:21], v[32:33] op_sel:[0,0,1] op_sel_hi:[1,1,0] neg_lo:[0,0,1] neg_hi:[0,0,1]
	v_pk_fma_f32 v[6:7], v[6:7], v[20:21], v[32:33] op_sel:[0,0,1] op_sel_hi:[1,0,0]
	s_waitcnt vmcnt(12)
	v_mov_b32_e32 v20, v23
	ds_read2_b64 v[2:5], v1 offset0:117 offset1:118
	ds_read2_b64 v[10:13], v1 offset0:119 offset1:120
	;; [unrolled: 1-line block ×3, first 2 shown]
	v_mov_b32_e32 v41, v7
	v_pk_mul_f32 v[20:21], v[8:9], v[20:21] op_sel_hi:[1,0]
	v_pk_add_f32 v[6:7], v[30:31], v[40:41]
	v_pk_fma_f32 v[30:31], v[8:9], v[22:23], v[20:21] op_sel:[0,0,1] op_sel_hi:[1,1,0] neg_lo:[0,0,1] neg_hi:[0,0,1]
	v_pk_fma_f32 v[8:9], v[8:9], v[22:23], v[20:21] op_sel:[0,0,1] op_sel_hi:[1,0,0]
	s_waitcnt vmcnt(10)
	v_mov_b32_e32 v8, v25
	v_mov_b32_e32 v31, v9
	s_waitcnt lgkmcnt(2)
	v_pk_mul_f32 v[8:9], v[2:3], v[8:9] op_sel_hi:[1,0]
	v_pk_fma_f32 v[20:21], v[2:3], v[24:25], v[8:9] op_sel:[0,0,1] op_sel_hi:[1,1,0] neg_lo:[0,0,1] neg_hi:[0,0,1]
	v_pk_fma_f32 v[2:3], v[2:3], v[24:25], v[8:9] op_sel:[0,0,1] op_sel_hi:[1,0,0]
	v_pk_add_f32 v[6:7], v[6:7], v[30:31]
	v_mov_b32_e32 v21, v3
	v_pk_add_f32 v[2:3], v[6:7], v[20:21]
	s_waitcnt vmcnt(8)
	v_mov_b32_e32 v6, v27
	v_pk_mul_f32 v[6:7], v[4:5], v[6:7] op_sel_hi:[1,0]
	v_pk_fma_f32 v[8:9], v[4:5], v[26:27], v[6:7] op_sel:[0,0,1] op_sel_hi:[1,1,0] neg_lo:[0,0,1] neg_hi:[0,0,1]
	v_pk_fma_f32 v[4:5], v[4:5], v[26:27], v[6:7] op_sel:[0,0,1] op_sel_hi:[1,0,0]
	s_waitcnt vmcnt(6)
	v_mov_b32_e32 v4, v29
	v_mov_b32_e32 v9, v5
	s_waitcnt lgkmcnt(1)
	v_pk_mul_f32 v[4:5], v[10:11], v[4:5] op_sel_hi:[1,0]
	v_pk_fma_f32 v[6:7], v[10:11], v[28:29], v[4:5] op_sel:[0,0,1] op_sel_hi:[1,1,0] neg_lo:[0,0,1] neg_hi:[0,0,1]
	v_pk_fma_f32 v[4:5], v[10:11], v[28:29], v[4:5] op_sel:[0,0,1] op_sel_hi:[1,0,0]
	s_waitcnt vmcnt(5)
	v_mov_b32_e32 v4, v35
	v_pk_add_f32 v[2:3], v[2:3], v[8:9]
	v_mov_b32_e32 v7, v5
	v_pk_mul_f32 v[4:5], v[12:13], v[4:5] op_sel_hi:[1,0]
	v_pk_add_f32 v[2:3], v[2:3], v[6:7]
	s_waitcnt vmcnt(4)
	v_pk_fma_f32 v[6:7], v[12:13], v[34:35], v[4:5] op_sel:[0,0,1] op_sel_hi:[1,1,0] neg_lo:[0,0,1] neg_hi:[0,0,1]
	v_pk_fma_f32 v[4:5], v[12:13], v[34:35], v[4:5] op_sel:[0,0,1] op_sel_hi:[1,0,0]
	s_waitcnt vmcnt(3)
	v_mov_b32_e32 v4, v37
	v_mov_b32_e32 v7, v5
	s_waitcnt lgkmcnt(0)
	v_pk_mul_f32 v[4:5], v[14:15], v[4:5] op_sel_hi:[1,0]
	v_pk_add_f32 v[2:3], v[2:3], v[6:7]
	s_waitcnt vmcnt(2)
	v_pk_fma_f32 v[6:7], v[14:15], v[36:37], v[4:5] op_sel:[0,0,1] op_sel_hi:[1,1,0] neg_lo:[0,0,1] neg_hi:[0,0,1]
	v_pk_fma_f32 v[4:5], v[14:15], v[36:37], v[4:5] op_sel:[0,0,1] op_sel_hi:[1,0,0]
	s_waitcnt vmcnt(1)
	v_mov_b32_e32 v4, v39
	v_mov_b32_e32 v7, v5
	v_pk_mul_f32 v[4:5], v[16:17], v[4:5] op_sel_hi:[1,0]
	v_pk_add_f32 v[2:3], v[2:3], v[6:7]
	s_waitcnt vmcnt(0)
	v_pk_fma_f32 v[6:7], v[16:17], v[38:39], v[4:5] op_sel:[0,0,1] op_sel_hi:[1,1,0] neg_lo:[0,0,1] neg_hi:[0,0,1]
	v_pk_fma_f32 v[4:5], v[16:17], v[38:39], v[4:5] op_sel:[0,0,1] op_sel_hi:[1,0,0]
	v_mov_b32_e32 v7, v5
	v_pk_add_f32 v[2:3], v[2:3], v[6:7]
	v_pk_add_f32 v[2:3], v[18:19], v[2:3] neg_lo:[0,1] neg_hi:[0,1]
	buffer_store_dword v2, off, s[0:3], 0 offset:400
	buffer_store_dword v3, off, s[0:3], 0 offset:404
	s_and_saveexec_b64 s[4:5], vcc
	s_cbranch_execz .LBB124_281
; %bb.280:
	buffer_load_dword v2, off, s[0:3], 0 offset:392
	buffer_load_dword v3, off, s[0:3], 0 offset:396
	v_mov_b32_e32 v1, 0
	buffer_store_dword v1, off, s[0:3], 0 offset:392
	buffer_store_dword v1, off, s[0:3], 0 offset:396
	s_waitcnt vmcnt(2)
	ds_write_b64 v199, v[2:3]
.LBB124_281:
	s_or_b64 exec, exec, s[4:5]
	s_waitcnt lgkmcnt(0)
	; wave barrier
	s_waitcnt lgkmcnt(0)
	buffer_load_dword v42, off, s[0:3], 0 offset:404
	buffer_load_dword v44, off, s[0:3], 0 offset:412
	;; [unrolled: 1-line block ×24, first 2 shown]
	v_mov_b32_e32 v1, 0
	ds_read_b128 v[2:5], v1 offset:896
	ds_read_b128 v[6:9], v1 offset:912
	;; [unrolled: 1-line block ×5, first 2 shown]
	ds_read_b64 v[40:41], v1 offset:976
	v_cmp_lt_u32_e32 vcc, 48, v0
	s_waitcnt vmcnt(23) lgkmcnt(5)
	v_mul_f32_e32 v55, v2, v42
	v_mul_f32_e32 v42, v3, v42
	s_waitcnt vmcnt(22)
	v_mul_f32_e32 v43, v4, v44
	s_waitcnt vmcnt(21) lgkmcnt(4)
	v_mul_f32_e32 v45, v6, v46
	v_mul_f32_e32 v44, v5, v44
	v_mul_f32_e32 v53, v7, v46
	s_waitcnt vmcnt(20)
	v_mov_b32_e32 v46, v23
	s_waitcnt vmcnt(19)
	v_mov_b32_e32 v48, v25
	s_waitcnt vmcnt(18)
	v_mov_b32_e32 v50, v27
	s_waitcnt vmcnt(17)
	v_mov_b32_e32 v52, v29
	s_waitcnt vmcnt(16)
	v_mov_b32_e32 v54, v31
	s_waitcnt vmcnt(12)
	v_fmac_f32_e32 v55, v3, v47
	v_fma_f32 v57, v2, v47, -v42
	v_mov_b32_e32 v56, v33
	s_waitcnt vmcnt(11)
	v_fmac_f32_e32 v43, v5, v49
	s_waitcnt vmcnt(10)
	v_fmac_f32_e32 v45, v7, v51
	v_fma_f32 v42, v4, v49, -v44
	v_fma_f32 v44, v6, v51, -v53
	v_pk_mul_f32 v[2:3], v[8:9], v[46:47] op_sel_hi:[1,0]
	s_waitcnt lgkmcnt(3)
	v_pk_mul_f32 v[4:5], v[10:11], v[48:49] op_sel_hi:[1,0]
	v_pk_mul_f32 v[6:7], v[12:13], v[50:51] op_sel_hi:[1,0]
	s_waitcnt lgkmcnt(2)
	v_pk_mul_f32 v[46:47], v[14:15], v[52:53] op_sel_hi:[1,0]
	v_pk_mul_f32 v[48:49], v[16:17], v[54:55] op_sel_hi:[1,0]
	v_add_f32_e32 v55, 0, v55
	v_add_f32_e32 v54, 0, v57
	s_waitcnt lgkmcnt(1)
	v_pk_mul_f32 v[50:51], v[18:19], v[56:57] op_sel_hi:[1,0]
	s_waitcnt vmcnt(9)
	v_pk_fma_f32 v[56:57], v[8:9], v[22:23], v[2:3] op_sel:[0,0,1] op_sel_hi:[1,1,0] neg_lo:[0,0,1] neg_hi:[0,0,1]
	v_pk_fma_f32 v[2:3], v[8:9], v[22:23], v[2:3] op_sel:[0,0,1] op_sel_hi:[1,0,0]
	s_waitcnt vmcnt(8)
	v_pk_fma_f32 v[8:9], v[10:11], v[24:25], v[4:5] op_sel:[0,0,1] op_sel_hi:[1,1,0] neg_lo:[0,0,1] neg_hi:[0,0,1]
	v_pk_fma_f32 v[4:5], v[10:11], v[24:25], v[4:5] op_sel:[0,0,1] op_sel_hi:[1,0,0]
	;; [unrolled: 3-line block ×4, first 2 shown]
	v_pk_add_f32 v[28:29], v[54:55], v[42:43]
	v_mov_b32_e32 v57, v3
	v_pk_add_f32 v[2:3], v[28:29], v[44:45]
	v_mov_b32_e32 v9, v5
	;; [unrolled: 2-line block ×4, first 2 shown]
	s_waitcnt vmcnt(2)
	v_pk_fma_f32 v[22:23], v[16:17], v[30:31], v[48:49] op_sel:[0,0,1] op_sel_hi:[1,1,0] neg_lo:[0,0,1] neg_hi:[0,0,1]
	v_pk_fma_f32 v[16:17], v[16:17], v[30:31], v[48:49] op_sel:[0,0,1] op_sel_hi:[1,0,0]
	v_mov_b32_e32 v13, v15
	v_pk_add_f32 v[2:3], v[2:3], v[10:11]
	v_mov_b32_e32 v60, v37
	v_pk_mul_f32 v[52:53], v[20:21], v[58:59] op_sel_hi:[1,0]
	v_pk_fma_f32 v[24:25], v[18:19], v[32:33], v[50:51] op_sel:[0,0,1] op_sel_hi:[1,1,0] neg_lo:[0,0,1] neg_hi:[0,0,1]
	v_pk_fma_f32 v[18:19], v[18:19], v[32:33], v[50:51] op_sel:[0,0,1] op_sel_hi:[1,0,0]
	v_mov_b32_e32 v23, v17
	v_pk_add_f32 v[2:3], v[2:3], v[12:13]
	v_pk_fma_f32 v[26:27], v[20:21], v[34:35], v[52:53] op_sel:[0,0,1] op_sel_hi:[1,1,0] neg_lo:[0,0,1] neg_hi:[0,0,1]
	v_pk_fma_f32 v[20:21], v[20:21], v[34:35], v[52:53] op_sel:[0,0,1] op_sel_hi:[1,0,0]
	v_mov_b32_e32 v25, v19
	v_pk_add_f32 v[2:3], v[2:3], v[22:23]
	s_waitcnt lgkmcnt(0)
	v_pk_mul_f32 v[4:5], v[40:41], v[60:61] op_sel_hi:[1,0]
	v_mov_b32_e32 v27, v21
	v_pk_add_f32 v[2:3], v[2:3], v[24:25]
	v_pk_fma_f32 v[6:7], v[40:41], v[36:37], v[4:5] op_sel:[0,0,1] op_sel_hi:[1,1,0] neg_lo:[0,0,1] neg_hi:[0,0,1]
	v_pk_fma_f32 v[4:5], v[40:41], v[36:37], v[4:5] op_sel:[0,0,1] op_sel_hi:[1,0,0]
	v_pk_add_f32 v[2:3], v[2:3], v[26:27]
	v_mov_b32_e32 v7, v5
	v_pk_add_f32 v[2:3], v[2:3], v[6:7]
	s_waitcnt vmcnt(0)
	v_pk_add_f32 v[2:3], v[38:39], v[2:3] neg_lo:[0,1] neg_hi:[0,1]
	buffer_store_dword v3, off, s[0:3], 0 offset:396
	buffer_store_dword v2, off, s[0:3], 0 offset:392
	s_and_saveexec_b64 s[4:5], vcc
	s_cbranch_execz .LBB124_283
; %bb.282:
	buffer_load_dword v2, off, s[0:3], 0 offset:384
	buffer_load_dword v3, off, s[0:3], 0 offset:388
	s_waitcnt vmcnt(0)
	ds_write_b64 v199, v[2:3]
	buffer_store_dword v1, off, s[0:3], 0 offset:384
	buffer_store_dword v1, off, s[0:3], 0 offset:388
.LBB124_283:
	s_or_b64 exec, exec, s[4:5]
	s_waitcnt lgkmcnt(0)
	; wave barrier
	s_waitcnt lgkmcnt(0)
	buffer_load_dword v44, off, s[0:3], 0 offset:396
	buffer_load_dword v46, off, s[0:3], 0 offset:404
	;; [unrolled: 1-line block ×26, first 2 shown]
	ds_read2_b64 v[2:5], v1 offset0:111 offset1:112
	ds_read2_b64 v[6:9], v1 offset0:113 offset1:114
	;; [unrolled: 1-line block ×6, first 2 shown]
	v_cmp_lt_u32_e32 vcc, 47, v0
	s_waitcnt vmcnt(25) lgkmcnt(5)
	v_mul_f32_e32 v1, v2, v44
	v_mul_f32_e32 v44, v3, v44
	s_waitcnt vmcnt(24)
	v_mul_f32_e32 v59, v4, v46
	s_waitcnt vmcnt(23) lgkmcnt(4)
	v_mul_f32_e32 v45, v6, v48
	s_waitcnt vmcnt(22)
	v_mul_f32_e32 v47, v8, v49
	v_mul_f32_e32 v46, v5, v46
	;; [unrolled: 1-line block ×4, first 2 shown]
	s_waitcnt vmcnt(21)
	v_mov_b32_e32 v48, v27
	s_waitcnt vmcnt(20)
	v_mov_b32_e32 v50, v29
	;; [unrolled: 2-line block ×3, first 2 shown]
	s_waitcnt vmcnt(15)
	v_fmac_f32_e32 v1, v3, v51
	v_fma_f32 v61, v2, v51, -v44
	v_mov_b32_e32 v52, v31
	s_waitcnt vmcnt(14)
	v_fmac_f32_e32 v59, v5, v53
	s_waitcnt vmcnt(12)
	v_fmac_f32_e32 v47, v9, v57
	v_fma_f32 v62, v4, v53, -v46
	v_fma_f32 v46, v8, v57, -v49
	s_waitcnt lgkmcnt(3)
	v_pk_mul_f32 v[2:3], v[10:11], v[48:49] op_sel_hi:[1,0]
	v_pk_mul_f32 v[4:5], v[12:13], v[50:51] op_sel_hi:[1,0]
	s_waitcnt lgkmcnt(2)
	v_pk_mul_f32 v[8:9], v[16:17], v[54:55] op_sel_hi:[1,0]
	v_add_f32_e32 v1, 0, v1
	v_add_f32_e32 v54, 0, v61
	v_fmac_f32_e32 v45, v7, v55
	v_fma_f32 v44, v6, v55, -v60
	v_pk_mul_f32 v[6:7], v[14:15], v[52:53] op_sel_hi:[1,0]
	s_waitcnt vmcnt(11)
	v_pk_fma_f32 v[52:53], v[10:11], v[26:27], v[2:3] op_sel:[0,0,1] op_sel_hi:[1,1,0] neg_lo:[0,0,1] neg_hi:[0,0,1]
	v_pk_fma_f32 v[2:3], v[10:11], v[26:27], v[2:3] op_sel:[0,0,1] op_sel_hi:[1,0,0]
	s_waitcnt vmcnt(10)
	v_pk_fma_f32 v[10:11], v[12:13], v[28:29], v[4:5] op_sel:[0,0,1] op_sel_hi:[1,1,0] neg_lo:[0,0,1] neg_hi:[0,0,1]
	v_pk_fma_f32 v[4:5], v[12:13], v[28:29], v[4:5] op_sel:[0,0,1] op_sel_hi:[1,0,0]
	v_add_f32_e32 v29, v1, v59
	v_add_f32_e32 v28, v54, v62
	v_mov_b32_e32 v53, v3
	v_pk_add_f32 v[2:3], v[28:29], v[44:45]
	v_pk_add_f32 v[2:3], v[2:3], v[46:47]
	v_mov_b32_e32 v56, v35
	s_waitcnt vmcnt(9)
	v_pk_fma_f32 v[12:13], v[14:15], v[30:31], v[6:7] op_sel:[0,0,1] op_sel_hi:[1,1,0] neg_lo:[0,0,1] neg_hi:[0,0,1]
	v_pk_fma_f32 v[6:7], v[14:15], v[30:31], v[6:7] op_sel:[0,0,1] op_sel_hi:[1,0,0]
	v_mov_b32_e32 v11, v5
	v_pk_add_f32 v[2:3], v[2:3], v[52:53]
	v_mov_b32_e32 v58, v37
	s_waitcnt lgkmcnt(1)
	v_pk_mul_f32 v[48:49], v[18:19], v[56:57] op_sel_hi:[1,0]
	s_waitcnt vmcnt(5)
	v_pk_fma_f32 v[14:15], v[16:17], v[32:33], v[8:9] op_sel:[0,0,1] op_sel_hi:[1,1,0] neg_lo:[0,0,1] neg_hi:[0,0,1]
	v_pk_fma_f32 v[8:9], v[16:17], v[32:33], v[8:9] op_sel:[0,0,1] op_sel_hi:[1,0,0]
	v_mov_b32_e32 v13, v7
	v_pk_add_f32 v[2:3], v[2:3], v[10:11]
	s_waitcnt vmcnt(4)
	v_mov_b32_e32 v4, v39
	v_pk_mul_f32 v[50:51], v[20:21], v[58:59] op_sel_hi:[1,0]
	v_pk_fma_f32 v[16:17], v[18:19], v[34:35], v[48:49] op_sel:[0,0,1] op_sel_hi:[1,1,0] neg_lo:[0,0,1] neg_hi:[0,0,1]
	v_pk_fma_f32 v[18:19], v[18:19], v[34:35], v[48:49] op_sel:[0,0,1] op_sel_hi:[1,0,0]
	v_mov_b32_e32 v15, v9
	v_pk_add_f32 v[2:3], v[2:3], v[12:13]
	s_waitcnt lgkmcnt(0)
	v_pk_mul_f32 v[4:5], v[22:23], v[4:5] op_sel_hi:[1,0]
	v_pk_fma_f32 v[26:27], v[20:21], v[36:37], v[50:51] op_sel:[0,0,1] op_sel_hi:[1,1,0] neg_lo:[0,0,1] neg_hi:[0,0,1]
	v_pk_fma_f32 v[20:21], v[20:21], v[36:37], v[50:51] op_sel:[0,0,1] op_sel_hi:[1,0,0]
	v_mov_b32_e32 v17, v19
	v_pk_add_f32 v[2:3], v[2:3], v[14:15]
	v_pk_fma_f32 v[6:7], v[22:23], v[38:39], v[4:5] op_sel:[0,0,1] op_sel_hi:[1,1,0] neg_lo:[0,0,1] neg_hi:[0,0,1]
	v_pk_fma_f32 v[4:5], v[22:23], v[38:39], v[4:5] op_sel:[0,0,1] op_sel_hi:[1,0,0]
	v_mov_b32_e32 v27, v21
	v_pk_add_f32 v[2:3], v[2:3], v[16:17]
	s_waitcnt vmcnt(3)
	v_mov_b32_e32 v4, v41
	v_pk_add_f32 v[2:3], v[2:3], v[26:27]
	v_mov_b32_e32 v7, v5
	v_pk_mul_f32 v[4:5], v[24:25], v[4:5] op_sel_hi:[1,0]
	v_pk_add_f32 v[2:3], v[2:3], v[6:7]
	s_waitcnt vmcnt(2)
	v_pk_fma_f32 v[6:7], v[24:25], v[40:41], v[4:5] op_sel:[0,0,1] op_sel_hi:[1,1,0] neg_lo:[0,0,1] neg_hi:[0,0,1]
	v_pk_fma_f32 v[4:5], v[24:25], v[40:41], v[4:5] op_sel:[0,0,1] op_sel_hi:[1,0,0]
	v_mov_b32_e32 v7, v5
	v_pk_add_f32 v[2:3], v[2:3], v[6:7]
	s_waitcnt vmcnt(0)
	v_pk_add_f32 v[2:3], v[42:43], v[2:3] neg_lo:[0,1] neg_hi:[0,1]
	buffer_store_dword v3, off, s[0:3], 0 offset:388
	buffer_store_dword v2, off, s[0:3], 0 offset:384
	s_and_saveexec_b64 s[4:5], vcc
	s_cbranch_execz .LBB124_285
; %bb.284:
	buffer_load_dword v2, off, s[0:3], 0 offset:376
	buffer_load_dword v3, off, s[0:3], 0 offset:380
	v_mov_b32_e32 v1, 0
	buffer_store_dword v1, off, s[0:3], 0 offset:376
	buffer_store_dword v1, off, s[0:3], 0 offset:380
	s_waitcnt vmcnt(2)
	ds_write_b64 v199, v[2:3]
.LBB124_285:
	s_or_b64 exec, exec, s[4:5]
	s_waitcnt lgkmcnt(0)
	; wave barrier
	s_waitcnt lgkmcnt(0)
	buffer_load_dword v46, off, s[0:3], 0 offset:388
	buffer_load_dword v48, off, s[0:3], 0 offset:396
	;; [unrolled: 1-line block ×28, first 2 shown]
	v_mov_b32_e32 v1, 0
	ds_read_b128 v[2:5], v1 offset:880
	ds_read_b128 v[6:9], v1 offset:896
	;; [unrolled: 1-line block ×6, first 2 shown]
	ds_read_b64 v[44:45], v1 offset:976
	v_cmp_lt_u32_e32 vcc, 46, v0
	s_waitcnt vmcnt(27) lgkmcnt(6)
	v_mul_f32_e32 v61, v2, v46
	s_waitcnt vmcnt(26)
	v_mul_f32_e32 v62, v4, v48
	v_mul_f32_e32 v46, v3, v46
	;; [unrolled: 1-line block ×3, first 2 shown]
	s_waitcnt vmcnt(23) lgkmcnt(4)
	v_mul_f32_e32 v49, v10, v52
	v_mul_f32_e32 v63, v6, v50
	;; [unrolled: 1-line block ×6, first 2 shown]
	s_waitcnt vmcnt(22)
	v_mov_b32_e32 v50, v27
	s_waitcnt vmcnt(21)
	v_mov_b32_e32 v52, v29
	s_waitcnt vmcnt(17)
	v_fmac_f32_e32 v61, v3, v53
	s_waitcnt vmcnt(16)
	v_fmac_f32_e32 v62, v5, v55
	;; [unrolled: 2-line block ×3, first 2 shown]
	v_fma_f32 v11, v2, v53, -v46
	v_fma_f32 v53, v4, v55, -v48
	v_pk_mul_f32 v[2:3], v[12:13], v[50:51] op_sel_hi:[1,0]
	s_waitcnt lgkmcnt(3)
	v_pk_mul_f32 v[4:5], v[14:15], v[52:53] op_sel_hi:[1,0]
	v_fma_f32 v46, v8, v59, -v51
	v_fma_f32 v48, v10, v60, -v65
	v_add_f32_e32 v50, 0, v61
	v_add_f32_e32 v51, 0, v11
	s_waitcnt vmcnt(12)
	v_pk_fma_f32 v[10:11], v[12:13], v[26:27], v[2:3] op_sel:[0,0,1] op_sel_hi:[1,1,0] neg_lo:[0,0,1] neg_hi:[0,0,1]
	v_pk_fma_f32 v[2:3], v[12:13], v[26:27], v[2:3] op_sel:[0,0,1] op_sel_hi:[1,0,0]
	s_waitcnt vmcnt(11)
	v_pk_fma_f32 v[12:13], v[14:15], v[28:29], v[4:5] op_sel:[0,0,1] op_sel_hi:[1,1,0] neg_lo:[0,0,1] neg_hi:[0,0,1]
	v_pk_fma_f32 v[4:5], v[14:15], v[28:29], v[4:5] op_sel:[0,0,1] op_sel_hi:[1,0,0]
	v_fmac_f32_e32 v63, v7, v57
	v_fma_f32 v55, v6, v57, -v64
	v_add_f32_e32 v2, v50, v62
	v_add_f32_e32 v4, v51, v53
	v_fmac_f32_e32 v47, v9, v59
	v_mov_b32_e32 v11, v3
	v_add_f32_e32 v3, v2, v63
	v_add_f32_e32 v2, v4, v55
	v_mov_b32_e32 v54, v31
	v_pk_add_f32 v[2:3], v[2:3], v[46:47]
	v_mov_b32_e32 v56, v33
	v_mov_b32_e32 v58, v35
	v_pk_mul_f32 v[6:7], v[16:17], v[54:55] op_sel_hi:[1,0]
	v_pk_add_f32 v[2:3], v[2:3], v[48:49]
	s_waitcnt lgkmcnt(2)
	v_pk_mul_f32 v[8:9], v[18:19], v[56:57] op_sel_hi:[1,0]
	s_waitcnt vmcnt(7)
	v_pk_fma_f32 v[14:15], v[16:17], v[30:31], v[6:7] op_sel:[0,0,1] op_sel_hi:[1,1,0] neg_lo:[0,0,1] neg_hi:[0,0,1]
	v_pk_fma_f32 v[6:7], v[16:17], v[30:31], v[6:7] op_sel:[0,0,1] op_sel_hi:[1,0,0]
	v_mov_b32_e32 v13, v5
	v_pk_add_f32 v[2:3], v[2:3], v[10:11]
	v_pk_mul_f32 v[4:5], v[20:21], v[58:59] op_sel_hi:[1,0]
	v_pk_fma_f32 v[16:17], v[18:19], v[32:33], v[8:9] op_sel:[0,0,1] op_sel_hi:[1,1,0] neg_lo:[0,0,1] neg_hi:[0,0,1]
	v_pk_fma_f32 v[8:9], v[18:19], v[32:33], v[8:9] op_sel:[0,0,1] op_sel_hi:[1,0,0]
	v_mov_b32_e32 v15, v7
	v_pk_add_f32 v[2:3], v[2:3], v[12:13]
	v_pk_fma_f32 v[6:7], v[20:21], v[34:35], v[4:5] op_sel:[0,0,1] op_sel_hi:[1,1,0] neg_lo:[0,0,1] neg_hi:[0,0,1]
	v_pk_fma_f32 v[4:5], v[20:21], v[34:35], v[4:5] op_sel:[0,0,1] op_sel_hi:[1,0,0]
	v_mov_b32_e32 v17, v9
	v_pk_add_f32 v[2:3], v[2:3], v[14:15]
	s_waitcnt vmcnt(6)
	v_mov_b32_e32 v4, v37
	v_pk_add_f32 v[2:3], v[2:3], v[16:17]
	v_mov_b32_e32 v7, v5
	s_waitcnt lgkmcnt(1)
	v_pk_mul_f32 v[4:5], v[22:23], v[4:5] op_sel_hi:[1,0]
	v_pk_add_f32 v[2:3], v[2:3], v[6:7]
	v_pk_fma_f32 v[6:7], v[22:23], v[36:37], v[4:5] op_sel:[0,0,1] op_sel_hi:[1,1,0] neg_lo:[0,0,1] neg_hi:[0,0,1]
	v_pk_fma_f32 v[4:5], v[22:23], v[36:37], v[4:5] op_sel:[0,0,1] op_sel_hi:[1,0,0]
	s_waitcnt vmcnt(5)
	v_mov_b32_e32 v4, v39
	v_mov_b32_e32 v7, v5
	v_pk_mul_f32 v[4:5], v[24:25], v[4:5] op_sel_hi:[1,0]
	v_pk_add_f32 v[2:3], v[2:3], v[6:7]
	s_waitcnt vmcnt(3)
	v_pk_fma_f32 v[6:7], v[24:25], v[38:39], v[4:5] op_sel:[0,0,1] op_sel_hi:[1,1,0] neg_lo:[0,0,1] neg_hi:[0,0,1]
	v_pk_fma_f32 v[4:5], v[24:25], v[38:39], v[4:5] op_sel:[0,0,1] op_sel_hi:[1,0,0]
	s_waitcnt vmcnt(2)
	v_mov_b32_e32 v4, v41
	v_mov_b32_e32 v7, v5
	s_waitcnt lgkmcnt(0)
	v_pk_mul_f32 v[4:5], v[44:45], v[4:5] op_sel_hi:[1,0]
	v_pk_add_f32 v[2:3], v[2:3], v[6:7]
	v_pk_fma_f32 v[6:7], v[44:45], v[40:41], v[4:5] op_sel:[0,0,1] op_sel_hi:[1,1,0] neg_lo:[0,0,1] neg_hi:[0,0,1]
	v_pk_fma_f32 v[4:5], v[44:45], v[40:41], v[4:5] op_sel:[0,0,1] op_sel_hi:[1,0,0]
	v_mov_b32_e32 v7, v5
	v_pk_add_f32 v[2:3], v[2:3], v[6:7]
	s_waitcnt vmcnt(0)
	v_pk_add_f32 v[2:3], v[42:43], v[2:3] neg_lo:[0,1] neg_hi:[0,1]
	buffer_store_dword v3, off, s[0:3], 0 offset:380
	buffer_store_dword v2, off, s[0:3], 0 offset:376
	s_and_saveexec_b64 s[4:5], vcc
	s_cbranch_execz .LBB124_287
; %bb.286:
	buffer_load_dword v2, off, s[0:3], 0 offset:368
	buffer_load_dword v3, off, s[0:3], 0 offset:372
	s_waitcnt vmcnt(0)
	ds_write_b64 v199, v[2:3]
	buffer_store_dword v1, off, s[0:3], 0 offset:368
	buffer_store_dword v1, off, s[0:3], 0 offset:372
.LBB124_287:
	s_or_b64 exec, exec, s[4:5]
	s_waitcnt lgkmcnt(0)
	; wave barrier
	s_waitcnt lgkmcnt(0)
	buffer_load_dword v48, off, s[0:3], 0 offset:380
	buffer_load_dword v50, off, s[0:3], 0 offset:388
	;; [unrolled: 1-line block ×30, first 2 shown]
	ds_read2_b64 v[2:5], v1 offset0:109 offset1:110
	ds_read2_b64 v[6:9], v1 offset0:111 offset1:112
	;; [unrolled: 1-line block ×7, first 2 shown]
	v_cmp_lt_u32_e32 vcc, 45, v0
	s_waitcnt vmcnt(29) lgkmcnt(6)
	v_mul_f32_e32 v1, v2, v48
	v_mul_f32_e32 v48, v3, v48
	s_waitcnt vmcnt(27) lgkmcnt(5)
	v_mul_f32_e32 v64, v6, v52
	s_waitcnt vmcnt(26)
	v_mul_f32_e32 v65, v8, v53
	v_mul_f32_e32 v53, v9, v53
	;; [unrolled: 1-line block ×3, first 2 shown]
	s_waitcnt vmcnt(23)
	v_mov_b32_e32 v52, v31
	v_mul_f32_e32 v63, v4, v50
	v_mul_f32_e32 v50, v5, v50
	s_waitcnt vmcnt(20)
	v_fmac_f32_e32 v1, v3, v57
	s_waitcnt vmcnt(19)
	v_fmac_f32_e32 v63, v5, v58
	v_add_f32_e32 v1, 0, v1
	s_waitcnt vmcnt(17)
	v_fma_f32 v53, v8, v60, -v53
	v_fmac_f32_e32 v65, v9, v60
	v_fma_f32 v9, v2, v57, -v48
	s_waitcnt lgkmcnt(3)
	v_pk_mul_f32 v[2:3], v[14:15], v[52:53] op_sel_hi:[1,0]
	v_fma_f32 v57, v4, v58, -v50
	v_add_f32_e32 v52, 0, v9
	s_waitcnt vmcnt(14)
	v_pk_fma_f32 v[8:9], v[14:15], v[30:31], v[2:3] op_sel:[0,0,1] op_sel_hi:[1,1,0] neg_lo:[0,0,1] neg_hi:[0,0,1]
	v_pk_fma_f32 v[2:3], v[14:15], v[30:31], v[2:3] op_sel:[0,0,1] op_sel_hi:[1,0,0]
	v_mul_f32_e32 v49, v10, v54
	v_mul_f32_e32 v51, v12, v55
	v_mul_f32_e32 v67, v11, v54
	v_mul_f32_e32 v55, v13, v55
	v_mov_b32_e32 v54, v33
	v_fmac_f32_e32 v64, v7, v59
	v_fma_f32 v58, v6, v59, -v66
	v_add_f32_e32 v1, v1, v63
	v_add_f32_e32 v2, v52, v57
	v_pk_mul_f32 v[4:5], v[16:17], v[54:55] op_sel_hi:[1,0]
	v_add_f32_e32 v1, v1, v64
	v_add_f32_e32 v2, v2, v58
	v_mov_b32_e32 v56, v35
	v_fmac_f32_e32 v49, v11, v61
	v_fma_f32 v48, v10, v61, -v67
	s_waitcnt vmcnt(10)
	v_pk_fma_f32 v[10:11], v[16:17], v[32:33], v[4:5] op_sel:[0,0,1] op_sel_hi:[1,1,0] neg_lo:[0,0,1] neg_hi:[0,0,1]
	v_pk_fma_f32 v[4:5], v[16:17], v[32:33], v[4:5] op_sel:[0,0,1] op_sel_hi:[1,0,0]
	v_mov_b32_e32 v9, v3
	v_add_f32_e32 v3, v1, v65
	v_add_f32_e32 v2, v2, v53
	v_fmac_f32_e32 v51, v13, v62
	v_fma_f32 v50, v12, v62, -v55
	s_waitcnt lgkmcnt(2)
	v_pk_mul_f32 v[6:7], v[18:19], v[56:57] op_sel_hi:[1,0]
	v_pk_add_f32 v[2:3], v[2:3], v[48:49]
	s_waitcnt vmcnt(9)
	v_mov_b32_e32 v4, v39
	v_pk_fma_f32 v[12:13], v[18:19], v[34:35], v[6:7] op_sel:[0,0,1] op_sel_hi:[1,1,0] neg_lo:[0,0,1] neg_hi:[0,0,1]
	v_pk_fma_f32 v[6:7], v[18:19], v[34:35], v[6:7] op_sel:[0,0,1] op_sel_hi:[1,0,0]
	v_mov_b32_e32 v11, v5
	v_pk_add_f32 v[2:3], v[2:3], v[50:51]
	v_pk_mul_f32 v[4:5], v[20:21], v[4:5] op_sel_hi:[1,0]
	v_mov_b32_e32 v13, v7
	v_pk_add_f32 v[2:3], v[2:3], v[8:9]
	v_pk_fma_f32 v[6:7], v[20:21], v[38:39], v[4:5] op_sel:[0,0,1] op_sel_hi:[1,1,0] neg_lo:[0,0,1] neg_hi:[0,0,1]
	v_pk_fma_f32 v[4:5], v[20:21], v[38:39], v[4:5] op_sel:[0,0,1] op_sel_hi:[1,0,0]
	v_pk_add_f32 v[2:3], v[2:3], v[10:11]
	s_waitcnt vmcnt(8)
	v_mov_b32_e32 v4, v37
	v_pk_add_f32 v[2:3], v[2:3], v[12:13]
	v_mov_b32_e32 v7, v5
	s_waitcnt lgkmcnt(1)
	v_pk_mul_f32 v[4:5], v[22:23], v[4:5] op_sel_hi:[1,0]
	v_pk_add_f32 v[2:3], v[2:3], v[6:7]
	v_pk_fma_f32 v[6:7], v[22:23], v[36:37], v[4:5] op_sel:[0,0,1] op_sel_hi:[1,1,0] neg_lo:[0,0,1] neg_hi:[0,0,1]
	v_pk_fma_f32 v[4:5], v[22:23], v[36:37], v[4:5] op_sel:[0,0,1] op_sel_hi:[1,0,0]
	s_waitcnt vmcnt(7)
	v_mov_b32_e32 v4, v41
	v_mov_b32_e32 v7, v5
	v_pk_mul_f32 v[4:5], v[24:25], v[4:5] op_sel_hi:[1,0]
	v_pk_add_f32 v[2:3], v[2:3], v[6:7]
	s_waitcnt vmcnt(4)
	v_pk_fma_f32 v[6:7], v[24:25], v[40:41], v[4:5] op_sel:[0,0,1] op_sel_hi:[1,1,0] neg_lo:[0,0,1] neg_hi:[0,0,1]
	v_pk_fma_f32 v[4:5], v[24:25], v[40:41], v[4:5] op_sel:[0,0,1] op_sel_hi:[1,0,0]
	s_waitcnt vmcnt(3)
	v_mov_b32_e32 v4, v45
	v_mov_b32_e32 v7, v5
	s_waitcnt lgkmcnt(0)
	v_pk_mul_f32 v[4:5], v[26:27], v[4:5] op_sel_hi:[1,0]
	v_pk_add_f32 v[2:3], v[2:3], v[6:7]
	v_pk_fma_f32 v[6:7], v[26:27], v[44:45], v[4:5] op_sel:[0,0,1] op_sel_hi:[1,1,0] neg_lo:[0,0,1] neg_hi:[0,0,1]
	v_pk_fma_f32 v[4:5], v[26:27], v[44:45], v[4:5] op_sel:[0,0,1] op_sel_hi:[1,0,0]
	s_waitcnt vmcnt(0)
	v_mov_b32_e32 v4, v43
	v_mov_b32_e32 v7, v5
	v_pk_mul_f32 v[4:5], v[28:29], v[4:5] op_sel_hi:[1,0]
	v_pk_add_f32 v[2:3], v[2:3], v[6:7]
	v_pk_fma_f32 v[6:7], v[28:29], v[42:43], v[4:5] op_sel:[0,0,1] op_sel_hi:[1,1,0] neg_lo:[0,0,1] neg_hi:[0,0,1]
	v_pk_fma_f32 v[4:5], v[28:29], v[42:43], v[4:5] op_sel:[0,0,1] op_sel_hi:[1,0,0]
	v_mov_b32_e32 v7, v5
	v_pk_add_f32 v[2:3], v[2:3], v[6:7]
	v_pk_add_f32 v[2:3], v[46:47], v[2:3] neg_lo:[0,1] neg_hi:[0,1]
	buffer_store_dword v3, off, s[0:3], 0 offset:372
	buffer_store_dword v2, off, s[0:3], 0 offset:368
	s_and_saveexec_b64 s[4:5], vcc
	s_cbranch_execz .LBB124_289
; %bb.288:
	buffer_load_dword v2, off, s[0:3], 0 offset:360
	buffer_load_dword v3, off, s[0:3], 0 offset:364
	v_mov_b32_e32 v1, 0
	buffer_store_dword v1, off, s[0:3], 0 offset:360
	buffer_store_dword v1, off, s[0:3], 0 offset:364
	s_waitcnt vmcnt(2)
	ds_write_b64 v199, v[2:3]
.LBB124_289:
	s_or_b64 exec, exec, s[4:5]
	s_waitcnt lgkmcnt(0)
	; wave barrier
	s_waitcnt lgkmcnt(0)
	buffer_load_dword v50, off, s[0:3], 0 offset:372
	buffer_load_dword v52, off, s[0:3], 0 offset:380
	;; [unrolled: 1-line block ×32, first 2 shown]
	v_mov_b32_e32 v1, 0
	ds_read_b128 v[2:5], v1 offset:864
	ds_read_b128 v[6:9], v1 offset:880
	;; [unrolled: 1-line block ×7, first 2 shown]
	ds_read_b64 v[48:49], v1 offset:976
	v_cmp_lt_u32_e32 vcc, 44, v0
	s_waitcnt vmcnt(31) lgkmcnt(7)
	v_mul_f32_e32 v66, v2, v50
	s_waitcnt vmcnt(30)
	v_mul_f32_e32 v67, v4, v52
	s_waitcnt vmcnt(29) lgkmcnt(6)
	v_mul_f32_e32 v68, v6, v54
	s_waitcnt vmcnt(28)
	v_mul_f32_e32 v69, v8, v55
	v_mul_f32_e32 v50, v3, v50
	;; [unrolled: 1-line block ×4, first 2 shown]
	s_waitcnt vmcnt(24)
	v_mov_b32_e32 v54, v31
	s_waitcnt lgkmcnt(5)
	v_mul_f32_e32 v70, v10, v56
	v_mul_f32_e32 v52, v5, v52
	;; [unrolled: 1-line block ×3, first 2 shown]
	s_waitcnt vmcnt(22)
	v_fmac_f32_e32 v66, v3, v59
	s_waitcnt vmcnt(21)
	v_fmac_f32_e32 v67, v5, v60
	v_fma_f32 v5, v2, v59, -v50
	s_waitcnt lgkmcnt(4)
	v_pk_mul_f32 v[2:3], v[16:17], v[54:55] op_sel_hi:[1,0]
	s_waitcnt vmcnt(20)
	v_fmac_f32_e32 v68, v7, v61
	s_waitcnt vmcnt(19)
	v_fmac_f32_e32 v69, v9, v62
	;; [unrolled: 2-line block ×3, first 2 shown]
	v_fma_f32 v7, v4, v60, -v52
	v_fma_f32 v9, v10, v63, -v72
	v_add_f32_e32 v10, 0, v66
	v_add_f32_e32 v11, 0, v5
	s_waitcnt vmcnt(12)
	v_pk_fma_f32 v[4:5], v[16:17], v[30:31], v[2:3] op_sel:[0,0,1] op_sel_hi:[1,1,0] neg_lo:[0,0,1] neg_hi:[0,0,1]
	v_pk_fma_f32 v[2:3], v[16:17], v[30:31], v[2:3] op_sel:[0,0,1] op_sel_hi:[1,0,0]
	v_fma_f32 v6, v6, v61, -v71
	v_add_f32_e32 v2, v10, v67
	v_add_f32_e32 v7, v11, v7
	v_fma_f32 v8, v8, v62, -v55
	v_mov_b32_e32 v5, v3
	v_add_f32_e32 v2, v2, v68
	v_add_f32_e32 v3, v7, v6
	v_mul_f32_e32 v51, v12, v57
	v_mul_f32_e32 v57, v13, v57
	v_add_f32_e32 v2, v2, v69
	v_add_f32_e32 v6, v3, v8
	v_mul_f32_e32 v53, v14, v58
	v_mul_f32_e32 v58, v15, v58
	v_fmac_f32_e32 v51, v13, v64
	v_fma_f32 v50, v12, v64, -v57
	v_add_f32_e32 v3, v2, v70
	v_add_f32_e32 v2, v6, v9
	v_fmac_f32_e32 v53, v15, v65
	v_fma_f32 v52, v14, v65, -v58
	v_pk_add_f32 v[2:3], v[2:3], v[50:51]
	v_mov_b32_e32 v56, v33
	v_pk_add_f32 v[2:3], v[2:3], v[52:53]
	v_pk_add_f32 v[2:3], v[2:3], v[4:5]
	s_waitcnt lgkmcnt(3)
	v_pk_mul_f32 v[4:5], v[18:19], v[56:57] op_sel_hi:[1,0]
	v_pk_fma_f32 v[6:7], v[18:19], v[32:33], v[4:5] op_sel:[0,0,1] op_sel_hi:[1,1,0] neg_lo:[0,0,1] neg_hi:[0,0,1]
	v_pk_fma_f32 v[4:5], v[18:19], v[32:33], v[4:5] op_sel:[0,0,1] op_sel_hi:[1,0,0]
	s_waitcnt vmcnt(11)
	v_mov_b32_e32 v4, v37
	v_mov_b32_e32 v7, v5
	v_pk_mul_f32 v[4:5], v[20:21], v[4:5] op_sel_hi:[1,0]
	v_pk_add_f32 v[2:3], v[2:3], v[6:7]
	v_pk_fma_f32 v[6:7], v[20:21], v[36:37], v[4:5] op_sel:[0,0,1] op_sel_hi:[1,1,0] neg_lo:[0,0,1] neg_hi:[0,0,1]
	v_pk_fma_f32 v[4:5], v[20:21], v[36:37], v[4:5] op_sel:[0,0,1] op_sel_hi:[1,0,0]
	s_waitcnt vmcnt(10)
	v_mov_b32_e32 v4, v35
	v_mov_b32_e32 v7, v5
	s_waitcnt lgkmcnt(2)
	v_pk_mul_f32 v[4:5], v[22:23], v[4:5] op_sel_hi:[1,0]
	v_pk_add_f32 v[2:3], v[2:3], v[6:7]
	v_pk_fma_f32 v[6:7], v[22:23], v[34:35], v[4:5] op_sel:[0,0,1] op_sel_hi:[1,1,0] neg_lo:[0,0,1] neg_hi:[0,0,1]
	v_pk_fma_f32 v[4:5], v[22:23], v[34:35], v[4:5] op_sel:[0,0,1] op_sel_hi:[1,0,0]
	s_waitcnt vmcnt(9)
	v_mov_b32_e32 v4, v39
	v_mov_b32_e32 v7, v5
	v_pk_mul_f32 v[4:5], v[24:25], v[4:5] op_sel_hi:[1,0]
	v_pk_add_f32 v[2:3], v[2:3], v[6:7]
	s_waitcnt vmcnt(4)
	v_pk_fma_f32 v[6:7], v[24:25], v[38:39], v[4:5] op_sel:[0,0,1] op_sel_hi:[1,1,0] neg_lo:[0,0,1] neg_hi:[0,0,1]
	v_pk_fma_f32 v[4:5], v[24:25], v[38:39], v[4:5] op_sel:[0,0,1] op_sel_hi:[1,0,0]
	v_mov_b32_e32 v4, v45
	v_mov_b32_e32 v7, v5
	s_waitcnt lgkmcnt(1)
	v_pk_mul_f32 v[4:5], v[26:27], v[4:5] op_sel_hi:[1,0]
	v_pk_add_f32 v[2:3], v[2:3], v[6:7]
	v_pk_fma_f32 v[6:7], v[26:27], v[44:45], v[4:5] op_sel:[0,0,1] op_sel_hi:[1,1,0] neg_lo:[0,0,1] neg_hi:[0,0,1]
	v_pk_fma_f32 v[4:5], v[26:27], v[44:45], v[4:5] op_sel:[0,0,1] op_sel_hi:[1,0,0]
	s_waitcnt vmcnt(3)
	v_mov_b32_e32 v4, v43
	v_mov_b32_e32 v7, v5
	v_pk_mul_f32 v[4:5], v[28:29], v[4:5] op_sel_hi:[1,0]
	v_pk_add_f32 v[2:3], v[2:3], v[6:7]
	v_pk_fma_f32 v[6:7], v[28:29], v[42:43], v[4:5] op_sel:[0,0,1] op_sel_hi:[1,1,0] neg_lo:[0,0,1] neg_hi:[0,0,1]
	v_pk_fma_f32 v[4:5], v[28:29], v[42:43], v[4:5] op_sel:[0,0,1] op_sel_hi:[1,0,0]
	s_waitcnt vmcnt(0)
	v_mov_b32_e32 v4, v41
	v_mov_b32_e32 v7, v5
	s_waitcnt lgkmcnt(0)
	v_pk_mul_f32 v[4:5], v[48:49], v[4:5] op_sel_hi:[1,0]
	v_pk_add_f32 v[2:3], v[2:3], v[6:7]
	v_pk_fma_f32 v[6:7], v[48:49], v[40:41], v[4:5] op_sel:[0,0,1] op_sel_hi:[1,1,0] neg_lo:[0,0,1] neg_hi:[0,0,1]
	v_pk_fma_f32 v[4:5], v[48:49], v[40:41], v[4:5] op_sel:[0,0,1] op_sel_hi:[1,0,0]
	v_mov_b32_e32 v7, v5
	v_pk_add_f32 v[2:3], v[2:3], v[6:7]
	v_pk_add_f32 v[2:3], v[46:47], v[2:3] neg_lo:[0,1] neg_hi:[0,1]
	buffer_store_dword v3, off, s[0:3], 0 offset:364
	buffer_store_dword v2, off, s[0:3], 0 offset:360
	s_and_saveexec_b64 s[4:5], vcc
	s_cbranch_execz .LBB124_291
; %bb.290:
	buffer_load_dword v2, off, s[0:3], 0 offset:352
	buffer_load_dword v3, off, s[0:3], 0 offset:356
	s_waitcnt vmcnt(0)
	ds_write_b64 v199, v[2:3]
	buffer_store_dword v1, off, s[0:3], 0 offset:352
	buffer_store_dword v1, off, s[0:3], 0 offset:356
.LBB124_291:
	s_or_b64 exec, exec, s[4:5]
	s_waitcnt lgkmcnt(0)
	; wave barrier
	s_waitcnt lgkmcnt(0)
	buffer_load_dword v52, off, s[0:3], 0 offset:364
	buffer_load_dword v54, off, s[0:3], 0 offset:372
	;; [unrolled: 1-line block ×32, first 2 shown]
	ds_read2_b64 v[2:5], v1 offset0:107 offset1:108
	ds_read2_b64 v[6:9], v1 offset0:109 offset1:110
	;; [unrolled: 1-line block ×4, first 2 shown]
	buffer_load_dword v51, off, s[0:3], 0 offset:484
	buffer_load_dword v50, off, s[0:3], 0 offset:480
	ds_read2_b64 v[18:21], v1 offset0:115 offset1:116
	ds_read2_b64 v[22:25], v1 offset0:117 offset1:118
	;; [unrolled: 1-line block ×4, first 2 shown]
	v_cmp_lt_u32_e32 vcc, 43, v0
	s_waitcnt vmcnt(33) lgkmcnt(7)
	v_mul_f32_e32 v1, v2, v52
	v_mul_f32_e32 v52, v3, v52
	s_waitcnt vmcnt(32)
	v_mul_f32_e32 v70, v4, v54
	v_mul_f32_e32 v54, v5, v54
	s_waitcnt vmcnt(31) lgkmcnt(6)
	v_mul_f32_e32 v71, v6, v56
	v_mul_f32_e32 v56, v7, v56
	s_waitcnt vmcnt(30)
	v_mul_f32_e32 v72, v8, v57
	v_mul_f32_e32 v57, v9, v57
	s_waitcnt vmcnt(25)
	v_fmac_f32_e32 v1, v3, v62
	v_fma_f32 v2, v2, v62, -v52
	s_waitcnt vmcnt(24)
	v_fmac_f32_e32 v70, v5, v63
	v_fma_f32 v3, v4, v63, -v54
	v_add_f32_e32 v1, 0, v1
	v_add_f32_e32 v2, 0, v2
	s_waitcnt vmcnt(23)
	v_fmac_f32_e32 v71, v7, v64
	v_fma_f32 v4, v6, v64, -v56
	v_add_f32_e32 v1, v1, v70
	v_add_f32_e32 v2, v2, v3
	s_waitcnt lgkmcnt(5)
	v_mul_f32_e32 v73, v10, v58
	v_mul_f32_e32 v58, v11, v58
	s_waitcnt vmcnt(22)
	v_fmac_f32_e32 v72, v9, v65
	v_fma_f32 v5, v8, v65, -v57
	v_add_f32_e32 v1, v1, v71
	v_add_f32_e32 v2, v2, v4
	v_mul_f32_e32 v74, v12, v59
	v_mul_f32_e32 v59, v13, v59
	s_waitcnt vmcnt(21)
	v_fmac_f32_e32 v73, v11, v66
	v_fma_f32 v6, v10, v66, -v58
	v_add_f32_e32 v1, v1, v72
	v_add_f32_e32 v2, v2, v5
	s_waitcnt vmcnt(17)
	v_mov_b32_e32 v4, v35
	s_waitcnt lgkmcnt(4)
	v_mul_f32_e32 v53, v14, v60
	v_mul_f32_e32 v60, v15, v60
	v_fmac_f32_e32 v74, v13, v67
	v_fma_f32 v7, v12, v67, -v59
	v_add_f32_e32 v1, v1, v73
	v_add_f32_e32 v2, v2, v6
	s_waitcnt lgkmcnt(3)
	v_pk_mul_f32 v[4:5], v[18:19], v[4:5] op_sel_hi:[1,0]
	v_mul_f32_e32 v55, v16, v61
	v_mul_f32_e32 v61, v17, v61
	v_fmac_f32_e32 v53, v15, v68
	v_fma_f32 v52, v14, v68, -v60
	v_add_f32_e32 v3, v1, v74
	v_add_f32_e32 v2, v2, v7
	s_waitcnt vmcnt(14)
	v_pk_fma_f32 v[6:7], v[18:19], v[34:35], v[4:5] op_sel:[0,0,1] op_sel_hi:[1,1,0] neg_lo:[0,0,1] neg_hi:[0,0,1]
	v_pk_fma_f32 v[4:5], v[18:19], v[34:35], v[4:5] op_sel:[0,0,1] op_sel_hi:[1,0,0]
	v_fmac_f32_e32 v55, v17, v69
	v_fma_f32 v54, v16, v69, -v61
	v_pk_add_f32 v[2:3], v[2:3], v[52:53]
	s_waitcnt vmcnt(13)
	v_mov_b32_e32 v4, v39
	v_pk_add_f32 v[2:3], v[2:3], v[54:55]
	v_mov_b32_e32 v7, v5
	v_pk_mul_f32 v[4:5], v[20:21], v[4:5] op_sel_hi:[1,0]
	v_pk_add_f32 v[2:3], v[2:3], v[6:7]
	v_pk_fma_f32 v[6:7], v[20:21], v[38:39], v[4:5] op_sel:[0,0,1] op_sel_hi:[1,1,0] neg_lo:[0,0,1] neg_hi:[0,0,1]
	v_pk_fma_f32 v[4:5], v[20:21], v[38:39], v[4:5] op_sel:[0,0,1] op_sel_hi:[1,0,0]
	s_waitcnt vmcnt(12)
	v_mov_b32_e32 v4, v37
	v_mov_b32_e32 v7, v5
	s_waitcnt lgkmcnt(2)
	v_pk_mul_f32 v[4:5], v[22:23], v[4:5] op_sel_hi:[1,0]
	v_pk_add_f32 v[2:3], v[2:3], v[6:7]
	v_pk_fma_f32 v[6:7], v[22:23], v[36:37], v[4:5] op_sel:[0,0,1] op_sel_hi:[1,1,0] neg_lo:[0,0,1] neg_hi:[0,0,1]
	v_pk_fma_f32 v[4:5], v[22:23], v[36:37], v[4:5] op_sel:[0,0,1] op_sel_hi:[1,0,0]
	s_waitcnt vmcnt(11)
	v_mov_b32_e32 v4, v41
	v_mov_b32_e32 v7, v5
	v_pk_mul_f32 v[4:5], v[24:25], v[4:5] op_sel_hi:[1,0]
	v_pk_add_f32 v[2:3], v[2:3], v[6:7]
	s_waitcnt vmcnt(5)
	v_pk_fma_f32 v[6:7], v[24:25], v[40:41], v[4:5] op_sel:[0,0,1] op_sel_hi:[1,1,0] neg_lo:[0,0,1] neg_hi:[0,0,1]
	v_pk_fma_f32 v[4:5], v[24:25], v[40:41], v[4:5] op_sel:[0,0,1] op_sel_hi:[1,0,0]
	v_mov_b32_e32 v4, v47
	v_mov_b32_e32 v7, v5
	s_waitcnt lgkmcnt(1)
	v_pk_mul_f32 v[4:5], v[26:27], v[4:5] op_sel_hi:[1,0]
	v_pk_add_f32 v[2:3], v[2:3], v[6:7]
	v_pk_fma_f32 v[6:7], v[26:27], v[46:47], v[4:5] op_sel:[0,0,1] op_sel_hi:[1,1,0] neg_lo:[0,0,1] neg_hi:[0,0,1]
	v_pk_fma_f32 v[4:5], v[26:27], v[46:47], v[4:5] op_sel:[0,0,1] op_sel_hi:[1,0,0]
	v_mov_b32_e32 v4, v45
	v_mov_b32_e32 v7, v5
	v_pk_mul_f32 v[4:5], v[28:29], v[4:5] op_sel_hi:[1,0]
	v_pk_add_f32 v[2:3], v[2:3], v[6:7]
	v_pk_fma_f32 v[6:7], v[28:29], v[44:45], v[4:5] op_sel:[0,0,1] op_sel_hi:[1,1,0] neg_lo:[0,0,1] neg_hi:[0,0,1]
	v_pk_fma_f32 v[4:5], v[28:29], v[44:45], v[4:5] op_sel:[0,0,1] op_sel_hi:[1,0,0]
	s_waitcnt vmcnt(2)
	v_mov_b32_e32 v4, v43
	v_mov_b32_e32 v7, v5
	s_waitcnt lgkmcnt(0)
	v_pk_mul_f32 v[4:5], v[30:31], v[4:5] op_sel_hi:[1,0]
	v_pk_add_f32 v[2:3], v[2:3], v[6:7]
	v_pk_fma_f32 v[6:7], v[30:31], v[42:43], v[4:5] op_sel:[0,0,1] op_sel_hi:[1,1,0] neg_lo:[0,0,1] neg_hi:[0,0,1]
	v_pk_fma_f32 v[4:5], v[30:31], v[42:43], v[4:5] op_sel:[0,0,1] op_sel_hi:[1,0,0]
	s_waitcnt vmcnt(1)
	v_mov_b32_e32 v4, v51
	v_mov_b32_e32 v7, v5
	v_pk_mul_f32 v[4:5], v[32:33], v[4:5] op_sel_hi:[1,0]
	v_pk_add_f32 v[2:3], v[2:3], v[6:7]
	s_waitcnt vmcnt(0)
	v_pk_fma_f32 v[6:7], v[32:33], v[50:51], v[4:5] op_sel:[0,0,1] op_sel_hi:[1,1,0] neg_lo:[0,0,1] neg_hi:[0,0,1]
	v_pk_fma_f32 v[4:5], v[32:33], v[50:51], v[4:5] op_sel:[0,0,1] op_sel_hi:[1,0,0]
	v_mov_b32_e32 v7, v5
	v_pk_add_f32 v[2:3], v[2:3], v[6:7]
	v_pk_add_f32 v[2:3], v[48:49], v[2:3] neg_lo:[0,1] neg_hi:[0,1]
	buffer_store_dword v3, off, s[0:3], 0 offset:356
	buffer_store_dword v2, off, s[0:3], 0 offset:352
	s_and_saveexec_b64 s[4:5], vcc
	s_cbranch_execz .LBB124_293
; %bb.292:
	buffer_load_dword v2, off, s[0:3], 0 offset:344
	buffer_load_dword v3, off, s[0:3], 0 offset:348
	v_mov_b32_e32 v1, 0
	buffer_store_dword v1, off, s[0:3], 0 offset:344
	buffer_store_dword v1, off, s[0:3], 0 offset:348
	s_waitcnt vmcnt(2)
	ds_write_b64 v199, v[2:3]
.LBB124_293:
	s_or_b64 exec, exec, s[4:5]
	s_waitcnt lgkmcnt(0)
	; wave barrier
	s_waitcnt lgkmcnt(0)
	buffer_load_dword v44, off, s[0:3], 0 offset:356
	buffer_load_dword v46, off, s[0:3], 0 offset:364
	;; [unrolled: 1-line block ×36, first 2 shown]
	v_mov_b32_e32 v1, 0
	ds_read_b128 v[2:5], v1 offset:848
	ds_read_b128 v[6:9], v1 offset:864
	;; [unrolled: 1-line block ×6, first 2 shown]
	v_cmp_lt_u32_e32 vcc, 42, v0
	s_waitcnt vmcnt(35) lgkmcnt(5)
	v_mul_f32_e32 v64, v2, v44
	s_waitcnt vmcnt(34)
	v_mul_f32_e32 v65, v4, v46
	v_mul_f32_e32 v44, v3, v44
	s_waitcnt vmcnt(32) lgkmcnt(4)
	v_mul_f32_e32 v67, v8, v49
	v_mul_f32_e32 v49, v9, v49
	;; [unrolled: 1-line block ×5, first 2 shown]
	s_waitcnt vmcnt(31) lgkmcnt(3)
	v_mul_f32_e32 v68, v10, v50
	s_waitcnt vmcnt(26)
	v_fmac_f32_e32 v64, v3, v55
	s_waitcnt vmcnt(25)
	v_fmac_f32_e32 v65, v5, v56
	v_fma_f32 v2, v2, v55, -v44
	s_waitcnt vmcnt(23)
	v_fma_f32 v5, v8, v58, -v49
	v_add_f32_e32 v8, 0, v64
	v_fmac_f32_e32 v66, v7, v57
	v_fma_f32 v3, v4, v56, -v46
	v_add_f32_e32 v2, 0, v2
	v_add_f32_e32 v8, v8, v65
	v_fmac_f32_e32 v67, v9, v58
	v_fma_f32 v4, v6, v57, -v48
	v_add_f32_e32 v2, v2, v3
	v_add_f32_e32 v3, v8, v66
	v_mul_f32_e32 v69, v12, v51
	v_mul_f32_e32 v50, v11, v50
	s_waitcnt vmcnt(22)
	v_fmac_f32_e32 v68, v11, v59
	v_add_f32_e32 v2, v2, v4
	v_add_f32_e32 v3, v3, v67
	s_waitcnt lgkmcnt(2)
	v_mul_f32_e32 v70, v14, v52
	v_mul_f32_e32 v51, v13, v51
	s_waitcnt vmcnt(21)
	v_fmac_f32_e32 v69, v13, v60
	v_fma_f32 v6, v10, v59, -v50
	v_add_f32_e32 v2, v2, v5
	v_add_f32_e32 v3, v3, v68
	v_mul_f32_e32 v52, v15, v52
	s_waitcnt vmcnt(20)
	v_fmac_f32_e32 v70, v15, v61
	v_fma_f32 v7, v12, v60, -v51
	v_add_f32_e32 v2, v2, v6
	v_add_f32_e32 v3, v3, v69
	;; [unrolled: 1-line block ×4, first 2 shown]
	v_fma_f32 v3, v14, v61, -v52
	s_waitcnt vmcnt(17)
	v_mov_b32_e32 v14, v27
	v_mul_f32_e32 v45, v16, v53
	v_add_f32_e32 v10, v2, v3
	v_mul_f32_e32 v2, v17, v53
	s_waitcnt lgkmcnt(1)
	v_pk_mul_f32 v[14:15], v[20:21], v[14:15] op_sel_hi:[1,0]
	v_mul_f32_e32 v47, v18, v54
	v_fmac_f32_e32 v45, v17, v62
	v_fma_f32 v44, v16, v62, -v2
	v_mul_f32_e32 v2, v19, v54
	s_waitcnt vmcnt(15)
	v_pk_fma_f32 v[16:17], v[20:21], v[26:27], v[14:15] op_sel:[0,0,1] op_sel_hi:[1,1,0] neg_lo:[0,0,1] neg_hi:[0,0,1]
	v_pk_fma_f32 v[14:15], v[20:21], v[26:27], v[14:15] op_sel:[0,0,1] op_sel_hi:[1,0,0]
	v_fmac_f32_e32 v47, v19, v63
	v_fma_f32 v46, v18, v63, -v2
	v_pk_add_f32 v[10:11], v[10:11], v[44:45]
	s_waitcnt vmcnt(12)
	v_mov_b32_e32 v14, v29
	v_pk_add_f32 v[10:11], v[10:11], v[46:47]
	v_mov_b32_e32 v17, v15
	s_waitcnt lgkmcnt(0)
	v_pk_mul_f32 v[14:15], v[22:23], v[14:15] op_sel_hi:[1,0]
	v_pk_add_f32 v[10:11], v[10:11], v[16:17]
	v_pk_fma_f32 v[16:17], v[22:23], v[28:29], v[14:15] op_sel:[0,0,1] op_sel_hi:[1,1,0] neg_lo:[0,0,1] neg_hi:[0,0,1]
	v_pk_fma_f32 v[14:15], v[22:23], v[28:29], v[14:15] op_sel:[0,0,1] op_sel_hi:[1,0,0]
	s_waitcnt vmcnt(11)
	v_mov_b32_e32 v14, v33
	ds_read_b128 v[2:5], v1 offset:944
	ds_read_b128 v[6:9], v1 offset:960
	ds_read_b64 v[12:13], v1 offset:976
	v_mov_b32_e32 v17, v15
	v_pk_mul_f32 v[14:15], v[24:25], v[14:15] op_sel_hi:[1,0]
	v_pk_add_f32 v[10:11], v[10:11], v[16:17]
	s_waitcnt vmcnt(4)
	v_pk_fma_f32 v[16:17], v[24:25], v[32:33], v[14:15] op_sel:[0,0,1] op_sel_hi:[1,1,0] neg_lo:[0,0,1] neg_hi:[0,0,1]
	v_pk_fma_f32 v[14:15], v[24:25], v[32:33], v[14:15] op_sel:[0,0,1] op_sel_hi:[1,0,0]
	v_mov_b32_e32 v14, v39
	v_mov_b32_e32 v17, v15
	s_waitcnt lgkmcnt(2)
	v_pk_mul_f32 v[14:15], v[2:3], v[14:15] op_sel_hi:[1,0]
	v_pk_add_f32 v[10:11], v[10:11], v[16:17]
	v_pk_fma_f32 v[16:17], v[2:3], v[38:39], v[14:15] op_sel:[0,0,1] op_sel_hi:[1,1,0] neg_lo:[0,0,1] neg_hi:[0,0,1]
	v_pk_fma_f32 v[2:3], v[2:3], v[38:39], v[14:15] op_sel:[0,0,1] op_sel_hi:[1,0,0]
	v_mov_b32_e32 v17, v3
	v_pk_add_f32 v[2:3], v[10:11], v[16:17]
	v_mov_b32_e32 v10, v37
	v_pk_mul_f32 v[10:11], v[4:5], v[10:11] op_sel_hi:[1,0]
	v_pk_fma_f32 v[14:15], v[4:5], v[36:37], v[10:11] op_sel:[0,0,1] op_sel_hi:[1,1,0] neg_lo:[0,0,1] neg_hi:[0,0,1]
	v_pk_fma_f32 v[4:5], v[4:5], v[36:37], v[10:11] op_sel:[0,0,1] op_sel_hi:[1,0,0]
	v_mov_b32_e32 v4, v35
	v_mov_b32_e32 v15, v5
	s_waitcnt lgkmcnt(1)
	v_pk_mul_f32 v[4:5], v[6:7], v[4:5] op_sel_hi:[1,0]
	v_pk_fma_f32 v[10:11], v[6:7], v[34:35], v[4:5] op_sel:[0,0,1] op_sel_hi:[1,1,0] neg_lo:[0,0,1] neg_hi:[0,0,1]
	v_pk_fma_f32 v[4:5], v[6:7], v[34:35], v[4:5] op_sel:[0,0,1] op_sel_hi:[1,0,0]
	s_waitcnt vmcnt(1)
	v_mov_b32_e32 v4, v43
	v_mov_b32_e32 v11, v5
	v_pk_mul_f32 v[4:5], v[8:9], v[4:5] op_sel_hi:[1,0]
	s_waitcnt vmcnt(0)
	v_pk_fma_f32 v[6:7], v[8:9], v[42:43], v[4:5] op_sel:[0,0,1] op_sel_hi:[1,1,0] neg_lo:[0,0,1] neg_hi:[0,0,1]
	v_pk_fma_f32 v[4:5], v[8:9], v[42:43], v[4:5] op_sel:[0,0,1] op_sel_hi:[1,0,0]
	v_pk_add_f32 v[2:3], v[2:3], v[14:15]
	v_mov_b32_e32 v4, v41
	v_pk_add_f32 v[2:3], v[2:3], v[10:11]
	v_mov_b32_e32 v7, v5
	s_waitcnt lgkmcnt(0)
	v_pk_mul_f32 v[4:5], v[12:13], v[4:5] op_sel_hi:[1,0]
	v_pk_add_f32 v[2:3], v[2:3], v[6:7]
	v_pk_fma_f32 v[6:7], v[12:13], v[40:41], v[4:5] op_sel:[0,0,1] op_sel_hi:[1,1,0] neg_lo:[0,0,1] neg_hi:[0,0,1]
	v_pk_fma_f32 v[4:5], v[12:13], v[40:41], v[4:5] op_sel:[0,0,1] op_sel_hi:[1,0,0]
	v_mov_b32_e32 v7, v5
	v_pk_add_f32 v[2:3], v[2:3], v[6:7]
	v_pk_add_f32 v[2:3], v[30:31], v[2:3] neg_lo:[0,1] neg_hi:[0,1]
	buffer_store_dword v3, off, s[0:3], 0 offset:348
	buffer_store_dword v2, off, s[0:3], 0 offset:344
	s_and_saveexec_b64 s[4:5], vcc
	s_cbranch_execz .LBB124_295
; %bb.294:
	buffer_load_dword v2, off, s[0:3], 0 offset:336
	buffer_load_dword v3, off, s[0:3], 0 offset:340
	s_waitcnt vmcnt(0)
	ds_write_b64 v199, v[2:3]
	buffer_store_dword v1, off, s[0:3], 0 offset:336
	buffer_store_dword v1, off, s[0:3], 0 offset:340
.LBB124_295:
	s_or_b64 exec, exec, s[4:5]
	s_waitcnt lgkmcnt(0)
	; wave barrier
	s_waitcnt lgkmcnt(0)
	buffer_load_dword v44, off, s[0:3], 0 offset:348
	buffer_load_dword v46, off, s[0:3], 0 offset:356
	buffer_load_dword v48, off, s[0:3], 0 offset:364
	buffer_load_dword v49, off, s[0:3], 0 offset:372
	buffer_load_dword v50, off, s[0:3], 0 offset:380
	buffer_load_dword v51, off, s[0:3], 0 offset:388
	buffer_load_dword v52, off, s[0:3], 0 offset:396
	buffer_load_dword v53, off, s[0:3], 0 offset:404
	buffer_load_dword v54, off, s[0:3], 0 offset:412
	buffer_load_dword v55, off, s[0:3], 0 offset:420
	buffer_load_dword v56, off, s[0:3], 0 offset:344
	buffer_load_dword v57, off, s[0:3], 0 offset:352
	buffer_load_dword v58, off, s[0:3], 0 offset:360
	buffer_load_dword v59, off, s[0:3], 0 offset:368
	buffer_load_dword v60, off, s[0:3], 0 offset:376
	buffer_load_dword v61, off, s[0:3], 0 offset:384
	buffer_load_dword v62, off, s[0:3], 0 offset:392
	buffer_load_dword v63, off, s[0:3], 0 offset:400
	buffer_load_dword v64, off, s[0:3], 0 offset:408
	buffer_load_dword v65, off, s[0:3], 0 offset:416
	buffer_load_dword v26, off, s[0:3], 0 offset:336
	buffer_load_dword v27, off, s[0:3], 0 offset:340
	ds_read2_b64 v[2:5], v1 offset0:105 offset1:106
	ds_read2_b64 v[6:9], v1 offset0:107 offset1:108
	buffer_load_dword v29, off, s[0:3], 0 offset:428
	buffer_load_dword v28, off, s[0:3], 0 offset:424
	;; [unrolled: 1-line block ×10, first 2 shown]
	ds_read2_b64 v[10:13], v1 offset0:109 offset1:110
	ds_read2_b64 v[14:17], v1 offset0:111 offset1:112
	;; [unrolled: 1-line block ×4, first 2 shown]
	buffer_load_dword v39, off, s[0:3], 0 offset:484
	buffer_load_dword v38, off, s[0:3], 0 offset:480
	;; [unrolled: 1-line block ×6, first 2 shown]
	v_cmp_lt_u32_e32 vcc, 41, v0
	s_waitcnt vmcnt(37) lgkmcnt(5)
	v_mul_f32_e32 v66, v2, v44
	s_waitcnt vmcnt(36)
	v_mul_f32_e32 v67, v4, v46
	s_waitcnt vmcnt(35) lgkmcnt(4)
	v_mul_f32_e32 v68, v6, v48
	v_mul_f32_e32 v44, v3, v44
	;; [unrolled: 1-line block ×4, first 2 shown]
	s_waitcnt vmcnt(34)
	v_mul_f32_e32 v69, v8, v49
	s_waitcnt vmcnt(33) lgkmcnt(3)
	v_mul_f32_e32 v70, v10, v50
	s_waitcnt vmcnt(32)
	v_mul_f32_e32 v71, v12, v51
	s_waitcnt vmcnt(31) lgkmcnt(2)
	v_mul_f32_e32 v72, v14, v52
	s_waitcnt vmcnt(27)
	v_fmac_f32_e32 v66, v3, v56
	s_waitcnt vmcnt(26)
	v_fmac_f32_e32 v67, v5, v57
	;; [unrolled: 2-line block ×3, first 2 shown]
	v_fma_f32 v2, v2, v56, -v44
	v_add_f32_e32 v7, 0, v66
	v_fma_f32 v3, v4, v57, -v46
	v_add_f32_e32 v2, 0, v2
	v_add_f32_e32 v7, v7, v67
	s_waitcnt vmcnt(24)
	v_fmac_f32_e32 v69, v9, v59
	v_add_f32_e32 v2, v2, v3
	v_add_f32_e32 v3, v7, v68
	s_waitcnt vmcnt(23)
	v_fmac_f32_e32 v70, v11, v60
	v_add_f32_e32 v3, v3, v69
	v_mul_f32_e32 v49, v9, v49
	s_waitcnt vmcnt(22)
	v_fmac_f32_e32 v71, v13, v61
	v_fma_f32 v4, v6, v58, -v48
	v_add_f32_e32 v3, v3, v70
	v_mul_f32_e32 v73, v16, v53
	v_mul_f32_e32 v50, v11, v50
	s_waitcnt vmcnt(21)
	v_fmac_f32_e32 v72, v15, v62
	v_fma_f32 v5, v8, v59, -v49
	v_add_f32_e32 v2, v2, v4
	v_add_f32_e32 v3, v3, v71
	v_mul_f32_e32 v51, v13, v51
	s_waitcnt vmcnt(20)
	v_fmac_f32_e32 v73, v17, v63
	v_fma_f32 v6, v10, v60, -v50
	v_add_f32_e32 v2, v2, v5
	v_add_f32_e32 v3, v3, v72
	;; [unrolled: 1-line block ×4, first 2 shown]
	v_fma_f32 v3, v12, v61, -v51
	v_add_f32_e32 v2, v2, v3
	v_mul_f32_e32 v3, v15, v52
	v_fma_f32 v3, v14, v62, -v3
	v_add_f32_e32 v2, v2, v3
	v_mul_f32_e32 v3, v17, v53
	v_fma_f32 v3, v16, v63, -v3
	s_waitcnt vmcnt(15)
	v_mov_b32_e32 v16, v29
	s_waitcnt lgkmcnt(1)
	v_mul_f32_e32 v45, v18, v54
	v_add_f32_e32 v48, v2, v3
	v_mul_f32_e32 v2, v19, v54
	s_waitcnt lgkmcnt(0)
	v_pk_mul_f32 v[16:17], v[22:23], v[16:17] op_sel_hi:[1,0]
	v_mul_f32_e32 v47, v20, v55
	v_fmac_f32_e32 v45, v19, v64
	v_fma_f32 v44, v18, v64, -v2
	v_mul_f32_e32 v2, v21, v55
	s_waitcnt vmcnt(14)
	v_pk_fma_f32 v[18:19], v[22:23], v[28:29], v[16:17] op_sel:[0,0,1] op_sel_hi:[1,1,0] neg_lo:[0,0,1] neg_hi:[0,0,1]
	v_pk_fma_f32 v[16:17], v[22:23], v[28:29], v[16:17] op_sel:[0,0,1] op_sel_hi:[1,0,0]
	v_fmac_f32_e32 v47, v21, v65
	v_fma_f32 v46, v20, v65, -v2
	v_pk_add_f32 v[14:15], v[48:49], v[44:45]
	s_waitcnt vmcnt(13)
	v_mov_b32_e32 v16, v31
	ds_read2_b64 v[2:5], v1 offset0:117 offset1:118
	ds_read2_b64 v[6:9], v1 offset0:119 offset1:120
	;; [unrolled: 1-line block ×3, first 2 shown]
	v_pk_add_f32 v[14:15], v[14:15], v[46:47]
	v_mov_b32_e32 v19, v17
	v_pk_mul_f32 v[16:17], v[24:25], v[16:17] op_sel_hi:[1,0]
	v_pk_add_f32 v[14:15], v[14:15], v[18:19]
	s_waitcnt vmcnt(6)
	v_pk_fma_f32 v[18:19], v[24:25], v[30:31], v[16:17] op_sel:[0,0,1] op_sel_hi:[1,1,0] neg_lo:[0,0,1] neg_hi:[0,0,1]
	v_pk_fma_f32 v[16:17], v[24:25], v[30:31], v[16:17] op_sel:[0,0,1] op_sel_hi:[1,0,0]
	v_mov_b32_e32 v16, v37
	v_mov_b32_e32 v19, v17
	s_waitcnt lgkmcnt(2)
	v_pk_mul_f32 v[16:17], v[2:3], v[16:17] op_sel_hi:[1,0]
	v_pk_add_f32 v[14:15], v[14:15], v[18:19]
	v_pk_fma_f32 v[18:19], v[2:3], v[36:37], v[16:17] op_sel:[0,0,1] op_sel_hi:[1,1,0] neg_lo:[0,0,1] neg_hi:[0,0,1]
	v_pk_fma_f32 v[2:3], v[2:3], v[36:37], v[16:17] op_sel:[0,0,1] op_sel_hi:[1,0,0]
	v_mov_b32_e32 v19, v3
	v_pk_add_f32 v[2:3], v[14:15], v[18:19]
	v_mov_b32_e32 v14, v35
	v_pk_mul_f32 v[14:15], v[4:5], v[14:15] op_sel_hi:[1,0]
	v_pk_fma_f32 v[16:17], v[4:5], v[34:35], v[14:15] op_sel:[0,0,1] op_sel_hi:[1,1,0] neg_lo:[0,0,1] neg_hi:[0,0,1]
	v_pk_fma_f32 v[4:5], v[4:5], v[34:35], v[14:15] op_sel:[0,0,1] op_sel_hi:[1,0,0]
	v_mov_b32_e32 v4, v33
	v_mov_b32_e32 v17, v5
	s_waitcnt lgkmcnt(1)
	v_pk_mul_f32 v[4:5], v[6:7], v[4:5] op_sel_hi:[1,0]
	v_pk_fma_f32 v[14:15], v[6:7], v[32:33], v[4:5] op_sel:[0,0,1] op_sel_hi:[1,1,0] neg_lo:[0,0,1] neg_hi:[0,0,1]
	v_pk_fma_f32 v[4:5], v[6:7], v[32:33], v[4:5] op_sel:[0,0,1] op_sel_hi:[1,0,0]
	s_waitcnt vmcnt(1)
	v_mov_b32_e32 v4, v43
	v_mov_b32_e32 v15, v5
	v_pk_mul_f32 v[4:5], v[8:9], v[4:5] op_sel_hi:[1,0]
	s_waitcnt vmcnt(0)
	v_pk_fma_f32 v[6:7], v[8:9], v[42:43], v[4:5] op_sel:[0,0,1] op_sel_hi:[1,1,0] neg_lo:[0,0,1] neg_hi:[0,0,1]
	v_pk_fma_f32 v[4:5], v[8:9], v[42:43], v[4:5] op_sel:[0,0,1] op_sel_hi:[1,0,0]
	v_pk_add_f32 v[2:3], v[2:3], v[16:17]
	v_mov_b32_e32 v4, v41
	v_pk_add_f32 v[2:3], v[2:3], v[14:15]
	v_mov_b32_e32 v7, v5
	s_waitcnt lgkmcnt(0)
	v_pk_mul_f32 v[4:5], v[10:11], v[4:5] op_sel_hi:[1,0]
	v_pk_add_f32 v[2:3], v[2:3], v[6:7]
	v_pk_fma_f32 v[6:7], v[10:11], v[40:41], v[4:5] op_sel:[0,0,1] op_sel_hi:[1,1,0] neg_lo:[0,0,1] neg_hi:[0,0,1]
	v_pk_fma_f32 v[4:5], v[10:11], v[40:41], v[4:5] op_sel:[0,0,1] op_sel_hi:[1,0,0]
	v_mov_b32_e32 v4, v39
	v_mov_b32_e32 v7, v5
	v_pk_mul_f32 v[4:5], v[12:13], v[4:5] op_sel_hi:[1,0]
	v_pk_add_f32 v[2:3], v[2:3], v[6:7]
	v_pk_fma_f32 v[6:7], v[12:13], v[38:39], v[4:5] op_sel:[0,0,1] op_sel_hi:[1,1,0] neg_lo:[0,0,1] neg_hi:[0,0,1]
	v_pk_fma_f32 v[4:5], v[12:13], v[38:39], v[4:5] op_sel:[0,0,1] op_sel_hi:[1,0,0]
	v_mov_b32_e32 v7, v5
	v_pk_add_f32 v[2:3], v[2:3], v[6:7]
	v_pk_add_f32 v[2:3], v[26:27], v[2:3] neg_lo:[0,1] neg_hi:[0,1]
	buffer_store_dword v3, off, s[0:3], 0 offset:340
	buffer_store_dword v2, off, s[0:3], 0 offset:336
	s_and_saveexec_b64 s[4:5], vcc
	s_cbranch_execz .LBB124_297
; %bb.296:
	buffer_load_dword v2, off, s[0:3], 0 offset:328
	buffer_load_dword v3, off, s[0:3], 0 offset:332
	v_mov_b32_e32 v1, 0
	buffer_store_dword v1, off, s[0:3], 0 offset:328
	buffer_store_dword v1, off, s[0:3], 0 offset:332
	s_waitcnt vmcnt(2)
	ds_write_b64 v199, v[2:3]
.LBB124_297:
	s_or_b64 exec, exec, s[4:5]
	s_waitcnt lgkmcnt(0)
	; wave barrier
	s_waitcnt lgkmcnt(0)
	buffer_load_dword v44, off, s[0:3], 0 offset:340
	buffer_load_dword v46, off, s[0:3], 0 offset:348
	;; [unrolled: 1-line block ×40, first 2 shown]
	v_mov_b32_e32 v1, 0
	ds_read_b128 v[2:5], v1 offset:832
	ds_read_b128 v[6:9], v1 offset:848
	;; [unrolled: 1-line block ×6, first 2 shown]
	v_cmp_lt_u32_e32 vcc, 40, v0
	s_waitcnt vmcnt(39) lgkmcnt(5)
	v_mul_f32_e32 v68, v2, v44
	s_waitcnt vmcnt(38)
	v_mul_f32_e32 v69, v4, v46
	s_waitcnt vmcnt(37) lgkmcnt(4)
	v_mul_f32_e32 v70, v6, v48
	v_mul_f32_e32 v44, v3, v44
	;; [unrolled: 1-line block ×4, first 2 shown]
	s_waitcnt vmcnt(36)
	v_mul_f32_e32 v71, v8, v49
	s_waitcnt vmcnt(35) lgkmcnt(3)
	v_mul_f32_e32 v72, v10, v50
	s_waitcnt vmcnt(34)
	v_mul_f32_e32 v73, v12, v51
	s_waitcnt vmcnt(33) lgkmcnt(2)
	v_mul_f32_e32 v74, v14, v52
	s_waitcnt vmcnt(32)
	v_mul_f32_e32 v75, v16, v53
	s_waitcnt vmcnt(28)
	v_fmac_f32_e32 v68, v3, v57
	s_waitcnt vmcnt(27)
	v_fmac_f32_e32 v69, v5, v58
	v_fma_f32 v2, v2, v57, -v44
	v_fma_f32 v3, v4, v58, -v46
	s_waitcnt vmcnt(26)
	v_fma_f32 v4, v6, v59, -v48
	v_add_f32_e32 v6, 0, v68
	v_fmac_f32_e32 v70, v7, v59
	v_add_f32_e32 v2, 0, v2
	v_add_f32_e32 v6, v6, v69
	s_waitcnt vmcnt(25)
	v_fmac_f32_e32 v71, v9, v60
	v_add_f32_e32 v2, v2, v3
	v_add_f32_e32 v3, v6, v70
	s_waitcnt vmcnt(24)
	v_fmac_f32_e32 v72, v11, v61
	v_add_f32_e32 v3, v3, v71
	s_waitcnt vmcnt(23)
	v_fmac_f32_e32 v73, v13, v62
	;; [unrolled: 3-line block ×3, first 2 shown]
	v_add_f32_e32 v3, v3, v73
	s_waitcnt lgkmcnt(1)
	v_mul_f32_e32 v76, v18, v54
	s_waitcnt vmcnt(21)
	v_fmac_f32_e32 v75, v17, v64
	v_add_f32_e32 v3, v3, v74
	v_mul_f32_e32 v49, v9, v49
	s_waitcnt vmcnt(20)
	v_fmac_f32_e32 v76, v19, v65
	v_add_f32_e32 v3, v3, v75
	v_fma_f32 v5, v8, v60, -v49
	v_add_f32_e32 v2, v2, v4
	v_add_f32_e32 v49, v3, v76
	v_mul_f32_e32 v3, v11, v50
	v_add_f32_e32 v2, v2, v5
	v_fma_f32 v3, v10, v61, -v3
	v_add_f32_e32 v2, v2, v3
	v_mul_f32_e32 v3, v13, v51
	v_fma_f32 v3, v12, v62, -v3
	v_add_f32_e32 v2, v2, v3
	v_mul_f32_e32 v3, v15, v52
	;; [unrolled: 3-line block ×5, first 2 shown]
	s_waitcnt vmcnt(9)
	v_mov_b32_e32 v18, v35
	v_mul_f32_e32 v45, v20, v55
	v_fma_f32 v44, v20, v66, -v2
	s_waitcnt lgkmcnt(0)
	v_mul_f32_e32 v2, v23, v56
	v_pk_mul_f32 v[18:19], v[24:25], v[18:19] op_sel_hi:[1,0]
	v_mul_f32_e32 v47, v22, v56
	v_fmac_f32_e32 v45, v21, v66
	v_fma_f32 v46, v22, v67, -v2
	ds_read_b128 v[2:5], v1 offset:928
	ds_read_b128 v[6:9], v1 offset:944
	;; [unrolled: 1-line block ×3, first 2 shown]
	ds_read_b64 v[14:15], v1 offset:976
	s_waitcnt vmcnt(8)
	v_pk_fma_f32 v[20:21], v[24:25], v[34:35], v[18:19] op_sel:[0,0,1] op_sel_hi:[1,1,0] neg_lo:[0,0,1] neg_hi:[0,0,1]
	v_pk_fma_f32 v[18:19], v[24:25], v[34:35], v[18:19] op_sel:[0,0,1] op_sel_hi:[1,0,0]
	v_fmac_f32_e32 v47, v23, v67
	v_pk_add_f32 v[16:17], v[48:49], v[44:45]
	v_mov_b32_e32 v18, v33
	v_pk_add_f32 v[16:17], v[16:17], v[46:47]
	v_mov_b32_e32 v21, v19
	s_waitcnt lgkmcnt(3)
	v_pk_mul_f32 v[18:19], v[2:3], v[18:19] op_sel_hi:[1,0]
	v_pk_add_f32 v[16:17], v[16:17], v[20:21]
	v_pk_fma_f32 v[20:21], v[2:3], v[32:33], v[18:19] op_sel:[0,0,1] op_sel_hi:[1,1,0] neg_lo:[0,0,1] neg_hi:[0,0,1]
	v_pk_fma_f32 v[2:3], v[2:3], v[32:33], v[18:19] op_sel:[0,0,1] op_sel_hi:[1,0,0]
	v_mov_b32_e32 v21, v3
	v_pk_add_f32 v[2:3], v[16:17], v[20:21]
	v_mov_b32_e32 v16, v31
	v_pk_mul_f32 v[16:17], v[4:5], v[16:17] op_sel_hi:[1,0]
	v_pk_fma_f32 v[18:19], v[4:5], v[30:31], v[16:17] op_sel:[0,0,1] op_sel_hi:[1,1,0] neg_lo:[0,0,1] neg_hi:[0,0,1]
	v_pk_fma_f32 v[4:5], v[4:5], v[30:31], v[16:17] op_sel:[0,0,1] op_sel_hi:[1,0,0]
	v_mov_b32_e32 v4, v29
	v_mov_b32_e32 v19, v5
	s_waitcnt lgkmcnt(2)
	v_pk_mul_f32 v[4:5], v[6:7], v[4:5] op_sel_hi:[1,0]
	v_pk_fma_f32 v[16:17], v[6:7], v[28:29], v[4:5] op_sel:[0,0,1] op_sel_hi:[1,1,0] neg_lo:[0,0,1] neg_hi:[0,0,1]
	v_pk_fma_f32 v[4:5], v[6:7], v[28:29], v[4:5] op_sel:[0,0,1] op_sel_hi:[1,0,0]
	s_waitcnt vmcnt(1)
	v_mov_b32_e32 v4, v43
	v_mov_b32_e32 v17, v5
	v_pk_mul_f32 v[4:5], v[8:9], v[4:5] op_sel_hi:[1,0]
	s_waitcnt vmcnt(0)
	v_pk_fma_f32 v[6:7], v[8:9], v[42:43], v[4:5] op_sel:[0,0,1] op_sel_hi:[1,1,0] neg_lo:[0,0,1] neg_hi:[0,0,1]
	v_pk_fma_f32 v[4:5], v[8:9], v[42:43], v[4:5] op_sel:[0,0,1] op_sel_hi:[1,0,0]
	v_pk_add_f32 v[2:3], v[2:3], v[18:19]
	v_mov_b32_e32 v4, v41
	v_pk_add_f32 v[2:3], v[2:3], v[16:17]
	v_mov_b32_e32 v7, v5
	s_waitcnt lgkmcnt(1)
	v_pk_mul_f32 v[4:5], v[10:11], v[4:5] op_sel_hi:[1,0]
	v_pk_add_f32 v[2:3], v[2:3], v[6:7]
	v_pk_fma_f32 v[6:7], v[10:11], v[40:41], v[4:5] op_sel:[0,0,1] op_sel_hi:[1,1,0] neg_lo:[0,0,1] neg_hi:[0,0,1]
	v_pk_fma_f32 v[4:5], v[10:11], v[40:41], v[4:5] op_sel:[0,0,1] op_sel_hi:[1,0,0]
	v_mov_b32_e32 v4, v39
	v_mov_b32_e32 v7, v5
	v_pk_mul_f32 v[4:5], v[12:13], v[4:5] op_sel_hi:[1,0]
	v_pk_add_f32 v[2:3], v[2:3], v[6:7]
	v_pk_fma_f32 v[6:7], v[12:13], v[38:39], v[4:5] op_sel:[0,0,1] op_sel_hi:[1,1,0] neg_lo:[0,0,1] neg_hi:[0,0,1]
	v_pk_fma_f32 v[4:5], v[12:13], v[38:39], v[4:5] op_sel:[0,0,1] op_sel_hi:[1,0,0]
	v_mov_b32_e32 v4, v37
	v_mov_b32_e32 v7, v5
	s_waitcnt lgkmcnt(0)
	v_pk_mul_f32 v[4:5], v[14:15], v[4:5] op_sel_hi:[1,0]
	v_pk_add_f32 v[2:3], v[2:3], v[6:7]
	v_pk_fma_f32 v[6:7], v[14:15], v[36:37], v[4:5] op_sel:[0,0,1] op_sel_hi:[1,1,0] neg_lo:[0,0,1] neg_hi:[0,0,1]
	v_pk_fma_f32 v[4:5], v[14:15], v[36:37], v[4:5] op_sel:[0,0,1] op_sel_hi:[1,0,0]
	v_mov_b32_e32 v7, v5
	v_pk_add_f32 v[2:3], v[2:3], v[6:7]
	v_pk_add_f32 v[2:3], v[26:27], v[2:3] neg_lo:[0,1] neg_hi:[0,1]
	buffer_store_dword v3, off, s[0:3], 0 offset:332
	buffer_store_dword v2, off, s[0:3], 0 offset:328
	s_and_saveexec_b64 s[4:5], vcc
	s_cbranch_execz .LBB124_299
; %bb.298:
	buffer_load_dword v2, off, s[0:3], 0 offset:320
	buffer_load_dword v3, off, s[0:3], 0 offset:324
	s_waitcnt vmcnt(0)
	ds_write_b64 v199, v[2:3]
	buffer_store_dword v1, off, s[0:3], 0 offset:320
	buffer_store_dword v1, off, s[0:3], 0 offset:324
.LBB124_299:
	s_or_b64 exec, exec, s[4:5]
	s_waitcnt lgkmcnt(0)
	; wave barrier
	s_waitcnt lgkmcnt(0)
	buffer_load_dword v44, off, s[0:3], 0 offset:332
	buffer_load_dword v46, off, s[0:3], 0 offset:340
	;; [unrolled: 1-line block ×26, first 2 shown]
	ds_read2_b64 v[2:5], v1 offset0:103 offset1:104
	ds_read2_b64 v[6:9], v1 offset0:105 offset1:106
	;; [unrolled: 1-line block ×6, first 2 shown]
	buffer_load_dword v29, off, s[0:3], 0 offset:444
	buffer_load_dword v28, off, s[0:3], 0 offset:440
	;; [unrolled: 1-line block ×16, first 2 shown]
	v_cmp_lt_u32_e32 vcc, 39, v0
	s_waitcnt vmcnt(41) lgkmcnt(5)
	v_mul_f32_e32 v70, v2, v44
	s_waitcnt vmcnt(40)
	v_mul_f32_e32 v71, v4, v46
	v_mul_f32_e32 v44, v3, v44
	s_waitcnt vmcnt(39) lgkmcnt(4)
	v_mul_f32_e32 v72, v6, v48
	v_mul_f32_e32 v46, v5, v46
	s_waitcnt vmcnt(38)
	v_mul_f32_e32 v73, v8, v50
	s_waitcnt vmcnt(37) lgkmcnt(3)
	v_mul_f32_e32 v74, v10, v51
	s_waitcnt vmcnt(36)
	v_mul_f32_e32 v75, v12, v52
	s_waitcnt vmcnt(35) lgkmcnt(2)
	;; [unrolled: 4-line block ×3, first 2 shown]
	v_mul_f32_e32 v78, v18, v55
	s_waitcnt vmcnt(32)
	v_mul_f32_e32 v79, v20, v56
	s_waitcnt vmcnt(29)
	v_fmac_f32_e32 v70, v3, v49
	s_waitcnt vmcnt(28)
	v_fmac_f32_e32 v71, v5, v59
	v_fma_f32 v2, v2, v49, -v44
	v_add_f32_e32 v5, 0, v70
	s_waitcnt vmcnt(27)
	v_fmac_f32_e32 v72, v7, v60
	v_fma_f32 v3, v4, v59, -v46
	v_add_f32_e32 v2, 0, v2
	v_add_f32_e32 v5, v5, v71
	s_waitcnt vmcnt(26)
	v_fmac_f32_e32 v73, v9, v61
	v_add_f32_e32 v2, v2, v3
	v_add_f32_e32 v3, v5, v72
	s_waitcnt vmcnt(25)
	v_fmac_f32_e32 v74, v11, v62
	v_add_f32_e32 v3, v3, v73
	s_waitcnt vmcnt(24)
	v_fmac_f32_e32 v75, v13, v63
	;; [unrolled: 3-line block ×5, first 2 shown]
	v_add_f32_e32 v3, v3, v77
	v_mul_f32_e32 v48, v7, v48
	s_waitcnt vmcnt(20)
	v_fmac_f32_e32 v79, v21, v67
	v_add_f32_e32 v3, v3, v78
	v_fma_f32 v4, v6, v60, -v48
	v_add_f32_e32 v49, v3, v79
	v_mul_f32_e32 v3, v9, v50
	v_add_f32_e32 v2, v2, v4
	v_fma_f32 v3, v8, v61, -v3
	v_add_f32_e32 v2, v2, v3
	v_mul_f32_e32 v3, v11, v51
	v_fma_f32 v3, v10, v62, -v3
	v_add_f32_e32 v2, v2, v3
	v_mul_f32_e32 v3, v13, v52
	;; [unrolled: 3-line block ×6, first 2 shown]
	v_fma_f32 v3, v20, v67, -v3
	v_add_f32_e32 v48, v2, v3
	s_waitcnt lgkmcnt(0)
	v_mul_f32_e32 v2, v23, v57
	s_waitcnt vmcnt(19)
	v_fma_f32 v44, v22, v68, -v2
	v_mul_f32_e32 v2, v25, v58
	s_waitcnt vmcnt(18)
	v_fma_f32 v46, v24, v69, -v2
	ds_read2_b64 v[2:5], v1 offset0:115 offset1:116
	ds_read2_b64 v[6:9], v1 offset0:117 offset1:118
	;; [unrolled: 1-line block ×4, first 2 shown]
	v_mul_f32_e32 v45, v22, v57
	s_waitcnt vmcnt(11)
	v_mov_b32_e32 v20, v33
	v_mul_f32_e32 v47, v24, v58
	v_fmac_f32_e32 v45, v23, v68
	s_waitcnt lgkmcnt(3)
	v_pk_mul_f32 v[20:21], v[2:3], v[20:21] op_sel_hi:[1,0]
	v_fmac_f32_e32 v47, v25, v69
	v_pk_add_f32 v[18:19], v[48:49], v[44:45]
	s_waitcnt vmcnt(10)
	v_pk_fma_f32 v[22:23], v[2:3], v[32:33], v[20:21] op_sel:[0,0,1] op_sel_hi:[1,1,0] neg_lo:[0,0,1] neg_hi:[0,0,1]
	v_pk_fma_f32 v[2:3], v[2:3], v[32:33], v[20:21] op_sel:[0,0,1] op_sel_hi:[1,0,0]
	v_pk_add_f32 v[18:19], v[18:19], v[46:47]
	v_mov_b32_e32 v23, v3
	v_pk_add_f32 v[2:3], v[18:19], v[22:23]
	v_mov_b32_e32 v18, v31
	v_pk_mul_f32 v[18:19], v[4:5], v[18:19] op_sel_hi:[1,0]
	v_pk_fma_f32 v[20:21], v[4:5], v[30:31], v[18:19] op_sel:[0,0,1] op_sel_hi:[1,1,0] neg_lo:[0,0,1] neg_hi:[0,0,1]
	v_pk_fma_f32 v[4:5], v[4:5], v[30:31], v[18:19] op_sel:[0,0,1] op_sel_hi:[1,0,0]
	v_mov_b32_e32 v4, v29
	v_mov_b32_e32 v21, v5
	s_waitcnt lgkmcnt(2)
	v_pk_mul_f32 v[4:5], v[6:7], v[4:5] op_sel_hi:[1,0]
	v_pk_fma_f32 v[18:19], v[6:7], v[28:29], v[4:5] op_sel:[0,0,1] op_sel_hi:[1,1,0] neg_lo:[0,0,1] neg_hi:[0,0,1]
	v_pk_fma_f32 v[4:5], v[6:7], v[28:29], v[4:5] op_sel:[0,0,1] op_sel_hi:[1,0,0]
	s_waitcnt vmcnt(3)
	v_mov_b32_e32 v4, v41
	v_mov_b32_e32 v19, v5
	v_pk_mul_f32 v[4:5], v[8:9], v[4:5] op_sel_hi:[1,0]
	s_waitcnt vmcnt(2)
	v_pk_fma_f32 v[6:7], v[8:9], v[40:41], v[4:5] op_sel:[0,0,1] op_sel_hi:[1,1,0] neg_lo:[0,0,1] neg_hi:[0,0,1]
	v_pk_fma_f32 v[4:5], v[8:9], v[40:41], v[4:5] op_sel:[0,0,1] op_sel_hi:[1,0,0]
	v_pk_add_f32 v[2:3], v[2:3], v[20:21]
	v_mov_b32_e32 v4, v39
	v_pk_add_f32 v[2:3], v[2:3], v[18:19]
	v_mov_b32_e32 v7, v5
	s_waitcnt lgkmcnt(1)
	v_pk_mul_f32 v[4:5], v[10:11], v[4:5] op_sel_hi:[1,0]
	v_pk_add_f32 v[2:3], v[2:3], v[6:7]
	v_pk_fma_f32 v[6:7], v[10:11], v[38:39], v[4:5] op_sel:[0,0,1] op_sel_hi:[1,1,0] neg_lo:[0,0,1] neg_hi:[0,0,1]
	v_pk_fma_f32 v[4:5], v[10:11], v[38:39], v[4:5] op_sel:[0,0,1] op_sel_hi:[1,0,0]
	v_mov_b32_e32 v4, v37
	v_mov_b32_e32 v7, v5
	v_pk_mul_f32 v[4:5], v[12:13], v[4:5] op_sel_hi:[1,0]
	v_pk_add_f32 v[2:3], v[2:3], v[6:7]
	v_pk_fma_f32 v[6:7], v[12:13], v[36:37], v[4:5] op_sel:[0,0,1] op_sel_hi:[1,1,0] neg_lo:[0,0,1] neg_hi:[0,0,1]
	v_pk_fma_f32 v[4:5], v[12:13], v[36:37], v[4:5] op_sel:[0,0,1] op_sel_hi:[1,0,0]
	v_mov_b32_e32 v4, v35
	v_mov_b32_e32 v7, v5
	s_waitcnt lgkmcnt(0)
	v_pk_mul_f32 v[4:5], v[14:15], v[4:5] op_sel_hi:[1,0]
	v_pk_add_f32 v[2:3], v[2:3], v[6:7]
	v_pk_fma_f32 v[6:7], v[14:15], v[34:35], v[4:5] op_sel:[0,0,1] op_sel_hi:[1,1,0] neg_lo:[0,0,1] neg_hi:[0,0,1]
	v_pk_fma_f32 v[4:5], v[14:15], v[34:35], v[4:5] op_sel:[0,0,1] op_sel_hi:[1,0,0]
	s_waitcnt vmcnt(1)
	v_mov_b32_e32 v4, v43
	v_mov_b32_e32 v7, v5
	v_pk_mul_f32 v[4:5], v[16:17], v[4:5] op_sel_hi:[1,0]
	v_pk_add_f32 v[2:3], v[2:3], v[6:7]
	s_waitcnt vmcnt(0)
	v_pk_fma_f32 v[6:7], v[16:17], v[42:43], v[4:5] op_sel:[0,0,1] op_sel_hi:[1,1,0] neg_lo:[0,0,1] neg_hi:[0,0,1]
	v_pk_fma_f32 v[4:5], v[16:17], v[42:43], v[4:5] op_sel:[0,0,1] op_sel_hi:[1,0,0]
	v_mov_b32_e32 v7, v5
	v_pk_add_f32 v[2:3], v[2:3], v[6:7]
	v_pk_add_f32 v[2:3], v[26:27], v[2:3] neg_lo:[0,1] neg_hi:[0,1]
	buffer_store_dword v3, off, s[0:3], 0 offset:324
	buffer_store_dword v2, off, s[0:3], 0 offset:320
	s_and_saveexec_b64 s[4:5], vcc
	s_cbranch_execz .LBB124_301
; %bb.300:
	buffer_load_dword v2, off, s[0:3], 0 offset:312
	buffer_load_dword v3, off, s[0:3], 0 offset:316
	v_mov_b32_e32 v1, 0
	buffer_store_dword v1, off, s[0:3], 0 offset:312
	buffer_store_dword v1, off, s[0:3], 0 offset:316
	s_waitcnt vmcnt(2)
	ds_write_b64 v199, v[2:3]
.LBB124_301:
	s_or_b64 exec, exec, s[4:5]
	s_waitcnt lgkmcnt(0)
	; wave barrier
	s_waitcnt lgkmcnt(0)
	buffer_load_dword v52, off, s[0:3], 0 offset:324
	buffer_load_dword v54, off, s[0:3], 0 offset:332
	;; [unrolled: 1-line block ×44, first 2 shown]
	v_mov_b32_e32 v1, 0
	ds_read_b128 v[2:5], v1 offset:816
	ds_read_b128 v[6:9], v1 offset:832
	;; [unrolled: 1-line block ×8, first 2 shown]
	v_cmp_lt_u32_e32 vcc, 38, v0
	s_waitcnt vmcnt(43) lgkmcnt(7)
	v_mul_f32_e32 v57, v2, v52
	s_waitcnt vmcnt(42)
	v_mul_f32_e32 v81, v4, v54
	s_waitcnt vmcnt(41) lgkmcnt(6)
	v_mul_f32_e32 v82, v6, v56
	v_mul_f32_e32 v52, v3, v52
	s_waitcnt vmcnt(40)
	v_mul_f32_e32 v83, v8, v58
	s_waitcnt vmcnt(39) lgkmcnt(5)
	v_mul_f32_e32 v84, v10, v59
	s_waitcnt vmcnt(38)
	v_mul_f32_e32 v85, v12, v60
	s_waitcnt vmcnt(37) lgkmcnt(4)
	;; [unrolled: 4-line block ×4, first 2 shown]
	v_mul_f32_e32 v90, v22, v65
	s_waitcnt vmcnt(32)
	v_mul_f32_e32 v53, v24, v66
	s_waitcnt vmcnt(30)
	v_fmac_f32_e32 v57, v3, v68
	s_waitcnt vmcnt(29)
	v_fmac_f32_e32 v81, v5, v69
	v_add_f32_e32 v3, 0, v57
	s_waitcnt vmcnt(28)
	v_fmac_f32_e32 v82, v7, v70
	v_add_f32_e32 v3, v3, v81
	;; [unrolled: 3-line block ×10, first 2 shown]
	v_add_f32_e32 v57, v3, v90
	v_fma_f32 v2, v2, v68, -v52
	v_mul_f32_e32 v3, v5, v54
	v_add_f32_e32 v2, 0, v2
	v_fma_f32 v3, v4, v69, -v3
	v_add_f32_e32 v2, v2, v3
	v_mul_f32_e32 v3, v7, v56
	v_fma_f32 v3, v6, v70, -v3
	v_add_f32_e32 v2, v2, v3
	v_mul_f32_e32 v3, v9, v58
	v_fma_f32 v3, v8, v71, -v3
	v_add_f32_e32 v2, v2, v3
	v_mul_f32_e32 v3, v11, v59
	v_fma_f32 v3, v10, v72, -v3
	v_add_f32_e32 v2, v2, v3
	v_mul_f32_e32 v3, v13, v60
	v_fma_f32 v3, v12, v73, -v3
	v_add_f32_e32 v2, v2, v3
	v_mul_f32_e32 v3, v15, v61
	v_fma_f32 v3, v14, v74, -v3
	v_add_f32_e32 v2, v2, v3
	v_mul_f32_e32 v3, v17, v62
	v_fma_f32 v3, v16, v75, -v3
	v_add_f32_e32 v2, v2, v3
	v_mul_f32_e32 v3, v19, v63
	v_fma_f32 v3, v18, v76, -v3
	v_add_f32_e32 v2, v2, v3
	v_mul_f32_e32 v3, v21, v64
	v_fma_f32 v3, v20, v77, -v3
	v_add_f32_e32 v2, v2, v3
	v_mul_f32_e32 v3, v23, v65
	v_fma_f32 v3, v22, v78, -v3
	s_waitcnt vmcnt(13)
	v_mov_b32_e32 v14, v39
	v_add_f32_e32 v56, v2, v3
	v_mul_f32_e32 v2, v25, v66
	s_waitcnt lgkmcnt(1)
	v_pk_mul_f32 v[14:15], v[28:29], v[14:15] op_sel_hi:[1,0]
	v_mul_f32_e32 v55, v26, v67
	v_fmac_f32_e32 v53, v25, v79
	v_fma_f32 v52, v24, v79, -v2
	v_mul_f32_e32 v2, v27, v67
	s_waitcnt vmcnt(12)
	v_pk_fma_f32 v[16:17], v[28:29], v[38:39], v[14:15] op_sel:[0,0,1] op_sel_hi:[1,1,0] neg_lo:[0,0,1] neg_hi:[0,0,1]
	v_pk_fma_f32 v[14:15], v[28:29], v[38:39], v[14:15] op_sel:[0,0,1] op_sel_hi:[1,0,0]
	v_fmac_f32_e32 v55, v27, v80
	v_fma_f32 v54, v26, v80, -v2
	v_pk_add_f32 v[12:13], v[56:57], v[52:53]
	v_mov_b32_e32 v14, v37
	v_pk_add_f32 v[12:13], v[12:13], v[54:55]
	v_mov_b32_e32 v17, v15
	s_waitcnt lgkmcnt(0)
	v_pk_mul_f32 v[14:15], v[30:31], v[14:15] op_sel_hi:[1,0]
	v_pk_add_f32 v[12:13], v[12:13], v[16:17]
	v_pk_fma_f32 v[16:17], v[30:31], v[36:37], v[14:15] op_sel:[0,0,1] op_sel_hi:[1,1,0] neg_lo:[0,0,1] neg_hi:[0,0,1]
	v_pk_fma_f32 v[14:15], v[30:31], v[36:37], v[14:15] op_sel:[0,0,1] op_sel_hi:[1,0,0]
	s_waitcnt vmcnt(5)
	v_mov_b32_e32 v14, v47
	ds_read_b128 v[2:5], v1 offset:944
	ds_read_b128 v[6:9], v1 offset:960
	ds_read_b64 v[10:11], v1 offset:976
	v_mov_b32_e32 v17, v15
	v_pk_mul_f32 v[14:15], v[32:33], v[14:15] op_sel_hi:[1,0]
	v_pk_add_f32 v[12:13], v[12:13], v[16:17]
	s_waitcnt vmcnt(4)
	v_pk_fma_f32 v[16:17], v[32:33], v[46:47], v[14:15] op_sel:[0,0,1] op_sel_hi:[1,1,0] neg_lo:[0,0,1] neg_hi:[0,0,1]
	v_pk_fma_f32 v[14:15], v[32:33], v[46:47], v[14:15] op_sel:[0,0,1] op_sel_hi:[1,0,0]
	v_mov_b32_e32 v14, v45
	v_mov_b32_e32 v17, v15
	s_waitcnt lgkmcnt(2)
	v_pk_mul_f32 v[14:15], v[2:3], v[14:15] op_sel_hi:[1,0]
	v_pk_add_f32 v[12:13], v[12:13], v[16:17]
	v_pk_fma_f32 v[16:17], v[2:3], v[44:45], v[14:15] op_sel:[0,0,1] op_sel_hi:[1,1,0] neg_lo:[0,0,1] neg_hi:[0,0,1]
	v_pk_fma_f32 v[2:3], v[2:3], v[44:45], v[14:15] op_sel:[0,0,1] op_sel_hi:[1,0,0]
	v_mov_b32_e32 v17, v3
	v_pk_add_f32 v[2:3], v[12:13], v[16:17]
	v_mov_b32_e32 v12, v43
	v_pk_mul_f32 v[12:13], v[4:5], v[12:13] op_sel_hi:[1,0]
	v_pk_fma_f32 v[14:15], v[4:5], v[42:43], v[12:13] op_sel:[0,0,1] op_sel_hi:[1,1,0] neg_lo:[0,0,1] neg_hi:[0,0,1]
	v_pk_fma_f32 v[4:5], v[4:5], v[42:43], v[12:13] op_sel:[0,0,1] op_sel_hi:[1,0,0]
	v_mov_b32_e32 v4, v41
	v_mov_b32_e32 v15, v5
	s_waitcnt lgkmcnt(1)
	v_pk_mul_f32 v[4:5], v[6:7], v[4:5] op_sel_hi:[1,0]
	v_pk_fma_f32 v[12:13], v[6:7], v[40:41], v[4:5] op_sel:[0,0,1] op_sel_hi:[1,1,0] neg_lo:[0,0,1] neg_hi:[0,0,1]
	v_pk_fma_f32 v[4:5], v[6:7], v[40:41], v[4:5] op_sel:[0,0,1] op_sel_hi:[1,0,0]
	s_waitcnt vmcnt(1)
	v_mov_b32_e32 v4, v51
	v_mov_b32_e32 v13, v5
	v_pk_mul_f32 v[4:5], v[8:9], v[4:5] op_sel_hi:[1,0]
	s_waitcnt vmcnt(0)
	v_pk_fma_f32 v[6:7], v[8:9], v[50:51], v[4:5] op_sel:[0,0,1] op_sel_hi:[1,1,0] neg_lo:[0,0,1] neg_hi:[0,0,1]
	v_pk_fma_f32 v[4:5], v[8:9], v[50:51], v[4:5] op_sel:[0,0,1] op_sel_hi:[1,0,0]
	v_pk_add_f32 v[2:3], v[2:3], v[14:15]
	v_mov_b32_e32 v4, v49
	v_pk_add_f32 v[2:3], v[2:3], v[12:13]
	v_mov_b32_e32 v7, v5
	s_waitcnt lgkmcnt(0)
	v_pk_mul_f32 v[4:5], v[10:11], v[4:5] op_sel_hi:[1,0]
	v_pk_add_f32 v[2:3], v[2:3], v[6:7]
	v_pk_fma_f32 v[6:7], v[10:11], v[48:49], v[4:5] op_sel:[0,0,1] op_sel_hi:[1,1,0] neg_lo:[0,0,1] neg_hi:[0,0,1]
	v_pk_fma_f32 v[4:5], v[10:11], v[48:49], v[4:5] op_sel:[0,0,1] op_sel_hi:[1,0,0]
	v_mov_b32_e32 v7, v5
	v_pk_add_f32 v[2:3], v[2:3], v[6:7]
	v_pk_add_f32 v[2:3], v[34:35], v[2:3] neg_lo:[0,1] neg_hi:[0,1]
	buffer_store_dword v3, off, s[0:3], 0 offset:316
	buffer_store_dword v2, off, s[0:3], 0 offset:312
	s_and_saveexec_b64 s[4:5], vcc
	s_cbranch_execz .LBB124_303
; %bb.302:
	buffer_load_dword v2, off, s[0:3], 0 offset:304
	buffer_load_dword v3, off, s[0:3], 0 offset:308
	s_waitcnt vmcnt(0)
	ds_write_b64 v199, v[2:3]
	buffer_store_dword v1, off, s[0:3], 0 offset:304
	buffer_store_dword v1, off, s[0:3], 0 offset:308
.LBB124_303:
	s_or_b64 exec, exec, s[4:5]
	s_waitcnt lgkmcnt(0)
	; wave barrier
	s_waitcnt lgkmcnt(0)
	buffer_load_dword v52, off, s[0:3], 0 offset:316
	buffer_load_dword v54, off, s[0:3], 0 offset:324
	;; [unrolled: 1-line block ×30, first 2 shown]
	ds_read2_b64 v[2:5], v1 offset0:101 offset1:102
	ds_read2_b64 v[6:9], v1 offset0:103 offset1:104
	;; [unrolled: 1-line block ×6, first 2 shown]
	buffer_load_dword v37, off, s[0:3], 0 offset:428
	buffer_load_dword v36, off, s[0:3], 0 offset:424
	ds_read2_b64 v[26:29], v1 offset0:113 offset1:114
	ds_read2_b64 v[30:33], v1 offset0:115 offset1:116
	buffer_load_dword v39, off, s[0:3], 0 offset:460
	buffer_load_dword v38, off, s[0:3], 0 offset:456
	;; [unrolled: 1-line block ×14, first 2 shown]
	v_cmp_lt_u32_e32 vcc, 37, v0
	s_waitcnt vmcnt(45) lgkmcnt(7)
	v_mul_f32_e32 v55, v2, v52
	s_waitcnt vmcnt(44)
	v_mul_f32_e32 v57, v4, v54
	s_waitcnt vmcnt(43) lgkmcnt(6)
	v_mul_f32_e32 v83, v6, v56
	s_waitcnt vmcnt(42)
	v_mul_f32_e32 v84, v8, v58
	;; [unrolled: 4-line block ×6, first 2 shown]
	s_waitcnt vmcnt(33) lgkmcnt(1)
	v_mul_f32_e32 v53, v26, v67
	s_waitcnt vmcnt(32)
	v_fmac_f32_e32 v55, v3, v68
	v_mul_f32_e32 v3, v3, v52
	v_fma_f32 v2, v2, v68, -v3
	v_mul_f32_e32 v3, v5, v54
	v_add_f32_e32 v2, 0, v2
	s_waitcnt vmcnt(31)
	v_fma_f32 v3, v4, v69, -v3
	v_add_f32_e32 v2, v2, v3
	v_mul_f32_e32 v3, v7, v56
	s_waitcnt vmcnt(30)
	v_fma_f32 v3, v6, v70, -v3
	v_add_f32_e32 v2, v2, v3
	v_mul_f32_e32 v3, v9, v58
	s_waitcnt vmcnt(29)
	v_fma_f32 v3, v8, v71, -v3
	v_add_f32_e32 v2, v2, v3
	v_mul_f32_e32 v3, v11, v59
	s_waitcnt vmcnt(28)
	v_fma_f32 v3, v10, v72, -v3
	v_add_f32_e32 v2, v2, v3
	v_mul_f32_e32 v3, v13, v60
	s_waitcnt vmcnt(27)
	v_fma_f32 v3, v12, v73, -v3
	v_add_f32_e32 v2, v2, v3
	v_mul_f32_e32 v3, v15, v61
	s_waitcnt vmcnt(26)
	v_fma_f32 v3, v14, v74, -v3
	v_fmac_f32_e32 v57, v5, v69
	v_add_f32_e32 v55, 0, v55
	v_add_f32_e32 v2, v2, v3
	v_mul_f32_e32 v3, v17, v62
	v_fmac_f32_e32 v83, v7, v70
	v_add_f32_e32 v55, v55, v57
	s_waitcnt vmcnt(25)
	v_fma_f32 v3, v16, v75, -v3
	v_fmac_f32_e32 v84, v9, v71
	v_add_f32_e32 v55, v55, v83
	v_add_f32_e32 v2, v2, v3
	v_mul_f32_e32 v3, v19, v63
	v_fmac_f32_e32 v85, v11, v72
	v_add_f32_e32 v55, v55, v84
	;; [unrolled: 8-line block ×5, first 2 shown]
	s_waitcnt vmcnt(21)
	v_fma_f32 v3, v24, v79, -v3
	s_waitcnt vmcnt(15)
	v_mov_b32_e32 v16, v37
	v_fmac_f32_e32 v92, v25, v79
	v_add_f32_e32 v55, v55, v91
	v_add_f32_e32 v54, v2, v3
	v_mul_f32_e32 v2, v27, v67
	s_waitcnt lgkmcnt(0)
	v_pk_mul_f32 v[16:17], v[30:31], v[16:17] op_sel_hi:[1,0]
	v_fmac_f32_e32 v53, v27, v80
	v_add_f32_e32 v55, v55, v92
	v_mul_f32_e32 v57, v28, v81
	v_fma_f32 v52, v26, v80, -v2
	v_mul_f32_e32 v2, v29, v81
	s_waitcnt vmcnt(14)
	v_pk_fma_f32 v[18:19], v[30:31], v[36:37], v[16:17] op_sel:[0,0,1] op_sel_hi:[1,1,0] neg_lo:[0,0,1] neg_hi:[0,0,1]
	v_pk_fma_f32 v[16:17], v[30:31], v[36:37], v[16:17] op_sel:[0,0,1] op_sel_hi:[1,0,0]
	v_fmac_f32_e32 v57, v29, v82
	v_fma_f32 v56, v28, v82, -v2
	v_pk_add_f32 v[14:15], v[54:55], v[52:53]
	s_waitcnt vmcnt(7)
	v_mov_b32_e32 v16, v45
	ds_read2_b64 v[2:5], v1 offset0:117 offset1:118
	ds_read2_b64 v[6:9], v1 offset0:119 offset1:120
	;; [unrolled: 1-line block ×3, first 2 shown]
	v_pk_add_f32 v[14:15], v[14:15], v[56:57]
	v_mov_b32_e32 v19, v17
	v_pk_mul_f32 v[16:17], v[32:33], v[16:17] op_sel_hi:[1,0]
	v_pk_add_f32 v[14:15], v[14:15], v[18:19]
	s_waitcnt vmcnt(6)
	v_pk_fma_f32 v[18:19], v[32:33], v[44:45], v[16:17] op_sel:[0,0,1] op_sel_hi:[1,1,0] neg_lo:[0,0,1] neg_hi:[0,0,1]
	v_pk_fma_f32 v[16:17], v[32:33], v[44:45], v[16:17] op_sel:[0,0,1] op_sel_hi:[1,0,0]
	v_mov_b32_e32 v16, v43
	v_mov_b32_e32 v19, v17
	s_waitcnt lgkmcnt(2)
	v_pk_mul_f32 v[16:17], v[2:3], v[16:17] op_sel_hi:[1,0]
	v_pk_add_f32 v[14:15], v[14:15], v[18:19]
	v_pk_fma_f32 v[18:19], v[2:3], v[42:43], v[16:17] op_sel:[0,0,1] op_sel_hi:[1,1,0] neg_lo:[0,0,1] neg_hi:[0,0,1]
	v_pk_fma_f32 v[2:3], v[2:3], v[42:43], v[16:17] op_sel:[0,0,1] op_sel_hi:[1,0,0]
	v_mov_b32_e32 v19, v3
	v_pk_add_f32 v[2:3], v[14:15], v[18:19]
	v_mov_b32_e32 v14, v41
	v_pk_mul_f32 v[14:15], v[4:5], v[14:15] op_sel_hi:[1,0]
	v_pk_fma_f32 v[16:17], v[4:5], v[40:41], v[14:15] op_sel:[0,0,1] op_sel_hi:[1,1,0] neg_lo:[0,0,1] neg_hi:[0,0,1]
	v_pk_fma_f32 v[4:5], v[4:5], v[40:41], v[14:15] op_sel:[0,0,1] op_sel_hi:[1,0,0]
	v_mov_b32_e32 v4, v39
	v_mov_b32_e32 v17, v5
	s_waitcnt lgkmcnt(1)
	v_pk_mul_f32 v[4:5], v[6:7], v[4:5] op_sel_hi:[1,0]
	v_pk_fma_f32 v[14:15], v[6:7], v[38:39], v[4:5] op_sel:[0,0,1] op_sel_hi:[1,1,0] neg_lo:[0,0,1] neg_hi:[0,0,1]
	v_pk_fma_f32 v[4:5], v[6:7], v[38:39], v[4:5] op_sel:[0,0,1] op_sel_hi:[1,0,0]
	s_waitcnt vmcnt(1)
	v_mov_b32_e32 v4, v51
	v_mov_b32_e32 v15, v5
	v_pk_mul_f32 v[4:5], v[8:9], v[4:5] op_sel_hi:[1,0]
	s_waitcnt vmcnt(0)
	v_pk_fma_f32 v[6:7], v[8:9], v[50:51], v[4:5] op_sel:[0,0,1] op_sel_hi:[1,1,0] neg_lo:[0,0,1] neg_hi:[0,0,1]
	v_pk_fma_f32 v[4:5], v[8:9], v[50:51], v[4:5] op_sel:[0,0,1] op_sel_hi:[1,0,0]
	v_pk_add_f32 v[2:3], v[2:3], v[16:17]
	v_mov_b32_e32 v4, v49
	v_pk_add_f32 v[2:3], v[2:3], v[14:15]
	v_mov_b32_e32 v7, v5
	s_waitcnt lgkmcnt(0)
	v_pk_mul_f32 v[4:5], v[10:11], v[4:5] op_sel_hi:[1,0]
	v_pk_add_f32 v[2:3], v[2:3], v[6:7]
	v_pk_fma_f32 v[6:7], v[10:11], v[48:49], v[4:5] op_sel:[0,0,1] op_sel_hi:[1,1,0] neg_lo:[0,0,1] neg_hi:[0,0,1]
	v_pk_fma_f32 v[4:5], v[10:11], v[48:49], v[4:5] op_sel:[0,0,1] op_sel_hi:[1,0,0]
	v_mov_b32_e32 v4, v47
	v_mov_b32_e32 v7, v5
	v_pk_mul_f32 v[4:5], v[12:13], v[4:5] op_sel_hi:[1,0]
	v_pk_add_f32 v[2:3], v[2:3], v[6:7]
	v_pk_fma_f32 v[6:7], v[12:13], v[46:47], v[4:5] op_sel:[0,0,1] op_sel_hi:[1,1,0] neg_lo:[0,0,1] neg_hi:[0,0,1]
	v_pk_fma_f32 v[4:5], v[12:13], v[46:47], v[4:5] op_sel:[0,0,1] op_sel_hi:[1,0,0]
	v_mov_b32_e32 v7, v5
	v_pk_add_f32 v[2:3], v[2:3], v[6:7]
	v_pk_add_f32 v[2:3], v[34:35], v[2:3] neg_lo:[0,1] neg_hi:[0,1]
	buffer_store_dword v3, off, s[0:3], 0 offset:308
	buffer_store_dword v2, off, s[0:3], 0 offset:304
	s_and_saveexec_b64 s[4:5], vcc
	s_cbranch_execz .LBB124_305
; %bb.304:
	buffer_load_dword v2, off, s[0:3], 0 offset:296
	buffer_load_dword v3, off, s[0:3], 0 offset:300
	v_mov_b32_e32 v1, 0
	buffer_store_dword v1, off, s[0:3], 0 offset:296
	buffer_store_dword v1, off, s[0:3], 0 offset:300
	s_waitcnt vmcnt(2)
	ds_write_b64 v199, v[2:3]
.LBB124_305:
	s_or_b64 exec, exec, s[4:5]
	s_waitcnt lgkmcnt(0)
	; wave barrier
	s_waitcnt lgkmcnt(0)
	buffer_load_dword v50, off, s[0:3], 0 offset:308
	buffer_load_dword v54, off, s[0:3], 0 offset:316
	;; [unrolled: 1-line block ×32, first 2 shown]
	v_mov_b32_e32 v1, 0
	buffer_load_dword v37, off, s[0:3], 0 offset:452
	buffer_load_dword v36, off, s[0:3], 0 offset:448
	;; [unrolled: 1-line block ×13, first 2 shown]
	ds_read_b128 v[2:5], v1 offset:800
	ds_read_b128 v[6:9], v1 offset:816
	;; [unrolled: 1-line block ×8, first 2 shown]
	v_cmp_lt_u32_e32 vcc, 36, v0
	s_waitcnt vmcnt(44) lgkmcnt(7)
	v_mul_f32_e32 v44, v2, v50
	s_waitcnt vmcnt(43)
	v_mul_f32_e32 v51, v4, v54
	s_waitcnt vmcnt(42) lgkmcnt(6)
	v_mul_f32_e32 v52, v6, v56
	s_waitcnt vmcnt(41)
	v_mul_f32_e32 v53, v8, v58
	;; [unrolled: 4-line block ×6, first 2 shown]
	s_waitcnt vmcnt(32) lgkmcnt(1)
	v_mul_f32_e32 v91, v26, v67
	s_waitcnt vmcnt(31)
	v_fmac_f32_e32 v44, v3, v68
	s_waitcnt vmcnt(30)
	v_fmac_f32_e32 v51, v5, v69
	v_add_f32_e32 v44, 0, v44
	s_waitcnt vmcnt(29)
	v_fmac_f32_e32 v52, v7, v70
	v_add_f32_e32 v44, v44, v51
	;; [unrolled: 3-line block ×12, first 2 shown]
	v_add_f32_e32 v51, v44, v91
	buffer_load_dword v53, off, s[0:3], 0 offset:468
	buffer_load_dword v52, off, s[0:3], 0 offset:464
	;; [unrolled: 1-line block ×3, first 2 shown]
	v_mul_f32_e32 v3, v3, v50
	v_fma_f32 v2, v2, v68, -v3
	v_mul_f32_e32 v3, v5, v54
	v_add_f32_e32 v2, 0, v2
	v_fma_f32 v3, v4, v69, -v3
	v_add_f32_e32 v2, v2, v3
	v_mul_f32_e32 v3, v7, v56
	v_fma_f32 v3, v6, v70, -v3
	v_add_f32_e32 v2, v2, v3
	v_mul_f32_e32 v3, v9, v58
	;; [unrolled: 3-line block ×11, first 2 shown]
	v_fma_f32 v3, v26, v80, -v3
	v_add_f32_e32 v50, v2, v3
	s_waitcnt vmcnt(21)
	v_mul_f32_e32 v2, v29, v81
	s_waitcnt vmcnt(9)
	v_mov_b32_e32 v18, v43
	v_mul_f32_e32 v55, v28, v81
	v_fma_f32 v54, v28, v82, -v2
	s_waitcnt lgkmcnt(0)
	v_mul_f32_e32 v2, v31, v83
	v_pk_mul_f32 v[18:19], v[32:33], v[18:19] op_sel_hi:[1,0]
	v_fmac_f32_e32 v55, v29, v82
	v_mul_f32_e32 v57, v30, v83
	v_fma_f32 v56, v30, v84, -v2
	ds_read_b128 v[2:5], v1 offset:928
	ds_read_b128 v[6:9], v1 offset:944
	;; [unrolled: 1-line block ×3, first 2 shown]
	ds_read_b64 v[14:15], v1 offset:976
	s_waitcnt vmcnt(8)
	v_pk_fma_f32 v[20:21], v[32:33], v[42:43], v[18:19] op_sel:[0,0,1] op_sel_hi:[1,1,0] neg_lo:[0,0,1] neg_hi:[0,0,1]
	v_pk_fma_f32 v[18:19], v[32:33], v[42:43], v[18:19] op_sel:[0,0,1] op_sel_hi:[1,0,0]
	v_fmac_f32_e32 v57, v31, v84
	v_pk_add_f32 v[16:17], v[50:51], v[54:55]
	v_mov_b32_e32 v18, v41
	v_pk_add_f32 v[16:17], v[16:17], v[56:57]
	v_mov_b32_e32 v21, v19
	s_waitcnt lgkmcnt(3)
	v_pk_mul_f32 v[18:19], v[2:3], v[18:19] op_sel_hi:[1,0]
	v_pk_add_f32 v[16:17], v[16:17], v[20:21]
	v_pk_fma_f32 v[20:21], v[2:3], v[40:41], v[18:19] op_sel:[0,0,1] op_sel_hi:[1,1,0] neg_lo:[0,0,1] neg_hi:[0,0,1]
	v_pk_fma_f32 v[2:3], v[2:3], v[40:41], v[18:19] op_sel:[0,0,1] op_sel_hi:[1,0,0]
	v_mov_b32_e32 v21, v3
	v_pk_add_f32 v[2:3], v[16:17], v[20:21]
	v_mov_b32_e32 v16, v39
	v_pk_mul_f32 v[16:17], v[4:5], v[16:17] op_sel_hi:[1,0]
	v_pk_fma_f32 v[18:19], v[4:5], v[38:39], v[16:17] op_sel:[0,0,1] op_sel_hi:[1,1,0] neg_lo:[0,0,1] neg_hi:[0,0,1]
	v_pk_fma_f32 v[4:5], v[4:5], v[38:39], v[16:17] op_sel:[0,0,1] op_sel_hi:[1,0,0]
	v_mov_b32_e32 v4, v37
	v_mov_b32_e32 v19, v5
	s_waitcnt lgkmcnt(2)
	v_pk_mul_f32 v[4:5], v[6:7], v[4:5] op_sel_hi:[1,0]
	v_pk_fma_f32 v[16:17], v[6:7], v[36:37], v[4:5] op_sel:[0,0,1] op_sel_hi:[1,1,0] neg_lo:[0,0,1] neg_hi:[0,0,1]
	v_pk_fma_f32 v[4:5], v[6:7], v[36:37], v[4:5] op_sel:[0,0,1] op_sel_hi:[1,0,0]
	s_waitcnt vmcnt(7)
	v_mov_b32_e32 v4, v45
	v_mov_b32_e32 v17, v5
	v_pk_mul_f32 v[4:5], v[8:9], v[4:5] op_sel_hi:[1,0]
	v_pk_add_f32 v[2:3], v[2:3], v[18:19]
	v_pk_add_f32 v[2:3], v[2:3], v[16:17]
	s_waitcnt vmcnt(0)
	v_pk_fma_f32 v[6:7], v[8:9], v[44:45], v[4:5] op_sel:[0,0,1] op_sel_hi:[1,1,0] neg_lo:[0,0,1] neg_hi:[0,0,1]
	v_pk_fma_f32 v[4:5], v[8:9], v[44:45], v[4:5] op_sel:[0,0,1] op_sel_hi:[1,0,0]
	v_mov_b32_e32 v4, v53
	v_mov_b32_e32 v7, v5
	s_waitcnt lgkmcnt(1)
	v_pk_mul_f32 v[4:5], v[10:11], v[4:5] op_sel_hi:[1,0]
	v_pk_add_f32 v[2:3], v[2:3], v[6:7]
	v_pk_fma_f32 v[6:7], v[10:11], v[52:53], v[4:5] op_sel:[0,0,1] op_sel_hi:[1,1,0] neg_lo:[0,0,1] neg_hi:[0,0,1]
	v_pk_fma_f32 v[4:5], v[10:11], v[52:53], v[4:5] op_sel:[0,0,1] op_sel_hi:[1,0,0]
	v_mov_b32_e32 v4, v49
	v_mov_b32_e32 v7, v5
	v_pk_mul_f32 v[4:5], v[12:13], v[4:5] op_sel_hi:[1,0]
	v_pk_add_f32 v[2:3], v[2:3], v[6:7]
	v_pk_fma_f32 v[6:7], v[12:13], v[48:49], v[4:5] op_sel:[0,0,1] op_sel_hi:[1,1,0] neg_lo:[0,0,1] neg_hi:[0,0,1]
	v_pk_fma_f32 v[4:5], v[12:13], v[48:49], v[4:5] op_sel:[0,0,1] op_sel_hi:[1,0,0]
	v_mov_b32_e32 v4, v47
	v_mov_b32_e32 v7, v5
	s_waitcnt lgkmcnt(0)
	v_pk_mul_f32 v[4:5], v[14:15], v[4:5] op_sel_hi:[1,0]
	v_pk_add_f32 v[2:3], v[2:3], v[6:7]
	v_pk_fma_f32 v[6:7], v[14:15], v[46:47], v[4:5] op_sel:[0,0,1] op_sel_hi:[1,1,0] neg_lo:[0,0,1] neg_hi:[0,0,1]
	v_pk_fma_f32 v[4:5], v[14:15], v[46:47], v[4:5] op_sel:[0,0,1] op_sel_hi:[1,0,0]
	v_mov_b32_e32 v7, v5
	v_pk_add_f32 v[2:3], v[2:3], v[6:7]
	v_pk_add_f32 v[2:3], v[34:35], v[2:3] neg_lo:[0,1] neg_hi:[0,1]
	buffer_store_dword v3, off, s[0:3], 0 offset:300
	buffer_store_dword v2, off, s[0:3], 0 offset:296
	s_and_saveexec_b64 s[4:5], vcc
	s_cbranch_execz .LBB124_307
; %bb.306:
	buffer_load_dword v2, off, s[0:3], 0 offset:288
	buffer_load_dword v3, off, s[0:3], 0 offset:292
	s_waitcnt vmcnt(0)
	ds_write_b64 v199, v[2:3]
	buffer_store_dword v1, off, s[0:3], 0 offset:288
	buffer_store_dword v1, off, s[0:3], 0 offset:292
.LBB124_307:
	s_or_b64 exec, exec, s[4:5]
	s_waitcnt lgkmcnt(0)
	; wave barrier
	s_waitcnt lgkmcnt(0)
	buffer_load_dword v50, off, s[0:3], 0 offset:300
	buffer_load_dword v52, off, s[0:3], 0 offset:308
	;; [unrolled: 1-line block ×34, first 2 shown]
	ds_read2_b64 v[2:5], v1 offset0:99 offset1:100
	ds_read2_b64 v[6:9], v1 offset0:101 offset1:102
	;; [unrolled: 1-line block ×8, first 2 shown]
	buffer_load_dword v37, off, s[0:3], 0 offset:444
	buffer_load_dword v36, off, s[0:3], 0 offset:440
	buffer_load_dword v39, off, s[0:3], 0 offset:436
	buffer_load_dword v38, off, s[0:3], 0 offset:432
	buffer_load_dword v41, off, s[0:3], 0 offset:428
	buffer_load_dword v40, off, s[0:3], 0 offset:424
	buffer_load_dword v43, off, s[0:3], 0 offset:452
	buffer_load_dword v45, off, s[0:3], 0 offset:476
	buffer_load_dword v44, off, s[0:3], 0 offset:472
	v_cmp_lt_u32_e32 vcc, 35, v0
	s_waitcnt vmcnt(42) lgkmcnt(7)
	v_mul_f32_e32 v42, v2, v50
	s_waitcnt vmcnt(41)
	v_mul_f32_e32 v46, v4, v52
	s_waitcnt vmcnt(40) lgkmcnt(6)
	v_mul_f32_e32 v47, v6, v54
	s_waitcnt vmcnt(39)
	v_mul_f32_e32 v48, v8, v58
	;; [unrolled: 4-line block ×7, first 2 shown]
	s_waitcnt vmcnt(28)
	v_fmac_f32_e32 v42, v3, v69
	s_waitcnt vmcnt(27)
	v_fmac_f32_e32 v46, v5, v70
	v_add_f32_e32 v42, 0, v42
	s_waitcnt vmcnt(26)
	v_fmac_f32_e32 v47, v7, v71
	v_add_f32_e32 v42, v42, v46
	s_waitcnt vmcnt(25)
	v_fmac_f32_e32 v48, v9, v72
	v_add_f32_e32 v42, v42, v47
	s_waitcnt vmcnt(24)
	v_fmac_f32_e32 v49, v11, v73
	v_add_f32_e32 v42, v42, v48
	s_waitcnt vmcnt(23)
	v_fmac_f32_e32 v51, v13, v74
	v_add_f32_e32 v42, v42, v49
	s_waitcnt vmcnt(22)
	v_fmac_f32_e32 v53, v15, v75
	v_add_f32_e32 v42, v42, v51
	s_waitcnt vmcnt(21)
	v_fmac_f32_e32 v55, v17, v76
	v_add_f32_e32 v42, v42, v53
	s_waitcnt vmcnt(20)
	v_fmac_f32_e32 v56, v19, v77
	v_add_f32_e32 v42, v42, v55
	s_waitcnt vmcnt(19)
	v_fmac_f32_e32 v57, v21, v78
	v_add_f32_e32 v42, v42, v56
	s_waitcnt vmcnt(18)
	v_fmac_f32_e32 v87, v23, v79
	v_add_f32_e32 v42, v42, v57
	s_waitcnt vmcnt(17)
	v_fmac_f32_e32 v88, v25, v80
	v_add_f32_e32 v42, v42, v87
	s_waitcnt vmcnt(16)
	v_fmac_f32_e32 v89, v27, v81
	v_add_f32_e32 v42, v42, v88
	v_add_f32_e32 v51, v42, v89
	buffer_load_dword v47, off, s[0:3], 0 offset:468
	buffer_load_dword v46, off, s[0:3], 0 offset:464
	;; [unrolled: 1-line block ×7, first 2 shown]
	v_mul_f32_e32 v3, v3, v50
	v_fma_f32 v2, v2, v69, -v3
	v_mul_f32_e32 v3, v5, v52
	v_add_f32_e32 v2, 0, v2
	v_fma_f32 v3, v4, v70, -v3
	v_add_f32_e32 v2, v2, v3
	v_mul_f32_e32 v3, v7, v54
	v_fma_f32 v3, v6, v71, -v3
	v_add_f32_e32 v2, v2, v3
	v_mul_f32_e32 v3, v9, v58
	;; [unrolled: 3-line block ×12, first 2 shown]
	s_waitcnt vmcnt(22)
	v_fma_f32 v3, v28, v82, -v3
	v_add_f32_e32 v50, v2, v3
	s_waitcnt vmcnt(21) lgkmcnt(0)
	v_mul_f32_e32 v2, v31, v83
	s_waitcnt vmcnt(20)
	v_fma_f32 v52, v30, v84, -v2
	s_waitcnt vmcnt(19)
	v_mul_f32_e32 v2, v33, v85
	s_waitcnt vmcnt(18)
	v_fma_f32 v54, v32, v86, -v2
	ds_read2_b64 v[2:5], v1 offset0:115 offset1:116
	ds_read2_b64 v[6:9], v1 offset0:117 offset1:118
	;; [unrolled: 1-line block ×4, first 2 shown]
	v_fmac_f32_e32 v90, v29, v82
	v_mul_f32_e32 v53, v30, v83
	s_waitcnt vmcnt(11)
	v_mov_b32_e32 v20, v41
	v_add_f32_e32 v51, v51, v90
	v_fmac_f32_e32 v53, v31, v84
	v_mul_f32_e32 v55, v32, v85
	s_waitcnt lgkmcnt(3)
	v_pk_mul_f32 v[20:21], v[2:3], v[20:21] op_sel_hi:[1,0]
	v_fmac_f32_e32 v55, v33, v86
	v_pk_add_f32 v[18:19], v[50:51], v[52:53]
	s_waitcnt vmcnt(10)
	v_pk_fma_f32 v[22:23], v[2:3], v[40:41], v[20:21] op_sel:[0,0,1] op_sel_hi:[1,1,0] neg_lo:[0,0,1] neg_hi:[0,0,1]
	v_pk_fma_f32 v[2:3], v[2:3], v[40:41], v[20:21] op_sel:[0,0,1] op_sel_hi:[1,0,0]
	v_pk_add_f32 v[18:19], v[18:19], v[54:55]
	v_mov_b32_e32 v23, v3
	v_pk_add_f32 v[2:3], v[18:19], v[22:23]
	v_mov_b32_e32 v18, v39
	v_pk_mul_f32 v[18:19], v[4:5], v[18:19] op_sel_hi:[1,0]
	v_pk_fma_f32 v[20:21], v[4:5], v[38:39], v[18:19] op_sel:[0,0,1] op_sel_hi:[1,1,0] neg_lo:[0,0,1] neg_hi:[0,0,1]
	v_pk_fma_f32 v[4:5], v[4:5], v[38:39], v[18:19] op_sel:[0,0,1] op_sel_hi:[1,0,0]
	v_mov_b32_e32 v4, v37
	v_mov_b32_e32 v21, v5
	s_waitcnt lgkmcnt(2)
	v_pk_mul_f32 v[4:5], v[6:7], v[4:5] op_sel_hi:[1,0]
	v_pk_fma_f32 v[18:19], v[6:7], v[36:37], v[4:5] op_sel:[0,0,1] op_sel_hi:[1,1,0] neg_lo:[0,0,1] neg_hi:[0,0,1]
	v_pk_fma_f32 v[4:5], v[6:7], v[36:37], v[4:5] op_sel:[0,0,1] op_sel_hi:[1,0,0]
	s_waitcnt vmcnt(9)
	v_mov_b32_e32 v4, v43
	v_mov_b32_e32 v19, v5
	v_pk_mul_f32 v[4:5], v[8:9], v[4:5] op_sel_hi:[1,0]
	v_pk_add_f32 v[2:3], v[2:3], v[20:21]
	v_pk_add_f32 v[2:3], v[2:3], v[18:19]
	s_waitcnt vmcnt(2)
	v_pk_fma_f32 v[6:7], v[8:9], v[42:43], v[4:5] op_sel:[0,0,1] op_sel_hi:[1,1,0] neg_lo:[0,0,1] neg_hi:[0,0,1]
	v_pk_fma_f32 v[4:5], v[8:9], v[42:43], v[4:5] op_sel:[0,0,1] op_sel_hi:[1,0,0]
	v_mov_b32_e32 v4, v49
	v_mov_b32_e32 v7, v5
	s_waitcnt lgkmcnt(1)
	v_pk_mul_f32 v[4:5], v[10:11], v[4:5] op_sel_hi:[1,0]
	v_pk_add_f32 v[2:3], v[2:3], v[6:7]
	v_pk_fma_f32 v[6:7], v[10:11], v[48:49], v[4:5] op_sel:[0,0,1] op_sel_hi:[1,1,0] neg_lo:[0,0,1] neg_hi:[0,0,1]
	v_pk_fma_f32 v[4:5], v[10:11], v[48:49], v[4:5] op_sel:[0,0,1] op_sel_hi:[1,0,0]
	v_mov_b32_e32 v4, v47
	v_mov_b32_e32 v7, v5
	v_pk_mul_f32 v[4:5], v[12:13], v[4:5] op_sel_hi:[1,0]
	v_pk_add_f32 v[2:3], v[2:3], v[6:7]
	v_pk_fma_f32 v[6:7], v[12:13], v[46:47], v[4:5] op_sel:[0,0,1] op_sel_hi:[1,1,0] neg_lo:[0,0,1] neg_hi:[0,0,1]
	v_pk_fma_f32 v[4:5], v[12:13], v[46:47], v[4:5] op_sel:[0,0,1] op_sel_hi:[1,0,0]
	v_mov_b32_e32 v4, v45
	v_mov_b32_e32 v7, v5
	s_waitcnt lgkmcnt(0)
	v_pk_mul_f32 v[4:5], v[14:15], v[4:5] op_sel_hi:[1,0]
	v_pk_add_f32 v[2:3], v[2:3], v[6:7]
	v_pk_fma_f32 v[6:7], v[14:15], v[44:45], v[4:5] op_sel:[0,0,1] op_sel_hi:[1,1,0] neg_lo:[0,0,1] neg_hi:[0,0,1]
	v_pk_fma_f32 v[4:5], v[14:15], v[44:45], v[4:5] op_sel:[0,0,1] op_sel_hi:[1,0,0]
	s_waitcnt vmcnt(1)
	v_mov_b32_e32 v4, v57
	v_mov_b32_e32 v7, v5
	v_pk_mul_f32 v[4:5], v[16:17], v[4:5] op_sel_hi:[1,0]
	v_pk_add_f32 v[2:3], v[2:3], v[6:7]
	s_waitcnt vmcnt(0)
	v_pk_fma_f32 v[6:7], v[16:17], v[56:57], v[4:5] op_sel:[0,0,1] op_sel_hi:[1,1,0] neg_lo:[0,0,1] neg_hi:[0,0,1]
	v_pk_fma_f32 v[4:5], v[16:17], v[56:57], v[4:5] op_sel:[0,0,1] op_sel_hi:[1,0,0]
	v_mov_b32_e32 v7, v5
	v_pk_add_f32 v[2:3], v[2:3], v[6:7]
	v_pk_add_f32 v[2:3], v[34:35], v[2:3] neg_lo:[0,1] neg_hi:[0,1]
	buffer_store_dword v3, off, s[0:3], 0 offset:292
	buffer_store_dword v2, off, s[0:3], 0 offset:288
	s_and_saveexec_b64 s[4:5], vcc
	s_cbranch_execz .LBB124_309
; %bb.308:
	buffer_load_dword v2, off, s[0:3], 0 offset:280
	buffer_load_dword v3, off, s[0:3], 0 offset:284
	v_mov_b32_e32 v1, 0
	buffer_store_dword v1, off, s[0:3], 0 offset:280
	buffer_store_dword v1, off, s[0:3], 0 offset:284
	s_waitcnt vmcnt(2)
	ds_write_b64 v199, v[2:3]
.LBB124_309:
	s_or_b64 exec, exec, s[4:5]
	s_waitcnt lgkmcnt(0)
	; wave barrier
	s_waitcnt lgkmcnt(0)
	buffer_load_dword v56, off, s[0:3], 0 offset:292
	buffer_load_dword v58, off, s[0:3], 0 offset:300
	;; [unrolled: 1-line block ×36, first 2 shown]
	v_mov_b32_e32 v1, 0
	buffer_load_dword v45, off, s[0:3], 0 offset:436
	buffer_load_dword v44, off, s[0:3], 0 offset:432
	;; [unrolled: 1-line block ×5, first 2 shown]
	ds_read_b128 v[4:7], v1 offset:784
	ds_read_b128 v[8:11], v1 offset:800
	;; [unrolled: 1-line block ×8, first 2 shown]
	v_cmp_lt_u32_e32 vcc, 34, v0
	s_waitcnt vmcnt(40) lgkmcnt(7)
	v_mul_f32_e32 v36, v4, v56
	s_waitcnt vmcnt(39)
	v_mul_f32_e32 v37, v6, v58
	s_waitcnt vmcnt(38) lgkmcnt(6)
	v_mul_f32_e32 v38, v8, v60
	s_waitcnt vmcnt(37)
	v_mul_f32_e32 v39, v10, v66
	;; [unrolled: 4-line block ×7, first 2 shown]
	s_waitcnt vmcnt(26) lgkmcnt(0)
	v_mul_f32_e32 v57, v32, v77
	s_waitcnt vmcnt(25)
	v_fmac_f32_e32 v36, v5, v78
	s_waitcnt vmcnt(24)
	v_fmac_f32_e32 v37, v7, v79
	v_add_f32_e32 v36, 0, v36
	s_waitcnt vmcnt(23)
	v_fmac_f32_e32 v38, v9, v80
	v_add_f32_e32 v36, v36, v37
	;; [unrolled: 3-line block ×13, first 2 shown]
	v_add_f32_e32 v40, v36, v54
	buffer_load_dword v51, off, s[0:3], 0 offset:468
	buffer_load_dword v50, off, s[0:3], 0 offset:464
	;; [unrolled: 1-line block ×7, first 2 shown]
	s_waitcnt vmcnt(18)
	v_fmac_f32_e32 v57, v33, v92
	ds_read_b128 v[36:39], v1 offset:912
	v_add_f32_e32 v57, v40, v57
	ds_read_b128 v[40:43], v1 offset:928
	buffer_load_dword v63, off, s[0:3], 0 offset:484
	buffer_load_dword v62, off, s[0:3], 0 offset:480
	;; [unrolled: 1-line block ×4, first 2 shown]
	v_mul_f32_e32 v5, v5, v56
	v_fma_f32 v4, v4, v78, -v5
	v_mul_f32_e32 v5, v7, v58
	v_add_f32_e32 v4, 0, v4
	v_fma_f32 v5, v6, v79, -v5
	v_add_f32_e32 v4, v4, v5
	v_mul_f32_e32 v5, v9, v60
	v_fma_f32 v5, v8, v80, -v5
	v_add_f32_e32 v4, v4, v5
	v_mul_f32_e32 v5, v11, v66
	;; [unrolled: 3-line block ×13, first 2 shown]
	v_fma_f32 v5, v32, v92, -v5
	s_waitcnt vmcnt(13)
	v_mov_b32_e32 v16, v47
	v_mul_f32_e32 v59, v34, v93
	v_add_f32_e32 v56, v4, v5
	v_mul_f32_e32 v4, v35, v93
	s_waitcnt lgkmcnt(1)
	v_pk_mul_f32 v[16:17], v[38:39], v[16:17] op_sel_hi:[1,0]
	v_fmac_f32_e32 v59, v35, v94
	v_mul_f32_e32 v61, v36, v95
	v_fma_f32 v58, v34, v94, -v4
	v_mul_f32_e32 v4, v37, v95
	s_waitcnt vmcnt(12)
	v_pk_fma_f32 v[18:19], v[38:39], v[46:47], v[16:17] op_sel:[0,0,1] op_sel_hi:[1,1,0] neg_lo:[0,0,1] neg_hi:[0,0,1]
	v_pk_fma_f32 v[16:17], v[38:39], v[46:47], v[16:17] op_sel:[0,0,1] op_sel_hi:[1,0,0]
	v_fmac_f32_e32 v61, v37, v96
	v_fma_f32 v60, v36, v96, -v4
	v_pk_add_f32 v[14:15], v[56:57], v[58:59]
	v_mov_b32_e32 v16, v45
	v_pk_add_f32 v[14:15], v[14:15], v[60:61]
	v_mov_b32_e32 v19, v17
	s_waitcnt lgkmcnt(0)
	v_pk_mul_f32 v[16:17], v[40:41], v[16:17] op_sel_hi:[1,0]
	v_pk_add_f32 v[14:15], v[14:15], v[18:19]
	v_pk_fma_f32 v[18:19], v[40:41], v[44:45], v[16:17] op_sel:[0,0,1] op_sel_hi:[1,1,0] neg_lo:[0,0,1] neg_hi:[0,0,1]
	v_pk_fma_f32 v[16:17], v[40:41], v[44:45], v[16:17] op_sel:[0,0,1] op_sel_hi:[1,0,0]
	s_waitcnt vmcnt(11)
	v_mov_b32_e32 v16, v49
	ds_read_b128 v[4:7], v1 offset:944
	ds_read_b128 v[8:11], v1 offset:960
	ds_read_b64 v[12:13], v1 offset:976
	v_mov_b32_e32 v19, v17
	v_pk_mul_f32 v[16:17], v[42:43], v[16:17] op_sel_hi:[1,0]
	v_pk_add_f32 v[14:15], v[14:15], v[18:19]
	s_waitcnt vmcnt(4)
	v_pk_fma_f32 v[18:19], v[42:43], v[48:49], v[16:17] op_sel:[0,0,1] op_sel_hi:[1,1,0] neg_lo:[0,0,1] neg_hi:[0,0,1]
	v_pk_fma_f32 v[16:17], v[42:43], v[48:49], v[16:17] op_sel:[0,0,1] op_sel_hi:[1,0,0]
	v_mov_b32_e32 v16, v55
	v_mov_b32_e32 v19, v17
	s_waitcnt lgkmcnt(2)
	v_pk_mul_f32 v[16:17], v[4:5], v[16:17] op_sel_hi:[1,0]
	v_pk_add_f32 v[14:15], v[14:15], v[18:19]
	v_pk_fma_f32 v[18:19], v[4:5], v[54:55], v[16:17] op_sel:[0,0,1] op_sel_hi:[1,1,0] neg_lo:[0,0,1] neg_hi:[0,0,1]
	v_pk_fma_f32 v[4:5], v[4:5], v[54:55], v[16:17] op_sel:[0,0,1] op_sel_hi:[1,0,0]
	v_mov_b32_e32 v19, v5
	v_pk_add_f32 v[4:5], v[14:15], v[18:19]
	v_mov_b32_e32 v14, v53
	v_pk_mul_f32 v[14:15], v[6:7], v[14:15] op_sel_hi:[1,0]
	v_pk_fma_f32 v[16:17], v[6:7], v[52:53], v[14:15] op_sel:[0,0,1] op_sel_hi:[1,1,0] neg_lo:[0,0,1] neg_hi:[0,0,1]
	v_pk_fma_f32 v[6:7], v[6:7], v[52:53], v[14:15] op_sel:[0,0,1] op_sel_hi:[1,0,0]
	v_mov_b32_e32 v6, v51
	v_mov_b32_e32 v17, v7
	s_waitcnt lgkmcnt(1)
	v_pk_mul_f32 v[6:7], v[8:9], v[6:7] op_sel_hi:[1,0]
	v_pk_fma_f32 v[14:15], v[8:9], v[50:51], v[6:7] op_sel:[0,0,1] op_sel_hi:[1,1,0] neg_lo:[0,0,1] neg_hi:[0,0,1]
	v_pk_fma_f32 v[6:7], v[8:9], v[50:51], v[6:7] op_sel:[0,0,1] op_sel_hi:[1,0,0]
	s_waitcnt vmcnt(1)
	v_mov_b32_e32 v6, v65
	v_mov_b32_e32 v15, v7
	v_pk_mul_f32 v[6:7], v[10:11], v[6:7] op_sel_hi:[1,0]
	s_waitcnt vmcnt(0)
	v_pk_fma_f32 v[8:9], v[10:11], v[64:65], v[6:7] op_sel:[0,0,1] op_sel_hi:[1,1,0] neg_lo:[0,0,1] neg_hi:[0,0,1]
	v_pk_fma_f32 v[6:7], v[10:11], v[64:65], v[6:7] op_sel:[0,0,1] op_sel_hi:[1,0,0]
	v_pk_add_f32 v[4:5], v[4:5], v[16:17]
	v_mov_b32_e32 v6, v63
	v_pk_add_f32 v[4:5], v[4:5], v[14:15]
	v_mov_b32_e32 v9, v7
	s_waitcnt lgkmcnt(0)
	v_pk_mul_f32 v[6:7], v[12:13], v[6:7] op_sel_hi:[1,0]
	v_pk_add_f32 v[4:5], v[4:5], v[8:9]
	v_pk_fma_f32 v[8:9], v[12:13], v[62:63], v[6:7] op_sel:[0,0,1] op_sel_hi:[1,1,0] neg_lo:[0,0,1] neg_hi:[0,0,1]
	v_pk_fma_f32 v[6:7], v[12:13], v[62:63], v[6:7] op_sel:[0,0,1] op_sel_hi:[1,0,0]
	v_mov_b32_e32 v9, v7
	v_pk_add_f32 v[4:5], v[4:5], v[8:9]
	v_pk_add_f32 v[2:3], v[2:3], v[4:5] neg_lo:[0,1] neg_hi:[0,1]
	buffer_store_dword v3, off, s[0:3], 0 offset:284
	buffer_store_dword v2, off, s[0:3], 0 offset:280
	s_and_saveexec_b64 s[4:5], vcc
	s_cbranch_execz .LBB124_311
; %bb.310:
	buffer_load_dword v2, off, s[0:3], 0 offset:272
	buffer_load_dword v3, off, s[0:3], 0 offset:276
	s_waitcnt vmcnt(0)
	ds_write_b64 v199, v[2:3]
	buffer_store_dword v1, off, s[0:3], 0 offset:272
	buffer_store_dword v1, off, s[0:3], 0 offset:276
.LBB124_311:
	s_or_b64 exec, exec, s[4:5]
	s_waitcnt lgkmcnt(0)
	; wave barrier
	s_waitcnt lgkmcnt(0)
	buffer_load_dword v54, off, s[0:3], 0 offset:284
	buffer_load_dword v56, off, s[0:3], 0 offset:292
	;; [unrolled: 1-line block ×38, first 2 shown]
	ds_read2_b64 v[2:5], v1 offset0:97 offset1:98
	ds_read2_b64 v[6:9], v1 offset0:99 offset1:100
	;; [unrolled: 1-line block ×8, first 2 shown]
	buffer_load_dword v45, off, s[0:3], 0 offset:428
	buffer_load_dword v44, off, s[0:3], 0 offset:424
	;; [unrolled: 1-line block ×4, first 2 shown]
	v_cmp_lt_u32_e32 vcc, 33, v0
	s_waitcnt vmcnt(41) lgkmcnt(7)
	v_mul_f32_e32 v34, v2, v54
	s_waitcnt vmcnt(40)
	v_mul_f32_e32 v35, v4, v56
	s_waitcnt vmcnt(39) lgkmcnt(6)
	v_mul_f32_e32 v36, v6, v58
	s_waitcnt vmcnt(38)
	v_mul_f32_e32 v37, v8, v66
	;; [unrolled: 4-line block ×7, first 2 shown]
	s_waitcnt vmcnt(27) lgkmcnt(0)
	v_mul_f32_e32 v55, v30, v77
	s_waitcnt vmcnt(26)
	v_fmac_f32_e32 v34, v3, v78
	s_waitcnt vmcnt(25)
	v_fmac_f32_e32 v35, v5, v79
	v_add_f32_e32 v34, 0, v34
	s_waitcnt vmcnt(24)
	v_fmac_f32_e32 v36, v7, v80
	v_add_f32_e32 v34, v34, v35
	;; [unrolled: 3-line block ×13, first 2 shown]
	v_add_f32_e32 v34, v34, v53
	buffer_load_dword v49, off, s[0:3], 0 offset:452
	buffer_load_dword v48, off, s[0:3], 0 offset:448
	;; [unrolled: 1-line block ×6, first 2 shown]
	s_waitcnt vmcnt(18)
	v_fmac_f32_e32 v55, v31, v92
	s_waitcnt vmcnt(17)
	v_mul_f32_e32 v39, v32, v93
	v_add_f32_e32 v38, v34, v55
	s_waitcnt vmcnt(16)
	v_fmac_f32_e32 v39, v33, v94
	ds_read2_b64 v[34:37], v1 offset0:113 offset1:114
	v_add_f32_e32 v55, v38, v39
	ds_read2_b64 v[38:41], v1 offset0:115 offset1:116
	buffer_load_dword v61, off, s[0:3], 0 offset:484
	buffer_load_dword v60, off, s[0:3], 0 offset:480
	;; [unrolled: 1-line block ×6, first 2 shown]
	v_mul_f32_e32 v3, v3, v54
	v_fma_f32 v2, v2, v78, -v3
	v_mul_f32_e32 v3, v5, v56
	v_add_f32_e32 v2, 0, v2
	v_fma_f32 v3, v4, v79, -v3
	v_add_f32_e32 v2, v2, v3
	v_mul_f32_e32 v3, v7, v58
	v_fma_f32 v3, v6, v80, -v3
	v_add_f32_e32 v2, v2, v3
	v_mul_f32_e32 v3, v9, v66
	;; [unrolled: 3-line block ×14, first 2 shown]
	v_fma_f32 v3, v32, v94, -v3
	s_waitcnt vmcnt(15)
	v_mov_b32_e32 v16, v45
	s_waitcnt lgkmcnt(1)
	v_mul_f32_e32 v57, v34, v95
	v_add_f32_e32 v54, v2, v3
	v_mul_f32_e32 v2, v35, v95
	s_waitcnt lgkmcnt(0)
	v_pk_mul_f32 v[16:17], v[38:39], v[16:17] op_sel_hi:[1,0]
	v_fmac_f32_e32 v57, v35, v96
	v_mul_f32_e32 v59, v36, v97
	v_fma_f32 v56, v34, v96, -v2
	v_mul_f32_e32 v2, v37, v97
	s_waitcnt vmcnt(14)
	v_pk_fma_f32 v[18:19], v[38:39], v[44:45], v[16:17] op_sel:[0,0,1] op_sel_hi:[1,1,0] neg_lo:[0,0,1] neg_hi:[0,0,1]
	v_pk_fma_f32 v[16:17], v[38:39], v[44:45], v[16:17] op_sel:[0,0,1] op_sel_hi:[1,0,0]
	v_fmac_f32_e32 v59, v37, v98
	v_fma_f32 v58, v36, v98, -v2
	v_pk_add_f32 v[14:15], v[54:55], v[56:57]
	ds_read2_b64 v[2:5], v1 offset0:117 offset1:118
	ds_read2_b64 v[6:9], v1 offset0:119 offset1:120
	;; [unrolled: 1-line block ×3, first 2 shown]
	v_pk_add_f32 v[14:15], v[14:15], v[58:59]
	v_mov_b32_e32 v19, v17
	v_pk_add_f32 v[14:15], v[14:15], v[18:19]
	s_waitcnt vmcnt(7)
	v_mov_b32_e32 v16, v53
	v_pk_mul_f32 v[16:17], v[40:41], v[16:17] op_sel_hi:[1,0]
	s_waitcnt vmcnt(6)
	v_pk_fma_f32 v[18:19], v[40:41], v[52:53], v[16:17] op_sel:[0,0,1] op_sel_hi:[1,1,0] neg_lo:[0,0,1] neg_hi:[0,0,1]
	v_pk_fma_f32 v[16:17], v[40:41], v[52:53], v[16:17] op_sel:[0,0,1] op_sel_hi:[1,0,0]
	v_mov_b32_e32 v16, v51
	v_mov_b32_e32 v19, v17
	s_waitcnt lgkmcnt(2)
	v_pk_mul_f32 v[16:17], v[2:3], v[16:17] op_sel_hi:[1,0]
	v_pk_add_f32 v[14:15], v[14:15], v[18:19]
	v_pk_fma_f32 v[18:19], v[2:3], v[50:51], v[16:17] op_sel:[0,0,1] op_sel_hi:[1,1,0] neg_lo:[0,0,1] neg_hi:[0,0,1]
	v_pk_fma_f32 v[2:3], v[2:3], v[50:51], v[16:17] op_sel:[0,0,1] op_sel_hi:[1,0,0]
	v_mov_b32_e32 v19, v3
	v_pk_add_f32 v[2:3], v[14:15], v[18:19]
	v_mov_b32_e32 v14, v49
	v_pk_mul_f32 v[14:15], v[4:5], v[14:15] op_sel_hi:[1,0]
	v_pk_fma_f32 v[16:17], v[4:5], v[48:49], v[14:15] op_sel:[0,0,1] op_sel_hi:[1,1,0] neg_lo:[0,0,1] neg_hi:[0,0,1]
	v_pk_fma_f32 v[4:5], v[4:5], v[48:49], v[14:15] op_sel:[0,0,1] op_sel_hi:[1,0,0]
	v_mov_b32_e32 v4, v47
	v_mov_b32_e32 v17, v5
	s_waitcnt lgkmcnt(1)
	v_pk_mul_f32 v[4:5], v[6:7], v[4:5] op_sel_hi:[1,0]
	v_pk_fma_f32 v[14:15], v[6:7], v[46:47], v[4:5] op_sel:[0,0,1] op_sel_hi:[1,1,0] neg_lo:[0,0,1] neg_hi:[0,0,1]
	v_pk_fma_f32 v[4:5], v[6:7], v[46:47], v[4:5] op_sel:[0,0,1] op_sel_hi:[1,0,0]
	s_waitcnt vmcnt(1)
	v_mov_b32_e32 v4, v65
	v_mov_b32_e32 v15, v5
	v_pk_mul_f32 v[4:5], v[8:9], v[4:5] op_sel_hi:[1,0]
	s_waitcnt vmcnt(0)
	v_pk_fma_f32 v[6:7], v[8:9], v[64:65], v[4:5] op_sel:[0,0,1] op_sel_hi:[1,1,0] neg_lo:[0,0,1] neg_hi:[0,0,1]
	v_pk_fma_f32 v[4:5], v[8:9], v[64:65], v[4:5] op_sel:[0,0,1] op_sel_hi:[1,0,0]
	v_pk_add_f32 v[2:3], v[2:3], v[16:17]
	v_mov_b32_e32 v4, v63
	v_pk_add_f32 v[2:3], v[2:3], v[14:15]
	v_mov_b32_e32 v7, v5
	s_waitcnt lgkmcnt(0)
	v_pk_mul_f32 v[4:5], v[10:11], v[4:5] op_sel_hi:[1,0]
	v_pk_add_f32 v[2:3], v[2:3], v[6:7]
	v_pk_fma_f32 v[6:7], v[10:11], v[62:63], v[4:5] op_sel:[0,0,1] op_sel_hi:[1,1,0] neg_lo:[0,0,1] neg_hi:[0,0,1]
	v_pk_fma_f32 v[4:5], v[10:11], v[62:63], v[4:5] op_sel:[0,0,1] op_sel_hi:[1,0,0]
	v_mov_b32_e32 v4, v61
	v_mov_b32_e32 v7, v5
	v_pk_mul_f32 v[4:5], v[12:13], v[4:5] op_sel_hi:[1,0]
	v_pk_add_f32 v[2:3], v[2:3], v[6:7]
	v_pk_fma_f32 v[6:7], v[12:13], v[60:61], v[4:5] op_sel:[0,0,1] op_sel_hi:[1,1,0] neg_lo:[0,0,1] neg_hi:[0,0,1]
	v_pk_fma_f32 v[4:5], v[12:13], v[60:61], v[4:5] op_sel:[0,0,1] op_sel_hi:[1,0,0]
	v_mov_b32_e32 v7, v5
	v_pk_add_f32 v[2:3], v[2:3], v[6:7]
	v_pk_add_f32 v[2:3], v[42:43], v[2:3] neg_lo:[0,1] neg_hi:[0,1]
	buffer_store_dword v3, off, s[0:3], 0 offset:276
	buffer_store_dword v2, off, s[0:3], 0 offset:272
	s_and_saveexec_b64 s[4:5], vcc
	s_cbranch_execz .LBB124_313
; %bb.312:
	buffer_load_dword v2, off, s[0:3], 0 offset:264
	buffer_load_dword v3, off, s[0:3], 0 offset:268
	v_mov_b32_e32 v1, 0
	buffer_store_dword v1, off, s[0:3], 0 offset:264
	buffer_store_dword v1, off, s[0:3], 0 offset:268
	s_waitcnt vmcnt(2)
	ds_write_b64 v199, v[2:3]
.LBB124_313:
	s_or_b64 exec, exec, s[4:5]
	s_waitcnt lgkmcnt(0)
	; wave barrier
	s_waitcnt lgkmcnt(0)
	buffer_load_dword v52, off, s[0:3], 0 offset:276
	buffer_load_dword v54, off, s[0:3], 0 offset:284
	;; [unrolled: 1-line block ×40, first 2 shown]
	v_mov_b32_e32 v1, 0
	ds_read_b128 v[4:7], v1 offset:768
	ds_read_b128 v[8:11], v1 offset:784
	ds_read_b128 v[12:15], v1 offset:800
	ds_read_b128 v[16:19], v1 offset:816
	ds_read_b128 v[20:23], v1 offset:832
	ds_read_b128 v[24:27], v1 offset:848
	ds_read_b128 v[28:31], v1 offset:864
	ds_read_b128 v[32:35], v1 offset:880
	v_cmp_lt_u32_e32 vcc, 32, v0
	s_waitcnt vmcnt(39) lgkmcnt(7)
	v_mul_f32_e32 v36, v4, v52
	s_waitcnt vmcnt(38)
	v_mul_f32_e32 v37, v6, v54
	s_waitcnt vmcnt(37) lgkmcnt(6)
	v_mul_f32_e32 v38, v8, v56
	s_waitcnt vmcnt(36)
	v_mul_f32_e32 v39, v10, v66
	;; [unrolled: 4-line block ×8, first 2 shown]
	s_waitcnt vmcnt(23)
	v_fmac_f32_e32 v36, v5, v79
	s_waitcnt vmcnt(22)
	v_fmac_f32_e32 v37, v7, v80
	v_add_f32_e32 v36, 0, v36
	s_waitcnt vmcnt(21)
	v_fmac_f32_e32 v38, v9, v81
	v_add_f32_e32 v36, v36, v37
	;; [unrolled: 3-line block ×14, first 2 shown]
	v_add_f32_e32 v36, v36, v50
	s_waitcnt vmcnt(8)
	v_fmac_f32_e32 v51, v35, v94
	v_add_f32_e32 v53, v36, v51
	ds_read_b128 v[36:39], v1 offset:896
	buffer_load_dword v45, off, s[0:3], 0 offset:428
	buffer_load_dword v47, off, s[0:3], 0 offset:452
	;; [unrolled: 1-line block ×8, first 2 shown]
	ds_read_b128 v[40:43], v1 offset:912
	buffer_load_dword v59, off, s[0:3], 0 offset:484
	buffer_load_dword v58, off, s[0:3], 0 offset:480
	;; [unrolled: 1-line block ×8, first 2 shown]
	v_mul_f32_e32 v5, v5, v52
	v_fma_f32 v4, v4, v79, -v5
	v_mul_f32_e32 v5, v7, v54
	v_add_f32_e32 v4, 0, v4
	v_fma_f32 v5, v6, v80, -v5
	v_add_f32_e32 v4, v4, v5
	v_mul_f32_e32 v5, v9, v56
	v_fma_f32 v5, v8, v81, -v5
	v_add_f32_e32 v4, v4, v5
	v_mul_f32_e32 v5, v11, v66
	;; [unrolled: 3-line block ×14, first 2 shown]
	v_fma_f32 v5, v34, v94, -v5
	v_add_f32_e32 v4, v4, v5
	s_waitcnt vmcnt(23) lgkmcnt(1)
	v_mul_f32_e32 v5, v37, v95
	v_mul_f32_e32 v55, v36, v95
	s_waitcnt vmcnt(22)
	v_fma_f32 v5, v36, v96, -v5
	v_fmac_f32_e32 v55, v37, v96
	v_add_f32_e32 v52, v4, v5
	s_waitcnt vmcnt(21)
	v_mul_f32_e32 v4, v39, v97
	v_add_f32_e32 v53, v53, v55
	v_mul_f32_e32 v55, v38, v97
	s_waitcnt vmcnt(20)
	v_fma_f32 v54, v38, v98, -v4
	s_waitcnt vmcnt(19) lgkmcnt(0)
	v_mul_f32_e32 v4, v41, v99
	v_fmac_f32_e32 v55, v39, v98
	v_mul_f32_e32 v57, v40, v99
	s_waitcnt vmcnt(18)
	v_fma_f32 v56, v40, v100, -v4
	ds_read_b128 v[4:7], v1 offset:928
	ds_read_b128 v[8:11], v1 offset:944
	;; [unrolled: 1-line block ×3, first 2 shown]
	ds_read_b64 v[16:17], v1 offset:976
	v_fmac_f32_e32 v57, v41, v100
	v_pk_add_f32 v[18:19], v[52:53], v[54:55]
	v_pk_add_f32 v[18:19], v[18:19], v[56:57]
	s_waitcnt vmcnt(15)
	v_mov_b32_e32 v20, v45
	v_pk_mul_f32 v[20:21], v[42:43], v[20:21] op_sel_hi:[1,0]
	s_waitcnt vmcnt(8)
	v_pk_fma_f32 v[22:23], v[42:43], v[44:45], v[20:21] op_sel:[0,0,1] op_sel_hi:[1,1,0] neg_lo:[0,0,1] neg_hi:[0,0,1]
	v_pk_fma_f32 v[20:21], v[42:43], v[44:45], v[20:21] op_sel:[0,0,1] op_sel_hi:[1,0,0]
	v_mov_b32_e32 v20, v51
	v_mov_b32_e32 v23, v21
	s_waitcnt lgkmcnt(3)
	v_pk_mul_f32 v[20:21], v[4:5], v[20:21] op_sel_hi:[1,0]
	v_pk_add_f32 v[18:19], v[18:19], v[22:23]
	v_pk_fma_f32 v[22:23], v[4:5], v[50:51], v[20:21] op_sel:[0,0,1] op_sel_hi:[1,1,0] neg_lo:[0,0,1] neg_hi:[0,0,1]
	v_pk_fma_f32 v[4:5], v[4:5], v[50:51], v[20:21] op_sel:[0,0,1] op_sel_hi:[1,0,0]
	v_mov_b32_e32 v23, v5
	v_pk_add_f32 v[4:5], v[18:19], v[22:23]
	v_mov_b32_e32 v18, v49
	v_pk_mul_f32 v[18:19], v[6:7], v[18:19] op_sel_hi:[1,0]
	v_pk_fma_f32 v[20:21], v[6:7], v[48:49], v[18:19] op_sel:[0,0,1] op_sel_hi:[1,1,0] neg_lo:[0,0,1] neg_hi:[0,0,1]
	v_pk_fma_f32 v[6:7], v[6:7], v[48:49], v[18:19] op_sel:[0,0,1] op_sel_hi:[1,0,0]
	v_mov_b32_e32 v6, v47
	v_mov_b32_e32 v21, v7
	s_waitcnt lgkmcnt(2)
	v_pk_mul_f32 v[6:7], v[8:9], v[6:7] op_sel_hi:[1,0]
	v_pk_fma_f32 v[18:19], v[8:9], v[46:47], v[6:7] op_sel:[0,0,1] op_sel_hi:[1,1,0] neg_lo:[0,0,1] neg_hi:[0,0,1]
	v_pk_fma_f32 v[6:7], v[8:9], v[46:47], v[6:7] op_sel:[0,0,1] op_sel_hi:[1,0,0]
	s_waitcnt vmcnt(1)
	v_mov_b32_e32 v6, v65
	v_mov_b32_e32 v19, v7
	v_pk_mul_f32 v[6:7], v[10:11], v[6:7] op_sel_hi:[1,0]
	s_waitcnt vmcnt(0)
	v_pk_fma_f32 v[8:9], v[10:11], v[64:65], v[6:7] op_sel:[0,0,1] op_sel_hi:[1,1,0] neg_lo:[0,0,1] neg_hi:[0,0,1]
	v_pk_fma_f32 v[6:7], v[10:11], v[64:65], v[6:7] op_sel:[0,0,1] op_sel_hi:[1,0,0]
	v_pk_add_f32 v[4:5], v[4:5], v[20:21]
	v_mov_b32_e32 v6, v63
	v_pk_add_f32 v[4:5], v[4:5], v[18:19]
	v_mov_b32_e32 v9, v7
	s_waitcnt lgkmcnt(1)
	v_pk_mul_f32 v[6:7], v[12:13], v[6:7] op_sel_hi:[1,0]
	v_pk_add_f32 v[4:5], v[4:5], v[8:9]
	v_pk_fma_f32 v[8:9], v[12:13], v[62:63], v[6:7] op_sel:[0,0,1] op_sel_hi:[1,1,0] neg_lo:[0,0,1] neg_hi:[0,0,1]
	v_pk_fma_f32 v[6:7], v[12:13], v[62:63], v[6:7] op_sel:[0,0,1] op_sel_hi:[1,0,0]
	v_mov_b32_e32 v6, v61
	v_mov_b32_e32 v9, v7
	v_pk_mul_f32 v[6:7], v[14:15], v[6:7] op_sel_hi:[1,0]
	v_pk_add_f32 v[4:5], v[4:5], v[8:9]
	v_pk_fma_f32 v[8:9], v[14:15], v[60:61], v[6:7] op_sel:[0,0,1] op_sel_hi:[1,1,0] neg_lo:[0,0,1] neg_hi:[0,0,1]
	v_pk_fma_f32 v[6:7], v[14:15], v[60:61], v[6:7] op_sel:[0,0,1] op_sel_hi:[1,0,0]
	v_mov_b32_e32 v6, v59
	v_mov_b32_e32 v9, v7
	s_waitcnt lgkmcnt(0)
	v_pk_mul_f32 v[6:7], v[16:17], v[6:7] op_sel_hi:[1,0]
	v_pk_add_f32 v[4:5], v[4:5], v[8:9]
	v_pk_fma_f32 v[8:9], v[16:17], v[58:59], v[6:7] op_sel:[0,0,1] op_sel_hi:[1,1,0] neg_lo:[0,0,1] neg_hi:[0,0,1]
	v_pk_fma_f32 v[6:7], v[16:17], v[58:59], v[6:7] op_sel:[0,0,1] op_sel_hi:[1,0,0]
	v_mov_b32_e32 v9, v7
	v_pk_add_f32 v[4:5], v[4:5], v[8:9]
	v_pk_add_f32 v[2:3], v[2:3], v[4:5] neg_lo:[0,1] neg_hi:[0,1]
	buffer_store_dword v3, off, s[0:3], 0 offset:268
	buffer_store_dword v2, off, s[0:3], 0 offset:264
	s_and_saveexec_b64 s[4:5], vcc
	s_cbranch_execz .LBB124_315
; %bb.314:
	buffer_load_dword v2, off, s[0:3], 0 offset:256
	buffer_load_dword v3, off, s[0:3], 0 offset:260
	s_waitcnt vmcnt(0)
	ds_write_b64 v199, v[2:3]
	buffer_store_dword v1, off, s[0:3], 0 offset:256
	buffer_store_dword v1, off, s[0:3], 0 offset:260
.LBB124_315:
	s_or_b64 exec, exec, s[4:5]
	s_waitcnt lgkmcnt(0)
	; wave barrier
	s_waitcnt lgkmcnt(0)
	buffer_load_dword v44, off, s[0:3], 0 offset:268
	buffer_load_dword v46, off, s[0:3], 0 offset:276
	;; [unrolled: 1-line block ×42, first 2 shown]
	ds_read2_b64 v[4:7], v1 offset0:95 offset1:96
	ds_read2_b64 v[8:11], v1 offset0:97 offset1:98
	;; [unrolled: 1-line block ×8, first 2 shown]
	v_cmp_lt_u32_e32 vcc, 31, v0
	s_waitcnt vmcnt(41) lgkmcnt(7)
	v_mul_f32_e32 v36, v4, v44
	s_waitcnt vmcnt(40)
	v_mul_f32_e32 v37, v6, v46
	s_waitcnt vmcnt(39) lgkmcnt(6)
	v_mul_f32_e32 v38, v8, v54
	s_waitcnt vmcnt(38)
	v_mul_f32_e32 v39, v10, v66
	s_waitcnt vmcnt(37) lgkmcnt(5)
	v_mul_f32_e32 v40, v12, v67
	s_waitcnt vmcnt(36)
	v_mul_f32_e32 v41, v14, v68
	s_waitcnt vmcnt(35) lgkmcnt(4)
	v_mul_f32_e32 v42, v16, v69
	s_waitcnt vmcnt(34)
	v_mul_f32_e32 v43, v18, v70
	s_waitcnt vmcnt(33) lgkmcnt(3)
	v_mul_f32_e32 v45, v20, v71
	s_waitcnt vmcnt(32)
	v_mul_f32_e32 v47, v22, v72
	s_waitcnt vmcnt(31) lgkmcnt(2)
	v_mul_f32_e32 v48, v24, v73
	s_waitcnt vmcnt(30)
	v_mul_f32_e32 v49, v26, v74
	s_waitcnt vmcnt(29) lgkmcnt(1)
	v_mul_f32_e32 v50, v28, v75
	s_waitcnt vmcnt(28)
	v_mul_f32_e32 v51, v30, v76
	s_waitcnt vmcnt(27) lgkmcnt(0)
	v_mul_f32_e32 v52, v32, v77
	s_waitcnt vmcnt(26)
	v_fmac_f32_e32 v36, v5, v78
	s_waitcnt vmcnt(25)
	v_fmac_f32_e32 v37, v7, v79
	v_add_f32_e32 v36, 0, v36
	s_waitcnt vmcnt(24)
	v_fmac_f32_e32 v38, v9, v80
	v_add_f32_e32 v36, v36, v37
	;; [unrolled: 3-line block ×14, first 2 shown]
	s_waitcnt vmcnt(11)
	v_mul_f32_e32 v41, v34, v93
	v_add_f32_e32 v40, v36, v52
	s_waitcnt vmcnt(10)
	v_fmac_f32_e32 v41, v35, v94
	ds_read2_b64 v[36:39], v1 offset0:111 offset1:112
	v_add_f32_e32 v45, v40, v41
	ds_read2_b64 v[40:43], v1 offset0:113 offset1:114
	buffer_load_dword v49, off, s[0:3], 0 offset:428
	buffer_load_dword v51, off, s[0:3], 0 offset:444
	;; [unrolled: 1-line block ×16, first 2 shown]
	v_mul_f32_e32 v5, v5, v44
	v_fma_f32 v4, v4, v78, -v5
	v_mul_f32_e32 v5, v7, v46
	v_add_f32_e32 v4, 0, v4
	v_fma_f32 v5, v6, v79, -v5
	v_add_f32_e32 v4, v4, v5
	v_mul_f32_e32 v5, v9, v54
	v_fma_f32 v5, v8, v80, -v5
	v_add_f32_e32 v4, v4, v5
	v_mul_f32_e32 v5, v11, v66
	;; [unrolled: 3-line block ×14, first 2 shown]
	v_fma_f32 v5, v34, v94, -v5
	v_add_f32_e32 v4, v4, v5
	s_waitcnt vmcnt(25) lgkmcnt(1)
	v_mul_f32_e32 v5, v37, v95
	s_waitcnt vmcnt(24)
	v_fma_f32 v5, v36, v96, -v5
	v_add_f32_e32 v4, v4, v5
	s_waitcnt vmcnt(23)
	v_mul_f32_e32 v5, v39, v97
	v_mul_f32_e32 v47, v36, v95
	s_waitcnt vmcnt(22)
	v_fma_f32 v5, v38, v98, -v5
	v_fmac_f32_e32 v47, v37, v96
	v_add_f32_e32 v44, v4, v5
	s_waitcnt vmcnt(21) lgkmcnt(0)
	v_mul_f32_e32 v4, v41, v99
	v_add_f32_e32 v45, v45, v47
	v_mul_f32_e32 v47, v38, v97
	s_waitcnt vmcnt(20)
	v_fma_f32 v46, v40, v100, -v4
	s_waitcnt vmcnt(19)
	v_mul_f32_e32 v4, v43, v101
	v_fmac_f32_e32 v47, v39, v98
	s_waitcnt vmcnt(18)
	v_fma_f32 v54, v42, v104, -v4
	ds_read2_b64 v[4:7], v1 offset0:115 offset1:116
	ds_read2_b64 v[8:11], v1 offset0:117 offset1:118
	;; [unrolled: 1-line block ×4, first 2 shown]
	v_add_f32_e32 v45, v45, v47
	v_mul_f32_e32 v47, v40, v99
	v_fmac_f32_e32 v47, v41, v100
	v_mul_f32_e32 v55, v42, v101
	v_fmac_f32_e32 v55, v43, v104
	v_pk_add_f32 v[20:21], v[44:45], v[46:47]
	v_pk_add_f32 v[20:21], v[20:21], v[54:55]
	s_waitcnt vmcnt(15)
	v_mov_b32_e32 v22, v49
	s_waitcnt lgkmcnt(3)
	v_pk_mul_f32 v[22:23], v[4:5], v[22:23] op_sel_hi:[1,0]
	s_waitcnt vmcnt(10)
	v_pk_fma_f32 v[24:25], v[4:5], v[48:49], v[22:23] op_sel:[0,0,1] op_sel_hi:[1,1,0] neg_lo:[0,0,1] neg_hi:[0,0,1]
	v_pk_fma_f32 v[4:5], v[4:5], v[48:49], v[22:23] op_sel:[0,0,1] op_sel_hi:[1,0,0]
	v_mov_b32_e32 v25, v5
	v_pk_add_f32 v[4:5], v[20:21], v[24:25]
	v_mov_b32_e32 v20, v53
	v_pk_mul_f32 v[20:21], v[6:7], v[20:21] op_sel_hi:[1,0]
	v_pk_fma_f32 v[22:23], v[6:7], v[52:53], v[20:21] op_sel:[0,0,1] op_sel_hi:[1,1,0] neg_lo:[0,0,1] neg_hi:[0,0,1]
	v_pk_fma_f32 v[6:7], v[6:7], v[52:53], v[20:21] op_sel:[0,0,1] op_sel_hi:[1,0,0]
	v_mov_b32_e32 v6, v51
	v_mov_b32_e32 v23, v7
	s_waitcnt lgkmcnt(2)
	v_pk_mul_f32 v[6:7], v[8:9], v[6:7] op_sel_hi:[1,0]
	v_pk_fma_f32 v[20:21], v[8:9], v[50:51], v[6:7] op_sel:[0,0,1] op_sel_hi:[1,1,0] neg_lo:[0,0,1] neg_hi:[0,0,1]
	v_pk_fma_f32 v[6:7], v[8:9], v[50:51], v[6:7] op_sel:[0,0,1] op_sel_hi:[1,0,0]
	s_waitcnt vmcnt(3)
	v_mov_b32_e32 v6, v63
	v_mov_b32_e32 v21, v7
	v_pk_mul_f32 v[6:7], v[10:11], v[6:7] op_sel_hi:[1,0]
	s_waitcnt vmcnt(2)
	v_pk_fma_f32 v[8:9], v[10:11], v[62:63], v[6:7] op_sel:[0,0,1] op_sel_hi:[1,1,0] neg_lo:[0,0,1] neg_hi:[0,0,1]
	v_pk_fma_f32 v[6:7], v[10:11], v[62:63], v[6:7] op_sel:[0,0,1] op_sel_hi:[1,0,0]
	v_pk_add_f32 v[4:5], v[4:5], v[22:23]
	v_mov_b32_e32 v6, v61
	v_pk_add_f32 v[4:5], v[4:5], v[20:21]
	v_mov_b32_e32 v9, v7
	s_waitcnt lgkmcnt(1)
	v_pk_mul_f32 v[6:7], v[12:13], v[6:7] op_sel_hi:[1,0]
	v_pk_add_f32 v[4:5], v[4:5], v[8:9]
	v_pk_fma_f32 v[8:9], v[12:13], v[60:61], v[6:7] op_sel:[0,0,1] op_sel_hi:[1,1,0] neg_lo:[0,0,1] neg_hi:[0,0,1]
	v_pk_fma_f32 v[6:7], v[12:13], v[60:61], v[6:7] op_sel:[0,0,1] op_sel_hi:[1,0,0]
	v_mov_b32_e32 v6, v59
	v_mov_b32_e32 v9, v7
	v_pk_mul_f32 v[6:7], v[14:15], v[6:7] op_sel_hi:[1,0]
	v_pk_add_f32 v[4:5], v[4:5], v[8:9]
	v_pk_fma_f32 v[8:9], v[14:15], v[58:59], v[6:7] op_sel:[0,0,1] op_sel_hi:[1,1,0] neg_lo:[0,0,1] neg_hi:[0,0,1]
	v_pk_fma_f32 v[6:7], v[14:15], v[58:59], v[6:7] op_sel:[0,0,1] op_sel_hi:[1,0,0]
	v_mov_b32_e32 v6, v57
	v_mov_b32_e32 v9, v7
	s_waitcnt lgkmcnt(0)
	v_pk_mul_f32 v[6:7], v[16:17], v[6:7] op_sel_hi:[1,0]
	v_pk_add_f32 v[4:5], v[4:5], v[8:9]
	v_pk_fma_f32 v[8:9], v[16:17], v[56:57], v[6:7] op_sel:[0,0,1] op_sel_hi:[1,1,0] neg_lo:[0,0,1] neg_hi:[0,0,1]
	v_pk_fma_f32 v[6:7], v[16:17], v[56:57], v[6:7] op_sel:[0,0,1] op_sel_hi:[1,0,0]
	s_waitcnt vmcnt(1)
	v_mov_b32_e32 v6, v65
	v_mov_b32_e32 v9, v7
	v_pk_mul_f32 v[6:7], v[18:19], v[6:7] op_sel_hi:[1,0]
	v_pk_add_f32 v[4:5], v[4:5], v[8:9]
	s_waitcnt vmcnt(0)
	v_pk_fma_f32 v[8:9], v[18:19], v[64:65], v[6:7] op_sel:[0,0,1] op_sel_hi:[1,1,0] neg_lo:[0,0,1] neg_hi:[0,0,1]
	v_pk_fma_f32 v[6:7], v[18:19], v[64:65], v[6:7] op_sel:[0,0,1] op_sel_hi:[1,0,0]
	v_mov_b32_e32 v9, v7
	v_pk_add_f32 v[4:5], v[4:5], v[8:9]
	v_pk_add_f32 v[2:3], v[2:3], v[4:5] neg_lo:[0,1] neg_hi:[0,1]
	buffer_store_dword v3, off, s[0:3], 0 offset:260
	buffer_store_dword v2, off, s[0:3], 0 offset:256
	s_and_saveexec_b64 s[4:5], vcc
	s_cbranch_execz .LBB124_317
; %bb.316:
	buffer_load_dword v2, off, s[0:3], 0 offset:248
	buffer_load_dword v3, off, s[0:3], 0 offset:252
	v_mov_b32_e32 v1, 0
	buffer_store_dword v1, off, s[0:3], 0 offset:248
	buffer_store_dword v1, off, s[0:3], 0 offset:252
	s_waitcnt vmcnt(2)
	ds_write_b64 v199, v[2:3]
.LBB124_317:
	s_or_b64 exec, exec, s[4:5]
	s_waitcnt lgkmcnt(0)
	; wave barrier
	s_waitcnt lgkmcnt(0)
	buffer_load_dword v52, off, s[0:3], 0 offset:260
	buffer_load_dword v58, off, s[0:3], 0 offset:268
	;; [unrolled: 1-line block ×44, first 2 shown]
	v_mov_b32_e32 v1, 0
	ds_read_b128 v[4:7], v1 offset:752
	ds_read_b128 v[8:11], v1 offset:768
	;; [unrolled: 1-line block ×8, first 2 shown]
	v_cmp_lt_u32_e32 vcc, 30, v0
	s_waitcnt vmcnt(43) lgkmcnt(7)
	v_mul_f32_e32 v36, v4, v52
	s_waitcnt vmcnt(42)
	v_mul_f32_e32 v37, v6, v58
	s_waitcnt vmcnt(41) lgkmcnt(6)
	v_mul_f32_e32 v38, v8, v60
	s_waitcnt vmcnt(40)
	v_mul_f32_e32 v39, v10, v74
	;; [unrolled: 4-line block ×7, first 2 shown]
	s_waitcnt vmcnt(29)
	v_fmac_f32_e32 v36, v5, v85
	s_waitcnt vmcnt(28)
	v_fmac_f32_e32 v37, v7, v86
	v_add_f32_e32 v36, 0, v36
	s_waitcnt vmcnt(27)
	v_fmac_f32_e32 v38, v9, v87
	v_add_f32_e32 v36, v36, v37
	;; [unrolled: 3-line block ×12, first 2 shown]
	v_add_f32_e32 v36, v36, v48
	s_waitcnt vmcnt(16)
	v_fmac_f32_e32 v49, v31, v98
	s_waitcnt vmcnt(15) lgkmcnt(0)
	v_mul_f32_e32 v37, v32, v99
	v_add_f32_e32 v36, v36, v49
	s_waitcnt vmcnt(14)
	v_fmac_f32_e32 v37, v33, v100
	v_add_f32_e32 v40, v36, v37
	ds_read_b128 v[36:39], v1 offset:880
	s_waitcnt vmcnt(13)
	v_mul_f32_e32 v41, v34, v101
	s_waitcnt vmcnt(12)
	v_fmac_f32_e32 v41, v35, v104
	v_add_f32_e32 v44, v40, v41
	ds_read_b128 v[40:43], v1 offset:896
	s_waitcnt vmcnt(11) lgkmcnt(1)
	v_mul_f32_e32 v45, v36, v105
	s_waitcnt vmcnt(10)
	v_fmac_f32_e32 v45, v37, v106
	v_add_f32_e32 v44, v44, v45
	s_waitcnt vmcnt(9)
	v_mul_f32_e32 v45, v38, v107
	s_waitcnt vmcnt(8)
	v_fmac_f32_e32 v45, v39, v108
	v_add_f32_e32 v44, v44, v45
	s_waitcnt vmcnt(7) lgkmcnt(0)
	v_mul_f32_e32 v45, v40, v109
	s_waitcnt vmcnt(6)
	v_fmac_f32_e32 v45, v41, v110
	v_add_f32_e32 v53, v44, v45
	ds_read_b128 v[44:47], v1 offset:912
	buffer_load_dword v55, off, s[0:3], 0 offset:436
	buffer_load_dword v54, off, s[0:3], 0 offset:432
	;; [unrolled: 1-line block ×4, first 2 shown]
	ds_read_b128 v[48:51], v1 offset:928
	buffer_load_dword v63, off, s[0:3], 0 offset:468
	buffer_load_dword v62, off, s[0:3], 0 offset:464
	;; [unrolled: 1-line block ×12, first 2 shown]
	v_mul_f32_e32 v5, v5, v52
	v_fma_f32 v4, v4, v85, -v5
	v_mul_f32_e32 v5, v7, v58
	v_add_f32_e32 v4, 0, v4
	v_fma_f32 v5, v6, v86, -v5
	v_add_f32_e32 v4, v4, v5
	v_mul_f32_e32 v5, v9, v60
	v_fma_f32 v5, v8, v87, -v5
	v_add_f32_e32 v4, v4, v5
	v_mul_f32_e32 v5, v11, v74
	;; [unrolled: 3-line block ×17, first 2 shown]
	v_fma_f32 v5, v40, v110, -v5
	s_waitcnt vmcnt(21)
	v_mul_f32_e32 v59, v42, v111
	v_add_f32_e32 v52, v4, v5
	v_mul_f32_e32 v4, v43, v111
	s_waitcnt vmcnt(20)
	v_fmac_f32_e32 v59, v43, v112
	s_waitcnt vmcnt(19) lgkmcnt(1)
	v_mul_f32_e32 v61, v44, v113
	v_fma_f32 v58, v42, v112, -v4
	v_mul_f32_e32 v4, v45, v113
	s_waitcnt vmcnt(18)
	v_fmac_f32_e32 v61, v45, v114
	v_fma_f32 v60, v44, v114, -v4
	v_pk_add_f32 v[14:15], v[52:53], v[58:59]
	v_pk_add_f32 v[14:15], v[14:15], v[60:61]
	ds_read_b128 v[4:7], v1 offset:944
	ds_read_b128 v[8:11], v1 offset:960
	ds_read_b64 v[12:13], v1 offset:976
	s_waitcnt vmcnt(13)
	v_mov_b32_e32 v16, v57
	v_pk_mul_f32 v[16:17], v[46:47], v[16:17] op_sel_hi:[1,0]
	s_waitcnt vmcnt(12)
	v_pk_fma_f32 v[18:19], v[46:47], v[56:57], v[16:17] op_sel:[0,0,1] op_sel_hi:[1,1,0] neg_lo:[0,0,1] neg_hi:[0,0,1]
	v_pk_fma_f32 v[16:17], v[46:47], v[56:57], v[16:17] op_sel:[0,0,1] op_sel_hi:[1,0,0]
	v_mov_b32_e32 v16, v55
	v_mov_b32_e32 v19, v17
	s_waitcnt lgkmcnt(3)
	v_pk_mul_f32 v[16:17], v[48:49], v[16:17] op_sel_hi:[1,0]
	v_pk_add_f32 v[14:15], v[14:15], v[18:19]
	v_pk_fma_f32 v[18:19], v[48:49], v[54:55], v[16:17] op_sel:[0,0,1] op_sel_hi:[1,1,0] neg_lo:[0,0,1] neg_hi:[0,0,1]
	v_pk_fma_f32 v[16:17], v[48:49], v[54:55], v[16:17] op_sel:[0,0,1] op_sel_hi:[1,0,0]
	s_waitcnt vmcnt(5)
	v_mov_b32_e32 v16, v69
	v_mov_b32_e32 v19, v17
	v_pk_mul_f32 v[16:17], v[50:51], v[16:17] op_sel_hi:[1,0]
	v_pk_add_f32 v[14:15], v[14:15], v[18:19]
	s_waitcnt vmcnt(4)
	v_pk_fma_f32 v[18:19], v[50:51], v[68:69], v[16:17] op_sel:[0,0,1] op_sel_hi:[1,1,0] neg_lo:[0,0,1] neg_hi:[0,0,1]
	v_pk_fma_f32 v[16:17], v[50:51], v[68:69], v[16:17] op_sel:[0,0,1] op_sel_hi:[1,0,0]
	v_mov_b32_e32 v16, v67
	v_mov_b32_e32 v19, v17
	s_waitcnt lgkmcnt(2)
	v_pk_mul_f32 v[16:17], v[4:5], v[16:17] op_sel_hi:[1,0]
	v_pk_add_f32 v[14:15], v[14:15], v[18:19]
	v_pk_fma_f32 v[18:19], v[4:5], v[66:67], v[16:17] op_sel:[0,0,1] op_sel_hi:[1,1,0] neg_lo:[0,0,1] neg_hi:[0,0,1]
	v_pk_fma_f32 v[4:5], v[4:5], v[66:67], v[16:17] op_sel:[0,0,1] op_sel_hi:[1,0,0]
	v_mov_b32_e32 v19, v5
	v_pk_add_f32 v[4:5], v[14:15], v[18:19]
	v_mov_b32_e32 v14, v65
	v_pk_mul_f32 v[14:15], v[6:7], v[14:15] op_sel_hi:[1,0]
	v_pk_fma_f32 v[16:17], v[6:7], v[64:65], v[14:15] op_sel:[0,0,1] op_sel_hi:[1,1,0] neg_lo:[0,0,1] neg_hi:[0,0,1]
	v_pk_fma_f32 v[6:7], v[6:7], v[64:65], v[14:15] op_sel:[0,0,1] op_sel_hi:[1,0,0]
	v_mov_b32_e32 v6, v63
	v_mov_b32_e32 v17, v7
	s_waitcnt lgkmcnt(1)
	v_pk_mul_f32 v[6:7], v[8:9], v[6:7] op_sel_hi:[1,0]
	v_pk_fma_f32 v[14:15], v[8:9], v[62:63], v[6:7] op_sel:[0,0,1] op_sel_hi:[1,1,0] neg_lo:[0,0,1] neg_hi:[0,0,1]
	v_pk_fma_f32 v[6:7], v[8:9], v[62:63], v[6:7] op_sel:[0,0,1] op_sel_hi:[1,0,0]
	s_waitcnt vmcnt(1)
	v_mov_b32_e32 v6, v73
	v_mov_b32_e32 v15, v7
	v_pk_mul_f32 v[6:7], v[10:11], v[6:7] op_sel_hi:[1,0]
	s_waitcnt vmcnt(0)
	v_pk_fma_f32 v[8:9], v[10:11], v[72:73], v[6:7] op_sel:[0,0,1] op_sel_hi:[1,1,0] neg_lo:[0,0,1] neg_hi:[0,0,1]
	v_pk_fma_f32 v[6:7], v[10:11], v[72:73], v[6:7] op_sel:[0,0,1] op_sel_hi:[1,0,0]
	v_pk_add_f32 v[4:5], v[4:5], v[16:17]
	v_mov_b32_e32 v6, v71
	v_pk_add_f32 v[4:5], v[4:5], v[14:15]
	v_mov_b32_e32 v9, v7
	s_waitcnt lgkmcnt(0)
	v_pk_mul_f32 v[6:7], v[12:13], v[6:7] op_sel_hi:[1,0]
	v_pk_add_f32 v[4:5], v[4:5], v[8:9]
	v_pk_fma_f32 v[8:9], v[12:13], v[70:71], v[6:7] op_sel:[0,0,1] op_sel_hi:[1,1,0] neg_lo:[0,0,1] neg_hi:[0,0,1]
	v_pk_fma_f32 v[6:7], v[12:13], v[70:71], v[6:7] op_sel:[0,0,1] op_sel_hi:[1,0,0]
	v_mov_b32_e32 v9, v7
	v_pk_add_f32 v[4:5], v[4:5], v[8:9]
	v_pk_add_f32 v[2:3], v[2:3], v[4:5] neg_lo:[0,1] neg_hi:[0,1]
	buffer_store_dword v3, off, s[0:3], 0 offset:252
	buffer_store_dword v2, off, s[0:3], 0 offset:248
	s_and_saveexec_b64 s[4:5], vcc
	s_cbranch_execz .LBB124_319
; %bb.318:
	buffer_load_dword v2, off, s[0:3], 0 offset:240
	buffer_load_dword v3, off, s[0:3], 0 offset:244
	s_waitcnt vmcnt(0)
	ds_write_b64 v199, v[2:3]
	buffer_store_dword v1, off, s[0:3], 0 offset:240
	buffer_store_dword v1, off, s[0:3], 0 offset:244
.LBB124_319:
	s_or_b64 exec, exec, s[4:5]
	s_waitcnt lgkmcnt(0)
	; wave barrier
	s_waitcnt lgkmcnt(0)
	buffer_load_dword v54, off, s[0:3], 0 offset:252
	buffer_load_dword v56, off, s[0:3], 0 offset:260
	;; [unrolled: 1-line block ×46, first 2 shown]
	ds_read2_b64 v[4:7], v1 offset0:93 offset1:94
	ds_read2_b64 v[8:11], v1 offset0:95 offset1:96
	;; [unrolled: 1-line block ×8, first 2 shown]
	v_cmp_lt_u32_e32 vcc, 29, v0
	s_waitcnt vmcnt(45) lgkmcnt(7)
	v_mul_f32_e32 v36, v4, v54
	s_waitcnt vmcnt(44)
	v_mul_f32_e32 v37, v6, v56
	s_waitcnt vmcnt(43) lgkmcnt(6)
	v_mul_f32_e32 v38, v8, v58
	s_waitcnt vmcnt(42)
	v_mul_f32_e32 v39, v10, v74
	;; [unrolled: 4-line block ×6, first 2 shown]
	s_waitcnt vmcnt(33) lgkmcnt(1)
	v_mul_f32_e32 v48, v28, v83
	s_waitcnt vmcnt(32)
	v_fmac_f32_e32 v36, v5, v84
	s_waitcnt vmcnt(31)
	v_fmac_f32_e32 v37, v7, v85
	v_add_f32_e32 v36, 0, v36
	s_waitcnt vmcnt(30)
	v_fmac_f32_e32 v38, v9, v86
	v_add_f32_e32 v36, v36, v37
	;; [unrolled: 3-line block ×12, first 2 shown]
	s_waitcnt vmcnt(19)
	v_mul_f32_e32 v37, v30, v97
	v_add_f32_e32 v36, v36, v48
	s_waitcnt vmcnt(18)
	v_fmac_f32_e32 v37, v31, v98
	v_add_f32_e32 v36, v36, v37
	s_waitcnt vmcnt(17) lgkmcnt(0)
	v_mul_f32_e32 v37, v32, v99
	s_waitcnt vmcnt(16)
	v_fmac_f32_e32 v37, v33, v100
	v_add_f32_e32 v40, v36, v37
	ds_read2_b64 v[36:39], v1 offset0:109 offset1:110
	s_waitcnt vmcnt(15)
	v_mul_f32_e32 v41, v34, v101
	s_waitcnt vmcnt(14)
	v_fmac_f32_e32 v41, v35, v104
	v_add_f32_e32 v44, v40, v41
	ds_read2_b64 v[40:43], v1 offset0:111 offset1:112
	buffer_load_dword v53, off, s[0:3], 0 offset:428
	buffer_load_dword v52, off, s[0:3], 0 offset:424
	s_waitcnt vmcnt(15) lgkmcnt(1)
	v_mul_f32_e32 v45, v36, v105
	s_waitcnt vmcnt(14)
	v_fmac_f32_e32 v45, v37, v106
	v_add_f32_e32 v44, v44, v45
	s_waitcnt vmcnt(13)
	v_mul_f32_e32 v45, v38, v107
	s_waitcnt vmcnt(12)
	v_fmac_f32_e32 v45, v39, v108
	v_add_f32_e32 v44, v44, v45
	s_waitcnt vmcnt(11) lgkmcnt(0)
	v_mul_f32_e32 v45, v40, v109
	s_waitcnt vmcnt(10)
	v_fmac_f32_e32 v45, v41, v110
	s_waitcnt vmcnt(9)
	v_mul_f32_e32 v49, v42, v111
	v_add_f32_e32 v48, v44, v45
	s_waitcnt vmcnt(8)
	v_fmac_f32_e32 v49, v43, v112
	ds_read2_b64 v[44:47], v1 offset0:113 offset1:114
	v_add_f32_e32 v55, v48, v49
	ds_read2_b64 v[48:51], v1 offset0:115 offset1:116
	buffer_load_dword v61, off, s[0:3], 0 offset:460
	buffer_load_dword v60, off, s[0:3], 0 offset:456
	;; [unrolled: 1-line block ×14, first 2 shown]
	v_mul_f32_e32 v5, v5, v54
	v_fma_f32 v4, v4, v84, -v5
	v_mul_f32_e32 v5, v7, v56
	v_add_f32_e32 v4, 0, v4
	v_fma_f32 v5, v6, v85, -v5
	v_add_f32_e32 v4, v4, v5
	v_mul_f32_e32 v5, v9, v58
	v_fma_f32 v5, v8, v86, -v5
	v_add_f32_e32 v4, v4, v5
	v_mul_f32_e32 v5, v11, v74
	;; [unrolled: 3-line block ×18, first 2 shown]
	v_fma_f32 v5, v42, v112, -v5
	s_waitcnt vmcnt(21) lgkmcnt(1)
	v_mul_f32_e32 v57, v44, v113
	v_add_f32_e32 v54, v4, v5
	v_mul_f32_e32 v4, v45, v113
	s_waitcnt vmcnt(20)
	v_fmac_f32_e32 v57, v45, v114
	s_waitcnt vmcnt(15)
	v_mov_b32_e32 v18, v53
	s_waitcnt lgkmcnt(0)
	v_pk_mul_f32 v[18:19], v[48:49], v[18:19] op_sel_hi:[1,0]
	v_mul_f32_e32 v59, v46, v115
	v_fma_f32 v56, v44, v114, -v4
	v_mul_f32_e32 v4, v47, v115
	s_waitcnt vmcnt(14)
	v_pk_fma_f32 v[20:21], v[48:49], v[52:53], v[18:19] op_sel:[0,0,1] op_sel_hi:[1,1,0] neg_lo:[0,0,1] neg_hi:[0,0,1]
	v_pk_fma_f32 v[18:19], v[48:49], v[52:53], v[18:19] op_sel:[0,0,1] op_sel_hi:[1,0,0]
	v_fmac_f32_e32 v59, v47, v116
	v_fma_f32 v58, v46, v116, -v4
	v_pk_add_f32 v[16:17], v[54:55], v[56:57]
	s_waitcnt vmcnt(7)
	v_mov_b32_e32 v18, v67
	ds_read2_b64 v[4:7], v1 offset0:117 offset1:118
	ds_read2_b64 v[8:11], v1 offset0:119 offset1:120
	;; [unrolled: 1-line block ×3, first 2 shown]
	v_pk_add_f32 v[16:17], v[16:17], v[58:59]
	v_mov_b32_e32 v21, v19
	v_pk_mul_f32 v[18:19], v[50:51], v[18:19] op_sel_hi:[1,0]
	v_pk_add_f32 v[16:17], v[16:17], v[20:21]
	s_waitcnt vmcnt(6)
	v_pk_fma_f32 v[20:21], v[50:51], v[66:67], v[18:19] op_sel:[0,0,1] op_sel_hi:[1,1,0] neg_lo:[0,0,1] neg_hi:[0,0,1]
	v_pk_fma_f32 v[18:19], v[50:51], v[66:67], v[18:19] op_sel:[0,0,1] op_sel_hi:[1,0,0]
	v_mov_b32_e32 v18, v65
	v_mov_b32_e32 v21, v19
	s_waitcnt lgkmcnt(2)
	v_pk_mul_f32 v[18:19], v[4:5], v[18:19] op_sel_hi:[1,0]
	v_pk_add_f32 v[16:17], v[16:17], v[20:21]
	v_pk_fma_f32 v[20:21], v[4:5], v[64:65], v[18:19] op_sel:[0,0,1] op_sel_hi:[1,1,0] neg_lo:[0,0,1] neg_hi:[0,0,1]
	v_pk_fma_f32 v[4:5], v[4:5], v[64:65], v[18:19] op_sel:[0,0,1] op_sel_hi:[1,0,0]
	v_mov_b32_e32 v21, v5
	v_pk_add_f32 v[4:5], v[16:17], v[20:21]
	v_mov_b32_e32 v16, v63
	v_pk_mul_f32 v[16:17], v[6:7], v[16:17] op_sel_hi:[1,0]
	v_pk_fma_f32 v[18:19], v[6:7], v[62:63], v[16:17] op_sel:[0,0,1] op_sel_hi:[1,1,0] neg_lo:[0,0,1] neg_hi:[0,0,1]
	v_pk_fma_f32 v[6:7], v[6:7], v[62:63], v[16:17] op_sel:[0,0,1] op_sel_hi:[1,0,0]
	v_mov_b32_e32 v6, v61
	v_mov_b32_e32 v19, v7
	s_waitcnt lgkmcnt(1)
	v_pk_mul_f32 v[6:7], v[8:9], v[6:7] op_sel_hi:[1,0]
	v_pk_fma_f32 v[16:17], v[8:9], v[60:61], v[6:7] op_sel:[0,0,1] op_sel_hi:[1,1,0] neg_lo:[0,0,1] neg_hi:[0,0,1]
	v_pk_fma_f32 v[6:7], v[8:9], v[60:61], v[6:7] op_sel:[0,0,1] op_sel_hi:[1,0,0]
	s_waitcnt vmcnt(1)
	v_mov_b32_e32 v6, v73
	v_mov_b32_e32 v17, v7
	v_pk_mul_f32 v[6:7], v[10:11], v[6:7] op_sel_hi:[1,0]
	s_waitcnt vmcnt(0)
	v_pk_fma_f32 v[8:9], v[10:11], v[72:73], v[6:7] op_sel:[0,0,1] op_sel_hi:[1,1,0] neg_lo:[0,0,1] neg_hi:[0,0,1]
	v_pk_fma_f32 v[6:7], v[10:11], v[72:73], v[6:7] op_sel:[0,0,1] op_sel_hi:[1,0,0]
	v_pk_add_f32 v[4:5], v[4:5], v[18:19]
	v_mov_b32_e32 v6, v71
	v_pk_add_f32 v[4:5], v[4:5], v[16:17]
	v_mov_b32_e32 v9, v7
	s_waitcnt lgkmcnt(0)
	v_pk_mul_f32 v[6:7], v[12:13], v[6:7] op_sel_hi:[1,0]
	v_pk_add_f32 v[4:5], v[4:5], v[8:9]
	v_pk_fma_f32 v[8:9], v[12:13], v[70:71], v[6:7] op_sel:[0,0,1] op_sel_hi:[1,1,0] neg_lo:[0,0,1] neg_hi:[0,0,1]
	v_pk_fma_f32 v[6:7], v[12:13], v[70:71], v[6:7] op_sel:[0,0,1] op_sel_hi:[1,0,0]
	v_mov_b32_e32 v6, v69
	v_mov_b32_e32 v9, v7
	v_pk_mul_f32 v[6:7], v[14:15], v[6:7] op_sel_hi:[1,0]
	v_pk_add_f32 v[4:5], v[4:5], v[8:9]
	v_pk_fma_f32 v[8:9], v[14:15], v[68:69], v[6:7] op_sel:[0,0,1] op_sel_hi:[1,1,0] neg_lo:[0,0,1] neg_hi:[0,0,1]
	v_pk_fma_f32 v[6:7], v[14:15], v[68:69], v[6:7] op_sel:[0,0,1] op_sel_hi:[1,0,0]
	v_mov_b32_e32 v9, v7
	v_pk_add_f32 v[4:5], v[4:5], v[8:9]
	v_pk_add_f32 v[2:3], v[2:3], v[4:5] neg_lo:[0,1] neg_hi:[0,1]
	buffer_store_dword v3, off, s[0:3], 0 offset:244
	buffer_store_dword v2, off, s[0:3], 0 offset:240
	s_and_saveexec_b64 s[4:5], vcc
	s_cbranch_execz .LBB124_321
; %bb.320:
	buffer_load_dword v2, off, s[0:3], 0 offset:232
	buffer_load_dword v3, off, s[0:3], 0 offset:236
	v_mov_b32_e32 v1, 0
	buffer_store_dword v1, off, s[0:3], 0 offset:232
	buffer_store_dword v1, off, s[0:3], 0 offset:236
	s_waitcnt vmcnt(2)
	ds_write_b64 v199, v[2:3]
.LBB124_321:
	s_or_b64 exec, exec, s[4:5]
	s_waitcnt lgkmcnt(0)
	; wave barrier
	s_waitcnt lgkmcnt(0)
	buffer_load_dword v52, off, s[0:3], 0 offset:244
	buffer_load_dword v54, off, s[0:3], 0 offset:252
	;; [unrolled: 1-line block ×48, first 2 shown]
	v_mov_b32_e32 v1, 0
	ds_read_b128 v[4:7], v1 offset:736
	ds_read_b128 v[8:11], v1 offset:752
	ds_read_b128 v[12:15], v1 offset:768
	ds_read_b128 v[16:19], v1 offset:784
	ds_read_b128 v[20:23], v1 offset:800
	ds_read_b128 v[24:27], v1 offset:816
	v_cmp_lt_u32_e32 vcc, 28, v0
	s_waitcnt vmcnt(47) lgkmcnt(5)
	v_mul_f32_e32 v28, v4, v52
	s_waitcnt vmcnt(46)
	v_mul_f32_e32 v29, v6, v54
	s_waitcnt vmcnt(45) lgkmcnt(4)
	v_mul_f32_e32 v30, v8, v56
	s_waitcnt vmcnt(44)
	v_mul_f32_e32 v31, v10, v74
	;; [unrolled: 4-line block ×6, first 2 shown]
	s_waitcnt vmcnt(35)
	v_fmac_f32_e32 v28, v5, v83
	s_waitcnt vmcnt(34)
	v_fmac_f32_e32 v29, v7, v84
	v_add_f32_e32 v28, 0, v28
	s_waitcnt vmcnt(33)
	v_fmac_f32_e32 v30, v9, v85
	v_add_f32_e32 v28, v28, v29
	;; [unrolled: 3-line block ×8, first 2 shown]
	v_add_f32_e32 v32, v28, v36
	ds_read_b128 v[28:31], v1 offset:832
	s_waitcnt vmcnt(26)
	v_fmac_f32_e32 v37, v23, v92
	s_waitcnt vmcnt(25)
	v_fmac_f32_e32 v38, v25, v93
	v_add_f32_e32 v32, v32, v37
	s_waitcnt vmcnt(24)
	v_fmac_f32_e32 v39, v27, v94
	v_add_f32_e32 v32, v32, v38
	v_add_f32_e32 v36, v32, v39
	ds_read_b128 v[32:35], v1 offset:848
	s_waitcnt vmcnt(23) lgkmcnt(1)
	v_mul_f32_e32 v37, v28, v95
	s_waitcnt vmcnt(22)
	v_fmac_f32_e32 v37, v29, v96
	v_add_f32_e32 v36, v36, v37
	s_waitcnt vmcnt(21)
	v_mul_f32_e32 v37, v30, v97
	s_waitcnt vmcnt(20)
	v_fmac_f32_e32 v37, v31, v98
	v_add_f32_e32 v36, v36, v37
	s_waitcnt vmcnt(19) lgkmcnt(0)
	v_mul_f32_e32 v37, v32, v99
	s_waitcnt vmcnt(18)
	v_fmac_f32_e32 v37, v33, v100
	v_add_f32_e32 v40, v36, v37
	ds_read_b128 v[36:39], v1 offset:864
	s_waitcnt vmcnt(17)
	v_mul_f32_e32 v41, v34, v101
	s_waitcnt vmcnt(16)
	v_fmac_f32_e32 v41, v35, v104
	v_add_f32_e32 v44, v40, v41
	ds_read_b128 v[40:43], v1 offset:880
	s_waitcnt vmcnt(15) lgkmcnt(1)
	v_mul_f32_e32 v45, v36, v105
	s_waitcnt vmcnt(14)
	v_fmac_f32_e32 v45, v37, v106
	v_add_f32_e32 v44, v44, v45
	s_waitcnt vmcnt(13)
	v_mul_f32_e32 v45, v38, v107
	s_waitcnt vmcnt(12)
	v_fmac_f32_e32 v45, v39, v108
	v_add_f32_e32 v44, v44, v45
	s_waitcnt vmcnt(11) lgkmcnt(0)
	v_mul_f32_e32 v45, v40, v109
	s_waitcnt vmcnt(10)
	v_fmac_f32_e32 v45, v41, v110
	s_waitcnt vmcnt(9)
	v_mul_f32_e32 v49, v42, v111
	v_add_f32_e32 v48, v44, v45
	s_waitcnt vmcnt(8)
	v_fmac_f32_e32 v49, v43, v112
	ds_read_b128 v[44:47], v1 offset:896
	v_add_f32_e32 v53, v48, v49
	ds_read_b128 v[48:51], v1 offset:912
	buffer_load_dword v59, off, s[0:3], 0 offset:452
	buffer_load_dword v58, off, s[0:3], 0 offset:448
	;; [unrolled: 1-line block ×16, first 2 shown]
	v_mul_f32_e32 v5, v5, v52
	v_fma_f32 v4, v4, v83, -v5
	v_mul_f32_e32 v5, v7, v54
	v_add_f32_e32 v4, 0, v4
	v_fma_f32 v5, v6, v84, -v5
	v_add_f32_e32 v4, v4, v5
	v_mul_f32_e32 v5, v9, v56
	v_fma_f32 v5, v8, v85, -v5
	v_add_f32_e32 v4, v4, v5
	v_mul_f32_e32 v5, v11, v74
	v_fma_f32 v5, v10, v86, -v5
	v_add_f32_e32 v4, v4, v5
	v_mul_f32_e32 v5, v13, v75
	v_fma_f32 v5, v12, v87, -v5
	v_add_f32_e32 v4, v4, v5
	v_mul_f32_e32 v5, v15, v76
	v_fma_f32 v5, v14, v88, -v5
	v_add_f32_e32 v4, v4, v5
	v_mul_f32_e32 v5, v17, v77
	v_fma_f32 v5, v16, v89, -v5
	v_add_f32_e32 v4, v4, v5
	v_mul_f32_e32 v5, v19, v78
	v_fma_f32 v5, v18, v90, -v5
	v_add_f32_e32 v4, v4, v5
	v_mul_f32_e32 v5, v21, v79
	v_fma_f32 v5, v20, v91, -v5
	v_add_f32_e32 v4, v4, v5
	v_mul_f32_e32 v5, v23, v80
	v_fma_f32 v5, v22, v92, -v5
	v_add_f32_e32 v4, v4, v5
	v_mul_f32_e32 v5, v25, v81
	v_fma_f32 v5, v24, v93, -v5
	v_add_f32_e32 v4, v4, v5
	v_mul_f32_e32 v5, v27, v82
	v_fma_f32 v5, v26, v94, -v5
	v_add_f32_e32 v4, v4, v5
	v_mul_f32_e32 v5, v29, v95
	v_fma_f32 v5, v28, v96, -v5
	v_add_f32_e32 v4, v4, v5
	v_mul_f32_e32 v5, v31, v97
	v_fma_f32 v5, v30, v98, -v5
	v_add_f32_e32 v4, v4, v5
	v_mul_f32_e32 v5, v33, v99
	v_fma_f32 v5, v32, v100, -v5
	v_add_f32_e32 v4, v4, v5
	v_mul_f32_e32 v5, v35, v101
	v_fma_f32 v5, v34, v104, -v5
	v_add_f32_e32 v4, v4, v5
	v_mul_f32_e32 v5, v37, v105
	v_fma_f32 v5, v36, v106, -v5
	v_add_f32_e32 v4, v4, v5
	v_mul_f32_e32 v5, v39, v107
	v_fma_f32 v5, v38, v108, -v5
	v_add_f32_e32 v4, v4, v5
	v_mul_f32_e32 v5, v41, v109
	v_fma_f32 v5, v40, v110, -v5
	v_add_f32_e32 v4, v4, v5
	v_mul_f32_e32 v5, v43, v111
	v_fma_f32 v5, v42, v112, -v5
	v_add_f32_e32 v4, v4, v5
	s_waitcnt vmcnt(22) lgkmcnt(1)
	v_mul_f32_e32 v5, v45, v114
	v_mul_f32_e32 v55, v44, v114
	v_fma_f32 v5, v44, v113, -v5
	v_fmac_f32_e32 v55, v45, v113
	v_add_f32_e32 v52, v4, v5
	s_waitcnt vmcnt(19)
	v_mul_f32_e32 v4, v47, v115
	v_add_f32_e32 v53, v53, v55
	v_mul_f32_e32 v55, v46, v115
	s_waitcnt vmcnt(18)
	v_fma_f32 v54, v46, v116, -v4
	s_waitcnt vmcnt(17) lgkmcnt(0)
	v_mul_f32_e32 v4, v49, v117
	s_waitcnt vmcnt(9)
	v_mov_b32_e32 v20, v65
	v_pk_mul_f32 v[20:21], v[50:51], v[20:21] op_sel_hi:[1,0]
	v_fmac_f32_e32 v55, v47, v116
	v_mul_f32_e32 v57, v48, v117
	v_fma_f32 v56, v48, v118, -v4
	ds_read_b128 v[4:7], v1 offset:928
	ds_read_b128 v[8:11], v1 offset:944
	ds_read_b128 v[12:15], v1 offset:960
	ds_read_b64 v[16:17], v1 offset:976
	s_waitcnt vmcnt(8)
	v_pk_fma_f32 v[22:23], v[50:51], v[64:65], v[20:21] op_sel:[0,0,1] op_sel_hi:[1,1,0] neg_lo:[0,0,1] neg_hi:[0,0,1]
	v_pk_fma_f32 v[20:21], v[50:51], v[64:65], v[20:21] op_sel:[0,0,1] op_sel_hi:[1,0,0]
	v_fmac_f32_e32 v57, v49, v118
	v_pk_add_f32 v[18:19], v[52:53], v[54:55]
	v_mov_b32_e32 v20, v63
	v_pk_add_f32 v[18:19], v[18:19], v[56:57]
	v_mov_b32_e32 v23, v21
	s_waitcnt lgkmcnt(3)
	v_pk_mul_f32 v[20:21], v[4:5], v[20:21] op_sel_hi:[1,0]
	v_pk_add_f32 v[18:19], v[18:19], v[22:23]
	v_pk_fma_f32 v[22:23], v[4:5], v[62:63], v[20:21] op_sel:[0,0,1] op_sel_hi:[1,1,0] neg_lo:[0,0,1] neg_hi:[0,0,1]
	v_pk_fma_f32 v[4:5], v[4:5], v[62:63], v[20:21] op_sel:[0,0,1] op_sel_hi:[1,0,0]
	v_mov_b32_e32 v23, v5
	v_pk_add_f32 v[4:5], v[18:19], v[22:23]
	v_mov_b32_e32 v18, v61
	v_pk_mul_f32 v[18:19], v[6:7], v[18:19] op_sel_hi:[1,0]
	v_pk_fma_f32 v[20:21], v[6:7], v[60:61], v[18:19] op_sel:[0,0,1] op_sel_hi:[1,1,0] neg_lo:[0,0,1] neg_hi:[0,0,1]
	v_pk_fma_f32 v[6:7], v[6:7], v[60:61], v[18:19] op_sel:[0,0,1] op_sel_hi:[1,0,0]
	v_mov_b32_e32 v6, v59
	v_mov_b32_e32 v21, v7
	s_waitcnt lgkmcnt(2)
	v_pk_mul_f32 v[6:7], v[8:9], v[6:7] op_sel_hi:[1,0]
	v_pk_fma_f32 v[18:19], v[8:9], v[58:59], v[6:7] op_sel:[0,0,1] op_sel_hi:[1,1,0] neg_lo:[0,0,1] neg_hi:[0,0,1]
	v_pk_fma_f32 v[6:7], v[8:9], v[58:59], v[6:7] op_sel:[0,0,1] op_sel_hi:[1,0,0]
	s_waitcnt vmcnt(1)
	v_mov_b32_e32 v6, v73
	v_mov_b32_e32 v19, v7
	v_pk_mul_f32 v[6:7], v[10:11], v[6:7] op_sel_hi:[1,0]
	s_waitcnt vmcnt(0)
	v_pk_fma_f32 v[8:9], v[10:11], v[72:73], v[6:7] op_sel:[0,0,1] op_sel_hi:[1,1,0] neg_lo:[0,0,1] neg_hi:[0,0,1]
	v_pk_fma_f32 v[6:7], v[10:11], v[72:73], v[6:7] op_sel:[0,0,1] op_sel_hi:[1,0,0]
	v_pk_add_f32 v[4:5], v[4:5], v[20:21]
	v_mov_b32_e32 v6, v71
	v_pk_add_f32 v[4:5], v[4:5], v[18:19]
	v_mov_b32_e32 v9, v7
	s_waitcnt lgkmcnt(1)
	v_pk_mul_f32 v[6:7], v[12:13], v[6:7] op_sel_hi:[1,0]
	v_pk_add_f32 v[4:5], v[4:5], v[8:9]
	v_pk_fma_f32 v[8:9], v[12:13], v[70:71], v[6:7] op_sel:[0,0,1] op_sel_hi:[1,1,0] neg_lo:[0,0,1] neg_hi:[0,0,1]
	v_pk_fma_f32 v[6:7], v[12:13], v[70:71], v[6:7] op_sel:[0,0,1] op_sel_hi:[1,0,0]
	v_mov_b32_e32 v6, v69
	v_mov_b32_e32 v9, v7
	v_pk_mul_f32 v[6:7], v[14:15], v[6:7] op_sel_hi:[1,0]
	v_pk_add_f32 v[4:5], v[4:5], v[8:9]
	v_pk_fma_f32 v[8:9], v[14:15], v[68:69], v[6:7] op_sel:[0,0,1] op_sel_hi:[1,1,0] neg_lo:[0,0,1] neg_hi:[0,0,1]
	v_pk_fma_f32 v[6:7], v[14:15], v[68:69], v[6:7] op_sel:[0,0,1] op_sel_hi:[1,0,0]
	v_mov_b32_e32 v6, v67
	v_mov_b32_e32 v9, v7
	s_waitcnt lgkmcnt(0)
	v_pk_mul_f32 v[6:7], v[16:17], v[6:7] op_sel_hi:[1,0]
	v_pk_add_f32 v[4:5], v[4:5], v[8:9]
	v_pk_fma_f32 v[8:9], v[16:17], v[66:67], v[6:7] op_sel:[0,0,1] op_sel_hi:[1,1,0] neg_lo:[0,0,1] neg_hi:[0,0,1]
	v_pk_fma_f32 v[6:7], v[16:17], v[66:67], v[6:7] op_sel:[0,0,1] op_sel_hi:[1,0,0]
	v_mov_b32_e32 v9, v7
	v_pk_add_f32 v[4:5], v[4:5], v[8:9]
	v_pk_add_f32 v[2:3], v[2:3], v[4:5] neg_lo:[0,1] neg_hi:[0,1]
	buffer_store_dword v3, off, s[0:3], 0 offset:236
	buffer_store_dword v2, off, s[0:3], 0 offset:232
	s_and_saveexec_b64 s[4:5], vcc
	s_cbranch_execz .LBB124_323
; %bb.322:
	buffer_load_dword v2, off, s[0:3], 0 offset:224
	buffer_load_dword v3, off, s[0:3], 0 offset:228
	s_waitcnt vmcnt(0)
	ds_write_b64 v199, v[2:3]
	buffer_store_dword v1, off, s[0:3], 0 offset:224
	buffer_store_dword v1, off, s[0:3], 0 offset:228
.LBB124_323:
	s_or_b64 exec, exec, s[4:5]
	s_waitcnt lgkmcnt(0)
	; wave barrier
	s_waitcnt lgkmcnt(0)
	buffer_load_dword v52, off, s[0:3], 0 offset:236
	buffer_load_dword v54, off, s[0:3], 0 offset:244
	;; [unrolled: 1-line block ×48, first 2 shown]
	ds_read2_b64 v[4:7], v1 offset0:91 offset1:92
	ds_read2_b64 v[8:11], v1 offset0:93 offset1:94
	;; [unrolled: 1-line block ×6, first 2 shown]
	buffer_load_dword v119, off, s[0:3], 0 offset:416
	buffer_load_dword v120, off, s[0:3], 0 offset:420
	v_cmp_lt_u32_e32 vcc, 27, v0
	s_waitcnt vmcnt(49) lgkmcnt(5)
	v_mul_f32_e32 v28, v4, v52
	s_waitcnt vmcnt(48)
	v_mul_f32_e32 v29, v6, v54
	s_waitcnt vmcnt(47) lgkmcnt(4)
	v_mul_f32_e32 v30, v8, v62
	s_waitcnt vmcnt(46)
	v_mul_f32_e32 v31, v10, v74
	;; [unrolled: 4-line block ×6, first 2 shown]
	s_waitcnt vmcnt(37)
	v_fmac_f32_e32 v28, v5, v83
	s_waitcnt vmcnt(36)
	v_fmac_f32_e32 v29, v7, v84
	v_add_f32_e32 v28, 0, v28
	s_waitcnt vmcnt(35)
	v_fmac_f32_e32 v30, v9, v85
	v_add_f32_e32 v28, v28, v29
	;; [unrolled: 3-line block ×9, first 2 shown]
	v_add_f32_e32 v32, v28, v37
	ds_read2_b64 v[28:31], v1 offset0:103 offset1:104
	s_waitcnt vmcnt(27)
	v_fmac_f32_e32 v38, v25, v93
	v_add_f32_e32 v32, v32, v38
	s_waitcnt vmcnt(26)
	v_fmac_f32_e32 v39, v27, v94
	v_add_f32_e32 v36, v32, v39
	ds_read2_b64 v[32:35], v1 offset0:105 offset1:106
	s_waitcnt vmcnt(25) lgkmcnt(1)
	v_mul_f32_e32 v37, v28, v95
	s_waitcnt vmcnt(24)
	v_fmac_f32_e32 v37, v29, v96
	v_add_f32_e32 v36, v36, v37
	s_waitcnt vmcnt(23)
	v_mul_f32_e32 v37, v30, v97
	s_waitcnt vmcnt(22)
	v_fmac_f32_e32 v37, v31, v98
	v_add_f32_e32 v36, v36, v37
	s_waitcnt vmcnt(21) lgkmcnt(0)
	v_mul_f32_e32 v37, v32, v99
	s_waitcnt vmcnt(20)
	v_fmac_f32_e32 v37, v33, v100
	v_add_f32_e32 v40, v36, v37
	ds_read2_b64 v[36:39], v1 offset0:107 offset1:108
	s_waitcnt vmcnt(19)
	v_mul_f32_e32 v41, v34, v101
	s_waitcnt vmcnt(18)
	v_fmac_f32_e32 v41, v35, v104
	v_add_f32_e32 v44, v40, v41
	ds_read2_b64 v[40:43], v1 offset0:109 offset1:110
	s_waitcnt vmcnt(17) lgkmcnt(1)
	v_mul_f32_e32 v45, v36, v105
	s_waitcnt vmcnt(16)
	v_fmac_f32_e32 v45, v37, v106
	v_add_f32_e32 v44, v44, v45
	s_waitcnt vmcnt(15)
	v_mul_f32_e32 v45, v38, v107
	s_waitcnt vmcnt(14)
	v_fmac_f32_e32 v45, v39, v108
	v_add_f32_e32 v44, v44, v45
	s_waitcnt vmcnt(13) lgkmcnt(0)
	v_mul_f32_e32 v45, v40, v109
	s_waitcnt vmcnt(12)
	v_fmac_f32_e32 v45, v41, v110
	s_waitcnt vmcnt(11)
	v_mul_f32_e32 v49, v42, v111
	v_add_f32_e32 v48, v44, v45
	s_waitcnt vmcnt(10)
	v_fmac_f32_e32 v49, v43, v112
	ds_read2_b64 v[44:47], v1 offset0:111 offset1:112
	v_add_f32_e32 v53, v48, v49
	ds_read2_b64 v[48:51], v1 offset0:113 offset1:114
	buffer_load_dword v57, off, s[0:3], 0 offset:444
	buffer_load_dword v56, off, s[0:3], 0 offset:440
	;; [unrolled: 1-line block ×16, first 2 shown]
	v_mul_f32_e32 v5, v5, v52
	v_fma_f32 v4, v4, v83, -v5
	v_mul_f32_e32 v5, v7, v54
	v_add_f32_e32 v4, 0, v4
	v_fma_f32 v5, v6, v84, -v5
	v_add_f32_e32 v4, v4, v5
	v_mul_f32_e32 v5, v9, v62
	v_fma_f32 v5, v8, v85, -v5
	v_add_f32_e32 v4, v4, v5
	v_mul_f32_e32 v5, v11, v74
	;; [unrolled: 3-line block ×18, first 2 shown]
	v_fma_f32 v5, v42, v112, -v5
	v_add_f32_e32 v4, v4, v5
	s_waitcnt vmcnt(23) lgkmcnt(1)
	v_mul_f32_e32 v5, v45, v113
	s_waitcnt vmcnt(22)
	v_fma_f32 v5, v44, v114, -v5
	v_add_f32_e32 v4, v4, v5
	s_waitcnt vmcnt(20)
	v_mul_f32_e32 v5, v47, v116
	v_mul_f32_e32 v55, v44, v113
	v_fma_f32 v5, v46, v115, -v5
	v_fmac_f32_e32 v55, v45, v114
	v_add_f32_e32 v52, v4, v5
	s_waitcnt vmcnt(18) lgkmcnt(0)
	v_mul_f32_e32 v4, v49, v118
	v_add_f32_e32 v53, v53, v55
	v_mul_f32_e32 v55, v46, v116
	v_fma_f32 v54, v48, v117, -v4
	s_waitcnt vmcnt(16)
	v_mul_f32_e32 v4, v51, v120
	v_fmac_f32_e32 v55, v47, v115
	v_fma_f32 v62, v50, v119, -v4
	ds_read2_b64 v[4:7], v1 offset0:115 offset1:116
	ds_read2_b64 v[8:11], v1 offset0:117 offset1:118
	;; [unrolled: 1-line block ×4, first 2 shown]
	v_add_f32_e32 v53, v53, v55
	v_mul_f32_e32 v55, v48, v118
	s_waitcnt vmcnt(11)
	v_mov_b32_e32 v22, v61
	v_fmac_f32_e32 v55, v49, v117
	v_mul_f32_e32 v63, v50, v120
	s_waitcnt lgkmcnt(3)
	v_pk_mul_f32 v[22:23], v[4:5], v[22:23] op_sel_hi:[1,0]
	v_fmac_f32_e32 v63, v51, v119
	v_pk_add_f32 v[20:21], v[52:53], v[54:55]
	s_waitcnt vmcnt(10)
	v_pk_fma_f32 v[24:25], v[4:5], v[60:61], v[22:23] op_sel:[0,0,1] op_sel_hi:[1,1,0] neg_lo:[0,0,1] neg_hi:[0,0,1]
	v_pk_fma_f32 v[4:5], v[4:5], v[60:61], v[22:23] op_sel:[0,0,1] op_sel_hi:[1,0,0]
	v_pk_add_f32 v[20:21], v[20:21], v[62:63]
	v_mov_b32_e32 v25, v5
	v_pk_add_f32 v[4:5], v[20:21], v[24:25]
	v_mov_b32_e32 v20, v59
	v_pk_mul_f32 v[20:21], v[6:7], v[20:21] op_sel_hi:[1,0]
	v_pk_fma_f32 v[22:23], v[6:7], v[58:59], v[20:21] op_sel:[0,0,1] op_sel_hi:[1,1,0] neg_lo:[0,0,1] neg_hi:[0,0,1]
	v_pk_fma_f32 v[6:7], v[6:7], v[58:59], v[20:21] op_sel:[0,0,1] op_sel_hi:[1,0,0]
	v_mov_b32_e32 v6, v57
	v_mov_b32_e32 v23, v7
	s_waitcnt lgkmcnt(2)
	v_pk_mul_f32 v[6:7], v[8:9], v[6:7] op_sel_hi:[1,0]
	v_pk_fma_f32 v[20:21], v[8:9], v[56:57], v[6:7] op_sel:[0,0,1] op_sel_hi:[1,1,0] neg_lo:[0,0,1] neg_hi:[0,0,1]
	v_pk_fma_f32 v[6:7], v[8:9], v[56:57], v[6:7] op_sel:[0,0,1] op_sel_hi:[1,0,0]
	s_waitcnt vmcnt(3)
	v_mov_b32_e32 v6, v71
	v_mov_b32_e32 v21, v7
	v_pk_mul_f32 v[6:7], v[10:11], v[6:7] op_sel_hi:[1,0]
	s_waitcnt vmcnt(2)
	v_pk_fma_f32 v[8:9], v[10:11], v[70:71], v[6:7] op_sel:[0,0,1] op_sel_hi:[1,1,0] neg_lo:[0,0,1] neg_hi:[0,0,1]
	v_pk_fma_f32 v[6:7], v[10:11], v[70:71], v[6:7] op_sel:[0,0,1] op_sel_hi:[1,0,0]
	v_pk_add_f32 v[4:5], v[4:5], v[22:23]
	v_mov_b32_e32 v6, v69
	v_pk_add_f32 v[4:5], v[4:5], v[20:21]
	v_mov_b32_e32 v9, v7
	s_waitcnt lgkmcnt(1)
	v_pk_mul_f32 v[6:7], v[12:13], v[6:7] op_sel_hi:[1,0]
	v_pk_add_f32 v[4:5], v[4:5], v[8:9]
	v_pk_fma_f32 v[8:9], v[12:13], v[68:69], v[6:7] op_sel:[0,0,1] op_sel_hi:[1,1,0] neg_lo:[0,0,1] neg_hi:[0,0,1]
	v_pk_fma_f32 v[6:7], v[12:13], v[68:69], v[6:7] op_sel:[0,0,1] op_sel_hi:[1,0,0]
	v_mov_b32_e32 v6, v67
	v_mov_b32_e32 v9, v7
	v_pk_mul_f32 v[6:7], v[14:15], v[6:7] op_sel_hi:[1,0]
	v_pk_add_f32 v[4:5], v[4:5], v[8:9]
	v_pk_fma_f32 v[8:9], v[14:15], v[66:67], v[6:7] op_sel:[0,0,1] op_sel_hi:[1,1,0] neg_lo:[0,0,1] neg_hi:[0,0,1]
	v_pk_fma_f32 v[6:7], v[14:15], v[66:67], v[6:7] op_sel:[0,0,1] op_sel_hi:[1,0,0]
	v_mov_b32_e32 v6, v65
	v_mov_b32_e32 v9, v7
	s_waitcnt lgkmcnt(0)
	v_pk_mul_f32 v[6:7], v[16:17], v[6:7] op_sel_hi:[1,0]
	v_pk_add_f32 v[4:5], v[4:5], v[8:9]
	v_pk_fma_f32 v[8:9], v[16:17], v[64:65], v[6:7] op_sel:[0,0,1] op_sel_hi:[1,1,0] neg_lo:[0,0,1] neg_hi:[0,0,1]
	v_pk_fma_f32 v[6:7], v[16:17], v[64:65], v[6:7] op_sel:[0,0,1] op_sel_hi:[1,0,0]
	s_waitcnt vmcnt(1)
	v_mov_b32_e32 v6, v73
	v_mov_b32_e32 v9, v7
	v_pk_mul_f32 v[6:7], v[18:19], v[6:7] op_sel_hi:[1,0]
	v_pk_add_f32 v[4:5], v[4:5], v[8:9]
	s_waitcnt vmcnt(0)
	v_pk_fma_f32 v[8:9], v[18:19], v[72:73], v[6:7] op_sel:[0,0,1] op_sel_hi:[1,1,0] neg_lo:[0,0,1] neg_hi:[0,0,1]
	v_pk_fma_f32 v[6:7], v[18:19], v[72:73], v[6:7] op_sel:[0,0,1] op_sel_hi:[1,0,0]
	v_mov_b32_e32 v9, v7
	v_pk_add_f32 v[4:5], v[4:5], v[8:9]
	v_pk_add_f32 v[2:3], v[2:3], v[4:5] neg_lo:[0,1] neg_hi:[0,1]
	buffer_store_dword v3, off, s[0:3], 0 offset:228
	buffer_store_dword v2, off, s[0:3], 0 offset:224
	s_and_saveexec_b64 s[4:5], vcc
	s_cbranch_execz .LBB124_325
; %bb.324:
	buffer_load_dword v2, off, s[0:3], 0 offset:216
	buffer_load_dword v3, off, s[0:3], 0 offset:220
	v_mov_b32_e32 v1, 0
	buffer_store_dword v1, off, s[0:3], 0 offset:216
	buffer_store_dword v1, off, s[0:3], 0 offset:220
	s_waitcnt vmcnt(2)
	ds_write_b64 v199, v[2:3]
.LBB124_325:
	s_or_b64 exec, exec, s[4:5]
	s_waitcnt lgkmcnt(0)
	; wave barrier
	s_waitcnt lgkmcnt(0)
	buffer_load_dword v60, off, s[0:3], 0 offset:228
	buffer_load_dword v66, off, s[0:3], 0 offset:236
	;; [unrolled: 1-line block ×52, first 2 shown]
	v_mov_b32_e32 v1, 0
	ds_read_b128 v[4:7], v1 offset:720
	ds_read_b128 v[8:11], v1 offset:736
	;; [unrolled: 1-line block ×6, first 2 shown]
	v_cmp_lt_u32_e32 vcc, 26, v0
	s_waitcnt vmcnt(51) lgkmcnt(5)
	v_mul_f32_e32 v28, v4, v60
	s_waitcnt vmcnt(50)
	v_mul_f32_e32 v29, v6, v66
	s_waitcnt vmcnt(49) lgkmcnt(4)
	v_mul_f32_e32 v30, v8, v68
	s_waitcnt vmcnt(48)
	v_mul_f32_e32 v31, v10, v82
	s_waitcnt vmcnt(47) lgkmcnt(3)
	v_mul_f32_e32 v32, v12, v83
	s_waitcnt vmcnt(46)
	v_mul_f32_e32 v33, v14, v84
	s_waitcnt vmcnt(45) lgkmcnt(2)
	v_mul_f32_e32 v34, v16, v85
	s_waitcnt vmcnt(44)
	v_mul_f32_e32 v35, v18, v86
	s_waitcnt vmcnt(43) lgkmcnt(1)
	v_mul_f32_e32 v36, v20, v87
	s_waitcnt vmcnt(42)
	v_mul_f32_e32 v37, v22, v88
	s_waitcnt vmcnt(41) lgkmcnt(0)
	v_mul_f32_e32 v38, v24, v89
	s_waitcnt vmcnt(40)
	v_fmac_f32_e32 v28, v5, v90
	s_waitcnt vmcnt(39)
	v_fmac_f32_e32 v29, v7, v91
	v_add_f32_e32 v28, 0, v28
	s_waitcnt vmcnt(38)
	v_fmac_f32_e32 v30, v9, v92
	v_add_f32_e32 v28, v28, v29
	;; [unrolled: 3-line block ×9, first 2 shown]
	v_add_f32_e32 v28, v28, v37
	s_waitcnt vmcnt(30)
	v_fmac_f32_e32 v38, v25, v100
	v_add_f32_e32 v32, v28, v38
	ds_read_b128 v[28:31], v1 offset:816
	s_waitcnt vmcnt(29)
	v_mul_f32_e32 v33, v26, v101
	s_waitcnt vmcnt(28)
	v_fmac_f32_e32 v33, v27, v104
	v_add_f32_e32 v36, v32, v33
	ds_read_b128 v[32:35], v1 offset:832
	s_waitcnt vmcnt(27) lgkmcnt(1)
	v_mul_f32_e32 v37, v28, v105
	s_waitcnt vmcnt(26)
	v_fmac_f32_e32 v37, v29, v106
	v_add_f32_e32 v36, v36, v37
	s_waitcnt vmcnt(25)
	v_mul_f32_e32 v37, v30, v107
	s_waitcnt vmcnt(24)
	v_fmac_f32_e32 v37, v31, v108
	v_add_f32_e32 v36, v36, v37
	s_waitcnt vmcnt(23) lgkmcnt(0)
	v_mul_f32_e32 v37, v32, v109
	s_waitcnt vmcnt(22)
	v_fmac_f32_e32 v37, v33, v110
	v_add_f32_e32 v40, v36, v37
	ds_read_b128 v[36:39], v1 offset:848
	s_waitcnt vmcnt(21)
	v_mul_f32_e32 v41, v34, v111
	s_waitcnt vmcnt(20)
	v_fmac_f32_e32 v41, v35, v112
	v_add_f32_e32 v44, v40, v41
	ds_read_b128 v[40:43], v1 offset:864
	s_waitcnt vmcnt(19) lgkmcnt(1)
	v_mul_f32_e32 v45, v36, v113
	s_waitcnt vmcnt(18)
	v_fmac_f32_e32 v45, v37, v114
	v_add_f32_e32 v44, v44, v45
	s_waitcnt vmcnt(17)
	v_mul_f32_e32 v45, v38, v115
	s_waitcnt vmcnt(16)
	v_fmac_f32_e32 v45, v39, v116
	v_add_f32_e32 v44, v44, v45
	s_waitcnt vmcnt(14) lgkmcnt(0)
	v_mul_f32_e32 v45, v40, v118
	v_fmac_f32_e32 v45, v41, v117
	v_add_f32_e32 v48, v44, v45
	ds_read_b128 v[44:47], v1 offset:880
	s_waitcnt vmcnt(10)
	v_mul_f32_e32 v49, v42, v120
	v_fmac_f32_e32 v49, v43, v119
	v_add_f32_e32 v52, v48, v49
	ds_read_b128 v[48:51], v1 offset:896
	s_waitcnt vmcnt(8) lgkmcnt(1)
	v_mul_f32_e32 v53, v44, v122
	v_fmac_f32_e32 v53, v45, v121
	v_add_f32_e32 v52, v52, v53
	s_waitcnt vmcnt(6)
	v_mul_f32_e32 v53, v46, v124
	v_fmac_f32_e32 v53, v47, v123
	v_add_f32_e32 v52, v52, v53
	s_waitcnt vmcnt(4) lgkmcnt(0)
	v_mul_f32_e32 v53, v48, v126
	v_fmac_f32_e32 v53, v49, v125
	v_add_f32_e32 v61, v52, v53
	ds_read_b128 v[52:55], v1 offset:912
	buffer_load_dword v63, off, s[0:3], 0 offset:436
	buffer_load_dword v62, off, s[0:3], 0 offset:432
	;; [unrolled: 1-line block ×4, first 2 shown]
	ds_read_b128 v[56:59], v1 offset:928
	buffer_load_dword v71, off, s[0:3], 0 offset:468
	buffer_load_dword v70, off, s[0:3], 0 offset:464
	;; [unrolled: 1-line block ×12, first 2 shown]
	v_mul_f32_e32 v5, v5, v60
	v_fma_f32 v4, v4, v90, -v5
	v_mul_f32_e32 v5, v7, v66
	v_add_f32_e32 v4, 0, v4
	v_fma_f32 v5, v6, v91, -v5
	v_add_f32_e32 v4, v4, v5
	v_mul_f32_e32 v5, v9, v68
	v_fma_f32 v5, v8, v92, -v5
	v_add_f32_e32 v4, v4, v5
	v_mul_f32_e32 v5, v11, v82
	;; [unrolled: 3-line block ×21, first 2 shown]
	v_fma_f32 v5, v48, v125, -v5
	s_waitcnt vmcnt(18)
	v_mul_f32_e32 v67, v50, v128
	v_add_f32_e32 v60, v4, v5
	v_mul_f32_e32 v4, v51, v128
	v_fmac_f32_e32 v67, v51, v127
	s_waitcnt vmcnt(16) lgkmcnt(1)
	v_mul_f32_e32 v69, v52, v130
	v_fma_f32 v66, v50, v127, -v4
	v_mul_f32_e32 v4, v53, v130
	v_fmac_f32_e32 v69, v53, v129
	s_waitcnt vmcnt(13)
	v_mov_b32_e32 v16, v65
	v_pk_mul_f32 v[16:17], v[54:55], v[16:17] op_sel_hi:[1,0]
	s_waitcnt vmcnt(12)
	v_pk_fma_f32 v[18:19], v[54:55], v[64:65], v[16:17] op_sel:[0,0,1] op_sel_hi:[1,1,0] neg_lo:[0,0,1] neg_hi:[0,0,1]
	v_pk_fma_f32 v[16:17], v[54:55], v[64:65], v[16:17] op_sel:[0,0,1] op_sel_hi:[1,0,0]
	v_fma_f32 v68, v52, v129, -v4
	v_pk_add_f32 v[14:15], v[60:61], v[66:67]
	v_mov_b32_e32 v16, v63
	v_pk_add_f32 v[14:15], v[14:15], v[68:69]
	v_mov_b32_e32 v19, v17
	s_waitcnt lgkmcnt(0)
	v_pk_mul_f32 v[16:17], v[56:57], v[16:17] op_sel_hi:[1,0]
	v_pk_add_f32 v[14:15], v[14:15], v[18:19]
	v_pk_fma_f32 v[18:19], v[56:57], v[62:63], v[16:17] op_sel:[0,0,1] op_sel_hi:[1,1,0] neg_lo:[0,0,1] neg_hi:[0,0,1]
	v_pk_fma_f32 v[16:17], v[56:57], v[62:63], v[16:17] op_sel:[0,0,1] op_sel_hi:[1,0,0]
	s_waitcnt vmcnt(5)
	v_mov_b32_e32 v16, v77
	ds_read_b128 v[4:7], v1 offset:944
	ds_read_b128 v[8:11], v1 offset:960
	ds_read_b64 v[12:13], v1 offset:976
	v_mov_b32_e32 v19, v17
	v_pk_mul_f32 v[16:17], v[58:59], v[16:17] op_sel_hi:[1,0]
	v_pk_add_f32 v[14:15], v[14:15], v[18:19]
	s_waitcnt vmcnt(4)
	v_pk_fma_f32 v[18:19], v[58:59], v[76:77], v[16:17] op_sel:[0,0,1] op_sel_hi:[1,1,0] neg_lo:[0,0,1] neg_hi:[0,0,1]
	v_pk_fma_f32 v[16:17], v[58:59], v[76:77], v[16:17] op_sel:[0,0,1] op_sel_hi:[1,0,0]
	v_mov_b32_e32 v16, v75
	v_mov_b32_e32 v19, v17
	s_waitcnt lgkmcnt(2)
	v_pk_mul_f32 v[16:17], v[4:5], v[16:17] op_sel_hi:[1,0]
	v_pk_add_f32 v[14:15], v[14:15], v[18:19]
	v_pk_fma_f32 v[18:19], v[4:5], v[74:75], v[16:17] op_sel:[0,0,1] op_sel_hi:[1,1,0] neg_lo:[0,0,1] neg_hi:[0,0,1]
	v_pk_fma_f32 v[4:5], v[4:5], v[74:75], v[16:17] op_sel:[0,0,1] op_sel_hi:[1,0,0]
	v_mov_b32_e32 v19, v5
	v_pk_add_f32 v[4:5], v[14:15], v[18:19]
	v_mov_b32_e32 v14, v73
	v_pk_mul_f32 v[14:15], v[6:7], v[14:15] op_sel_hi:[1,0]
	v_pk_fma_f32 v[16:17], v[6:7], v[72:73], v[14:15] op_sel:[0,0,1] op_sel_hi:[1,1,0] neg_lo:[0,0,1] neg_hi:[0,0,1]
	v_pk_fma_f32 v[6:7], v[6:7], v[72:73], v[14:15] op_sel:[0,0,1] op_sel_hi:[1,0,0]
	v_mov_b32_e32 v6, v71
	v_mov_b32_e32 v17, v7
	s_waitcnt lgkmcnt(1)
	v_pk_mul_f32 v[6:7], v[8:9], v[6:7] op_sel_hi:[1,0]
	v_pk_fma_f32 v[14:15], v[8:9], v[70:71], v[6:7] op_sel:[0,0,1] op_sel_hi:[1,1,0] neg_lo:[0,0,1] neg_hi:[0,0,1]
	v_pk_fma_f32 v[6:7], v[8:9], v[70:71], v[6:7] op_sel:[0,0,1] op_sel_hi:[1,0,0]
	s_waitcnt vmcnt(1)
	v_mov_b32_e32 v6, v81
	v_mov_b32_e32 v15, v7
	v_pk_mul_f32 v[6:7], v[10:11], v[6:7] op_sel_hi:[1,0]
	s_waitcnt vmcnt(0)
	v_pk_fma_f32 v[8:9], v[10:11], v[80:81], v[6:7] op_sel:[0,0,1] op_sel_hi:[1,1,0] neg_lo:[0,0,1] neg_hi:[0,0,1]
	v_pk_fma_f32 v[6:7], v[10:11], v[80:81], v[6:7] op_sel:[0,0,1] op_sel_hi:[1,0,0]
	v_pk_add_f32 v[4:5], v[4:5], v[16:17]
	v_mov_b32_e32 v6, v79
	v_pk_add_f32 v[4:5], v[4:5], v[14:15]
	v_mov_b32_e32 v9, v7
	s_waitcnt lgkmcnt(0)
	v_pk_mul_f32 v[6:7], v[12:13], v[6:7] op_sel_hi:[1,0]
	v_pk_add_f32 v[4:5], v[4:5], v[8:9]
	v_pk_fma_f32 v[8:9], v[12:13], v[78:79], v[6:7] op_sel:[0,0,1] op_sel_hi:[1,1,0] neg_lo:[0,0,1] neg_hi:[0,0,1]
	v_pk_fma_f32 v[6:7], v[12:13], v[78:79], v[6:7] op_sel:[0,0,1] op_sel_hi:[1,0,0]
	v_mov_b32_e32 v9, v7
	v_pk_add_f32 v[4:5], v[4:5], v[8:9]
	v_pk_add_f32 v[2:3], v[2:3], v[4:5] neg_lo:[0,1] neg_hi:[0,1]
	buffer_store_dword v3, off, s[0:3], 0 offset:220
	buffer_store_dword v2, off, s[0:3], 0 offset:216
	s_and_saveexec_b64 s[4:5], vcc
	s_cbranch_execz .LBB124_327
; %bb.326:
	buffer_load_dword v2, off, s[0:3], 0 offset:208
	buffer_load_dword v3, off, s[0:3], 0 offset:212
	s_waitcnt vmcnt(0)
	ds_write_b64 v199, v[2:3]
	buffer_store_dword v1, off, s[0:3], 0 offset:208
	buffer_store_dword v1, off, s[0:3], 0 offset:212
.LBB124_327:
	s_or_b64 exec, exec, s[4:5]
	s_waitcnt lgkmcnt(0)
	; wave barrier
	s_waitcnt lgkmcnt(0)
	buffer_load_dword v62, off, s[0:3], 0 offset:220
	buffer_load_dword v64, off, s[0:3], 0 offset:228
	;; [unrolled: 1-line block ×42, first 2 shown]
	ds_read2_b64 v[4:7], v1 offset0:89 offset1:90
	ds_read2_b64 v[8:11], v1 offset0:91 offset1:92
	buffer_load_dword v121, off, s[0:3], 0 offset:376
	buffer_load_dword v122, off, s[0:3], 0 offset:380
	ds_read2_b64 v[12:15], v1 offset0:93 offset1:94
	ds_read2_b64 v[16:19], v1 offset0:95 offset1:96
	buffer_load_dword v123, off, s[0:3], 0 offset:384
	buffer_load_dword v124, off, s[0:3], 0 offset:388
	;; [unrolled: 1-line block ×4, first 2 shown]
	ds_read2_b64 v[20:23], v1 offset0:97 offset1:98
	ds_read2_b64 v[24:27], v1 offset0:99 offset1:100
	buffer_load_dword v127, off, s[0:3], 0 offset:400
	buffer_load_dword v128, off, s[0:3], 0 offset:404
	;; [unrolled: 1-line block ×6, first 2 shown]
	v_cmp_lt_u32_e32 vcc, 25, v0
	s_waitcnt vmcnt(53) lgkmcnt(5)
	v_mul_f32_e32 v28, v4, v62
	s_waitcnt vmcnt(52)
	v_mul_f32_e32 v29, v6, v64
	s_waitcnt vmcnt(51) lgkmcnt(4)
	v_mul_f32_e32 v30, v8, v66
	s_waitcnt vmcnt(50)
	v_mul_f32_e32 v31, v10, v82
	;; [unrolled: 4-line block ×5, first 2 shown]
	s_waitcnt vmcnt(43)
	v_fmac_f32_e32 v28, v5, v89
	s_waitcnt vmcnt(42)
	v_fmac_f32_e32 v29, v7, v90
	v_add_f32_e32 v28, 0, v28
	s_waitcnt vmcnt(41)
	v_fmac_f32_e32 v30, v9, v91
	v_add_f32_e32 v28, v28, v29
	;; [unrolled: 3-line block ×9, first 2 shown]
	s_waitcnt vmcnt(33) lgkmcnt(0)
	v_mul_f32_e32 v29, v24, v99
	v_add_f32_e32 v28, v28, v37
	s_waitcnt vmcnt(32)
	v_fmac_f32_e32 v29, v25, v100
	v_add_f32_e32 v32, v28, v29
	ds_read2_b64 v[28:31], v1 offset0:101 offset1:102
	s_waitcnt vmcnt(31)
	v_mul_f32_e32 v33, v26, v101
	s_waitcnt vmcnt(30)
	v_fmac_f32_e32 v33, v27, v104
	v_add_f32_e32 v36, v32, v33
	ds_read2_b64 v[32:35], v1 offset0:103 offset1:104
	s_waitcnt vmcnt(29) lgkmcnt(1)
	v_mul_f32_e32 v37, v28, v105
	s_waitcnt vmcnt(28)
	v_fmac_f32_e32 v37, v29, v106
	v_add_f32_e32 v36, v36, v37
	s_waitcnt vmcnt(27)
	v_mul_f32_e32 v37, v30, v107
	s_waitcnt vmcnt(26)
	v_fmac_f32_e32 v37, v31, v108
	v_add_f32_e32 v36, v36, v37
	s_waitcnt vmcnt(25) lgkmcnt(0)
	v_mul_f32_e32 v37, v32, v109
	s_waitcnt vmcnt(24)
	v_fmac_f32_e32 v37, v33, v110
	v_add_f32_e32 v40, v36, v37
	ds_read2_b64 v[36:39], v1 offset0:105 offset1:106
	s_waitcnt vmcnt(23)
	v_mul_f32_e32 v41, v34, v111
	s_waitcnt vmcnt(22)
	v_fmac_f32_e32 v41, v35, v112
	v_add_f32_e32 v44, v40, v41
	ds_read2_b64 v[40:43], v1 offset0:107 offset1:108
	s_waitcnt vmcnt(21) lgkmcnt(1)
	v_mul_f32_e32 v45, v36, v113
	s_waitcnt vmcnt(20)
	v_fmac_f32_e32 v45, v37, v114
	v_add_f32_e32 v44, v44, v45
	s_waitcnt vmcnt(18)
	v_mul_f32_e32 v45, v38, v116
	v_fmac_f32_e32 v45, v39, v115
	v_add_f32_e32 v44, v44, v45
	s_waitcnt vmcnt(15) lgkmcnt(0)
	v_mul_f32_e32 v45, v40, v117
	s_waitcnt vmcnt(14)
	v_fmac_f32_e32 v45, v41, v118
	v_add_f32_e32 v48, v44, v45
	ds_read2_b64 v[44:47], v1 offset0:109 offset1:110
	s_waitcnt vmcnt(12)
	v_mul_f32_e32 v49, v42, v120
	v_fmac_f32_e32 v49, v43, v119
	v_add_f32_e32 v52, v48, v49
	ds_read2_b64 v[48:51], v1 offset0:111 offset1:112
	buffer_load_dword v61, off, s[0:3], 0 offset:428
	buffer_load_dword v60, off, s[0:3], 0 offset:424
	s_waitcnt vmcnt(12) lgkmcnt(1)
	v_mul_f32_e32 v53, v44, v122
	v_fmac_f32_e32 v53, v45, v121
	v_add_f32_e32 v52, v52, v53
	s_waitcnt vmcnt(10)
	v_mul_f32_e32 v53, v46, v124
	v_fmac_f32_e32 v53, v47, v123
	v_add_f32_e32 v52, v52, v53
	s_waitcnt vmcnt(8) lgkmcnt(0)
	v_mul_f32_e32 v53, v48, v126
	v_fmac_f32_e32 v53, v49, v125
	s_waitcnt vmcnt(6)
	v_mul_f32_e32 v57, v50, v128
	v_add_f32_e32 v56, v52, v53
	v_fmac_f32_e32 v57, v51, v127
	ds_read2_b64 v[52:55], v1 offset0:113 offset1:114
	v_add_f32_e32 v63, v56, v57
	ds_read2_b64 v[56:59], v1 offset0:115 offset1:116
	buffer_load_dword v69, off, s[0:3], 0 offset:460
	buffer_load_dword v68, off, s[0:3], 0 offset:456
	;; [unrolled: 1-line block ×14, first 2 shown]
	v_mul_f32_e32 v5, v5, v62
	v_fma_f32 v4, v4, v89, -v5
	v_mul_f32_e32 v5, v7, v64
	v_add_f32_e32 v4, 0, v4
	v_fma_f32 v5, v6, v90, -v5
	v_add_f32_e32 v4, v4, v5
	v_mul_f32_e32 v5, v9, v66
	v_fma_f32 v5, v8, v91, -v5
	v_add_f32_e32 v4, v4, v5
	v_mul_f32_e32 v5, v11, v82
	;; [unrolled: 3-line block ×22, first 2 shown]
	v_fma_f32 v5, v50, v127, -v5
	s_waitcnt vmcnt(15)
	v_mov_b32_e32 v18, v61
	s_waitcnt lgkmcnt(1)
	v_mul_f32_e32 v65, v52, v130
	v_add_f32_e32 v62, v4, v5
	v_mul_f32_e32 v4, v53, v130
	s_waitcnt lgkmcnt(0)
	v_pk_mul_f32 v[18:19], v[56:57], v[18:19] op_sel_hi:[1,0]
	v_fmac_f32_e32 v65, v53, v129
	v_mul_f32_e32 v67, v54, v132
	v_fma_f32 v64, v52, v129, -v4
	v_mul_f32_e32 v4, v55, v132
	s_waitcnt vmcnt(14)
	v_pk_fma_f32 v[20:21], v[56:57], v[60:61], v[18:19] op_sel:[0,0,1] op_sel_hi:[1,1,0] neg_lo:[0,0,1] neg_hi:[0,0,1]
	v_pk_fma_f32 v[18:19], v[56:57], v[60:61], v[18:19] op_sel:[0,0,1] op_sel_hi:[1,0,0]
	v_fmac_f32_e32 v67, v55, v131
	v_fma_f32 v66, v54, v131, -v4
	v_pk_add_f32 v[16:17], v[62:63], v[64:65]
	s_waitcnt vmcnt(7)
	v_mov_b32_e32 v18, v75
	ds_read2_b64 v[4:7], v1 offset0:117 offset1:118
	ds_read2_b64 v[8:11], v1 offset0:119 offset1:120
	;; [unrolled: 1-line block ×3, first 2 shown]
	v_pk_add_f32 v[16:17], v[16:17], v[66:67]
	v_mov_b32_e32 v21, v19
	v_pk_mul_f32 v[18:19], v[58:59], v[18:19] op_sel_hi:[1,0]
	v_pk_add_f32 v[16:17], v[16:17], v[20:21]
	s_waitcnt vmcnt(6)
	v_pk_fma_f32 v[20:21], v[58:59], v[74:75], v[18:19] op_sel:[0,0,1] op_sel_hi:[1,1,0] neg_lo:[0,0,1] neg_hi:[0,0,1]
	v_pk_fma_f32 v[18:19], v[58:59], v[74:75], v[18:19] op_sel:[0,0,1] op_sel_hi:[1,0,0]
	v_mov_b32_e32 v18, v73
	v_mov_b32_e32 v21, v19
	s_waitcnt lgkmcnt(2)
	v_pk_mul_f32 v[18:19], v[4:5], v[18:19] op_sel_hi:[1,0]
	v_pk_add_f32 v[16:17], v[16:17], v[20:21]
	v_pk_fma_f32 v[20:21], v[4:5], v[72:73], v[18:19] op_sel:[0,0,1] op_sel_hi:[1,1,0] neg_lo:[0,0,1] neg_hi:[0,0,1]
	v_pk_fma_f32 v[4:5], v[4:5], v[72:73], v[18:19] op_sel:[0,0,1] op_sel_hi:[1,0,0]
	v_mov_b32_e32 v21, v5
	v_pk_add_f32 v[4:5], v[16:17], v[20:21]
	v_mov_b32_e32 v16, v71
	v_pk_mul_f32 v[16:17], v[6:7], v[16:17] op_sel_hi:[1,0]
	v_pk_fma_f32 v[18:19], v[6:7], v[70:71], v[16:17] op_sel:[0,0,1] op_sel_hi:[1,1,0] neg_lo:[0,0,1] neg_hi:[0,0,1]
	v_pk_fma_f32 v[6:7], v[6:7], v[70:71], v[16:17] op_sel:[0,0,1] op_sel_hi:[1,0,0]
	v_mov_b32_e32 v6, v69
	v_mov_b32_e32 v19, v7
	s_waitcnt lgkmcnt(1)
	v_pk_mul_f32 v[6:7], v[8:9], v[6:7] op_sel_hi:[1,0]
	v_pk_fma_f32 v[16:17], v[8:9], v[68:69], v[6:7] op_sel:[0,0,1] op_sel_hi:[1,1,0] neg_lo:[0,0,1] neg_hi:[0,0,1]
	v_pk_fma_f32 v[6:7], v[8:9], v[68:69], v[6:7] op_sel:[0,0,1] op_sel_hi:[1,0,0]
	s_waitcnt vmcnt(1)
	v_mov_b32_e32 v6, v81
	v_mov_b32_e32 v17, v7
	v_pk_mul_f32 v[6:7], v[10:11], v[6:7] op_sel_hi:[1,0]
	s_waitcnt vmcnt(0)
	v_pk_fma_f32 v[8:9], v[10:11], v[80:81], v[6:7] op_sel:[0,0,1] op_sel_hi:[1,1,0] neg_lo:[0,0,1] neg_hi:[0,0,1]
	v_pk_fma_f32 v[6:7], v[10:11], v[80:81], v[6:7] op_sel:[0,0,1] op_sel_hi:[1,0,0]
	v_pk_add_f32 v[4:5], v[4:5], v[18:19]
	v_mov_b32_e32 v6, v79
	v_pk_add_f32 v[4:5], v[4:5], v[16:17]
	v_mov_b32_e32 v9, v7
	s_waitcnt lgkmcnt(0)
	v_pk_mul_f32 v[6:7], v[12:13], v[6:7] op_sel_hi:[1,0]
	v_pk_add_f32 v[4:5], v[4:5], v[8:9]
	v_pk_fma_f32 v[8:9], v[12:13], v[78:79], v[6:7] op_sel:[0,0,1] op_sel_hi:[1,1,0] neg_lo:[0,0,1] neg_hi:[0,0,1]
	v_pk_fma_f32 v[6:7], v[12:13], v[78:79], v[6:7] op_sel:[0,0,1] op_sel_hi:[1,0,0]
	v_mov_b32_e32 v6, v77
	v_mov_b32_e32 v9, v7
	v_pk_mul_f32 v[6:7], v[14:15], v[6:7] op_sel_hi:[1,0]
	v_pk_add_f32 v[4:5], v[4:5], v[8:9]
	v_pk_fma_f32 v[8:9], v[14:15], v[76:77], v[6:7] op_sel:[0,0,1] op_sel_hi:[1,1,0] neg_lo:[0,0,1] neg_hi:[0,0,1]
	v_pk_fma_f32 v[6:7], v[14:15], v[76:77], v[6:7] op_sel:[0,0,1] op_sel_hi:[1,0,0]
	v_mov_b32_e32 v9, v7
	v_pk_add_f32 v[4:5], v[4:5], v[8:9]
	v_pk_add_f32 v[2:3], v[2:3], v[4:5] neg_lo:[0,1] neg_hi:[0,1]
	buffer_store_dword v3, off, s[0:3], 0 offset:212
	buffer_store_dword v2, off, s[0:3], 0 offset:208
	s_and_saveexec_b64 s[4:5], vcc
	s_cbranch_execz .LBB124_329
; %bb.328:
	buffer_load_dword v2, off, s[0:3], 0 offset:200
	buffer_load_dword v3, off, s[0:3], 0 offset:204
	v_mov_b32_e32 v1, 0
	buffer_store_dword v1, off, s[0:3], 0 offset:200
	buffer_store_dword v1, off, s[0:3], 0 offset:204
	s_waitcnt vmcnt(2)
	ds_write_b64 v199, v[2:3]
.LBB124_329:
	s_or_b64 exec, exec, s[4:5]
	s_waitcnt lgkmcnt(0)
	; wave barrier
	s_waitcnt lgkmcnt(0)
	buffer_load_dword v60, off, s[0:3], 0 offset:212
	buffer_load_dword v62, off, s[0:3], 0 offset:220
	;; [unrolled: 1-line block ×56, first 2 shown]
	v_mov_b32_e32 v1, 0
	ds_read_b128 v[4:7], v1 offset:704
	ds_read_b128 v[8:11], v1 offset:720
	;; [unrolled: 1-line block ×6, first 2 shown]
	v_cmp_lt_u32_e32 vcc, 24, v0
	s_waitcnt vmcnt(55) lgkmcnt(5)
	v_mul_f32_e32 v28, v4, v60
	s_waitcnt vmcnt(54)
	v_mul_f32_e32 v29, v6, v62
	s_waitcnt vmcnt(53) lgkmcnt(4)
	v_mul_f32_e32 v31, v10, v64
	s_waitcnt vmcnt(52) lgkmcnt(3)
	v_mul_f32_e32 v32, v12, v82
	s_waitcnt vmcnt(51)
	v_mul_f32_e32 v33, v14, v83
	s_waitcnt vmcnt(50)
	v_mul_f32_e32 v30, v8, v84
	s_waitcnt vmcnt(49) lgkmcnt(2)
	v_mul_f32_e32 v34, v16, v85
	s_waitcnt vmcnt(48)
	v_mul_f32_e32 v35, v18, v86
	s_waitcnt vmcnt(47) lgkmcnt(1)
	v_mul_f32_e32 v36, v20, v87
	s_waitcnt vmcnt(46)
	v_fmac_f32_e32 v30, v9, v88
	s_waitcnt vmcnt(45)
	v_fmac_f32_e32 v29, v7, v89
	;; [unrolled: 2-line block ×3, first 2 shown]
	v_add_f32_e32 v28, 0, v28
	v_add_f32_e32 v28, v28, v29
	;; [unrolled: 1-line block ×3, first 2 shown]
	s_waitcnt vmcnt(40)
	v_fmac_f32_e32 v31, v11, v94
	v_fmac_f32_e32 v32, v13, v93
	v_add_f32_e32 v28, v28, v31
	v_fmac_f32_e32 v33, v15, v92
	v_add_f32_e32 v28, v28, v32
	;; [unrolled: 2-line block ×3, first 2 shown]
	s_waitcnt vmcnt(36)
	v_fmac_f32_e32 v35, v19, v98
	v_add_f32_e32 v28, v28, v34
	v_add_f32_e32 v28, v28, v35
	v_fmac_f32_e32 v36, v21, v97
	s_waitcnt vmcnt(35)
	v_mul_f32_e32 v29, v22, v99
	v_add_f32_e32 v28, v28, v36
	v_fmac_f32_e32 v29, v23, v96
	v_add_f32_e32 v28, v28, v29
	s_waitcnt vmcnt(34) lgkmcnt(0)
	v_mul_f32_e32 v29, v24, v100
	v_fmac_f32_e32 v29, v25, v95
	v_add_f32_e32 v32, v28, v29
	ds_read_b128 v[28:31], v1 offset:800
	s_waitcnt vmcnt(30)
	v_mul_f32_e32 v33, v26, v106
	s_waitcnt vmcnt(29)
	v_fmac_f32_e32 v33, v27, v107
	v_add_f32_e32 v36, v32, v33
	ds_read_b128 v[32:35], v1 offset:816
	s_waitcnt vmcnt(28) lgkmcnt(1)
	v_mul_f32_e32 v37, v28, v108
	v_fmac_f32_e32 v37, v29, v105
	v_add_f32_e32 v36, v36, v37
	s_waitcnt vmcnt(27)
	v_mul_f32_e32 v37, v30, v109
	v_fmac_f32_e32 v37, v31, v104
	v_add_f32_e32 v36, v36, v37
	s_waitcnt vmcnt(26) lgkmcnt(0)
	v_mul_f32_e32 v37, v32, v110
	v_fmac_f32_e32 v37, v33, v101
	v_add_f32_e32 v40, v36, v37
	ds_read_b128 v[36:39], v1 offset:832
	s_waitcnt vmcnt(24)
	v_mul_f32_e32 v41, v34, v112
	v_fmac_f32_e32 v41, v35, v111
	v_add_f32_e32 v44, v40, v41
	ds_read_b128 v[40:43], v1 offset:848
	s_waitcnt vmcnt(20) lgkmcnt(1)
	v_mul_f32_e32 v45, v36, v114
	v_fmac_f32_e32 v45, v37, v113
	v_add_f32_e32 v44, v44, v45
	s_waitcnt vmcnt(18)
	v_mul_f32_e32 v45, v38, v116
	v_fmac_f32_e32 v45, v39, v115
	v_add_f32_e32 v44, v44, v45
	s_waitcnt vmcnt(16) lgkmcnt(0)
	v_mul_f32_e32 v45, v40, v118
	v_fmac_f32_e32 v45, v41, v117
	v_add_f32_e32 v48, v44, v45
	ds_read_b128 v[44:47], v1 offset:864
	s_waitcnt vmcnt(14)
	v_mul_f32_e32 v49, v42, v120
	v_fmac_f32_e32 v49, v43, v119
	v_add_f32_e32 v52, v48, v49
	ds_read_b128 v[48:51], v1 offset:880
	s_waitcnt vmcnt(12) lgkmcnt(1)
	v_mul_f32_e32 v53, v44, v122
	v_fmac_f32_e32 v53, v45, v121
	v_add_f32_e32 v52, v52, v53
	s_waitcnt vmcnt(10)
	v_mul_f32_e32 v53, v46, v124
	v_fmac_f32_e32 v53, v47, v123
	v_add_f32_e32 v52, v52, v53
	s_waitcnt vmcnt(8) lgkmcnt(0)
	v_mul_f32_e32 v53, v48, v126
	v_fmac_f32_e32 v53, v49, v125
	s_waitcnt vmcnt(6)
	v_mul_f32_e32 v57, v50, v128
	v_add_f32_e32 v56, v52, v53
	v_fmac_f32_e32 v57, v51, v127
	ds_read_b128 v[52:55], v1 offset:896
	v_add_f32_e32 v61, v56, v57
	ds_read_b128 v[56:59], v1 offset:912
	buffer_load_dword v67, off, s[0:3], 0 offset:452
	buffer_load_dword v66, off, s[0:3], 0 offset:448
	;; [unrolled: 1-line block ×16, first 2 shown]
	v_mul_f32_e32 v5, v5, v60
	v_fma_f32 v4, v4, v90, -v5
	v_mul_f32_e32 v5, v7, v62
	v_add_f32_e32 v4, 0, v4
	v_fma_f32 v5, v6, v89, -v5
	v_add_f32_e32 v4, v4, v5
	v_mul_f32_e32 v5, v9, v84
	v_fma_f32 v5, v8, v88, -v5
	v_add_f32_e32 v4, v4, v5
	v_mul_f32_e32 v5, v11, v64
	v_fma_f32 v5, v10, v94, -v5
	v_add_f32_e32 v4, v4, v5
	v_mul_f32_e32 v5, v13, v82
	v_fma_f32 v5, v12, v93, -v5
	v_add_f32_e32 v4, v4, v5
	v_mul_f32_e32 v5, v15, v83
	v_fma_f32 v5, v14, v92, -v5
	v_add_f32_e32 v4, v4, v5
	v_mul_f32_e32 v5, v17, v85
	v_fma_f32 v5, v16, v91, -v5
	v_add_f32_e32 v4, v4, v5
	v_mul_f32_e32 v5, v19, v86
	v_fma_f32 v5, v18, v98, -v5
	v_add_f32_e32 v4, v4, v5
	v_mul_f32_e32 v5, v21, v87
	v_fma_f32 v5, v20, v97, -v5
	v_add_f32_e32 v4, v4, v5
	v_mul_f32_e32 v5, v23, v99
	v_fma_f32 v5, v22, v96, -v5
	v_add_f32_e32 v4, v4, v5
	v_mul_f32_e32 v5, v25, v100
	v_fma_f32 v5, v24, v95, -v5
	v_add_f32_e32 v4, v4, v5
	v_mul_f32_e32 v5, v27, v106
	v_fma_f32 v5, v26, v107, -v5
	v_add_f32_e32 v4, v4, v5
	v_mul_f32_e32 v5, v29, v108
	v_fma_f32 v5, v28, v105, -v5
	v_add_f32_e32 v4, v4, v5
	v_mul_f32_e32 v5, v31, v109
	v_fma_f32 v5, v30, v104, -v5
	v_add_f32_e32 v4, v4, v5
	v_mul_f32_e32 v5, v33, v110
	v_fma_f32 v5, v32, v101, -v5
	v_add_f32_e32 v4, v4, v5
	v_mul_f32_e32 v5, v35, v112
	v_fma_f32 v5, v34, v111, -v5
	v_add_f32_e32 v4, v4, v5
	v_mul_f32_e32 v5, v37, v114
	v_fma_f32 v5, v36, v113, -v5
	v_add_f32_e32 v4, v4, v5
	v_mul_f32_e32 v5, v39, v116
	v_fma_f32 v5, v38, v115, -v5
	v_add_f32_e32 v4, v4, v5
	v_mul_f32_e32 v5, v41, v118
	v_fma_f32 v5, v40, v117, -v5
	v_add_f32_e32 v4, v4, v5
	v_mul_f32_e32 v5, v43, v120
	v_fma_f32 v5, v42, v119, -v5
	v_add_f32_e32 v4, v4, v5
	v_mul_f32_e32 v5, v45, v122
	v_fma_f32 v5, v44, v121, -v5
	v_add_f32_e32 v4, v4, v5
	v_mul_f32_e32 v5, v47, v124
	v_fma_f32 v5, v46, v123, -v5
	v_add_f32_e32 v4, v4, v5
	v_mul_f32_e32 v5, v49, v126
	v_fma_f32 v5, v48, v125, -v5
	v_add_f32_e32 v4, v4, v5
	v_mul_f32_e32 v5, v51, v128
	v_fma_f32 v5, v50, v127, -v5
	v_add_f32_e32 v4, v4, v5
	s_waitcnt vmcnt(20) lgkmcnt(1)
	v_mul_f32_e32 v5, v53, v130
	v_mul_f32_e32 v63, v52, v130
	v_fma_f32 v5, v52, v129, -v5
	v_fmac_f32_e32 v63, v53, v129
	v_add_f32_e32 v60, v4, v5
	s_waitcnt vmcnt(18)
	v_mul_f32_e32 v4, v55, v132
	s_waitcnt vmcnt(9)
	v_mov_b32_e32 v20, v73
	v_add_f32_e32 v61, v61, v63
	v_mul_f32_e32 v63, v54, v132
	v_fma_f32 v62, v54, v131, -v4
	s_waitcnt lgkmcnt(0)
	v_mul_f32_e32 v4, v57, v134
	v_pk_mul_f32 v[20:21], v[58:59], v[20:21] op_sel_hi:[1,0]
	v_fmac_f32_e32 v63, v55, v131
	v_mul_f32_e32 v65, v56, v134
	v_fma_f32 v64, v56, v133, -v4
	ds_read_b128 v[4:7], v1 offset:928
	ds_read_b128 v[8:11], v1 offset:944
	;; [unrolled: 1-line block ×3, first 2 shown]
	ds_read_b64 v[16:17], v1 offset:976
	s_waitcnt vmcnt(8)
	v_pk_fma_f32 v[22:23], v[58:59], v[72:73], v[20:21] op_sel:[0,0,1] op_sel_hi:[1,1,0] neg_lo:[0,0,1] neg_hi:[0,0,1]
	v_pk_fma_f32 v[20:21], v[58:59], v[72:73], v[20:21] op_sel:[0,0,1] op_sel_hi:[1,0,0]
	v_fmac_f32_e32 v65, v57, v133
	v_pk_add_f32 v[18:19], v[60:61], v[62:63]
	v_mov_b32_e32 v20, v71
	v_pk_add_f32 v[18:19], v[18:19], v[64:65]
	v_mov_b32_e32 v23, v21
	s_waitcnt lgkmcnt(3)
	v_pk_mul_f32 v[20:21], v[4:5], v[20:21] op_sel_hi:[1,0]
	v_pk_add_f32 v[18:19], v[18:19], v[22:23]
	v_pk_fma_f32 v[22:23], v[4:5], v[70:71], v[20:21] op_sel:[0,0,1] op_sel_hi:[1,1,0] neg_lo:[0,0,1] neg_hi:[0,0,1]
	v_pk_fma_f32 v[4:5], v[4:5], v[70:71], v[20:21] op_sel:[0,0,1] op_sel_hi:[1,0,0]
	v_mov_b32_e32 v23, v5
	v_pk_add_f32 v[4:5], v[18:19], v[22:23]
	v_mov_b32_e32 v18, v69
	v_pk_mul_f32 v[18:19], v[6:7], v[18:19] op_sel_hi:[1,0]
	v_pk_fma_f32 v[20:21], v[6:7], v[68:69], v[18:19] op_sel:[0,0,1] op_sel_hi:[1,1,0] neg_lo:[0,0,1] neg_hi:[0,0,1]
	v_pk_fma_f32 v[6:7], v[6:7], v[68:69], v[18:19] op_sel:[0,0,1] op_sel_hi:[1,0,0]
	v_mov_b32_e32 v6, v67
	v_mov_b32_e32 v21, v7
	s_waitcnt lgkmcnt(2)
	v_pk_mul_f32 v[6:7], v[8:9], v[6:7] op_sel_hi:[1,0]
	v_pk_fma_f32 v[18:19], v[8:9], v[66:67], v[6:7] op_sel:[0,0,1] op_sel_hi:[1,1,0] neg_lo:[0,0,1] neg_hi:[0,0,1]
	v_pk_fma_f32 v[6:7], v[8:9], v[66:67], v[6:7] op_sel:[0,0,1] op_sel_hi:[1,0,0]
	s_waitcnt vmcnt(1)
	v_mov_b32_e32 v6, v81
	v_mov_b32_e32 v19, v7
	v_pk_mul_f32 v[6:7], v[10:11], v[6:7] op_sel_hi:[1,0]
	s_waitcnt vmcnt(0)
	v_pk_fma_f32 v[8:9], v[10:11], v[80:81], v[6:7] op_sel:[0,0,1] op_sel_hi:[1,1,0] neg_lo:[0,0,1] neg_hi:[0,0,1]
	v_pk_fma_f32 v[6:7], v[10:11], v[80:81], v[6:7] op_sel:[0,0,1] op_sel_hi:[1,0,0]
	v_pk_add_f32 v[4:5], v[4:5], v[20:21]
	v_mov_b32_e32 v6, v79
	v_pk_add_f32 v[4:5], v[4:5], v[18:19]
	v_mov_b32_e32 v9, v7
	s_waitcnt lgkmcnt(1)
	v_pk_mul_f32 v[6:7], v[12:13], v[6:7] op_sel_hi:[1,0]
	v_pk_add_f32 v[4:5], v[4:5], v[8:9]
	v_pk_fma_f32 v[8:9], v[12:13], v[78:79], v[6:7] op_sel:[0,0,1] op_sel_hi:[1,1,0] neg_lo:[0,0,1] neg_hi:[0,0,1]
	v_pk_fma_f32 v[6:7], v[12:13], v[78:79], v[6:7] op_sel:[0,0,1] op_sel_hi:[1,0,0]
	v_mov_b32_e32 v6, v77
	v_mov_b32_e32 v9, v7
	v_pk_mul_f32 v[6:7], v[14:15], v[6:7] op_sel_hi:[1,0]
	v_pk_add_f32 v[4:5], v[4:5], v[8:9]
	v_pk_fma_f32 v[8:9], v[14:15], v[76:77], v[6:7] op_sel:[0,0,1] op_sel_hi:[1,1,0] neg_lo:[0,0,1] neg_hi:[0,0,1]
	v_pk_fma_f32 v[6:7], v[14:15], v[76:77], v[6:7] op_sel:[0,0,1] op_sel_hi:[1,0,0]
	v_mov_b32_e32 v6, v75
	v_mov_b32_e32 v9, v7
	s_waitcnt lgkmcnt(0)
	v_pk_mul_f32 v[6:7], v[16:17], v[6:7] op_sel_hi:[1,0]
	v_pk_add_f32 v[4:5], v[4:5], v[8:9]
	v_pk_fma_f32 v[8:9], v[16:17], v[74:75], v[6:7] op_sel:[0,0,1] op_sel_hi:[1,1,0] neg_lo:[0,0,1] neg_hi:[0,0,1]
	v_pk_fma_f32 v[6:7], v[16:17], v[74:75], v[6:7] op_sel:[0,0,1] op_sel_hi:[1,0,0]
	v_mov_b32_e32 v9, v7
	v_pk_add_f32 v[4:5], v[4:5], v[8:9]
	v_pk_add_f32 v[2:3], v[2:3], v[4:5] neg_lo:[0,1] neg_hi:[0,1]
	buffer_store_dword v3, off, s[0:3], 0 offset:204
	buffer_store_dword v2, off, s[0:3], 0 offset:200
	s_and_saveexec_b64 s[4:5], vcc
	s_cbranch_execz .LBB124_331
; %bb.330:
	buffer_load_dword v2, off, s[0:3], 0 offset:192
	buffer_load_dword v3, off, s[0:3], 0 offset:196
	s_waitcnt vmcnt(0)
	ds_write_b64 v199, v[2:3]
	buffer_store_dword v1, off, s[0:3], 0 offset:192
	buffer_store_dword v1, off, s[0:3], 0 offset:196
.LBB124_331:
	s_or_b64 exec, exec, s[4:5]
	s_waitcnt lgkmcnt(0)
	; wave barrier
	s_waitcnt lgkmcnt(0)
	buffer_load_dword v60, off, s[0:3], 0 offset:204
	buffer_load_dword v62, off, s[0:3], 0 offset:212
	;; [unrolled: 1-line block ×40, first 2 shown]
	ds_read2_b64 v[4:7], v1 offset0:87 offset1:88
	ds_read2_b64 v[8:11], v1 offset0:89 offset1:90
	;; [unrolled: 1-line block ×4, first 2 shown]
	buffer_load_dword v119, off, s[0:3], 0 offset:352
	buffer_load_dword v120, off, s[0:3], 0 offset:356
	ds_read2_b64 v[20:23], v1 offset0:95 offset1:96
	ds_read2_b64 v[24:27], v1 offset0:97 offset1:98
	buffer_load_dword v121, off, s[0:3], 0 offset:360
	buffer_load_dword v122, off, s[0:3], 0 offset:364
	;; [unrolled: 1-line block ×16, first 2 shown]
	v_cmp_lt_u32_e32 vcc, 23, v0
	s_waitcnt vmcnt(57) lgkmcnt(5)
	v_mul_f32_e32 v28, v4, v60
	s_waitcnt vmcnt(56)
	v_mul_f32_e32 v29, v6, v62
	s_waitcnt vmcnt(55) lgkmcnt(4)
	v_mul_f32_e32 v31, v10, v70
	s_waitcnt vmcnt(54) lgkmcnt(3)
	v_mul_f32_e32 v32, v12, v82
	s_waitcnt vmcnt(53)
	v_mul_f32_e32 v33, v14, v83
	s_waitcnt vmcnt(52)
	v_mul_f32_e32 v30, v8, v84
	s_waitcnt vmcnt(51) lgkmcnt(2)
	v_mul_f32_e32 v34, v16, v85
	s_waitcnt vmcnt(50)
	v_mul_f32_e32 v35, v18, v86
	s_waitcnt vmcnt(49)
	v_fmac_f32_e32 v30, v9, v87
	s_waitcnt vmcnt(48)
	v_fmac_f32_e32 v29, v7, v88
	;; [unrolled: 2-line block ×3, first 2 shown]
	v_add_f32_e32 v28, 0, v28
	v_add_f32_e32 v28, v28, v29
	;; [unrolled: 1-line block ×3, first 2 shown]
	s_waitcnt vmcnt(43)
	v_fmac_f32_e32 v31, v11, v93
	v_fmac_f32_e32 v32, v13, v92
	v_add_f32_e32 v28, v28, v31
	v_fmac_f32_e32 v33, v15, v91
	v_add_f32_e32 v28, v28, v32
	;; [unrolled: 2-line block ×3, first 2 shown]
	s_waitcnt vmcnt(39)
	v_fmac_f32_e32 v35, v19, v97
	v_add_f32_e32 v28, v28, v34
	s_waitcnt vmcnt(38) lgkmcnt(1)
	v_mul_f32_e32 v29, v20, v98
	v_add_f32_e32 v28, v28, v35
	v_fmac_f32_e32 v29, v21, v96
	v_add_f32_e32 v28, v28, v29
	s_waitcnt vmcnt(37)
	v_mul_f32_e32 v29, v22, v99
	v_fmac_f32_e32 v29, v23, v95
	v_add_f32_e32 v28, v28, v29
	s_waitcnt vmcnt(36) lgkmcnt(0)
	v_mul_f32_e32 v29, v24, v100
	v_fmac_f32_e32 v29, v25, v94
	v_add_f32_e32 v32, v28, v29
	ds_read2_b64 v[28:31], v1 offset0:99 offset1:100
	s_waitcnt vmcnt(32)
	v_mul_f32_e32 v33, v26, v106
	s_waitcnt vmcnt(31)
	v_fmac_f32_e32 v33, v27, v107
	v_add_f32_e32 v36, v32, v33
	ds_read2_b64 v[32:35], v1 offset0:101 offset1:102
	s_waitcnt vmcnt(30) lgkmcnt(1)
	v_mul_f32_e32 v37, v28, v108
	v_fmac_f32_e32 v37, v29, v105
	v_add_f32_e32 v36, v36, v37
	s_waitcnt vmcnt(29)
	v_mul_f32_e32 v37, v30, v109
	v_fmac_f32_e32 v37, v31, v104
	v_add_f32_e32 v36, v36, v37
	s_waitcnt vmcnt(28) lgkmcnt(0)
	v_mul_f32_e32 v37, v32, v110
	v_fmac_f32_e32 v37, v33, v101
	v_add_f32_e32 v40, v36, v37
	ds_read2_b64 v[36:39], v1 offset0:103 offset1:104
	s_waitcnt vmcnt(21)
	v_mul_f32_e32 v41, v34, v117
	s_waitcnt vmcnt(20)
	v_fmac_f32_e32 v41, v35, v118
	v_add_f32_e32 v44, v40, v41
	ds_read2_b64 v[40:43], v1 offset0:105 offset1:106
	s_waitcnt lgkmcnt(1)
	v_mul_f32_e32 v45, v36, v112
	v_fmac_f32_e32 v45, v37, v111
	v_add_f32_e32 v44, v44, v45
	v_mul_f32_e32 v45, v38, v114
	v_fmac_f32_e32 v45, v39, v113
	v_add_f32_e32 v44, v44, v45
	s_waitcnt lgkmcnt(0)
	v_mul_f32_e32 v45, v40, v116
	v_fmac_f32_e32 v45, v41, v115
	v_add_f32_e32 v48, v44, v45
	ds_read2_b64 v[44:47], v1 offset0:107 offset1:108
	s_waitcnt vmcnt(16)
	v_mul_f32_e32 v49, v42, v120
	v_fmac_f32_e32 v49, v43, v119
	v_add_f32_e32 v52, v48, v49
	ds_read2_b64 v[48:51], v1 offset0:109 offset1:110
	s_waitcnt vmcnt(14) lgkmcnt(1)
	v_mul_f32_e32 v53, v44, v122
	v_fmac_f32_e32 v53, v45, v121
	v_add_f32_e32 v52, v52, v53
	s_waitcnt vmcnt(12)
	v_mul_f32_e32 v53, v46, v124
	v_fmac_f32_e32 v53, v47, v123
	v_add_f32_e32 v52, v52, v53
	s_waitcnt vmcnt(10) lgkmcnt(0)
	v_mul_f32_e32 v53, v48, v126
	v_fmac_f32_e32 v53, v49, v125
	s_waitcnt vmcnt(8)
	v_mul_f32_e32 v57, v50, v128
	v_add_f32_e32 v56, v52, v53
	v_fmac_f32_e32 v57, v51, v127
	ds_read2_b64 v[52:55], v1 offset0:111 offset1:112
	v_add_f32_e32 v61, v56, v57
	ds_read2_b64 v[56:59], v1 offset0:113 offset1:114
	buffer_load_dword v65, off, s[0:3], 0 offset:444
	buffer_load_dword v64, off, s[0:3], 0 offset:440
	;; [unrolled: 1-line block ×16, first 2 shown]
	v_mul_f32_e32 v5, v5, v60
	v_fma_f32 v4, v4, v89, -v5
	v_mul_f32_e32 v5, v7, v62
	v_add_f32_e32 v4, 0, v4
	v_fma_f32 v5, v6, v88, -v5
	v_add_f32_e32 v4, v4, v5
	v_mul_f32_e32 v5, v9, v84
	v_fma_f32 v5, v8, v87, -v5
	v_add_f32_e32 v4, v4, v5
	v_mul_f32_e32 v5, v11, v70
	;; [unrolled: 3-line block ×22, first 2 shown]
	v_fma_f32 v5, v50, v127, -v5
	v_add_f32_e32 v4, v4, v5
	s_waitcnt vmcnt(22) lgkmcnt(1)
	v_mul_f32_e32 v5, v53, v130
	v_fma_f32 v5, v52, v129, -v5
	v_add_f32_e32 v4, v4, v5
	s_waitcnt vmcnt(20)
	v_mul_f32_e32 v5, v55, v132
	v_mul_f32_e32 v63, v52, v130
	v_fma_f32 v5, v54, v131, -v5
	v_fmac_f32_e32 v63, v53, v129
	v_add_f32_e32 v60, v4, v5
	s_waitcnt vmcnt(18) lgkmcnt(0)
	v_mul_f32_e32 v4, v57, v134
	v_add_f32_e32 v61, v61, v63
	v_mul_f32_e32 v63, v54, v132
	v_fma_f32 v62, v56, v133, -v4
	s_waitcnt vmcnt(16)
	v_mul_f32_e32 v4, v59, v136
	v_fmac_f32_e32 v63, v55, v131
	v_fma_f32 v70, v58, v135, -v4
	ds_read2_b64 v[4:7], v1 offset0:115 offset1:116
	ds_read2_b64 v[8:11], v1 offset0:117 offset1:118
	;; [unrolled: 1-line block ×4, first 2 shown]
	v_add_f32_e32 v61, v61, v63
	v_mul_f32_e32 v63, v56, v134
	s_waitcnt vmcnt(11)
	v_mov_b32_e32 v22, v69
	v_fmac_f32_e32 v63, v57, v133
	v_mul_f32_e32 v71, v58, v136
	s_waitcnt lgkmcnt(3)
	v_pk_mul_f32 v[22:23], v[4:5], v[22:23] op_sel_hi:[1,0]
	v_fmac_f32_e32 v71, v59, v135
	v_pk_add_f32 v[20:21], v[60:61], v[62:63]
	s_waitcnt vmcnt(10)
	v_pk_fma_f32 v[24:25], v[4:5], v[68:69], v[22:23] op_sel:[0,0,1] op_sel_hi:[1,1,0] neg_lo:[0,0,1] neg_hi:[0,0,1]
	v_pk_fma_f32 v[4:5], v[4:5], v[68:69], v[22:23] op_sel:[0,0,1] op_sel_hi:[1,0,0]
	v_pk_add_f32 v[20:21], v[20:21], v[70:71]
	v_mov_b32_e32 v25, v5
	v_pk_add_f32 v[4:5], v[20:21], v[24:25]
	v_mov_b32_e32 v20, v67
	v_pk_mul_f32 v[20:21], v[6:7], v[20:21] op_sel_hi:[1,0]
	v_pk_fma_f32 v[22:23], v[6:7], v[66:67], v[20:21] op_sel:[0,0,1] op_sel_hi:[1,1,0] neg_lo:[0,0,1] neg_hi:[0,0,1]
	v_pk_fma_f32 v[6:7], v[6:7], v[66:67], v[20:21] op_sel:[0,0,1] op_sel_hi:[1,0,0]
	v_mov_b32_e32 v6, v65
	v_mov_b32_e32 v23, v7
	s_waitcnt lgkmcnt(2)
	v_pk_mul_f32 v[6:7], v[8:9], v[6:7] op_sel_hi:[1,0]
	v_pk_fma_f32 v[20:21], v[8:9], v[64:65], v[6:7] op_sel:[0,0,1] op_sel_hi:[1,1,0] neg_lo:[0,0,1] neg_hi:[0,0,1]
	v_pk_fma_f32 v[6:7], v[8:9], v[64:65], v[6:7] op_sel:[0,0,1] op_sel_hi:[1,0,0]
	s_waitcnt vmcnt(3)
	v_mov_b32_e32 v6, v79
	v_mov_b32_e32 v21, v7
	v_pk_mul_f32 v[6:7], v[10:11], v[6:7] op_sel_hi:[1,0]
	s_waitcnt vmcnt(2)
	v_pk_fma_f32 v[8:9], v[10:11], v[78:79], v[6:7] op_sel:[0,0,1] op_sel_hi:[1,1,0] neg_lo:[0,0,1] neg_hi:[0,0,1]
	v_pk_fma_f32 v[6:7], v[10:11], v[78:79], v[6:7] op_sel:[0,0,1] op_sel_hi:[1,0,0]
	v_pk_add_f32 v[4:5], v[4:5], v[22:23]
	v_mov_b32_e32 v6, v77
	v_pk_add_f32 v[4:5], v[4:5], v[20:21]
	v_mov_b32_e32 v9, v7
	s_waitcnt lgkmcnt(1)
	v_pk_mul_f32 v[6:7], v[12:13], v[6:7] op_sel_hi:[1,0]
	v_pk_add_f32 v[4:5], v[4:5], v[8:9]
	v_pk_fma_f32 v[8:9], v[12:13], v[76:77], v[6:7] op_sel:[0,0,1] op_sel_hi:[1,1,0] neg_lo:[0,0,1] neg_hi:[0,0,1]
	v_pk_fma_f32 v[6:7], v[12:13], v[76:77], v[6:7] op_sel:[0,0,1] op_sel_hi:[1,0,0]
	v_mov_b32_e32 v6, v75
	v_mov_b32_e32 v9, v7
	v_pk_mul_f32 v[6:7], v[14:15], v[6:7] op_sel_hi:[1,0]
	v_pk_add_f32 v[4:5], v[4:5], v[8:9]
	v_pk_fma_f32 v[8:9], v[14:15], v[74:75], v[6:7] op_sel:[0,0,1] op_sel_hi:[1,1,0] neg_lo:[0,0,1] neg_hi:[0,0,1]
	v_pk_fma_f32 v[6:7], v[14:15], v[74:75], v[6:7] op_sel:[0,0,1] op_sel_hi:[1,0,0]
	v_mov_b32_e32 v6, v73
	v_mov_b32_e32 v9, v7
	s_waitcnt lgkmcnt(0)
	v_pk_mul_f32 v[6:7], v[16:17], v[6:7] op_sel_hi:[1,0]
	v_pk_add_f32 v[4:5], v[4:5], v[8:9]
	v_pk_fma_f32 v[8:9], v[16:17], v[72:73], v[6:7] op_sel:[0,0,1] op_sel_hi:[1,1,0] neg_lo:[0,0,1] neg_hi:[0,0,1]
	v_pk_fma_f32 v[6:7], v[16:17], v[72:73], v[6:7] op_sel:[0,0,1] op_sel_hi:[1,0,0]
	s_waitcnt vmcnt(1)
	v_mov_b32_e32 v6, v81
	v_mov_b32_e32 v9, v7
	v_pk_mul_f32 v[6:7], v[18:19], v[6:7] op_sel_hi:[1,0]
	v_pk_add_f32 v[4:5], v[4:5], v[8:9]
	s_waitcnt vmcnt(0)
	v_pk_fma_f32 v[8:9], v[18:19], v[80:81], v[6:7] op_sel:[0,0,1] op_sel_hi:[1,1,0] neg_lo:[0,0,1] neg_hi:[0,0,1]
	v_pk_fma_f32 v[6:7], v[18:19], v[80:81], v[6:7] op_sel:[0,0,1] op_sel_hi:[1,0,0]
	v_mov_b32_e32 v9, v7
	v_pk_add_f32 v[4:5], v[4:5], v[8:9]
	v_pk_add_f32 v[2:3], v[2:3], v[4:5] neg_lo:[0,1] neg_hi:[0,1]
	buffer_store_dword v3, off, s[0:3], 0 offset:196
	buffer_store_dword v2, off, s[0:3], 0 offset:192
	s_and_saveexec_b64 s[4:5], vcc
	s_cbranch_execz .LBB124_333
; %bb.332:
	buffer_load_dword v2, off, s[0:3], 0 offset:184
	buffer_load_dword v3, off, s[0:3], 0 offset:188
	v_mov_b32_e32 v1, 0
	buffer_store_dword v1, off, s[0:3], 0 offset:184
	buffer_store_dword v1, off, s[0:3], 0 offset:188
	s_waitcnt vmcnt(2)
	ds_write_b64 v199, v[2:3]
.LBB124_333:
	s_or_b64 exec, exec, s[4:5]
	v_mov_b32_e32 v86, 0
	s_waitcnt lgkmcnt(0)
	; wave barrier
	s_waitcnt lgkmcnt(0)
	ds_read_b128 v[14:17], v86 offset:688
	ds_read_b128 v[10:13], v86 offset:704
	;; [unrolled: 1-line block ×4, first 2 shown]
	buffer_load_dword v62, off, s[0:3], 0 offset:184
	buffer_load_dword v63, off, s[0:3], 0 offset:188
	buffer_load_dword v1, off, s[0:3], 0 offset:192
	buffer_load_dword v70, off, s[0:3], 0 offset:196
	buffer_load_dword v64, off, s[0:3], 0 offset:200
	buffer_load_dword v88, off, s[0:3], 0 offset:204
	buffer_load_dword v66, off, s[0:3], 0 offset:208
	buffer_load_dword v90, off, s[0:3], 0 offset:212
	buffer_load_dword v87, off, s[0:3], 0 offset:216
	buffer_load_dword v92, off, s[0:3], 0 offset:220
	buffer_load_dword v89, off, s[0:3], 0 offset:224
	buffer_load_dword v94, off, s[0:3], 0 offset:228
	buffer_load_dword v91, off, s[0:3], 0 offset:232
	buffer_load_dword v95, off, s[0:3], 0 offset:236
	buffer_load_dword v93, off, s[0:3], 0 offset:240
	buffer_load_dword v96, off, s[0:3], 0 offset:244
	buffer_load_dword v97, off, s[0:3], 0 offset:248
	buffer_load_dword v98, off, s[0:3], 0 offset:252
	ds_read_b128 v[22:25], v86 offset:752
	buffer_load_dword v99, off, s[0:3], 0 offset:256
	buffer_load_dword v100, off, s[0:3], 0 offset:260
	buffer_load_dword v101, off, s[0:3], 0 offset:264
	buffer_load_dword v104, off, s[0:3], 0 offset:268
	ds_read_b128 v[26:29], v86 offset:768
	buffer_load_dword v105, off, s[0:3], 0 offset:272
	buffer_load_dword v106, off, s[0:3], 0 offset:276
	buffer_load_dword v107, off, s[0:3], 0 offset:280
	buffer_load_dword v108, off, s[0:3], 0 offset:284
	;; [unrolled: 5-line block ×10, first 2 shown]
	v_cmp_lt_u32_e32 vcc, 22, v0
	s_waitcnt vmcnt(54) lgkmcnt(13)
	v_mul_f32_e32 v18, v14, v70
	v_fmac_f32_e32 v18, v15, v1
	s_waitcnt vmcnt(52)
	v_mul_f32_e32 v19, v16, v88
	v_add_f32_e32 v18, 0, v18
	v_fmac_f32_e32 v19, v17, v64
	v_add_f32_e32 v18, v18, v19
	s_waitcnt vmcnt(50) lgkmcnt(12)
	v_mul_f32_e32 v19, v10, v90
	v_fmac_f32_e32 v19, v11, v66
	v_add_f32_e32 v18, v18, v19
	s_waitcnt vmcnt(48)
	v_mul_f32_e32 v19, v12, v92
	v_fmac_f32_e32 v19, v13, v87
	v_add_f32_e32 v18, v18, v19
	s_waitcnt vmcnt(46) lgkmcnt(11)
	v_mul_f32_e32 v19, v6, v94
	v_fmac_f32_e32 v19, v7, v89
	v_add_f32_e32 v18, v18, v19
	s_waitcnt vmcnt(44)
	v_mul_f32_e32 v19, v8, v95
	v_fmac_f32_e32 v19, v9, v91
	v_add_f32_e32 v18, v18, v19
	s_waitcnt vmcnt(42) lgkmcnt(10)
	v_mul_f32_e32 v19, v2, v96
	v_fmac_f32_e32 v19, v3, v93
	v_add_f32_e32 v18, v18, v19
	s_waitcnt vmcnt(40)
	v_mul_f32_e32 v19, v4, v98
	v_fmac_f32_e32 v19, v5, v97
	v_add_f32_e32 v18, v18, v19
	s_waitcnt vmcnt(38) lgkmcnt(9)
	v_mul_f32_e32 v19, v22, v100
	v_fmac_f32_e32 v19, v23, v99
	v_add_f32_e32 v18, v18, v19
	s_waitcnt vmcnt(36)
	v_mul_f32_e32 v19, v24, v104
	v_fmac_f32_e32 v19, v25, v101
	v_add_f32_e32 v18, v18, v19
	s_waitcnt vmcnt(34) lgkmcnt(8)
	v_mul_f32_e32 v19, v26, v106
	v_fmac_f32_e32 v19, v27, v105
	v_add_f32_e32 v18, v18, v19
	s_waitcnt vmcnt(32)
	v_mul_f32_e32 v19, v28, v108
	v_fmac_f32_e32 v19, v29, v107
	v_add_f32_e32 v18, v18, v19
	s_waitcnt vmcnt(30) lgkmcnt(7)
	v_mul_f32_e32 v19, v30, v110
	v_fmac_f32_e32 v19, v31, v109
	v_add_f32_e32 v18, v18, v19
	s_waitcnt vmcnt(28)
	v_mul_f32_e32 v19, v32, v112
	v_fmac_f32_e32 v19, v33, v111
	v_add_f32_e32 v18, v18, v19
	s_waitcnt vmcnt(26) lgkmcnt(6)
	v_mul_f32_e32 v19, v34, v114
	v_fmac_f32_e32 v19, v35, v113
	v_add_f32_e32 v18, v18, v19
	s_waitcnt vmcnt(24)
	v_mul_f32_e32 v19, v36, v116
	v_fmac_f32_e32 v19, v37, v115
	v_add_f32_e32 v18, v18, v19
	s_waitcnt vmcnt(22) lgkmcnt(5)
	v_mul_f32_e32 v19, v38, v118
	v_fmac_f32_e32 v19, v39, v117
	v_add_f32_e32 v18, v18, v19
	s_waitcnt vmcnt(20)
	v_mul_f32_e32 v19, v40, v120
	v_fmac_f32_e32 v19, v41, v119
	v_add_f32_e32 v18, v18, v19
	s_waitcnt vmcnt(18) lgkmcnt(4)
	v_mul_f32_e32 v19, v42, v122
	v_fmac_f32_e32 v19, v43, v121
	v_add_f32_e32 v18, v18, v19
	s_waitcnt vmcnt(16)
	v_mul_f32_e32 v19, v44, v124
	v_fmac_f32_e32 v19, v45, v123
	v_add_f32_e32 v18, v18, v19
	s_waitcnt vmcnt(14) lgkmcnt(3)
	v_mul_f32_e32 v19, v46, v126
	v_fmac_f32_e32 v19, v47, v125
	v_add_f32_e32 v18, v18, v19
	s_waitcnt vmcnt(12)
	v_mul_f32_e32 v19, v48, v128
	v_fmac_f32_e32 v19, v49, v127
	v_add_f32_e32 v18, v18, v19
	s_waitcnt vmcnt(10) lgkmcnt(2)
	v_mul_f32_e32 v19, v50, v130
	v_fmac_f32_e32 v19, v51, v129
	v_add_f32_e32 v18, v18, v19
	s_waitcnt vmcnt(8)
	v_mul_f32_e32 v19, v52, v132
	v_fmac_f32_e32 v19, v53, v131
	v_add_f32_e32 v18, v18, v19
	s_waitcnt vmcnt(6) lgkmcnt(1)
	v_mul_f32_e32 v19, v54, v134
	v_fmac_f32_e32 v19, v55, v133
	v_add_f32_e32 v18, v18, v19
	s_waitcnt vmcnt(4)
	v_mul_f32_e32 v19, v56, v136
	v_fmac_f32_e32 v19, v57, v135
	v_add_f32_e32 v18, v18, v19
	s_waitcnt vmcnt(2) lgkmcnt(0)
	v_mul_f32_e32 v19, v58, v138
	v_fmac_f32_e32 v19, v59, v137
	v_add_f32_e32 v65, v18, v19
	ds_read_b128 v[18:21], v86 offset:912
	buffer_load_dword v141, off, s[0:3], 0 offset:416
	buffer_load_dword v142, off, s[0:3], 0 offset:420
	;; [unrolled: 1-line block ×18, first 2 shown]
	v_mul_f32_e32 v15, v15, v70
	v_fma_f32 v1, v14, v1, -v15
	v_mul_f32_e32 v14, v17, v88
	v_add_f32_e32 v1, 0, v1
	v_fma_f32 v14, v16, v64, -v14
	v_mul_f32_e32 v11, v11, v90
	v_add_f32_e32 v1, v1, v14
	v_fma_f32 v10, v10, v66, -v11
	v_add_f32_e32 v1, v1, v10
	v_mul_f32_e32 v10, v13, v92
	v_fma_f32 v10, v12, v87, -v10
	v_mul_f32_e32 v7, v7, v94
	v_add_f32_e32 v1, v1, v10
	v_fma_f32 v6, v6, v89, -v7
	v_add_f32_e32 v1, v1, v6
	v_mul_f32_e32 v6, v9, v95
	;; [unrolled: 6-line block ×3, first 2 shown]
	v_fma_f32 v2, v4, v97, -v2
	v_add_f32_e32 v1, v1, v2
	v_mul_f32_e32 v2, v23, v100
	v_fma_f32 v2, v22, v99, -v2
	v_add_f32_e32 v1, v1, v2
	v_mul_f32_e32 v2, v25, v104
	;; [unrolled: 3-line block ×19, first 2 shown]
	v_fma_f32 v2, v58, v137, -v2
	v_add_f32_e32 v64, v1, v2
	s_waitcnt vmcnt(18)
	v_mul_f32_e32 v1, v61, v140
	v_fma_f32 v66, v60, v139, -v1
	s_waitcnt vmcnt(16) lgkmcnt(0)
	v_mul_f32_e32 v1, v19, v142
	v_mul_f32_e32 v71, v18, v142
	v_fma_f32 v70, v18, v141, -v1
	s_waitcnt vmcnt(15)
	v_mov_b32_e32 v18, v69
	v_fmac_f32_e32 v71, v19, v141
	v_pk_mul_f32 v[18:19], v[20:21], v[18:19] op_sel_hi:[1,0]
	v_mul_f32_e32 v67, v60, v140
	ds_read_b128 v[2:5], v86 offset:928
	ds_read_b128 v[6:9], v86 offset:944
	;; [unrolled: 1-line block ×3, first 2 shown]
	ds_read_b64 v[14:15], v86 offset:976
	s_waitcnt vmcnt(14)
	v_pk_fma_f32 v[22:23], v[20:21], v[68:69], v[18:19] op_sel:[0,0,1] op_sel_hi:[1,1,0] neg_lo:[0,0,1] neg_hi:[0,0,1]
	v_pk_fma_f32 v[18:19], v[20:21], v[68:69], v[18:19] op_sel:[0,0,1] op_sel_hi:[1,0,0]
	v_fmac_f32_e32 v67, v61, v139
	s_waitcnt vmcnt(13)
	v_mov_b32_e32 v18, v85
	v_pk_add_f32 v[16:17], v[64:65], v[66:67]
	v_mov_b32_e32 v23, v19
	s_waitcnt lgkmcnt(3)
	v_pk_mul_f32 v[18:19], v[2:3], v[18:19] op_sel_hi:[1,0]
	v_pk_add_f32 v[16:17], v[16:17], v[70:71]
	s_waitcnt vmcnt(12)
	v_pk_fma_f32 v[20:21], v[2:3], v[84:85], v[18:19] op_sel:[0,0,1] op_sel_hi:[1,1,0] neg_lo:[0,0,1] neg_hi:[0,0,1]
	v_pk_fma_f32 v[2:3], v[2:3], v[84:85], v[18:19] op_sel:[0,0,1] op_sel_hi:[1,0,0]
	v_pk_add_f32 v[16:17], v[16:17], v[22:23]
	v_mov_b32_e32 v21, v3
	v_pk_add_f32 v[2:3], v[16:17], v[20:21]
	s_waitcnt vmcnt(11)
	v_mov_b32_e32 v16, v83
	v_pk_mul_f32 v[16:17], v[4:5], v[16:17] op_sel_hi:[1,0]
	s_waitcnt vmcnt(10)
	v_pk_fma_f32 v[18:19], v[4:5], v[82:83], v[16:17] op_sel:[0,0,1] op_sel_hi:[1,1,0] neg_lo:[0,0,1] neg_hi:[0,0,1]
	v_pk_fma_f32 v[4:5], v[4:5], v[82:83], v[16:17] op_sel:[0,0,1] op_sel_hi:[1,0,0]
	s_waitcnt vmcnt(9)
	v_mov_b32_e32 v4, v81
	v_mov_b32_e32 v19, v5
	s_waitcnt lgkmcnt(2)
	v_pk_mul_f32 v[4:5], v[6:7], v[4:5] op_sel_hi:[1,0]
	s_waitcnt vmcnt(8)
	v_pk_fma_f32 v[16:17], v[6:7], v[80:81], v[4:5] op_sel:[0,0,1] op_sel_hi:[1,1,0] neg_lo:[0,0,1] neg_hi:[0,0,1]
	v_pk_fma_f32 v[4:5], v[6:7], v[80:81], v[4:5] op_sel:[0,0,1] op_sel_hi:[1,0,0]
	s_waitcnt vmcnt(7)
	v_mov_b32_e32 v4, v79
	v_mov_b32_e32 v17, v5
	v_pk_mul_f32 v[4:5], v[8:9], v[4:5] op_sel_hi:[1,0]
	s_waitcnt vmcnt(6)
	v_pk_fma_f32 v[6:7], v[8:9], v[78:79], v[4:5] op_sel:[0,0,1] op_sel_hi:[1,1,0] neg_lo:[0,0,1] neg_hi:[0,0,1]
	v_pk_fma_f32 v[4:5], v[8:9], v[78:79], v[4:5] op_sel:[0,0,1] op_sel_hi:[1,0,0]
	v_pk_add_f32 v[2:3], v[2:3], v[18:19]
	s_waitcnt vmcnt(5)
	v_mov_b32_e32 v4, v77
	v_pk_add_f32 v[2:3], v[2:3], v[16:17]
	v_mov_b32_e32 v7, v5
	s_waitcnt lgkmcnt(1)
	v_pk_mul_f32 v[4:5], v[10:11], v[4:5] op_sel_hi:[1,0]
	v_pk_add_f32 v[2:3], v[2:3], v[6:7]
	s_waitcnt vmcnt(4)
	v_pk_fma_f32 v[6:7], v[10:11], v[76:77], v[4:5] op_sel:[0,0,1] op_sel_hi:[1,1,0] neg_lo:[0,0,1] neg_hi:[0,0,1]
	v_pk_fma_f32 v[4:5], v[10:11], v[76:77], v[4:5] op_sel:[0,0,1] op_sel_hi:[1,0,0]
	s_waitcnt vmcnt(3)
	v_mov_b32_e32 v4, v75
	v_mov_b32_e32 v7, v5
	v_pk_mul_f32 v[4:5], v[12:13], v[4:5] op_sel_hi:[1,0]
	v_pk_add_f32 v[2:3], v[2:3], v[6:7]
	s_waitcnt vmcnt(2)
	v_pk_fma_f32 v[6:7], v[12:13], v[74:75], v[4:5] op_sel:[0,0,1] op_sel_hi:[1,1,0] neg_lo:[0,0,1] neg_hi:[0,0,1]
	v_pk_fma_f32 v[4:5], v[12:13], v[74:75], v[4:5] op_sel:[0,0,1] op_sel_hi:[1,0,0]
	s_waitcnt vmcnt(1)
	v_mov_b32_e32 v4, v73
	v_mov_b32_e32 v7, v5
	s_waitcnt lgkmcnt(0)
	v_pk_mul_f32 v[4:5], v[14:15], v[4:5] op_sel_hi:[1,0]
	v_pk_add_f32 v[2:3], v[2:3], v[6:7]
	s_waitcnt vmcnt(0)
	v_pk_fma_f32 v[6:7], v[14:15], v[72:73], v[4:5] op_sel:[0,0,1] op_sel_hi:[1,1,0] neg_lo:[0,0,1] neg_hi:[0,0,1]
	v_pk_fma_f32 v[4:5], v[14:15], v[72:73], v[4:5] op_sel:[0,0,1] op_sel_hi:[1,0,0]
	v_mov_b32_e32 v7, v5
	v_pk_add_f32 v[2:3], v[2:3], v[6:7]
	v_pk_add_f32 v[2:3], v[62:63], v[2:3] neg_lo:[0,1] neg_hi:[0,1]
	buffer_store_dword v3, off, s[0:3], 0 offset:188
	buffer_store_dword v2, off, s[0:3], 0 offset:184
	s_and_saveexec_b64 s[4:5], vcc
	s_cbranch_execz .LBB124_335
; %bb.334:
	buffer_load_dword v2, off, s[0:3], 0 offset:176
	buffer_load_dword v3, off, s[0:3], 0 offset:180
	s_waitcnt vmcnt(0)
	ds_write_b64 v199, v[2:3]
	buffer_store_dword v86, off, s[0:3], 0 offset:176
	buffer_store_dword v86, off, s[0:3], 0 offset:180
.LBB124_335:
	s_or_b64 exec, exec, s[4:5]
	s_waitcnt lgkmcnt(0)
	; wave barrier
	s_waitcnt lgkmcnt(0)
	buffer_load_dword v1, off, s[0:3], 0 offset:188
	buffer_load_dword v70, off, s[0:3], 0 offset:196
	buffer_load_dword v72, off, s[0:3], 0 offset:212
	buffer_load_dword v74, off, s[0:3], 0 offset:220
	buffer_load_dword v87, off, s[0:3], 0 offset:228
	buffer_load_dword v92, off, s[0:3], 0 offset:204
	buffer_load_dword v93, off, s[0:3], 0 offset:200
	buffer_load_dword v94, off, s[0:3], 0 offset:192
	buffer_load_dword v95, off, s[0:3], 0 offset:184
	buffer_load_dword v96, off, s[0:3], 0 offset:236
	buffer_load_dword v97, off, s[0:3], 0 offset:232
	buffer_load_dword v98, off, s[0:3], 0 offset:224
	buffer_load_dword v99, off, s[0:3], 0 offset:216
	buffer_load_dword v100, off, s[0:3], 0 offset:208
	buffer_load_dword v101, off, s[0:3], 0 offset:264
	buffer_load_dword v104, off, s[0:3], 0 offset:256
	buffer_load_dword v105, off, s[0:3], 0 offset:248
	buffer_load_dword v106, off, s[0:3], 0 offset:244
	buffer_load_dword v107, off, s[0:3], 0 offset:240
	buffer_load_dword v108, off, s[0:3], 0 offset:252
	buffer_load_dword v109, off, s[0:3], 0 offset:260
	buffer_load_dword v110, off, s[0:3], 0 offset:268
	buffer_load_dword v111, off, s[0:3], 0 offset:288
	buffer_load_dword v112, off, s[0:3], 0 offset:292
	buffer_load_dword v113, off, s[0:3], 0 offset:296
	buffer_load_dword v114, off, s[0:3], 0 offset:300
	buffer_load_dword v115, off, s[0:3], 0 offset:280
	buffer_load_dword v116, off, s[0:3], 0 offset:276
	buffer_load_dword v117, off, s[0:3], 0 offset:272
	buffer_load_dword v118, off, s[0:3], 0 offset:284
	buffer_load_dword v14, off, s[0:3], 0 offset:176
	buffer_load_dword v15, off, s[0:3], 0 offset:180
	ds_read2_b64 v[16:19], v86 offset0:85 offset1:86
	ds_read2_b64 v[6:9], v86 offset0:87 offset1:88
	buffer_load_dword v119, off, s[0:3], 0 offset:304
	buffer_load_dword v120, off, s[0:3], 0 offset:308
	ds_read2_b64 v[10:13], v86 offset0:89 offset1:90
	ds_read2_b64 v[2:5], v86 offset0:91 offset1:92
	buffer_load_dword v121, off, s[0:3], 0 offset:312
	buffer_load_dword v122, off, s[0:3], 0 offset:316
	;; [unrolled: 1-line block ×28, first 2 shown]
	v_cmp_lt_u32_e32 vcc, 21, v0
	s_waitcnt vmcnt(61) lgkmcnt(3)
	v_mul_f32_e32 v20, v16, v1
	s_waitcnt vmcnt(60)
	v_mul_f32_e32 v21, v18, v70
	s_waitcnt vmcnt(59) lgkmcnt(2)
	v_mul_f32_e32 v23, v8, v72
	s_waitcnt vmcnt(58) lgkmcnt(1)
	v_mul_f32_e32 v24, v10, v74
	s_waitcnt vmcnt(57)
	v_mul_f32_e32 v25, v12, v87
	s_waitcnt vmcnt(56)
	;; [unrolled: 2-line block ×3, first 2 shown]
	v_fmac_f32_e32 v22, v7, v93
	s_waitcnt vmcnt(54)
	v_fmac_f32_e32 v21, v19, v94
	s_waitcnt vmcnt(53)
	v_fmac_f32_e32 v20, v17, v95
	v_add_f32_e32 v20, 0, v20
	v_add_f32_e32 v20, v20, v21
	;; [unrolled: 1-line block ×3, first 2 shown]
	s_waitcnt vmcnt(49)
	v_fmac_f32_e32 v24, v11, v99
	s_waitcnt vmcnt(48)
	v_fmac_f32_e32 v23, v9, v100
	v_add_f32_e32 v20, v20, v23
	s_waitcnt lgkmcnt(0)
	v_mul_f32_e32 v26, v2, v96
	v_fmac_f32_e32 v25, v13, v98
	v_add_f32_e32 v20, v20, v24
	v_fmac_f32_e32 v26, v3, v97
	v_add_f32_e32 v20, v20, v25
	v_add_f32_e32 v24, v20, v26
	ds_read2_b64 v[20:23], v86 offset0:93 offset1:94
	s_waitcnt vmcnt(44)
	v_mul_f32_e32 v25, v4, v106
	s_waitcnt vmcnt(43)
	v_fmac_f32_e32 v25, v5, v107
	v_add_f32_e32 v28, v24, v25
	ds_read2_b64 v[24:27], v86 offset0:95 offset1:96
	s_waitcnt vmcnt(42) lgkmcnt(1)
	v_mul_f32_e32 v29, v20, v108
	v_fmac_f32_e32 v29, v21, v105
	v_add_f32_e32 v28, v28, v29
	s_waitcnt vmcnt(41)
	v_mul_f32_e32 v29, v22, v109
	v_fmac_f32_e32 v29, v23, v104
	v_add_f32_e32 v28, v28, v29
	s_waitcnt vmcnt(40) lgkmcnt(0)
	v_mul_f32_e32 v29, v24, v110
	v_fmac_f32_e32 v29, v25, v101
	v_add_f32_e32 v32, v28, v29
	ds_read2_b64 v[28:31], v86 offset0:97 offset1:98
	s_waitcnt vmcnt(34)
	v_mul_f32_e32 v33, v26, v116
	s_waitcnt vmcnt(33)
	v_fmac_f32_e32 v33, v27, v117
	v_add_f32_e32 v36, v32, v33
	ds_read2_b64 v[32:35], v86 offset0:99 offset1:100
	s_waitcnt vmcnt(32) lgkmcnt(1)
	v_mul_f32_e32 v37, v28, v118
	v_fmac_f32_e32 v37, v29, v115
	v_add_f32_e32 v36, v36, v37
	v_mul_f32_e32 v37, v30, v112
	v_fmac_f32_e32 v37, v31, v111
	v_add_f32_e32 v36, v36, v37
	s_waitcnt lgkmcnt(0)
	v_mul_f32_e32 v37, v32, v114
	v_fmac_f32_e32 v37, v33, v113
	v_add_f32_e32 v40, v36, v37
	ds_read2_b64 v[36:39], v86 offset0:101 offset1:102
	s_waitcnt vmcnt(28)
	v_mul_f32_e32 v41, v34, v120
	v_fmac_f32_e32 v41, v35, v119
	v_add_f32_e32 v44, v40, v41
	ds_read2_b64 v[40:43], v86 offset0:103 offset1:104
	s_waitcnt vmcnt(26) lgkmcnt(1)
	v_mul_f32_e32 v45, v36, v122
	v_fmac_f32_e32 v45, v37, v121
	v_add_f32_e32 v44, v44, v45
	s_waitcnt vmcnt(24)
	v_mul_f32_e32 v45, v38, v124
	v_fmac_f32_e32 v45, v39, v123
	v_add_f32_e32 v44, v44, v45
	s_waitcnt vmcnt(22) lgkmcnt(0)
	v_mul_f32_e32 v45, v40, v126
	v_fmac_f32_e32 v45, v41, v125
	v_add_f32_e32 v48, v44, v45
	ds_read2_b64 v[44:47], v86 offset0:105 offset1:106
	s_waitcnt vmcnt(20)
	v_mul_f32_e32 v49, v42, v128
	v_fmac_f32_e32 v49, v43, v127
	v_add_f32_e32 v52, v48, v49
	ds_read2_b64 v[48:51], v86 offset0:107 offset1:108
	s_waitcnt vmcnt(18) lgkmcnt(1)
	v_mul_f32_e32 v53, v44, v130
	v_fmac_f32_e32 v53, v45, v129
	v_add_f32_e32 v52, v52, v53
	s_waitcnt vmcnt(16)
	v_mul_f32_e32 v53, v46, v132
	v_fmac_f32_e32 v53, v47, v131
	v_add_f32_e32 v52, v52, v53
	s_waitcnt vmcnt(14) lgkmcnt(0)
	v_mul_f32_e32 v53, v48, v134
	v_fmac_f32_e32 v53, v49, v133
	v_add_f32_e32 v56, v52, v53
	ds_read2_b64 v[52:55], v86 offset0:109 offset1:110
	s_waitcnt vmcnt(12)
	v_mul_f32_e32 v57, v50, v136
	v_fmac_f32_e32 v57, v51, v135
	v_add_f32_e32 v60, v56, v57
	ds_read2_b64 v[56:59], v86 offset0:111 offset1:112
	buffer_load_dword v69, off, s[0:3], 0 offset:428
	buffer_load_dword v68, off, s[0:3], 0 offset:424
	s_waitcnt vmcnt(12) lgkmcnt(1)
	v_mul_f32_e32 v61, v52, v138
	v_fmac_f32_e32 v61, v53, v137
	v_add_f32_e32 v60, v60, v61
	s_waitcnt vmcnt(10)
	v_mul_f32_e32 v61, v54, v140
	v_fmac_f32_e32 v61, v55, v139
	v_add_f32_e32 v60, v60, v61
	s_waitcnt vmcnt(8) lgkmcnt(0)
	v_mul_f32_e32 v61, v56, v142
	v_fmac_f32_e32 v61, v57, v141
	s_waitcnt vmcnt(6)
	v_mul_f32_e32 v65, v58, v144
	v_add_f32_e32 v64, v60, v61
	v_fmac_f32_e32 v65, v59, v143
	ds_read2_b64 v[60:63], v86 offset0:113 offset1:114
	v_add_f32_e32 v71, v64, v65
	ds_read2_b64 v[64:67], v86 offset0:115 offset1:116
	buffer_load_dword v77, off, s[0:3], 0 offset:460
	buffer_load_dword v76, off, s[0:3], 0 offset:456
	buffer_load_dword v79, off, s[0:3], 0 offset:452
	buffer_load_dword v78, off, s[0:3], 0 offset:448
	buffer_load_dword v81, off, s[0:3], 0 offset:444
	buffer_load_dword v80, off, s[0:3], 0 offset:440
	buffer_load_dword v83, off, s[0:3], 0 offset:436
	buffer_load_dword v82, off, s[0:3], 0 offset:432
	buffer_load_dword v85, off, s[0:3], 0 offset:484
	buffer_load_dword v84, off, s[0:3], 0 offset:480
	buffer_load_dword v89, off, s[0:3], 0 offset:476
	buffer_load_dword v88, off, s[0:3], 0 offset:472
	buffer_load_dword v91, off, s[0:3], 0 offset:468
	buffer_load_dword v90, off, s[0:3], 0 offset:464
	v_mul_f32_e32 v1, v17, v1
	v_fma_f32 v1, v16, v95, -v1
	v_mul_f32_e32 v16, v19, v70
	v_add_f32_e32 v1, 0, v1
	v_fma_f32 v16, v18, v94, -v16
	v_mul_f32_e32 v7, v7, v92
	v_add_f32_e32 v1, v1, v16
	v_fma_f32 v6, v6, v93, -v7
	v_add_f32_e32 v1, v1, v6
	v_mul_f32_e32 v6, v9, v72
	v_fma_f32 v6, v8, v100, -v6
	v_add_f32_e32 v1, v1, v6
	v_mul_f32_e32 v6, v11, v74
	;; [unrolled: 3-line block ×3, first 2 shown]
	v_fma_f32 v6, v12, v98, -v6
	v_mul_f32_e32 v3, v3, v96
	v_add_f32_e32 v1, v1, v6
	v_fma_f32 v2, v2, v97, -v3
	v_add_f32_e32 v1, v1, v2
	v_mul_f32_e32 v2, v5, v106
	v_fma_f32 v2, v4, v107, -v2
	v_add_f32_e32 v1, v1, v2
	v_mul_f32_e32 v2, v21, v108
	;; [unrolled: 3-line block ×21, first 2 shown]
	v_fma_f32 v2, v58, v143, -v2
	s_waitcnt vmcnt(15)
	v_mov_b32_e32 v18, v69
	s_waitcnt lgkmcnt(1)
	v_mul_f32_e32 v73, v60, v146
	v_add_f32_e32 v70, v1, v2
	v_mul_f32_e32 v1, v61, v146
	s_waitcnt lgkmcnt(0)
	v_pk_mul_f32 v[18:19], v[64:65], v[18:19] op_sel_hi:[1,0]
	v_fmac_f32_e32 v73, v61, v145
	v_mul_f32_e32 v75, v62, v148
	v_fma_f32 v72, v60, v145, -v1
	v_mul_f32_e32 v1, v63, v148
	s_waitcnt vmcnt(14)
	v_pk_fma_f32 v[20:21], v[64:65], v[68:69], v[18:19] op_sel:[0,0,1] op_sel_hi:[1,1,0] neg_lo:[0,0,1] neg_hi:[0,0,1]
	v_pk_fma_f32 v[18:19], v[64:65], v[68:69], v[18:19] op_sel:[0,0,1] op_sel_hi:[1,0,0]
	v_fmac_f32_e32 v75, v63, v147
	v_fma_f32 v74, v62, v147, -v1
	v_pk_add_f32 v[16:17], v[70:71], v[72:73]
	s_waitcnt vmcnt(7)
	v_mov_b32_e32 v18, v83
	ds_read2_b64 v[2:5], v86 offset0:117 offset1:118
	ds_read2_b64 v[6:9], v86 offset0:119 offset1:120
	;; [unrolled: 1-line block ×3, first 2 shown]
	v_pk_add_f32 v[16:17], v[16:17], v[74:75]
	v_mov_b32_e32 v21, v19
	v_pk_mul_f32 v[18:19], v[66:67], v[18:19] op_sel_hi:[1,0]
	v_pk_add_f32 v[16:17], v[16:17], v[20:21]
	s_waitcnt vmcnt(6)
	v_pk_fma_f32 v[20:21], v[66:67], v[82:83], v[18:19] op_sel:[0,0,1] op_sel_hi:[1,1,0] neg_lo:[0,0,1] neg_hi:[0,0,1]
	v_pk_fma_f32 v[18:19], v[66:67], v[82:83], v[18:19] op_sel:[0,0,1] op_sel_hi:[1,0,0]
	v_mov_b32_e32 v18, v81
	v_mov_b32_e32 v21, v19
	s_waitcnt lgkmcnt(2)
	v_pk_mul_f32 v[18:19], v[2:3], v[18:19] op_sel_hi:[1,0]
	v_pk_add_f32 v[16:17], v[16:17], v[20:21]
	v_pk_fma_f32 v[20:21], v[2:3], v[80:81], v[18:19] op_sel:[0,0,1] op_sel_hi:[1,1,0] neg_lo:[0,0,1] neg_hi:[0,0,1]
	v_pk_fma_f32 v[2:3], v[2:3], v[80:81], v[18:19] op_sel:[0,0,1] op_sel_hi:[1,0,0]
	v_mov_b32_e32 v21, v3
	v_pk_add_f32 v[2:3], v[16:17], v[20:21]
	v_mov_b32_e32 v16, v79
	v_pk_mul_f32 v[16:17], v[4:5], v[16:17] op_sel_hi:[1,0]
	v_pk_fma_f32 v[18:19], v[4:5], v[78:79], v[16:17] op_sel:[0,0,1] op_sel_hi:[1,1,0] neg_lo:[0,0,1] neg_hi:[0,0,1]
	v_pk_fma_f32 v[4:5], v[4:5], v[78:79], v[16:17] op_sel:[0,0,1] op_sel_hi:[1,0,0]
	v_mov_b32_e32 v4, v77
	v_mov_b32_e32 v19, v5
	s_waitcnt lgkmcnt(1)
	v_pk_mul_f32 v[4:5], v[6:7], v[4:5] op_sel_hi:[1,0]
	v_pk_fma_f32 v[16:17], v[6:7], v[76:77], v[4:5] op_sel:[0,0,1] op_sel_hi:[1,1,0] neg_lo:[0,0,1] neg_hi:[0,0,1]
	v_pk_fma_f32 v[4:5], v[6:7], v[76:77], v[4:5] op_sel:[0,0,1] op_sel_hi:[1,0,0]
	s_waitcnt vmcnt(1)
	v_mov_b32_e32 v4, v91
	v_mov_b32_e32 v17, v5
	v_pk_mul_f32 v[4:5], v[8:9], v[4:5] op_sel_hi:[1,0]
	s_waitcnt vmcnt(0)
	v_pk_fma_f32 v[6:7], v[8:9], v[90:91], v[4:5] op_sel:[0,0,1] op_sel_hi:[1,1,0] neg_lo:[0,0,1] neg_hi:[0,0,1]
	v_pk_fma_f32 v[4:5], v[8:9], v[90:91], v[4:5] op_sel:[0,0,1] op_sel_hi:[1,0,0]
	v_pk_add_f32 v[2:3], v[2:3], v[18:19]
	v_mov_b32_e32 v4, v89
	v_pk_add_f32 v[2:3], v[2:3], v[16:17]
	v_mov_b32_e32 v7, v5
	s_waitcnt lgkmcnt(0)
	v_pk_mul_f32 v[4:5], v[10:11], v[4:5] op_sel_hi:[1,0]
	v_pk_add_f32 v[2:3], v[2:3], v[6:7]
	v_pk_fma_f32 v[6:7], v[10:11], v[88:89], v[4:5] op_sel:[0,0,1] op_sel_hi:[1,1,0] neg_lo:[0,0,1] neg_hi:[0,0,1]
	v_pk_fma_f32 v[4:5], v[10:11], v[88:89], v[4:5] op_sel:[0,0,1] op_sel_hi:[1,0,0]
	v_mov_b32_e32 v4, v85
	v_mov_b32_e32 v7, v5
	v_pk_mul_f32 v[4:5], v[12:13], v[4:5] op_sel_hi:[1,0]
	v_pk_add_f32 v[2:3], v[2:3], v[6:7]
	v_pk_fma_f32 v[6:7], v[12:13], v[84:85], v[4:5] op_sel:[0,0,1] op_sel_hi:[1,1,0] neg_lo:[0,0,1] neg_hi:[0,0,1]
	v_pk_fma_f32 v[4:5], v[12:13], v[84:85], v[4:5] op_sel:[0,0,1] op_sel_hi:[1,0,0]
	v_mov_b32_e32 v7, v5
	v_pk_add_f32 v[2:3], v[2:3], v[6:7]
	v_pk_add_f32 v[2:3], v[14:15], v[2:3] neg_lo:[0,1] neg_hi:[0,1]
	buffer_store_dword v3, off, s[0:3], 0 offset:180
	buffer_store_dword v2, off, s[0:3], 0 offset:176
	s_and_saveexec_b64 s[4:5], vcc
	s_cbranch_execz .LBB124_337
; %bb.336:
	buffer_load_dword v2, off, s[0:3], 0 offset:168
	buffer_load_dword v3, off, s[0:3], 0 offset:172
	v_mov_b32_e32 v1, 0
	buffer_store_dword v1, off, s[0:3], 0 offset:168
	buffer_store_dword v1, off, s[0:3], 0 offset:172
	s_waitcnt vmcnt(2)
	ds_write_b64 v199, v[2:3]
.LBB124_337:
	s_or_b64 exec, exec, s[4:5]
	s_waitcnt lgkmcnt(0)
	; wave barrier
	s_waitcnt lgkmcnt(0)
	buffer_load_dword v68, off, s[0:3], 0 offset:180
	buffer_load_dword v70, off, s[0:3], 0 offset:188
	buffer_load_dword v72, off, s[0:3], 0 offset:204
	buffer_load_dword v90, off, s[0:3], 0 offset:212
	buffer_load_dword v91, off, s[0:3], 0 offset:220
	buffer_load_dword v92, off, s[0:3], 0 offset:196
	buffer_load_dword v93, off, s[0:3], 0 offset:192
	buffer_load_dword v94, off, s[0:3], 0 offset:184
	buffer_load_dword v95, off, s[0:3], 0 offset:176
	buffer_load_dword v96, off, s[0:3], 0 offset:228
	buffer_load_dword v97, off, s[0:3], 0 offset:224
	buffer_load_dword v98, off, s[0:3], 0 offset:216
	buffer_load_dword v99, off, s[0:3], 0 offset:208
	buffer_load_dword v100, off, s[0:3], 0 offset:200
	buffer_load_dword v101, off, s[0:3], 0 offset:256
	buffer_load_dword v104, off, s[0:3], 0 offset:260
	buffer_load_dword v105, off, s[0:3], 0 offset:248
	buffer_load_dword v106, off, s[0:3], 0 offset:240
	buffer_load_dword v107, off, s[0:3], 0 offset:236
	buffer_load_dword v108, off, s[0:3], 0 offset:232
	buffer_load_dword v109, off, s[0:3], 0 offset:244
	buffer_load_dword v110, off, s[0:3], 0 offset:252
	buffer_load_dword v6, off, s[0:3], 0 offset:168
	buffer_load_dword v7, off, s[0:3], 0 offset:172
	buffer_load_dword v111, off, s[0:3], 0 offset:264
	buffer_load_dword v112, off, s[0:3], 0 offset:268
	buffer_load_dword v113, off, s[0:3], 0 offset:272
	buffer_load_dword v114, off, s[0:3], 0 offset:276
	buffer_load_dword v115, off, s[0:3], 0 offset:280
	buffer_load_dword v116, off, s[0:3], 0 offset:284
	buffer_load_dword v117, off, s[0:3], 0 offset:288
	buffer_load_dword v118, off, s[0:3], 0 offset:292
	buffer_load_dword v119, off, s[0:3], 0 offset:296
	buffer_load_dword v120, off, s[0:3], 0 offset:300
	buffer_load_dword v121, off, s[0:3], 0 offset:304
	buffer_load_dword v122, off, s[0:3], 0 offset:308
	buffer_load_dword v123, off, s[0:3], 0 offset:312
	buffer_load_dword v124, off, s[0:3], 0 offset:316
	buffer_load_dword v125, off, s[0:3], 0 offset:320
	buffer_load_dword v126, off, s[0:3], 0 offset:324
	buffer_load_dword v127, off, s[0:3], 0 offset:328
	buffer_load_dword v128, off, s[0:3], 0 offset:332
	buffer_load_dword v129, off, s[0:3], 0 offset:336
	buffer_load_dword v130, off, s[0:3], 0 offset:340
	buffer_load_dword v131, off, s[0:3], 0 offset:344
	buffer_load_dword v132, off, s[0:3], 0 offset:348
	buffer_load_dword v133, off, s[0:3], 0 offset:352
	buffer_load_dword v134, off, s[0:3], 0 offset:356
	v_mov_b32_e32 v1, 0
	ds_read_b128 v[2:5], v1 offset:672
	buffer_load_dword v135, off, s[0:3], 0 offset:360
	buffer_load_dword v136, off, s[0:3], 0 offset:364
	;; [unrolled: 1-line block ×8, first 2 shown]
	ds_read_b128 v[8:11], v1 offset:688
	ds_read_b128 v[12:15], v1 offset:704
	;; [unrolled: 1-line block ×3, first 2 shown]
	buffer_load_dword v143, off, s[0:3], 0 offset:392
	buffer_load_dword v144, off, s[0:3], 0 offset:396
	;; [unrolled: 1-line block ×8, first 2 shown]
	v_cmp_lt_u32_e32 vcc, 20, v0
	s_waitcnt vmcnt(62) lgkmcnt(3)
	v_mul_f32_e32 v20, v2, v68
	v_mul_f32_e32 v21, v4, v70
	s_waitcnt vmcnt(61) lgkmcnt(2)
	v_mul_f32_e32 v23, v10, v72
	s_waitcnt vmcnt(60) lgkmcnt(1)
	v_mul_f32_e32 v24, v12, v90
	s_waitcnt vmcnt(59)
	v_mul_f32_e32 v25, v14, v91
	s_waitcnt vmcnt(58)
	;; [unrolled: 2-line block ×3, first 2 shown]
	v_fmac_f32_e32 v22, v9, v93
	s_waitcnt vmcnt(56)
	v_fmac_f32_e32 v21, v5, v94
	s_waitcnt vmcnt(55)
	v_fmac_f32_e32 v20, v3, v95
	v_add_f32_e32 v20, 0, v20
	v_add_f32_e32 v20, v20, v21
	;; [unrolled: 1-line block ×3, first 2 shown]
	s_waitcnt vmcnt(51)
	v_fmac_f32_e32 v24, v13, v99
	s_waitcnt vmcnt(50)
	v_fmac_f32_e32 v23, v11, v100
	v_add_f32_e32 v20, v20, v23
	s_waitcnt lgkmcnt(0)
	v_mul_f32_e32 v26, v16, v96
	v_fmac_f32_e32 v25, v15, v98
	v_add_f32_e32 v20, v20, v24
	v_fmac_f32_e32 v26, v17, v97
	v_add_f32_e32 v20, v20, v25
	v_add_f32_e32 v24, v20, v26
	ds_read_b128 v[20:23], v1 offset:736
	s_waitcnt vmcnt(45)
	v_mul_f32_e32 v25, v18, v107
	s_waitcnt vmcnt(44)
	v_fmac_f32_e32 v25, v19, v108
	v_add_f32_e32 v28, v24, v25
	ds_read_b128 v[24:27], v1 offset:752
	s_waitcnt vmcnt(43) lgkmcnt(1)
	v_mul_f32_e32 v29, v20, v109
	v_fmac_f32_e32 v29, v21, v106
	v_add_f32_e32 v28, v28, v29
	s_waitcnt vmcnt(42)
	v_mul_f32_e32 v29, v22, v110
	v_fmac_f32_e32 v29, v23, v105
	v_add_f32_e32 v28, v28, v29
	s_waitcnt lgkmcnt(0)
	v_mul_f32_e32 v29, v24, v104
	v_fmac_f32_e32 v29, v25, v101
	v_add_f32_e32 v32, v28, v29
	ds_read_b128 v[28:31], v1 offset:768
	s_waitcnt vmcnt(38)
	v_mul_f32_e32 v33, v26, v112
	v_fmac_f32_e32 v33, v27, v111
	v_add_f32_e32 v36, v32, v33
	ds_read_b128 v[32:35], v1 offset:784
	s_waitcnt vmcnt(36) lgkmcnt(1)
	v_mul_f32_e32 v37, v28, v114
	v_fmac_f32_e32 v37, v29, v113
	v_add_f32_e32 v36, v36, v37
	s_waitcnt vmcnt(34)
	v_mul_f32_e32 v37, v30, v116
	v_fmac_f32_e32 v37, v31, v115
	v_add_f32_e32 v36, v36, v37
	s_waitcnt vmcnt(32) lgkmcnt(0)
	v_mul_f32_e32 v37, v32, v118
	v_fmac_f32_e32 v37, v33, v117
	v_add_f32_e32 v40, v36, v37
	ds_read_b128 v[36:39], v1 offset:800
	s_waitcnt vmcnt(30)
	v_mul_f32_e32 v41, v34, v120
	v_fmac_f32_e32 v41, v35, v119
	v_add_f32_e32 v44, v40, v41
	ds_read_b128 v[40:43], v1 offset:816
	s_waitcnt vmcnt(28) lgkmcnt(1)
	v_mul_f32_e32 v45, v36, v122
	v_fmac_f32_e32 v45, v37, v121
	v_add_f32_e32 v44, v44, v45
	s_waitcnt vmcnt(26)
	v_mul_f32_e32 v45, v38, v124
	v_fmac_f32_e32 v45, v39, v123
	v_add_f32_e32 v44, v44, v45
	s_waitcnt vmcnt(24) lgkmcnt(0)
	;; [unrolled: 18-line block ×4, first 2 shown]
	v_mul_f32_e32 v61, v56, v142
	v_fmac_f32_e32 v61, v57, v141
	s_waitcnt vmcnt(6)
	v_mul_f32_e32 v65, v58, v144
	v_add_f32_e32 v64, v60, v61
	v_fmac_f32_e32 v65, v59, v143
	ds_read_b128 v[60:63], v1 offset:896
	v_add_f32_e32 v69, v64, v65
	ds_read_b128 v[64:67], v1 offset:912
	buffer_load_dword v75, off, s[0:3], 0 offset:452
	buffer_load_dword v74, off, s[0:3], 0 offset:448
	buffer_load_dword v77, off, s[0:3], 0 offset:444
	buffer_load_dword v76, off, s[0:3], 0 offset:440
	buffer_load_dword v79, off, s[0:3], 0 offset:436
	buffer_load_dword v78, off, s[0:3], 0 offset:432
	buffer_load_dword v81, off, s[0:3], 0 offset:428
	buffer_load_dword v80, off, s[0:3], 0 offset:424
	buffer_load_dword v83, off, s[0:3], 0 offset:484
	buffer_load_dword v82, off, s[0:3], 0 offset:480
	buffer_load_dword v85, off, s[0:3], 0 offset:476
	buffer_load_dword v84, off, s[0:3], 0 offset:472
	buffer_load_dword v87, off, s[0:3], 0 offset:468
	buffer_load_dword v86, off, s[0:3], 0 offset:464
	buffer_load_dword v89, off, s[0:3], 0 offset:460
	buffer_load_dword v88, off, s[0:3], 0 offset:456
	v_mul_f32_e32 v3, v3, v68
	v_fma_f32 v2, v2, v95, -v3
	v_mul_f32_e32 v3, v5, v70
	v_add_f32_e32 v2, 0, v2
	v_fma_f32 v3, v4, v94, -v3
	v_add_f32_e32 v2, v2, v3
	v_mul_f32_e32 v3, v9, v92
	v_fma_f32 v3, v8, v93, -v3
	v_add_f32_e32 v2, v2, v3
	v_mul_f32_e32 v3, v11, v72
	;; [unrolled: 3-line block ×26, first 2 shown]
	v_fma_f32 v3, v58, v143, -v3
	v_add_f32_e32 v2, v2, v3
	s_waitcnt vmcnt(20) lgkmcnt(1)
	v_mul_f32_e32 v3, v61, v146
	v_mul_f32_e32 v71, v60, v146
	v_fma_f32 v3, v60, v145, -v3
	v_fmac_f32_e32 v71, v61, v145
	v_add_f32_e32 v68, v2, v3
	s_waitcnt vmcnt(18)
	v_mul_f32_e32 v2, v63, v148
	s_waitcnt vmcnt(9)
	v_mov_b32_e32 v20, v81
	v_add_f32_e32 v69, v69, v71
	v_mul_f32_e32 v71, v62, v148
	v_fma_f32 v70, v62, v147, -v2
	s_waitcnt lgkmcnt(0)
	v_mul_f32_e32 v2, v65, v150
	v_pk_mul_f32 v[20:21], v[66:67], v[20:21] op_sel_hi:[1,0]
	v_fmac_f32_e32 v71, v63, v147
	v_mul_f32_e32 v73, v64, v150
	v_fma_f32 v72, v64, v149, -v2
	ds_read_b128 v[2:5], v1 offset:928
	ds_read_b128 v[8:11], v1 offset:944
	;; [unrolled: 1-line block ×3, first 2 shown]
	ds_read_b64 v[16:17], v1 offset:976
	s_waitcnt vmcnt(8)
	v_pk_fma_f32 v[22:23], v[66:67], v[80:81], v[20:21] op_sel:[0,0,1] op_sel_hi:[1,1,0] neg_lo:[0,0,1] neg_hi:[0,0,1]
	v_pk_fma_f32 v[20:21], v[66:67], v[80:81], v[20:21] op_sel:[0,0,1] op_sel_hi:[1,0,0]
	v_fmac_f32_e32 v73, v65, v149
	v_pk_add_f32 v[18:19], v[68:69], v[70:71]
	v_mov_b32_e32 v20, v79
	v_pk_add_f32 v[18:19], v[18:19], v[72:73]
	v_mov_b32_e32 v23, v21
	s_waitcnt lgkmcnt(3)
	v_pk_mul_f32 v[20:21], v[2:3], v[20:21] op_sel_hi:[1,0]
	v_pk_add_f32 v[18:19], v[18:19], v[22:23]
	v_pk_fma_f32 v[22:23], v[2:3], v[78:79], v[20:21] op_sel:[0,0,1] op_sel_hi:[1,1,0] neg_lo:[0,0,1] neg_hi:[0,0,1]
	v_pk_fma_f32 v[2:3], v[2:3], v[78:79], v[20:21] op_sel:[0,0,1] op_sel_hi:[1,0,0]
	v_mov_b32_e32 v23, v3
	v_pk_add_f32 v[2:3], v[18:19], v[22:23]
	v_mov_b32_e32 v18, v77
	v_pk_mul_f32 v[18:19], v[4:5], v[18:19] op_sel_hi:[1,0]
	v_pk_fma_f32 v[20:21], v[4:5], v[76:77], v[18:19] op_sel:[0,0,1] op_sel_hi:[1,1,0] neg_lo:[0,0,1] neg_hi:[0,0,1]
	v_pk_fma_f32 v[4:5], v[4:5], v[76:77], v[18:19] op_sel:[0,0,1] op_sel_hi:[1,0,0]
	v_mov_b32_e32 v4, v75
	v_mov_b32_e32 v21, v5
	s_waitcnt lgkmcnt(2)
	v_pk_mul_f32 v[4:5], v[8:9], v[4:5] op_sel_hi:[1,0]
	v_pk_fma_f32 v[18:19], v[8:9], v[74:75], v[4:5] op_sel:[0,0,1] op_sel_hi:[1,1,0] neg_lo:[0,0,1] neg_hi:[0,0,1]
	v_pk_fma_f32 v[4:5], v[8:9], v[74:75], v[4:5] op_sel:[0,0,1] op_sel_hi:[1,0,0]
	s_waitcnt vmcnt(1)
	v_mov_b32_e32 v4, v89
	v_mov_b32_e32 v19, v5
	v_pk_mul_f32 v[4:5], v[10:11], v[4:5] op_sel_hi:[1,0]
	s_waitcnt vmcnt(0)
	v_pk_fma_f32 v[8:9], v[10:11], v[88:89], v[4:5] op_sel:[0,0,1] op_sel_hi:[1,1,0] neg_lo:[0,0,1] neg_hi:[0,0,1]
	v_pk_fma_f32 v[4:5], v[10:11], v[88:89], v[4:5] op_sel:[0,0,1] op_sel_hi:[1,0,0]
	v_pk_add_f32 v[2:3], v[2:3], v[20:21]
	v_mov_b32_e32 v4, v87
	v_pk_add_f32 v[2:3], v[2:3], v[18:19]
	v_mov_b32_e32 v9, v5
	s_waitcnt lgkmcnt(1)
	v_pk_mul_f32 v[4:5], v[12:13], v[4:5] op_sel_hi:[1,0]
	v_pk_add_f32 v[2:3], v[2:3], v[8:9]
	v_pk_fma_f32 v[8:9], v[12:13], v[86:87], v[4:5] op_sel:[0,0,1] op_sel_hi:[1,1,0] neg_lo:[0,0,1] neg_hi:[0,0,1]
	v_pk_fma_f32 v[4:5], v[12:13], v[86:87], v[4:5] op_sel:[0,0,1] op_sel_hi:[1,0,0]
	v_mov_b32_e32 v4, v85
	v_mov_b32_e32 v9, v5
	v_pk_mul_f32 v[4:5], v[14:15], v[4:5] op_sel_hi:[1,0]
	v_pk_add_f32 v[2:3], v[2:3], v[8:9]
	v_pk_fma_f32 v[8:9], v[14:15], v[84:85], v[4:5] op_sel:[0,0,1] op_sel_hi:[1,1,0] neg_lo:[0,0,1] neg_hi:[0,0,1]
	v_pk_fma_f32 v[4:5], v[14:15], v[84:85], v[4:5] op_sel:[0,0,1] op_sel_hi:[1,0,0]
	v_mov_b32_e32 v4, v83
	v_mov_b32_e32 v9, v5
	s_waitcnt lgkmcnt(0)
	v_pk_mul_f32 v[4:5], v[16:17], v[4:5] op_sel_hi:[1,0]
	v_pk_add_f32 v[2:3], v[2:3], v[8:9]
	v_pk_fma_f32 v[8:9], v[16:17], v[82:83], v[4:5] op_sel:[0,0,1] op_sel_hi:[1,1,0] neg_lo:[0,0,1] neg_hi:[0,0,1]
	v_pk_fma_f32 v[4:5], v[16:17], v[82:83], v[4:5] op_sel:[0,0,1] op_sel_hi:[1,0,0]
	v_mov_b32_e32 v9, v5
	v_pk_add_f32 v[2:3], v[2:3], v[8:9]
	v_pk_add_f32 v[2:3], v[6:7], v[2:3] neg_lo:[0,1] neg_hi:[0,1]
	buffer_store_dword v3, off, s[0:3], 0 offset:172
	buffer_store_dword v2, off, s[0:3], 0 offset:168
	s_and_saveexec_b64 s[4:5], vcc
	s_cbranch_execz .LBB124_339
; %bb.338:
	buffer_load_dword v2, off, s[0:3], 0 offset:160
	buffer_load_dword v3, off, s[0:3], 0 offset:164
	s_waitcnt vmcnt(0)
	ds_write_b64 v199, v[2:3]
	buffer_store_dword v1, off, s[0:3], 0 offset:160
	buffer_store_dword v1, off, s[0:3], 0 offset:164
.LBB124_339:
	s_or_b64 exec, exec, s[4:5]
	s_waitcnt lgkmcnt(0)
	; wave barrier
	s_waitcnt lgkmcnt(0)
	buffer_load_dword v68, off, s[0:3], 0 offset:172
	buffer_load_dword v70, off, s[0:3], 0 offset:180
	buffer_load_dword v78, off, s[0:3], 0 offset:196
	buffer_load_dword v90, off, s[0:3], 0 offset:204
	buffer_load_dword v91, off, s[0:3], 0 offset:212
	buffer_load_dword v92, off, s[0:3], 0 offset:188
	buffer_load_dword v93, off, s[0:3], 0 offset:220
	buffer_load_dword v94, off, s[0:3], 0 offset:228
	buffer_load_dword v95, off, s[0:3], 0 offset:184
	buffer_load_dword v96, off, s[0:3], 0 offset:176
	buffer_load_dword v97, off, s[0:3], 0 offset:168
	buffer_load_dword v98, off, s[0:3], 0 offset:216
	buffer_load_dword v99, off, s[0:3], 0 offset:208
	buffer_load_dword v100, off, s[0:3], 0 offset:200
	buffer_load_dword v101, off, s[0:3], 0 offset:192
	buffer_load_dword v104, off, s[0:3], 0 offset:248
	buffer_load_dword v105, off, s[0:3], 0 offset:240
	buffer_load_dword v106, off, s[0:3], 0 offset:232
	buffer_load_dword v107, off, s[0:3], 0 offset:224
	buffer_load_dword v108, off, s[0:3], 0 offset:236
	buffer_load_dword v109, off, s[0:3], 0 offset:244
	buffer_load_dword v110, off, s[0:3], 0 offset:252
	buffer_load_dword v18, off, s[0:3], 0 offset:160
	buffer_load_dword v19, off, s[0:3], 0 offset:164
	buffer_load_dword v111, off, s[0:3], 0 offset:256
	buffer_load_dword v112, off, s[0:3], 0 offset:260
	ds_read2_b64 v[14:17], v1 offset0:83 offset1:84
	ds_read2_b64 v[6:9], v1 offset0:85 offset1:86
	buffer_load_dword v113, off, s[0:3], 0 offset:264
	buffer_load_dword v114, off, s[0:3], 0 offset:268
	ds_read2_b64 v[10:13], v1 offset0:87 offset1:88
	ds_read2_b64 v[2:5], v1 offset0:89 offset1:90
	buffer_load_dword v115, off, s[0:3], 0 offset:272
	buffer_load_dword v116, off, s[0:3], 0 offset:276
	;; [unrolled: 1-line block ×32, first 2 shown]
	v_cmp_lt_u32_e32 vcc, 19, v0
	s_waitcnt vmcnt(59) lgkmcnt(3)
	v_mul_f32_e32 v20, v14, v68
	s_waitcnt vmcnt(58)
	v_mul_f32_e32 v21, v16, v70
	s_waitcnt vmcnt(57) lgkmcnt(2)
	v_mul_f32_e32 v23, v8, v78
	s_waitcnt vmcnt(56) lgkmcnt(1)
	v_mul_f32_e32 v24, v10, v90
	s_waitcnt vmcnt(55)
	v_mul_f32_e32 v25, v12, v91
	s_waitcnt vmcnt(54)
	v_mul_f32_e32 v22, v6, v92
	s_waitcnt vmcnt(53) lgkmcnt(0)
	v_mul_f32_e32 v26, v2, v93
	s_waitcnt vmcnt(52)
	v_mul_f32_e32 v27, v4, v94
	s_waitcnt vmcnt(51)
	v_fmac_f32_e32 v22, v7, v95
	s_waitcnt vmcnt(50)
	v_fmac_f32_e32 v21, v17, v96
	;; [unrolled: 2-line block ×3, first 2 shown]
	v_add_f32_e32 v20, 0, v20
	v_add_f32_e32 v20, v20, v21
	;; [unrolled: 1-line block ×3, first 2 shown]
	s_waitcnt vmcnt(45)
	v_fmac_f32_e32 v23, v9, v101
	v_fmac_f32_e32 v24, v11, v100
	v_add_f32_e32 v20, v20, v23
	v_fmac_f32_e32 v25, v13, v99
	v_add_f32_e32 v20, v20, v24
	;; [unrolled: 2-line block ×3, first 2 shown]
	v_add_f32_e32 v24, v20, v26
	ds_read2_b64 v[20:23], v1 offset0:91 offset1:92
	s_waitcnt vmcnt(41)
	v_fmac_f32_e32 v27, v5, v107
	buffer_load_dword v147, off, s[0:3], 0 offset:400
	buffer_load_dword v148, off, s[0:3], 0 offset:404
	v_add_f32_e32 v28, v24, v27
	buffer_load_dword v149, off, s[0:3], 0 offset:408
	buffer_load_dword v150, off, s[0:3], 0 offset:412
	ds_read2_b64 v[24:27], v1 offset0:93 offset1:94
	s_waitcnt vmcnt(44) lgkmcnt(1)
	v_mul_f32_e32 v29, v20, v108
	v_fmac_f32_e32 v29, v21, v106
	v_add_f32_e32 v28, v28, v29
	s_waitcnt vmcnt(43)
	v_mul_f32_e32 v29, v22, v109
	v_fmac_f32_e32 v29, v23, v105
	v_add_f32_e32 v28, v28, v29
	s_waitcnt vmcnt(42) lgkmcnt(0)
	v_mul_f32_e32 v29, v24, v110
	v_fmac_f32_e32 v29, v25, v104
	buffer_load_dword v151, off, s[0:3], 0 offset:416
	buffer_load_dword v152, off, s[0:3], 0 offset:420
	v_add_f32_e32 v32, v28, v29
	ds_read2_b64 v[28:31], v1 offset0:95 offset1:96
	s_waitcnt vmcnt(40)
	v_mul_f32_e32 v33, v26, v112
	v_fmac_f32_e32 v33, v27, v111
	v_add_f32_e32 v36, v32, v33
	ds_read2_b64 v[32:35], v1 offset0:97 offset1:98
	s_waitcnt vmcnt(38) lgkmcnt(1)
	v_mul_f32_e32 v37, v28, v114
	v_fmac_f32_e32 v37, v29, v113
	v_add_f32_e32 v36, v36, v37
	s_waitcnt vmcnt(36)
	v_mul_f32_e32 v37, v30, v116
	v_fmac_f32_e32 v37, v31, v115
	v_add_f32_e32 v36, v36, v37
	s_waitcnt vmcnt(34) lgkmcnt(0)
	v_mul_f32_e32 v37, v32, v118
	v_fmac_f32_e32 v37, v33, v117
	v_add_f32_e32 v40, v36, v37
	ds_read2_b64 v[36:39], v1 offset0:99 offset1:100
	s_waitcnt vmcnt(32)
	v_mul_f32_e32 v41, v34, v120
	v_fmac_f32_e32 v41, v35, v119
	v_add_f32_e32 v44, v40, v41
	ds_read2_b64 v[40:43], v1 offset0:101 offset1:102
	s_waitcnt vmcnt(30) lgkmcnt(1)
	v_mul_f32_e32 v45, v36, v122
	v_fmac_f32_e32 v45, v37, v121
	v_add_f32_e32 v44, v44, v45
	s_waitcnt vmcnt(28)
	v_mul_f32_e32 v45, v38, v124
	v_fmac_f32_e32 v45, v39, v123
	v_add_f32_e32 v44, v44, v45
	s_waitcnt vmcnt(26) lgkmcnt(0)
	v_mul_f32_e32 v45, v40, v126
	v_fmac_f32_e32 v45, v41, v125
	v_add_f32_e32 v48, v44, v45
	ds_read2_b64 v[44:47], v1 offset0:103 offset1:104
	s_waitcnt vmcnt(24)
	v_mul_f32_e32 v49, v42, v128
	v_fmac_f32_e32 v49, v43, v127
	v_add_f32_e32 v52, v48, v49
	ds_read2_b64 v[48:51], v1 offset0:105 offset1:106
	s_waitcnt vmcnt(22) lgkmcnt(1)
	v_mul_f32_e32 v53, v44, v130
	v_fmac_f32_e32 v53, v45, v129
	v_add_f32_e32 v52, v52, v53
	s_waitcnt vmcnt(20)
	v_mul_f32_e32 v53, v46, v132
	v_fmac_f32_e32 v53, v47, v131
	v_add_f32_e32 v52, v52, v53
	s_waitcnt vmcnt(18) lgkmcnt(0)
	v_mul_f32_e32 v53, v48, v134
	v_fmac_f32_e32 v53, v49, v133
	v_add_f32_e32 v56, v52, v53
	ds_read2_b64 v[52:55], v1 offset0:107 offset1:108
	s_waitcnt vmcnt(16)
	v_mul_f32_e32 v57, v50, v136
	v_fmac_f32_e32 v57, v51, v135
	v_add_f32_e32 v60, v56, v57
	ds_read2_b64 v[56:59], v1 offset0:109 offset1:110
	s_waitcnt vmcnt(14) lgkmcnt(1)
	v_mul_f32_e32 v61, v52, v138
	v_fmac_f32_e32 v61, v53, v137
	v_add_f32_e32 v60, v60, v61
	s_waitcnt vmcnt(12)
	v_mul_f32_e32 v61, v54, v140
	v_fmac_f32_e32 v61, v55, v139
	v_add_f32_e32 v60, v60, v61
	s_waitcnt vmcnt(10) lgkmcnt(0)
	v_mul_f32_e32 v61, v56, v142
	v_fmac_f32_e32 v61, v57, v141
	s_waitcnt vmcnt(8)
	v_mul_f32_e32 v65, v58, v144
	v_add_f32_e32 v64, v60, v61
	v_fmac_f32_e32 v65, v59, v143
	ds_read2_b64 v[60:63], v1 offset0:111 offset1:112
	v_add_f32_e32 v69, v64, v65
	ds_read2_b64 v[64:67], v1 offset0:113 offset1:114
	buffer_load_dword v73, off, s[0:3], 0 offset:444
	buffer_load_dword v72, off, s[0:3], 0 offset:440
	;; [unrolled: 1-line block ×16, first 2 shown]
	v_mul_f32_e32 v15, v15, v68
	v_fma_f32 v14, v14, v97, -v15
	v_mul_f32_e32 v15, v17, v70
	v_add_f32_e32 v14, 0, v14
	v_fma_f32 v15, v16, v96, -v15
	v_mul_f32_e32 v7, v7, v92
	v_add_f32_e32 v14, v14, v15
	;; [unrolled: 3-line block ×3, first 2 shown]
	v_fma_f32 v7, v8, v101, -v7
	v_add_f32_e32 v6, v6, v7
	v_mul_f32_e32 v7, v11, v90
	v_fma_f32 v7, v10, v100, -v7
	v_add_f32_e32 v6, v6, v7
	v_mul_f32_e32 v7, v13, v91
	v_fma_f32 v7, v12, v99, -v7
	v_mul_f32_e32 v3, v3, v93
	v_add_f32_e32 v6, v6, v7
	v_fma_f32 v2, v2, v98, -v3
	v_mul_f32_e32 v3, v5, v94
	v_add_f32_e32 v2, v6, v2
	v_fma_f32 v3, v4, v107, -v3
	v_add_f32_e32 v2, v2, v3
	v_mul_f32_e32 v3, v21, v108
	v_fma_f32 v3, v20, v106, -v3
	v_add_f32_e32 v2, v2, v3
	v_mul_f32_e32 v3, v23, v109
	;; [unrolled: 3-line block ×20, first 2 shown]
	v_fma_f32 v3, v58, v143, -v3
	v_add_f32_e32 v2, v2, v3
	s_waitcnt vmcnt(22) lgkmcnt(1)
	v_mul_f32_e32 v3, v61, v146
	v_fma_f32 v3, v60, v145, -v3
	v_add_f32_e32 v2, v2, v3
	s_waitcnt vmcnt(20)
	v_mul_f32_e32 v3, v63, v148
	v_mul_f32_e32 v71, v60, v146
	v_fma_f32 v3, v62, v147, -v3
	v_fmac_f32_e32 v71, v61, v145
	v_add_f32_e32 v68, v2, v3
	s_waitcnt vmcnt(18) lgkmcnt(0)
	v_mul_f32_e32 v2, v65, v150
	v_add_f32_e32 v69, v69, v71
	v_mul_f32_e32 v71, v62, v148
	v_fma_f32 v70, v64, v149, -v2
	s_waitcnt vmcnt(16)
	v_mul_f32_e32 v2, v67, v152
	v_fmac_f32_e32 v71, v63, v147
	v_fma_f32 v78, v66, v151, -v2
	ds_read2_b64 v[2:5], v1 offset0:115 offset1:116
	ds_read2_b64 v[6:9], v1 offset0:117 offset1:118
	;; [unrolled: 1-line block ×4, first 2 shown]
	v_add_f32_e32 v69, v69, v71
	v_mul_f32_e32 v71, v64, v150
	s_waitcnt vmcnt(11)
	v_mov_b32_e32 v22, v77
	v_fmac_f32_e32 v71, v65, v149
	v_mul_f32_e32 v79, v66, v152
	s_waitcnt lgkmcnt(3)
	v_pk_mul_f32 v[22:23], v[2:3], v[22:23] op_sel_hi:[1,0]
	v_fmac_f32_e32 v79, v67, v151
	v_pk_add_f32 v[20:21], v[68:69], v[70:71]
	s_waitcnt vmcnt(10)
	v_pk_fma_f32 v[24:25], v[2:3], v[76:77], v[22:23] op_sel:[0,0,1] op_sel_hi:[1,1,0] neg_lo:[0,0,1] neg_hi:[0,0,1]
	v_pk_fma_f32 v[2:3], v[2:3], v[76:77], v[22:23] op_sel:[0,0,1] op_sel_hi:[1,0,0]
	v_pk_add_f32 v[20:21], v[20:21], v[78:79]
	v_mov_b32_e32 v25, v3
	v_pk_add_f32 v[2:3], v[20:21], v[24:25]
	v_mov_b32_e32 v20, v75
	v_pk_mul_f32 v[20:21], v[4:5], v[20:21] op_sel_hi:[1,0]
	v_pk_fma_f32 v[22:23], v[4:5], v[74:75], v[20:21] op_sel:[0,0,1] op_sel_hi:[1,1,0] neg_lo:[0,0,1] neg_hi:[0,0,1]
	v_pk_fma_f32 v[4:5], v[4:5], v[74:75], v[20:21] op_sel:[0,0,1] op_sel_hi:[1,0,0]
	v_mov_b32_e32 v4, v73
	v_mov_b32_e32 v23, v5
	s_waitcnt lgkmcnt(2)
	v_pk_mul_f32 v[4:5], v[6:7], v[4:5] op_sel_hi:[1,0]
	v_pk_fma_f32 v[20:21], v[6:7], v[72:73], v[4:5] op_sel:[0,0,1] op_sel_hi:[1,1,0] neg_lo:[0,0,1] neg_hi:[0,0,1]
	v_pk_fma_f32 v[4:5], v[6:7], v[72:73], v[4:5] op_sel:[0,0,1] op_sel_hi:[1,0,0]
	s_waitcnt vmcnt(3)
	v_mov_b32_e32 v4, v87
	v_mov_b32_e32 v21, v5
	v_pk_mul_f32 v[4:5], v[8:9], v[4:5] op_sel_hi:[1,0]
	s_waitcnt vmcnt(2)
	v_pk_fma_f32 v[6:7], v[8:9], v[86:87], v[4:5] op_sel:[0,0,1] op_sel_hi:[1,1,0] neg_lo:[0,0,1] neg_hi:[0,0,1]
	v_pk_fma_f32 v[4:5], v[8:9], v[86:87], v[4:5] op_sel:[0,0,1] op_sel_hi:[1,0,0]
	v_pk_add_f32 v[2:3], v[2:3], v[22:23]
	v_mov_b32_e32 v4, v85
	v_pk_add_f32 v[2:3], v[2:3], v[20:21]
	v_mov_b32_e32 v7, v5
	s_waitcnt lgkmcnt(1)
	v_pk_mul_f32 v[4:5], v[10:11], v[4:5] op_sel_hi:[1,0]
	v_pk_add_f32 v[2:3], v[2:3], v[6:7]
	v_pk_fma_f32 v[6:7], v[10:11], v[84:85], v[4:5] op_sel:[0,0,1] op_sel_hi:[1,1,0] neg_lo:[0,0,1] neg_hi:[0,0,1]
	v_pk_fma_f32 v[4:5], v[10:11], v[84:85], v[4:5] op_sel:[0,0,1] op_sel_hi:[1,0,0]
	v_mov_b32_e32 v4, v83
	v_mov_b32_e32 v7, v5
	v_pk_mul_f32 v[4:5], v[12:13], v[4:5] op_sel_hi:[1,0]
	v_pk_add_f32 v[2:3], v[2:3], v[6:7]
	v_pk_fma_f32 v[6:7], v[12:13], v[82:83], v[4:5] op_sel:[0,0,1] op_sel_hi:[1,1,0] neg_lo:[0,0,1] neg_hi:[0,0,1]
	v_pk_fma_f32 v[4:5], v[12:13], v[82:83], v[4:5] op_sel:[0,0,1] op_sel_hi:[1,0,0]
	v_mov_b32_e32 v4, v81
	v_mov_b32_e32 v7, v5
	s_waitcnt lgkmcnt(0)
	v_pk_mul_f32 v[4:5], v[14:15], v[4:5] op_sel_hi:[1,0]
	v_pk_add_f32 v[2:3], v[2:3], v[6:7]
	v_pk_fma_f32 v[6:7], v[14:15], v[80:81], v[4:5] op_sel:[0,0,1] op_sel_hi:[1,1,0] neg_lo:[0,0,1] neg_hi:[0,0,1]
	v_pk_fma_f32 v[4:5], v[14:15], v[80:81], v[4:5] op_sel:[0,0,1] op_sel_hi:[1,0,0]
	s_waitcnt vmcnt(1)
	v_mov_b32_e32 v4, v89
	v_mov_b32_e32 v7, v5
	v_pk_mul_f32 v[4:5], v[16:17], v[4:5] op_sel_hi:[1,0]
	v_pk_add_f32 v[2:3], v[2:3], v[6:7]
	s_waitcnt vmcnt(0)
	v_pk_fma_f32 v[6:7], v[16:17], v[88:89], v[4:5] op_sel:[0,0,1] op_sel_hi:[1,1,0] neg_lo:[0,0,1] neg_hi:[0,0,1]
	v_pk_fma_f32 v[4:5], v[16:17], v[88:89], v[4:5] op_sel:[0,0,1] op_sel_hi:[1,0,0]
	v_mov_b32_e32 v7, v5
	v_pk_add_f32 v[2:3], v[2:3], v[6:7]
	v_pk_add_f32 v[2:3], v[18:19], v[2:3] neg_lo:[0,1] neg_hi:[0,1]
	buffer_store_dword v3, off, s[0:3], 0 offset:164
	buffer_store_dword v2, off, s[0:3], 0 offset:160
	s_and_saveexec_b64 s[4:5], vcc
	s_cbranch_execz .LBB124_341
; %bb.340:
	buffer_load_dword v2, off, s[0:3], 0 offset:152
	buffer_load_dword v3, off, s[0:3], 0 offset:156
	v_mov_b32_e32 v1, 0
	buffer_store_dword v1, off, s[0:3], 0 offset:152
	buffer_store_dword v1, off, s[0:3], 0 offset:156
	s_waitcnt vmcnt(2)
	ds_write_b64 v199, v[2:3]
.LBB124_341:
	s_or_b64 exec, exec, s[4:5]
	v_mov_b32_e32 v94, 0
	s_waitcnt lgkmcnt(0)
	; wave barrier
	s_waitcnt lgkmcnt(0)
	ds_read_b128 v[14:17], v94 offset:656
	ds_read_b128 v[10:13], v94 offset:672
	;; [unrolled: 1-line block ×4, first 2 shown]
	buffer_load_dword v70, off, s[0:3], 0 offset:152
	buffer_load_dword v71, off, s[0:3], 0 offset:156
	;; [unrolled: 1-line block ×18, first 2 shown]
	v_cmp_lt_u32_e32 vcc, 18, v0
	s_waitcnt vmcnt(14) lgkmcnt(3)
	v_mul_f32_e32 v18, v14, v78
	v_fmac_f32_e32 v18, v15, v1
	s_waitcnt vmcnt(12)
	v_mul_f32_e32 v19, v16, v96
	v_add_f32_e32 v18, 0, v18
	v_fmac_f32_e32 v19, v17, v72
	v_add_f32_e32 v18, v18, v19
	s_waitcnt vmcnt(10) lgkmcnt(2)
	v_mul_f32_e32 v19, v10, v98
	v_fmac_f32_e32 v19, v11, v74
	v_add_f32_e32 v18, v18, v19
	s_waitcnt vmcnt(8)
	v_mul_f32_e32 v19, v12, v100
	v_fmac_f32_e32 v19, v13, v95
	v_add_f32_e32 v18, v18, v19
	s_waitcnt vmcnt(6) lgkmcnt(1)
	v_mul_f32_e32 v19, v6, v104
	v_fmac_f32_e32 v19, v7, v97
	v_add_f32_e32 v18, v18, v19
	s_waitcnt vmcnt(4)
	v_mul_f32_e32 v19, v8, v105
	;; [unrolled: 8-line block ×3, first 2 shown]
	v_fmac_f32_e32 v19, v5, v107
	v_add_f32_e32 v22, v18, v19
	ds_read_b128 v[18:21], v94 offset:720
	buffer_load_dword v109, off, s[0:3], 0 offset:224
	buffer_load_dword v110, off, s[0:3], 0 offset:228
	buffer_load_dword v111, off, s[0:3], 0 offset:232
	buffer_load_dword v112, off, s[0:3], 0 offset:236
	ds_read_b128 v[26:29], v94 offset:736
	buffer_load_dword v113, off, s[0:3], 0 offset:240
	buffer_load_dword v114, off, s[0:3], 0 offset:244
	buffer_load_dword v115, off, s[0:3], 0 offset:248
	buffer_load_dword v116, off, s[0:3], 0 offset:252
	;; [unrolled: 5-line block ×12, first 2 shown]
	v_mul_f32_e32 v15, v15, v78
	v_fma_f32 v1, v14, v1, -v15
	v_mul_f32_e32 v14, v17, v96
	v_add_f32_e32 v1, 0, v1
	v_fma_f32 v14, v16, v72, -v14
	v_mul_f32_e32 v11, v11, v98
	v_add_f32_e32 v1, v1, v14
	v_fma_f32 v10, v10, v74, -v11
	v_add_f32_e32 v1, v1, v10
	v_mul_f32_e32 v10, v13, v100
	v_fma_f32 v10, v12, v95, -v10
	v_mul_f32_e32 v7, v7, v104
	v_add_f32_e32 v1, v1, v10
	v_fma_f32 v6, v6, v97, -v7
	v_add_f32_e32 v1, v1, v6
	v_mul_f32_e32 v6, v9, v105
	;; [unrolled: 6-line block ×3, first 2 shown]
	v_fma_f32 v2, v4, v107, -v2
	v_add_f32_e32 v1, v1, v2
	s_waitcnt vmcnt(46) lgkmcnt(11)
	v_mul_f32_e32 v23, v18, v110
	v_fmac_f32_e32 v23, v19, v109
	v_add_f32_e32 v22, v22, v23
	s_waitcnt vmcnt(44)
	v_mul_f32_e32 v23, v20, v112
	v_fmac_f32_e32 v23, v21, v111
	v_add_f32_e32 v22, v22, v23
	s_waitcnt vmcnt(42) lgkmcnt(10)
	v_mul_f32_e32 v23, v26, v114
	v_fmac_f32_e32 v23, v27, v113
	v_add_f32_e32 v22, v22, v23
	s_waitcnt vmcnt(40)
	v_mul_f32_e32 v23, v28, v116
	v_fmac_f32_e32 v23, v29, v115
	;; [unrolled: 8-line block ×11, first 2 shown]
	v_add_f32_e32 v22, v22, v23
	s_waitcnt vmcnt(2) lgkmcnt(0)
	v_mul_f32_e32 v23, v66, v154
	v_fmac_f32_e32 v23, v67, v153
	v_add_f32_e32 v73, v22, v23
	ds_read_b128 v[22:25], v94 offset:912
	buffer_load_dword v157, off, s[0:3], 0 offset:416
	buffer_load_dword v158, off, s[0:3], 0 offset:420
	;; [unrolled: 1-line block ×18, first 2 shown]
	v_mul_f32_e32 v2, v19, v110
	v_fma_f32 v2, v18, v109, -v2
	v_add_f32_e32 v1, v1, v2
	v_mul_f32_e32 v2, v21, v112
	v_fma_f32 v2, v20, v111, -v2
	v_add_f32_e32 v1, v1, v2
	;; [unrolled: 3-line block ×22, first 2 shown]
	v_mul_f32_e32 v2, v67, v154
	v_fma_f32 v2, v66, v153, -v2
	s_waitcnt vmcnt(15)
	v_mov_b32_e32 v18, v77
	v_mul_f32_e32 v75, v68, v156
	v_add_f32_e32 v72, v1, v2
	v_mul_f32_e32 v1, v69, v156
	s_waitcnt lgkmcnt(0)
	v_pk_mul_f32 v[18:19], v[24:25], v[18:19] op_sel_hi:[1,0]
	v_fmac_f32_e32 v75, v69, v155
	v_fma_f32 v74, v68, v155, -v1
	ds_read_b128 v[2:5], v94 offset:928
	ds_read_b128 v[6:9], v94 offset:944
	;; [unrolled: 1-line block ×3, first 2 shown]
	ds_read_b64 v[14:15], v94 offset:976
	s_waitcnt vmcnt(14)
	v_pk_fma_f32 v[20:21], v[24:25], v[76:77], v[18:19] op_sel:[0,0,1] op_sel_hi:[1,1,0] neg_lo:[0,0,1] neg_hi:[0,0,1]
	v_pk_fma_f32 v[18:19], v[24:25], v[76:77], v[18:19] op_sel:[0,0,1] op_sel_hi:[1,0,0]
	v_mul_f32_e32 v79, v22, v158
	v_mul_f32_e32 v1, v23, v158
	v_fmac_f32_e32 v79, v23, v157
	v_fma_f32 v78, v22, v157, -v1
	v_pk_add_f32 v[16:17], v[72:73], v[74:75]
	s_waitcnt vmcnt(13)
	v_mov_b32_e32 v18, v93
	v_pk_add_f32 v[16:17], v[16:17], v[78:79]
	v_mov_b32_e32 v21, v19
	s_waitcnt lgkmcnt(3)
	v_pk_mul_f32 v[18:19], v[2:3], v[18:19] op_sel_hi:[1,0]
	v_pk_add_f32 v[16:17], v[16:17], v[20:21]
	s_waitcnt vmcnt(12)
	v_pk_fma_f32 v[20:21], v[2:3], v[92:93], v[18:19] op_sel:[0,0,1] op_sel_hi:[1,1,0] neg_lo:[0,0,1] neg_hi:[0,0,1]
	v_pk_fma_f32 v[2:3], v[2:3], v[92:93], v[18:19] op_sel:[0,0,1] op_sel_hi:[1,0,0]
	v_mov_b32_e32 v21, v3
	v_pk_add_f32 v[2:3], v[16:17], v[20:21]
	s_waitcnt vmcnt(11)
	v_mov_b32_e32 v16, v91
	v_pk_mul_f32 v[16:17], v[4:5], v[16:17] op_sel_hi:[1,0]
	s_waitcnt vmcnt(10)
	v_pk_fma_f32 v[18:19], v[4:5], v[90:91], v[16:17] op_sel:[0,0,1] op_sel_hi:[1,1,0] neg_lo:[0,0,1] neg_hi:[0,0,1]
	v_pk_fma_f32 v[4:5], v[4:5], v[90:91], v[16:17] op_sel:[0,0,1] op_sel_hi:[1,0,0]
	s_waitcnt vmcnt(9)
	v_mov_b32_e32 v4, v89
	v_mov_b32_e32 v19, v5
	s_waitcnt lgkmcnt(2)
	v_pk_mul_f32 v[4:5], v[6:7], v[4:5] op_sel_hi:[1,0]
	s_waitcnt vmcnt(8)
	v_pk_fma_f32 v[16:17], v[6:7], v[88:89], v[4:5] op_sel:[0,0,1] op_sel_hi:[1,1,0] neg_lo:[0,0,1] neg_hi:[0,0,1]
	v_pk_fma_f32 v[4:5], v[6:7], v[88:89], v[4:5] op_sel:[0,0,1] op_sel_hi:[1,0,0]
	s_waitcnt vmcnt(7)
	v_mov_b32_e32 v4, v87
	v_mov_b32_e32 v17, v5
	v_pk_mul_f32 v[4:5], v[8:9], v[4:5] op_sel_hi:[1,0]
	s_waitcnt vmcnt(6)
	v_pk_fma_f32 v[6:7], v[8:9], v[86:87], v[4:5] op_sel:[0,0,1] op_sel_hi:[1,1,0] neg_lo:[0,0,1] neg_hi:[0,0,1]
	v_pk_fma_f32 v[4:5], v[8:9], v[86:87], v[4:5] op_sel:[0,0,1] op_sel_hi:[1,0,0]
	v_pk_add_f32 v[2:3], v[2:3], v[18:19]
	s_waitcnt vmcnt(5)
	v_mov_b32_e32 v4, v85
	v_pk_add_f32 v[2:3], v[2:3], v[16:17]
	v_mov_b32_e32 v7, v5
	s_waitcnt lgkmcnt(1)
	v_pk_mul_f32 v[4:5], v[10:11], v[4:5] op_sel_hi:[1,0]
	v_pk_add_f32 v[2:3], v[2:3], v[6:7]
	s_waitcnt vmcnt(4)
	v_pk_fma_f32 v[6:7], v[10:11], v[84:85], v[4:5] op_sel:[0,0,1] op_sel_hi:[1,1,0] neg_lo:[0,0,1] neg_hi:[0,0,1]
	v_pk_fma_f32 v[4:5], v[10:11], v[84:85], v[4:5] op_sel:[0,0,1] op_sel_hi:[1,0,0]
	s_waitcnt vmcnt(3)
	v_mov_b32_e32 v4, v83
	v_mov_b32_e32 v7, v5
	v_pk_mul_f32 v[4:5], v[12:13], v[4:5] op_sel_hi:[1,0]
	v_pk_add_f32 v[2:3], v[2:3], v[6:7]
	s_waitcnt vmcnt(2)
	v_pk_fma_f32 v[6:7], v[12:13], v[82:83], v[4:5] op_sel:[0,0,1] op_sel_hi:[1,1,0] neg_lo:[0,0,1] neg_hi:[0,0,1]
	v_pk_fma_f32 v[4:5], v[12:13], v[82:83], v[4:5] op_sel:[0,0,1] op_sel_hi:[1,0,0]
	s_waitcnt vmcnt(1)
	v_mov_b32_e32 v4, v81
	v_mov_b32_e32 v7, v5
	s_waitcnt lgkmcnt(0)
	v_pk_mul_f32 v[4:5], v[14:15], v[4:5] op_sel_hi:[1,0]
	v_pk_add_f32 v[2:3], v[2:3], v[6:7]
	s_waitcnt vmcnt(0)
	v_pk_fma_f32 v[6:7], v[14:15], v[80:81], v[4:5] op_sel:[0,0,1] op_sel_hi:[1,1,0] neg_lo:[0,0,1] neg_hi:[0,0,1]
	v_pk_fma_f32 v[4:5], v[14:15], v[80:81], v[4:5] op_sel:[0,0,1] op_sel_hi:[1,0,0]
	v_mov_b32_e32 v7, v5
	v_pk_add_f32 v[2:3], v[2:3], v[6:7]
	v_pk_add_f32 v[2:3], v[70:71], v[2:3] neg_lo:[0,1] neg_hi:[0,1]
	buffer_store_dword v3, off, s[0:3], 0 offset:156
	buffer_store_dword v2, off, s[0:3], 0 offset:152
	s_and_saveexec_b64 s[4:5], vcc
	s_cbranch_execz .LBB124_343
; %bb.342:
	buffer_load_dword v2, off, s[0:3], 0 offset:144
	buffer_load_dword v3, off, s[0:3], 0 offset:148
	s_waitcnt vmcnt(0)
	ds_write_b64 v199, v[2:3]
	buffer_store_dword v94, off, s[0:3], 0 offset:144
	buffer_store_dword v94, off, s[0:3], 0 offset:148
.LBB124_343:
	s_or_b64 exec, exec, s[4:5]
	s_waitcnt lgkmcnt(0)
	; wave barrier
	s_waitcnt lgkmcnt(0)
	buffer_load_dword v1, off, s[0:3], 0 offset:156
	buffer_load_dword v78, off, s[0:3], 0 offset:164
	;; [unrolled: 1-line block ×24, first 2 shown]
	ds_read2_b64 v[22:25], v94 offset0:81 offset1:82
	ds_read2_b64 v[18:21], v94 offset0:83 offset1:84
	;; [unrolled: 1-line block ×4, first 2 shown]
	buffer_load_dword v119, off, s[0:3], 0 offset:240
	buffer_load_dword v120, off, s[0:3], 0 offset:244
	ds_read2_b64 v[10:13], v94 offset0:89 offset1:90
	ds_read2_b64 v[2:5], v94 offset0:91 offset1:92
	buffer_load_dword v121, off, s[0:3], 0 offset:248
	buffer_load_dword v122, off, s[0:3], 0 offset:252
	;; [unrolled: 1-line block ×44, first 2 shown]
	v_cmp_lt_u32_e32 vcc, 17, v0
	s_waitcnt vmcnt(62) lgkmcnt(5)
	v_mul_f32_e32 v28, v22, v1
	v_mul_f32_e32 v29, v24, v78
	s_waitcnt lgkmcnt(4)
	v_mul_f32_e32 v31, v20, v80
	s_waitcnt lgkmcnt(3)
	v_mul_f32_e32 v32, v14, v82
	v_mul_f32_e32 v33, v16, v95
	;; [unrolled: 1-line block ×3, first 2 shown]
	s_waitcnt lgkmcnt(2)
	v_mul_f32_e32 v34, v6, v101
	v_mul_f32_e32 v35, v8, v104
	s_waitcnt vmcnt(61)
	v_fmac_f32_e32 v30, v19, v105
	s_waitcnt vmcnt(60)
	v_fmac_f32_e32 v29, v25, v106
	;; [unrolled: 2-line block ×3, first 2 shown]
	v_add_f32_e32 v28, 0, v28
	v_add_f32_e32 v28, v28, v29
	;; [unrolled: 1-line block ×3, first 2 shown]
	s_waitcnt vmcnt(55)
	v_fmac_f32_e32 v31, v21, v111
	v_fmac_f32_e32 v32, v15, v110
	v_add_f32_e32 v28, v28, v31
	v_fmac_f32_e32 v33, v17, v109
	v_add_f32_e32 v28, v28, v32
	;; [unrolled: 2-line block ×3, first 2 shown]
	s_waitcnt vmcnt(51)
	v_fmac_f32_e32 v35, v9, v115
	v_add_f32_e32 v28, v28, v34
	s_waitcnt vmcnt(50) lgkmcnt(1)
	v_mul_f32_e32 v29, v10, v116
	v_add_f32_e32 v28, v28, v35
	v_fmac_f32_e32 v29, v11, v114
	v_add_f32_e32 v28, v28, v29
	s_waitcnt vmcnt(49)
	v_mul_f32_e32 v29, v12, v117
	v_fmac_f32_e32 v29, v13, v113
	v_add_f32_e32 v28, v28, v29
	s_waitcnt vmcnt(48) lgkmcnt(0)
	v_mul_f32_e32 v29, v2, v118
	v_fmac_f32_e32 v29, v3, v112
	v_add_f32_e32 v32, v28, v29
	ds_read2_b64 v[28:31], v94 offset0:93 offset1:94
	s_waitcnt vmcnt(44)
	v_mul_f32_e32 v33, v4, v120
	v_fmac_f32_e32 v33, v5, v119
	v_add_f32_e32 v36, v32, v33
	ds_read2_b64 v[32:35], v94 offset0:95 offset1:96
	s_waitcnt vmcnt(42) lgkmcnt(1)
	v_mul_f32_e32 v37, v28, v122
	v_fmac_f32_e32 v37, v29, v121
	v_add_f32_e32 v36, v36, v37
	s_waitcnt vmcnt(40)
	v_mul_f32_e32 v37, v30, v124
	v_fmac_f32_e32 v37, v31, v123
	v_add_f32_e32 v36, v36, v37
	s_waitcnt vmcnt(38) lgkmcnt(0)
	v_mul_f32_e32 v37, v32, v126
	v_fmac_f32_e32 v37, v33, v125
	v_add_f32_e32 v40, v36, v37
	ds_read2_b64 v[36:39], v94 offset0:97 offset1:98
	s_waitcnt vmcnt(36)
	v_mul_f32_e32 v41, v34, v128
	v_fmac_f32_e32 v41, v35, v127
	v_add_f32_e32 v44, v40, v41
	ds_read2_b64 v[40:43], v94 offset0:99 offset1:100
	s_waitcnt vmcnt(34) lgkmcnt(1)
	v_mul_f32_e32 v45, v36, v130
	;; [unrolled: 18-line block ×4, first 2 shown]
	v_fmac_f32_e32 v61, v53, v145
	v_add_f32_e32 v60, v60, v61
	s_waitcnt vmcnt(16)
	v_mul_f32_e32 v61, v54, v148
	v_fmac_f32_e32 v61, v55, v147
	v_add_f32_e32 v60, v60, v61
	s_waitcnt vmcnt(14) lgkmcnt(0)
	v_mul_f32_e32 v61, v56, v150
	v_fmac_f32_e32 v61, v57, v149
	v_add_f32_e32 v64, v60, v61
	ds_read2_b64 v[60:63], v94 offset0:109 offset1:110
	s_waitcnt vmcnt(12)
	v_mul_f32_e32 v65, v58, v152
	v_fmac_f32_e32 v65, v59, v151
	v_add_f32_e32 v68, v64, v65
	ds_read2_b64 v[64:67], v94 offset0:111 offset1:112
	buffer_load_dword v77, off, s[0:3], 0 offset:428
	buffer_load_dword v76, off, s[0:3], 0 offset:424
	s_waitcnt vmcnt(12) lgkmcnt(1)
	v_mul_f32_e32 v69, v60, v154
	v_fmac_f32_e32 v69, v61, v153
	v_add_f32_e32 v68, v68, v69
	s_waitcnt vmcnt(10)
	v_mul_f32_e32 v69, v62, v156
	v_fmac_f32_e32 v69, v63, v155
	v_add_f32_e32 v68, v68, v69
	s_waitcnt vmcnt(8) lgkmcnt(0)
	v_mul_f32_e32 v69, v64, v158
	v_fmac_f32_e32 v69, v65, v157
	s_waitcnt vmcnt(6)
	v_mul_f32_e32 v73, v66, v160
	v_add_f32_e32 v72, v68, v69
	v_fmac_f32_e32 v73, v67, v159
	ds_read2_b64 v[68:71], v94 offset0:113 offset1:114
	v_add_f32_e32 v79, v72, v73
	ds_read2_b64 v[72:75], v94 offset0:115 offset1:116
	buffer_load_dword v85, off, s[0:3], 0 offset:460
	buffer_load_dword v84, off, s[0:3], 0 offset:456
	;; [unrolled: 1-line block ×14, first 2 shown]
	v_mul_f32_e32 v1, v23, v1
	v_fma_f32 v1, v22, v107, -v1
	v_mul_f32_e32 v22, v25, v78
	v_add_f32_e32 v1, 0, v1
	v_fma_f32 v22, v24, v106, -v22
	v_mul_f32_e32 v19, v19, v100
	v_add_f32_e32 v1, v1, v22
	v_fma_f32 v18, v18, v105, -v19
	v_add_f32_e32 v1, v1, v18
	v_mul_f32_e32 v18, v21, v80
	v_fma_f32 v18, v20, v111, -v18
	v_mul_f32_e32 v15, v15, v82
	v_add_f32_e32 v1, v1, v18
	v_fma_f32 v14, v14, v110, -v15
	v_add_f32_e32 v1, v1, v14
	v_mul_f32_e32 v14, v17, v95
	;; [unrolled: 6-line block ×3, first 2 shown]
	v_fma_f32 v6, v8, v115, -v6
	v_add_f32_e32 v1, v1, v6
	v_mul_f32_e32 v6, v11, v116
	v_fma_f32 v6, v10, v114, -v6
	v_add_f32_e32 v1, v1, v6
	v_mul_f32_e32 v6, v13, v117
	v_fma_f32 v6, v12, v113, -v6
	v_mul_f32_e32 v3, v3, v118
	v_add_f32_e32 v1, v1, v6
	v_fma_f32 v2, v2, v112, -v3
	v_add_f32_e32 v1, v1, v2
	v_mul_f32_e32 v2, v5, v120
	v_fma_f32 v2, v4, v119, -v2
	v_add_f32_e32 v1, v1, v2
	v_mul_f32_e32 v2, v29, v122
	;; [unrolled: 3-line block ×21, first 2 shown]
	v_fma_f32 v2, v66, v159, -v2
	s_waitcnt vmcnt(15)
	v_mov_b32_e32 v16, v77
	s_waitcnt lgkmcnt(1)
	v_mul_f32_e32 v81, v68, v162
	v_add_f32_e32 v78, v1, v2
	v_mul_f32_e32 v1, v69, v162
	s_waitcnt lgkmcnt(0)
	v_pk_mul_f32 v[16:17], v[72:73], v[16:17] op_sel_hi:[1,0]
	v_fmac_f32_e32 v81, v69, v161
	v_mul_f32_e32 v83, v70, v164
	v_fma_f32 v80, v68, v161, -v1
	v_mul_f32_e32 v1, v71, v164
	s_waitcnt vmcnt(14)
	v_pk_fma_f32 v[18:19], v[72:73], v[76:77], v[16:17] op_sel:[0,0,1] op_sel_hi:[1,1,0] neg_lo:[0,0,1] neg_hi:[0,0,1]
	v_pk_fma_f32 v[16:17], v[72:73], v[76:77], v[16:17] op_sel:[0,0,1] op_sel_hi:[1,0,0]
	v_fmac_f32_e32 v83, v71, v163
	v_fma_f32 v82, v70, v163, -v1
	v_pk_add_f32 v[14:15], v[78:79], v[80:81]
	s_waitcnt vmcnt(7)
	v_mov_b32_e32 v16, v91
	ds_read2_b64 v[2:5], v94 offset0:117 offset1:118
	ds_read2_b64 v[6:9], v94 offset0:119 offset1:120
	ds_read2_b64 v[10:13], v94 offset0:121 offset1:122
	v_pk_add_f32 v[14:15], v[14:15], v[82:83]
	v_mov_b32_e32 v19, v17
	v_pk_mul_f32 v[16:17], v[74:75], v[16:17] op_sel_hi:[1,0]
	v_pk_add_f32 v[14:15], v[14:15], v[18:19]
	s_waitcnt vmcnt(6)
	v_pk_fma_f32 v[18:19], v[74:75], v[90:91], v[16:17] op_sel:[0,0,1] op_sel_hi:[1,1,0] neg_lo:[0,0,1] neg_hi:[0,0,1]
	v_pk_fma_f32 v[16:17], v[74:75], v[90:91], v[16:17] op_sel:[0,0,1] op_sel_hi:[1,0,0]
	v_mov_b32_e32 v16, v89
	v_mov_b32_e32 v19, v17
	s_waitcnt lgkmcnt(2)
	v_pk_mul_f32 v[16:17], v[2:3], v[16:17] op_sel_hi:[1,0]
	v_pk_add_f32 v[14:15], v[14:15], v[18:19]
	v_pk_fma_f32 v[18:19], v[2:3], v[88:89], v[16:17] op_sel:[0,0,1] op_sel_hi:[1,1,0] neg_lo:[0,0,1] neg_hi:[0,0,1]
	v_pk_fma_f32 v[2:3], v[2:3], v[88:89], v[16:17] op_sel:[0,0,1] op_sel_hi:[1,0,0]
	v_mov_b32_e32 v19, v3
	v_pk_add_f32 v[2:3], v[14:15], v[18:19]
	v_mov_b32_e32 v14, v87
	v_pk_mul_f32 v[14:15], v[4:5], v[14:15] op_sel_hi:[1,0]
	v_pk_fma_f32 v[16:17], v[4:5], v[86:87], v[14:15] op_sel:[0,0,1] op_sel_hi:[1,1,0] neg_lo:[0,0,1] neg_hi:[0,0,1]
	v_pk_fma_f32 v[4:5], v[4:5], v[86:87], v[14:15] op_sel:[0,0,1] op_sel_hi:[1,0,0]
	v_mov_b32_e32 v4, v85
	v_mov_b32_e32 v17, v5
	s_waitcnt lgkmcnt(1)
	v_pk_mul_f32 v[4:5], v[6:7], v[4:5] op_sel_hi:[1,0]
	v_pk_fma_f32 v[14:15], v[6:7], v[84:85], v[4:5] op_sel:[0,0,1] op_sel_hi:[1,1,0] neg_lo:[0,0,1] neg_hi:[0,0,1]
	v_pk_fma_f32 v[4:5], v[6:7], v[84:85], v[4:5] op_sel:[0,0,1] op_sel_hi:[1,0,0]
	s_waitcnt vmcnt(1)
	v_mov_b32_e32 v4, v99
	v_mov_b32_e32 v15, v5
	v_pk_mul_f32 v[4:5], v[8:9], v[4:5] op_sel_hi:[1,0]
	s_waitcnt vmcnt(0)
	v_pk_fma_f32 v[6:7], v[8:9], v[98:99], v[4:5] op_sel:[0,0,1] op_sel_hi:[1,1,0] neg_lo:[0,0,1] neg_hi:[0,0,1]
	v_pk_fma_f32 v[4:5], v[8:9], v[98:99], v[4:5] op_sel:[0,0,1] op_sel_hi:[1,0,0]
	v_pk_add_f32 v[2:3], v[2:3], v[16:17]
	v_mov_b32_e32 v4, v97
	v_pk_add_f32 v[2:3], v[2:3], v[14:15]
	v_mov_b32_e32 v7, v5
	s_waitcnt lgkmcnt(0)
	v_pk_mul_f32 v[4:5], v[10:11], v[4:5] op_sel_hi:[1,0]
	v_pk_add_f32 v[2:3], v[2:3], v[6:7]
	v_pk_fma_f32 v[6:7], v[10:11], v[96:97], v[4:5] op_sel:[0,0,1] op_sel_hi:[1,1,0] neg_lo:[0,0,1] neg_hi:[0,0,1]
	v_pk_fma_f32 v[4:5], v[10:11], v[96:97], v[4:5] op_sel:[0,0,1] op_sel_hi:[1,0,0]
	v_mov_b32_e32 v4, v93
	v_mov_b32_e32 v7, v5
	v_pk_mul_f32 v[4:5], v[12:13], v[4:5] op_sel_hi:[1,0]
	v_pk_add_f32 v[2:3], v[2:3], v[6:7]
	v_pk_fma_f32 v[6:7], v[12:13], v[92:93], v[4:5] op_sel:[0,0,1] op_sel_hi:[1,1,0] neg_lo:[0,0,1] neg_hi:[0,0,1]
	v_pk_fma_f32 v[4:5], v[12:13], v[92:93], v[4:5] op_sel:[0,0,1] op_sel_hi:[1,0,0]
	v_mov_b32_e32 v7, v5
	v_pk_add_f32 v[2:3], v[2:3], v[6:7]
	v_pk_add_f32 v[2:3], v[26:27], v[2:3] neg_lo:[0,1] neg_hi:[0,1]
	buffer_store_dword v3, off, s[0:3], 0 offset:148
	buffer_store_dword v2, off, s[0:3], 0 offset:144
	s_and_saveexec_b64 s[4:5], vcc
	s_cbranch_execz .LBB124_345
; %bb.344:
	buffer_load_dword v2, off, s[0:3], 0 offset:136
	buffer_load_dword v3, off, s[0:3], 0 offset:140
	v_mov_b32_e32 v1, 0
	buffer_store_dword v1, off, s[0:3], 0 offset:136
	buffer_store_dword v1, off, s[0:3], 0 offset:140
	s_waitcnt vmcnt(2)
	ds_write_b64 v199, v[2:3]
.LBB124_345:
	s_or_b64 exec, exec, s[4:5]
	s_waitcnt lgkmcnt(0)
	; wave barrier
	s_waitcnt lgkmcnt(0)
	buffer_load_dword v76, off, s[0:3], 0 offset:148
	buffer_load_dword v78, off, s[0:3], 0 offset:156
	buffer_load_dword v80, off, s[0:3], 0 offset:172
	buffer_load_dword v98, off, s[0:3], 0 offset:180
	buffer_load_dword v99, off, s[0:3], 0 offset:188
	buffer_load_dword v100, off, s[0:3], 0 offset:164
	buffer_load_dword v101, off, s[0:3], 0 offset:196
	buffer_load_dword v104, off, s[0:3], 0 offset:204
	buffer_load_dword v105, off, s[0:3], 0 offset:212
	buffer_load_dword v106, off, s[0:3], 0 offset:160
	buffer_load_dword v107, off, s[0:3], 0 offset:152
	buffer_load_dword v108, off, s[0:3], 0 offset:144
	buffer_load_dword v109, off, s[0:3], 0 offset:192
	buffer_load_dword v110, off, s[0:3], 0 offset:184
	buffer_load_dword v111, off, s[0:3], 0 offset:176
	buffer_load_dword v112, off, s[0:3], 0 offset:168
	buffer_load_dword v113, off, s[0:3], 0 offset:224
	buffer_load_dword v114, off, s[0:3], 0 offset:216
	buffer_load_dword v115, off, s[0:3], 0 offset:208
	buffer_load_dword v116, off, s[0:3], 0 offset:200
	buffer_load_dword v117, off, s[0:3], 0 offset:220
	buffer_load_dword v118, off, s[0:3], 0 offset:228
	buffer_load_dword v2, off, s[0:3], 0 offset:136
	buffer_load_dword v3, off, s[0:3], 0 offset:140
	buffer_load_dword v119, off, s[0:3], 0 offset:232
	buffer_load_dword v120, off, s[0:3], 0 offset:236
	buffer_load_dword v121, off, s[0:3], 0 offset:240
	buffer_load_dword v122, off, s[0:3], 0 offset:244
	buffer_load_dword v123, off, s[0:3], 0 offset:248
	buffer_load_dword v124, off, s[0:3], 0 offset:252
	buffer_load_dword v125, off, s[0:3], 0 offset:256
	buffer_load_dword v126, off, s[0:3], 0 offset:260
	buffer_load_dword v127, off, s[0:3], 0 offset:264
	buffer_load_dword v128, off, s[0:3], 0 offset:268
	buffer_load_dword v129, off, s[0:3], 0 offset:272
	buffer_load_dword v130, off, s[0:3], 0 offset:276
	buffer_load_dword v131, off, s[0:3], 0 offset:280
	buffer_load_dword v132, off, s[0:3], 0 offset:284
	buffer_load_dword v133, off, s[0:3], 0 offset:288
	buffer_load_dword v134, off, s[0:3], 0 offset:292
	buffer_load_dword v135, off, s[0:3], 0 offset:296
	buffer_load_dword v136, off, s[0:3], 0 offset:300
	buffer_load_dword v137, off, s[0:3], 0 offset:304
	buffer_load_dword v138, off, s[0:3], 0 offset:308
	buffer_load_dword v139, off, s[0:3], 0 offset:312
	buffer_load_dword v140, off, s[0:3], 0 offset:316
	buffer_load_dword v141, off, s[0:3], 0 offset:320
	buffer_load_dword v142, off, s[0:3], 0 offset:324
	buffer_load_dword v143, off, s[0:3], 0 offset:328
	buffer_load_dword v144, off, s[0:3], 0 offset:332
	buffer_load_dword v145, off, s[0:3], 0 offset:336
	buffer_load_dword v146, off, s[0:3], 0 offset:340
	buffer_load_dword v147, off, s[0:3], 0 offset:344
	buffer_load_dword v148, off, s[0:3], 0 offset:348
	buffer_load_dword v149, off, s[0:3], 0 offset:352
	buffer_load_dword v150, off, s[0:3], 0 offset:356
	v_mov_b32_e32 v1, 0
	ds_read_b128 v[4:7], v1 offset:640
	ds_read_b128 v[8:11], v1 offset:656
	;; [unrolled: 1-line block ×6, first 2 shown]
	buffer_load_dword v151, off, s[0:3], 0 offset:360
	buffer_load_dword v152, off, s[0:3], 0 offset:364
	;; [unrolled: 1-line block ×16, first 2 shown]
	v_cmp_lt_u32_e32 vcc, 16, v0
	s_waitcnt vmcnt(62) lgkmcnt(5)
	v_mul_f32_e32 v28, v4, v76
	v_mul_f32_e32 v29, v6, v78
	s_waitcnt lgkmcnt(4)
	v_mul_f32_e32 v31, v10, v80
	s_waitcnt lgkmcnt(3)
	v_mul_f32_e32 v32, v12, v98
	v_mul_f32_e32 v33, v14, v99
	;; [unrolled: 1-line block ×3, first 2 shown]
	s_waitcnt lgkmcnt(2)
	v_mul_f32_e32 v34, v16, v101
	v_mul_f32_e32 v35, v18, v104
	s_waitcnt lgkmcnt(1)
	v_mul_f32_e32 v36, v20, v105
	v_fmac_f32_e32 v30, v9, v106
	s_waitcnt vmcnt(61)
	v_fmac_f32_e32 v29, v7, v107
	s_waitcnt vmcnt(60)
	v_fmac_f32_e32 v28, v5, v108
	v_add_f32_e32 v28, 0, v28
	v_add_f32_e32 v28, v28, v29
	;; [unrolled: 1-line block ×3, first 2 shown]
	s_waitcnt vmcnt(56)
	v_fmac_f32_e32 v31, v11, v112
	v_fmac_f32_e32 v32, v13, v111
	v_add_f32_e32 v28, v28, v31
	v_fmac_f32_e32 v33, v15, v110
	v_add_f32_e32 v28, v28, v32
	;; [unrolled: 2-line block ×3, first 2 shown]
	s_waitcnt vmcnt(52)
	v_fmac_f32_e32 v35, v19, v116
	v_add_f32_e32 v28, v28, v34
	v_add_f32_e32 v28, v28, v35
	v_fmac_f32_e32 v36, v21, v115
	s_waitcnt vmcnt(51)
	v_mul_f32_e32 v29, v22, v117
	v_add_f32_e32 v28, v28, v36
	v_fmac_f32_e32 v29, v23, v114
	v_add_f32_e32 v28, v28, v29
	s_waitcnt vmcnt(50) lgkmcnt(0)
	v_mul_f32_e32 v29, v24, v118
	v_fmac_f32_e32 v29, v25, v113
	v_add_f32_e32 v32, v28, v29
	ds_read_b128 v[28:31], v1 offset:736
	s_waitcnt vmcnt(46)
	v_mul_f32_e32 v33, v26, v120
	v_fmac_f32_e32 v33, v27, v119
	v_add_f32_e32 v36, v32, v33
	ds_read_b128 v[32:35], v1 offset:752
	s_waitcnt vmcnt(44) lgkmcnt(1)
	v_mul_f32_e32 v37, v28, v122
	v_fmac_f32_e32 v37, v29, v121
	v_add_f32_e32 v36, v36, v37
	s_waitcnt vmcnt(42)
	v_mul_f32_e32 v37, v30, v124
	v_fmac_f32_e32 v37, v31, v123
	v_add_f32_e32 v36, v36, v37
	s_waitcnt vmcnt(40) lgkmcnt(0)
	v_mul_f32_e32 v37, v32, v126
	v_fmac_f32_e32 v37, v33, v125
	v_add_f32_e32 v40, v36, v37
	ds_read_b128 v[36:39], v1 offset:768
	s_waitcnt vmcnt(38)
	v_mul_f32_e32 v41, v34, v128
	v_fmac_f32_e32 v41, v35, v127
	v_add_f32_e32 v44, v40, v41
	ds_read_b128 v[40:43], v1 offset:784
	s_waitcnt vmcnt(36) lgkmcnt(1)
	v_mul_f32_e32 v45, v36, v130
	v_fmac_f32_e32 v45, v37, v129
	v_add_f32_e32 v44, v44, v45
	s_waitcnt vmcnt(34)
	v_mul_f32_e32 v45, v38, v132
	;; [unrolled: 18-line block ×5, first 2 shown]
	v_fmac_f32_e32 v69, v63, v155
	v_add_f32_e32 v68, v68, v69
	s_waitcnt vmcnt(8) lgkmcnt(0)
	v_mul_f32_e32 v69, v64, v158
	v_fmac_f32_e32 v69, v65, v157
	s_waitcnt vmcnt(6)
	v_mul_f32_e32 v73, v66, v160
	v_add_f32_e32 v72, v68, v69
	v_fmac_f32_e32 v73, v67, v159
	ds_read_b128 v[68:71], v1 offset:896
	v_add_f32_e32 v77, v72, v73
	ds_read_b128 v[72:75], v1 offset:912
	buffer_load_dword v83, off, s[0:3], 0 offset:452
	buffer_load_dword v82, off, s[0:3], 0 offset:448
	;; [unrolled: 1-line block ×16, first 2 shown]
	v_mul_f32_e32 v5, v5, v76
	v_fma_f32 v4, v4, v108, -v5
	v_mul_f32_e32 v5, v7, v78
	v_add_f32_e32 v4, 0, v4
	v_fma_f32 v5, v6, v107, -v5
	v_add_f32_e32 v4, v4, v5
	v_mul_f32_e32 v5, v9, v100
	v_fma_f32 v5, v8, v106, -v5
	v_add_f32_e32 v4, v4, v5
	v_mul_f32_e32 v5, v11, v80
	;; [unrolled: 3-line block ×30, first 2 shown]
	v_fma_f32 v5, v66, v159, -v5
	v_add_f32_e32 v4, v4, v5
	s_waitcnt vmcnt(20) lgkmcnt(1)
	v_mul_f32_e32 v5, v69, v162
	v_mul_f32_e32 v79, v68, v162
	v_fma_f32 v5, v68, v161, -v5
	v_fmac_f32_e32 v79, v69, v161
	v_add_f32_e32 v76, v4, v5
	s_waitcnt vmcnt(18)
	v_mul_f32_e32 v4, v71, v164
	s_waitcnt vmcnt(9)
	v_mov_b32_e32 v20, v89
	v_add_f32_e32 v77, v77, v79
	v_mul_f32_e32 v79, v70, v164
	v_fma_f32 v78, v70, v163, -v4
	s_waitcnt lgkmcnt(0)
	v_mul_f32_e32 v4, v73, v166
	v_pk_mul_f32 v[20:21], v[74:75], v[20:21] op_sel_hi:[1,0]
	v_fmac_f32_e32 v79, v71, v163
	v_mul_f32_e32 v81, v72, v166
	v_fma_f32 v80, v72, v165, -v4
	ds_read_b128 v[4:7], v1 offset:928
	ds_read_b128 v[8:11], v1 offset:944
	;; [unrolled: 1-line block ×3, first 2 shown]
	ds_read_b64 v[16:17], v1 offset:976
	s_waitcnt vmcnt(8)
	v_pk_fma_f32 v[22:23], v[74:75], v[88:89], v[20:21] op_sel:[0,0,1] op_sel_hi:[1,1,0] neg_lo:[0,0,1] neg_hi:[0,0,1]
	v_pk_fma_f32 v[20:21], v[74:75], v[88:89], v[20:21] op_sel:[0,0,1] op_sel_hi:[1,0,0]
	v_fmac_f32_e32 v81, v73, v165
	v_pk_add_f32 v[18:19], v[76:77], v[78:79]
	v_mov_b32_e32 v20, v87
	v_pk_add_f32 v[18:19], v[18:19], v[80:81]
	v_mov_b32_e32 v23, v21
	s_waitcnt lgkmcnt(3)
	v_pk_mul_f32 v[20:21], v[4:5], v[20:21] op_sel_hi:[1,0]
	v_pk_add_f32 v[18:19], v[18:19], v[22:23]
	v_pk_fma_f32 v[22:23], v[4:5], v[86:87], v[20:21] op_sel:[0,0,1] op_sel_hi:[1,1,0] neg_lo:[0,0,1] neg_hi:[0,0,1]
	v_pk_fma_f32 v[4:5], v[4:5], v[86:87], v[20:21] op_sel:[0,0,1] op_sel_hi:[1,0,0]
	v_mov_b32_e32 v23, v5
	v_pk_add_f32 v[4:5], v[18:19], v[22:23]
	v_mov_b32_e32 v18, v85
	v_pk_mul_f32 v[18:19], v[6:7], v[18:19] op_sel_hi:[1,0]
	v_pk_fma_f32 v[20:21], v[6:7], v[84:85], v[18:19] op_sel:[0,0,1] op_sel_hi:[1,1,0] neg_lo:[0,0,1] neg_hi:[0,0,1]
	v_pk_fma_f32 v[6:7], v[6:7], v[84:85], v[18:19] op_sel:[0,0,1] op_sel_hi:[1,0,0]
	v_mov_b32_e32 v6, v83
	v_mov_b32_e32 v21, v7
	s_waitcnt lgkmcnt(2)
	v_pk_mul_f32 v[6:7], v[8:9], v[6:7] op_sel_hi:[1,0]
	v_pk_fma_f32 v[18:19], v[8:9], v[82:83], v[6:7] op_sel:[0,0,1] op_sel_hi:[1,1,0] neg_lo:[0,0,1] neg_hi:[0,0,1]
	v_pk_fma_f32 v[6:7], v[8:9], v[82:83], v[6:7] op_sel:[0,0,1] op_sel_hi:[1,0,0]
	s_waitcnt vmcnt(1)
	v_mov_b32_e32 v6, v97
	v_mov_b32_e32 v19, v7
	v_pk_mul_f32 v[6:7], v[10:11], v[6:7] op_sel_hi:[1,0]
	s_waitcnt vmcnt(0)
	v_pk_fma_f32 v[8:9], v[10:11], v[96:97], v[6:7] op_sel:[0,0,1] op_sel_hi:[1,1,0] neg_lo:[0,0,1] neg_hi:[0,0,1]
	v_pk_fma_f32 v[6:7], v[10:11], v[96:97], v[6:7] op_sel:[0,0,1] op_sel_hi:[1,0,0]
	v_pk_add_f32 v[4:5], v[4:5], v[20:21]
	v_mov_b32_e32 v6, v95
	v_pk_add_f32 v[4:5], v[4:5], v[18:19]
	v_mov_b32_e32 v9, v7
	s_waitcnt lgkmcnt(1)
	v_pk_mul_f32 v[6:7], v[12:13], v[6:7] op_sel_hi:[1,0]
	v_pk_add_f32 v[4:5], v[4:5], v[8:9]
	v_pk_fma_f32 v[8:9], v[12:13], v[94:95], v[6:7] op_sel:[0,0,1] op_sel_hi:[1,1,0] neg_lo:[0,0,1] neg_hi:[0,0,1]
	v_pk_fma_f32 v[6:7], v[12:13], v[94:95], v[6:7] op_sel:[0,0,1] op_sel_hi:[1,0,0]
	v_mov_b32_e32 v6, v93
	v_mov_b32_e32 v9, v7
	v_pk_mul_f32 v[6:7], v[14:15], v[6:7] op_sel_hi:[1,0]
	v_pk_add_f32 v[4:5], v[4:5], v[8:9]
	v_pk_fma_f32 v[8:9], v[14:15], v[92:93], v[6:7] op_sel:[0,0,1] op_sel_hi:[1,1,0] neg_lo:[0,0,1] neg_hi:[0,0,1]
	v_pk_fma_f32 v[6:7], v[14:15], v[92:93], v[6:7] op_sel:[0,0,1] op_sel_hi:[1,0,0]
	v_mov_b32_e32 v6, v91
	v_mov_b32_e32 v9, v7
	s_waitcnt lgkmcnt(0)
	v_pk_mul_f32 v[6:7], v[16:17], v[6:7] op_sel_hi:[1,0]
	v_pk_add_f32 v[4:5], v[4:5], v[8:9]
	v_pk_fma_f32 v[8:9], v[16:17], v[90:91], v[6:7] op_sel:[0,0,1] op_sel_hi:[1,1,0] neg_lo:[0,0,1] neg_hi:[0,0,1]
	v_pk_fma_f32 v[6:7], v[16:17], v[90:91], v[6:7] op_sel:[0,0,1] op_sel_hi:[1,0,0]
	v_mov_b32_e32 v9, v7
	v_pk_add_f32 v[4:5], v[4:5], v[8:9]
	v_pk_add_f32 v[2:3], v[2:3], v[4:5] neg_lo:[0,1] neg_hi:[0,1]
	buffer_store_dword v3, off, s[0:3], 0 offset:140
	buffer_store_dword v2, off, s[0:3], 0 offset:136
	s_and_saveexec_b64 s[4:5], vcc
	s_cbranch_execz .LBB124_347
; %bb.346:
	buffer_load_dword v2, off, s[0:3], 0 offset:128
	buffer_load_dword v3, off, s[0:3], 0 offset:132
	s_waitcnt vmcnt(0)
	ds_write_b64 v199, v[2:3]
	buffer_store_dword v1, off, s[0:3], 0 offset:128
	buffer_store_dword v1, off, s[0:3], 0 offset:132
.LBB124_347:
	s_or_b64 exec, exec, s[4:5]
	s_waitcnt lgkmcnt(0)
	; wave barrier
	s_waitcnt lgkmcnt(0)
	buffer_load_dword v76, off, s[0:3], 0 offset:140
	buffer_load_dword v78, off, s[0:3], 0 offset:148
	;; [unrolled: 1-line block ×26, first 2 shown]
	ds_read2_b64 v[22:25], v1 offset0:79 offset1:80
	ds_read2_b64 v[18:21], v1 offset0:81 offset1:82
	;; [unrolled: 1-line block ×6, first 2 shown]
	buffer_load_dword v121, off, s[0:3], 0 offset:232
	buffer_load_dword v122, off, s[0:3], 0 offset:236
	;; [unrolled: 1-line block ×42, first 2 shown]
	v_cmp_lt_u32_e32 vcc, 15, v0
	s_waitcnt vmcnt(62) lgkmcnt(5)
	v_mul_f32_e32 v28, v22, v76
	v_mul_f32_e32 v29, v24, v78
	s_waitcnt lgkmcnt(4)
	v_mul_f32_e32 v31, v20, v86
	s_waitcnt lgkmcnt(3)
	v_mul_f32_e32 v32, v14, v98
	v_mul_f32_e32 v33, v16, v99
	;; [unrolled: 1-line block ×3, first 2 shown]
	s_waitcnt vmcnt(61) lgkmcnt(2)
	v_mul_f32_e32 v34, v10, v101
	s_waitcnt vmcnt(60)
	v_mul_f32_e32 v35, v12, v104
	s_waitcnt vmcnt(59) lgkmcnt(1)
	v_mul_f32_e32 v36, v6, v105
	s_waitcnt vmcnt(58)
	v_fmac_f32_e32 v30, v19, v106
	s_waitcnt vmcnt(57)
	v_fmac_f32_e32 v29, v25, v107
	;; [unrolled: 2-line block ×3, first 2 shown]
	v_add_f32_e32 v28, 0, v28
	v_add_f32_e32 v28, v28, v29
	;; [unrolled: 1-line block ×3, first 2 shown]
	s_waitcnt vmcnt(52)
	v_fmac_f32_e32 v31, v21, v112
	v_fmac_f32_e32 v32, v15, v111
	v_add_f32_e32 v28, v28, v31
	v_fmac_f32_e32 v33, v17, v110
	v_add_f32_e32 v28, v28, v32
	;; [unrolled: 2-line block ×3, first 2 shown]
	s_waitcnt vmcnt(48)
	v_fmac_f32_e32 v35, v13, v116
	v_add_f32_e32 v28, v28, v34
	v_fmac_f32_e32 v36, v7, v115
	v_add_f32_e32 v28, v28, v35
	s_waitcnt vmcnt(47)
	v_mul_f32_e32 v29, v8, v117
	v_add_f32_e32 v28, v28, v36
	v_fmac_f32_e32 v29, v9, v114
	v_add_f32_e32 v28, v28, v29
	s_waitcnt vmcnt(46) lgkmcnt(0)
	v_mul_f32_e32 v29, v2, v118
	v_fmac_f32_e32 v29, v3, v113
	v_add_f32_e32 v32, v28, v29
	ds_read2_b64 v[28:31], v1 offset0:91 offset1:92
	s_waitcnt vmcnt(42)
	v_mul_f32_e32 v33, v4, v120
	v_fmac_f32_e32 v33, v5, v119
	buffer_load_dword v163, off, s[0:3], 0 offset:400
	buffer_load_dword v164, off, s[0:3], 0 offset:404
	v_add_f32_e32 v36, v32, v33
	buffer_load_dword v165, off, s[0:3], 0 offset:408
	buffer_load_dword v166, off, s[0:3], 0 offset:412
	ds_read2_b64 v[32:35], v1 offset0:93 offset1:94
	s_waitcnt vmcnt(44) lgkmcnt(1)
	v_mul_f32_e32 v37, v28, v122
	v_fmac_f32_e32 v37, v29, v121
	v_add_f32_e32 v36, v36, v37
	s_waitcnt vmcnt(42)
	v_mul_f32_e32 v37, v30, v124
	v_fmac_f32_e32 v37, v31, v123
	v_add_f32_e32 v36, v36, v37
	s_waitcnt vmcnt(40) lgkmcnt(0)
	v_mul_f32_e32 v37, v32, v126
	v_fmac_f32_e32 v37, v33, v125
	buffer_load_dword v167, off, s[0:3], 0 offset:416
	buffer_load_dword v168, off, s[0:3], 0 offset:420
	v_add_f32_e32 v40, v36, v37
	ds_read2_b64 v[36:39], v1 offset0:95 offset1:96
	s_waitcnt vmcnt(40)
	v_mul_f32_e32 v41, v34, v128
	v_fmac_f32_e32 v41, v35, v127
	v_add_f32_e32 v44, v40, v41
	ds_read2_b64 v[40:43], v1 offset0:97 offset1:98
	s_waitcnt vmcnt(38) lgkmcnt(1)
	v_mul_f32_e32 v45, v36, v130
	v_fmac_f32_e32 v45, v37, v129
	v_add_f32_e32 v44, v44, v45
	s_waitcnt vmcnt(36)
	v_mul_f32_e32 v45, v38, v132
	v_fmac_f32_e32 v45, v39, v131
	v_add_f32_e32 v44, v44, v45
	s_waitcnt vmcnt(34) lgkmcnt(0)
	v_mul_f32_e32 v45, v40, v134
	v_fmac_f32_e32 v45, v41, v133
	v_add_f32_e32 v48, v44, v45
	ds_read2_b64 v[44:47], v1 offset0:99 offset1:100
	s_waitcnt vmcnt(32)
	v_mul_f32_e32 v49, v42, v136
	v_fmac_f32_e32 v49, v43, v135
	v_add_f32_e32 v52, v48, v49
	ds_read2_b64 v[48:51], v1 offset0:101 offset1:102
	s_waitcnt vmcnt(30) lgkmcnt(1)
	v_mul_f32_e32 v53, v44, v138
	v_fmac_f32_e32 v53, v45, v137
	v_add_f32_e32 v52, v52, v53
	s_waitcnt vmcnt(28)
	v_mul_f32_e32 v53, v46, v140
	v_fmac_f32_e32 v53, v47, v139
	v_add_f32_e32 v52, v52, v53
	s_waitcnt vmcnt(26) lgkmcnt(0)
	v_mul_f32_e32 v53, v48, v142
	v_fmac_f32_e32 v53, v49, v141
	;; [unrolled: 18-line block ×4, first 2 shown]
	s_waitcnt vmcnt(8)
	v_mul_f32_e32 v73, v66, v160
	v_add_f32_e32 v72, v68, v69
	v_fmac_f32_e32 v73, v67, v159
	ds_read2_b64 v[68:71], v1 offset0:111 offset1:112
	v_add_f32_e32 v77, v72, v73
	ds_read2_b64 v[72:75], v1 offset0:113 offset1:114
	buffer_load_dword v81, off, s[0:3], 0 offset:444
	buffer_load_dword v80, off, s[0:3], 0 offset:440
	;; [unrolled: 1-line block ×16, first 2 shown]
	v_mul_f32_e32 v23, v23, v76
	v_fma_f32 v22, v22, v108, -v23
	v_mul_f32_e32 v23, v25, v78
	v_add_f32_e32 v22, 0, v22
	v_fma_f32 v23, v24, v107, -v23
	v_mul_f32_e32 v19, v19, v100
	v_add_f32_e32 v22, v22, v23
	;; [unrolled: 3-line block ×11, first 2 shown]
	v_fma_f32 v3, v4, v119, -v3
	v_add_f32_e32 v2, v2, v3
	v_mul_f32_e32 v3, v29, v122
	v_fma_f32 v3, v28, v121, -v3
	v_add_f32_e32 v2, v2, v3
	v_mul_f32_e32 v3, v31, v124
	;; [unrolled: 3-line block ×20, first 2 shown]
	v_fma_f32 v3, v66, v159, -v3
	v_add_f32_e32 v2, v2, v3
	s_waitcnt vmcnt(22) lgkmcnt(1)
	v_mul_f32_e32 v3, v69, v162
	v_fma_f32 v3, v68, v161, -v3
	v_add_f32_e32 v2, v2, v3
	s_waitcnt vmcnt(20)
	v_mul_f32_e32 v3, v71, v164
	v_mul_f32_e32 v79, v68, v162
	v_fma_f32 v3, v70, v163, -v3
	v_fmac_f32_e32 v79, v69, v161
	v_add_f32_e32 v76, v2, v3
	s_waitcnt vmcnt(18) lgkmcnt(0)
	v_mul_f32_e32 v2, v73, v166
	v_add_f32_e32 v77, v77, v79
	v_mul_f32_e32 v79, v70, v164
	v_fma_f32 v78, v72, v165, -v2
	s_waitcnt vmcnt(16)
	v_mul_f32_e32 v2, v75, v168
	v_fmac_f32_e32 v79, v71, v163
	v_fma_f32 v86, v74, v167, -v2
	ds_read2_b64 v[2:5], v1 offset0:115 offset1:116
	ds_read2_b64 v[6:9], v1 offset0:117 offset1:118
	;; [unrolled: 1-line block ×4, first 2 shown]
	v_add_f32_e32 v77, v77, v79
	v_mul_f32_e32 v79, v72, v166
	s_waitcnt vmcnt(11)
	v_mov_b32_e32 v20, v85
	v_fmac_f32_e32 v79, v73, v165
	v_mul_f32_e32 v87, v74, v168
	s_waitcnt lgkmcnt(3)
	v_pk_mul_f32 v[20:21], v[2:3], v[20:21] op_sel_hi:[1,0]
	v_fmac_f32_e32 v87, v75, v167
	v_pk_add_f32 v[18:19], v[76:77], v[78:79]
	s_waitcnt vmcnt(10)
	v_pk_fma_f32 v[22:23], v[2:3], v[84:85], v[20:21] op_sel:[0,0,1] op_sel_hi:[1,1,0] neg_lo:[0,0,1] neg_hi:[0,0,1]
	v_pk_fma_f32 v[2:3], v[2:3], v[84:85], v[20:21] op_sel:[0,0,1] op_sel_hi:[1,0,0]
	v_pk_add_f32 v[18:19], v[18:19], v[86:87]
	v_mov_b32_e32 v23, v3
	v_pk_add_f32 v[2:3], v[18:19], v[22:23]
	v_mov_b32_e32 v18, v83
	v_pk_mul_f32 v[18:19], v[4:5], v[18:19] op_sel_hi:[1,0]
	v_pk_fma_f32 v[20:21], v[4:5], v[82:83], v[18:19] op_sel:[0,0,1] op_sel_hi:[1,1,0] neg_lo:[0,0,1] neg_hi:[0,0,1]
	v_pk_fma_f32 v[4:5], v[4:5], v[82:83], v[18:19] op_sel:[0,0,1] op_sel_hi:[1,0,0]
	v_mov_b32_e32 v4, v81
	v_mov_b32_e32 v21, v5
	s_waitcnt lgkmcnt(2)
	v_pk_mul_f32 v[4:5], v[6:7], v[4:5] op_sel_hi:[1,0]
	v_pk_fma_f32 v[18:19], v[6:7], v[80:81], v[4:5] op_sel:[0,0,1] op_sel_hi:[1,1,0] neg_lo:[0,0,1] neg_hi:[0,0,1]
	v_pk_fma_f32 v[4:5], v[6:7], v[80:81], v[4:5] op_sel:[0,0,1] op_sel_hi:[1,0,0]
	s_waitcnt vmcnt(3)
	v_mov_b32_e32 v4, v95
	v_mov_b32_e32 v19, v5
	v_pk_mul_f32 v[4:5], v[8:9], v[4:5] op_sel_hi:[1,0]
	s_waitcnt vmcnt(2)
	v_pk_fma_f32 v[6:7], v[8:9], v[94:95], v[4:5] op_sel:[0,0,1] op_sel_hi:[1,1,0] neg_lo:[0,0,1] neg_hi:[0,0,1]
	v_pk_fma_f32 v[4:5], v[8:9], v[94:95], v[4:5] op_sel:[0,0,1] op_sel_hi:[1,0,0]
	v_pk_add_f32 v[2:3], v[2:3], v[20:21]
	v_mov_b32_e32 v4, v93
	v_pk_add_f32 v[2:3], v[2:3], v[18:19]
	v_mov_b32_e32 v7, v5
	s_waitcnt lgkmcnt(1)
	v_pk_mul_f32 v[4:5], v[10:11], v[4:5] op_sel_hi:[1,0]
	v_pk_add_f32 v[2:3], v[2:3], v[6:7]
	v_pk_fma_f32 v[6:7], v[10:11], v[92:93], v[4:5] op_sel:[0,0,1] op_sel_hi:[1,1,0] neg_lo:[0,0,1] neg_hi:[0,0,1]
	v_pk_fma_f32 v[4:5], v[10:11], v[92:93], v[4:5] op_sel:[0,0,1] op_sel_hi:[1,0,0]
	v_mov_b32_e32 v4, v91
	v_mov_b32_e32 v7, v5
	v_pk_mul_f32 v[4:5], v[12:13], v[4:5] op_sel_hi:[1,0]
	v_pk_add_f32 v[2:3], v[2:3], v[6:7]
	v_pk_fma_f32 v[6:7], v[12:13], v[90:91], v[4:5] op_sel:[0,0,1] op_sel_hi:[1,1,0] neg_lo:[0,0,1] neg_hi:[0,0,1]
	v_pk_fma_f32 v[4:5], v[12:13], v[90:91], v[4:5] op_sel:[0,0,1] op_sel_hi:[1,0,0]
	v_mov_b32_e32 v4, v89
	v_mov_b32_e32 v7, v5
	s_waitcnt lgkmcnt(0)
	v_pk_mul_f32 v[4:5], v[14:15], v[4:5] op_sel_hi:[1,0]
	v_pk_add_f32 v[2:3], v[2:3], v[6:7]
	v_pk_fma_f32 v[6:7], v[14:15], v[88:89], v[4:5] op_sel:[0,0,1] op_sel_hi:[1,1,0] neg_lo:[0,0,1] neg_hi:[0,0,1]
	v_pk_fma_f32 v[4:5], v[14:15], v[88:89], v[4:5] op_sel:[0,0,1] op_sel_hi:[1,0,0]
	s_waitcnt vmcnt(1)
	v_mov_b32_e32 v4, v97
	v_mov_b32_e32 v7, v5
	v_pk_mul_f32 v[4:5], v[16:17], v[4:5] op_sel_hi:[1,0]
	v_pk_add_f32 v[2:3], v[2:3], v[6:7]
	s_waitcnt vmcnt(0)
	v_pk_fma_f32 v[6:7], v[16:17], v[96:97], v[4:5] op_sel:[0,0,1] op_sel_hi:[1,1,0] neg_lo:[0,0,1] neg_hi:[0,0,1]
	v_pk_fma_f32 v[4:5], v[16:17], v[96:97], v[4:5] op_sel:[0,0,1] op_sel_hi:[1,0,0]
	v_mov_b32_e32 v7, v5
	v_pk_add_f32 v[2:3], v[2:3], v[6:7]
	v_pk_add_f32 v[2:3], v[26:27], v[2:3] neg_lo:[0,1] neg_hi:[0,1]
	buffer_store_dword v3, off, s[0:3], 0 offset:132
	buffer_store_dword v2, off, s[0:3], 0 offset:128
	s_and_saveexec_b64 s[4:5], vcc
	s_cbranch_execz .LBB124_349
; %bb.348:
	buffer_load_dword v2, off, s[0:3], 0 offset:120
	buffer_load_dword v3, off, s[0:3], 0 offset:124
	v_mov_b32_e32 v1, 0
	buffer_store_dword v1, off, s[0:3], 0 offset:120
	buffer_store_dword v1, off, s[0:3], 0 offset:124
	s_waitcnt vmcnt(2)
	ds_write_b64 v199, v[2:3]
.LBB124_349:
	s_or_b64 exec, exec, s[4:5]
	v_mov_b32_e32 v224, 0
	s_waitcnt lgkmcnt(0)
	; wave barrier
	s_waitcnt lgkmcnt(0)
	ds_read_b128 v[14:17], v224 offset:624
	ds_read_b128 v[10:13], v224 offset:640
	;; [unrolled: 1-line block ×4, first 2 shown]
	buffer_load_dword v78, off, s[0:3], 0 offset:120
	buffer_load_dword v79, off, s[0:3], 0 offset:124
	;; [unrolled: 1-line block ×18, first 2 shown]
	v_cmp_lt_u32_e32 vcc, 14, v0
	s_waitcnt vmcnt(14) lgkmcnt(3)
	v_mul_f32_e32 v18, v14, v86
	v_fmac_f32_e32 v18, v15, v1
	s_waitcnt vmcnt(12)
	v_mul_f32_e32 v19, v16, v105
	v_add_f32_e32 v18, 0, v18
	v_fmac_f32_e32 v19, v17, v80
	v_add_f32_e32 v18, v18, v19
	s_waitcnt vmcnt(10) lgkmcnt(2)
	v_mul_f32_e32 v19, v10, v107
	v_fmac_f32_e32 v19, v11, v82
	v_add_f32_e32 v18, v18, v19
	s_waitcnt vmcnt(8)
	v_mul_f32_e32 v19, v12, v109
	v_fmac_f32_e32 v19, v13, v104
	v_add_f32_e32 v18, v18, v19
	s_waitcnt vmcnt(6) lgkmcnt(1)
	v_mul_f32_e32 v19, v6, v111
	v_fmac_f32_e32 v19, v7, v106
	v_add_f32_e32 v18, v18, v19
	s_waitcnt vmcnt(4)
	v_mul_f32_e32 v19, v8, v112
	v_fmac_f32_e32 v19, v9, v108
	v_add_f32_e32 v18, v18, v19
	s_waitcnt vmcnt(2) lgkmcnt(0)
	v_mul_f32_e32 v19, v2, v113
	v_fmac_f32_e32 v19, v3, v110
	v_add_f32_e32 v18, v18, v19
	s_waitcnt vmcnt(0)
	v_mul_f32_e32 v19, v4, v115
	v_fmac_f32_e32 v19, v5, v114
	v_add_f32_e32 v22, v18, v19
	ds_read_b128 v[18:21], v224 offset:688
	buffer_load_dword v116, off, s[0:3], 0 offset:192
	buffer_load_dword v117, off, s[0:3], 0 offset:196
	buffer_load_dword v118, off, s[0:3], 0 offset:200
	buffer_load_dword v119, off, s[0:3], 0 offset:204
	v_mul_f32_e32 v15, v15, v86
	v_fma_f32 v1, v14, v1, -v15
	v_mul_f32_e32 v14, v17, v105
	v_add_f32_e32 v1, 0, v1
	v_fma_f32 v14, v16, v80, -v14
	v_mul_f32_e32 v11, v11, v107
	v_add_f32_e32 v1, v1, v14
	v_fma_f32 v10, v10, v82, -v11
	v_add_f32_e32 v1, v1, v10
	v_mul_f32_e32 v10, v13, v109
	v_fma_f32 v10, v12, v104, -v10
	v_mul_f32_e32 v7, v7, v111
	v_add_f32_e32 v1, v1, v10
	v_fma_f32 v6, v6, v106, -v7
	v_add_f32_e32 v1, v1, v6
	v_mul_f32_e32 v6, v9, v112
	;; [unrolled: 6-line block ×3, first 2 shown]
	v_fma_f32 v2, v4, v114, -v2
	v_add_f32_e32 v1, v1, v2
	s_waitcnt vmcnt(2) lgkmcnt(0)
	v_mul_f32_e32 v23, v18, v117
	v_fmac_f32_e32 v23, v19, v116
	v_add_f32_e32 v22, v22, v23
	s_waitcnt vmcnt(0)
	v_mul_f32_e32 v23, v20, v119
	v_fmac_f32_e32 v23, v21, v118
	v_add_f32_e32 v26, v22, v23
	ds_read_b128 v[22:25], v224 offset:704
	buffer_load_dword v120, off, s[0:3], 0 offset:208
	buffer_load_dword v121, off, s[0:3], 0 offset:212
	buffer_load_dword v122, off, s[0:3], 0 offset:216
	buffer_load_dword v123, off, s[0:3], 0 offset:220
	ds_read_b128 v[30:33], v224 offset:720
	buffer_load_dword v124, off, s[0:3], 0 offset:224
	buffer_load_dword v125, off, s[0:3], 0 offset:228
	buffer_load_dword v126, off, s[0:3], 0 offset:232
	buffer_load_dword v127, off, s[0:3], 0 offset:236
	;; [unrolled: 5-line block ×13, first 2 shown]
	v_mul_f32_e32 v2, v19, v117
	v_fma_f32 v2, v18, v116, -v2
	v_add_f32_e32 v1, v1, v2
	v_mul_f32_e32 v2, v21, v119
	v_fma_f32 v2, v20, v118, -v2
	v_add_f32_e32 v1, v1, v2
	s_waitcnt vmcnt(50) lgkmcnt(12)
	v_mul_f32_e32 v27, v22, v121
	v_fmac_f32_e32 v27, v23, v120
	v_add_f32_e32 v26, v26, v27
	s_waitcnt vmcnt(48)
	v_mul_f32_e32 v27, v24, v123
	v_fmac_f32_e32 v27, v25, v122
	v_add_f32_e32 v26, v26, v27
	s_waitcnt vmcnt(46) lgkmcnt(11)
	v_mul_f32_e32 v27, v30, v125
	v_fmac_f32_e32 v27, v31, v124
	v_add_f32_e32 v26, v26, v27
	s_waitcnt vmcnt(44)
	v_mul_f32_e32 v27, v32, v127
	v_fmac_f32_e32 v27, v33, v126
	;; [unrolled: 8-line block ×12, first 2 shown]
	v_add_f32_e32 v26, v26, v27
	s_waitcnt vmcnt(2) lgkmcnt(0)
	v_mul_f32_e32 v27, v74, v169
	v_fmac_f32_e32 v27, v75, v168
	v_add_f32_e32 v81, v26, v27
	ds_read_b128 v[26:29], v224 offset:912
	buffer_load_dword v172, off, s[0:3], 0 offset:416
	buffer_load_dword v173, off, s[0:3], 0 offset:420
	;; [unrolled: 1-line block ×18, first 2 shown]
	v_mul_f32_e32 v2, v23, v121
	v_fma_f32 v2, v22, v120, -v2
	v_add_f32_e32 v1, v1, v2
	v_mul_f32_e32 v2, v25, v123
	v_fma_f32 v2, v24, v122, -v2
	v_add_f32_e32 v1, v1, v2
	v_mul_f32_e32 v2, v31, v125
	v_fma_f32 v2, v30, v124, -v2
	v_add_f32_e32 v1, v1, v2
	v_mul_f32_e32 v2, v33, v127
	v_fma_f32 v2, v32, v126, -v2
	v_add_f32_e32 v1, v1, v2
	v_mul_f32_e32 v2, v35, v129
	v_fma_f32 v2, v34, v128, -v2
	v_add_f32_e32 v1, v1, v2
	v_mul_f32_e32 v2, v37, v131
	v_fma_f32 v2, v36, v130, -v2
	v_add_f32_e32 v1, v1, v2
	v_mul_f32_e32 v2, v39, v133
	v_fma_f32 v2, v38, v132, -v2
	v_add_f32_e32 v1, v1, v2
	v_mul_f32_e32 v2, v41, v135
	v_fma_f32 v2, v40, v134, -v2
	v_add_f32_e32 v1, v1, v2
	v_mul_f32_e32 v2, v43, v137
	v_fma_f32 v2, v42, v136, -v2
	v_add_f32_e32 v1, v1, v2
	v_mul_f32_e32 v2, v45, v139
	v_fma_f32 v2, v44, v138, -v2
	v_add_f32_e32 v1, v1, v2
	v_mul_f32_e32 v2, v47, v141
	v_fma_f32 v2, v46, v140, -v2
	v_add_f32_e32 v1, v1, v2
	v_mul_f32_e32 v2, v49, v143
	v_fma_f32 v2, v48, v142, -v2
	v_add_f32_e32 v1, v1, v2
	v_mul_f32_e32 v2, v51, v145
	v_fma_f32 v2, v50, v144, -v2
	v_add_f32_e32 v1, v1, v2
	v_mul_f32_e32 v2, v53, v147
	v_fma_f32 v2, v52, v146, -v2
	v_add_f32_e32 v1, v1, v2
	v_mul_f32_e32 v2, v55, v149
	v_fma_f32 v2, v54, v148, -v2
	v_add_f32_e32 v1, v1, v2
	v_mul_f32_e32 v2, v57, v151
	v_fma_f32 v2, v56, v150, -v2
	v_add_f32_e32 v1, v1, v2
	v_mul_f32_e32 v2, v59, v153
	v_fma_f32 v2, v58, v152, -v2
	v_add_f32_e32 v1, v1, v2
	v_mul_f32_e32 v2, v61, v155
	v_fma_f32 v2, v60, v154, -v2
	v_add_f32_e32 v1, v1, v2
	v_mul_f32_e32 v2, v63, v157
	v_fma_f32 v2, v62, v156, -v2
	v_add_f32_e32 v1, v1, v2
	v_mul_f32_e32 v2, v65, v159
	v_fma_f32 v2, v64, v158, -v2
	v_add_f32_e32 v1, v1, v2
	v_mul_f32_e32 v2, v67, v161
	v_fma_f32 v2, v66, v160, -v2
	v_add_f32_e32 v1, v1, v2
	v_mul_f32_e32 v2, v69, v163
	v_fma_f32 v2, v68, v162, -v2
	v_add_f32_e32 v1, v1, v2
	v_mul_f32_e32 v2, v71, v165
	v_fma_f32 v2, v70, v164, -v2
	v_add_f32_e32 v1, v1, v2
	v_mul_f32_e32 v2, v73, v167
	v_fma_f32 v2, v72, v166, -v2
	v_add_f32_e32 v1, v1, v2
	v_mul_f32_e32 v2, v75, v169
	v_fma_f32 v2, v74, v168, -v2
	s_waitcnt vmcnt(15)
	v_mov_b32_e32 v18, v85
	v_mul_f32_e32 v83, v76, v171
	v_add_f32_e32 v80, v1, v2
	v_mul_f32_e32 v1, v77, v171
	s_waitcnt lgkmcnt(0)
	v_pk_mul_f32 v[18:19], v[28:29], v[18:19] op_sel_hi:[1,0]
	v_fmac_f32_e32 v83, v77, v170
	v_mul_f32_e32 v87, v26, v173
	v_fma_f32 v82, v76, v170, -v1
	v_mul_f32_e32 v1, v27, v173
	ds_read_b128 v[2:5], v224 offset:928
	ds_read_b128 v[6:9], v224 offset:944
	;; [unrolled: 1-line block ×3, first 2 shown]
	ds_read_b64 v[14:15], v224 offset:976
	s_waitcnt vmcnt(14)
	v_pk_fma_f32 v[20:21], v[28:29], v[84:85], v[18:19] op_sel:[0,0,1] op_sel_hi:[1,1,0] neg_lo:[0,0,1] neg_hi:[0,0,1]
	v_pk_fma_f32 v[18:19], v[28:29], v[84:85], v[18:19] op_sel:[0,0,1] op_sel_hi:[1,0,0]
	v_fmac_f32_e32 v87, v27, v172
	v_fma_f32 v86, v26, v172, -v1
	v_pk_add_f32 v[16:17], v[80:81], v[82:83]
	s_waitcnt vmcnt(13)
	v_mov_b32_e32 v18, v101
	v_pk_add_f32 v[16:17], v[16:17], v[86:87]
	v_mov_b32_e32 v21, v19
	s_waitcnt lgkmcnt(3)
	v_pk_mul_f32 v[18:19], v[2:3], v[18:19] op_sel_hi:[1,0]
	v_pk_add_f32 v[16:17], v[16:17], v[20:21]
	s_waitcnt vmcnt(12)
	v_pk_fma_f32 v[20:21], v[2:3], v[100:101], v[18:19] op_sel:[0,0,1] op_sel_hi:[1,1,0] neg_lo:[0,0,1] neg_hi:[0,0,1]
	v_pk_fma_f32 v[2:3], v[2:3], v[100:101], v[18:19] op_sel:[0,0,1] op_sel_hi:[1,0,0]
	v_mov_b32_e32 v21, v3
	v_pk_add_f32 v[2:3], v[16:17], v[20:21]
	s_waitcnt vmcnt(11)
	v_mov_b32_e32 v16, v99
	v_pk_mul_f32 v[16:17], v[4:5], v[16:17] op_sel_hi:[1,0]
	s_waitcnt vmcnt(10)
	v_pk_fma_f32 v[18:19], v[4:5], v[98:99], v[16:17] op_sel:[0,0,1] op_sel_hi:[1,1,0] neg_lo:[0,0,1] neg_hi:[0,0,1]
	v_pk_fma_f32 v[4:5], v[4:5], v[98:99], v[16:17] op_sel:[0,0,1] op_sel_hi:[1,0,0]
	s_waitcnt vmcnt(9)
	v_mov_b32_e32 v4, v97
	v_mov_b32_e32 v19, v5
	s_waitcnt lgkmcnt(2)
	v_pk_mul_f32 v[4:5], v[6:7], v[4:5] op_sel_hi:[1,0]
	s_waitcnt vmcnt(8)
	v_pk_fma_f32 v[16:17], v[6:7], v[96:97], v[4:5] op_sel:[0,0,1] op_sel_hi:[1,1,0] neg_lo:[0,0,1] neg_hi:[0,0,1]
	v_pk_fma_f32 v[4:5], v[6:7], v[96:97], v[4:5] op_sel:[0,0,1] op_sel_hi:[1,0,0]
	s_waitcnt vmcnt(7)
	v_mov_b32_e32 v4, v95
	v_mov_b32_e32 v17, v5
	v_pk_mul_f32 v[4:5], v[8:9], v[4:5] op_sel_hi:[1,0]
	s_waitcnt vmcnt(6)
	v_pk_fma_f32 v[6:7], v[8:9], v[94:95], v[4:5] op_sel:[0,0,1] op_sel_hi:[1,1,0] neg_lo:[0,0,1] neg_hi:[0,0,1]
	v_pk_fma_f32 v[4:5], v[8:9], v[94:95], v[4:5] op_sel:[0,0,1] op_sel_hi:[1,0,0]
	v_pk_add_f32 v[2:3], v[2:3], v[18:19]
	s_waitcnt vmcnt(5)
	v_mov_b32_e32 v4, v93
	v_pk_add_f32 v[2:3], v[2:3], v[16:17]
	v_mov_b32_e32 v7, v5
	s_waitcnt lgkmcnt(1)
	v_pk_mul_f32 v[4:5], v[10:11], v[4:5] op_sel_hi:[1,0]
	v_pk_add_f32 v[2:3], v[2:3], v[6:7]
	s_waitcnt vmcnt(4)
	v_pk_fma_f32 v[6:7], v[10:11], v[92:93], v[4:5] op_sel:[0,0,1] op_sel_hi:[1,1,0] neg_lo:[0,0,1] neg_hi:[0,0,1]
	v_pk_fma_f32 v[4:5], v[10:11], v[92:93], v[4:5] op_sel:[0,0,1] op_sel_hi:[1,0,0]
	s_waitcnt vmcnt(3)
	v_mov_b32_e32 v4, v91
	v_mov_b32_e32 v7, v5
	v_pk_mul_f32 v[4:5], v[12:13], v[4:5] op_sel_hi:[1,0]
	v_pk_add_f32 v[2:3], v[2:3], v[6:7]
	s_waitcnt vmcnt(2)
	v_pk_fma_f32 v[6:7], v[12:13], v[90:91], v[4:5] op_sel:[0,0,1] op_sel_hi:[1,1,0] neg_lo:[0,0,1] neg_hi:[0,0,1]
	v_pk_fma_f32 v[4:5], v[12:13], v[90:91], v[4:5] op_sel:[0,0,1] op_sel_hi:[1,0,0]
	s_waitcnt vmcnt(1)
	v_mov_b32_e32 v4, v89
	v_mov_b32_e32 v7, v5
	s_waitcnt lgkmcnt(0)
	v_pk_mul_f32 v[4:5], v[14:15], v[4:5] op_sel_hi:[1,0]
	v_pk_add_f32 v[2:3], v[2:3], v[6:7]
	s_waitcnt vmcnt(0)
	v_pk_fma_f32 v[6:7], v[14:15], v[88:89], v[4:5] op_sel:[0,0,1] op_sel_hi:[1,1,0] neg_lo:[0,0,1] neg_hi:[0,0,1]
	v_pk_fma_f32 v[4:5], v[14:15], v[88:89], v[4:5] op_sel:[0,0,1] op_sel_hi:[1,0,0]
	v_mov_b32_e32 v7, v5
	v_pk_add_f32 v[2:3], v[2:3], v[6:7]
	v_pk_add_f32 v[2:3], v[78:79], v[2:3] neg_lo:[0,1] neg_hi:[0,1]
	buffer_store_dword v3, off, s[0:3], 0 offset:124
	buffer_store_dword v2, off, s[0:3], 0 offset:120
	s_and_saveexec_b64 s[4:5], vcc
	s_cbranch_execz .LBB124_351
; %bb.350:
	buffer_load_dword v2, off, s[0:3], 0 offset:112
	buffer_load_dword v3, off, s[0:3], 0 offset:116
	s_waitcnt vmcnt(0)
	ds_write_b64 v199, v[2:3]
	buffer_store_dword v224, off, s[0:3], 0 offset:112
	buffer_store_dword v224, off, s[0:3], 0 offset:116
.LBB124_351:
	s_or_b64 exec, exec, s[4:5]
	s_waitcnt lgkmcnt(0)
	; wave barrier
	s_waitcnt lgkmcnt(0)
	buffer_load_dword v90, off, s[0:3], 0 offset:124
	buffer_load_dword v92, off, s[0:3], 0 offset:132
	;; [unrolled: 1-line block ×32, first 2 shown]
	ds_read2_b64 v[22:25], v224 offset0:77 offset1:78
	ds_read2_b64 v[18:21], v224 offset0:79 offset1:80
	;; [unrolled: 1-line block ×6, first 2 shown]
	buffer_load_dword v134, off, s[0:3], 0 offset:240
	buffer_load_dword v135, off, s[0:3], 0 offset:244
	buffer_load_dword v136, off, s[0:3], 0 offset:248
	buffer_load_dword v137, off, s[0:3], 0 offset:252
	buffer_load_dword v138, off, s[0:3], 0 offset:256
	buffer_load_dword v139, off, s[0:3], 0 offset:260
	buffer_load_dword v140, off, s[0:3], 0 offset:264
	buffer_load_dword v141, off, s[0:3], 0 offset:268
	buffer_load_dword v142, off, s[0:3], 0 offset:272
	buffer_load_dword v143, off, s[0:3], 0 offset:276
	buffer_load_dword v144, off, s[0:3], 0 offset:280
	buffer_load_dword v145, off, s[0:3], 0 offset:284
	buffer_load_dword v146, off, s[0:3], 0 offset:288
	buffer_load_dword v147, off, s[0:3], 0 offset:292
	buffer_load_dword v148, off, s[0:3], 0 offset:296
	buffer_load_dword v149, off, s[0:3], 0 offset:300
	buffer_load_dword v150, off, s[0:3], 0 offset:304
	buffer_load_dword v151, off, s[0:3], 0 offset:308
	buffer_load_dword v152, off, s[0:3], 0 offset:312
	buffer_load_dword v153, off, s[0:3], 0 offset:316
	buffer_load_dword v154, off, s[0:3], 0 offset:320
	buffer_load_dword v155, off, s[0:3], 0 offset:324
	buffer_load_dword v156, off, s[0:3], 0 offset:328
	buffer_load_dword v157, off, s[0:3], 0 offset:332
	buffer_load_dword v158, off, s[0:3], 0 offset:336
	buffer_load_dword v159, off, s[0:3], 0 offset:340
	buffer_load_dword v160, off, s[0:3], 0 offset:344
	buffer_load_dword v161, off, s[0:3], 0 offset:348
	buffer_load_dword v162, off, s[0:3], 0 offset:352
	buffer_load_dword v163, off, s[0:3], 0 offset:356
	buffer_load_dword v164, off, s[0:3], 0 offset:360
	buffer_load_dword v165, off, s[0:3], 0 offset:364
	v_cmp_lt_u32_e32 vcc, 13, v0
	s_waitcnt vmcnt(62) lgkmcnt(5)
	v_mul_f32_e32 v31, v22, v90
	v_mul_f32_e32 v32, v24, v92
	s_waitcnt vmcnt(61) lgkmcnt(4)
	v_mul_f32_e32 v34, v20, v30
	s_waitcnt vmcnt(60) lgkmcnt(3)
	v_mul_f32_e32 v35, v14, v29
	s_waitcnt vmcnt(59)
	v_mul_f32_e32 v36, v16, v1
	s_waitcnt vmcnt(58)
	v_mul_f32_e32 v33, v18, v110
	s_waitcnt vmcnt(57) lgkmcnt(2)
	v_mul_f32_e32 v37, v10, v28
	s_waitcnt vmcnt(56)
	v_mul_f32_e32 v38, v12, v111
	s_waitcnt vmcnt(55) lgkmcnt(1)
	v_mul_f32_e32 v39, v6, v112
	s_waitcnt vmcnt(54)
	v_mul_f32_e32 v40, v8, v113
	s_waitcnt vmcnt(53)
	v_fmac_f32_e32 v33, v19, v114
	s_waitcnt vmcnt(52)
	v_fmac_f32_e32 v32, v25, v115
	;; [unrolled: 2-line block ×3, first 2 shown]
	v_add_f32_e32 v31, 0, v31
	v_add_f32_e32 v31, v31, v32
	;; [unrolled: 1-line block ×3, first 2 shown]
	s_waitcnt vmcnt(47)
	v_fmac_f32_e32 v34, v21, v120
	v_fmac_f32_e32 v35, v15, v119
	v_add_f32_e32 v31, v31, v34
	v_fmac_f32_e32 v36, v17, v118
	v_add_f32_e32 v31, v31, v35
	;; [unrolled: 2-line block ×3, first 2 shown]
	s_waitcnt vmcnt(43)
	v_fmac_f32_e32 v38, v13, v124
	v_add_f32_e32 v31, v31, v37
	v_fmac_f32_e32 v39, v7, v123
	v_add_f32_e32 v31, v31, v38
	;; [unrolled: 2-line block ×3, first 2 shown]
	s_waitcnt vmcnt(42) lgkmcnt(0)
	v_mul_f32_e32 v32, v2, v125
	v_add_f32_e32 v31, v31, v40
	v_fmac_f32_e32 v32, v3, v121
	v_add_f32_e32 v31, v31, v32
	ds_read2_b64 v[32:35], v224 offset0:89 offset1:90
	buffer_load_dword v166, off, s[0:3], 0 offset:368
	buffer_load_dword v167, off, s[0:3], 0 offset:372
	s_waitcnt vmcnt(43)
	v_mul_f32_e32 v36, v4, v126
	s_waitcnt vmcnt(36)
	v_fmac_f32_e32 v36, v5, v133
	v_add_f32_e32 v31, v31, v36
	ds_read2_b64 v[36:39], v224 offset0:91 offset1:92
	buffer_load_dword v168, off, s[0:3], 0 offset:376
	buffer_load_dword v169, off, s[0:3], 0 offset:380
	;; [unrolled: 1-line block ×8, first 2 shown]
	s_waitcnt lgkmcnt(1)
	v_mul_f32_e32 v40, v32, v128
	v_fmac_f32_e32 v40, v33, v127
	v_add_f32_e32 v31, v31, v40
	v_mul_f32_e32 v40, v34, v130
	v_fmac_f32_e32 v40, v35, v129
	v_add_f32_e32 v31, v31, v40
	s_waitcnt lgkmcnt(0)
	v_mul_f32_e32 v40, v36, v132
	v_fmac_f32_e32 v40, v37, v131
	v_add_f32_e32 v31, v31, v40
	buffer_load_dword v176, off, s[0:3], 0 offset:408
	buffer_load_dword v177, off, s[0:3], 0 offset:412
	;; [unrolled: 1-line block ×4, first 2 shown]
	ds_read2_b64 v[40:43], v224 offset0:93 offset1:94
	s_waitcnt vmcnt(44)
	v_mul_f32_e32 v44, v38, v135
	v_fmac_f32_e32 v44, v39, v134
	v_add_f32_e32 v31, v31, v44
	ds_read2_b64 v[44:47], v224 offset0:95 offset1:96
	s_waitcnt vmcnt(42) lgkmcnt(1)
	v_mul_f32_e32 v48, v40, v137
	v_fmac_f32_e32 v48, v41, v136
	v_add_f32_e32 v31, v31, v48
	s_waitcnt vmcnt(40)
	v_mul_f32_e32 v48, v42, v139
	v_fmac_f32_e32 v48, v43, v138
	v_add_f32_e32 v31, v31, v48
	s_waitcnt vmcnt(38) lgkmcnt(0)
	v_mul_f32_e32 v48, v44, v141
	v_fmac_f32_e32 v48, v45, v140
	v_add_f32_e32 v31, v31, v48
	ds_read2_b64 v[48:51], v224 offset0:97 offset1:98
	s_waitcnt vmcnt(36)
	v_mul_f32_e32 v52, v46, v143
	v_fmac_f32_e32 v52, v47, v142
	v_add_f32_e32 v31, v31, v52
	ds_read2_b64 v[52:55], v224 offset0:99 offset1:100
	s_waitcnt vmcnt(34) lgkmcnt(1)
	v_mul_f32_e32 v56, v48, v145
	v_fmac_f32_e32 v56, v49, v144
	v_add_f32_e32 v31, v31, v56
	s_waitcnt vmcnt(32)
	v_mul_f32_e32 v56, v50, v147
	v_fmac_f32_e32 v56, v51, v146
	v_add_f32_e32 v31, v31, v56
	s_waitcnt vmcnt(30) lgkmcnt(0)
	v_mul_f32_e32 v56, v52, v149
	v_fmac_f32_e32 v56, v53, v148
	v_add_f32_e32 v31, v31, v56
	ds_read2_b64 v[56:59], v224 offset0:101 offset1:102
	s_waitcnt vmcnt(28)
	v_mul_f32_e32 v60, v54, v151
	v_fmac_f32_e32 v60, v55, v150
	v_add_f32_e32 v31, v31, v60
	ds_read2_b64 v[60:63], v224 offset0:103 offset1:104
	s_waitcnt vmcnt(26) lgkmcnt(1)
	v_mul_f32_e32 v64, v56, v153
	v_fmac_f32_e32 v64, v57, v152
	v_add_f32_e32 v31, v31, v64
	s_waitcnt vmcnt(24)
	v_mul_f32_e32 v64, v58, v155
	v_fmac_f32_e32 v64, v59, v154
	v_add_f32_e32 v31, v31, v64
	s_waitcnt vmcnt(22) lgkmcnt(0)
	v_mul_f32_e32 v64, v60, v157
	v_fmac_f32_e32 v64, v61, v156
	v_add_f32_e32 v31, v31, v64
	ds_read2_b64 v[64:67], v224 offset0:105 offset1:106
	s_waitcnt vmcnt(20)
	v_mul_f32_e32 v68, v62, v159
	v_fmac_f32_e32 v68, v63, v158
	v_add_f32_e32 v31, v31, v68
	ds_read2_b64 v[68:71], v224 offset0:107 offset1:108
	s_waitcnt vmcnt(18) lgkmcnt(1)
	v_mul_f32_e32 v72, v64, v161
	v_fmac_f32_e32 v72, v65, v160
	v_add_f32_e32 v31, v31, v72
	s_waitcnt vmcnt(16)
	v_mul_f32_e32 v72, v66, v163
	v_fmac_f32_e32 v72, v67, v162
	v_add_f32_e32 v31, v31, v72
	s_waitcnt vmcnt(14) lgkmcnt(0)
	v_mul_f32_e32 v72, v68, v165
	v_fmac_f32_e32 v72, v69, v164
	v_add_f32_e32 v31, v31, v72
	ds_read2_b64 v[72:75], v224 offset0:109 offset1:110
	v_mul_f32_e32 v23, v23, v90
	v_fma_f32 v22, v22, v116, -v23
	v_mul_f32_e32 v23, v25, v92
	v_add_f32_e32 v22, 0, v22
	s_waitcnt vmcnt(12)
	v_mul_f32_e32 v76, v70, v167
	v_fmac_f32_e32 v76, v71, v166
	v_add_f32_e32 v31, v31, v76
	ds_read2_b64 v[76:79], v224 offset0:111 offset1:112
	buffer_load_dword v89, off, s[0:3], 0 offset:428
	buffer_load_dword v88, off, s[0:3], 0 offset:424
	s_waitcnt vmcnt(12) lgkmcnt(1)
	v_mul_f32_e32 v80, v72, v169
	v_fmac_f32_e32 v80, v73, v168
	v_add_f32_e32 v31, v31, v80
	s_waitcnt vmcnt(10)
	v_mul_f32_e32 v80, v74, v171
	v_fmac_f32_e32 v80, v75, v170
	v_add_f32_e32 v31, v31, v80
	s_waitcnt vmcnt(8) lgkmcnt(0)
	v_mul_f32_e32 v80, v76, v173
	v_fmac_f32_e32 v80, v77, v172
	s_waitcnt vmcnt(6)
	v_mul_f32_e32 v84, v78, v175
	v_add_f32_e32 v31, v31, v80
	v_fmac_f32_e32 v84, v79, v174
	ds_read2_b64 v[80:83], v224 offset0:113 offset1:114
	v_add_f32_e32 v31, v31, v84
	ds_read2_b64 v[84:87], v224 offset0:115 offset1:116
	buffer_load_dword v95, off, s[0:3], 0 offset:460
	buffer_load_dword v94, off, s[0:3], 0 offset:456
	buffer_load_dword v97, off, s[0:3], 0 offset:452
	buffer_load_dword v96, off, s[0:3], 0 offset:448
	buffer_load_dword v99, off, s[0:3], 0 offset:444
	buffer_load_dword v98, off, s[0:3], 0 offset:440
	buffer_load_dword v101, off, s[0:3], 0 offset:436
	buffer_load_dword v100, off, s[0:3], 0 offset:432
	buffer_load_dword v105, off, s[0:3], 0 offset:484
	buffer_load_dword v104, off, s[0:3], 0 offset:480
	buffer_load_dword v107, off, s[0:3], 0 offset:476
	buffer_load_dword v106, off, s[0:3], 0 offset:472
	buffer_load_dword v109, off, s[0:3], 0 offset:468
	buffer_load_dword v108, off, s[0:3], 0 offset:464
	v_fma_f32 v23, v24, v115, -v23
	v_mul_f32_e32 v19, v19, v110
	v_add_f32_e32 v22, v22, v23
	v_fma_f32 v18, v18, v114, -v19
	v_mul_f32_e32 v19, v21, v30
	v_add_f32_e32 v18, v22, v18
	;; [unrolled: 3-line block ×5, first 2 shown]
	v_fma_f32 v10, v10, v117, -v11
	v_add_f32_e32 v1, v1, v10
	v_mul_f32_e32 v10, v13, v111
	v_fma_f32 v10, v12, v124, -v10
	v_mul_f32_e32 v7, v7, v112
	v_add_f32_e32 v1, v1, v10
	v_fma_f32 v6, v6, v123, -v7
	v_add_f32_e32 v1, v1, v6
	v_mul_f32_e32 v6, v9, v113
	v_fma_f32 v6, v8, v122, -v6
	v_mul_f32_e32 v3, v3, v125
	v_add_f32_e32 v1, v1, v6
	v_fma_f32 v2, v2, v121, -v3
	v_add_f32_e32 v1, v1, v2
	v_mul_f32_e32 v2, v5, v126
	v_fma_f32 v2, v4, v133, -v2
	v_add_f32_e32 v1, v1, v2
	v_mul_f32_e32 v2, v33, v128
	;; [unrolled: 3-line block ×25, first 2 shown]
	v_fma_f32 v2, v78, v174, -v2
	s_waitcnt vmcnt(15)
	v_mov_b32_e32 v16, v89
	s_waitcnt lgkmcnt(1)
	v_mul_f32_e32 v91, v80, v177
	v_add_f32_e32 v30, v1, v2
	v_mul_f32_e32 v1, v81, v177
	s_waitcnt lgkmcnt(0)
	v_pk_mul_f32 v[16:17], v[84:85], v[16:17] op_sel_hi:[1,0]
	v_fmac_f32_e32 v91, v81, v176
	v_mul_f32_e32 v93, v82, v179
	v_fma_f32 v90, v80, v176, -v1
	v_mul_f32_e32 v1, v83, v179
	s_waitcnt vmcnt(14)
	v_pk_fma_f32 v[18:19], v[84:85], v[88:89], v[16:17] op_sel:[0,0,1] op_sel_hi:[1,1,0] neg_lo:[0,0,1] neg_hi:[0,0,1]
	v_pk_fma_f32 v[16:17], v[84:85], v[88:89], v[16:17] op_sel:[0,0,1] op_sel_hi:[1,0,0]
	v_fmac_f32_e32 v93, v83, v178
	v_fma_f32 v92, v82, v178, -v1
	v_pk_add_f32 v[14:15], v[30:31], v[90:91]
	s_waitcnt vmcnt(7)
	v_mov_b32_e32 v16, v101
	ds_read2_b64 v[2:5], v224 offset0:117 offset1:118
	ds_read2_b64 v[6:9], v224 offset0:119 offset1:120
	;; [unrolled: 1-line block ×3, first 2 shown]
	v_pk_add_f32 v[14:15], v[14:15], v[92:93]
	v_mov_b32_e32 v19, v17
	v_pk_mul_f32 v[16:17], v[86:87], v[16:17] op_sel_hi:[1,0]
	v_pk_add_f32 v[14:15], v[14:15], v[18:19]
	s_waitcnt vmcnt(6)
	v_pk_fma_f32 v[18:19], v[86:87], v[100:101], v[16:17] op_sel:[0,0,1] op_sel_hi:[1,1,0] neg_lo:[0,0,1] neg_hi:[0,0,1]
	v_pk_fma_f32 v[16:17], v[86:87], v[100:101], v[16:17] op_sel:[0,0,1] op_sel_hi:[1,0,0]
	v_mov_b32_e32 v16, v99
	v_mov_b32_e32 v19, v17
	s_waitcnt lgkmcnt(2)
	v_pk_mul_f32 v[16:17], v[2:3], v[16:17] op_sel_hi:[1,0]
	v_pk_add_f32 v[14:15], v[14:15], v[18:19]
	v_pk_fma_f32 v[18:19], v[2:3], v[98:99], v[16:17] op_sel:[0,0,1] op_sel_hi:[1,1,0] neg_lo:[0,0,1] neg_hi:[0,0,1]
	v_pk_fma_f32 v[2:3], v[2:3], v[98:99], v[16:17] op_sel:[0,0,1] op_sel_hi:[1,0,0]
	v_mov_b32_e32 v19, v3
	v_pk_add_f32 v[2:3], v[14:15], v[18:19]
	v_mov_b32_e32 v14, v97
	v_pk_mul_f32 v[14:15], v[4:5], v[14:15] op_sel_hi:[1,0]
	v_pk_fma_f32 v[16:17], v[4:5], v[96:97], v[14:15] op_sel:[0,0,1] op_sel_hi:[1,1,0] neg_lo:[0,0,1] neg_hi:[0,0,1]
	v_pk_fma_f32 v[4:5], v[4:5], v[96:97], v[14:15] op_sel:[0,0,1] op_sel_hi:[1,0,0]
	v_mov_b32_e32 v4, v95
	v_mov_b32_e32 v17, v5
	s_waitcnt lgkmcnt(1)
	v_pk_mul_f32 v[4:5], v[6:7], v[4:5] op_sel_hi:[1,0]
	v_pk_fma_f32 v[14:15], v[6:7], v[94:95], v[4:5] op_sel:[0,0,1] op_sel_hi:[1,1,0] neg_lo:[0,0,1] neg_hi:[0,0,1]
	v_pk_fma_f32 v[4:5], v[6:7], v[94:95], v[4:5] op_sel:[0,0,1] op_sel_hi:[1,0,0]
	s_waitcnt vmcnt(1)
	v_mov_b32_e32 v4, v109
	v_mov_b32_e32 v15, v5
	v_pk_mul_f32 v[4:5], v[8:9], v[4:5] op_sel_hi:[1,0]
	s_waitcnt vmcnt(0)
	v_pk_fma_f32 v[6:7], v[8:9], v[108:109], v[4:5] op_sel:[0,0,1] op_sel_hi:[1,1,0] neg_lo:[0,0,1] neg_hi:[0,0,1]
	v_pk_fma_f32 v[4:5], v[8:9], v[108:109], v[4:5] op_sel:[0,0,1] op_sel_hi:[1,0,0]
	v_pk_add_f32 v[2:3], v[2:3], v[16:17]
	v_mov_b32_e32 v4, v107
	v_pk_add_f32 v[2:3], v[2:3], v[14:15]
	v_mov_b32_e32 v7, v5
	s_waitcnt lgkmcnt(0)
	v_pk_mul_f32 v[4:5], v[10:11], v[4:5] op_sel_hi:[1,0]
	v_pk_add_f32 v[2:3], v[2:3], v[6:7]
	v_pk_fma_f32 v[6:7], v[10:11], v[106:107], v[4:5] op_sel:[0,0,1] op_sel_hi:[1,1,0] neg_lo:[0,0,1] neg_hi:[0,0,1]
	v_pk_fma_f32 v[4:5], v[10:11], v[106:107], v[4:5] op_sel:[0,0,1] op_sel_hi:[1,0,0]
	v_mov_b32_e32 v4, v105
	v_mov_b32_e32 v7, v5
	v_pk_mul_f32 v[4:5], v[12:13], v[4:5] op_sel_hi:[1,0]
	v_pk_add_f32 v[2:3], v[2:3], v[6:7]
	v_pk_fma_f32 v[6:7], v[12:13], v[104:105], v[4:5] op_sel:[0,0,1] op_sel_hi:[1,1,0] neg_lo:[0,0,1] neg_hi:[0,0,1]
	v_pk_fma_f32 v[4:5], v[12:13], v[104:105], v[4:5] op_sel:[0,0,1] op_sel_hi:[1,0,0]
	v_mov_b32_e32 v7, v5
	v_pk_add_f32 v[2:3], v[2:3], v[6:7]
	v_pk_add_f32 v[2:3], v[26:27], v[2:3] neg_lo:[0,1] neg_hi:[0,1]
	buffer_store_dword v3, off, s[0:3], 0 offset:116
	buffer_store_dword v2, off, s[0:3], 0 offset:112
	s_and_saveexec_b64 s[4:5], vcc
	s_cbranch_execz .LBB124_353
; %bb.352:
	buffer_load_dword v2, off, s[0:3], 0 offset:104
	buffer_load_dword v3, off, s[0:3], 0 offset:108
	v_mov_b32_e32 v1, 0
	buffer_store_dword v1, off, s[0:3], 0 offset:104
	buffer_store_dword v1, off, s[0:3], 0 offset:108
	s_waitcnt vmcnt(2)
	ds_write_b64 v199, v[2:3]
.LBB124_353:
	s_or_b64 exec, exec, s[4:5]
	s_waitcnt lgkmcnt(0)
	; wave barrier
	s_waitcnt lgkmcnt(0)
	buffer_load_dword v33, off, s[0:3], 0 offset:116
	buffer_load_dword v32, off, s[0:3], 0 offset:124
	;; [unrolled: 1-line block ×48, first 2 shown]
	v_mov_b32_e32 v1, 0
	ds_read_b128 v[22:25], v1 offset:608
	ds_read_b128 v[18:21], v1 offset:624
	;; [unrolled: 1-line block ×6, first 2 shown]
	buffer_load_dword v151, off, s[0:3], 0 offset:296
	buffer_load_dword v152, off, s[0:3], 0 offset:300
	buffer_load_dword v153, off, s[0:3], 0 offset:304
	buffer_load_dword v154, off, s[0:3], 0 offset:308
	buffer_load_dword v155, off, s[0:3], 0 offset:312
	buffer_load_dword v156, off, s[0:3], 0 offset:316
	buffer_load_dword v157, off, s[0:3], 0 offset:320
	buffer_load_dword v158, off, s[0:3], 0 offset:324
	buffer_load_dword v159, off, s[0:3], 0 offset:328
	buffer_load_dword v160, off, s[0:3], 0 offset:332
	buffer_load_dword v161, off, s[0:3], 0 offset:336
	buffer_load_dword v162, off, s[0:3], 0 offset:340
	v_cmp_lt_u32_e32 vcc, 12, v0
	s_waitcnt vmcnt(59) lgkmcnt(5)
	v_mul_f32_e32 v35, v22, v33
	s_waitcnt vmcnt(58)
	v_mul_f32_e32 v36, v24, v32
	s_waitcnt vmcnt(57) lgkmcnt(4)
	v_mul_f32_e32 v38, v20, v31
	s_waitcnt vmcnt(56) lgkmcnt(3)
	v_mul_f32_e32 v39, v14, v30
	s_waitcnt vmcnt(55)
	v_mul_f32_e32 v40, v16, v28
	s_waitcnt vmcnt(54)
	v_mul_f32_e32 v37, v18, v34
	s_waitcnt vmcnt(53) lgkmcnt(2)
	v_mul_f32_e32 v41, v10, v29
	s_waitcnt vmcnt(52)
	v_mul_f32_e32 v42, v12, v92
	s_waitcnt vmcnt(51) lgkmcnt(1)
	v_mul_f32_e32 v43, v6, v94
	s_waitcnt vmcnt(50)
	v_mul_f32_e32 v44, v8, v114
	s_waitcnt vmcnt(49)
	v_fmac_f32_e32 v37, v19, v115
	s_waitcnt vmcnt(48)
	v_fmac_f32_e32 v36, v25, v116
	;; [unrolled: 2-line block ×3, first 2 shown]
	v_add_f32_e32 v35, 0, v35
	v_add_f32_e32 v35, v35, v36
	;; [unrolled: 1-line block ×3, first 2 shown]
	s_waitcnt vmcnt(43)
	v_fmac_f32_e32 v38, v21, v121
	v_fmac_f32_e32 v39, v15, v120
	v_add_f32_e32 v35, v35, v38
	v_fmac_f32_e32 v40, v17, v119
	v_add_f32_e32 v35, v35, v39
	;; [unrolled: 2-line block ×3, first 2 shown]
	s_waitcnt vmcnt(39)
	v_fmac_f32_e32 v42, v13, v125
	v_add_f32_e32 v35, v35, v41
	v_fmac_f32_e32 v43, v7, v124
	v_add_f32_e32 v35, v35, v42
	;; [unrolled: 2-line block ×3, first 2 shown]
	s_waitcnt vmcnt(38) lgkmcnt(0)
	v_mul_f32_e32 v36, v2, v126
	v_add_f32_e32 v35, v35, v44
	v_fmac_f32_e32 v36, v3, v122
	v_add_f32_e32 v35, v35, v36
	ds_read_b128 v[36:39], v1 offset:704
	buffer_load_dword v163, off, s[0:3], 0 offset:344
	buffer_load_dword v164, off, s[0:3], 0 offset:348
	;; [unrolled: 1-line block ×4, first 2 shown]
	s_waitcnt vmcnt(35)
	v_mul_f32_e32 v40, v4, v133
	s_waitcnt vmcnt(34)
	v_fmac_f32_e32 v40, v5, v134
	v_add_f32_e32 v35, v35, v40
	ds_read_b128 v[40:43], v1 offset:720
	buffer_load_dword v167, off, s[0:3], 0 offset:360
	buffer_load_dword v168, off, s[0:3], 0 offset:364
	;; [unrolled: 1-line block ×10, first 2 shown]
	s_waitcnt lgkmcnt(1)
	v_mul_f32_e32 v44, v36, v128
	v_fmac_f32_e32 v44, v37, v127
	v_add_f32_e32 v35, v35, v44
	v_mul_f32_e32 v44, v38, v130
	v_fmac_f32_e32 v44, v39, v129
	v_add_f32_e32 v35, v35, v44
	s_waitcnt lgkmcnt(0)
	v_mul_f32_e32 v44, v40, v132
	v_fmac_f32_e32 v44, v41, v131
	v_add_f32_e32 v35, v35, v44
	buffer_load_dword v177, off, s[0:3], 0 offset:400
	buffer_load_dword v178, off, s[0:3], 0 offset:404
	;; [unrolled: 1-line block ×6, first 2 shown]
	ds_read_b128 v[44:47], v1 offset:736
	s_waitcnt vmcnt(46)
	v_mul_f32_e32 v48, v42, v136
	v_fmac_f32_e32 v48, v43, v135
	v_add_f32_e32 v35, v35, v48
	ds_read_b128 v[48:51], v1 offset:752
	s_waitcnt vmcnt(44) lgkmcnt(1)
	v_mul_f32_e32 v52, v44, v138
	v_fmac_f32_e32 v52, v45, v137
	v_add_f32_e32 v35, v35, v52
	s_waitcnt vmcnt(42)
	v_mul_f32_e32 v52, v46, v140
	v_fmac_f32_e32 v52, v47, v139
	v_add_f32_e32 v35, v35, v52
	s_waitcnt vmcnt(40) lgkmcnt(0)
	v_mul_f32_e32 v52, v48, v142
	v_fmac_f32_e32 v52, v49, v141
	v_add_f32_e32 v35, v35, v52
	ds_read_b128 v[52:55], v1 offset:768
	s_waitcnt vmcnt(38)
	v_mul_f32_e32 v56, v50, v144
	v_fmac_f32_e32 v56, v51, v143
	v_add_f32_e32 v35, v35, v56
	ds_read_b128 v[56:59], v1 offset:784
	s_waitcnt vmcnt(36) lgkmcnt(1)
	v_mul_f32_e32 v60, v52, v146
	v_fmac_f32_e32 v60, v53, v145
	v_add_f32_e32 v35, v35, v60
	s_waitcnt vmcnt(34)
	v_mul_f32_e32 v60, v54, v148
	v_fmac_f32_e32 v60, v55, v147
	v_add_f32_e32 v35, v35, v60
	s_waitcnt vmcnt(32) lgkmcnt(0)
	v_mul_f32_e32 v60, v56, v150
	v_fmac_f32_e32 v60, v57, v149
	v_add_f32_e32 v35, v35, v60
	;; [unrolled: 18-line block ×3, first 2 shown]
	ds_read_b128 v[68:71], v1 offset:832
	s_waitcnt vmcnt(22)
	v_mul_f32_e32 v72, v66, v160
	v_fmac_f32_e32 v72, v67, v159
	v_add_f32_e32 v35, v35, v72
	ds_read_b128 v[72:75], v1 offset:848
	s_waitcnt vmcnt(20) lgkmcnt(1)
	v_mul_f32_e32 v76, v68, v162
	v_fmac_f32_e32 v76, v69, v161
	v_add_f32_e32 v35, v35, v76
	v_mul_f32_e32 v23, v23, v33
	v_fma_f32 v22, v22, v117, -v23
	v_mul_f32_e32 v23, v25, v32
	v_add_f32_e32 v22, 0, v22
	v_fma_f32 v23, v24, v116, -v23
	v_mul_f32_e32 v19, v19, v34
	v_add_f32_e32 v22, v22, v23
	v_fma_f32 v18, v18, v115, -v19
	v_mul_f32_e32 v19, v21, v31
	s_waitcnt vmcnt(18)
	v_mul_f32_e32 v76, v70, v164
	v_fmac_f32_e32 v76, v71, v163
	v_add_f32_e32 v35, v35, v76
	s_waitcnt vmcnt(16) lgkmcnt(0)
	v_mul_f32_e32 v76, v72, v166
	v_fmac_f32_e32 v76, v73, v165
	v_add_f32_e32 v35, v35, v76
	ds_read_b128 v[76:79], v1 offset:864
	s_waitcnt vmcnt(14)
	v_mul_f32_e32 v80, v74, v168
	v_fmac_f32_e32 v80, v75, v167
	v_add_f32_e32 v35, v35, v80
	ds_read_b128 v[80:83], v1 offset:880
	s_waitcnt vmcnt(12) lgkmcnt(1)
	v_mul_f32_e32 v84, v76, v170
	v_fmac_f32_e32 v84, v77, v169
	v_add_f32_e32 v35, v35, v84
	s_waitcnt vmcnt(10)
	v_mul_f32_e32 v84, v78, v172
	v_fmac_f32_e32 v84, v79, v171
	v_add_f32_e32 v35, v35, v84
	s_waitcnt vmcnt(8) lgkmcnt(0)
	v_mul_f32_e32 v84, v80, v174
	v_fmac_f32_e32 v84, v81, v173
	s_waitcnt vmcnt(6)
	v_mul_f32_e32 v88, v82, v176
	v_add_f32_e32 v35, v35, v84
	v_fmac_f32_e32 v88, v83, v175
	ds_read_b128 v[84:87], v1 offset:896
	v_add_f32_e32 v35, v35, v88
	ds_read_b128 v[88:91], v1 offset:912
	buffer_load_dword v97, off, s[0:3], 0 offset:452
	buffer_load_dword v96, off, s[0:3], 0 offset:448
	;; [unrolled: 1-line block ×16, first 2 shown]
	v_add_f32_e32 v18, v22, v18
	v_fma_f32 v19, v20, v121, -v19
	v_mul_f32_e32 v15, v15, v30
	v_add_f32_e32 v18, v18, v19
	v_fma_f32 v14, v14, v120, -v15
	v_mul_f32_e32 v15, v17, v28
	;; [unrolled: 3-line block ×8, first 2 shown]
	v_add_f32_e32 v2, v6, v2
	v_fma_f32 v3, v4, v134, -v3
	v_add_f32_e32 v2, v2, v3
	v_mul_f32_e32 v3, v37, v128
	v_fma_f32 v3, v36, v127, -v3
	v_add_f32_e32 v2, v2, v3
	v_mul_f32_e32 v3, v39, v130
	;; [unrolled: 3-line block ×24, first 2 shown]
	v_fma_f32 v3, v82, v175, -v3
	v_add_f32_e32 v2, v2, v3
	s_waitcnt vmcnt(20) lgkmcnt(1)
	v_mul_f32_e32 v3, v85, v178
	v_mul_f32_e32 v93, v84, v178
	v_fma_f32 v3, v84, v177, -v3
	v_fmac_f32_e32 v93, v85, v177
	v_add_f32_e32 v34, v2, v3
	s_waitcnt vmcnt(18)
	v_mul_f32_e32 v2, v87, v224
	s_waitcnt vmcnt(9)
	v_mov_b32_e32 v18, v105
	v_add_f32_e32 v35, v35, v93
	v_mul_f32_e32 v93, v86, v224
	v_fma_f32 v92, v86, v179, -v2
	s_waitcnt lgkmcnt(0)
	v_mul_f32_e32 v2, v89, v226
	v_pk_mul_f32 v[18:19], v[90:91], v[18:19] op_sel_hi:[1,0]
	v_fmac_f32_e32 v93, v87, v179
	v_mul_f32_e32 v95, v88, v226
	v_fma_f32 v94, v88, v225, -v2
	ds_read_b128 v[2:5], v1 offset:928
	ds_read_b128 v[6:9], v1 offset:944
	;; [unrolled: 1-line block ×3, first 2 shown]
	ds_read_b64 v[14:15], v1 offset:976
	s_waitcnt vmcnt(8)
	v_pk_fma_f32 v[20:21], v[90:91], v[104:105], v[18:19] op_sel:[0,0,1] op_sel_hi:[1,1,0] neg_lo:[0,0,1] neg_hi:[0,0,1]
	v_pk_fma_f32 v[18:19], v[90:91], v[104:105], v[18:19] op_sel:[0,0,1] op_sel_hi:[1,0,0]
	v_fmac_f32_e32 v95, v89, v225
	v_pk_add_f32 v[16:17], v[34:35], v[92:93]
	v_mov_b32_e32 v18, v101
	v_pk_add_f32 v[16:17], v[16:17], v[94:95]
	v_mov_b32_e32 v21, v19
	s_waitcnt lgkmcnt(3)
	v_pk_mul_f32 v[18:19], v[2:3], v[18:19] op_sel_hi:[1,0]
	v_pk_add_f32 v[16:17], v[16:17], v[20:21]
	v_pk_fma_f32 v[20:21], v[2:3], v[100:101], v[18:19] op_sel:[0,0,1] op_sel_hi:[1,1,0] neg_lo:[0,0,1] neg_hi:[0,0,1]
	v_pk_fma_f32 v[2:3], v[2:3], v[100:101], v[18:19] op_sel:[0,0,1] op_sel_hi:[1,0,0]
	v_mov_b32_e32 v21, v3
	v_pk_add_f32 v[2:3], v[16:17], v[20:21]
	v_mov_b32_e32 v16, v99
	v_pk_mul_f32 v[16:17], v[4:5], v[16:17] op_sel_hi:[1,0]
	v_pk_fma_f32 v[18:19], v[4:5], v[98:99], v[16:17] op_sel:[0,0,1] op_sel_hi:[1,1,0] neg_lo:[0,0,1] neg_hi:[0,0,1]
	v_pk_fma_f32 v[4:5], v[4:5], v[98:99], v[16:17] op_sel:[0,0,1] op_sel_hi:[1,0,0]
	v_mov_b32_e32 v4, v97
	v_mov_b32_e32 v19, v5
	s_waitcnt lgkmcnt(2)
	v_pk_mul_f32 v[4:5], v[6:7], v[4:5] op_sel_hi:[1,0]
	v_pk_fma_f32 v[16:17], v[6:7], v[96:97], v[4:5] op_sel:[0,0,1] op_sel_hi:[1,1,0] neg_lo:[0,0,1] neg_hi:[0,0,1]
	v_pk_fma_f32 v[4:5], v[6:7], v[96:97], v[4:5] op_sel:[0,0,1] op_sel_hi:[1,0,0]
	s_waitcnt vmcnt(1)
	v_mov_b32_e32 v4, v113
	v_mov_b32_e32 v17, v5
	v_pk_mul_f32 v[4:5], v[8:9], v[4:5] op_sel_hi:[1,0]
	s_waitcnt vmcnt(0)
	v_pk_fma_f32 v[6:7], v[8:9], v[112:113], v[4:5] op_sel:[0,0,1] op_sel_hi:[1,1,0] neg_lo:[0,0,1] neg_hi:[0,0,1]
	v_pk_fma_f32 v[4:5], v[8:9], v[112:113], v[4:5] op_sel:[0,0,1] op_sel_hi:[1,0,0]
	v_pk_add_f32 v[2:3], v[2:3], v[18:19]
	v_mov_b32_e32 v4, v111
	v_pk_add_f32 v[2:3], v[2:3], v[16:17]
	v_mov_b32_e32 v7, v5
	s_waitcnt lgkmcnt(1)
	v_pk_mul_f32 v[4:5], v[10:11], v[4:5] op_sel_hi:[1,0]
	v_pk_add_f32 v[2:3], v[2:3], v[6:7]
	v_pk_fma_f32 v[6:7], v[10:11], v[110:111], v[4:5] op_sel:[0,0,1] op_sel_hi:[1,1,0] neg_lo:[0,0,1] neg_hi:[0,0,1]
	v_pk_fma_f32 v[4:5], v[10:11], v[110:111], v[4:5] op_sel:[0,0,1] op_sel_hi:[1,0,0]
	v_mov_b32_e32 v4, v109
	v_mov_b32_e32 v7, v5
	v_pk_mul_f32 v[4:5], v[12:13], v[4:5] op_sel_hi:[1,0]
	v_pk_add_f32 v[2:3], v[2:3], v[6:7]
	v_pk_fma_f32 v[6:7], v[12:13], v[108:109], v[4:5] op_sel:[0,0,1] op_sel_hi:[1,1,0] neg_lo:[0,0,1] neg_hi:[0,0,1]
	v_pk_fma_f32 v[4:5], v[12:13], v[108:109], v[4:5] op_sel:[0,0,1] op_sel_hi:[1,0,0]
	v_mov_b32_e32 v4, v107
	v_mov_b32_e32 v7, v5
	s_waitcnt lgkmcnt(0)
	v_pk_mul_f32 v[4:5], v[14:15], v[4:5] op_sel_hi:[1,0]
	v_pk_add_f32 v[2:3], v[2:3], v[6:7]
	v_pk_fma_f32 v[6:7], v[14:15], v[106:107], v[4:5] op_sel:[0,0,1] op_sel_hi:[1,1,0] neg_lo:[0,0,1] neg_hi:[0,0,1]
	v_pk_fma_f32 v[4:5], v[14:15], v[106:107], v[4:5] op_sel:[0,0,1] op_sel_hi:[1,0,0]
	v_mov_b32_e32 v7, v5
	v_pk_add_f32 v[2:3], v[2:3], v[6:7]
	v_pk_add_f32 v[2:3], v[26:27], v[2:3] neg_lo:[0,1] neg_hi:[0,1]
	buffer_store_dword v3, off, s[0:3], 0 offset:108
	buffer_store_dword v2, off, s[0:3], 0 offset:104
	s_and_saveexec_b64 s[4:5], vcc
	s_cbranch_execz .LBB124_355
; %bb.354:
	buffer_load_dword v2, off, s[0:3], 0 offset:96
	buffer_load_dword v3, off, s[0:3], 0 offset:100
	s_waitcnt vmcnt(0)
	ds_write_b64 v199, v[2:3]
	buffer_store_dword v1, off, s[0:3], 0 offset:96
	buffer_store_dword v1, off, s[0:3], 0 offset:100
.LBB124_355:
	s_or_b64 exec, exec, s[4:5]
	s_waitcnt lgkmcnt(0)
	; wave barrier
	s_waitcnt lgkmcnt(0)
	buffer_load_dword v41, off, s[0:3], 0 offset:108
	buffer_load_dword v40, off, s[0:3], 0 offset:116
	;; [unrolled: 1-line block ×32, first 2 shown]
	ds_read2_b64 v[22:25], v1 offset0:75 offset1:76
	ds_read2_b64 v[18:21], v1 offset0:77 offset1:78
	;; [unrolled: 1-line block ×6, first 2 shown]
	buffer_load_dword v135, off, s[0:3], 0 offset:224
	buffer_load_dword v136, off, s[0:3], 0 offset:228
	;; [unrolled: 1-line block ×26, first 2 shown]
	v_cmp_lt_u32_e32 vcc, 11, v0
	s_waitcnt vmcnt(57) lgkmcnt(5)
	v_mul_f32_e32 v26, v22, v41
	s_waitcnt vmcnt(56)
	v_mul_f32_e32 v27, v24, v40
	s_waitcnt vmcnt(55) lgkmcnt(4)
	v_mul_f32_e32 v29, v20, v39
	s_waitcnt vmcnt(54) lgkmcnt(3)
	v_mul_f32_e32 v30, v14, v38
	s_waitcnt vmcnt(53)
	v_mul_f32_e32 v31, v16, v36
	s_waitcnt vmcnt(52)
	v_mul_f32_e32 v28, v18, v42
	s_waitcnt vmcnt(51) lgkmcnt(2)
	v_mul_f32_e32 v32, v10, v37
	s_waitcnt vmcnt(50)
	v_mul_f32_e32 v33, v12, v43
	s_waitcnt vmcnt(49) lgkmcnt(1)
	;; [unrolled: 4-line block ×3, first 2 shown]
	v_mul_f32_e32 v46, v2, v104
	s_waitcnt vmcnt(46)
	v_fmac_f32_e32 v28, v19, v116
	s_waitcnt vmcnt(45)
	v_fmac_f32_e32 v27, v25, v117
	;; [unrolled: 2-line block ×3, first 2 shown]
	v_add_f32_e32 v26, 0, v26
	v_add_f32_e32 v26, v26, v27
	;; [unrolled: 1-line block ×3, first 2 shown]
	s_waitcnt vmcnt(40)
	v_fmac_f32_e32 v29, v21, v122
	v_fmac_f32_e32 v30, v15, v121
	v_add_f32_e32 v26, v26, v29
	v_fmac_f32_e32 v31, v17, v120
	v_add_f32_e32 v26, v26, v30
	;; [unrolled: 2-line block ×3, first 2 shown]
	s_waitcnt vmcnt(36)
	v_fmac_f32_e32 v33, v13, v126
	v_add_f32_e32 v26, v26, v32
	v_fmac_f32_e32 v44, v7, v125
	v_add_f32_e32 v26, v26, v33
	;; [unrolled: 2-line block ×4, first 2 shown]
	s_waitcnt vmcnt(30)
	v_mul_f32_e32 v27, v4, v132
	v_add_f32_e32 v26, v26, v46
	s_waitcnt vmcnt(29)
	v_fmac_f32_e32 v27, v5, v133
	v_add_f32_e32 v44, v26, v27
	ds_read2_b64 v[26:29], v1 offset0:87 offset1:88
	buffer_load_dword v161, off, s[0:3], 0 offset:328
	buffer_load_dword v162, off, s[0:3], 0 offset:332
	ds_read2_b64 v[30:33], v1 offset0:89 offset1:90
	buffer_load_dword v163, off, s[0:3], 0 offset:336
	buffer_load_dword v164, off, s[0:3], 0 offset:340
	;; [unrolled: 1-line block ×14, first 2 shown]
	s_waitcnt vmcnt(44) lgkmcnt(1)
	v_mul_f32_e32 v45, v26, v134
	v_fmac_f32_e32 v45, v27, v131
	v_add_f32_e32 v44, v44, v45
	v_mul_f32_e32 v45, v28, v128
	v_fmac_f32_e32 v45, v29, v127
	v_add_f32_e32 v44, v44, v45
	s_waitcnt lgkmcnt(0)
	v_mul_f32_e32 v45, v30, v130
	v_fmac_f32_e32 v45, v31, v129
	v_add_f32_e32 v48, v44, v45
	buffer_load_dword v177, off, s[0:3], 0 offset:392
	buffer_load_dword v178, off, s[0:3], 0 offset:396
	ds_read2_b64 v[44:47], v1 offset0:91 offset1:92
	s_waitcnt vmcnt(42)
	v_mul_f32_e32 v49, v32, v136
	v_fmac_f32_e32 v49, v33, v135
	buffer_load_dword v179, off, s[0:3], 0 offset:400
	buffer_load_dword v224, off, s[0:3], 0 offset:404
	v_add_f32_e32 v52, v48, v49
	buffer_load_dword v225, off, s[0:3], 0 offset:408
	buffer_load_dword v226, off, s[0:3], 0 offset:412
	ds_read2_b64 v[48:51], v1 offset0:93 offset1:94
	s_waitcnt vmcnt(44) lgkmcnt(1)
	v_mul_f32_e32 v53, v44, v138
	v_fmac_f32_e32 v53, v45, v137
	v_add_f32_e32 v52, v52, v53
	s_waitcnt vmcnt(42)
	v_mul_f32_e32 v53, v46, v140
	v_fmac_f32_e32 v53, v47, v139
	v_add_f32_e32 v52, v52, v53
	s_waitcnt vmcnt(40) lgkmcnt(0)
	v_mul_f32_e32 v53, v48, v142
	v_fmac_f32_e32 v53, v49, v141
	buffer_load_dword v227, off, s[0:3], 0 offset:416
	buffer_load_dword v228, off, s[0:3], 0 offset:420
	v_add_f32_e32 v56, v52, v53
	ds_read2_b64 v[52:55], v1 offset0:95 offset1:96
	s_waitcnt vmcnt(40)
	v_mul_f32_e32 v57, v50, v144
	v_fmac_f32_e32 v57, v51, v143
	v_add_f32_e32 v60, v56, v57
	ds_read2_b64 v[56:59], v1 offset0:97 offset1:98
	s_waitcnt vmcnt(38) lgkmcnt(1)
	v_mul_f32_e32 v61, v52, v146
	v_fmac_f32_e32 v61, v53, v145
	v_add_f32_e32 v60, v60, v61
	s_waitcnt vmcnt(36)
	v_mul_f32_e32 v61, v54, v148
	v_fmac_f32_e32 v61, v55, v147
	v_add_f32_e32 v60, v60, v61
	s_waitcnt vmcnt(34) lgkmcnt(0)
	v_mul_f32_e32 v61, v56, v150
	v_fmac_f32_e32 v61, v57, v149
	v_add_f32_e32 v64, v60, v61
	ds_read2_b64 v[60:63], v1 offset0:99 offset1:100
	s_waitcnt vmcnt(32)
	v_mul_f32_e32 v65, v58, v152
	v_fmac_f32_e32 v65, v59, v151
	v_add_f32_e32 v68, v64, v65
	ds_read2_b64 v[64:67], v1 offset0:101 offset1:102
	s_waitcnt vmcnt(30) lgkmcnt(1)
	v_mul_f32_e32 v69, v60, v154
	v_fmac_f32_e32 v69, v61, v153
	v_add_f32_e32 v68, v68, v69
	s_waitcnt vmcnt(28)
	v_mul_f32_e32 v69, v62, v156
	v_fmac_f32_e32 v69, v63, v155
	v_add_f32_e32 v68, v68, v69
	s_waitcnt vmcnt(26) lgkmcnt(0)
	v_mul_f32_e32 v69, v64, v158
	v_fmac_f32_e32 v69, v65, v157
	v_add_f32_e32 v72, v68, v69
	ds_read2_b64 v[68:71], v1 offset0:103 offset1:104
	s_waitcnt vmcnt(24)
	v_mul_f32_e32 v73, v66, v160
	v_fmac_f32_e32 v73, v67, v159
	v_add_f32_e32 v76, v72, v73
	ds_read2_b64 v[72:75], v1 offset0:105 offset1:106
	v_mul_f32_e32 v23, v23, v41
	v_fma_f32 v22, v22, v118, -v23
	v_mul_f32_e32 v23, v25, v40
	v_add_f32_e32 v22, 0, v22
	v_fma_f32 v23, v24, v117, -v23
	v_mul_f32_e32 v19, v19, v42
	v_add_f32_e32 v22, v22, v23
	;; [unrolled: 3-line block ×3, first 2 shown]
	v_fma_f32 v19, v20, v122, -v19
	s_waitcnt vmcnt(22) lgkmcnt(1)
	v_mul_f32_e32 v77, v68, v162
	v_fmac_f32_e32 v77, v69, v161
	v_add_f32_e32 v76, v76, v77
	s_waitcnt vmcnt(20)
	v_mul_f32_e32 v77, v70, v164
	v_fmac_f32_e32 v77, v71, v163
	v_add_f32_e32 v76, v76, v77
	s_waitcnt vmcnt(18) lgkmcnt(0)
	v_mul_f32_e32 v77, v72, v166
	v_fmac_f32_e32 v77, v73, v165
	v_add_f32_e32 v80, v76, v77
	ds_read2_b64 v[76:79], v1 offset0:107 offset1:108
	s_waitcnt vmcnt(16)
	v_mul_f32_e32 v81, v74, v168
	v_fmac_f32_e32 v81, v75, v167
	v_add_f32_e32 v84, v80, v81
	ds_read2_b64 v[80:83], v1 offset0:109 offset1:110
	s_waitcnt vmcnt(14) lgkmcnt(1)
	v_mul_f32_e32 v85, v76, v170
	v_fmac_f32_e32 v85, v77, v169
	v_add_f32_e32 v84, v84, v85
	s_waitcnt vmcnt(12)
	v_mul_f32_e32 v85, v78, v172
	v_fmac_f32_e32 v85, v79, v171
	v_add_f32_e32 v84, v84, v85
	s_waitcnt vmcnt(10) lgkmcnt(0)
	v_mul_f32_e32 v85, v80, v174
	v_fmac_f32_e32 v85, v81, v173
	s_waitcnt vmcnt(8)
	v_mul_f32_e32 v89, v82, v176
	v_add_f32_e32 v88, v84, v85
	v_fmac_f32_e32 v89, v83, v175
	ds_read2_b64 v[84:87], v1 offset0:111 offset1:112
	v_add_f32_e32 v93, v88, v89
	ds_read2_b64 v[88:91], v1 offset0:113 offset1:114
	buffer_load_dword v97, off, s[0:3], 0 offset:444
	buffer_load_dword v96, off, s[0:3], 0 offset:440
	;; [unrolled: 1-line block ×16, first 2 shown]
	v_mul_f32_e32 v15, v15, v38
	v_add_f32_e32 v18, v18, v19
	v_fma_f32 v14, v14, v121, -v15
	v_mul_f32_e32 v15, v17, v36
	v_add_f32_e32 v14, v18, v14
	v_fma_f32 v15, v16, v120, -v15
	;; [unrolled: 3-line block ×8, first 2 shown]
	v_add_f32_e32 v2, v2, v3
	v_mul_f32_e32 v3, v27, v134
	v_fma_f32 v3, v26, v131, -v3
	v_add_f32_e32 v2, v2, v3
	v_mul_f32_e32 v3, v29, v128
	v_fma_f32 v3, v28, v127, -v3
	v_add_f32_e32 v2, v2, v3
	v_mul_f32_e32 v3, v31, v130
	v_fma_f32 v3, v30, v129, -v3
	v_add_f32_e32 v2, v2, v3
	v_mul_f32_e32 v3, v33, v136
	v_fma_f32 v3, v32, v135, -v3
	v_add_f32_e32 v2, v2, v3
	v_mul_f32_e32 v3, v45, v138
	v_fma_f32 v3, v44, v137, -v3
	v_add_f32_e32 v2, v2, v3
	v_mul_f32_e32 v3, v47, v140
	v_fma_f32 v3, v46, v139, -v3
	v_add_f32_e32 v2, v2, v3
	v_mul_f32_e32 v3, v49, v142
	v_fma_f32 v3, v48, v141, -v3
	v_add_f32_e32 v2, v2, v3
	v_mul_f32_e32 v3, v51, v144
	v_fma_f32 v3, v50, v143, -v3
	v_add_f32_e32 v2, v2, v3
	v_mul_f32_e32 v3, v53, v146
	v_fma_f32 v3, v52, v145, -v3
	v_add_f32_e32 v2, v2, v3
	v_mul_f32_e32 v3, v55, v148
	v_fma_f32 v3, v54, v147, -v3
	v_add_f32_e32 v2, v2, v3
	v_mul_f32_e32 v3, v57, v150
	v_fma_f32 v3, v56, v149, -v3
	v_add_f32_e32 v2, v2, v3
	v_mul_f32_e32 v3, v59, v152
	v_fma_f32 v3, v58, v151, -v3
	v_add_f32_e32 v2, v2, v3
	v_mul_f32_e32 v3, v61, v154
	v_fma_f32 v3, v60, v153, -v3
	v_add_f32_e32 v2, v2, v3
	v_mul_f32_e32 v3, v63, v156
	v_fma_f32 v3, v62, v155, -v3
	v_add_f32_e32 v2, v2, v3
	v_mul_f32_e32 v3, v65, v158
	v_fma_f32 v3, v64, v157, -v3
	v_add_f32_e32 v2, v2, v3
	v_mul_f32_e32 v3, v67, v160
	v_fma_f32 v3, v66, v159, -v3
	v_add_f32_e32 v2, v2, v3
	v_mul_f32_e32 v3, v69, v162
	v_fma_f32 v3, v68, v161, -v3
	v_add_f32_e32 v2, v2, v3
	v_mul_f32_e32 v3, v71, v164
	v_fma_f32 v3, v70, v163, -v3
	v_add_f32_e32 v2, v2, v3
	v_mul_f32_e32 v3, v73, v166
	v_fma_f32 v3, v72, v165, -v3
	v_add_f32_e32 v2, v2, v3
	v_mul_f32_e32 v3, v75, v168
	v_fma_f32 v3, v74, v167, -v3
	v_add_f32_e32 v2, v2, v3
	v_mul_f32_e32 v3, v77, v170
	v_fma_f32 v3, v76, v169, -v3
	v_add_f32_e32 v2, v2, v3
	v_mul_f32_e32 v3, v79, v172
	v_fma_f32 v3, v78, v171, -v3
	v_add_f32_e32 v2, v2, v3
	v_mul_f32_e32 v3, v81, v174
	v_fma_f32 v3, v80, v173, -v3
	v_add_f32_e32 v2, v2, v3
	v_mul_f32_e32 v3, v83, v176
	v_fma_f32 v3, v82, v175, -v3
	v_add_f32_e32 v2, v2, v3
	s_waitcnt vmcnt(22) lgkmcnt(1)
	v_mul_f32_e32 v3, v85, v178
	v_fma_f32 v3, v84, v177, -v3
	v_add_f32_e32 v2, v2, v3
	s_waitcnt vmcnt(20)
	v_mul_f32_e32 v3, v87, v224
	v_mul_f32_e32 v95, v84, v178
	v_fma_f32 v3, v86, v179, -v3
	v_fmac_f32_e32 v95, v85, v177
	v_add_f32_e32 v92, v2, v3
	s_waitcnt vmcnt(18) lgkmcnt(0)
	v_mul_f32_e32 v2, v89, v226
	v_add_f32_e32 v93, v93, v95
	v_mul_f32_e32 v95, v86, v224
	v_fma_f32 v94, v88, v225, -v2
	s_waitcnt vmcnt(16)
	v_mul_f32_e32 v2, v91, v228
	v_fmac_f32_e32 v95, v87, v179
	v_fma_f32 v104, v90, v227, -v2
	ds_read2_b64 v[2:5], v1 offset0:115 offset1:116
	ds_read2_b64 v[6:9], v1 offset0:117 offset1:118
	;; [unrolled: 1-line block ×4, first 2 shown]
	v_add_f32_e32 v93, v93, v95
	v_mul_f32_e32 v95, v88, v226
	s_waitcnt vmcnt(11)
	v_mov_b32_e32 v20, v101
	v_fmac_f32_e32 v95, v89, v225
	v_mul_f32_e32 v105, v90, v228
	s_waitcnt lgkmcnt(3)
	v_pk_mul_f32 v[20:21], v[2:3], v[20:21] op_sel_hi:[1,0]
	v_fmac_f32_e32 v105, v91, v227
	v_pk_add_f32 v[18:19], v[92:93], v[94:95]
	s_waitcnt vmcnt(10)
	v_pk_fma_f32 v[22:23], v[2:3], v[100:101], v[20:21] op_sel:[0,0,1] op_sel_hi:[1,1,0] neg_lo:[0,0,1] neg_hi:[0,0,1]
	v_pk_fma_f32 v[2:3], v[2:3], v[100:101], v[20:21] op_sel:[0,0,1] op_sel_hi:[1,0,0]
	v_pk_add_f32 v[18:19], v[18:19], v[104:105]
	v_mov_b32_e32 v23, v3
	v_pk_add_f32 v[2:3], v[18:19], v[22:23]
	v_mov_b32_e32 v18, v99
	v_pk_mul_f32 v[18:19], v[4:5], v[18:19] op_sel_hi:[1,0]
	v_pk_fma_f32 v[20:21], v[4:5], v[98:99], v[18:19] op_sel:[0,0,1] op_sel_hi:[1,1,0] neg_lo:[0,0,1] neg_hi:[0,0,1]
	v_pk_fma_f32 v[4:5], v[4:5], v[98:99], v[18:19] op_sel:[0,0,1] op_sel_hi:[1,0,0]
	v_mov_b32_e32 v4, v97
	v_mov_b32_e32 v21, v5
	s_waitcnt lgkmcnt(2)
	v_pk_mul_f32 v[4:5], v[6:7], v[4:5] op_sel_hi:[1,0]
	v_pk_fma_f32 v[18:19], v[6:7], v[96:97], v[4:5] op_sel:[0,0,1] op_sel_hi:[1,1,0] neg_lo:[0,0,1] neg_hi:[0,0,1]
	v_pk_fma_f32 v[4:5], v[6:7], v[96:97], v[4:5] op_sel:[0,0,1] op_sel_hi:[1,0,0]
	s_waitcnt vmcnt(3)
	v_mov_b32_e32 v4, v113
	v_mov_b32_e32 v19, v5
	v_pk_mul_f32 v[4:5], v[8:9], v[4:5] op_sel_hi:[1,0]
	s_waitcnt vmcnt(2)
	v_pk_fma_f32 v[6:7], v[8:9], v[112:113], v[4:5] op_sel:[0,0,1] op_sel_hi:[1,1,0] neg_lo:[0,0,1] neg_hi:[0,0,1]
	v_pk_fma_f32 v[4:5], v[8:9], v[112:113], v[4:5] op_sel:[0,0,1] op_sel_hi:[1,0,0]
	v_pk_add_f32 v[2:3], v[2:3], v[20:21]
	v_mov_b32_e32 v4, v111
	v_pk_add_f32 v[2:3], v[2:3], v[18:19]
	v_mov_b32_e32 v7, v5
	s_waitcnt lgkmcnt(1)
	v_pk_mul_f32 v[4:5], v[10:11], v[4:5] op_sel_hi:[1,0]
	v_pk_add_f32 v[2:3], v[2:3], v[6:7]
	v_pk_fma_f32 v[6:7], v[10:11], v[110:111], v[4:5] op_sel:[0,0,1] op_sel_hi:[1,1,0] neg_lo:[0,0,1] neg_hi:[0,0,1]
	v_pk_fma_f32 v[4:5], v[10:11], v[110:111], v[4:5] op_sel:[0,0,1] op_sel_hi:[1,0,0]
	v_mov_b32_e32 v4, v109
	v_mov_b32_e32 v7, v5
	v_pk_mul_f32 v[4:5], v[12:13], v[4:5] op_sel_hi:[1,0]
	v_pk_add_f32 v[2:3], v[2:3], v[6:7]
	v_pk_fma_f32 v[6:7], v[12:13], v[108:109], v[4:5] op_sel:[0,0,1] op_sel_hi:[1,1,0] neg_lo:[0,0,1] neg_hi:[0,0,1]
	v_pk_fma_f32 v[4:5], v[12:13], v[108:109], v[4:5] op_sel:[0,0,1] op_sel_hi:[1,0,0]
	v_mov_b32_e32 v4, v107
	v_mov_b32_e32 v7, v5
	s_waitcnt lgkmcnt(0)
	v_pk_mul_f32 v[4:5], v[14:15], v[4:5] op_sel_hi:[1,0]
	v_pk_add_f32 v[2:3], v[2:3], v[6:7]
	v_pk_fma_f32 v[6:7], v[14:15], v[106:107], v[4:5] op_sel:[0,0,1] op_sel_hi:[1,1,0] neg_lo:[0,0,1] neg_hi:[0,0,1]
	v_pk_fma_f32 v[4:5], v[14:15], v[106:107], v[4:5] op_sel:[0,0,1] op_sel_hi:[1,0,0]
	s_waitcnt vmcnt(1)
	v_mov_b32_e32 v4, v115
	v_mov_b32_e32 v7, v5
	v_pk_mul_f32 v[4:5], v[16:17], v[4:5] op_sel_hi:[1,0]
	v_pk_add_f32 v[2:3], v[2:3], v[6:7]
	s_waitcnt vmcnt(0)
	v_pk_fma_f32 v[6:7], v[16:17], v[114:115], v[4:5] op_sel:[0,0,1] op_sel_hi:[1,1,0] neg_lo:[0,0,1] neg_hi:[0,0,1]
	v_pk_fma_f32 v[4:5], v[16:17], v[114:115], v[4:5] op_sel:[0,0,1] op_sel_hi:[1,0,0]
	v_mov_b32_e32 v7, v5
	v_pk_add_f32 v[2:3], v[2:3], v[6:7]
	v_pk_add_f32 v[2:3], v[34:35], v[2:3] neg_lo:[0,1] neg_hi:[0,1]
	buffer_store_dword v3, off, s[0:3], 0 offset:100
	buffer_store_dword v2, off, s[0:3], 0 offset:96
	s_and_saveexec_b64 s[4:5], vcc
	s_cbranch_execz .LBB124_357
; %bb.356:
	buffer_load_dword v2, off, s[0:3], 0 offset:88
	buffer_load_dword v3, off, s[0:3], 0 offset:92
	v_mov_b32_e32 v1, 0
	buffer_store_dword v1, off, s[0:3], 0 offset:88
	buffer_store_dword v1, off, s[0:3], 0 offset:92
	s_waitcnt vmcnt(2)
	ds_write_b64 v199, v[2:3]
.LBB124_357:
	s_or_b64 exec, exec, s[4:5]
	v_mov_b32_e32 v232, 0
	s_waitcnt lgkmcnt(0)
	; wave barrier
	s_waitcnt lgkmcnt(0)
	ds_read_b128 v[2:5], v232 offset:592
	buffer_load_dword v86, off, s[0:3], 0 offset:88
	buffer_load_dword v87, off, s[0:3], 0 offset:92
	;; [unrolled: 1-line block ×16, first 2 shown]
	v_cmp_lt_u32_e32 vcc, 10, v0
	s_waitcnt vmcnt(12) lgkmcnt(0)
	v_mul_f32_e32 v6, v2, v94
	v_fmac_f32_e32 v6, v3, v1
	s_waitcnt vmcnt(10)
	v_mul_f32_e32 v7, v4, v105
	v_add_f32_e32 v6, 0, v6
	v_fmac_f32_e32 v7, v5, v88
	v_add_f32_e32 v10, v6, v7
	ds_read_b128 v[6:9], v232 offset:608
	v_mul_f32_e32 v3, v3, v94
	v_fma_f32 v1, v2, v1, -v3
	v_mul_f32_e32 v2, v5, v105
	v_add_f32_e32 v1, 0, v1
	s_waitcnt vmcnt(8) lgkmcnt(0)
	v_mul_f32_e32 v11, v6, v107
	v_fmac_f32_e32 v11, v7, v90
	v_add_f32_e32 v10, v10, v11
	s_waitcnt vmcnt(6)
	v_mul_f32_e32 v11, v8, v109
	v_fmac_f32_e32 v11, v9, v104
	v_add_f32_e32 v14, v10, v11
	ds_read_b128 v[10:13], v232 offset:624
	v_fma_f32 v2, v4, v88, -v2
	v_add_f32_e32 v1, v1, v2
	v_mul_f32_e32 v2, v7, v107
	v_fma_f32 v2, v6, v90, -v2
	s_waitcnt vmcnt(4) lgkmcnt(0)
	v_mul_f32_e32 v15, v10, v111
	v_fmac_f32_e32 v15, v11, v106
	v_add_f32_e32 v14, v14, v15
	s_waitcnt vmcnt(2)
	v_mul_f32_e32 v15, v12, v112
	v_fmac_f32_e32 v15, v13, v108
	v_add_f32_e32 v18, v14, v15
	ds_read_b128 v[14:17], v232 offset:640
	buffer_load_dword v114, off, s[0:3], 0 offset:152
	buffer_load_dword v115, off, s[0:3], 0 offset:156
	v_add_f32_e32 v1, v1, v2
	v_mul_f32_e32 v2, v9, v109
	v_fma_f32 v2, v8, v104, -v2
	s_waitcnt vmcnt(2) lgkmcnt(0)
	v_mul_f32_e32 v19, v14, v113
	v_fmac_f32_e32 v19, v15, v110
	v_add_f32_e32 v18, v18, v19
	v_add_f32_e32 v1, v1, v2
	v_mul_f32_e32 v2, v11, v111
	v_fma_f32 v2, v10, v106, -v2
	v_add_f32_e32 v1, v1, v2
	v_mul_f32_e32 v2, v13, v112
	v_fma_f32 v2, v12, v108, -v2
	;; [unrolled: 3-line block ×3, first 2 shown]
	v_add_f32_e32 v1, v1, v2
	s_waitcnt vmcnt(0)
	v_mul_f32_e32 v19, v16, v115
	v_fmac_f32_e32 v19, v17, v114
	v_add_f32_e32 v22, v18, v19
	ds_read_b128 v[18:21], v232 offset:656
	buffer_load_dword v116, off, s[0:3], 0 offset:160
	buffer_load_dword v117, off, s[0:3], 0 offset:164
	;; [unrolled: 1-line block ×4, first 2 shown]
	v_mul_f32_e32 v2, v17, v115
	v_fma_f32 v2, v16, v114, -v2
	v_add_f32_e32 v1, v1, v2
	s_waitcnt vmcnt(2) lgkmcnt(0)
	v_mul_f32_e32 v23, v18, v117
	v_fmac_f32_e32 v23, v19, v116
	v_add_f32_e32 v22, v22, v23
	s_waitcnt vmcnt(0)
	v_mul_f32_e32 v23, v20, v119
	v_fmac_f32_e32 v23, v21, v118
	v_add_f32_e32 v26, v22, v23
	ds_read_b128 v[22:25], v232 offset:672
	buffer_load_dword v120, off, s[0:3], 0 offset:176
	buffer_load_dword v121, off, s[0:3], 0 offset:180
	;; [unrolled: 1-line block ×4, first 2 shown]
	v_mul_f32_e32 v2, v19, v117
	v_fma_f32 v2, v18, v116, -v2
	v_add_f32_e32 v1, v1, v2
	v_mul_f32_e32 v2, v21, v119
	v_fma_f32 v2, v20, v118, -v2
	v_add_f32_e32 v1, v1, v2
	s_waitcnt vmcnt(2) lgkmcnt(0)
	v_mul_f32_e32 v27, v22, v121
	v_fmac_f32_e32 v27, v23, v120
	v_add_f32_e32 v26, v26, v27
	s_waitcnt vmcnt(0)
	v_mul_f32_e32 v27, v24, v123
	v_fmac_f32_e32 v27, v25, v122
	v_add_f32_e32 v30, v26, v27
	ds_read_b128 v[26:29], v232 offset:688
	buffer_load_dword v124, off, s[0:3], 0 offset:192
	buffer_load_dword v125, off, s[0:3], 0 offset:196
	;; [unrolled: 1-line block ×4, first 2 shown]
	v_mul_f32_e32 v2, v23, v121
	v_fma_f32 v2, v22, v120, -v2
	v_add_f32_e32 v1, v1, v2
	v_mul_f32_e32 v2, v25, v123
	v_fma_f32 v2, v24, v122, -v2
	v_add_f32_e32 v1, v1, v2
	s_waitcnt vmcnt(2) lgkmcnt(0)
	v_mul_f32_e32 v31, v26, v125
	v_fmac_f32_e32 v31, v27, v124
	v_add_f32_e32 v30, v30, v31
	s_waitcnt vmcnt(0)
	v_mul_f32_e32 v31, v28, v127
	v_fmac_f32_e32 v31, v29, v126
	v_add_f32_e32 v34, v30, v31
	ds_read_b128 v[30:33], v232 offset:704
	buffer_load_dword v128, off, s[0:3], 0 offset:208
	buffer_load_dword v129, off, s[0:3], 0 offset:212
	buffer_load_dword v130, off, s[0:3], 0 offset:216
	buffer_load_dword v131, off, s[0:3], 0 offset:220
	ds_read_b128 v[38:41], v232 offset:720
	buffer_load_dword v132, off, s[0:3], 0 offset:224
	buffer_load_dword v133, off, s[0:3], 0 offset:228
	buffer_load_dword v134, off, s[0:3], 0 offset:232
	buffer_load_dword v135, off, s[0:3], 0 offset:236
	ds_read_b128 v[42:45], v232 offset:736
	buffer_load_dword v136, off, s[0:3], 0 offset:240
	buffer_load_dword v137, off, s[0:3], 0 offset:244
	buffer_load_dword v138, off, s[0:3], 0 offset:248
	buffer_load_dword v139, off, s[0:3], 0 offset:252
	ds_read_b128 v[46:49], v232 offset:752
	buffer_load_dword v140, off, s[0:3], 0 offset:256
	buffer_load_dword v141, off, s[0:3], 0 offset:260
	buffer_load_dword v142, off, s[0:3], 0 offset:264
	buffer_load_dword v143, off, s[0:3], 0 offset:268
	ds_read_b128 v[50:53], v232 offset:768
	buffer_load_dword v144, off, s[0:3], 0 offset:272
	buffer_load_dword v145, off, s[0:3], 0 offset:276
	buffer_load_dword v146, off, s[0:3], 0 offset:280
	buffer_load_dword v147, off, s[0:3], 0 offset:284
	ds_read_b128 v[54:57], v232 offset:784
	buffer_load_dword v148, off, s[0:3], 0 offset:288
	buffer_load_dword v149, off, s[0:3], 0 offset:292
	buffer_load_dword v150, off, s[0:3], 0 offset:296
	buffer_load_dword v151, off, s[0:3], 0 offset:300
	ds_read_b128 v[58:61], v232 offset:800
	buffer_load_dword v152, off, s[0:3], 0 offset:304
	buffer_load_dword v153, off, s[0:3], 0 offset:308
	buffer_load_dword v154, off, s[0:3], 0 offset:312
	buffer_load_dword v155, off, s[0:3], 0 offset:316
	ds_read_b128 v[62:65], v232 offset:816
	buffer_load_dword v156, off, s[0:3], 0 offset:320
	buffer_load_dword v157, off, s[0:3], 0 offset:324
	buffer_load_dword v158, off, s[0:3], 0 offset:328
	buffer_load_dword v159, off, s[0:3], 0 offset:332
	ds_read_b128 v[66:69], v232 offset:832
	buffer_load_dword v160, off, s[0:3], 0 offset:336
	buffer_load_dword v161, off, s[0:3], 0 offset:340
	buffer_load_dword v162, off, s[0:3], 0 offset:344
	buffer_load_dword v163, off, s[0:3], 0 offset:348
	ds_read_b128 v[70:73], v232 offset:848
	buffer_load_dword v164, off, s[0:3], 0 offset:352
	buffer_load_dword v165, off, s[0:3], 0 offset:356
	buffer_load_dword v166, off, s[0:3], 0 offset:360
	buffer_load_dword v167, off, s[0:3], 0 offset:364
	ds_read_b128 v[74:77], v232 offset:864
	buffer_load_dword v168, off, s[0:3], 0 offset:368
	buffer_load_dword v169, off, s[0:3], 0 offset:372
	buffer_load_dword v170, off, s[0:3], 0 offset:376
	buffer_load_dword v171, off, s[0:3], 0 offset:380
	ds_read_b128 v[78:81], v232 offset:880
	buffer_load_dword v172, off, s[0:3], 0 offset:384
	buffer_load_dword v173, off, s[0:3], 0 offset:388
	buffer_load_dword v174, off, s[0:3], 0 offset:392
	buffer_load_dword v175, off, s[0:3], 0 offset:396
	ds_read_b128 v[82:85], v232 offset:896
	buffer_load_dword v176, off, s[0:3], 0 offset:400
	buffer_load_dword v177, off, s[0:3], 0 offset:404
	buffer_load_dword v178, off, s[0:3], 0 offset:408
	buffer_load_dword v179, off, s[0:3], 0 offset:412
	v_mul_f32_e32 v2, v27, v125
	v_fma_f32 v2, v26, v124, -v2
	v_add_f32_e32 v1, v1, v2
	v_mul_f32_e32 v2, v29, v127
	v_fma_f32 v2, v28, v126, -v2
	v_add_f32_e32 v1, v1, v2
	s_waitcnt vmcnt(50) lgkmcnt(12)
	v_mul_f32_e32 v35, v30, v129
	v_fmac_f32_e32 v35, v31, v128
	v_add_f32_e32 v34, v34, v35
	s_waitcnt vmcnt(48)
	v_mul_f32_e32 v35, v32, v131
	v_fmac_f32_e32 v35, v33, v130
	v_add_f32_e32 v34, v34, v35
	s_waitcnt vmcnt(46) lgkmcnt(11)
	v_mul_f32_e32 v35, v38, v133
	v_fmac_f32_e32 v35, v39, v132
	v_add_f32_e32 v34, v34, v35
	s_waitcnt vmcnt(44)
	v_mul_f32_e32 v35, v40, v135
	v_fmac_f32_e32 v35, v41, v134
	;; [unrolled: 8-line block ×12, first 2 shown]
	v_add_f32_e32 v34, v34, v35
	s_waitcnt vmcnt(2) lgkmcnt(0)
	v_mul_f32_e32 v35, v82, v177
	v_fmac_f32_e32 v35, v83, v176
	v_add_f32_e32 v89, v34, v35
	ds_read_b128 v[34:37], v232 offset:912
	buffer_load_dword v233, off, s[0:3], 0 offset:416
	buffer_load_dword v234, off, s[0:3], 0 offset:420
	;; [unrolled: 1-line block ×18, first 2 shown]
	v_mul_f32_e32 v2, v31, v129
	v_fma_f32 v2, v30, v128, -v2
	v_add_f32_e32 v1, v1, v2
	v_mul_f32_e32 v2, v33, v131
	v_fma_f32 v2, v32, v130, -v2
	v_add_f32_e32 v1, v1, v2
	;; [unrolled: 3-line block ×24, first 2 shown]
	v_mul_f32_e32 v2, v83, v177
	v_fma_f32 v2, v82, v176, -v2
	s_waitcnt vmcnt(15)
	v_mov_b32_e32 v18, v93
	v_mul_f32_e32 v91, v84, v179
	v_add_f32_e32 v88, v1, v2
	v_mul_f32_e32 v1, v85, v179
	s_waitcnt lgkmcnt(0)
	v_pk_mul_f32 v[18:19], v[36:37], v[18:19] op_sel_hi:[1,0]
	v_fmac_f32_e32 v91, v85, v178
	v_mul_f32_e32 v95, v34, v234
	v_fma_f32 v90, v84, v178, -v1
	v_mul_f32_e32 v1, v35, v234
	ds_read_b128 v[2:5], v232 offset:928
	ds_read_b128 v[6:9], v232 offset:944
	;; [unrolled: 1-line block ×3, first 2 shown]
	ds_read_b64 v[14:15], v232 offset:976
	s_waitcnt vmcnt(14)
	v_pk_fma_f32 v[20:21], v[36:37], v[92:93], v[18:19] op_sel:[0,0,1] op_sel_hi:[1,1,0] neg_lo:[0,0,1] neg_hi:[0,0,1]
	v_pk_fma_f32 v[18:19], v[36:37], v[92:93], v[18:19] op_sel:[0,0,1] op_sel_hi:[1,0,0]
	v_fmac_f32_e32 v95, v35, v233
	v_fma_f32 v94, v34, v233, -v1
	v_pk_add_f32 v[16:17], v[88:89], v[90:91]
	s_waitcnt vmcnt(13)
	v_mov_b32_e32 v18, v231
	v_pk_add_f32 v[16:17], v[16:17], v[94:95]
	v_mov_b32_e32 v21, v19
	s_waitcnt lgkmcnt(3)
	v_pk_mul_f32 v[18:19], v[2:3], v[18:19] op_sel_hi:[1,0]
	v_pk_add_f32 v[16:17], v[16:17], v[20:21]
	s_waitcnt vmcnt(12)
	v_pk_fma_f32 v[20:21], v[2:3], v[230:231], v[18:19] op_sel:[0,0,1] op_sel_hi:[1,1,0] neg_lo:[0,0,1] neg_hi:[0,0,1]
	v_pk_fma_f32 v[2:3], v[2:3], v[230:231], v[18:19] op_sel:[0,0,1] op_sel_hi:[1,0,0]
	v_mov_b32_e32 v21, v3
	v_pk_add_f32 v[2:3], v[16:17], v[20:21]
	s_waitcnt vmcnt(11)
	v_mov_b32_e32 v16, v229
	v_pk_mul_f32 v[16:17], v[4:5], v[16:17] op_sel_hi:[1,0]
	s_waitcnt vmcnt(10)
	v_pk_fma_f32 v[18:19], v[4:5], v[228:229], v[16:17] op_sel:[0,0,1] op_sel_hi:[1,1,0] neg_lo:[0,0,1] neg_hi:[0,0,1]
	v_pk_fma_f32 v[4:5], v[4:5], v[228:229], v[16:17] op_sel:[0,0,1] op_sel_hi:[1,0,0]
	s_waitcnt vmcnt(9)
	v_mov_b32_e32 v4, v227
	v_mov_b32_e32 v19, v5
	s_waitcnt lgkmcnt(2)
	v_pk_mul_f32 v[4:5], v[6:7], v[4:5] op_sel_hi:[1,0]
	s_waitcnt vmcnt(8)
	v_pk_fma_f32 v[16:17], v[6:7], v[226:227], v[4:5] op_sel:[0,0,1] op_sel_hi:[1,1,0] neg_lo:[0,0,1] neg_hi:[0,0,1]
	v_pk_fma_f32 v[4:5], v[6:7], v[226:227], v[4:5] op_sel:[0,0,1] op_sel_hi:[1,0,0]
	s_waitcnt vmcnt(7)
	v_mov_b32_e32 v4, v225
	v_mov_b32_e32 v17, v5
	v_pk_mul_f32 v[4:5], v[8:9], v[4:5] op_sel_hi:[1,0]
	s_waitcnt vmcnt(6)
	v_pk_fma_f32 v[6:7], v[8:9], v[224:225], v[4:5] op_sel:[0,0,1] op_sel_hi:[1,1,0] neg_lo:[0,0,1] neg_hi:[0,0,1]
	v_pk_fma_f32 v[4:5], v[8:9], v[224:225], v[4:5] op_sel:[0,0,1] op_sel_hi:[1,0,0]
	v_pk_add_f32 v[2:3], v[2:3], v[18:19]
	s_waitcnt vmcnt(5)
	v_mov_b32_e32 v4, v101
	v_pk_add_f32 v[2:3], v[2:3], v[16:17]
	v_mov_b32_e32 v7, v5
	s_waitcnt lgkmcnt(1)
	v_pk_mul_f32 v[4:5], v[10:11], v[4:5] op_sel_hi:[1,0]
	v_pk_add_f32 v[2:3], v[2:3], v[6:7]
	s_waitcnt vmcnt(4)
	v_pk_fma_f32 v[6:7], v[10:11], v[100:101], v[4:5] op_sel:[0,0,1] op_sel_hi:[1,1,0] neg_lo:[0,0,1] neg_hi:[0,0,1]
	v_pk_fma_f32 v[4:5], v[10:11], v[100:101], v[4:5] op_sel:[0,0,1] op_sel_hi:[1,0,0]
	s_waitcnt vmcnt(3)
	v_mov_b32_e32 v4, v99
	v_mov_b32_e32 v7, v5
	v_pk_mul_f32 v[4:5], v[12:13], v[4:5] op_sel_hi:[1,0]
	v_pk_add_f32 v[2:3], v[2:3], v[6:7]
	s_waitcnt vmcnt(2)
	v_pk_fma_f32 v[6:7], v[12:13], v[98:99], v[4:5] op_sel:[0,0,1] op_sel_hi:[1,1,0] neg_lo:[0,0,1] neg_hi:[0,0,1]
	v_pk_fma_f32 v[4:5], v[12:13], v[98:99], v[4:5] op_sel:[0,0,1] op_sel_hi:[1,0,0]
	s_waitcnt vmcnt(1)
	v_mov_b32_e32 v4, v97
	v_mov_b32_e32 v7, v5
	s_waitcnt lgkmcnt(0)
	v_pk_mul_f32 v[4:5], v[14:15], v[4:5] op_sel_hi:[1,0]
	v_pk_add_f32 v[2:3], v[2:3], v[6:7]
	s_waitcnt vmcnt(0)
	v_pk_fma_f32 v[6:7], v[14:15], v[96:97], v[4:5] op_sel:[0,0,1] op_sel_hi:[1,1,0] neg_lo:[0,0,1] neg_hi:[0,0,1]
	v_pk_fma_f32 v[4:5], v[14:15], v[96:97], v[4:5] op_sel:[0,0,1] op_sel_hi:[1,0,0]
	v_mov_b32_e32 v7, v5
	v_pk_add_f32 v[2:3], v[2:3], v[6:7]
	v_pk_add_f32 v[2:3], v[86:87], v[2:3] neg_lo:[0,1] neg_hi:[0,1]
	buffer_store_dword v3, off, s[0:3], 0 offset:92
	buffer_store_dword v2, off, s[0:3], 0 offset:88
	s_and_saveexec_b64 s[4:5], vcc
	s_cbranch_execz .LBB124_359
; %bb.358:
	buffer_load_dword v2, off, s[0:3], 0 offset:80
	buffer_load_dword v3, off, s[0:3], 0 offset:84
	s_waitcnt vmcnt(0)
	ds_write_b64 v199, v[2:3]
	buffer_store_dword v232, off, s[0:3], 0 offset:80
	buffer_store_dword v232, off, s[0:3], 0 offset:84
.LBB124_359:
	s_or_b64 exec, exec, s[4:5]
	s_waitcnt lgkmcnt(0)
	; wave barrier
	s_waitcnt lgkmcnt(0)
	buffer_load_dword v40, off, s[0:3], 0 offset:92
	buffer_load_dword v39, off, s[0:3], 0 offset:100
	buffer_load_dword v38, off, s[0:3], 0 offset:116
	buffer_load_dword v37, off, s[0:3], 0 offset:124
	buffer_load_dword v36, off, s[0:3], 0 offset:132
	buffer_load_dword v1, off, s[0:3], 0 offset:140
	buffer_load_dword v41, off, s[0:3], 0 offset:108
	buffer_load_dword v42, off, s[0:3], 0 offset:148
	buffer_load_dword v43, off, s[0:3], 0 offset:156
	buffer_load_dword v44, off, s[0:3], 0 offset:164
	buffer_load_dword v45, off, s[0:3], 0 offset:172
	buffer_load_dword v46, off, s[0:3], 0 offset:180
	buffer_load_dword v108, off, s[0:3], 0 offset:104
	buffer_load_dword v110, off, s[0:3], 0 offset:96
	buffer_load_dword v126, off, s[0:3], 0 offset:88
	buffer_load_dword v127, off, s[0:3], 0 offset:136
	buffer_load_dword v128, off, s[0:3], 0 offset:128
	buffer_load_dword v129, off, s[0:3], 0 offset:120
	buffer_load_dword v130, off, s[0:3], 0 offset:112
	buffer_load_dword v131, off, s[0:3], 0 offset:168
	buffer_load_dword v132, off, s[0:3], 0 offset:160
	buffer_load_dword v133, off, s[0:3], 0 offset:152
	buffer_load_dword v134, off, s[0:3], 0 offset:144
	buffer_load_dword v135, off, s[0:3], 0 offset:200
	buffer_load_dword v136, off, s[0:3], 0 offset:204
	buffer_load_dword v137, off, s[0:3], 0 offset:192
	buffer_load_dword v138, off, s[0:3], 0 offset:184
	buffer_load_dword v139, off, s[0:3], 0 offset:176
	buffer_load_dword v140, off, s[0:3], 0 offset:188
	buffer_load_dword v141, off, s[0:3], 0 offset:196
	buffer_load_dword v34, off, s[0:3], 0 offset:80
	buffer_load_dword v35, off, s[0:3], 0 offset:84
	ds_read2_b64 v[22:25], v232 offset0:73 offset1:74
	ds_read2_b64 v[18:21], v232 offset0:75 offset1:76
	;; [unrolled: 1-line block ×6, first 2 shown]
	buffer_load_dword v142, off, s[0:3], 0 offset:208
	buffer_load_dword v143, off, s[0:3], 0 offset:212
	buffer_load_dword v144, off, s[0:3], 0 offset:216
	buffer_load_dword v145, off, s[0:3], 0 offset:220
	buffer_load_dword v146, off, s[0:3], 0 offset:224
	buffer_load_dword v147, off, s[0:3], 0 offset:228
	buffer_load_dword v148, off, s[0:3], 0 offset:232
	buffer_load_dword v149, off, s[0:3], 0 offset:236
	buffer_load_dword v150, off, s[0:3], 0 offset:240
	buffer_load_dword v151, off, s[0:3], 0 offset:244
	buffer_load_dword v152, off, s[0:3], 0 offset:248
	buffer_load_dword v153, off, s[0:3], 0 offset:252
	buffer_load_dword v154, off, s[0:3], 0 offset:256
	buffer_load_dword v155, off, s[0:3], 0 offset:260
	buffer_load_dword v156, off, s[0:3], 0 offset:264
	buffer_load_dword v157, off, s[0:3], 0 offset:268
	buffer_load_dword v158, off, s[0:3], 0 offset:272
	buffer_load_dword v159, off, s[0:3], 0 offset:276
	buffer_load_dword v160, off, s[0:3], 0 offset:280
	buffer_load_dword v161, off, s[0:3], 0 offset:284
	v_cmp_lt_u32_e32 vcc, 9, v0
	s_waitcnt vmcnt(51) lgkmcnt(5)
	v_mul_f32_e32 v26, v22, v40
	s_waitcnt vmcnt(50)
	v_mul_f32_e32 v27, v24, v39
	s_waitcnt vmcnt(49) lgkmcnt(4)
	v_mul_f32_e32 v29, v20, v38
	s_waitcnt vmcnt(48) lgkmcnt(3)
	v_mul_f32_e32 v30, v14, v37
	s_waitcnt vmcnt(47)
	v_mul_f32_e32 v31, v16, v36
	s_waitcnt vmcnt(46) lgkmcnt(2)
	v_mul_f32_e32 v32, v10, v1
	s_waitcnt vmcnt(45)
	v_mul_f32_e32 v28, v18, v41
	s_waitcnt vmcnt(44)
	v_mul_f32_e32 v33, v12, v42
	s_waitcnt vmcnt(43) lgkmcnt(1)
	v_mul_f32_e32 v47, v6, v43
	s_waitcnt vmcnt(42)
	v_mul_f32_e32 v48, v8, v44
	s_waitcnt vmcnt(41) lgkmcnt(0)
	v_mul_f32_e32 v49, v2, v45
	s_waitcnt vmcnt(40)
	v_mul_f32_e32 v50, v4, v46
	s_waitcnt vmcnt(39)
	v_fmac_f32_e32 v28, v19, v108
	s_waitcnt vmcnt(38)
	v_fmac_f32_e32 v27, v25, v110
	;; [unrolled: 2-line block ×3, first 2 shown]
	v_add_f32_e32 v26, 0, v26
	v_add_f32_e32 v26, v26, v27
	;; [unrolled: 1-line block ×3, first 2 shown]
	s_waitcnt vmcnt(33)
	v_fmac_f32_e32 v29, v21, v130
	v_fmac_f32_e32 v30, v15, v129
	v_add_f32_e32 v26, v26, v29
	v_fmac_f32_e32 v31, v17, v128
	v_add_f32_e32 v26, v26, v30
	;; [unrolled: 2-line block ×3, first 2 shown]
	s_waitcnt vmcnt(29)
	v_fmac_f32_e32 v33, v13, v134
	v_add_f32_e32 v26, v26, v32
	v_fmac_f32_e32 v47, v7, v133
	v_add_f32_e32 v26, v26, v33
	;; [unrolled: 2-line block ×4, first 2 shown]
	v_add_f32_e32 v30, v26, v49
	ds_read2_b64 v[26:29], v232 offset0:85 offset1:86
	buffer_load_dword v162, off, s[0:3], 0 offset:288
	buffer_load_dword v163, off, s[0:3], 0 offset:292
	;; [unrolled: 1-line block ×4, first 2 shown]
	s_waitcnt vmcnt(28)
	v_fmac_f32_e32 v50, v5, v139
	v_add_f32_e32 v47, v30, v50
	ds_read2_b64 v[30:33], v232 offset0:87 offset1:88
	buffer_load_dword v166, off, s[0:3], 0 offset:304
	buffer_load_dword v167, off, s[0:3], 0 offset:308
	;; [unrolled: 1-line block ×12, first 2 shown]
	s_waitcnt vmcnt(39) lgkmcnt(1)
	v_mul_f32_e32 v48, v26, v140
	v_fmac_f32_e32 v48, v27, v138
	buffer_load_dword v178, off, s[0:3], 0 offset:352
	buffer_load_dword v179, off, s[0:3], 0 offset:356
	v_add_f32_e32 v47, v47, v48
	s_waitcnt vmcnt(40)
	v_mul_f32_e32 v48, v28, v141
	v_fmac_f32_e32 v48, v29, v137
	buffer_load_dword v224, off, s[0:3], 0 offset:360
	buffer_load_dword v225, off, s[0:3], 0 offset:364
	v_add_f32_e32 v47, v47, v48
	s_waitcnt lgkmcnt(0)
	v_mul_f32_e32 v48, v30, v136
	v_fmac_f32_e32 v48, v31, v135
	v_add_f32_e32 v47, v47, v48
	ds_read2_b64 v[48:51], v232 offset0:89 offset1:90
	buffer_load_dword v226, off, s[0:3], 0 offset:368
	buffer_load_dword v227, off, s[0:3], 0 offset:372
	s_waitcnt vmcnt(40)
	v_mul_f32_e32 v52, v32, v143
	v_fmac_f32_e32 v52, v33, v142
	v_add_f32_e32 v47, v47, v52
	ds_read2_b64 v[52:55], v232 offset0:91 offset1:92
	buffer_load_dword v228, off, s[0:3], 0 offset:376
	buffer_load_dword v229, off, s[0:3], 0 offset:380
	;; [unrolled: 1-line block ×8, first 2 shown]
	s_waitcnt vmcnt(46) lgkmcnt(1)
	v_mul_f32_e32 v56, v48, v145
	v_fmac_f32_e32 v56, v49, v144
	v_add_f32_e32 v47, v47, v56
	s_waitcnt vmcnt(44)
	v_mul_f32_e32 v56, v50, v147
	v_fmac_f32_e32 v56, v51, v146
	v_add_f32_e32 v47, v47, v56
	s_waitcnt vmcnt(42) lgkmcnt(0)
	v_mul_f32_e32 v56, v52, v149
	v_fmac_f32_e32 v56, v53, v148
	v_add_f32_e32 v47, v47, v56
	buffer_load_dword v237, off, s[0:3], 0 offset:408
	buffer_load_dword v238, off, s[0:3], 0 offset:412
	;; [unrolled: 1-line block ×4, first 2 shown]
	ds_read2_b64 v[56:59], v232 offset0:93 offset1:94
	s_waitcnt vmcnt(44)
	v_mul_f32_e32 v60, v54, v151
	v_fmac_f32_e32 v60, v55, v150
	v_add_f32_e32 v47, v47, v60
	ds_read2_b64 v[60:63], v232 offset0:95 offset1:96
	s_waitcnt vmcnt(42) lgkmcnt(1)
	v_mul_f32_e32 v64, v56, v153
	v_fmac_f32_e32 v64, v57, v152
	v_add_f32_e32 v47, v47, v64
	s_waitcnt vmcnt(40)
	v_mul_f32_e32 v64, v58, v155
	v_fmac_f32_e32 v64, v59, v154
	v_add_f32_e32 v47, v47, v64
	s_waitcnt vmcnt(38) lgkmcnt(0)
	v_mul_f32_e32 v64, v60, v157
	v_fmac_f32_e32 v64, v61, v156
	v_add_f32_e32 v47, v47, v64
	ds_read2_b64 v[64:67], v232 offset0:97 offset1:98
	s_waitcnt vmcnt(36)
	v_mul_f32_e32 v68, v62, v159
	v_fmac_f32_e32 v68, v63, v158
	v_add_f32_e32 v47, v47, v68
	ds_read2_b64 v[68:71], v232 offset0:99 offset1:100
	s_waitcnt vmcnt(34) lgkmcnt(1)
	v_mul_f32_e32 v72, v64, v161
	v_fmac_f32_e32 v72, v65, v160
	v_add_f32_e32 v47, v47, v72
	v_mul_f32_e32 v23, v23, v40
	v_fma_f32 v22, v22, v126, -v23
	v_mul_f32_e32 v23, v25, v39
	v_add_f32_e32 v22, 0, v22
	v_fma_f32 v23, v24, v110, -v23
	v_mul_f32_e32 v19, v19, v41
	v_add_f32_e32 v22, v22, v23
	;; [unrolled: 3-line block ×5, first 2 shown]
	s_waitcnt vmcnt(32)
	v_mul_f32_e32 v72, v66, v163
	v_fmac_f32_e32 v72, v67, v162
	v_add_f32_e32 v47, v47, v72
	s_waitcnt vmcnt(30) lgkmcnt(0)
	v_mul_f32_e32 v72, v68, v165
	v_fmac_f32_e32 v72, v69, v164
	v_add_f32_e32 v47, v47, v72
	ds_read2_b64 v[72:75], v232 offset0:101 offset1:102
	s_waitcnt vmcnt(28)
	v_mul_f32_e32 v76, v70, v167
	v_fmac_f32_e32 v76, v71, v166
	v_add_f32_e32 v47, v47, v76
	ds_read2_b64 v[76:79], v232 offset0:103 offset1:104
	s_waitcnt vmcnt(26) lgkmcnt(1)
	v_mul_f32_e32 v80, v72, v169
	v_fmac_f32_e32 v80, v73, v168
	v_add_f32_e32 v47, v47, v80
	s_waitcnt vmcnt(24)
	v_mul_f32_e32 v80, v74, v171
	v_fmac_f32_e32 v80, v75, v170
	v_add_f32_e32 v47, v47, v80
	s_waitcnt vmcnt(22) lgkmcnt(0)
	v_mul_f32_e32 v80, v76, v173
	v_fmac_f32_e32 v80, v77, v172
	v_add_f32_e32 v47, v47, v80
	ds_read2_b64 v[80:83], v232 offset0:105 offset1:106
	s_waitcnt vmcnt(20)
	v_mul_f32_e32 v84, v78, v175
	v_fmac_f32_e32 v84, v79, v174
	v_add_f32_e32 v47, v47, v84
	ds_read2_b64 v[84:87], v232 offset0:107 offset1:108
	s_waitcnt vmcnt(18) lgkmcnt(1)
	v_mul_f32_e32 v88, v80, v177
	v_fmac_f32_e32 v88, v81, v176
	v_add_f32_e32 v47, v47, v88
	s_waitcnt vmcnt(16)
	v_mul_f32_e32 v88, v82, v179
	v_fmac_f32_e32 v88, v83, v178
	v_add_f32_e32 v47, v47, v88
	s_waitcnt vmcnt(14) lgkmcnt(0)
	v_mul_f32_e32 v88, v84, v225
	v_fmac_f32_e32 v88, v85, v224
	v_add_f32_e32 v47, v47, v88
	ds_read2_b64 v[88:91], v232 offset0:109 offset1:110
	s_waitcnt vmcnt(12)
	v_mul_f32_e32 v92, v86, v227
	v_fmac_f32_e32 v92, v87, v226
	v_add_f32_e32 v47, v47, v92
	ds_read2_b64 v[92:95], v232 offset0:111 offset1:112
	buffer_load_dword v101, off, s[0:3], 0 offset:428
	buffer_load_dword v100, off, s[0:3], 0 offset:424
	s_waitcnt vmcnt(12) lgkmcnt(1)
	v_mul_f32_e32 v96, v88, v229
	v_fmac_f32_e32 v96, v89, v228
	v_add_f32_e32 v47, v47, v96
	s_waitcnt vmcnt(10)
	v_mul_f32_e32 v96, v90, v231
	v_fmac_f32_e32 v96, v91, v230
	v_add_f32_e32 v47, v47, v96
	s_waitcnt vmcnt(8) lgkmcnt(0)
	v_mul_f32_e32 v96, v92, v234
	v_fmac_f32_e32 v96, v93, v233
	s_waitcnt vmcnt(6)
	v_mul_f32_e32 v104, v94, v236
	v_add_f32_e32 v47, v47, v96
	v_fmac_f32_e32 v104, v95, v235
	ds_read2_b64 v[96:99], v232 offset0:113 offset1:114
	v_add_f32_e32 v47, v47, v104
	ds_read2_b64 v[104:107], v232 offset0:115 offset1:116
	buffer_load_dword v113, off, s[0:3], 0 offset:460
	buffer_load_dword v112, off, s[0:3], 0 offset:456
	;; [unrolled: 1-line block ×14, first 2 shown]
	v_fma_f32 v15, v16, v128, -v15
	v_mul_f32_e32 v1, v11, v1
	v_add_f32_e32 v14, v14, v15
	v_fma_f32 v1, v10, v127, -v1
	v_mul_f32_e32 v10, v13, v42
	v_add_f32_e32 v1, v14, v1
	v_fma_f32 v10, v12, v134, -v10
	v_mul_f32_e32 v7, v7, v43
	v_add_f32_e32 v1, v1, v10
	v_fma_f32 v6, v6, v133, -v7
	v_add_f32_e32 v1, v1, v6
	v_mul_f32_e32 v6, v9, v44
	v_fma_f32 v6, v8, v132, -v6
	v_mul_f32_e32 v3, v3, v45
	v_add_f32_e32 v1, v1, v6
	v_fma_f32 v2, v2, v131, -v3
	v_add_f32_e32 v1, v1, v2
	v_mul_f32_e32 v2, v5, v46
	v_fma_f32 v2, v4, v139, -v2
	v_add_f32_e32 v1, v1, v2
	v_mul_f32_e32 v2, v27, v140
	;; [unrolled: 3-line block ×29, first 2 shown]
	v_fma_f32 v2, v94, v235, -v2
	s_waitcnt vmcnt(15)
	v_mov_b32_e32 v16, v101
	s_waitcnt lgkmcnt(1)
	v_mul_f32_e32 v109, v96, v238
	v_add_f32_e32 v46, v1, v2
	v_mul_f32_e32 v1, v97, v238
	s_waitcnt lgkmcnt(0)
	v_pk_mul_f32 v[16:17], v[104:105], v[16:17] op_sel_hi:[1,0]
	v_fmac_f32_e32 v109, v97, v237
	v_mul_f32_e32 v111, v98, v240
	v_fma_f32 v108, v96, v237, -v1
	v_mul_f32_e32 v1, v99, v240
	s_waitcnt vmcnt(14)
	v_pk_fma_f32 v[18:19], v[104:105], v[100:101], v[16:17] op_sel:[0,0,1] op_sel_hi:[1,1,0] neg_lo:[0,0,1] neg_hi:[0,0,1]
	v_pk_fma_f32 v[16:17], v[104:105], v[100:101], v[16:17] op_sel:[0,0,1] op_sel_hi:[1,0,0]
	v_fmac_f32_e32 v111, v99, v239
	v_fma_f32 v110, v98, v239, -v1
	v_pk_add_f32 v[14:15], v[46:47], v[108:109]
	s_waitcnt vmcnt(7)
	v_mov_b32_e32 v16, v119
	ds_read2_b64 v[2:5], v232 offset0:117 offset1:118
	ds_read2_b64 v[6:9], v232 offset0:119 offset1:120
	;; [unrolled: 1-line block ×3, first 2 shown]
	v_pk_add_f32 v[14:15], v[14:15], v[110:111]
	v_mov_b32_e32 v19, v17
	v_pk_mul_f32 v[16:17], v[106:107], v[16:17] op_sel_hi:[1,0]
	v_pk_add_f32 v[14:15], v[14:15], v[18:19]
	s_waitcnt vmcnt(6)
	v_pk_fma_f32 v[18:19], v[106:107], v[118:119], v[16:17] op_sel:[0,0,1] op_sel_hi:[1,1,0] neg_lo:[0,0,1] neg_hi:[0,0,1]
	v_pk_fma_f32 v[16:17], v[106:107], v[118:119], v[16:17] op_sel:[0,0,1] op_sel_hi:[1,0,0]
	v_mov_b32_e32 v16, v117
	v_mov_b32_e32 v19, v17
	s_waitcnt lgkmcnt(2)
	v_pk_mul_f32 v[16:17], v[2:3], v[16:17] op_sel_hi:[1,0]
	v_pk_add_f32 v[14:15], v[14:15], v[18:19]
	v_pk_fma_f32 v[18:19], v[2:3], v[116:117], v[16:17] op_sel:[0,0,1] op_sel_hi:[1,1,0] neg_lo:[0,0,1] neg_hi:[0,0,1]
	v_pk_fma_f32 v[2:3], v[2:3], v[116:117], v[16:17] op_sel:[0,0,1] op_sel_hi:[1,0,0]
	v_mov_b32_e32 v19, v3
	v_pk_add_f32 v[2:3], v[14:15], v[18:19]
	v_mov_b32_e32 v14, v115
	v_pk_mul_f32 v[14:15], v[4:5], v[14:15] op_sel_hi:[1,0]
	v_pk_fma_f32 v[16:17], v[4:5], v[114:115], v[14:15] op_sel:[0,0,1] op_sel_hi:[1,1,0] neg_lo:[0,0,1] neg_hi:[0,0,1]
	v_pk_fma_f32 v[4:5], v[4:5], v[114:115], v[14:15] op_sel:[0,0,1] op_sel_hi:[1,0,0]
	v_mov_b32_e32 v4, v113
	v_mov_b32_e32 v17, v5
	s_waitcnt lgkmcnt(1)
	v_pk_mul_f32 v[4:5], v[6:7], v[4:5] op_sel_hi:[1,0]
	v_pk_fma_f32 v[14:15], v[6:7], v[112:113], v[4:5] op_sel:[0,0,1] op_sel_hi:[1,1,0] neg_lo:[0,0,1] neg_hi:[0,0,1]
	v_pk_fma_f32 v[4:5], v[6:7], v[112:113], v[4:5] op_sel:[0,0,1] op_sel_hi:[1,0,0]
	s_waitcnt vmcnt(1)
	v_mov_b32_e32 v4, v125
	v_mov_b32_e32 v15, v5
	v_pk_mul_f32 v[4:5], v[8:9], v[4:5] op_sel_hi:[1,0]
	s_waitcnt vmcnt(0)
	v_pk_fma_f32 v[6:7], v[8:9], v[124:125], v[4:5] op_sel:[0,0,1] op_sel_hi:[1,1,0] neg_lo:[0,0,1] neg_hi:[0,0,1]
	v_pk_fma_f32 v[4:5], v[8:9], v[124:125], v[4:5] op_sel:[0,0,1] op_sel_hi:[1,0,0]
	v_pk_add_f32 v[2:3], v[2:3], v[16:17]
	v_mov_b32_e32 v4, v123
	v_pk_add_f32 v[2:3], v[2:3], v[14:15]
	v_mov_b32_e32 v7, v5
	s_waitcnt lgkmcnt(0)
	v_pk_mul_f32 v[4:5], v[10:11], v[4:5] op_sel_hi:[1,0]
	v_pk_add_f32 v[2:3], v[2:3], v[6:7]
	v_pk_fma_f32 v[6:7], v[10:11], v[122:123], v[4:5] op_sel:[0,0,1] op_sel_hi:[1,1,0] neg_lo:[0,0,1] neg_hi:[0,0,1]
	v_pk_fma_f32 v[4:5], v[10:11], v[122:123], v[4:5] op_sel:[0,0,1] op_sel_hi:[1,0,0]
	v_mov_b32_e32 v4, v121
	v_mov_b32_e32 v7, v5
	v_pk_mul_f32 v[4:5], v[12:13], v[4:5] op_sel_hi:[1,0]
	v_pk_add_f32 v[2:3], v[2:3], v[6:7]
	v_pk_fma_f32 v[6:7], v[12:13], v[120:121], v[4:5] op_sel:[0,0,1] op_sel_hi:[1,1,0] neg_lo:[0,0,1] neg_hi:[0,0,1]
	v_pk_fma_f32 v[4:5], v[12:13], v[120:121], v[4:5] op_sel:[0,0,1] op_sel_hi:[1,0,0]
	v_mov_b32_e32 v7, v5
	v_pk_add_f32 v[2:3], v[2:3], v[6:7]
	v_pk_add_f32 v[2:3], v[34:35], v[2:3] neg_lo:[0,1] neg_hi:[0,1]
	buffer_store_dword v3, off, s[0:3], 0 offset:84
	buffer_store_dword v2, off, s[0:3], 0 offset:80
	s_and_saveexec_b64 s[4:5], vcc
	s_cbranch_execz .LBB124_361
; %bb.360:
	buffer_load_dword v2, off, s[0:3], 0 offset:72
	buffer_load_dword v3, off, s[0:3], 0 offset:76
	v_mov_b32_e32 v1, 0
	buffer_store_dword v1, off, s[0:3], 0 offset:72
	buffer_store_dword v1, off, s[0:3], 0 offset:76
	s_waitcnt vmcnt(2)
	ds_write_b64 v199, v[2:3]
.LBB124_361:
	s_or_b64 exec, exec, s[4:5]
	s_waitcnt lgkmcnt(0)
	; wave barrier
	s_waitcnt lgkmcnt(0)
	buffer_load_dword v45, off, s[0:3], 0 offset:84
	buffer_load_dword v44, off, s[0:3], 0 offset:92
	;; [unrolled: 1-line block ×32, first 2 shown]
	v_mov_b32_e32 v1, 0
	buffer_load_dword v143, off, s[0:3], 0 offset:200
	buffer_load_dword v144, off, s[0:3], 0 offset:204
	;; [unrolled: 1-line block ×16, first 2 shown]
	ds_read_b128 v[22:25], v1 offset:576
	ds_read_b128 v[18:21], v1 offset:592
	;; [unrolled: 1-line block ×6, first 2 shown]
	buffer_load_dword v159, off, s[0:3], 0 offset:264
	buffer_load_dword v160, off, s[0:3], 0 offset:268
	v_cmp_lt_u32_e32 vcc, 8, v0
	s_waitcnt vmcnt(49) lgkmcnt(5)
	v_mul_f32_e32 v26, v22, v45
	s_waitcnt vmcnt(48)
	v_mul_f32_e32 v27, v24, v44
	s_waitcnt vmcnt(47) lgkmcnt(4)
	v_mul_f32_e32 v29, v20, v43
	s_waitcnt vmcnt(46) lgkmcnt(3)
	v_mul_f32_e32 v30, v14, v42
	s_waitcnt vmcnt(45)
	v_mul_f32_e32 v31, v16, v41
	s_waitcnt vmcnt(44) lgkmcnt(2)
	v_mul_f32_e32 v32, v10, v40
	s_waitcnt vmcnt(43)
	v_mul_f32_e32 v28, v18, v46
	s_waitcnt vmcnt(42)
	v_mul_f32_e32 v33, v12, v47
	s_waitcnt vmcnt(41) lgkmcnt(1)
	v_mul_f32_e32 v34, v6, v48
	s_waitcnt vmcnt(40)
	v_mul_f32_e32 v35, v8, v49
	s_waitcnt vmcnt(39) lgkmcnt(0)
	v_mul_f32_e32 v36, v2, v50
	s_waitcnt vmcnt(38)
	v_mul_f32_e32 v37, v4, v51
	s_waitcnt vmcnt(37)
	v_fmac_f32_e32 v28, v19, v57
	s_waitcnt vmcnt(36)
	v_fmac_f32_e32 v27, v25, v60
	;; [unrolled: 2-line block ×3, first 2 shown]
	v_add_f32_e32 v26, 0, v26
	v_add_f32_e32 v26, v26, v27
	;; [unrolled: 1-line block ×3, first 2 shown]
	s_waitcnt vmcnt(31)
	v_fmac_f32_e32 v29, v21, v62
	v_fmac_f32_e32 v30, v15, v59
	v_add_f32_e32 v26, v26, v29
	v_fmac_f32_e32 v31, v17, v56
	v_add_f32_e32 v26, v26, v30
	;; [unrolled: 2-line block ×3, first 2 shown]
	s_waitcnt vmcnt(27)
	v_fmac_f32_e32 v33, v13, v58
	v_add_f32_e32 v26, v26, v32
	v_fmac_f32_e32 v34, v7, v55
	v_add_f32_e32 v26, v26, v33
	v_fmac_f32_e32 v35, v9, v53
	v_add_f32_e32 v26, v26, v34
	v_fmac_f32_e32 v36, v3, v52
	v_add_f32_e32 v26, v26, v35
	s_waitcnt vmcnt(22)
	v_fmac_f32_e32 v37, v5, v140
	v_add_f32_e32 v26, v26, v36
	v_add_f32_e32 v34, v26, v37
	ds_read_b128 v[26:29], v1 offset:672
	buffer_load_dword v161, off, s[0:3], 0 offset:272
	buffer_load_dword v162, off, s[0:3], 0 offset:276
	ds_read_b128 v[30:33], v1 offset:688
	buffer_load_dword v163, off, s[0:3], 0 offset:280
	buffer_load_dword v164, off, s[0:3], 0 offset:284
	;; [unrolled: 1-line block ×14, first 2 shown]
	s_waitcnt vmcnt(37) lgkmcnt(1)
	v_mul_f32_e32 v35, v26, v141
	v_fmac_f32_e32 v35, v27, v139
	v_add_f32_e32 v34, v34, v35
	s_waitcnt vmcnt(36)
	v_mul_f32_e32 v35, v28, v142
	v_fmac_f32_e32 v35, v29, v138
	v_add_f32_e32 v34, v34, v35
	s_waitcnt lgkmcnt(0)
	v_mul_f32_e32 v35, v30, v120
	v_fmac_f32_e32 v35, v31, v61
	v_add_f32_e32 v63, v34, v35
	buffer_load_dword v177, off, s[0:3], 0 offset:336
	buffer_load_dword v178, off, s[0:3], 0 offset:340
	ds_read_b128 v[34:37], v1 offset:704
	s_waitcnt vmcnt(34)
	v_mul_f32_e32 v64, v32, v144
	v_fmac_f32_e32 v64, v33, v143
	buffer_load_dword v179, off, s[0:3], 0 offset:344
	buffer_load_dword v224, off, s[0:3], 0 offset:348
	v_add_f32_e32 v63, v63, v64
	buffer_load_dword v225, off, s[0:3], 0 offset:352
	buffer_load_dword v226, off, s[0:3], 0 offset:356
	ds_read_b128 v[64:67], v1 offset:720
	s_waitcnt vmcnt(36) lgkmcnt(1)
	v_mul_f32_e32 v68, v34, v146
	v_fmac_f32_e32 v68, v35, v145
	v_add_f32_e32 v63, v63, v68
	s_waitcnt vmcnt(34)
	v_mul_f32_e32 v68, v36, v148
	v_fmac_f32_e32 v68, v37, v147
	v_add_f32_e32 v63, v63, v68
	s_waitcnt vmcnt(32) lgkmcnt(0)
	v_mul_f32_e32 v68, v64, v150
	v_fmac_f32_e32 v68, v65, v149
	buffer_load_dword v227, off, s[0:3], 0 offset:360
	buffer_load_dword v228, off, s[0:3], 0 offset:364
	;; [unrolled: 1-line block ×10, first 2 shown]
	v_add_f32_e32 v63, v63, v68
	buffer_load_dword v237, off, s[0:3], 0 offset:400
	buffer_load_dword v238, off, s[0:3], 0 offset:404
	;; [unrolled: 1-line block ×6, first 2 shown]
	ds_read_b128 v[68:71], v1 offset:736
	s_waitcnt vmcnt(46)
	v_mul_f32_e32 v72, v66, v152
	v_fmac_f32_e32 v72, v67, v151
	v_add_f32_e32 v63, v63, v72
	ds_read_b128 v[72:75], v1 offset:752
	s_waitcnt vmcnt(44) lgkmcnt(1)
	v_mul_f32_e32 v76, v68, v154
	v_fmac_f32_e32 v76, v69, v153
	v_add_f32_e32 v63, v63, v76
	s_waitcnt vmcnt(42)
	v_mul_f32_e32 v76, v70, v156
	v_fmac_f32_e32 v76, v71, v155
	v_add_f32_e32 v63, v63, v76
	s_waitcnt vmcnt(40) lgkmcnt(0)
	v_mul_f32_e32 v76, v72, v158
	v_fmac_f32_e32 v76, v73, v157
	v_add_f32_e32 v63, v63, v76
	ds_read_b128 v[76:79], v1 offset:768
	s_waitcnt vmcnt(38)
	v_mul_f32_e32 v80, v74, v160
	v_fmac_f32_e32 v80, v75, v159
	v_add_f32_e32 v63, v63, v80
	ds_read_b128 v[80:83], v1 offset:784
	ds_read_b128 v[104:107], v1 offset:864
	ds_read_b128 v[108:111], v1 offset:880
	ds_read_b128 v[112:115], v1 offset:896
	ds_read_b128 v[116:119], v1 offset:912
	v_mul_f32_e32 v23, v23, v45
	v_fma_f32 v22, v22, v100, -v23
	v_mul_f32_e32 v23, v25, v44
	v_add_f32_e32 v22, 0, v22
	v_fma_f32 v23, v24, v60, -v23
	v_mul_f32_e32 v19, v19, v46
	v_add_f32_e32 v22, v22, v23
	;; [unrolled: 3-line block ×5, first 2 shown]
	s_waitcnt vmcnt(36) lgkmcnt(5)
	v_mul_f32_e32 v84, v76, v162
	v_fmac_f32_e32 v84, v77, v161
	v_add_f32_e32 v63, v63, v84
	s_waitcnt vmcnt(34)
	v_mul_f32_e32 v84, v78, v164
	v_fmac_f32_e32 v84, v79, v163
	v_add_f32_e32 v63, v63, v84
	s_waitcnt vmcnt(32) lgkmcnt(4)
	v_mul_f32_e32 v84, v80, v166
	v_fmac_f32_e32 v84, v81, v165
	v_add_f32_e32 v63, v63, v84
	ds_read_b128 v[84:87], v1 offset:800
	s_waitcnt vmcnt(30)
	v_mul_f32_e32 v88, v82, v168
	v_fmac_f32_e32 v88, v83, v167
	v_add_f32_e32 v63, v63, v88
	ds_read_b128 v[88:91], v1 offset:816
	s_waitcnt vmcnt(28) lgkmcnt(1)
	v_mul_f32_e32 v92, v84, v170
	v_fmac_f32_e32 v92, v85, v169
	v_add_f32_e32 v63, v63, v92
	s_waitcnt vmcnt(26)
	v_mul_f32_e32 v92, v86, v172
	v_fmac_f32_e32 v92, v87, v171
	v_add_f32_e32 v63, v63, v92
	s_waitcnt vmcnt(24) lgkmcnt(0)
	v_mul_f32_e32 v92, v88, v174
	v_fmac_f32_e32 v92, v89, v173
	s_waitcnt vmcnt(22)
	v_mul_f32_e32 v96, v90, v176
	v_add_f32_e32 v63, v63, v92
	v_fmac_f32_e32 v96, v91, v175
	ds_read_b128 v[92:95], v1 offset:832
	v_add_f32_e32 v63, v63, v96
	ds_read_b128 v[96:99], v1 offset:848
	buffer_load_dword v123, off, s[0:3], 0 offset:452
	buffer_load_dword v122, off, s[0:3], 0 offset:448
	;; [unrolled: 1-line block ×16, first 2 shown]
	v_fma_f32 v15, v16, v56, -v15
	v_mul_f32_e32 v11, v11, v40
	v_add_f32_e32 v14, v14, v15
	v_fma_f32 v10, v10, v54, -v11
	v_mul_f32_e32 v11, v13, v47
	v_add_f32_e32 v10, v14, v10
	;; [unrolled: 3-line block ×6, first 2 shown]
	v_fma_f32 v3, v4, v140, -v3
	v_add_f32_e32 v2, v2, v3
	v_mul_f32_e32 v3, v27, v141
	v_fma_f32 v3, v26, v139, -v3
	v_add_f32_e32 v2, v2, v3
	v_mul_f32_e32 v3, v29, v142
	;; [unrolled: 3-line block ×20, first 2 shown]
	v_fma_f32 v3, v90, v175, -v3
	v_add_f32_e32 v2, v2, v3
	s_waitcnt vmcnt(36) lgkmcnt(1)
	v_mul_f32_e32 v3, v93, v178
	v_mul_f32_e32 v101, v92, v178
	v_fma_f32 v3, v92, v177, -v3
	v_fmac_f32_e32 v101, v93, v177
	v_add_f32_e32 v2, v2, v3
	s_waitcnt vmcnt(34)
	v_mul_f32_e32 v3, v95, v224
	v_add_f32_e32 v63, v63, v101
	v_mul_f32_e32 v101, v94, v224
	v_fma_f32 v3, v94, v179, -v3
	v_fmac_f32_e32 v101, v95, v179
	v_add_f32_e32 v2, v2, v3
	s_waitcnt vmcnt(32) lgkmcnt(0)
	v_mul_f32_e32 v3, v97, v226
	v_add_f32_e32 v63, v63, v101
	v_mul_f32_e32 v101, v96, v226
	v_fma_f32 v3, v96, v225, -v3
	v_fmac_f32_e32 v101, v97, v225
	v_add_f32_e32 v2, v2, v3
	s_waitcnt vmcnt(30)
	v_mul_f32_e32 v3, v99, v228
	v_add_f32_e32 v63, v63, v101
	v_mul_f32_e32 v101, v98, v228
	v_fma_f32 v3, v98, v227, -v3
	v_fmac_f32_e32 v101, v99, v227
	v_add_f32_e32 v2, v2, v3
	s_waitcnt vmcnt(28)
	;; [unrolled: 7-line block ×7, first 2 shown]
	v_mul_f32_e32 v2, v115, v240
	s_waitcnt vmcnt(9)
	v_mov_b32_e32 v18, v129
	v_add_f32_e32 v63, v63, v101
	v_mul_f32_e32 v101, v114, v240
	v_fma_f32 v100, v114, v239, -v2
	v_mul_f32_e32 v2, v117, v242
	v_pk_mul_f32 v[18:19], v[118:119], v[18:19] op_sel_hi:[1,0]
	v_fmac_f32_e32 v101, v115, v239
	v_mul_f32_e32 v121, v116, v242
	v_fma_f32 v120, v116, v241, -v2
	ds_read_b128 v[2:5], v1 offset:928
	ds_read_b128 v[6:9], v1 offset:944
	;; [unrolled: 1-line block ×3, first 2 shown]
	ds_read_b64 v[14:15], v1 offset:976
	s_waitcnt vmcnt(8)
	v_pk_fma_f32 v[20:21], v[118:119], v[128:129], v[18:19] op_sel:[0,0,1] op_sel_hi:[1,1,0] neg_lo:[0,0,1] neg_hi:[0,0,1]
	v_pk_fma_f32 v[18:19], v[118:119], v[128:129], v[18:19] op_sel:[0,0,1] op_sel_hi:[1,0,0]
	v_fmac_f32_e32 v121, v117, v241
	v_pk_add_f32 v[16:17], v[62:63], v[100:101]
	v_mov_b32_e32 v18, v127
	v_pk_add_f32 v[16:17], v[16:17], v[120:121]
	v_mov_b32_e32 v21, v19
	s_waitcnt lgkmcnt(3)
	v_pk_mul_f32 v[18:19], v[2:3], v[18:19] op_sel_hi:[1,0]
	v_pk_add_f32 v[16:17], v[16:17], v[20:21]
	v_pk_fma_f32 v[20:21], v[2:3], v[126:127], v[18:19] op_sel:[0,0,1] op_sel_hi:[1,1,0] neg_lo:[0,0,1] neg_hi:[0,0,1]
	v_pk_fma_f32 v[2:3], v[2:3], v[126:127], v[18:19] op_sel:[0,0,1] op_sel_hi:[1,0,0]
	v_mov_b32_e32 v21, v3
	v_pk_add_f32 v[2:3], v[16:17], v[20:21]
	v_mov_b32_e32 v16, v125
	v_pk_mul_f32 v[16:17], v[4:5], v[16:17] op_sel_hi:[1,0]
	v_pk_fma_f32 v[18:19], v[4:5], v[124:125], v[16:17] op_sel:[0,0,1] op_sel_hi:[1,1,0] neg_lo:[0,0,1] neg_hi:[0,0,1]
	v_pk_fma_f32 v[4:5], v[4:5], v[124:125], v[16:17] op_sel:[0,0,1] op_sel_hi:[1,0,0]
	v_mov_b32_e32 v4, v123
	v_mov_b32_e32 v19, v5
	s_waitcnt lgkmcnt(2)
	v_pk_mul_f32 v[4:5], v[6:7], v[4:5] op_sel_hi:[1,0]
	v_pk_fma_f32 v[16:17], v[6:7], v[122:123], v[4:5] op_sel:[0,0,1] op_sel_hi:[1,1,0] neg_lo:[0,0,1] neg_hi:[0,0,1]
	v_pk_fma_f32 v[4:5], v[6:7], v[122:123], v[4:5] op_sel:[0,0,1] op_sel_hi:[1,0,0]
	s_waitcnt vmcnt(1)
	v_mov_b32_e32 v4, v137
	v_mov_b32_e32 v17, v5
	v_pk_mul_f32 v[4:5], v[8:9], v[4:5] op_sel_hi:[1,0]
	s_waitcnt vmcnt(0)
	v_pk_fma_f32 v[6:7], v[8:9], v[136:137], v[4:5] op_sel:[0,0,1] op_sel_hi:[1,1,0] neg_lo:[0,0,1] neg_hi:[0,0,1]
	v_pk_fma_f32 v[4:5], v[8:9], v[136:137], v[4:5] op_sel:[0,0,1] op_sel_hi:[1,0,0]
	v_pk_add_f32 v[2:3], v[2:3], v[18:19]
	v_mov_b32_e32 v4, v135
	v_pk_add_f32 v[2:3], v[2:3], v[16:17]
	v_mov_b32_e32 v7, v5
	s_waitcnt lgkmcnt(1)
	v_pk_mul_f32 v[4:5], v[10:11], v[4:5] op_sel_hi:[1,0]
	v_pk_add_f32 v[2:3], v[2:3], v[6:7]
	v_pk_fma_f32 v[6:7], v[10:11], v[134:135], v[4:5] op_sel:[0,0,1] op_sel_hi:[1,1,0] neg_lo:[0,0,1] neg_hi:[0,0,1]
	v_pk_fma_f32 v[4:5], v[10:11], v[134:135], v[4:5] op_sel:[0,0,1] op_sel_hi:[1,0,0]
	v_mov_b32_e32 v4, v133
	v_mov_b32_e32 v7, v5
	v_pk_mul_f32 v[4:5], v[12:13], v[4:5] op_sel_hi:[1,0]
	v_pk_add_f32 v[2:3], v[2:3], v[6:7]
	v_pk_fma_f32 v[6:7], v[12:13], v[132:133], v[4:5] op_sel:[0,0,1] op_sel_hi:[1,1,0] neg_lo:[0,0,1] neg_hi:[0,0,1]
	v_pk_fma_f32 v[4:5], v[12:13], v[132:133], v[4:5] op_sel:[0,0,1] op_sel_hi:[1,0,0]
	v_mov_b32_e32 v4, v131
	v_mov_b32_e32 v7, v5
	s_waitcnt lgkmcnt(0)
	v_pk_mul_f32 v[4:5], v[14:15], v[4:5] op_sel_hi:[1,0]
	v_pk_add_f32 v[2:3], v[2:3], v[6:7]
	v_pk_fma_f32 v[6:7], v[14:15], v[130:131], v[4:5] op_sel:[0,0,1] op_sel_hi:[1,1,0] neg_lo:[0,0,1] neg_hi:[0,0,1]
	v_pk_fma_f32 v[4:5], v[14:15], v[130:131], v[4:5] op_sel:[0,0,1] op_sel_hi:[1,0,0]
	v_mov_b32_e32 v7, v5
	v_pk_add_f32 v[2:3], v[2:3], v[6:7]
	v_pk_add_f32 v[2:3], v[38:39], v[2:3] neg_lo:[0,1] neg_hi:[0,1]
	buffer_store_dword v3, off, s[0:3], 0 offset:76
	buffer_store_dword v2, off, s[0:3], 0 offset:72
	s_and_saveexec_b64 s[4:5], vcc
	s_cbranch_execz .LBB124_363
; %bb.362:
	buffer_load_dword v2, off, s[0:3], 0 offset:64
	buffer_load_dword v3, off, s[0:3], 0 offset:68
	s_waitcnt vmcnt(0)
	ds_write_b64 v199, v[2:3]
	buffer_store_dword v1, off, s[0:3], 0 offset:64
	buffer_store_dword v1, off, s[0:3], 0 offset:68
.LBB124_363:
	s_or_b64 exec, exec, s[4:5]
	s_waitcnt lgkmcnt(0)
	; wave barrier
	s_waitcnt lgkmcnt(0)
	buffer_load_dword v49, off, s[0:3], 0 offset:76
	buffer_load_dword v48, off, s[0:3], 0 offset:84
	;; [unrolled: 1-line block ×32, first 2 shown]
	ds_read2_b64 v[26:29], v1 offset0:71 offset1:72
	ds_read2_b64 v[22:25], v1 offset0:73 offset1:74
	;; [unrolled: 1-line block ×4, first 2 shown]
	buffer_load_dword v143, off, s[0:3], 0 offset:192
	buffer_load_dword v144, off, s[0:3], 0 offset:196
	ds_read2_b64 v[14:17], v1 offset0:79 offset1:80
	ds_read2_b64 v[6:9], v1 offset0:81 offset1:82
	;; [unrolled: 1-line block ×3, first 2 shown]
	buffer_load_dword v145, off, s[0:3], 0 offset:200
	buffer_load_dword v146, off, s[0:3], 0 offset:204
	buffer_load_dword v147, off, s[0:3], 0 offset:208
	buffer_load_dword v148, off, s[0:3], 0 offset:212
	buffer_load_dword v149, off, s[0:3], 0 offset:216
	buffer_load_dword v150, off, s[0:3], 0 offset:220
	buffer_load_dword v151, off, s[0:3], 0 offset:224
	buffer_load_dword v152, off, s[0:3], 0 offset:228
	buffer_load_dword v153, off, s[0:3], 0 offset:232
	buffer_load_dword v154, off, s[0:3], 0 offset:236
	buffer_load_dword v155, off, s[0:3], 0 offset:240
	buffer_load_dword v156, off, s[0:3], 0 offset:244
	buffer_load_dword v157, off, s[0:3], 0 offset:248
	buffer_load_dword v158, off, s[0:3], 0 offset:252
	buffer_load_dword v159, off, s[0:3], 0 offset:256
	buffer_load_dword v160, off, s[0:3], 0 offset:260
	v_cmp_lt_u32_e32 vcc, 7, v0
	s_waitcnt vmcnt(49) lgkmcnt(6)
	v_mul_f32_e32 v30, v26, v49
	s_waitcnt vmcnt(48)
	v_mul_f32_e32 v31, v28, v48
	s_waitcnt vmcnt(47) lgkmcnt(5)
	v_mul_f32_e32 v33, v24, v47
	s_waitcnt vmcnt(46) lgkmcnt(4)
	v_mul_f32_e32 v34, v18, v46
	s_waitcnt vmcnt(45)
	v_mul_f32_e32 v35, v20, v44
	s_waitcnt vmcnt(44)
	v_mul_f32_e32 v32, v22, v50
	s_waitcnt vmcnt(43) lgkmcnt(3)
	v_mul_f32_e32 v36, v10, v45
	s_waitcnt vmcnt(42)
	v_mul_f32_e32 v37, v12, v51
	s_waitcnt vmcnt(41) lgkmcnt(2)
	;; [unrolled: 4-line block ×3, first 2 shown]
	v_mul_f32_e32 v40, v6, v54
	s_waitcnt vmcnt(38)
	v_mul_f32_e32 v41, v8, v55
	s_waitcnt vmcnt(37)
	v_fmac_f32_e32 v32, v23, v61
	s_waitcnt vmcnt(36)
	v_fmac_f32_e32 v31, v29, v64
	s_waitcnt vmcnt(35)
	v_fmac_f32_e32 v30, v27, v100
	v_add_f32_e32 v30, 0, v30
	v_add_f32_e32 v30, v30, v31
	v_add_f32_e32 v30, v30, v32
	s_waitcnt vmcnt(31)
	v_fmac_f32_e32 v33, v25, v65
	v_fmac_f32_e32 v34, v19, v63
	v_add_f32_e32 v30, v30, v33
	v_fmac_f32_e32 v35, v21, v60
	v_add_f32_e32 v30, v30, v34
	v_fmac_f32_e32 v36, v11, v58
	v_add_f32_e32 v30, v30, v35
	s_waitcnt vmcnt(27)
	v_fmac_f32_e32 v37, v13, v62
	v_add_f32_e32 v30, v30, v36
	v_fmac_f32_e32 v38, v15, v59
	v_add_f32_e32 v30, v30, v37
	;; [unrolled: 2-line block ×4, first 2 shown]
	s_waitcnt vmcnt(23)
	v_fmac_f32_e32 v41, v9, v139
	v_add_f32_e32 v30, v30, v40
	v_add_f32_e32 v34, v30, v41
	ds_read2_b64 v[30:33], v1 offset0:85 offset1:86
	buffer_load_dword v161, off, s[0:3], 0 offset:264
	buffer_load_dword v162, off, s[0:3], 0 offset:268
	;; [unrolled: 1-line block ×16, first 2 shown]
	s_waitcnt vmcnt(38) lgkmcnt(1)
	v_mul_f32_e32 v35, v2, v140
	v_fmac_f32_e32 v35, v3, v138
	v_add_f32_e32 v34, v34, v35
	s_waitcnt vmcnt(37)
	v_mul_f32_e32 v35, v4, v141
	v_fmac_f32_e32 v35, v5, v126
	v_add_f32_e32 v34, v34, v35
	s_waitcnt vmcnt(36) lgkmcnt(0)
	v_mul_f32_e32 v35, v30, v142
	v_fmac_f32_e32 v35, v31, v66
	v_add_f32_e32 v34, v34, v35
	s_waitcnt vmcnt(32)
	v_mul_f32_e32 v35, v32, v144
	v_fmac_f32_e32 v35, v33, v143
	v_add_f32_e32 v67, v34, v35
	ds_read2_b64 v[34:37], v1 offset0:87 offset1:88
	buffer_load_dword v177, off, s[0:3], 0 offset:328
	buffer_load_dword v178, off, s[0:3], 0 offset:332
	ds_read2_b64 v[38:41], v1 offset0:89 offset1:90
	buffer_load_dword v179, off, s[0:3], 0 offset:336
	buffer_load_dword v224, off, s[0:3], 0 offset:340
	;; [unrolled: 1-line block ×4, first 2 shown]
	s_waitcnt vmcnt(36) lgkmcnt(1)
	v_mul_f32_e32 v68, v34, v146
	v_fmac_f32_e32 v68, v35, v145
	v_add_f32_e32 v67, v67, v68
	s_waitcnt vmcnt(34)
	v_mul_f32_e32 v68, v36, v148
	v_fmac_f32_e32 v68, v37, v147
	v_add_f32_e32 v67, v67, v68
	s_waitcnt vmcnt(32) lgkmcnt(0)
	v_mul_f32_e32 v68, v38, v150
	v_fmac_f32_e32 v68, v39, v149
	buffer_load_dword v227, off, s[0:3], 0 offset:352
	buffer_load_dword v228, off, s[0:3], 0 offset:356
	;; [unrolled: 1-line block ×8, first 2 shown]
	v_add_f32_e32 v67, v67, v68
	buffer_load_dword v235, off, s[0:3], 0 offset:384
	buffer_load_dword v236, off, s[0:3], 0 offset:388
	;; [unrolled: 1-line block ×4, first 2 shown]
	ds_read2_b64 v[68:71], v1 offset0:91 offset1:92
	s_waitcnt vmcnt(42)
	v_mul_f32_e32 v72, v40, v152
	v_fmac_f32_e32 v72, v41, v151
	buffer_load_dword v239, off, s[0:3], 0 offset:400
	buffer_load_dword v240, off, s[0:3], 0 offset:404
	v_add_f32_e32 v67, v67, v72
	buffer_load_dword v241, off, s[0:3], 0 offset:408
	buffer_load_dword v242, off, s[0:3], 0 offset:412
	ds_read2_b64 v[72:75], v1 offset0:93 offset1:94
	s_waitcnt vmcnt(44) lgkmcnt(1)
	v_mul_f32_e32 v76, v68, v154
	v_fmac_f32_e32 v76, v69, v153
	v_add_f32_e32 v67, v67, v76
	s_waitcnt vmcnt(42)
	v_mul_f32_e32 v76, v70, v156
	v_fmac_f32_e32 v76, v71, v155
	v_add_f32_e32 v67, v67, v76
	s_waitcnt vmcnt(40) lgkmcnt(0)
	v_mul_f32_e32 v76, v72, v158
	v_fmac_f32_e32 v76, v73, v157
	buffer_load_dword v243, off, s[0:3], 0 offset:416
	buffer_load_dword v244, off, s[0:3], 0 offset:420
	v_add_f32_e32 v67, v67, v76
	ds_read2_b64 v[76:79], v1 offset0:95 offset1:96
	s_waitcnt vmcnt(40)
	v_mul_f32_e32 v80, v74, v160
	v_fmac_f32_e32 v80, v75, v159
	v_add_f32_e32 v67, v67, v80
	ds_read2_b64 v[80:83], v1 offset0:97 offset1:98
	ds_read2_b64 v[104:107], v1 offset0:107 offset1:108
	;; [unrolled: 1-line block ×5, first 2 shown]
	v_mul_f32_e32 v27, v27, v49
	v_fma_f32 v26, v26, v100, -v27
	v_mul_f32_e32 v27, v29, v48
	v_add_f32_e32 v26, 0, v26
	v_fma_f32 v27, v28, v64, -v27
	v_mul_f32_e32 v23, v23, v50
	v_add_f32_e32 v26, v26, v27
	;; [unrolled: 3-line block ×4, first 2 shown]
	v_fma_f32 v18, v18, v63, -v19
	s_waitcnt vmcnt(38) lgkmcnt(5)
	v_mul_f32_e32 v84, v76, v162
	v_fmac_f32_e32 v84, v77, v161
	v_add_f32_e32 v67, v67, v84
	s_waitcnt vmcnt(36)
	v_mul_f32_e32 v84, v78, v164
	v_fmac_f32_e32 v84, v79, v163
	v_add_f32_e32 v67, v67, v84
	s_waitcnt vmcnt(34) lgkmcnt(4)
	v_mul_f32_e32 v84, v80, v166
	v_fmac_f32_e32 v84, v81, v165
	v_add_f32_e32 v67, v67, v84
	ds_read2_b64 v[84:87], v1 offset0:99 offset1:100
	s_waitcnt vmcnt(32)
	v_mul_f32_e32 v88, v82, v168
	v_fmac_f32_e32 v88, v83, v167
	v_add_f32_e32 v67, v67, v88
	ds_read2_b64 v[88:91], v1 offset0:101 offset1:102
	s_waitcnt vmcnt(30) lgkmcnt(1)
	v_mul_f32_e32 v92, v84, v170
	v_fmac_f32_e32 v92, v85, v169
	v_add_f32_e32 v67, v67, v92
	s_waitcnt vmcnt(28)
	v_mul_f32_e32 v92, v86, v172
	v_fmac_f32_e32 v92, v87, v171
	v_add_f32_e32 v67, v67, v92
	s_waitcnt vmcnt(26) lgkmcnt(0)
	v_mul_f32_e32 v92, v88, v174
	v_fmac_f32_e32 v92, v89, v173
	s_waitcnt vmcnt(24)
	v_mul_f32_e32 v96, v90, v176
	v_add_f32_e32 v67, v67, v92
	v_fmac_f32_e32 v96, v91, v175
	ds_read2_b64 v[92:95], v1 offset0:103 offset1:104
	v_add_f32_e32 v67, v67, v96
	ds_read2_b64 v[96:99], v1 offset0:105 offset1:106
	buffer_load_dword v121, off, s[0:3], 0 offset:444
	buffer_load_dword v120, off, s[0:3], 0 offset:440
	;; [unrolled: 1-line block ×6, first 2 shown]
	v_mul_f32_e32 v19, v21, v44
	v_add_f32_e32 v18, v22, v18
	v_fma_f32 v19, v20, v60, -v19
	v_mul_f32_e32 v11, v11, v45
	v_add_f32_e32 v18, v18, v19
	v_fma_f32 v10, v10, v58, -v11
	;; [unrolled: 3-line block ×3, first 2 shown]
	buffer_load_dword v129, off, s[0:3], 0 offset:476
	buffer_load_dword v128, off, s[0:3], 0 offset:472
	;; [unrolled: 1-line block ×10, first 2 shown]
	v_add_f32_e32 v10, v10, v11
	v_mul_f32_e32 v11, v15, v52
	v_fma_f32 v11, v14, v59, -v11
	v_add_f32_e32 v10, v10, v11
	v_mul_f32_e32 v11, v17, v53
	v_fma_f32 v11, v16, v57, -v11
	v_mul_f32_e32 v7, v7, v54
	v_add_f32_e32 v10, v10, v11
	v_fma_f32 v6, v6, v56, -v7
	v_mul_f32_e32 v7, v9, v55
	v_add_f32_e32 v6, v10, v6
	;; [unrolled: 3-line block ×4, first 2 shown]
	v_fma_f32 v3, v4, v126, -v3
	v_add_f32_e32 v2, v2, v3
	v_mul_f32_e32 v3, v31, v142
	v_fma_f32 v3, v30, v66, -v3
	v_add_f32_e32 v2, v2, v3
	v_mul_f32_e32 v3, v33, v144
	;; [unrolled: 3-line block ×18, first 2 shown]
	v_fma_f32 v3, v90, v175, -v3
	v_add_f32_e32 v2, v2, v3
	s_waitcnt vmcnt(38) lgkmcnt(1)
	v_mul_f32_e32 v3, v93, v178
	v_fma_f32 v3, v92, v177, -v3
	v_add_f32_e32 v2, v2, v3
	s_waitcnt vmcnt(36)
	v_mul_f32_e32 v3, v95, v224
	v_mul_f32_e32 v101, v92, v178
	v_fma_f32 v3, v94, v179, -v3
	v_fmac_f32_e32 v101, v93, v177
	v_add_f32_e32 v2, v2, v3
	s_waitcnt vmcnt(34) lgkmcnt(0)
	v_mul_f32_e32 v3, v97, v226
	v_add_f32_e32 v67, v67, v101
	v_mul_f32_e32 v101, v94, v224
	v_fma_f32 v3, v96, v225, -v3
	v_fmac_f32_e32 v101, v95, v179
	v_add_f32_e32 v2, v2, v3
	s_waitcnt vmcnt(32)
	v_mul_f32_e32 v3, v99, v228
	v_add_f32_e32 v67, v67, v101
	v_mul_f32_e32 v101, v96, v226
	v_fma_f32 v3, v98, v227, -v3
	v_fmac_f32_e32 v101, v97, v225
	v_add_f32_e32 v2, v2, v3
	s_waitcnt vmcnt(30)
	v_mul_f32_e32 v3, v105, v230
	v_add_f32_e32 v67, v67, v101
	v_mul_f32_e32 v101, v98, v228
	v_fma_f32 v3, v104, v229, -v3
	v_fmac_f32_e32 v101, v99, v227
	v_add_f32_e32 v2, v2, v3
	s_waitcnt vmcnt(28)
	v_mul_f32_e32 v3, v107, v232
	v_add_f32_e32 v67, v67, v101
	v_mul_f32_e32 v101, v104, v230
	v_fma_f32 v3, v106, v231, -v3
	v_fmac_f32_e32 v101, v105, v229
	v_add_f32_e32 v2, v2, v3
	s_waitcnt vmcnt(26)
	v_mul_f32_e32 v3, v109, v234
	v_add_f32_e32 v67, v67, v101
	v_mul_f32_e32 v101, v106, v232
	v_fma_f32 v3, v108, v233, -v3
	v_fmac_f32_e32 v101, v107, v231
	v_add_f32_e32 v2, v2, v3
	s_waitcnt vmcnt(24)
	v_mul_f32_e32 v3, v111, v236
	v_add_f32_e32 v67, v67, v101
	v_mul_f32_e32 v101, v108, v234
	v_fma_f32 v3, v110, v235, -v3
	v_fmac_f32_e32 v101, v109, v233
	v_add_f32_e32 v2, v2, v3
	s_waitcnt vmcnt(22)
	v_mul_f32_e32 v3, v113, v238
	v_add_f32_e32 v67, v67, v101
	v_mul_f32_e32 v101, v110, v236
	v_fma_f32 v3, v112, v237, -v3
	v_fmac_f32_e32 v101, v111, v235
	v_add_f32_e32 v2, v2, v3
	s_waitcnt vmcnt(20)
	v_mul_f32_e32 v3, v115, v240
	v_add_f32_e32 v67, v67, v101
	v_mul_f32_e32 v101, v112, v238
	v_fma_f32 v3, v114, v239, -v3
	v_fmac_f32_e32 v101, v113, v237
	v_add_f32_e32 v66, v2, v3
	s_waitcnt vmcnt(18)
	v_mul_f32_e32 v2, v117, v242
	v_add_f32_e32 v67, v67, v101
	v_mul_f32_e32 v101, v114, v240
	v_fma_f32 v100, v116, v241, -v2
	s_waitcnt vmcnt(16)
	v_mul_f32_e32 v2, v119, v244
	v_fmac_f32_e32 v101, v115, v239
	v_fma_f32 v126, v118, v243, -v2
	ds_read2_b64 v[2:5], v1 offset0:115 offset1:116
	ds_read2_b64 v[6:9], v1 offset0:117 offset1:118
	;; [unrolled: 1-line block ×4, first 2 shown]
	v_add_f32_e32 v67, v67, v101
	v_mul_f32_e32 v101, v116, v242
	s_waitcnt vmcnt(11)
	v_mov_b32_e32 v20, v125
	v_fmac_f32_e32 v101, v117, v241
	v_mul_f32_e32 v127, v118, v244
	s_waitcnt lgkmcnt(3)
	v_pk_mul_f32 v[20:21], v[2:3], v[20:21] op_sel_hi:[1,0]
	v_fmac_f32_e32 v127, v119, v243
	v_pk_add_f32 v[18:19], v[66:67], v[100:101]
	s_waitcnt vmcnt(10)
	v_pk_fma_f32 v[22:23], v[2:3], v[124:125], v[20:21] op_sel:[0,0,1] op_sel_hi:[1,1,0] neg_lo:[0,0,1] neg_hi:[0,0,1]
	v_pk_fma_f32 v[2:3], v[2:3], v[124:125], v[20:21] op_sel:[0,0,1] op_sel_hi:[1,0,0]
	v_pk_add_f32 v[18:19], v[18:19], v[126:127]
	v_mov_b32_e32 v23, v3
	v_pk_add_f32 v[2:3], v[18:19], v[22:23]
	v_mov_b32_e32 v18, v123
	v_pk_mul_f32 v[18:19], v[4:5], v[18:19] op_sel_hi:[1,0]
	v_pk_fma_f32 v[20:21], v[4:5], v[122:123], v[18:19] op_sel:[0,0,1] op_sel_hi:[1,1,0] neg_lo:[0,0,1] neg_hi:[0,0,1]
	v_pk_fma_f32 v[4:5], v[4:5], v[122:123], v[18:19] op_sel:[0,0,1] op_sel_hi:[1,0,0]
	v_mov_b32_e32 v4, v121
	v_mov_b32_e32 v21, v5
	s_waitcnt lgkmcnt(2)
	v_pk_mul_f32 v[4:5], v[6:7], v[4:5] op_sel_hi:[1,0]
	v_pk_fma_f32 v[18:19], v[6:7], v[120:121], v[4:5] op_sel:[0,0,1] op_sel_hi:[1,1,0] neg_lo:[0,0,1] neg_hi:[0,0,1]
	v_pk_fma_f32 v[4:5], v[6:7], v[120:121], v[4:5] op_sel:[0,0,1] op_sel_hi:[1,0,0]
	s_waitcnt vmcnt(3)
	v_mov_b32_e32 v4, v135
	v_mov_b32_e32 v19, v5
	v_pk_mul_f32 v[4:5], v[8:9], v[4:5] op_sel_hi:[1,0]
	s_waitcnt vmcnt(2)
	v_pk_fma_f32 v[6:7], v[8:9], v[134:135], v[4:5] op_sel:[0,0,1] op_sel_hi:[1,1,0] neg_lo:[0,0,1] neg_hi:[0,0,1]
	v_pk_fma_f32 v[4:5], v[8:9], v[134:135], v[4:5] op_sel:[0,0,1] op_sel_hi:[1,0,0]
	v_pk_add_f32 v[2:3], v[2:3], v[20:21]
	v_mov_b32_e32 v4, v133
	v_pk_add_f32 v[2:3], v[2:3], v[18:19]
	v_mov_b32_e32 v7, v5
	s_waitcnt lgkmcnt(1)
	v_pk_mul_f32 v[4:5], v[10:11], v[4:5] op_sel_hi:[1,0]
	v_pk_add_f32 v[2:3], v[2:3], v[6:7]
	v_pk_fma_f32 v[6:7], v[10:11], v[132:133], v[4:5] op_sel:[0,0,1] op_sel_hi:[1,1,0] neg_lo:[0,0,1] neg_hi:[0,0,1]
	v_pk_fma_f32 v[4:5], v[10:11], v[132:133], v[4:5] op_sel:[0,0,1] op_sel_hi:[1,0,0]
	v_mov_b32_e32 v4, v131
	v_mov_b32_e32 v7, v5
	v_pk_mul_f32 v[4:5], v[12:13], v[4:5] op_sel_hi:[1,0]
	v_pk_add_f32 v[2:3], v[2:3], v[6:7]
	v_pk_fma_f32 v[6:7], v[12:13], v[130:131], v[4:5] op_sel:[0,0,1] op_sel_hi:[1,1,0] neg_lo:[0,0,1] neg_hi:[0,0,1]
	v_pk_fma_f32 v[4:5], v[12:13], v[130:131], v[4:5] op_sel:[0,0,1] op_sel_hi:[1,0,0]
	v_mov_b32_e32 v4, v129
	v_mov_b32_e32 v7, v5
	s_waitcnt lgkmcnt(0)
	v_pk_mul_f32 v[4:5], v[14:15], v[4:5] op_sel_hi:[1,0]
	v_pk_add_f32 v[2:3], v[2:3], v[6:7]
	v_pk_fma_f32 v[6:7], v[14:15], v[128:129], v[4:5] op_sel:[0,0,1] op_sel_hi:[1,1,0] neg_lo:[0,0,1] neg_hi:[0,0,1]
	v_pk_fma_f32 v[4:5], v[14:15], v[128:129], v[4:5] op_sel:[0,0,1] op_sel_hi:[1,0,0]
	s_waitcnt vmcnt(1)
	v_mov_b32_e32 v4, v137
	v_mov_b32_e32 v7, v5
	v_pk_mul_f32 v[4:5], v[16:17], v[4:5] op_sel_hi:[1,0]
	v_pk_add_f32 v[2:3], v[2:3], v[6:7]
	s_waitcnt vmcnt(0)
	v_pk_fma_f32 v[6:7], v[16:17], v[136:137], v[4:5] op_sel:[0,0,1] op_sel_hi:[1,1,0] neg_lo:[0,0,1] neg_hi:[0,0,1]
	v_pk_fma_f32 v[4:5], v[16:17], v[136:137], v[4:5] op_sel:[0,0,1] op_sel_hi:[1,0,0]
	v_mov_b32_e32 v7, v5
	v_pk_add_f32 v[2:3], v[2:3], v[6:7]
	v_pk_add_f32 v[2:3], v[42:43], v[2:3] neg_lo:[0,1] neg_hi:[0,1]
	buffer_store_dword v3, off, s[0:3], 0 offset:68
	buffer_store_dword v2, off, s[0:3], 0 offset:64
	s_and_saveexec_b64 s[4:5], vcc
	s_cbranch_execz .LBB124_365
; %bb.364:
	buffer_load_dword v2, off, s[0:3], 0 offset:56
	buffer_load_dword v3, off, s[0:3], 0 offset:60
	v_mov_b32_e32 v1, 0
	buffer_store_dword v1, off, s[0:3], 0 offset:56
	buffer_store_dword v1, off, s[0:3], 0 offset:60
	s_waitcnt vmcnt(2)
	ds_write_b64 v199, v[2:3]
.LBB124_365:
	s_or_b64 exec, exec, s[4:5]
	v_mov_b32_e32 v240, 0
	s_waitcnt lgkmcnt(0)
	; wave barrier
	s_waitcnt lgkmcnt(0)
	ds_read_b128 v[2:5], v240 offset:560
	buffer_load_dword v94, off, s[0:3], 0 offset:56
	buffer_load_dword v95, off, s[0:3], 0 offset:60
	;; [unrolled: 1-line block ×16, first 2 shown]
	v_cmp_lt_u32_e32 vcc, 6, v0
	s_waitcnt vmcnt(12) lgkmcnt(0)
	v_mul_f32_e32 v6, v2, v104
	v_fmac_f32_e32 v6, v3, v1
	s_waitcnt vmcnt(10)
	v_mul_f32_e32 v7, v4, v106
	v_add_f32_e32 v6, 0, v6
	v_fmac_f32_e32 v7, v5, v96
	v_add_f32_e32 v10, v6, v7
	ds_read_b128 v[6:9], v240 offset:576
	v_mul_f32_e32 v3, v3, v104
	v_fma_f32 v1, v2, v1, -v3
	v_mul_f32_e32 v2, v5, v106
	v_add_f32_e32 v1, 0, v1
	s_waitcnt vmcnt(8) lgkmcnt(0)
	v_mul_f32_e32 v11, v6, v108
	v_fmac_f32_e32 v11, v7, v98
	v_add_f32_e32 v10, v10, v11
	s_waitcnt vmcnt(6)
	v_mul_f32_e32 v11, v8, v224
	v_fmac_f32_e32 v11, v9, v105
	v_add_f32_e32 v14, v10, v11
	ds_read_b128 v[10:13], v240 offset:592
	v_fma_f32 v2, v4, v96, -v2
	v_add_f32_e32 v1, v1, v2
	v_mul_f32_e32 v2, v7, v108
	v_fma_f32 v2, v6, v98, -v2
	s_waitcnt vmcnt(4) lgkmcnt(0)
	v_mul_f32_e32 v15, v10, v242
	v_fmac_f32_e32 v15, v11, v107
	v_add_f32_e32 v14, v14, v15
	s_waitcnt vmcnt(2)
	v_mul_f32_e32 v15, v12, v243
	v_fmac_f32_e32 v15, v13, v109
	v_add_f32_e32 v18, v14, v15
	ds_read_b128 v[14:17], v240 offset:608
	buffer_load_dword v110, off, s[0:3], 0 offset:120
	buffer_load_dword v111, off, s[0:3], 0 offset:124
	v_add_f32_e32 v1, v1, v2
	v_mul_f32_e32 v2, v9, v224
	v_fma_f32 v2, v8, v105, -v2
	s_waitcnt vmcnt(2) lgkmcnt(0)
	v_mul_f32_e32 v19, v14, v244
	v_fmac_f32_e32 v19, v15, v241
	v_add_f32_e32 v18, v18, v19
	v_add_f32_e32 v1, v1, v2
	v_mul_f32_e32 v2, v11, v242
	v_fma_f32 v2, v10, v107, -v2
	v_add_f32_e32 v1, v1, v2
	v_mul_f32_e32 v2, v13, v243
	v_fma_f32 v2, v12, v109, -v2
	;; [unrolled: 3-line block ×3, first 2 shown]
	v_add_f32_e32 v1, v1, v2
	s_waitcnt vmcnt(0)
	v_mul_f32_e32 v19, v16, v111
	v_fmac_f32_e32 v19, v17, v110
	v_add_f32_e32 v22, v18, v19
	ds_read_b128 v[18:21], v240 offset:624
	buffer_load_dword v112, off, s[0:3], 0 offset:128
	buffer_load_dword v113, off, s[0:3], 0 offset:132
	;; [unrolled: 1-line block ×4, first 2 shown]
	v_mul_f32_e32 v2, v17, v111
	v_fma_f32 v2, v16, v110, -v2
	v_add_f32_e32 v1, v1, v2
	s_waitcnt vmcnt(2) lgkmcnt(0)
	v_mul_f32_e32 v23, v18, v113
	v_fmac_f32_e32 v23, v19, v112
	v_add_f32_e32 v22, v22, v23
	s_waitcnt vmcnt(0)
	v_mul_f32_e32 v23, v20, v115
	v_fmac_f32_e32 v23, v21, v114
	v_add_f32_e32 v26, v22, v23
	ds_read_b128 v[22:25], v240 offset:640
	buffer_load_dword v116, off, s[0:3], 0 offset:144
	buffer_load_dword v117, off, s[0:3], 0 offset:148
	buffer_load_dword v118, off, s[0:3], 0 offset:152
	buffer_load_dword v119, off, s[0:3], 0 offset:156
	v_mul_f32_e32 v2, v19, v113
	v_fma_f32 v2, v18, v112, -v2
	v_add_f32_e32 v1, v1, v2
	v_mul_f32_e32 v2, v21, v115
	v_fma_f32 v2, v20, v114, -v2
	v_add_f32_e32 v1, v1, v2
	s_waitcnt vmcnt(2) lgkmcnt(0)
	v_mul_f32_e32 v27, v22, v117
	v_fmac_f32_e32 v27, v23, v116
	v_add_f32_e32 v26, v26, v27
	s_waitcnt vmcnt(0)
	v_mul_f32_e32 v27, v24, v119
	v_fmac_f32_e32 v27, v25, v118
	v_add_f32_e32 v30, v26, v27
	ds_read_b128 v[26:29], v240 offset:656
	buffer_load_dword v120, off, s[0:3], 0 offset:160
	buffer_load_dword v121, off, s[0:3], 0 offset:164
	buffer_load_dword v122, off, s[0:3], 0 offset:168
	buffer_load_dword v123, off, s[0:3], 0 offset:172
	v_mul_f32_e32 v2, v23, v117
	v_fma_f32 v2, v22, v116, -v2
	v_add_f32_e32 v1, v1, v2
	;; [unrolled: 19-line block ×4, first 2 shown]
	v_mul_f32_e32 v2, v33, v127
	v_fma_f32 v2, v32, v126, -v2
	v_add_f32_e32 v1, v1, v2
	s_waitcnt vmcnt(2) lgkmcnt(0)
	v_mul_f32_e32 v39, v34, v129
	v_fmac_f32_e32 v39, v35, v128
	v_add_f32_e32 v38, v38, v39
	s_waitcnt vmcnt(0)
	v_mul_f32_e32 v39, v36, v131
	v_fmac_f32_e32 v39, v37, v130
	v_add_f32_e32 v42, v38, v39
	ds_read_b128 v[38:41], v240 offset:704
	buffer_load_dword v132, off, s[0:3], 0 offset:208
	buffer_load_dword v133, off, s[0:3], 0 offset:212
	buffer_load_dword v134, off, s[0:3], 0 offset:216
	buffer_load_dword v135, off, s[0:3], 0 offset:220
	ds_read_b128 v[46:49], v240 offset:720
	buffer_load_dword v136, off, s[0:3], 0 offset:224
	buffer_load_dword v137, off, s[0:3], 0 offset:228
	buffer_load_dword v138, off, s[0:3], 0 offset:232
	buffer_load_dword v139, off, s[0:3], 0 offset:236
	;; [unrolled: 5-line block ×13, first 2 shown]
	v_mul_f32_e32 v2, v35, v129
	v_fma_f32 v2, v34, v128, -v2
	v_add_f32_e32 v1, v1, v2
	v_mul_f32_e32 v2, v37, v131
	v_fma_f32 v2, v36, v130, -v2
	v_add_f32_e32 v1, v1, v2
	s_waitcnt vmcnt(50) lgkmcnt(12)
	v_mul_f32_e32 v43, v38, v133
	v_fmac_f32_e32 v43, v39, v132
	v_add_f32_e32 v42, v42, v43
	s_waitcnt vmcnt(48)
	v_mul_f32_e32 v43, v40, v135
	v_fmac_f32_e32 v43, v41, v134
	v_add_f32_e32 v42, v42, v43
	s_waitcnt vmcnt(46) lgkmcnt(11)
	v_mul_f32_e32 v43, v46, v137
	v_fmac_f32_e32 v43, v47, v136
	v_add_f32_e32 v42, v42, v43
	s_waitcnt vmcnt(44)
	v_mul_f32_e32 v43, v48, v139
	v_fmac_f32_e32 v43, v49, v138
	;; [unrolled: 8-line block ×12, first 2 shown]
	v_add_f32_e32 v42, v42, v43
	s_waitcnt vmcnt(2) lgkmcnt(0)
	v_mul_f32_e32 v43, v90, v246
	v_fmac_f32_e32 v43, v91, v179
	v_add_f32_e32 v97, v42, v43
	ds_read_b128 v[42:45], v240 offset:912
	buffer_load_dword v249, off, s[0:3], 0 offset:416
	buffer_load_dword v250, off, s[0:3], 0 offset:420
	buffer_load_dword v101, off, s[0:3], 0 offset:428
	buffer_load_dword v100, off, s[0:3], 0 offset:424
	buffer_load_dword v239, off, s[0:3], 0 offset:436
	buffer_load_dword v238, off, s[0:3], 0 offset:432
	buffer_load_dword v237, off, s[0:3], 0 offset:444
	buffer_load_dword v236, off, s[0:3], 0 offset:440
	buffer_load_dword v235, off, s[0:3], 0 offset:452
	buffer_load_dword v234, off, s[0:3], 0 offset:448
	buffer_load_dword v233, off, s[0:3], 0 offset:460
	buffer_load_dword v232, off, s[0:3], 0 offset:456
	buffer_load_dword v231, off, s[0:3], 0 offset:468
	buffer_load_dword v230, off, s[0:3], 0 offset:464
	buffer_load_dword v229, off, s[0:3], 0 offset:476
	buffer_load_dword v228, off, s[0:3], 0 offset:472
	buffer_load_dword v227, off, s[0:3], 0 offset:484
	buffer_load_dword v226, off, s[0:3], 0 offset:480
	v_mul_f32_e32 v2, v39, v133
	v_fma_f32 v2, v38, v132, -v2
	v_add_f32_e32 v1, v1, v2
	v_mul_f32_e32 v2, v41, v135
	v_fma_f32 v2, v40, v134, -v2
	v_add_f32_e32 v1, v1, v2
	;; [unrolled: 3-line block ×24, first 2 shown]
	v_mul_f32_e32 v2, v91, v246
	v_fma_f32 v2, v90, v179, -v2
	s_waitcnt vmcnt(15)
	v_mov_b32_e32 v18, v101
	v_mul_f32_e32 v99, v92, v248
	v_add_f32_e32 v96, v1, v2
	v_mul_f32_e32 v1, v93, v248
	s_waitcnt lgkmcnt(0)
	v_pk_mul_f32 v[18:19], v[44:45], v[18:19] op_sel_hi:[1,0]
	v_fmac_f32_e32 v99, v93, v247
	v_mul_f32_e32 v225, v42, v250
	v_fma_f32 v98, v92, v247, -v1
	v_mul_f32_e32 v1, v43, v250
	ds_read_b128 v[2:5], v240 offset:928
	ds_read_b128 v[6:9], v240 offset:944
	;; [unrolled: 1-line block ×3, first 2 shown]
	ds_read_b64 v[14:15], v240 offset:976
	s_waitcnt vmcnt(14)
	v_pk_fma_f32 v[20:21], v[44:45], v[100:101], v[18:19] op_sel:[0,0,1] op_sel_hi:[1,1,0] neg_lo:[0,0,1] neg_hi:[0,0,1]
	v_pk_fma_f32 v[18:19], v[44:45], v[100:101], v[18:19] op_sel:[0,0,1] op_sel_hi:[1,0,0]
	v_fmac_f32_e32 v225, v43, v249
	v_fma_f32 v224, v42, v249, -v1
	v_pk_add_f32 v[16:17], v[96:97], v[98:99]
	s_waitcnt vmcnt(13)
	v_mov_b32_e32 v18, v239
	v_pk_add_f32 v[16:17], v[16:17], v[224:225]
	v_mov_b32_e32 v21, v19
	s_waitcnt lgkmcnt(3)
	v_pk_mul_f32 v[18:19], v[2:3], v[18:19] op_sel_hi:[1,0]
	v_pk_add_f32 v[16:17], v[16:17], v[20:21]
	s_waitcnt vmcnt(12)
	v_pk_fma_f32 v[20:21], v[2:3], v[238:239], v[18:19] op_sel:[0,0,1] op_sel_hi:[1,1,0] neg_lo:[0,0,1] neg_hi:[0,0,1]
	v_pk_fma_f32 v[2:3], v[2:3], v[238:239], v[18:19] op_sel:[0,0,1] op_sel_hi:[1,0,0]
	v_mov_b32_e32 v21, v3
	v_pk_add_f32 v[2:3], v[16:17], v[20:21]
	s_waitcnt vmcnt(11)
	v_mov_b32_e32 v16, v237
	v_pk_mul_f32 v[16:17], v[4:5], v[16:17] op_sel_hi:[1,0]
	s_waitcnt vmcnt(10)
	v_pk_fma_f32 v[18:19], v[4:5], v[236:237], v[16:17] op_sel:[0,0,1] op_sel_hi:[1,1,0] neg_lo:[0,0,1] neg_hi:[0,0,1]
	v_pk_fma_f32 v[4:5], v[4:5], v[236:237], v[16:17] op_sel:[0,0,1] op_sel_hi:[1,0,0]
	s_waitcnt vmcnt(9)
	v_mov_b32_e32 v4, v235
	v_mov_b32_e32 v19, v5
	s_waitcnt lgkmcnt(2)
	v_pk_mul_f32 v[4:5], v[6:7], v[4:5] op_sel_hi:[1,0]
	s_waitcnt vmcnt(8)
	v_pk_fma_f32 v[16:17], v[6:7], v[234:235], v[4:5] op_sel:[0,0,1] op_sel_hi:[1,1,0] neg_lo:[0,0,1] neg_hi:[0,0,1]
	v_pk_fma_f32 v[4:5], v[6:7], v[234:235], v[4:5] op_sel:[0,0,1] op_sel_hi:[1,0,0]
	s_waitcnt vmcnt(7)
	v_mov_b32_e32 v4, v233
	v_mov_b32_e32 v17, v5
	v_pk_mul_f32 v[4:5], v[8:9], v[4:5] op_sel_hi:[1,0]
	s_waitcnt vmcnt(6)
	v_pk_fma_f32 v[6:7], v[8:9], v[232:233], v[4:5] op_sel:[0,0,1] op_sel_hi:[1,1,0] neg_lo:[0,0,1] neg_hi:[0,0,1]
	v_pk_fma_f32 v[4:5], v[8:9], v[232:233], v[4:5] op_sel:[0,0,1] op_sel_hi:[1,0,0]
	v_pk_add_f32 v[2:3], v[2:3], v[18:19]
	s_waitcnt vmcnt(5)
	v_mov_b32_e32 v4, v231
	v_pk_add_f32 v[2:3], v[2:3], v[16:17]
	v_mov_b32_e32 v7, v5
	s_waitcnt lgkmcnt(1)
	v_pk_mul_f32 v[4:5], v[10:11], v[4:5] op_sel_hi:[1,0]
	v_pk_add_f32 v[2:3], v[2:3], v[6:7]
	s_waitcnt vmcnt(4)
	v_pk_fma_f32 v[6:7], v[10:11], v[230:231], v[4:5] op_sel:[0,0,1] op_sel_hi:[1,1,0] neg_lo:[0,0,1] neg_hi:[0,0,1]
	v_pk_fma_f32 v[4:5], v[10:11], v[230:231], v[4:5] op_sel:[0,0,1] op_sel_hi:[1,0,0]
	s_waitcnt vmcnt(3)
	v_mov_b32_e32 v4, v229
	v_mov_b32_e32 v7, v5
	v_pk_mul_f32 v[4:5], v[12:13], v[4:5] op_sel_hi:[1,0]
	v_pk_add_f32 v[2:3], v[2:3], v[6:7]
	s_waitcnt vmcnt(2)
	v_pk_fma_f32 v[6:7], v[12:13], v[228:229], v[4:5] op_sel:[0,0,1] op_sel_hi:[1,1,0] neg_lo:[0,0,1] neg_hi:[0,0,1]
	v_pk_fma_f32 v[4:5], v[12:13], v[228:229], v[4:5] op_sel:[0,0,1] op_sel_hi:[1,0,0]
	s_waitcnt vmcnt(1)
	v_mov_b32_e32 v4, v227
	v_mov_b32_e32 v7, v5
	s_waitcnt lgkmcnt(0)
	v_pk_mul_f32 v[4:5], v[14:15], v[4:5] op_sel_hi:[1,0]
	v_pk_add_f32 v[2:3], v[2:3], v[6:7]
	s_waitcnt vmcnt(0)
	v_pk_fma_f32 v[6:7], v[14:15], v[226:227], v[4:5] op_sel:[0,0,1] op_sel_hi:[1,1,0] neg_lo:[0,0,1] neg_hi:[0,0,1]
	v_pk_fma_f32 v[4:5], v[14:15], v[226:227], v[4:5] op_sel:[0,0,1] op_sel_hi:[1,0,0]
	v_mov_b32_e32 v7, v5
	v_pk_add_f32 v[2:3], v[2:3], v[6:7]
	v_pk_add_f32 v[2:3], v[94:95], v[2:3] neg_lo:[0,1] neg_hi:[0,1]
	buffer_store_dword v3, off, s[0:3], 0 offset:60
	buffer_store_dword v2, off, s[0:3], 0 offset:56
	s_and_saveexec_b64 s[4:5], vcc
	s_cbranch_execz .LBB124_367
; %bb.366:
	buffer_load_dword v2, off, s[0:3], 0 offset:48
	buffer_load_dword v3, off, s[0:3], 0 offset:52
	s_waitcnt vmcnt(0)
	ds_write_b64 v199, v[2:3]
	buffer_store_dword v240, off, s[0:3], 0 offset:48
	buffer_store_dword v240, off, s[0:3], 0 offset:52
.LBB124_367:
	s_or_b64 exec, exec, s[4:5]
	s_waitcnt lgkmcnt(0)
	; wave barrier
	s_waitcnt lgkmcnt(0)
	buffer_load_dword v48, off, s[0:3], 0 offset:60
	buffer_load_dword v47, off, s[0:3], 0 offset:68
	;; [unrolled: 1-line block ×34, first 2 shown]
	ds_read2_b64 v[30:33], v240 offset0:69 offset1:70
	ds_read2_b64 v[26:29], v240 offset0:71 offset1:72
	;; [unrolled: 1-line block ×6, first 2 shown]
	buffer_load_dword v152, off, s[0:3], 0 offset:184
	buffer_load_dword v153, off, s[0:3], 0 offset:188
	ds_read2_b64 v[10:13], v240 offset0:81 offset1:82
	ds_read2_b64 v[2:5], v240 offset0:83 offset1:84
	buffer_load_dword v154, off, s[0:3], 0 offset:192
	buffer_load_dword v155, off, s[0:3], 0 offset:196
	;; [unrolled: 1-line block ×24, first 2 shown]
	v_cmp_lt_u32_e32 vcc, 5, v0
	s_waitcnt vmcnt(59) lgkmcnt(7)
	v_mul_f32_e32 v34, v30, v48
	s_waitcnt vmcnt(58)
	v_mul_f32_e32 v35, v32, v47
	s_waitcnt vmcnt(57) lgkmcnt(6)
	v_mul_f32_e32 v37, v28, v46
	s_waitcnt vmcnt(56) lgkmcnt(5)
	v_mul_f32_e32 v38, v22, v45
	s_waitcnt vmcnt(55)
	v_mul_f32_e32 v39, v24, v1
	s_waitcnt vmcnt(54)
	v_mul_f32_e32 v36, v26, v49
	s_waitcnt vmcnt(53) lgkmcnt(4)
	v_mul_f32_e32 v40, v18, v44
	s_waitcnt vmcnt(52)
	v_mul_f32_e32 v41, v20, v110
	s_waitcnt vmcnt(51) lgkmcnt(3)
	;; [unrolled: 4-line block ×3, first 2 shown]
	v_mul_f32_e32 v52, v6, v130
	s_waitcnt vmcnt(48)
	v_mul_f32_e32 v53, v8, v131
	s_waitcnt vmcnt(47)
	v_fmac_f32_e32 v36, v27, v132
	s_waitcnt vmcnt(46)
	v_fmac_f32_e32 v35, v33, v133
	;; [unrolled: 2-line block ×3, first 2 shown]
	v_add_f32_e32 v34, 0, v34
	v_add_f32_e32 v34, v34, v35
	;; [unrolled: 1-line block ×3, first 2 shown]
	s_waitcnt vmcnt(41)
	v_fmac_f32_e32 v37, v29, v138
	v_fmac_f32_e32 v38, v23, v137
	v_add_f32_e32 v34, v34, v37
	v_fmac_f32_e32 v39, v25, v136
	v_add_f32_e32 v34, v34, v38
	;; [unrolled: 2-line block ×3, first 2 shown]
	s_waitcnt vmcnt(37)
	v_fmac_f32_e32 v41, v21, v142
	v_add_f32_e32 v34, v34, v40
	v_fmac_f32_e32 v50, v15, v141
	v_add_f32_e32 v34, v34, v41
	;; [unrolled: 2-line block ×4, first 2 shown]
	s_waitcnt vmcnt(33)
	v_fmac_f32_e32 v53, v9, v146
	v_add_f32_e32 v34, v34, v52
	s_waitcnt vmcnt(32) lgkmcnt(1)
	v_mul_f32_e32 v35, v10, v147
	v_add_f32_e32 v34, v34, v53
	v_fmac_f32_e32 v35, v11, v145
	v_add_f32_e32 v34, v34, v35
	s_waitcnt vmcnt(31)
	v_mul_f32_e32 v35, v12, v148
	v_fmac_f32_e32 v35, v13, v144
	v_add_f32_e32 v34, v34, v35
	s_waitcnt vmcnt(30) lgkmcnt(0)
	v_mul_f32_e32 v35, v2, v149
	v_fmac_f32_e32 v35, v3, v143
	v_add_f32_e32 v38, v34, v35
	ds_read2_b64 v[34:37], v240 offset0:85 offset1:86
	buffer_load_dword v178, off, s[0:3], 0 offset:288
	buffer_load_dword v179, off, s[0:3], 0 offset:292
	;; [unrolled: 1-line block ×4, first 2 shown]
	s_waitcnt vmcnt(32)
	v_mul_f32_e32 v39, v4, v151
	v_fmac_f32_e32 v39, v5, v150
	v_add_f32_e32 v50, v38, v39
	ds_read2_b64 v[38:41], v240 offset0:87 offset1:88
	buffer_load_dword v226, off, s[0:3], 0 offset:304
	buffer_load_dword v227, off, s[0:3], 0 offset:308
	;; [unrolled: 1-line block ×12, first 2 shown]
	s_waitcnt vmcnt(40) lgkmcnt(1)
	v_mul_f32_e32 v51, v34, v153
	v_fmac_f32_e32 v51, v35, v152
	buffer_load_dword v238, off, s[0:3], 0 offset:352
	buffer_load_dword v239, off, s[0:3], 0 offset:356
	v_add_f32_e32 v50, v50, v51
	s_waitcnt vmcnt(40)
	v_mul_f32_e32 v51, v36, v155
	v_fmac_f32_e32 v51, v37, v154
	buffer_load_dword v241, off, s[0:3], 0 offset:360
	buffer_load_dword v242, off, s[0:3], 0 offset:364
	v_add_f32_e32 v50, v50, v51
	s_waitcnt vmcnt(40) lgkmcnt(0)
	v_mul_f32_e32 v51, v38, v157
	v_fmac_f32_e32 v51, v39, v156
	v_add_f32_e32 v54, v50, v51
	ds_read2_b64 v[50:53], v240 offset0:89 offset1:90
	buffer_load_dword v243, off, s[0:3], 0 offset:368
	buffer_load_dword v244, off, s[0:3], 0 offset:372
	s_waitcnt vmcnt(40)
	v_mul_f32_e32 v55, v40, v159
	v_fmac_f32_e32 v55, v41, v158
	v_add_f32_e32 v58, v54, v55
	ds_read2_b64 v[54:57], v240 offset0:91 offset1:92
	buffer_load_dword v245, off, s[0:3], 0 offset:376
	buffer_load_dword v246, off, s[0:3], 0 offset:380
	;; [unrolled: 1-line block ×8, first 2 shown]
	s_waitcnt vmcnt(46) lgkmcnt(1)
	v_mul_f32_e32 v59, v50, v161
	v_fmac_f32_e32 v59, v51, v160
	v_add_f32_e32 v58, v58, v59
	s_waitcnt vmcnt(44)
	v_mul_f32_e32 v59, v52, v163
	v_fmac_f32_e32 v59, v53, v162
	v_add_f32_e32 v58, v58, v59
	s_waitcnt vmcnt(42) lgkmcnt(0)
	v_mul_f32_e32 v59, v54, v165
	v_fmac_f32_e32 v59, v55, v164
	v_add_f32_e32 v62, v58, v59
	buffer_load_dword v253, off, s[0:3], 0 offset:408
	buffer_load_dword v254, off, s[0:3], 0 offset:412
	;; [unrolled: 1-line block ×4, first 2 shown]
	ds_read2_b64 v[58:61], v240 offset0:93 offset1:94
	s_waitcnt vmcnt(44)
	v_mul_f32_e32 v63, v56, v167
	v_fmac_f32_e32 v63, v57, v166
	v_add_f32_e32 v66, v62, v63
	ds_read2_b64 v[62:65], v240 offset0:95 offset1:96
	s_waitcnt vmcnt(42) lgkmcnt(1)
	v_mul_f32_e32 v67, v58, v169
	v_fmac_f32_e32 v67, v59, v168
	v_add_f32_e32 v66, v66, v67
	s_waitcnt vmcnt(40)
	v_mul_f32_e32 v67, v60, v171
	v_fmac_f32_e32 v67, v61, v170
	v_add_f32_e32 v66, v66, v67
	s_waitcnt vmcnt(38) lgkmcnt(0)
	v_mul_f32_e32 v67, v62, v173
	v_fmac_f32_e32 v67, v63, v172
	v_add_f32_e32 v70, v66, v67
	ds_read2_b64 v[66:69], v240 offset0:97 offset1:98
	s_waitcnt vmcnt(36)
	v_mul_f32_e32 v71, v64, v175
	v_fmac_f32_e32 v71, v65, v174
	v_add_f32_e32 v74, v70, v71
	ds_read2_b64 v[70:73], v240 offset0:99 offset1:100
	s_waitcnt vmcnt(34) lgkmcnt(1)
	v_mul_f32_e32 v75, v66, v177
	v_fmac_f32_e32 v75, v67, v176
	v_add_f32_e32 v74, v74, v75
	v_mul_f32_e32 v31, v31, v48
	v_fma_f32 v30, v30, v134, -v31
	v_mul_f32_e32 v31, v33, v47
	v_add_f32_e32 v30, 0, v30
	v_fma_f32 v31, v32, v133, -v31
	v_mul_f32_e32 v27, v27, v49
	v_add_f32_e32 v30, v30, v31
	;; [unrolled: 3-line block ×4, first 2 shown]
	v_fma_f32 v22, v22, v137, -v23
	v_mul_f32_e32 v1, v25, v1
	s_waitcnt vmcnt(32)
	v_mul_f32_e32 v75, v68, v179
	v_fmac_f32_e32 v75, v69, v178
	v_add_f32_e32 v74, v74, v75
	s_waitcnt vmcnt(30) lgkmcnt(0)
	v_mul_f32_e32 v75, v70, v225
	v_fmac_f32_e32 v75, v71, v224
	v_add_f32_e32 v78, v74, v75
	ds_read2_b64 v[74:77], v240 offset0:101 offset1:102
	s_waitcnt vmcnt(28)
	v_mul_f32_e32 v79, v72, v227
	v_fmac_f32_e32 v79, v73, v226
	v_add_f32_e32 v82, v78, v79
	ds_read2_b64 v[78:81], v240 offset0:103 offset1:104
	s_waitcnt vmcnt(26) lgkmcnt(1)
	v_mul_f32_e32 v83, v74, v229
	v_fmac_f32_e32 v83, v75, v228
	v_add_f32_e32 v82, v82, v83
	s_waitcnt vmcnt(24)
	v_mul_f32_e32 v83, v76, v231
	v_fmac_f32_e32 v83, v77, v230
	v_add_f32_e32 v82, v82, v83
	s_waitcnt vmcnt(22) lgkmcnt(0)
	v_mul_f32_e32 v83, v78, v233
	v_fmac_f32_e32 v83, v79, v232
	v_add_f32_e32 v86, v82, v83
	ds_read2_b64 v[82:85], v240 offset0:105 offset1:106
	s_waitcnt vmcnt(20)
	v_mul_f32_e32 v87, v80, v235
	v_fmac_f32_e32 v87, v81, v234
	v_add_f32_e32 v90, v86, v87
	ds_read2_b64 v[86:89], v240 offset0:107 offset1:108
	s_waitcnt vmcnt(18) lgkmcnt(1)
	v_mul_f32_e32 v91, v82, v237
	v_fmac_f32_e32 v91, v83, v236
	v_add_f32_e32 v90, v90, v91
	s_waitcnt vmcnt(16)
	v_mul_f32_e32 v91, v84, v239
	v_fmac_f32_e32 v91, v85, v238
	v_add_f32_e32 v90, v90, v91
	s_waitcnt vmcnt(14) lgkmcnt(0)
	v_mul_f32_e32 v91, v86, v242
	v_fmac_f32_e32 v91, v87, v241
	v_add_f32_e32 v94, v90, v91
	ds_read2_b64 v[90:93], v240 offset0:109 offset1:110
	s_waitcnt vmcnt(12)
	v_mul_f32_e32 v95, v88, v244
	v_fmac_f32_e32 v95, v89, v243
	v_add_f32_e32 v98, v94, v95
	ds_read2_b64 v[94:97], v240 offset0:111 offset1:112
	buffer_load_dword v109, off, s[0:3], 0 offset:428
	buffer_load_dword v108, off, s[0:3], 0 offset:424
	s_waitcnt vmcnt(12) lgkmcnt(1)
	v_mul_f32_e32 v99, v90, v246
	v_fmac_f32_e32 v99, v91, v245
	v_add_f32_e32 v98, v98, v99
	s_waitcnt vmcnt(10)
	v_mul_f32_e32 v99, v92, v248
	v_fmac_f32_e32 v99, v93, v247
	v_add_f32_e32 v98, v98, v99
	s_waitcnt vmcnt(8) lgkmcnt(0)
	v_mul_f32_e32 v99, v94, v250
	v_fmac_f32_e32 v99, v95, v249
	s_waitcnt vmcnt(6)
	v_mul_f32_e32 v105, v96, v252
	v_add_f32_e32 v22, v26, v22
	v_fma_f32 v1, v24, v136, -v1
	v_mul_f32_e32 v19, v19, v44
	v_add_f32_e32 v104, v98, v99
	v_fmac_f32_e32 v105, v97, v251
	v_add_f32_e32 v1, v22, v1
	v_fma_f32 v18, v18, v135, -v19
	ds_read2_b64 v[98:101], v240 offset0:113 offset1:114
	v_add_f32_e32 v111, v104, v105
	ds_read2_b64 v[104:107], v240 offset0:115 offset1:116
	buffer_load_dword v117, off, s[0:3], 0 offset:460
	buffer_load_dword v116, off, s[0:3], 0 offset:456
	;; [unrolled: 1-line block ×14, first 2 shown]
	v_add_f32_e32 v1, v1, v18
	v_mul_f32_e32 v18, v21, v110
	v_fma_f32 v18, v20, v142, -v18
	v_mul_f32_e32 v15, v15, v112
	v_add_f32_e32 v1, v1, v18
	v_fma_f32 v14, v14, v141, -v15
	v_add_f32_e32 v1, v1, v14
	v_mul_f32_e32 v14, v17, v114
	v_fma_f32 v14, v16, v140, -v14
	v_mul_f32_e32 v7, v7, v130
	v_add_f32_e32 v1, v1, v14
	v_fma_f32 v6, v6, v139, -v7
	v_add_f32_e32 v1, v1, v6
	v_mul_f32_e32 v6, v9, v131
	v_fma_f32 v6, v8, v146, -v6
	v_add_f32_e32 v1, v1, v6
	v_mul_f32_e32 v6, v11, v147
	;; [unrolled: 3-line block ×3, first 2 shown]
	v_fma_f32 v6, v12, v144, -v6
	v_mul_f32_e32 v3, v3, v149
	v_add_f32_e32 v1, v1, v6
	v_fma_f32 v2, v2, v143, -v3
	v_add_f32_e32 v1, v1, v2
	v_mul_f32_e32 v2, v5, v151
	v_fma_f32 v2, v4, v150, -v2
	v_add_f32_e32 v1, v1, v2
	v_mul_f32_e32 v2, v35, v153
	v_fma_f32 v2, v34, v152, -v2
	v_add_f32_e32 v1, v1, v2
	v_mul_f32_e32 v2, v37, v155
	v_fma_f32 v2, v36, v154, -v2
	v_add_f32_e32 v1, v1, v2
	v_mul_f32_e32 v2, v39, v157
	v_fma_f32 v2, v38, v156, -v2
	v_add_f32_e32 v1, v1, v2
	v_mul_f32_e32 v2, v41, v159
	v_fma_f32 v2, v40, v158, -v2
	v_add_f32_e32 v1, v1, v2
	v_mul_f32_e32 v2, v51, v161
	v_fma_f32 v2, v50, v160, -v2
	v_add_f32_e32 v1, v1, v2
	v_mul_f32_e32 v2, v53, v163
	v_fma_f32 v2, v52, v162, -v2
	v_add_f32_e32 v1, v1, v2
	v_mul_f32_e32 v2, v55, v165
	v_fma_f32 v2, v54, v164, -v2
	v_add_f32_e32 v1, v1, v2
	v_mul_f32_e32 v2, v57, v167
	v_fma_f32 v2, v56, v166, -v2
	v_add_f32_e32 v1, v1, v2
	v_mul_f32_e32 v2, v59, v169
	v_fma_f32 v2, v58, v168, -v2
	v_add_f32_e32 v1, v1, v2
	v_mul_f32_e32 v2, v61, v171
	v_fma_f32 v2, v60, v170, -v2
	v_add_f32_e32 v1, v1, v2
	v_mul_f32_e32 v2, v63, v173
	v_fma_f32 v2, v62, v172, -v2
	v_add_f32_e32 v1, v1, v2
	v_mul_f32_e32 v2, v65, v175
	v_fma_f32 v2, v64, v174, -v2
	v_add_f32_e32 v1, v1, v2
	v_mul_f32_e32 v2, v67, v177
	v_fma_f32 v2, v66, v176, -v2
	v_add_f32_e32 v1, v1, v2
	v_mul_f32_e32 v2, v69, v179
	v_fma_f32 v2, v68, v178, -v2
	v_add_f32_e32 v1, v1, v2
	v_mul_f32_e32 v2, v71, v225
	v_fma_f32 v2, v70, v224, -v2
	v_add_f32_e32 v1, v1, v2
	v_mul_f32_e32 v2, v73, v227
	v_fma_f32 v2, v72, v226, -v2
	v_add_f32_e32 v1, v1, v2
	v_mul_f32_e32 v2, v75, v229
	v_fma_f32 v2, v74, v228, -v2
	v_add_f32_e32 v1, v1, v2
	v_mul_f32_e32 v2, v77, v231
	v_fma_f32 v2, v76, v230, -v2
	v_add_f32_e32 v1, v1, v2
	v_mul_f32_e32 v2, v79, v233
	v_fma_f32 v2, v78, v232, -v2
	v_add_f32_e32 v1, v1, v2
	v_mul_f32_e32 v2, v81, v235
	v_fma_f32 v2, v80, v234, -v2
	v_add_f32_e32 v1, v1, v2
	v_mul_f32_e32 v2, v83, v237
	v_fma_f32 v2, v82, v236, -v2
	v_add_f32_e32 v1, v1, v2
	v_mul_f32_e32 v2, v85, v239
	v_fma_f32 v2, v84, v238, -v2
	v_add_f32_e32 v1, v1, v2
	v_mul_f32_e32 v2, v87, v242
	v_fma_f32 v2, v86, v241, -v2
	v_add_f32_e32 v1, v1, v2
	v_mul_f32_e32 v2, v89, v244
	v_fma_f32 v2, v88, v243, -v2
	v_add_f32_e32 v1, v1, v2
	v_mul_f32_e32 v2, v91, v246
	v_fma_f32 v2, v90, v245, -v2
	v_add_f32_e32 v1, v1, v2
	v_mul_f32_e32 v2, v93, v248
	v_fma_f32 v2, v92, v247, -v2
	v_add_f32_e32 v1, v1, v2
	v_mul_f32_e32 v2, v95, v250
	v_fma_f32 v2, v94, v249, -v2
	v_add_f32_e32 v1, v1, v2
	v_mul_f32_e32 v2, v97, v252
	v_fma_f32 v2, v96, v251, -v2
	s_waitcnt vmcnt(15)
	v_mov_b32_e32 v16, v109
	s_waitcnt lgkmcnt(1)
	v_mul_f32_e32 v113, v98, v254
	v_add_f32_e32 v110, v1, v2
	v_mul_f32_e32 v1, v99, v254
	s_waitcnt lgkmcnt(0)
	v_pk_mul_f32 v[16:17], v[104:105], v[16:17] op_sel_hi:[1,0]
	v_fmac_f32_e32 v113, v99, v253
	v_mul_f32_e32 v115, v100, v180
	v_fma_f32 v112, v98, v253, -v1
	v_mul_f32_e32 v1, v101, v180
	s_waitcnt vmcnt(14)
	v_pk_fma_f32 v[18:19], v[104:105], v[108:109], v[16:17] op_sel:[0,0,1] op_sel_hi:[1,1,0] neg_lo:[0,0,1] neg_hi:[0,0,1]
	v_pk_fma_f32 v[16:17], v[104:105], v[108:109], v[16:17] op_sel:[0,0,1] op_sel_hi:[1,0,0]
	v_fmac_f32_e32 v115, v101, v255
	v_fma_f32 v114, v100, v255, -v1
	v_pk_add_f32 v[14:15], v[110:111], v[112:113]
	s_waitcnt vmcnt(7)
	v_mov_b32_e32 v16, v123
	ds_read2_b64 v[2:5], v240 offset0:117 offset1:118
	ds_read2_b64 v[6:9], v240 offset0:119 offset1:120
	;; [unrolled: 1-line block ×3, first 2 shown]
	v_pk_add_f32 v[14:15], v[14:15], v[114:115]
	v_mov_b32_e32 v19, v17
	v_pk_mul_f32 v[16:17], v[106:107], v[16:17] op_sel_hi:[1,0]
	v_pk_add_f32 v[14:15], v[14:15], v[18:19]
	s_waitcnt vmcnt(6)
	v_pk_fma_f32 v[18:19], v[106:107], v[122:123], v[16:17] op_sel:[0,0,1] op_sel_hi:[1,1,0] neg_lo:[0,0,1] neg_hi:[0,0,1]
	v_pk_fma_f32 v[16:17], v[106:107], v[122:123], v[16:17] op_sel:[0,0,1] op_sel_hi:[1,0,0]
	v_mov_b32_e32 v16, v121
	v_mov_b32_e32 v19, v17
	s_waitcnt lgkmcnt(2)
	v_pk_mul_f32 v[16:17], v[2:3], v[16:17] op_sel_hi:[1,0]
	v_pk_add_f32 v[14:15], v[14:15], v[18:19]
	v_pk_fma_f32 v[18:19], v[2:3], v[120:121], v[16:17] op_sel:[0,0,1] op_sel_hi:[1,1,0] neg_lo:[0,0,1] neg_hi:[0,0,1]
	v_pk_fma_f32 v[2:3], v[2:3], v[120:121], v[16:17] op_sel:[0,0,1] op_sel_hi:[1,0,0]
	v_mov_b32_e32 v19, v3
	v_pk_add_f32 v[2:3], v[14:15], v[18:19]
	v_mov_b32_e32 v14, v119
	v_pk_mul_f32 v[14:15], v[4:5], v[14:15] op_sel_hi:[1,0]
	v_pk_fma_f32 v[16:17], v[4:5], v[118:119], v[14:15] op_sel:[0,0,1] op_sel_hi:[1,1,0] neg_lo:[0,0,1] neg_hi:[0,0,1]
	v_pk_fma_f32 v[4:5], v[4:5], v[118:119], v[14:15] op_sel:[0,0,1] op_sel_hi:[1,0,0]
	v_mov_b32_e32 v4, v117
	v_mov_b32_e32 v17, v5
	s_waitcnt lgkmcnt(1)
	v_pk_mul_f32 v[4:5], v[6:7], v[4:5] op_sel_hi:[1,0]
	v_pk_fma_f32 v[14:15], v[6:7], v[116:117], v[4:5] op_sel:[0,0,1] op_sel_hi:[1,1,0] neg_lo:[0,0,1] neg_hi:[0,0,1]
	v_pk_fma_f32 v[4:5], v[6:7], v[116:117], v[4:5] op_sel:[0,0,1] op_sel_hi:[1,0,0]
	s_waitcnt vmcnt(1)
	v_mov_b32_e32 v4, v129
	v_mov_b32_e32 v15, v5
	v_pk_mul_f32 v[4:5], v[8:9], v[4:5] op_sel_hi:[1,0]
	s_waitcnt vmcnt(0)
	v_pk_fma_f32 v[6:7], v[8:9], v[128:129], v[4:5] op_sel:[0,0,1] op_sel_hi:[1,1,0] neg_lo:[0,0,1] neg_hi:[0,0,1]
	v_pk_fma_f32 v[4:5], v[8:9], v[128:129], v[4:5] op_sel:[0,0,1] op_sel_hi:[1,0,0]
	v_pk_add_f32 v[2:3], v[2:3], v[16:17]
	v_mov_b32_e32 v4, v127
	v_pk_add_f32 v[2:3], v[2:3], v[14:15]
	v_mov_b32_e32 v7, v5
	s_waitcnt lgkmcnt(0)
	v_pk_mul_f32 v[4:5], v[10:11], v[4:5] op_sel_hi:[1,0]
	v_pk_add_f32 v[2:3], v[2:3], v[6:7]
	v_pk_fma_f32 v[6:7], v[10:11], v[126:127], v[4:5] op_sel:[0,0,1] op_sel_hi:[1,1,0] neg_lo:[0,0,1] neg_hi:[0,0,1]
	v_pk_fma_f32 v[4:5], v[10:11], v[126:127], v[4:5] op_sel:[0,0,1] op_sel_hi:[1,0,0]
	v_mov_b32_e32 v4, v125
	v_mov_b32_e32 v7, v5
	v_pk_mul_f32 v[4:5], v[12:13], v[4:5] op_sel_hi:[1,0]
	v_pk_add_f32 v[2:3], v[2:3], v[6:7]
	v_pk_fma_f32 v[6:7], v[12:13], v[124:125], v[4:5] op_sel:[0,0,1] op_sel_hi:[1,1,0] neg_lo:[0,0,1] neg_hi:[0,0,1]
	v_pk_fma_f32 v[4:5], v[12:13], v[124:125], v[4:5] op_sel:[0,0,1] op_sel_hi:[1,0,0]
	v_mov_b32_e32 v7, v5
	v_pk_add_f32 v[2:3], v[2:3], v[6:7]
	v_pk_add_f32 v[2:3], v[42:43], v[2:3] neg_lo:[0,1] neg_hi:[0,1]
	buffer_store_dword v3, off, s[0:3], 0 offset:52
	buffer_store_dword v2, off, s[0:3], 0 offset:48
	s_and_saveexec_b64 s[4:5], vcc
	s_cbranch_execz .LBB124_369
; %bb.368:
	buffer_load_dword v2, off, s[0:3], 0 offset:40
	buffer_load_dword v3, off, s[0:3], 0 offset:44
	v_mov_b32_e32 v1, 0
	buffer_store_dword v1, off, s[0:3], 0 offset:40
	buffer_store_dword v1, off, s[0:3], 0 offset:44
	s_waitcnt vmcnt(2)
	ds_write_b64 v199, v[2:3]
.LBB124_369:
	s_or_b64 exec, exec, s[4:5]
	s_waitcnt lgkmcnt(0)
	; wave barrier
	s_waitcnt lgkmcnt(0)
	buffer_load_dword v57, off, s[0:3], 0 offset:52
	buffer_load_dword v56, off, s[0:3], 0 offset:60
	;; [unrolled: 1-line block ×48, first 2 shown]
	v_mov_b32_e32 v52, 0
	ds_read_b128 v[22:25], v52 offset:544
	ds_read_b128 v[18:21], v52 offset:560
	;; [unrolled: 1-line block ×6, first 2 shown]
	v_cmp_lt_u32_e32 vcc, 4, v0
	s_waitcnt vmcnt(47) lgkmcnt(5)
	v_mul_f32_e32 v26, v22, v57
	s_waitcnt vmcnt(46)
	v_mul_f32_e32 v27, v24, v56
	s_waitcnt vmcnt(45) lgkmcnt(4)
	v_mul_f32_e32 v29, v20, v55
	s_waitcnt vmcnt(44) lgkmcnt(3)
	v_mul_f32_e32 v30, v14, v54
	s_waitcnt vmcnt(43)
	v_mul_f32_e32 v31, v16, v1
	s_waitcnt vmcnt(42)
	v_mul_f32_e32 v28, v18, v58
	s_waitcnt vmcnt(41) lgkmcnt(2)
	v_mul_f32_e32 v32, v10, v53
	s_waitcnt vmcnt(40)
	v_mul_f32_e32 v33, v12, v59
	s_waitcnt vmcnt(39) lgkmcnt(1)
	;; [unrolled: 4-line block ×3, first 2 shown]
	v_mul_f32_e32 v36, v2, v62
	s_waitcnt vmcnt(36)
	v_mul_f32_e32 v37, v4, v63
	s_waitcnt vmcnt(35)
	v_fmac_f32_e32 v28, v19, v69
	s_waitcnt vmcnt(34)
	v_fmac_f32_e32 v27, v25, v72
	;; [unrolled: 2-line block ×3, first 2 shown]
	v_add_f32_e32 v26, 0, v26
	v_add_f32_e32 v26, v26, v27
	;; [unrolled: 1-line block ×3, first 2 shown]
	s_waitcnt vmcnt(29)
	v_fmac_f32_e32 v29, v21, v74
	v_fmac_f32_e32 v30, v15, v71
	v_add_f32_e32 v26, v26, v29
	v_fmac_f32_e32 v31, v17, v68
	v_add_f32_e32 v26, v26, v30
	;; [unrolled: 2-line block ×3, first 2 shown]
	s_waitcnt vmcnt(25)
	v_fmac_f32_e32 v33, v13, v70
	v_add_f32_e32 v26, v26, v32
	v_fmac_f32_e32 v34, v7, v67
	v_add_f32_e32 v26, v26, v33
	;; [unrolled: 2-line block ×4, first 2 shown]
	s_waitcnt vmcnt(21)
	v_fmac_f32_e32 v37, v5, v81
	v_add_f32_e32 v30, v30, v36
	ds_read_b128 v[26:29], v52 offset:640
	v_add_f32_e32 v34, v30, v37
	ds_read_b128 v[30:33], v52 offset:656
	buffer_load_dword v167, off, s[0:3], 0 offset:232
	buffer_load_dword v168, off, s[0:3], 0 offset:236
	;; [unrolled: 1-line block ×6, first 2 shown]
	s_waitcnt vmcnt(26) lgkmcnt(1)
	v_mul_f32_e32 v35, v26, v80
	v_fmac_f32_e32 v35, v27, v78
	buffer_load_dword v173, off, s[0:3], 0 offset:256
	buffer_load_dword v174, off, s[0:3], 0 offset:260
	v_add_f32_e32 v34, v34, v35
	s_waitcnt vmcnt(27)
	v_mul_f32_e32 v35, v28, v79
	v_fmac_f32_e32 v35, v29, v76
	v_add_f32_e32 v34, v34, v35
	s_waitcnt vmcnt(26) lgkmcnt(0)
	v_mul_f32_e32 v35, v30, v77
	v_fmac_f32_e32 v35, v31, v73
	buffer_load_dword v175, off, s[0:3], 0 offset:264
	buffer_load_dword v176, off, s[0:3], 0 offset:268
	v_add_f32_e32 v34, v34, v35
	s_waitcnt vmcnt(21)
	v_mul_f32_e32 v35, v32, v140
	s_waitcnt vmcnt(20)
	v_fmac_f32_e32 v35, v33, v142
	v_add_f32_e32 v42, v34, v35
	ds_read_b128 v[34:37], v52 offset:672
	buffer_load_dword v177, off, s[0:3], 0 offset:272
	buffer_load_dword v178, off, s[0:3], 0 offset:276
	ds_read_b128 v[38:41], v52 offset:688
	buffer_load_dword v179, off, s[0:3], 0 offset:280
	buffer_load_dword v180, off, s[0:3], 0 offset:284
	;; [unrolled: 1-line block ×12, first 2 shown]
	s_waitcnt lgkmcnt(1)
	v_mul_f32_e32 v43, v34, v83
	v_fmac_f32_e32 v43, v35, v82
	buffer_load_dword v233, off, s[0:3], 0 offset:328
	buffer_load_dword v234, off, s[0:3], 0 offset:332
	v_add_f32_e32 v42, v42, v43
	v_mul_f32_e32 v43, v36, v85
	v_fmac_f32_e32 v43, v37, v84
	v_add_f32_e32 v42, v42, v43
	s_waitcnt lgkmcnt(0)
	v_mul_f32_e32 v43, v38, v87
	buffer_load_dword v235, off, s[0:3], 0 offset:336
	buffer_load_dword v236, off, s[0:3], 0 offset:340
	v_fmac_f32_e32 v43, v39, v86
	v_add_f32_e32 v46, v42, v43
	ds_read_b128 v[42:45], v52 offset:704
	buffer_load_dword v237, off, s[0:3], 0 offset:344
	buffer_load_dword v238, off, s[0:3], 0 offset:348
	;; [unrolled: 1-line block ×4, first 2 shown]
	s_waitcnt vmcnt(38)
	v_mul_f32_e32 v47, v40, v160
	v_fmac_f32_e32 v47, v41, v88
	v_add_f32_e32 v89, v46, v47
	ds_read_b128 v[46:49], v52 offset:720
	buffer_load_dword v241, off, s[0:3], 0 offset:360
	buffer_load_dword v242, off, s[0:3], 0 offset:364
	;; [unrolled: 1-line block ×10, first 2 shown]
	s_waitcnt vmcnt(46) lgkmcnt(1)
	v_mul_f32_e32 v90, v42, v162
	v_fmac_f32_e32 v90, v43, v161
	v_add_f32_e32 v89, v89, v90
	s_waitcnt vmcnt(44)
	v_mul_f32_e32 v90, v44, v164
	v_fmac_f32_e32 v90, v45, v163
	v_add_f32_e32 v89, v89, v90
	s_waitcnt vmcnt(42) lgkmcnt(0)
	v_mul_f32_e32 v90, v46, v166
	v_fmac_f32_e32 v90, v47, v165
	v_add_f32_e32 v89, v89, v90
	buffer_load_dword v251, off, s[0:3], 0 offset:400
	buffer_load_dword v252, off, s[0:3], 0 offset:404
	;; [unrolled: 1-line block ×6, first 2 shown]
	ds_read_b128 v[90:93], v52 offset:736
	v_mul_f32_e32 v23, v23, v57
	v_fma_f32 v22, v22, v75, -v23
	v_mul_f32_e32 v23, v25, v56
	v_add_f32_e32 v22, 0, v22
	v_fma_f32 v23, v24, v72, -v23
	v_mul_f32_e32 v19, v19, v58
	v_add_f32_e32 v22, v22, v23
	;; [unrolled: 3-line block ×6, first 2 shown]
	v_fma_f32 v10, v10, v66, -v11
	s_waitcnt vmcnt(46)
	v_mul_f32_e32 v94, v48, v168
	v_fmac_f32_e32 v94, v49, v167
	v_add_f32_e32 v89, v89, v94
	ds_read_b128 v[94:97], v52 offset:752
	s_waitcnt vmcnt(44) lgkmcnt(1)
	v_mul_f32_e32 v98, v90, v170
	v_fmac_f32_e32 v98, v91, v169
	v_add_f32_e32 v89, v89, v98
	s_waitcnt vmcnt(42)
	v_mul_f32_e32 v98, v92, v172
	v_fmac_f32_e32 v98, v93, v171
	v_add_f32_e32 v89, v89, v98
	s_waitcnt vmcnt(40) lgkmcnt(0)
	v_mul_f32_e32 v98, v94, v174
	v_fmac_f32_e32 v98, v95, v173
	v_add_f32_e32 v89, v89, v98
	ds_read_b128 v[98:101], v52 offset:768
	s_waitcnt vmcnt(38)
	v_mul_f32_e32 v104, v96, v176
	v_fmac_f32_e32 v104, v97, v175
	v_add_f32_e32 v89, v89, v104
	ds_read_b128 v[104:107], v52 offset:784
	s_waitcnt vmcnt(36) lgkmcnt(1)
	v_mul_f32_e32 v108, v98, v178
	v_fmac_f32_e32 v108, v99, v177
	v_add_f32_e32 v89, v89, v108
	s_waitcnt vmcnt(34)
	v_mul_f32_e32 v108, v100, v180
	v_fmac_f32_e32 v108, v101, v179
	v_add_f32_e32 v89, v89, v108
	s_waitcnt vmcnt(32) lgkmcnt(0)
	v_mul_f32_e32 v108, v104, v224
	v_fmac_f32_e32 v108, v105, v181
	v_add_f32_e32 v89, v89, v108
	ds_read_b128 v[108:111], v52 offset:800
	s_waitcnt vmcnt(30)
	v_mul_f32_e32 v112, v106, v226
	v_fmac_f32_e32 v112, v107, v225
	v_add_f32_e32 v89, v89, v112
	ds_read_b128 v[112:115], v52 offset:816
	s_waitcnt vmcnt(28) lgkmcnt(1)
	v_mul_f32_e32 v116, v108, v228
	v_fmac_f32_e32 v116, v109, v227
	v_add_f32_e32 v89, v89, v116
	s_waitcnt vmcnt(26)
	v_mul_f32_e32 v116, v110, v230
	v_fmac_f32_e32 v116, v111, v229
	v_add_f32_e32 v89, v89, v116
	s_waitcnt vmcnt(24) lgkmcnt(0)
	v_mul_f32_e32 v116, v112, v232
	v_fmac_f32_e32 v116, v113, v231
	v_add_f32_e32 v89, v89, v116
	ds_read_b128 v[116:119], v52 offset:832
	s_waitcnt vmcnt(22)
	v_mul_f32_e32 v120, v114, v234
	v_fmac_f32_e32 v120, v115, v233
	v_add_f32_e32 v89, v89, v120
	ds_read_b128 v[120:123], v52 offset:848
	s_waitcnt vmcnt(20) lgkmcnt(1)
	v_mul_f32_e32 v124, v116, v236
	v_fmac_f32_e32 v124, v117, v235
	v_add_f32_e32 v89, v89, v124
	s_waitcnt vmcnt(18)
	v_mul_f32_e32 v124, v118, v238
	v_fmac_f32_e32 v124, v119, v237
	v_add_f32_e32 v89, v89, v124
	s_waitcnt vmcnt(16) lgkmcnt(0)
	v_mul_f32_e32 v124, v120, v240
	v_fmac_f32_e32 v124, v121, v239
	v_add_f32_e32 v89, v89, v124
	ds_read_b128 v[124:127], v52 offset:864
	s_waitcnt vmcnt(14)
	v_mul_f32_e32 v128, v122, v242
	v_fmac_f32_e32 v128, v123, v241
	v_add_f32_e32 v89, v89, v128
	ds_read_b128 v[128:131], v52 offset:880
	s_waitcnt vmcnt(12) lgkmcnt(1)
	v_mul_f32_e32 v132, v124, v244
	v_fmac_f32_e32 v132, v125, v243
	v_add_f32_e32 v89, v89, v132
	s_waitcnt vmcnt(10)
	v_mul_f32_e32 v132, v126, v246
	v_fmac_f32_e32 v132, v127, v245
	v_add_f32_e32 v89, v89, v132
	s_waitcnt vmcnt(8) lgkmcnt(0)
	v_mul_f32_e32 v132, v128, v248
	v_fmac_f32_e32 v132, v129, v247
	s_waitcnt vmcnt(6)
	v_mul_f32_e32 v136, v130, v250
	v_add_f32_e32 v1, v1, v10
	v_mul_f32_e32 v10, v13, v59
	v_add_f32_e32 v89, v89, v132
	v_fmac_f32_e32 v136, v131, v249
	v_fma_f32 v10, v12, v70, -v10
	v_mul_f32_e32 v7, v7, v60
	ds_read_b128 v[132:135], v52 offset:896
	v_add_f32_e32 v89, v89, v136
	ds_read_b128 v[136:139], v52 offset:912
	buffer_load_dword v145, off, s[0:3], 0 offset:452
	buffer_load_dword v144, off, s[0:3], 0 offset:448
	;; [unrolled: 1-line block ×16, first 2 shown]
	v_add_f32_e32 v1, v1, v10
	v_fma_f32 v6, v6, v67, -v7
	v_add_f32_e32 v1, v1, v6
	v_mul_f32_e32 v6, v9, v61
	v_fma_f32 v6, v8, v65, -v6
	v_mul_f32_e32 v3, v3, v62
	v_add_f32_e32 v1, v1, v6
	v_fma_f32 v2, v2, v64, -v3
	v_add_f32_e32 v1, v1, v2
	v_mul_f32_e32 v2, v5, v63
	v_fma_f32 v2, v4, v81, -v2
	v_add_f32_e32 v1, v1, v2
	v_mul_f32_e32 v2, v27, v80
	;; [unrolled: 3-line block ×33, first 2 shown]
	v_fma_f32 v2, v130, v249, -v2
	s_waitcnt vmcnt(20) lgkmcnt(1)
	v_mul_f32_e32 v141, v132, v252
	v_add_f32_e32 v1, v1, v2
	v_mul_f32_e32 v2, v133, v252
	v_fmac_f32_e32 v141, v133, v251
	v_fma_f32 v2, v132, v251, -v2
	s_waitcnt vmcnt(9)
	v_mov_b32_e32 v18, v151
	v_add_f32_e32 v89, v89, v141
	v_mul_f32_e32 v141, v134, v254
	v_add_f32_e32 v88, v1, v2
	v_mul_f32_e32 v1, v135, v254
	s_waitcnt lgkmcnt(0)
	v_pk_mul_f32 v[18:19], v[138:139], v[18:19] op_sel_hi:[1,0]
	v_fmac_f32_e32 v141, v135, v253
	v_mul_f32_e32 v143, v136, v182
	v_fma_f32 v140, v134, v253, -v1
	v_mul_f32_e32 v1, v137, v182
	ds_read_b128 v[2:5], v52 offset:928
	ds_read_b128 v[6:9], v52 offset:944
	;; [unrolled: 1-line block ×3, first 2 shown]
	ds_read_b64 v[14:15], v52 offset:976
	s_waitcnt vmcnt(8)
	v_pk_fma_f32 v[20:21], v[138:139], v[150:151], v[18:19] op_sel:[0,0,1] op_sel_hi:[1,1,0] neg_lo:[0,0,1] neg_hi:[0,0,1]
	v_pk_fma_f32 v[18:19], v[138:139], v[150:151], v[18:19] op_sel:[0,0,1] op_sel_hi:[1,0,0]
	v_fmac_f32_e32 v143, v137, v255
	v_fma_f32 v142, v136, v255, -v1
	v_pk_add_f32 v[16:17], v[88:89], v[140:141]
	v_mov_b32_e32 v18, v149
	v_pk_add_f32 v[16:17], v[16:17], v[142:143]
	v_mov_b32_e32 v21, v19
	s_waitcnt lgkmcnt(3)
	v_pk_mul_f32 v[18:19], v[2:3], v[18:19] op_sel_hi:[1,0]
	v_pk_add_f32 v[16:17], v[16:17], v[20:21]
	v_pk_fma_f32 v[20:21], v[2:3], v[148:149], v[18:19] op_sel:[0,0,1] op_sel_hi:[1,1,0] neg_lo:[0,0,1] neg_hi:[0,0,1]
	v_pk_fma_f32 v[2:3], v[2:3], v[148:149], v[18:19] op_sel:[0,0,1] op_sel_hi:[1,0,0]
	v_mov_b32_e32 v21, v3
	v_pk_add_f32 v[2:3], v[16:17], v[20:21]
	v_mov_b32_e32 v16, v147
	v_pk_mul_f32 v[16:17], v[4:5], v[16:17] op_sel_hi:[1,0]
	v_pk_fma_f32 v[18:19], v[4:5], v[146:147], v[16:17] op_sel:[0,0,1] op_sel_hi:[1,1,0] neg_lo:[0,0,1] neg_hi:[0,0,1]
	v_pk_fma_f32 v[4:5], v[4:5], v[146:147], v[16:17] op_sel:[0,0,1] op_sel_hi:[1,0,0]
	v_mov_b32_e32 v4, v145
	v_mov_b32_e32 v19, v5
	s_waitcnt lgkmcnt(2)
	v_pk_mul_f32 v[4:5], v[6:7], v[4:5] op_sel_hi:[1,0]
	v_pk_fma_f32 v[16:17], v[6:7], v[144:145], v[4:5] op_sel:[0,0,1] op_sel_hi:[1,1,0] neg_lo:[0,0,1] neg_hi:[0,0,1]
	v_pk_fma_f32 v[4:5], v[6:7], v[144:145], v[4:5] op_sel:[0,0,1] op_sel_hi:[1,0,0]
	s_waitcnt vmcnt(1)
	v_mov_b32_e32 v4, v159
	v_mov_b32_e32 v17, v5
	v_pk_mul_f32 v[4:5], v[8:9], v[4:5] op_sel_hi:[1,0]
	s_waitcnt vmcnt(0)
	v_pk_fma_f32 v[6:7], v[8:9], v[158:159], v[4:5] op_sel:[0,0,1] op_sel_hi:[1,1,0] neg_lo:[0,0,1] neg_hi:[0,0,1]
	v_pk_fma_f32 v[4:5], v[8:9], v[158:159], v[4:5] op_sel:[0,0,1] op_sel_hi:[1,0,0]
	v_pk_add_f32 v[2:3], v[2:3], v[18:19]
	v_mov_b32_e32 v4, v157
	v_pk_add_f32 v[2:3], v[2:3], v[16:17]
	v_mov_b32_e32 v7, v5
	s_waitcnt lgkmcnt(1)
	v_pk_mul_f32 v[4:5], v[10:11], v[4:5] op_sel_hi:[1,0]
	v_pk_add_f32 v[2:3], v[2:3], v[6:7]
	v_pk_fma_f32 v[6:7], v[10:11], v[156:157], v[4:5] op_sel:[0,0,1] op_sel_hi:[1,1,0] neg_lo:[0,0,1] neg_hi:[0,0,1]
	v_pk_fma_f32 v[4:5], v[10:11], v[156:157], v[4:5] op_sel:[0,0,1] op_sel_hi:[1,0,0]
	v_mov_b32_e32 v4, v155
	v_mov_b32_e32 v7, v5
	v_pk_mul_f32 v[4:5], v[12:13], v[4:5] op_sel_hi:[1,0]
	v_pk_add_f32 v[2:3], v[2:3], v[6:7]
	v_pk_fma_f32 v[6:7], v[12:13], v[154:155], v[4:5] op_sel:[0,0,1] op_sel_hi:[1,1,0] neg_lo:[0,0,1] neg_hi:[0,0,1]
	v_pk_fma_f32 v[4:5], v[12:13], v[154:155], v[4:5] op_sel:[0,0,1] op_sel_hi:[1,0,0]
	v_mov_b32_e32 v4, v153
	v_mov_b32_e32 v7, v5
	s_waitcnt lgkmcnt(0)
	v_pk_mul_f32 v[4:5], v[14:15], v[4:5] op_sel_hi:[1,0]
	v_pk_add_f32 v[2:3], v[2:3], v[6:7]
	v_pk_fma_f32 v[6:7], v[14:15], v[152:153], v[4:5] op_sel:[0,0,1] op_sel_hi:[1,1,0] neg_lo:[0,0,1] neg_hi:[0,0,1]
	v_pk_fma_f32 v[4:5], v[14:15], v[152:153], v[4:5] op_sel:[0,0,1] op_sel_hi:[1,0,0]
	v_mov_b32_e32 v7, v5
	v_pk_add_f32 v[2:3], v[2:3], v[6:7]
	v_pk_add_f32 v[2:3], v[50:51], v[2:3] neg_lo:[0,1] neg_hi:[0,1]
	buffer_store_dword v3, off, s[0:3], 0 offset:44
	buffer_store_dword v2, off, s[0:3], 0 offset:40
	s_and_saveexec_b64 s[4:5], vcc
	s_cbranch_execz .LBB124_371
; %bb.370:
	buffer_load_dword v2, off, s[0:3], 0 offset:32
	buffer_load_dword v3, off, s[0:3], 0 offset:36
	s_waitcnt vmcnt(0)
	ds_write_b64 v199, v[2:3]
	buffer_store_dword v52, off, s[0:3], 0 offset:32
	buffer_store_dword v52, off, s[0:3], 0 offset:36
.LBB124_371:
	s_or_b64 exec, exec, s[4:5]
	s_waitcnt lgkmcnt(0)
	; wave barrier
	s_waitcnt lgkmcnt(0)
	buffer_load_dword v57, off, s[0:3], 0 offset:44
	buffer_load_dword v56, off, s[0:3], 0 offset:52
	;; [unrolled: 1-line block ×40, first 2 shown]
	ds_read2_b64 v[26:29], v52 offset0:67 offset1:68
	ds_read2_b64 v[22:25], v52 offset0:69 offset1:70
	;; [unrolled: 1-line block ×7, first 2 shown]
	buffer_load_dword v90, off, s[0:3], 0 offset:192
	buffer_load_dword v91, off, s[0:3], 0 offset:196
	;; [unrolled: 1-line block ×10, first 2 shown]
	v_cmp_lt_u32_e32 vcc, 3, v0
	s_waitcnt vmcnt(49) lgkmcnt(6)
	v_mul_f32_e32 v30, v26, v57
	s_waitcnt vmcnt(48)
	v_mul_f32_e32 v31, v28, v56
	s_waitcnt vmcnt(47) lgkmcnt(5)
	v_mul_f32_e32 v33, v24, v55
	s_waitcnt vmcnt(46) lgkmcnt(4)
	v_mul_f32_e32 v34, v18, v54
	s_waitcnt vmcnt(45)
	v_mul_f32_e32 v35, v20, v1
	s_waitcnt vmcnt(44)
	v_mul_f32_e32 v32, v22, v58
	s_waitcnt vmcnt(43) lgkmcnt(3)
	v_mul_f32_e32 v36, v14, v53
	s_waitcnt vmcnt(42)
	v_mul_f32_e32 v37, v16, v59
	s_waitcnt vmcnt(41) lgkmcnt(2)
	;; [unrolled: 4-line block ×3, first 2 shown]
	v_mul_f32_e32 v40, v6, v62
	s_waitcnt vmcnt(38)
	v_mul_f32_e32 v41, v8, v63
	s_waitcnt vmcnt(37)
	v_fmac_f32_e32 v32, v23, v69
	s_waitcnt vmcnt(36)
	v_fmac_f32_e32 v31, v29, v72
	;; [unrolled: 2-line block ×3, first 2 shown]
	v_add_f32_e32 v30, 0, v30
	v_add_f32_e32 v30, v30, v31
	;; [unrolled: 1-line block ×3, first 2 shown]
	s_waitcnt vmcnt(31)
	v_fmac_f32_e32 v33, v25, v74
	v_fmac_f32_e32 v34, v19, v71
	v_add_f32_e32 v30, v30, v33
	v_fmac_f32_e32 v35, v21, v68
	v_add_f32_e32 v30, v30, v34
	;; [unrolled: 2-line block ×3, first 2 shown]
	s_waitcnt vmcnt(27)
	v_fmac_f32_e32 v37, v17, v70
	v_add_f32_e32 v30, v30, v36
	v_fmac_f32_e32 v38, v11, v67
	v_add_f32_e32 v30, v30, v37
	;; [unrolled: 2-line block ×4, first 2 shown]
	s_waitcnt vmcnt(23)
	v_fmac_f32_e32 v41, v9, v81
	v_add_f32_e32 v30, v30, v40
	v_add_f32_e32 v34, v30, v41
	ds_read2_b64 v[30:33], v52 offset0:81 offset1:82
	s_waitcnt vmcnt(22) lgkmcnt(1)
	v_mul_f32_e32 v35, v2, v80
	buffer_load_dword v169, off, s[0:3], 0 offset:232
	buffer_load_dword v170, off, s[0:3], 0 offset:236
	v_fmac_f32_e32 v35, v3, v78
	v_add_f32_e32 v34, v34, v35
	s_waitcnt vmcnt(23)
	v_mul_f32_e32 v35, v4, v79
	buffer_load_dword v171, off, s[0:3], 0 offset:240
	buffer_load_dword v172, off, s[0:3], 0 offset:244
	v_fmac_f32_e32 v35, v5, v76
	v_add_f32_e32 v34, v34, v35
	s_waitcnt vmcnt(24) lgkmcnt(0)
	v_mul_f32_e32 v35, v30, v77
	buffer_load_dword v173, off, s[0:3], 0 offset:248
	buffer_load_dword v174, off, s[0:3], 0 offset:252
	v_fmac_f32_e32 v35, v31, v73
	v_add_f32_e32 v38, v34, v35
	s_waitcnt vmcnt(19)
	v_mul_f32_e32 v39, v32, v89
	ds_read2_b64 v[34:37], v52 offset0:83 offset1:84
	buffer_load_dword v175, off, s[0:3], 0 offset:256
	buffer_load_dword v176, off, s[0:3], 0 offset:260
	s_waitcnt vmcnt(20)
	v_fmac_f32_e32 v39, v33, v88
	v_add_f32_e32 v42, v38, v39
	ds_read2_b64 v[38:41], v52 offset0:85 offset1:86
	buffer_load_dword v177, off, s[0:3], 0 offset:264
	buffer_load_dword v178, off, s[0:3], 0 offset:268
	buffer_load_dword v179, off, s[0:3], 0 offset:272
	buffer_load_dword v180, off, s[0:3], 0 offset:276
	buffer_load_dword v181, off, s[0:3], 0 offset:280
	buffer_load_dword v182, off, s[0:3], 0 offset:284
	buffer_load_dword v183, off, s[0:3], 0 offset:288
	buffer_load_dword v224, off, s[0:3], 0 offset:292
	s_waitcnt lgkmcnt(1)
	v_mul_f32_e32 v43, v34, v83
	buffer_load_dword v225, off, s[0:3], 0 offset:296
	buffer_load_dword v226, off, s[0:3], 0 offset:300
	v_fmac_f32_e32 v43, v35, v82
	v_add_f32_e32 v42, v42, v43
	v_mul_f32_e32 v43, v36, v85
	buffer_load_dword v227, off, s[0:3], 0 offset:304
	buffer_load_dword v228, off, s[0:3], 0 offset:308
	v_fmac_f32_e32 v43, v37, v84
	v_add_f32_e32 v42, v42, v43
	s_waitcnt lgkmcnt(0)
	v_mul_f32_e32 v43, v38, v87
	buffer_load_dword v229, off, s[0:3], 0 offset:312
	buffer_load_dword v230, off, s[0:3], 0 offset:316
	v_fmac_f32_e32 v43, v39, v86
	v_add_f32_e32 v42, v42, v43
	s_waitcnt vmcnt(30)
	v_mul_f32_e32 v43, v40, v91
	buffer_load_dword v231, off, s[0:3], 0 offset:320
	buffer_load_dword v232, off, s[0:3], 0 offset:324
	v_fmac_f32_e32 v43, v41, v90
	v_add_f32_e32 v95, v42, v43
	ds_read2_b64 v[42:45], v52 offset0:87 offset1:88
	buffer_load_dword v233, off, s[0:3], 0 offset:328
	buffer_load_dword v234, off, s[0:3], 0 offset:332
	ds_read2_b64 v[46:49], v52 offset0:89 offset1:90
	buffer_load_dword v235, off, s[0:3], 0 offset:336
	buffer_load_dword v236, off, s[0:3], 0 offset:340
	;; [unrolled: 1-line block ×10, first 2 shown]
	s_waitcnt vmcnt(42) lgkmcnt(1)
	v_mul_f32_e32 v96, v42, v93
	buffer_load_dword v245, off, s[0:3], 0 offset:376
	buffer_load_dword v246, off, s[0:3], 0 offset:380
	v_fmac_f32_e32 v96, v43, v92
	v_add_f32_e32 v95, v95, v96
	s_waitcnt vmcnt(42)
	v_mul_f32_e32 v96, v44, v100
	buffer_load_dword v247, off, s[0:3], 0 offset:384
	buffer_load_dword v248, off, s[0:3], 0 offset:388
	v_fmac_f32_e32 v96, v45, v94
	v_add_f32_e32 v95, v95, v96
	s_waitcnt vmcnt(42) lgkmcnt(0)
	v_mul_f32_e32 v96, v46, v166
	buffer_load_dword v249, off, s[0:3], 0 offset:392
	buffer_load_dword v250, off, s[0:3], 0 offset:396
	v_fmac_f32_e32 v96, v47, v154
	v_mul_f32_e32 v27, v27, v57
	v_add_f32_e32 v95, v95, v96
	ds_read2_b64 v[96:99], v52 offset0:91 offset1:92
	buffer_load_dword v251, off, s[0:3], 0 offset:400
	buffer_load_dword v252, off, s[0:3], 0 offset:404
	v_fma_f32 v26, v26, v75, -v27
	v_mul_f32_e32 v27, v29, v56
	v_add_f32_e32 v26, 0, v26
	v_fma_f32 v27, v28, v72, -v27
	v_mul_f32_e32 v23, v23, v58
	v_add_f32_e32 v26, v26, v27
	v_fma_f32 v22, v22, v69, -v23
	v_mul_f32_e32 v23, v25, v55
	buffer_load_dword v253, off, s[0:3], 0 offset:408
	buffer_load_dword v254, off, s[0:3], 0 offset:412
	v_add_f32_e32 v22, v26, v22
	v_fma_f32 v23, v24, v74, -v23
	v_mul_f32_e32 v19, v19, v54
	ds_read2_b64 v[104:107], v52 offset0:93 offset1:94
	buffer_load_dword v255, off, s[0:3], 0 offset:416
	buffer_load_dword v184, off, s[0:3], 0 offset:420
	ds_read2_b64 v[108:111], v52 offset0:95 offset1:96
	ds_read2_b64 v[112:115], v52 offset0:97 offset1:98
	;; [unrolled: 1-line block ×10, first 2 shown]
	buffer_load_dword v149, off, s[0:3], 0 offset:444
	buffer_load_dword v148, off, s[0:3], 0 offset:440
	buffer_load_dword v151, off, s[0:3], 0 offset:436
	buffer_load_dword v150, off, s[0:3], 0 offset:432
	buffer_load_dword v153, off, s[0:3], 0 offset:428
	buffer_load_dword v152, off, s[0:3], 0 offset:424
	v_add_f32_e32 v22, v22, v23
	v_fma_f32 v18, v18, v71, -v19
	v_mul_f32_e32 v1, v21, v1
	v_add_f32_e32 v18, v22, v18
	v_fma_f32 v1, v20, v68, -v1
	v_mul_f32_e32 v15, v15, v53
	v_add_f32_e32 v1, v18, v1
	v_fma_f32 v14, v14, v66, -v15
	v_add_f32_e32 v1, v1, v14
	v_mul_f32_e32 v14, v17, v59
	v_fma_f32 v14, v16, v70, -v14
	v_mul_f32_e32 v11, v11, v60
	v_add_f32_e32 v1, v1, v14
	v_fma_f32 v10, v10, v67, -v11
	v_add_f32_e32 v1, v1, v10
	v_mul_f32_e32 v10, v13, v61
	;; [unrolled: 6-line block ×3, first 2 shown]
	v_fma_f32 v6, v8, v81, -v6
	v_mul_f32_e32 v3, v3, v80
	v_add_f32_e32 v1, v1, v6
	v_fma_f32 v2, v2, v78, -v3
	buffer_load_dword v157, off, s[0:3], 0 offset:476
	buffer_load_dword v156, off, s[0:3], 0 offset:472
	;; [unrolled: 1-line block ×10, first 2 shown]
	v_add_f32_e32 v1, v1, v2
	v_mul_f32_e32 v2, v5, v79
	v_fma_f32 v2, v4, v76, -v2
	v_add_f32_e32 v1, v1, v2
	v_mul_f32_e32 v2, v31, v77
	v_fma_f32 v2, v30, v73, -v2
	;; [unrolled: 3-line block ×10, first 2 shown]
	v_add_f32_e32 v1, v1, v2
	s_waitcnt vmcnt(62)
	v_mul_f32_e32 v2, v49, v168
	v_mul_f32_e32 v101, v48, v168
	v_fma_f32 v2, v48, v167, -v2
	v_fmac_f32_e32 v101, v49, v167
	v_add_f32_e32 v1, v1, v2
	s_waitcnt lgkmcnt(11)
	v_mul_f32_e32 v2, v97, v170
	v_add_f32_e32 v95, v95, v101
	v_mul_f32_e32 v101, v96, v170
	v_fma_f32 v2, v96, v169, -v2
	v_fmac_f32_e32 v101, v97, v169
	v_add_f32_e32 v1, v1, v2
	s_waitcnt vmcnt(60)
	v_mul_f32_e32 v2, v99, v172
	v_add_f32_e32 v95, v95, v101
	v_mul_f32_e32 v101, v98, v172
	v_fma_f32 v2, v98, v171, -v2
	v_fmac_f32_e32 v101, v99, v171
	v_add_f32_e32 v1, v1, v2
	s_waitcnt vmcnt(58) lgkmcnt(10)
	v_mul_f32_e32 v2, v105, v174
	v_add_f32_e32 v95, v95, v101
	v_mul_f32_e32 v101, v104, v174
	v_fma_f32 v2, v104, v173, -v2
	v_fmac_f32_e32 v101, v105, v173
	v_add_f32_e32 v1, v1, v2
	s_waitcnt vmcnt(56)
	v_mul_f32_e32 v2, v107, v176
	v_add_f32_e32 v95, v95, v101
	v_mul_f32_e32 v101, v106, v176
	v_fma_f32 v2, v106, v175, -v2
	v_fmac_f32_e32 v101, v107, v175
	v_add_f32_e32 v1, v1, v2
	s_waitcnt vmcnt(54) lgkmcnt(9)
	;; [unrolled: 14-line block ×10, first 2 shown]
	v_mul_f32_e32 v2, v141, v250
	v_add_f32_e32 v95, v95, v101
	v_mul_f32_e32 v101, v140, v250
	v_fma_f32 v2, v140, v249, -v2
	v_fmac_f32_e32 v101, v141, v249
	v_add_f32_e32 v1, v1, v2
	s_waitcnt vmcnt(20)
	v_mul_f32_e32 v2, v143, v252
	v_add_f32_e32 v95, v95, v101
	v_mul_f32_e32 v101, v142, v252
	v_fma_f32 v2, v142, v251, -v2
	v_fmac_f32_e32 v101, v143, v251
	v_add_f32_e32 v94, v1, v2
	ds_read2_b64 v[2:5], v52 offset0:115 offset1:116
	ds_read2_b64 v[6:9], v52 offset0:117 offset1:118
	;; [unrolled: 1-line block ×4, first 2 shown]
	v_add_f32_e32 v95, v95, v101
	s_waitcnt vmcnt(18) lgkmcnt(4)
	v_mul_f32_e32 v101, v144, v254
	v_mul_f32_e32 v1, v145, v254
	s_waitcnt vmcnt(11)
	v_mov_b32_e32 v20, v153
	v_fmac_f32_e32 v101, v145, v253
	v_mul_f32_e32 v155, v146, v184
	v_fma_f32 v100, v144, v253, -v1
	v_mul_f32_e32 v1, v147, v184
	s_waitcnt lgkmcnt(3)
	v_pk_mul_f32 v[20:21], v[2:3], v[20:21] op_sel_hi:[1,0]
	v_fmac_f32_e32 v155, v147, v255
	v_fma_f32 v154, v146, v255, -v1
	v_pk_add_f32 v[18:19], v[94:95], v[100:101]
	s_waitcnt vmcnt(10)
	v_pk_fma_f32 v[22:23], v[2:3], v[152:153], v[20:21] op_sel:[0,0,1] op_sel_hi:[1,1,0] neg_lo:[0,0,1] neg_hi:[0,0,1]
	v_pk_fma_f32 v[2:3], v[2:3], v[152:153], v[20:21] op_sel:[0,0,1] op_sel_hi:[1,0,0]
	v_pk_add_f32 v[18:19], v[18:19], v[154:155]
	v_mov_b32_e32 v23, v3
	v_pk_add_f32 v[2:3], v[18:19], v[22:23]
	v_mov_b32_e32 v18, v151
	v_pk_mul_f32 v[18:19], v[4:5], v[18:19] op_sel_hi:[1,0]
	v_pk_fma_f32 v[20:21], v[4:5], v[150:151], v[18:19] op_sel:[0,0,1] op_sel_hi:[1,1,0] neg_lo:[0,0,1] neg_hi:[0,0,1]
	v_pk_fma_f32 v[4:5], v[4:5], v[150:151], v[18:19] op_sel:[0,0,1] op_sel_hi:[1,0,0]
	v_mov_b32_e32 v4, v149
	v_mov_b32_e32 v21, v5
	s_waitcnt lgkmcnt(2)
	v_pk_mul_f32 v[4:5], v[6:7], v[4:5] op_sel_hi:[1,0]
	v_pk_fma_f32 v[18:19], v[6:7], v[148:149], v[4:5] op_sel:[0,0,1] op_sel_hi:[1,1,0] neg_lo:[0,0,1] neg_hi:[0,0,1]
	v_pk_fma_f32 v[4:5], v[6:7], v[148:149], v[4:5] op_sel:[0,0,1] op_sel_hi:[1,0,0]
	s_waitcnt vmcnt(3)
	v_mov_b32_e32 v4, v163
	v_mov_b32_e32 v19, v5
	v_pk_mul_f32 v[4:5], v[8:9], v[4:5] op_sel_hi:[1,0]
	s_waitcnt vmcnt(2)
	v_pk_fma_f32 v[6:7], v[8:9], v[162:163], v[4:5] op_sel:[0,0,1] op_sel_hi:[1,1,0] neg_lo:[0,0,1] neg_hi:[0,0,1]
	v_pk_fma_f32 v[4:5], v[8:9], v[162:163], v[4:5] op_sel:[0,0,1] op_sel_hi:[1,0,0]
	v_pk_add_f32 v[2:3], v[2:3], v[20:21]
	v_mov_b32_e32 v4, v161
	v_pk_add_f32 v[2:3], v[2:3], v[18:19]
	v_mov_b32_e32 v7, v5
	s_waitcnt lgkmcnt(1)
	v_pk_mul_f32 v[4:5], v[10:11], v[4:5] op_sel_hi:[1,0]
	v_pk_add_f32 v[2:3], v[2:3], v[6:7]
	v_pk_fma_f32 v[6:7], v[10:11], v[160:161], v[4:5] op_sel:[0,0,1] op_sel_hi:[1,1,0] neg_lo:[0,0,1] neg_hi:[0,0,1]
	v_pk_fma_f32 v[4:5], v[10:11], v[160:161], v[4:5] op_sel:[0,0,1] op_sel_hi:[1,0,0]
	v_mov_b32_e32 v4, v159
	v_mov_b32_e32 v7, v5
	v_pk_mul_f32 v[4:5], v[12:13], v[4:5] op_sel_hi:[1,0]
	v_pk_add_f32 v[2:3], v[2:3], v[6:7]
	v_pk_fma_f32 v[6:7], v[12:13], v[158:159], v[4:5] op_sel:[0,0,1] op_sel_hi:[1,1,0] neg_lo:[0,0,1] neg_hi:[0,0,1]
	v_pk_fma_f32 v[4:5], v[12:13], v[158:159], v[4:5] op_sel:[0,0,1] op_sel_hi:[1,0,0]
	v_mov_b32_e32 v4, v157
	v_mov_b32_e32 v7, v5
	s_waitcnt lgkmcnt(0)
	v_pk_mul_f32 v[4:5], v[14:15], v[4:5] op_sel_hi:[1,0]
	v_pk_add_f32 v[2:3], v[2:3], v[6:7]
	v_pk_fma_f32 v[6:7], v[14:15], v[156:157], v[4:5] op_sel:[0,0,1] op_sel_hi:[1,1,0] neg_lo:[0,0,1] neg_hi:[0,0,1]
	v_pk_fma_f32 v[4:5], v[14:15], v[156:157], v[4:5] op_sel:[0,0,1] op_sel_hi:[1,0,0]
	s_waitcnt vmcnt(1)
	v_mov_b32_e32 v4, v165
	v_mov_b32_e32 v7, v5
	v_pk_mul_f32 v[4:5], v[16:17], v[4:5] op_sel_hi:[1,0]
	v_pk_add_f32 v[2:3], v[2:3], v[6:7]
	s_waitcnt vmcnt(0)
	v_pk_fma_f32 v[6:7], v[16:17], v[164:165], v[4:5] op_sel:[0,0,1] op_sel_hi:[1,1,0] neg_lo:[0,0,1] neg_hi:[0,0,1]
	v_pk_fma_f32 v[4:5], v[16:17], v[164:165], v[4:5] op_sel:[0,0,1] op_sel_hi:[1,0,0]
	v_mov_b32_e32 v7, v5
	v_pk_add_f32 v[2:3], v[2:3], v[6:7]
	v_pk_add_f32 v[2:3], v[50:51], v[2:3] neg_lo:[0,1] neg_hi:[0,1]
	buffer_store_dword v3, off, s[0:3], 0 offset:36
	buffer_store_dword v2, off, s[0:3], 0 offset:32
	s_and_saveexec_b64 s[4:5], vcc
	s_cbranch_execz .LBB124_373
; %bb.372:
	buffer_load_dword v2, off, s[0:3], 0 offset:24
	buffer_load_dword v3, off, s[0:3], 0 offset:28
	v_mov_b32_e32 v1, 0
	buffer_store_dword v1, off, s[0:3], 0 offset:24
	buffer_store_dword v1, off, s[0:3], 0 offset:28
	s_waitcnt vmcnt(2)
	ds_write_b64 v199, v[2:3]
.LBB124_373:
	s_or_b64 exec, exec, s[4:5]
	v_mov_b32_e32 v248, 0
	s_waitcnt lgkmcnt(0)
	; wave barrier
	s_waitcnt lgkmcnt(0)
	ds_read_b128 v[2:5], v248 offset:528
	buffer_load_dword v224, off, s[0:3], 0 offset:24
	buffer_load_dword v225, off, s[0:3], 0 offset:28
	;; [unrolled: 1-line block ×16, first 2 shown]
	v_cmp_lt_u32_e32 vcc, 2, v0
	s_waitcnt vmcnt(12) lgkmcnt(0)
	v_mul_f32_e32 v6, v2, v249
	v_fmac_f32_e32 v6, v3, v226
	s_waitcnt vmcnt(10)
	v_mul_f32_e32 v7, v4, v251
	v_add_f32_e32 v6, 0, v6
	v_fmac_f32_e32 v7, v5, v228
	v_add_f32_e32 v10, v6, v7
	ds_read_b128 v[6:9], v248 offset:544
	v_mul_f32_e32 v3, v3, v249
	v_fma_f32 v2, v2, v226, -v3
	v_mul_f32_e32 v3, v5, v251
	v_add_f32_e32 v2, 0, v2
	s_waitcnt vmcnt(8) lgkmcnt(0)
	v_mul_f32_e32 v11, v6, v253
	v_fmac_f32_e32 v11, v7, v232
	v_add_f32_e32 v10, v10, v11
	s_waitcnt vmcnt(6)
	v_mul_f32_e32 v11, v8, v255
	v_fmac_f32_e32 v11, v9, v250
	v_add_f32_e32 v14, v10, v11
	ds_read_b128 v[10:13], v248 offset:560
	v_fma_f32 v3, v4, v228, -v3
	v_add_f32_e32 v2, v2, v3
	v_mul_f32_e32 v3, v7, v253
	v_fma_f32 v3, v6, v232, -v3
	s_waitcnt vmcnt(4) lgkmcnt(0)
	v_mul_f32_e32 v15, v10, v104
	v_fmac_f32_e32 v15, v11, v252
	v_add_f32_e32 v14, v14, v15
	s_waitcnt vmcnt(2)
	v_mul_f32_e32 v15, v12, v105
	v_fmac_f32_e32 v15, v13, v254
	v_add_f32_e32 v18, v14, v15
	ds_read_b128 v[14:17], v248 offset:576
	buffer_load_dword v107, off, s[0:3], 0 offset:88
	buffer_load_dword v108, off, s[0:3], 0 offset:92
	v_add_f32_e32 v2, v2, v3
	v_mul_f32_e32 v3, v9, v255
	v_fma_f32 v3, v8, v250, -v3
	s_waitcnt vmcnt(2) lgkmcnt(0)
	v_mul_f32_e32 v19, v14, v106
	v_fmac_f32_e32 v19, v15, v1
	v_add_f32_e32 v18, v18, v19
	v_add_f32_e32 v2, v2, v3
	v_mul_f32_e32 v3, v11, v104
	v_fma_f32 v3, v10, v252, -v3
	v_add_f32_e32 v2, v2, v3
	v_mul_f32_e32 v3, v13, v105
	v_fma_f32 v3, v12, v254, -v3
	;; [unrolled: 3-line block ×3, first 2 shown]
	v_add_f32_e32 v1, v2, v1
	s_waitcnt vmcnt(0)
	v_mul_f32_e32 v19, v16, v108
	v_fmac_f32_e32 v19, v17, v107
	v_add_f32_e32 v22, v18, v19
	ds_read_b128 v[18:21], v248 offset:592
	buffer_load_dword v109, off, s[0:3], 0 offset:96
	buffer_load_dword v110, off, s[0:3], 0 offset:100
	buffer_load_dword v111, off, s[0:3], 0 offset:104
	buffer_load_dword v112, off, s[0:3], 0 offset:108
	v_mul_f32_e32 v2, v17, v108
	v_fma_f32 v2, v16, v107, -v2
	v_add_f32_e32 v1, v1, v2
	s_waitcnt vmcnt(2) lgkmcnt(0)
	v_mul_f32_e32 v23, v18, v110
	v_fmac_f32_e32 v23, v19, v109
	v_add_f32_e32 v22, v22, v23
	s_waitcnt vmcnt(0)
	v_mul_f32_e32 v23, v20, v112
	v_fmac_f32_e32 v23, v21, v111
	v_add_f32_e32 v26, v22, v23
	ds_read_b128 v[22:25], v248 offset:608
	buffer_load_dword v113, off, s[0:3], 0 offset:112
	buffer_load_dword v114, off, s[0:3], 0 offset:116
	buffer_load_dword v115, off, s[0:3], 0 offset:120
	buffer_load_dword v116, off, s[0:3], 0 offset:124
	v_mul_f32_e32 v2, v19, v110
	v_fma_f32 v2, v18, v109, -v2
	v_add_f32_e32 v1, v1, v2
	v_mul_f32_e32 v2, v21, v112
	v_fma_f32 v2, v20, v111, -v2
	v_add_f32_e32 v1, v1, v2
	s_waitcnt vmcnt(2) lgkmcnt(0)
	v_mul_f32_e32 v27, v22, v114
	v_fmac_f32_e32 v27, v23, v113
	v_add_f32_e32 v26, v26, v27
	s_waitcnt vmcnt(0)
	v_mul_f32_e32 v27, v24, v116
	v_fmac_f32_e32 v27, v25, v115
	v_add_f32_e32 v30, v26, v27
	ds_read_b128 v[26:29], v248 offset:624
	buffer_load_dword v117, off, s[0:3], 0 offset:128
	buffer_load_dword v118, off, s[0:3], 0 offset:132
	buffer_load_dword v119, off, s[0:3], 0 offset:136
	buffer_load_dword v120, off, s[0:3], 0 offset:140
	v_mul_f32_e32 v2, v23, v114
	v_fma_f32 v2, v22, v113, -v2
	v_add_f32_e32 v1, v1, v2
	;; [unrolled: 19-line block ×6, first 2 shown]
	v_mul_f32_e32 v2, v41, v132
	v_fma_f32 v2, v40, v131, -v2
	v_add_f32_e32 v1, v1, v2
	s_waitcnt vmcnt(2) lgkmcnt(0)
	v_mul_f32_e32 v47, v42, v134
	v_fmac_f32_e32 v47, v43, v133
	v_add_f32_e32 v46, v46, v47
	s_waitcnt vmcnt(0)
	v_mul_f32_e32 v47, v44, v136
	v_fmac_f32_e32 v47, v45, v135
	v_add_f32_e32 v50, v46, v47
	ds_read_b128 v[46:49], v248 offset:704
	buffer_load_dword v137, off, s[0:3], 0 offset:208
	buffer_load_dword v138, off, s[0:3], 0 offset:212
	buffer_load_dword v139, off, s[0:3], 0 offset:216
	buffer_load_dword v140, off, s[0:3], 0 offset:220
	ds_read_b128 v[54:57], v248 offset:720
	buffer_load_dword v141, off, s[0:3], 0 offset:224
	buffer_load_dword v142, off, s[0:3], 0 offset:228
	buffer_load_dword v143, off, s[0:3], 0 offset:232
	buffer_load_dword v144, off, s[0:3], 0 offset:236
	;; [unrolled: 5-line block ×13, first 2 shown]
	v_mul_f32_e32 v2, v43, v134
	v_fma_f32 v2, v42, v133, -v2
	v_add_f32_e32 v1, v1, v2
	v_mul_f32_e32 v2, v45, v136
	v_fma_f32 v2, v44, v135, -v2
	v_add_f32_e32 v1, v1, v2
	s_waitcnt vmcnt(50) lgkmcnt(12)
	v_mul_f32_e32 v51, v46, v138
	v_fmac_f32_e32 v51, v47, v137
	v_add_f32_e32 v50, v50, v51
	s_waitcnt vmcnt(48)
	v_mul_f32_e32 v51, v48, v140
	v_fmac_f32_e32 v51, v49, v139
	v_add_f32_e32 v50, v50, v51
	s_waitcnt vmcnt(46) lgkmcnt(11)
	v_mul_f32_e32 v51, v54, v142
	v_fmac_f32_e32 v51, v55, v141
	v_add_f32_e32 v50, v50, v51
	s_waitcnt vmcnt(44)
	v_mul_f32_e32 v51, v56, v144
	v_fmac_f32_e32 v51, v57, v143
	;; [unrolled: 8-line block ×12, first 2 shown]
	v_add_f32_e32 v50, v50, v51
	s_waitcnt vmcnt(2) lgkmcnt(0)
	v_mul_f32_e32 v51, v98, v186
	v_fmac_f32_e32 v51, v99, v185
	v_add_f32_e32 v227, v50, v51
	ds_read_b128 v[50:53], v248 offset:912
	buffer_load_dword v189, off, s[0:3], 0 offset:416
	buffer_load_dword v190, off, s[0:3], 0 offset:420
	;; [unrolled: 1-line block ×18, first 2 shown]
	v_mul_f32_e32 v2, v47, v138
	v_fma_f32 v2, v46, v137, -v2
	v_add_f32_e32 v1, v1, v2
	v_mul_f32_e32 v2, v49, v140
	v_fma_f32 v2, v48, v139, -v2
	v_add_f32_e32 v1, v1, v2
	;; [unrolled: 3-line block ×24, first 2 shown]
	v_mul_f32_e32 v2, v99, v186
	v_fma_f32 v2, v98, v185, -v2
	s_waitcnt vmcnt(15)
	v_mov_b32_e32 v18, v231
	v_mul_f32_e32 v229, v100, v188
	v_add_f32_e32 v226, v1, v2
	v_mul_f32_e32 v1, v101, v188
	s_waitcnt lgkmcnt(0)
	v_pk_mul_f32 v[18:19], v[52:53], v[18:19] op_sel_hi:[1,0]
	v_fmac_f32_e32 v229, v101, v187
	v_mul_f32_e32 v233, v50, v190
	v_fma_f32 v228, v100, v187, -v1
	v_mul_f32_e32 v1, v51, v190
	ds_read_b128 v[2:5], v248 offset:928
	ds_read_b128 v[6:9], v248 offset:944
	;; [unrolled: 1-line block ×3, first 2 shown]
	ds_read_b64 v[14:15], v248 offset:976
	s_waitcnt vmcnt(14)
	v_pk_fma_f32 v[20:21], v[52:53], v[230:231], v[18:19] op_sel:[0,0,1] op_sel_hi:[1,1,0] neg_lo:[0,0,1] neg_hi:[0,0,1]
	v_pk_fma_f32 v[18:19], v[52:53], v[230:231], v[18:19] op_sel:[0,0,1] op_sel_hi:[1,0,0]
	v_fmac_f32_e32 v233, v51, v189
	v_fma_f32 v232, v50, v189, -v1
	v_pk_add_f32 v[16:17], v[226:227], v[228:229]
	s_waitcnt vmcnt(13)
	v_mov_b32_e32 v18, v247
	v_pk_add_f32 v[16:17], v[16:17], v[232:233]
	v_mov_b32_e32 v21, v19
	s_waitcnt lgkmcnt(3)
	v_pk_mul_f32 v[18:19], v[2:3], v[18:19] op_sel_hi:[1,0]
	v_pk_add_f32 v[16:17], v[16:17], v[20:21]
	s_waitcnt vmcnt(12)
	v_pk_fma_f32 v[20:21], v[2:3], v[246:247], v[18:19] op_sel:[0,0,1] op_sel_hi:[1,1,0] neg_lo:[0,0,1] neg_hi:[0,0,1]
	v_pk_fma_f32 v[2:3], v[2:3], v[246:247], v[18:19] op_sel:[0,0,1] op_sel_hi:[1,0,0]
	v_mov_b32_e32 v21, v3
	v_pk_add_f32 v[2:3], v[16:17], v[20:21]
	s_waitcnt vmcnt(11)
	v_mov_b32_e32 v16, v245
	v_pk_mul_f32 v[16:17], v[4:5], v[16:17] op_sel_hi:[1,0]
	s_waitcnt vmcnt(10)
	v_pk_fma_f32 v[18:19], v[4:5], v[244:245], v[16:17] op_sel:[0,0,1] op_sel_hi:[1,1,0] neg_lo:[0,0,1] neg_hi:[0,0,1]
	v_pk_fma_f32 v[4:5], v[4:5], v[244:245], v[16:17] op_sel:[0,0,1] op_sel_hi:[1,0,0]
	s_waitcnt vmcnt(9)
	v_mov_b32_e32 v4, v243
	v_mov_b32_e32 v19, v5
	s_waitcnt lgkmcnt(2)
	v_pk_mul_f32 v[4:5], v[6:7], v[4:5] op_sel_hi:[1,0]
	s_waitcnt vmcnt(8)
	v_pk_fma_f32 v[16:17], v[6:7], v[242:243], v[4:5] op_sel:[0,0,1] op_sel_hi:[1,1,0] neg_lo:[0,0,1] neg_hi:[0,0,1]
	v_pk_fma_f32 v[4:5], v[6:7], v[242:243], v[4:5] op_sel:[0,0,1] op_sel_hi:[1,0,0]
	s_waitcnt vmcnt(7)
	v_mov_b32_e32 v4, v241
	v_mov_b32_e32 v17, v5
	v_pk_mul_f32 v[4:5], v[8:9], v[4:5] op_sel_hi:[1,0]
	s_waitcnt vmcnt(6)
	v_pk_fma_f32 v[6:7], v[8:9], v[240:241], v[4:5] op_sel:[0,0,1] op_sel_hi:[1,1,0] neg_lo:[0,0,1] neg_hi:[0,0,1]
	v_pk_fma_f32 v[4:5], v[8:9], v[240:241], v[4:5] op_sel:[0,0,1] op_sel_hi:[1,0,0]
	v_pk_add_f32 v[2:3], v[2:3], v[18:19]
	s_waitcnt vmcnt(5)
	v_mov_b32_e32 v4, v239
	v_pk_add_f32 v[2:3], v[2:3], v[16:17]
	v_mov_b32_e32 v7, v5
	s_waitcnt lgkmcnt(1)
	v_pk_mul_f32 v[4:5], v[10:11], v[4:5] op_sel_hi:[1,0]
	v_pk_add_f32 v[2:3], v[2:3], v[6:7]
	s_waitcnt vmcnt(4)
	v_pk_fma_f32 v[6:7], v[10:11], v[238:239], v[4:5] op_sel:[0,0,1] op_sel_hi:[1,1,0] neg_lo:[0,0,1] neg_hi:[0,0,1]
	v_pk_fma_f32 v[4:5], v[10:11], v[238:239], v[4:5] op_sel:[0,0,1] op_sel_hi:[1,0,0]
	s_waitcnt vmcnt(3)
	v_mov_b32_e32 v4, v237
	v_mov_b32_e32 v7, v5
	v_pk_mul_f32 v[4:5], v[12:13], v[4:5] op_sel_hi:[1,0]
	v_pk_add_f32 v[2:3], v[2:3], v[6:7]
	s_waitcnt vmcnt(2)
	v_pk_fma_f32 v[6:7], v[12:13], v[236:237], v[4:5] op_sel:[0,0,1] op_sel_hi:[1,1,0] neg_lo:[0,0,1] neg_hi:[0,0,1]
	v_pk_fma_f32 v[4:5], v[12:13], v[236:237], v[4:5] op_sel:[0,0,1] op_sel_hi:[1,0,0]
	s_waitcnt vmcnt(1)
	v_mov_b32_e32 v4, v235
	v_mov_b32_e32 v7, v5
	s_waitcnt lgkmcnt(0)
	v_pk_mul_f32 v[4:5], v[14:15], v[4:5] op_sel_hi:[1,0]
	v_pk_add_f32 v[2:3], v[2:3], v[6:7]
	s_waitcnt vmcnt(0)
	v_pk_fma_f32 v[6:7], v[14:15], v[234:235], v[4:5] op_sel:[0,0,1] op_sel_hi:[1,1,0] neg_lo:[0,0,1] neg_hi:[0,0,1]
	v_pk_fma_f32 v[4:5], v[14:15], v[234:235], v[4:5] op_sel:[0,0,1] op_sel_hi:[1,0,0]
	v_mov_b32_e32 v7, v5
	v_pk_add_f32 v[2:3], v[2:3], v[6:7]
	v_pk_add_f32 v[2:3], v[224:225], v[2:3] neg_lo:[0,1] neg_hi:[0,1]
	buffer_store_dword v3, off, s[0:3], 0 offset:28
	buffer_store_dword v2, off, s[0:3], 0 offset:24
	s_and_saveexec_b64 s[4:5], vcc
	s_cbranch_execz .LBB124_375
; %bb.374:
	buffer_load_dword v2, off, s[0:3], 0 offset:16
	buffer_load_dword v3, off, s[0:3], 0 offset:20
	s_waitcnt vmcnt(0)
	ds_write_b64 v199, v[2:3]
	buffer_store_dword v248, off, s[0:3], 0 offset:16
	buffer_store_dword v248, off, s[0:3], 0 offset:20
.LBB124_375:
	s_or_b64 exec, exec, s[4:5]
	s_waitcnt lgkmcnt(0)
	; wave barrier
	s_waitcnt lgkmcnt(0)
	buffer_load_dword v64, off, s[0:3], 0 offset:28
	buffer_load_dword v63, off, s[0:3], 0 offset:36
	buffer_load_dword v62, off, s[0:3], 0 offset:52
	buffer_load_dword v61, off, s[0:3], 0 offset:60
	buffer_load_dword v1, off, s[0:3], 0 offset:68
	buffer_load_dword v65, off, s[0:3], 0 offset:44
	buffer_load_dword v60, off, s[0:3], 0 offset:76
	buffer_load_dword v66, off, s[0:3], 0 offset:84
	buffer_load_dword v67, off, s[0:3], 0 offset:92
	buffer_load_dword v68, off, s[0:3], 0 offset:100
	buffer_load_dword v69, off, s[0:3], 0 offset:108
	buffer_load_dword v70, off, s[0:3], 0 offset:116
	buffer_load_dword v76, off, s[0:3], 0 offset:40
	buffer_load_dword v79, off, s[0:3], 0 offset:32
	buffer_load_dword v82, off, s[0:3], 0 offset:24
	buffer_load_dword v73, off, s[0:3], 0 offset:72
	buffer_load_dword v75, off, s[0:3], 0 offset:64
	buffer_load_dword v78, off, s[0:3], 0 offset:56
	buffer_load_dword v81, off, s[0:3], 0 offset:48
	buffer_load_dword v71, off, s[0:3], 0 offset:104
	buffer_load_dword v72, off, s[0:3], 0 offset:96
	buffer_load_dword v74, off, s[0:3], 0 offset:88
	buffer_load_dword v77, off, s[0:3], 0 offset:80
	buffer_load_dword v80, off, s[0:3], 0 offset:136
	buffer_load_dword v83, off, s[0:3], 0 offset:128
	buffer_load_dword v85, off, s[0:3], 0 offset:120
	buffer_load_dword v88, off, s[0:3], 0 offset:112
	buffer_load_dword v87, off, s[0:3], 0 offset:124
	buffer_load_dword v86, off, s[0:3], 0 offset:132
	buffer_load_dword v84, off, s[0:3], 0 offset:140
	buffer_load_dword v89, off, s[0:3], 0 offset:160
	buffer_load_dword v90, off, s[0:3], 0 offset:164
	buffer_load_dword v91, off, s[0:3], 0 offset:168
	buffer_load_dword v92, off, s[0:3], 0 offset:172
	buffer_load_dword v93, off, s[0:3], 0 offset:152
	buffer_load_dword v96, off, s[0:3], 0 offset:148
	buffer_load_dword v95, off, s[0:3], 0 offset:144
	buffer_load_dword v94, off, s[0:3], 0 offset:156
	buffer_load_dword v58, off, s[0:3], 0 offset:16
	buffer_load_dword v59, off, s[0:3], 0 offset:20
	ds_read2_b64 v[22:25], v248 offset0:65 offset1:66
	ds_read2_b64 v[18:21], v248 offset0:67 offset1:68
	;; [unrolled: 1-line block ×6, first 2 shown]
	buffer_load_dword v97, off, s[0:3], 0 offset:176
	buffer_load_dword v98, off, s[0:3], 0 offset:180
	;; [unrolled: 1-line block ×10, first 2 shown]
	v_cmp_lt_u32_e32 vcc, 1, v0
	s_waitcnt vmcnt(49) lgkmcnt(5)
	v_mul_f32_e32 v26, v22, v64
	s_waitcnt vmcnt(48)
	v_mul_f32_e32 v27, v24, v63
	s_waitcnt vmcnt(47) lgkmcnt(4)
	v_mul_f32_e32 v29, v20, v62
	s_waitcnt vmcnt(46) lgkmcnt(3)
	v_mul_f32_e32 v30, v14, v61
	s_waitcnt vmcnt(45)
	v_mul_f32_e32 v31, v16, v1
	s_waitcnt vmcnt(44)
	v_mul_f32_e32 v28, v18, v65
	s_waitcnt vmcnt(43) lgkmcnt(2)
	v_mul_f32_e32 v32, v10, v60
	s_waitcnt vmcnt(42)
	v_mul_f32_e32 v33, v12, v66
	s_waitcnt vmcnt(41) lgkmcnt(1)
	;; [unrolled: 4-line block ×3, first 2 shown]
	v_mul_f32_e32 v36, v2, v69
	s_waitcnt vmcnt(38)
	v_mul_f32_e32 v37, v4, v70
	s_waitcnt vmcnt(37)
	v_fmac_f32_e32 v28, v19, v76
	s_waitcnt vmcnt(36)
	v_fmac_f32_e32 v27, v25, v79
	;; [unrolled: 2-line block ×3, first 2 shown]
	v_add_f32_e32 v26, 0, v26
	v_add_f32_e32 v26, v26, v27
	;; [unrolled: 1-line block ×3, first 2 shown]
	s_waitcnt vmcnt(31)
	v_fmac_f32_e32 v29, v21, v81
	v_fmac_f32_e32 v30, v15, v78
	v_add_f32_e32 v26, v26, v29
	v_fmac_f32_e32 v31, v17, v75
	v_add_f32_e32 v26, v26, v30
	;; [unrolled: 2-line block ×3, first 2 shown]
	s_waitcnt vmcnt(27)
	v_fmac_f32_e32 v33, v13, v77
	v_add_f32_e32 v26, v26, v32
	v_fmac_f32_e32 v34, v7, v74
	v_add_f32_e32 v26, v26, v33
	;; [unrolled: 2-line block ×3, first 2 shown]
	v_add_f32_e32 v30, v26, v35
	ds_read2_b64 v[26:29], v248 offset0:77 offset1:78
	v_fmac_f32_e32 v36, v3, v71
	v_add_f32_e32 v30, v30, v36
	s_waitcnt vmcnt(23)
	v_fmac_f32_e32 v37, v5, v88
	v_add_f32_e32 v34, v30, v37
	ds_read2_b64 v[30:33], v248 offset0:79 offset1:80
	s_waitcnt vmcnt(22) lgkmcnt(1)
	v_mul_f32_e32 v35, v26, v87
	buffer_load_dword v160, off, s[0:3], 0 offset:216
	buffer_load_dword v162, off, s[0:3], 0 offset:220
	v_fmac_f32_e32 v35, v27, v85
	v_add_f32_e32 v34, v34, v35
	s_waitcnt vmcnt(23)
	v_mul_f32_e32 v35, v28, v86
	buffer_load_dword v178, off, s[0:3], 0 offset:224
	buffer_load_dword v179, off, s[0:3], 0 offset:228
	v_fmac_f32_e32 v35, v29, v83
	v_add_f32_e32 v34, v34, v35
	s_waitcnt vmcnt(24) lgkmcnt(0)
	v_mul_f32_e32 v35, v30, v84
	buffer_load_dword v180, off, s[0:3], 0 offset:232
	buffer_load_dword v181, off, s[0:3], 0 offset:236
	v_fmac_f32_e32 v35, v31, v80
	v_add_f32_e32 v34, v34, v35
	s_waitcnt vmcnt(20)
	v_mul_f32_e32 v35, v32, v96
	s_waitcnt vmcnt(19)
	v_fmac_f32_e32 v35, v33, v95
	ds_read2_b64 v[38:41], v248 offset0:81 offset1:82
	v_add_f32_e32 v42, v34, v35
	ds_read2_b64 v[34:37], v248 offset0:83 offset1:84
	buffer_load_dword v182, off, s[0:3], 0 offset:240
	buffer_load_dword v183, off, s[0:3], 0 offset:244
	;; [unrolled: 1-line block ×8, first 2 shown]
	s_waitcnt vmcnt(26) lgkmcnt(1)
	v_mul_f32_e32 v43, v38, v94
	v_fmac_f32_e32 v43, v39, v93
	buffer_load_dword v190, off, s[0:3], 0 offset:272
	buffer_load_dword v191, off, s[0:3], 0 offset:276
	v_add_f32_e32 v42, v42, v43
	v_mul_f32_e32 v43, v40, v90
	v_fmac_f32_e32 v43, v41, v89
	v_add_f32_e32 v42, v42, v43
	s_waitcnt lgkmcnt(0)
	v_mul_f32_e32 v43, v34, v92
	buffer_load_dword v224, off, s[0:3], 0 offset:280
	buffer_load_dword v225, off, s[0:3], 0 offset:284
	v_fmac_f32_e32 v43, v35, v91
	v_add_f32_e32 v46, v42, v43
	ds_read2_b64 v[42:45], v248 offset0:85 offset1:86
	buffer_load_dword v226, off, s[0:3], 0 offset:288
	buffer_load_dword v227, off, s[0:3], 0 offset:292
	;; [unrolled: 1-line block ×4, first 2 shown]
	s_waitcnt vmcnt(30)
	v_mul_f32_e32 v47, v36, v98
	v_fmac_f32_e32 v47, v37, v97
	v_add_f32_e32 v50, v46, v47
	ds_read2_b64 v[46:49], v248 offset0:87 offset1:88
	buffer_load_dword v230, off, s[0:3], 0 offset:304
	buffer_load_dword v231, off, s[0:3], 0 offset:308
	;; [unrolled: 1-line block ×12, first 2 shown]
	s_waitcnt vmcnt(40) lgkmcnt(1)
	v_mul_f32_e32 v51, v42, v100
	v_fmac_f32_e32 v51, v43, v99
	buffer_load_dword v242, off, s[0:3], 0 offset:352
	buffer_load_dword v243, off, s[0:3], 0 offset:356
	v_add_f32_e32 v50, v50, v51
	s_waitcnt vmcnt(40)
	v_mul_f32_e32 v51, v44, v104
	v_fmac_f32_e32 v51, v45, v101
	buffer_load_dword v244, off, s[0:3], 0 offset:360
	buffer_load_dword v245, off, s[0:3], 0 offset:364
	v_add_f32_e32 v50, v50, v51
	s_waitcnt vmcnt(40) lgkmcnt(0)
	v_mul_f32_e32 v51, v46, v106
	v_fmac_f32_e32 v51, v47, v105
	v_add_f32_e32 v54, v50, v51
	ds_read2_b64 v[50:53], v248 offset0:89 offset1:90
	buffer_load_dword v246, off, s[0:3], 0 offset:368
	buffer_load_dword v247, off, s[0:3], 0 offset:372
	s_waitcnt vmcnt(40)
	v_mul_f32_e32 v55, v48, v108
	v_fmac_f32_e32 v55, v49, v107
	v_add_f32_e32 v109, v54, v55
	ds_read2_b64 v[54:57], v248 offset0:91 offset1:92
	buffer_load_dword v249, off, s[0:3], 0 offset:376
	buffer_load_dword v250, off, s[0:3], 0 offset:380
	;; [unrolled: 1-line block ×12, first 2 shown]
	v_mul_f32_e32 v23, v23, v64
	v_fma_f32 v22, v22, v82, -v23
	v_mul_f32_e32 v23, v25, v63
	v_add_f32_e32 v22, 0, v22
	v_fma_f32 v23, v24, v79, -v23
	v_mul_f32_e32 v19, v19, v65
	v_add_f32_e32 v22, v22, v23
	v_fma_f32 v18, v18, v76, -v19
	v_mul_f32_e32 v19, v21, v62
	v_add_f32_e32 v18, v22, v18
	v_fma_f32 v19, v20, v81, -v19
	v_mul_f32_e32 v15, v15, v61
	v_add_f32_e32 v18, v18, v19
	v_fma_f32 v14, v14, v78, -v15
	s_waitcnt vmcnt(50) lgkmcnt(1)
	v_mul_f32_e32 v110, v50, v162
	v_fmac_f32_e32 v110, v51, v160
	v_add_f32_e32 v109, v109, v110
	v_mul_f32_e32 v1, v17, v1
	s_waitcnt vmcnt(48)
	v_mul_f32_e32 v110, v52, v179
	v_fmac_f32_e32 v110, v53, v178
	v_add_f32_e32 v109, v109, v110
	v_add_f32_e32 v14, v18, v14
	s_waitcnt vmcnt(46) lgkmcnt(0)
	v_mul_f32_e32 v110, v54, v181
	v_fmac_f32_e32 v110, v55, v180
	v_add_f32_e32 v109, v109, v110
	ds_read2_b64 v[110:113], v248 offset0:93 offset1:94
	v_fma_f32 v1, v16, v75, -v1
	v_mul_f32_e32 v11, v11, v60
	v_add_f32_e32 v1, v14, v1
	v_fma_f32 v10, v10, v73, -v11
	s_waitcnt vmcnt(44)
	v_mul_f32_e32 v114, v56, v183
	v_fmac_f32_e32 v114, v57, v182
	v_add_f32_e32 v109, v109, v114
	ds_read2_b64 v[114:117], v248 offset0:95 offset1:96
	s_waitcnt vmcnt(42) lgkmcnt(1)
	v_mul_f32_e32 v118, v110, v185
	v_fmac_f32_e32 v118, v111, v184
	v_add_f32_e32 v109, v109, v118
	s_waitcnt vmcnt(40)
	v_mul_f32_e32 v118, v112, v187
	v_fmac_f32_e32 v118, v113, v186
	v_add_f32_e32 v109, v109, v118
	s_waitcnt vmcnt(38) lgkmcnt(0)
	v_mul_f32_e32 v118, v114, v189
	v_fmac_f32_e32 v118, v115, v188
	v_add_f32_e32 v109, v109, v118
	ds_read2_b64 v[118:121], v248 offset0:97 offset1:98
	s_waitcnt vmcnt(36)
	v_mul_f32_e32 v122, v116, v191
	v_fmac_f32_e32 v122, v117, v190
	v_add_f32_e32 v109, v109, v122
	ds_read2_b64 v[122:125], v248 offset0:99 offset1:100
	s_waitcnt vmcnt(34) lgkmcnt(1)
	v_mul_f32_e32 v126, v118, v225
	v_fmac_f32_e32 v126, v119, v224
	v_add_f32_e32 v109, v109, v126
	s_waitcnt vmcnt(32)
	v_mul_f32_e32 v126, v120, v227
	v_fmac_f32_e32 v126, v121, v226
	v_add_f32_e32 v109, v109, v126
	s_waitcnt vmcnt(30) lgkmcnt(0)
	v_mul_f32_e32 v126, v122, v229
	v_fmac_f32_e32 v126, v123, v228
	v_add_f32_e32 v109, v109, v126
	ds_read2_b64 v[126:129], v248 offset0:101 offset1:102
	;; [unrolled: 18-line block ×4, first 2 shown]
	s_waitcnt vmcnt(12)
	v_mul_f32_e32 v146, v140, v247
	v_fmac_f32_e32 v146, v141, v246
	v_add_f32_e32 v109, v109, v146
	ds_read2_b64 v[146:149], v248 offset0:111 offset1:112
	buffer_load_dword v159, off, s[0:3], 0 offset:428
	buffer_load_dword v158, off, s[0:3], 0 offset:424
	v_add_f32_e32 v1, v1, v10
	v_mul_f32_e32 v10, v13, v66
	v_fma_f32 v10, v12, v77, -v10
	v_mul_f32_e32 v7, v7, v67
	s_waitcnt vmcnt(12) lgkmcnt(1)
	v_mul_f32_e32 v150, v142, v250
	v_add_f32_e32 v1, v1, v10
	v_fma_f32 v6, v6, v74, -v7
	v_fmac_f32_e32 v150, v143, v249
	v_add_f32_e32 v1, v1, v6
	v_mul_f32_e32 v6, v9, v68
	v_add_f32_e32 v109, v109, v150
	s_waitcnt vmcnt(10)
	v_mul_f32_e32 v150, v144, v252
	v_fma_f32 v6, v8, v72, -v6
	v_mul_f32_e32 v3, v3, v69
	v_fmac_f32_e32 v150, v145, v251
	v_add_f32_e32 v1, v1, v6
	v_fma_f32 v2, v2, v71, -v3
	v_add_f32_e32 v109, v109, v150
	s_waitcnt vmcnt(8) lgkmcnt(0)
	v_mul_f32_e32 v150, v146, v254
	v_add_f32_e32 v1, v1, v2
	v_mul_f32_e32 v2, v5, v70
	v_fmac_f32_e32 v150, v147, v253
	s_waitcnt vmcnt(6)
	v_mul_f32_e32 v154, v148, v192
	v_fma_f32 v2, v4, v88, -v2
	v_add_f32_e32 v109, v109, v150
	v_fmac_f32_e32 v154, v149, v255
	v_add_f32_e32 v1, v1, v2
	v_mul_f32_e32 v2, v27, v87
	ds_read2_b64 v[150:153], v248 offset0:113 offset1:114
	v_add_f32_e32 v109, v109, v154
	ds_read2_b64 v[154:157], v248 offset0:115 offset1:116
	buffer_load_dword v165, off, s[0:3], 0 offset:460
	buffer_load_dword v164, off, s[0:3], 0 offset:456
	;; [unrolled: 1-line block ×14, first 2 shown]
	v_fma_f32 v2, v26, v85, -v2
	v_add_f32_e32 v1, v1, v2
	v_mul_f32_e32 v2, v29, v86
	v_fma_f32 v2, v28, v83, -v2
	v_add_f32_e32 v1, v1, v2
	v_mul_f32_e32 v2, v31, v84
	;; [unrolled: 3-line block ×35, first 2 shown]
	v_fma_f32 v2, v148, v255, -v2
	s_waitcnt vmcnt(15)
	v_mov_b32_e32 v16, v159
	s_waitcnt lgkmcnt(1)
	v_mul_f32_e32 v161, v150, v194
	v_add_f32_e32 v108, v1, v2
	v_mul_f32_e32 v1, v151, v194
	s_waitcnt lgkmcnt(0)
	v_pk_mul_f32 v[16:17], v[154:155], v[16:17] op_sel_hi:[1,0]
	v_fmac_f32_e32 v161, v151, v193
	v_mul_f32_e32 v163, v152, v196
	v_fma_f32 v160, v150, v193, -v1
	v_mul_f32_e32 v1, v153, v196
	s_waitcnt vmcnt(14)
	v_pk_fma_f32 v[18:19], v[154:155], v[158:159], v[16:17] op_sel:[0,0,1] op_sel_hi:[1,1,0] neg_lo:[0,0,1] neg_hi:[0,0,1]
	v_pk_fma_f32 v[16:17], v[154:155], v[158:159], v[16:17] op_sel:[0,0,1] op_sel_hi:[1,0,0]
	v_fmac_f32_e32 v163, v153, v195
	v_fma_f32 v162, v152, v195, -v1
	v_pk_add_f32 v[14:15], v[108:109], v[160:161]
	s_waitcnt vmcnt(7)
	v_mov_b32_e32 v16, v171
	ds_read2_b64 v[2:5], v248 offset0:117 offset1:118
	ds_read2_b64 v[6:9], v248 offset0:119 offset1:120
	;; [unrolled: 1-line block ×3, first 2 shown]
	v_pk_add_f32 v[14:15], v[14:15], v[162:163]
	v_mov_b32_e32 v19, v17
	v_pk_mul_f32 v[16:17], v[156:157], v[16:17] op_sel_hi:[1,0]
	v_pk_add_f32 v[14:15], v[14:15], v[18:19]
	s_waitcnt vmcnt(6)
	v_pk_fma_f32 v[18:19], v[156:157], v[170:171], v[16:17] op_sel:[0,0,1] op_sel_hi:[1,1,0] neg_lo:[0,0,1] neg_hi:[0,0,1]
	v_pk_fma_f32 v[16:17], v[156:157], v[170:171], v[16:17] op_sel:[0,0,1] op_sel_hi:[1,0,0]
	v_mov_b32_e32 v16, v169
	v_mov_b32_e32 v19, v17
	s_waitcnt lgkmcnt(2)
	v_pk_mul_f32 v[16:17], v[2:3], v[16:17] op_sel_hi:[1,0]
	v_pk_add_f32 v[14:15], v[14:15], v[18:19]
	v_pk_fma_f32 v[18:19], v[2:3], v[168:169], v[16:17] op_sel:[0,0,1] op_sel_hi:[1,1,0] neg_lo:[0,0,1] neg_hi:[0,0,1]
	v_pk_fma_f32 v[2:3], v[2:3], v[168:169], v[16:17] op_sel:[0,0,1] op_sel_hi:[1,0,0]
	v_mov_b32_e32 v19, v3
	v_pk_add_f32 v[2:3], v[14:15], v[18:19]
	v_mov_b32_e32 v14, v167
	v_pk_mul_f32 v[14:15], v[4:5], v[14:15] op_sel_hi:[1,0]
	v_pk_fma_f32 v[16:17], v[4:5], v[166:167], v[14:15] op_sel:[0,0,1] op_sel_hi:[1,1,0] neg_lo:[0,0,1] neg_hi:[0,0,1]
	v_pk_fma_f32 v[4:5], v[4:5], v[166:167], v[14:15] op_sel:[0,0,1] op_sel_hi:[1,0,0]
	v_mov_b32_e32 v4, v165
	v_mov_b32_e32 v17, v5
	s_waitcnt lgkmcnt(1)
	v_pk_mul_f32 v[4:5], v[6:7], v[4:5] op_sel_hi:[1,0]
	v_pk_fma_f32 v[14:15], v[6:7], v[164:165], v[4:5] op_sel:[0,0,1] op_sel_hi:[1,1,0] neg_lo:[0,0,1] neg_hi:[0,0,1]
	v_pk_fma_f32 v[4:5], v[6:7], v[164:165], v[4:5] op_sel:[0,0,1] op_sel_hi:[1,0,0]
	s_waitcnt vmcnt(1)
	v_mov_b32_e32 v4, v177
	v_mov_b32_e32 v15, v5
	v_pk_mul_f32 v[4:5], v[8:9], v[4:5] op_sel_hi:[1,0]
	s_waitcnt vmcnt(0)
	v_pk_fma_f32 v[6:7], v[8:9], v[176:177], v[4:5] op_sel:[0,0,1] op_sel_hi:[1,1,0] neg_lo:[0,0,1] neg_hi:[0,0,1]
	v_pk_fma_f32 v[4:5], v[8:9], v[176:177], v[4:5] op_sel:[0,0,1] op_sel_hi:[1,0,0]
	v_pk_add_f32 v[2:3], v[2:3], v[16:17]
	v_mov_b32_e32 v4, v175
	v_pk_add_f32 v[2:3], v[2:3], v[14:15]
	v_mov_b32_e32 v7, v5
	s_waitcnt lgkmcnt(0)
	v_pk_mul_f32 v[4:5], v[10:11], v[4:5] op_sel_hi:[1,0]
	v_pk_add_f32 v[2:3], v[2:3], v[6:7]
	v_pk_fma_f32 v[6:7], v[10:11], v[174:175], v[4:5] op_sel:[0,0,1] op_sel_hi:[1,1,0] neg_lo:[0,0,1] neg_hi:[0,0,1]
	v_pk_fma_f32 v[4:5], v[10:11], v[174:175], v[4:5] op_sel:[0,0,1] op_sel_hi:[1,0,0]
	v_mov_b32_e32 v4, v173
	v_mov_b32_e32 v7, v5
	v_pk_mul_f32 v[4:5], v[12:13], v[4:5] op_sel_hi:[1,0]
	v_pk_add_f32 v[2:3], v[2:3], v[6:7]
	v_pk_fma_f32 v[6:7], v[12:13], v[172:173], v[4:5] op_sel:[0,0,1] op_sel_hi:[1,1,0] neg_lo:[0,0,1] neg_hi:[0,0,1]
	v_pk_fma_f32 v[4:5], v[12:13], v[172:173], v[4:5] op_sel:[0,0,1] op_sel_hi:[1,0,0]
	v_mov_b32_e32 v7, v5
	v_pk_add_f32 v[2:3], v[2:3], v[6:7]
	v_pk_add_f32 v[2:3], v[58:59], v[2:3] neg_lo:[0,1] neg_hi:[0,1]
	buffer_store_dword v3, off, s[0:3], 0 offset:20
	buffer_store_dword v2, off, s[0:3], 0 offset:16
	s_and_saveexec_b64 s[4:5], vcc
	s_cbranch_execz .LBB124_377
; %bb.376:
	buffer_load_dword v2, off, s[0:3], 0 offset:8
	buffer_load_dword v3, off, s[0:3], 0 offset:12
	v_mov_b32_e32 v1, 0
	buffer_store_dword v1, off, s[0:3], 0 offset:8
	buffer_store_dword v1, off, s[0:3], 0 offset:12
	s_waitcnt vmcnt(2)
	ds_write_b64 v199, v[2:3]
.LBB124_377:
	s_or_b64 exec, exec, s[4:5]
	s_waitcnt lgkmcnt(0)
	; wave barrier
	s_waitcnt lgkmcnt(0)
	buffer_load_dword v65, off, s[0:3], 0 offset:20
	buffer_load_dword v64, off, s[0:3], 0 offset:28
	;; [unrolled: 1-line block ×48, first 2 shown]
	v_mov_b32_e32 v60, 0
	ds_read_b128 v[22:25], v60 offset:512
	ds_read_b128 v[18:21], v60 offset:528
	;; [unrolled: 1-line block ×6, first 2 shown]
	buffer_load_dword v156, off, s[0:3], 0 offset:200
	buffer_load_dword v158, off, s[0:3], 0 offset:204
	v_cmp_ne_u32_e32 vcc, 0, v0
	s_waitcnt vmcnt(49) lgkmcnt(5)
	v_mul_f32_e32 v26, v22, v65
	s_waitcnt vmcnt(48)
	v_mul_f32_e32 v27, v24, v64
	s_waitcnt vmcnt(47) lgkmcnt(4)
	v_mul_f32_e32 v29, v20, v63
	s_waitcnt vmcnt(46) lgkmcnt(3)
	v_mul_f32_e32 v30, v14, v62
	s_waitcnt vmcnt(45)
	v_mul_f32_e32 v31, v16, v1
	s_waitcnt vmcnt(44)
	v_mul_f32_e32 v28, v18, v66
	s_waitcnt vmcnt(43) lgkmcnt(2)
	v_mul_f32_e32 v32, v10, v61
	s_waitcnt vmcnt(42)
	v_mul_f32_e32 v33, v12, v67
	s_waitcnt vmcnt(41) lgkmcnt(1)
	;; [unrolled: 4-line block ×3, first 2 shown]
	v_mul_f32_e32 v36, v2, v70
	s_waitcnt vmcnt(38)
	v_mul_f32_e32 v37, v4, v71
	s_waitcnt vmcnt(37)
	v_fmac_f32_e32 v28, v19, v77
	s_waitcnt vmcnt(36)
	v_fmac_f32_e32 v27, v25, v80
	;; [unrolled: 2-line block ×3, first 2 shown]
	v_add_f32_e32 v26, 0, v26
	v_add_f32_e32 v26, v26, v27
	;; [unrolled: 1-line block ×3, first 2 shown]
	s_waitcnt vmcnt(31)
	v_fmac_f32_e32 v29, v21, v82
	v_fmac_f32_e32 v30, v15, v79
	v_add_f32_e32 v26, v26, v29
	v_fmac_f32_e32 v31, v17, v76
	v_add_f32_e32 v26, v26, v30
	v_fmac_f32_e32 v32, v11, v74
	v_add_f32_e32 v26, v26, v31
	s_waitcnt vmcnt(27)
	v_fmac_f32_e32 v33, v13, v78
	v_add_f32_e32 v26, v26, v32
	v_fmac_f32_e32 v34, v7, v75
	v_add_f32_e32 v26, v26, v33
	;; [unrolled: 2-line block ×4, first 2 shown]
	v_add_f32_e32 v30, v26, v36
	ds_read_b128 v[26:29], v60 offset:608
	s_waitcnt vmcnt(23)
	v_fmac_f32_e32 v37, v5, v91
	v_add_f32_e32 v34, v30, v37
	buffer_load_dword v160, off, s[0:3], 0 offset:208
	buffer_load_dword v178, off, s[0:3], 0 offset:212
	ds_read_b128 v[30:33], v60 offset:624
	s_waitcnt vmcnt(24) lgkmcnt(1)
	v_mul_f32_e32 v35, v26, v90
	v_fmac_f32_e32 v35, v27, v86
	v_add_f32_e32 v34, v34, v35
	s_waitcnt vmcnt(23)
	v_mul_f32_e32 v35, v28, v88
	buffer_load_dword v179, off, s[0:3], 0 offset:216
	buffer_load_dword v180, off, s[0:3], 0 offset:220
	v_fmac_f32_e32 v35, v29, v84
	v_add_f32_e32 v34, v34, v35
	s_waitcnt vmcnt(24) lgkmcnt(0)
	v_mul_f32_e32 v35, v30, v85
	buffer_load_dword v181, off, s[0:3], 0 offset:224
	buffer_load_dword v182, off, s[0:3], 0 offset:228
	v_fmac_f32_e32 v35, v31, v81
	v_add_f32_e32 v34, v34, v35
	s_waitcnt vmcnt(24)
	v_mul_f32_e32 v35, v32, v89
	v_fmac_f32_e32 v35, v33, v87
	ds_read_b128 v[38:41], v60 offset:640
	v_add_f32_e32 v42, v34, v35
	ds_read_b128 v[34:37], v60 offset:656
	buffer_load_dword v183, off, s[0:3], 0 offset:232
	buffer_load_dword v184, off, s[0:3], 0 offset:236
	;; [unrolled: 1-line block ×6, first 2 shown]
	s_waitcnt vmcnt(26) lgkmcnt(1)
	v_mul_f32_e32 v43, v38, v93
	v_fmac_f32_e32 v43, v39, v92
	buffer_load_dword v189, off, s[0:3], 0 offset:256
	buffer_load_dword v190, off, s[0:3], 0 offset:260
	v_add_f32_e32 v42, v42, v43
	s_waitcnt vmcnt(26)
	v_mul_f32_e32 v43, v40, v95
	v_fmac_f32_e32 v43, v41, v94
	v_add_f32_e32 v42, v42, v43
	s_waitcnt vmcnt(24) lgkmcnt(0)
	v_mul_f32_e32 v43, v34, v97
	v_fmac_f32_e32 v43, v35, v96
	buffer_load_dword v191, off, s[0:3], 0 offset:264
	buffer_load_dword v192, off, s[0:3], 0 offset:268
	v_add_f32_e32 v42, v42, v43
	s_waitcnt vmcnt(24)
	v_mul_f32_e32 v43, v36, v99
	v_fmac_f32_e32 v43, v37, v98
	v_add_f32_e32 v50, v42, v43
	ds_read_b128 v[42:45], v60 offset:672
	buffer_load_dword v193, off, s[0:3], 0 offset:272
	buffer_load_dword v194, off, s[0:3], 0 offset:276
	ds_read_b128 v[46:49], v60 offset:688
	buffer_load_dword v195, off, s[0:3], 0 offset:280
	buffer_load_dword v196, off, s[0:3], 0 offset:284
	;; [unrolled: 1-line block ×12, first 2 shown]
	s_waitcnt vmcnt(36) lgkmcnt(1)
	v_mul_f32_e32 v51, v42, v101
	v_fmac_f32_e32 v51, v43, v100
	buffer_load_dword v233, off, s[0:3], 0 offset:328
	buffer_load_dword v234, off, s[0:3], 0 offset:332
	v_add_f32_e32 v50, v50, v51
	s_waitcnt vmcnt(36)
	v_mul_f32_e32 v51, v44, v105
	v_fmac_f32_e32 v51, v45, v104
	v_add_f32_e32 v50, v50, v51
	s_waitcnt vmcnt(34) lgkmcnt(0)
	v_mul_f32_e32 v51, v46, v107
	buffer_load_dword v235, off, s[0:3], 0 offset:336
	buffer_load_dword v236, off, s[0:3], 0 offset:340
	v_fmac_f32_e32 v51, v47, v106
	v_add_f32_e32 v54, v50, v51
	ds_read_b128 v[50:53], v60 offset:704
	buffer_load_dword v237, off, s[0:3], 0 offset:344
	buffer_load_dword v238, off, s[0:3], 0 offset:348
	;; [unrolled: 1-line block ×4, first 2 shown]
	s_waitcnt vmcnt(38)
	v_mul_f32_e32 v55, v48, v158
	v_fmac_f32_e32 v55, v49, v156
	v_add_f32_e32 v108, v54, v55
	ds_read_b128 v[54:57], v60 offset:720
	buffer_load_dword v241, off, s[0:3], 0 offset:360
	buffer_load_dword v242, off, s[0:3], 0 offset:364
	;; [unrolled: 1-line block ×16, first 2 shown]
	v_mul_f32_e32 v23, v23, v65
	v_fma_f32 v22, v22, v83, -v23
	v_mul_f32_e32 v23, v25, v64
	v_add_f32_e32 v22, 0, v22
	v_fma_f32 v23, v24, v80, -v23
	v_mul_f32_e32 v19, v19, v66
	v_add_f32_e32 v22, v22, v23
	;; [unrolled: 3-line block ×3, first 2 shown]
	v_fma_f32 v19, v20, v82, -v19
	v_mul_f32_e32 v15, v15, v62
	s_waitcnt vmcnt(52) lgkmcnt(1)
	v_mul_f32_e32 v109, v50, v178
	v_fmac_f32_e32 v109, v51, v160
	v_add_f32_e32 v108, v108, v109
	v_add_f32_e32 v18, v18, v19
	v_fma_f32 v14, v14, v79, -v15
	v_mul_f32_e32 v1, v17, v1
	s_waitcnt vmcnt(50)
	v_mul_f32_e32 v109, v52, v180
	v_fmac_f32_e32 v109, v53, v179
	v_add_f32_e32 v108, v108, v109
	v_add_f32_e32 v14, v18, v14
	s_waitcnt vmcnt(48) lgkmcnt(0)
	v_mul_f32_e32 v109, v54, v182
	v_fmac_f32_e32 v109, v55, v181
	v_add_f32_e32 v112, v108, v109
	ds_read_b128 v[108:111], v60 offset:736
	v_fma_f32 v1, v16, v76, -v1
	v_mul_f32_e32 v11, v11, v61
	v_add_f32_e32 v1, v14, v1
	v_fma_f32 v10, v10, v74, -v11
	s_waitcnt vmcnt(46)
	v_mul_f32_e32 v113, v56, v184
	v_fmac_f32_e32 v113, v57, v183
	v_add_f32_e32 v116, v112, v113
	ds_read_b128 v[112:115], v60 offset:752
	s_waitcnt vmcnt(44) lgkmcnt(1)
	v_mul_f32_e32 v117, v108, v186
	v_fmac_f32_e32 v117, v109, v185
	v_add_f32_e32 v116, v116, v117
	s_waitcnt vmcnt(42)
	v_mul_f32_e32 v117, v110, v188
	v_fmac_f32_e32 v117, v111, v187
	v_add_f32_e32 v116, v116, v117
	s_waitcnt vmcnt(40) lgkmcnt(0)
	v_mul_f32_e32 v117, v112, v190
	v_fmac_f32_e32 v117, v113, v189
	v_add_f32_e32 v120, v116, v117
	ds_read_b128 v[116:119], v60 offset:768
	s_waitcnt vmcnt(38)
	v_mul_f32_e32 v121, v114, v192
	v_fmac_f32_e32 v121, v115, v191
	v_add_f32_e32 v124, v120, v121
	ds_read_b128 v[120:123], v60 offset:784
	s_waitcnt vmcnt(36) lgkmcnt(1)
	v_mul_f32_e32 v125, v116, v194
	v_fmac_f32_e32 v125, v117, v193
	v_add_f32_e32 v124, v124, v125
	s_waitcnt vmcnt(34)
	v_mul_f32_e32 v125, v118, v196
	v_fmac_f32_e32 v125, v119, v195
	v_add_f32_e32 v124, v124, v125
	s_waitcnt vmcnt(32) lgkmcnt(0)
	v_mul_f32_e32 v125, v120, v224
	v_fmac_f32_e32 v125, v121, v197
	v_add_f32_e32 v128, v124, v125
	ds_read_b128 v[124:127], v60 offset:800
	s_waitcnt vmcnt(30)
	v_mul_f32_e32 v129, v122, v226
	v_fmac_f32_e32 v129, v123, v225
	v_add_f32_e32 v132, v128, v129
	ds_read_b128 v[128:131], v60 offset:816
	s_waitcnt vmcnt(28) lgkmcnt(1)
	v_mul_f32_e32 v133, v124, v228
	v_fmac_f32_e32 v133, v125, v227
	v_add_f32_e32 v132, v132, v133
	s_waitcnt vmcnt(26)
	v_mul_f32_e32 v133, v126, v230
	v_fmac_f32_e32 v133, v127, v229
	v_add_f32_e32 v132, v132, v133
	s_waitcnt vmcnt(24) lgkmcnt(0)
	v_mul_f32_e32 v133, v128, v232
	v_fmac_f32_e32 v133, v129, v231
	v_add_f32_e32 v136, v132, v133
	ds_read_b128 v[132:135], v60 offset:832
	s_waitcnt vmcnt(22)
	v_mul_f32_e32 v137, v130, v234
	v_fmac_f32_e32 v137, v131, v233
	v_add_f32_e32 v140, v136, v137
	ds_read_b128 v[136:139], v60 offset:848
	s_waitcnt vmcnt(20) lgkmcnt(1)
	v_mul_f32_e32 v141, v132, v236
	v_fmac_f32_e32 v141, v133, v235
	v_add_f32_e32 v140, v140, v141
	s_waitcnt vmcnt(18)
	v_mul_f32_e32 v141, v134, v238
	v_fmac_f32_e32 v141, v135, v237
	v_add_f32_e32 v140, v140, v141
	s_waitcnt vmcnt(16) lgkmcnt(0)
	v_mul_f32_e32 v141, v136, v240
	v_fmac_f32_e32 v141, v137, v239
	v_add_f32_e32 v144, v140, v141
	ds_read_b128 v[140:143], v60 offset:864
	s_waitcnt vmcnt(14)
	v_mul_f32_e32 v145, v138, v242
	v_add_f32_e32 v1, v1, v10
	v_mul_f32_e32 v10, v13, v67
	v_fmac_f32_e32 v145, v139, v241
	v_fma_f32 v10, v12, v78, -v10
	v_mul_f32_e32 v7, v7, v68
	v_add_f32_e32 v148, v144, v145
	ds_read_b128 v[144:147], v60 offset:880
	v_add_f32_e32 v1, v1, v10
	v_fma_f32 v6, v6, v75, -v7
	s_waitcnt vmcnt(12) lgkmcnt(1)
	v_mul_f32_e32 v149, v140, v244
	v_add_f32_e32 v1, v1, v6
	v_mul_f32_e32 v6, v9, v69
	v_fmac_f32_e32 v149, v141, v243
	v_fma_f32 v6, v8, v73, -v6
	v_mul_f32_e32 v3, v3, v70
	v_add_f32_e32 v148, v148, v149
	s_waitcnt vmcnt(10)
	v_mul_f32_e32 v149, v142, v246
	v_add_f32_e32 v1, v1, v6
	v_fma_f32 v2, v2, v72, -v3
	v_fmac_f32_e32 v149, v143, v245
	v_add_f32_e32 v1, v1, v2
	v_mul_f32_e32 v2, v5, v71
	v_add_f32_e32 v148, v148, v149
	s_waitcnt vmcnt(8) lgkmcnt(0)
	v_mul_f32_e32 v149, v144, v248
	v_fma_f32 v2, v4, v91, -v2
	v_fmac_f32_e32 v149, v145, v247
	s_waitcnt vmcnt(6)
	v_mul_f32_e32 v153, v146, v250
	v_add_f32_e32 v1, v1, v2
	v_mul_f32_e32 v2, v27, v90
	v_add_f32_e32 v152, v148, v149
	v_fmac_f32_e32 v153, v147, v249
	v_fma_f32 v2, v26, v86, -v2
	ds_read_b128 v[148:151], v60 offset:896
	v_add_f32_e32 v157, v152, v153
	ds_read_b128 v[152:155], v60 offset:912
	buffer_load_dword v163, off, s[0:3], 0 offset:452
	buffer_load_dword v162, off, s[0:3], 0 offset:448
	;; [unrolled: 1-line block ×16, first 2 shown]
	v_add_f32_e32 v1, v1, v2
	v_mul_f32_e32 v2, v29, v88
	v_fma_f32 v2, v28, v84, -v2
	v_add_f32_e32 v1, v1, v2
	v_mul_f32_e32 v2, v31, v85
	v_fma_f32 v2, v30, v81, -v2
	v_add_f32_e32 v1, v1, v2
	v_mul_f32_e32 v2, v33, v89
	v_fma_f32 v2, v32, v87, -v2
	v_add_f32_e32 v1, v1, v2
	v_mul_f32_e32 v2, v39, v93
	v_fma_f32 v2, v38, v92, -v2
	v_add_f32_e32 v1, v1, v2
	v_mul_f32_e32 v2, v41, v95
	v_fma_f32 v2, v40, v94, -v2
	v_add_f32_e32 v1, v1, v2
	v_mul_f32_e32 v2, v35, v97
	v_fma_f32 v2, v34, v96, -v2
	v_add_f32_e32 v1, v1, v2
	v_mul_f32_e32 v2, v37, v99
	v_fma_f32 v2, v36, v98, -v2
	v_add_f32_e32 v1, v1, v2
	v_mul_f32_e32 v2, v43, v101
	v_fma_f32 v2, v42, v100, -v2
	v_add_f32_e32 v1, v1, v2
	v_mul_f32_e32 v2, v45, v105
	v_fma_f32 v2, v44, v104, -v2
	v_add_f32_e32 v1, v1, v2
	v_mul_f32_e32 v2, v47, v107
	v_fma_f32 v2, v46, v106, -v2
	v_add_f32_e32 v1, v1, v2
	v_mul_f32_e32 v2, v49, v158
	v_fma_f32 v2, v48, v156, -v2
	v_add_f32_e32 v1, v1, v2
	v_mul_f32_e32 v2, v51, v178
	v_fma_f32 v2, v50, v160, -v2
	v_add_f32_e32 v1, v1, v2
	v_mul_f32_e32 v2, v53, v180
	v_fma_f32 v2, v52, v179, -v2
	v_add_f32_e32 v1, v1, v2
	v_mul_f32_e32 v2, v55, v182
	v_fma_f32 v2, v54, v181, -v2
	v_add_f32_e32 v1, v1, v2
	v_mul_f32_e32 v2, v57, v184
	v_fma_f32 v2, v56, v183, -v2
	v_add_f32_e32 v1, v1, v2
	v_mul_f32_e32 v2, v109, v186
	v_fma_f32 v2, v108, v185, -v2
	v_add_f32_e32 v1, v1, v2
	v_mul_f32_e32 v2, v111, v188
	v_fma_f32 v2, v110, v187, -v2
	v_add_f32_e32 v1, v1, v2
	v_mul_f32_e32 v2, v113, v190
	v_fma_f32 v2, v112, v189, -v2
	v_add_f32_e32 v1, v1, v2
	v_mul_f32_e32 v2, v115, v192
	v_fma_f32 v2, v114, v191, -v2
	v_add_f32_e32 v1, v1, v2
	v_mul_f32_e32 v2, v117, v194
	v_fma_f32 v2, v116, v193, -v2
	v_add_f32_e32 v1, v1, v2
	v_mul_f32_e32 v2, v119, v196
	v_fma_f32 v2, v118, v195, -v2
	v_add_f32_e32 v1, v1, v2
	v_mul_f32_e32 v2, v121, v224
	v_fma_f32 v2, v120, v197, -v2
	v_add_f32_e32 v1, v1, v2
	v_mul_f32_e32 v2, v123, v226
	v_fma_f32 v2, v122, v225, -v2
	v_add_f32_e32 v1, v1, v2
	v_mul_f32_e32 v2, v125, v228
	v_fma_f32 v2, v124, v227, -v2
	v_add_f32_e32 v1, v1, v2
	v_mul_f32_e32 v2, v127, v230
	v_fma_f32 v2, v126, v229, -v2
	v_add_f32_e32 v1, v1, v2
	v_mul_f32_e32 v2, v129, v232
	v_fma_f32 v2, v128, v231, -v2
	v_add_f32_e32 v1, v1, v2
	v_mul_f32_e32 v2, v131, v234
	v_fma_f32 v2, v130, v233, -v2
	v_add_f32_e32 v1, v1, v2
	v_mul_f32_e32 v2, v133, v236
	v_fma_f32 v2, v132, v235, -v2
	v_add_f32_e32 v1, v1, v2
	v_mul_f32_e32 v2, v135, v238
	v_fma_f32 v2, v134, v237, -v2
	v_add_f32_e32 v1, v1, v2
	v_mul_f32_e32 v2, v137, v240
	v_fma_f32 v2, v136, v239, -v2
	v_add_f32_e32 v1, v1, v2
	v_mul_f32_e32 v2, v139, v242
	v_fma_f32 v2, v138, v241, -v2
	v_add_f32_e32 v1, v1, v2
	v_mul_f32_e32 v2, v141, v244
	v_fma_f32 v2, v140, v243, -v2
	v_add_f32_e32 v1, v1, v2
	v_mul_f32_e32 v2, v143, v246
	v_fma_f32 v2, v142, v245, -v2
	v_add_f32_e32 v1, v1, v2
	v_mul_f32_e32 v2, v145, v248
	v_fma_f32 v2, v144, v247, -v2
	v_add_f32_e32 v1, v1, v2
	v_mul_f32_e32 v2, v147, v250
	v_fma_f32 v2, v146, v249, -v2
	s_waitcnt vmcnt(20) lgkmcnt(1)
	v_mul_f32_e32 v159, v148, v252
	v_add_f32_e32 v1, v1, v2
	v_mul_f32_e32 v2, v149, v252
	v_fmac_f32_e32 v159, v149, v251
	v_fma_f32 v2, v148, v251, -v2
	s_waitcnt vmcnt(9)
	v_mov_b32_e32 v18, v169
	v_add_f32_e32 v157, v157, v159
	v_mul_f32_e32 v159, v150, v254
	v_add_f32_e32 v156, v1, v2
	v_mul_f32_e32 v1, v151, v254
	s_waitcnt lgkmcnt(0)
	v_pk_mul_f32 v[18:19], v[154:155], v[18:19] op_sel_hi:[1,0]
	v_fmac_f32_e32 v159, v151, v253
	v_mul_f32_e32 v161, v152, v198
	v_fma_f32 v158, v150, v253, -v1
	v_mul_f32_e32 v1, v153, v198
	ds_read_b128 v[2:5], v60 offset:928
	ds_read_b128 v[6:9], v60 offset:944
	;; [unrolled: 1-line block ×3, first 2 shown]
	ds_read_b64 v[14:15], v60 offset:976
	s_waitcnt vmcnt(8)
	v_pk_fma_f32 v[20:21], v[154:155], v[168:169], v[18:19] op_sel:[0,0,1] op_sel_hi:[1,1,0] neg_lo:[0,0,1] neg_hi:[0,0,1]
	v_pk_fma_f32 v[18:19], v[154:155], v[168:169], v[18:19] op_sel:[0,0,1] op_sel_hi:[1,0,0]
	v_fmac_f32_e32 v161, v153, v255
	v_fma_f32 v160, v152, v255, -v1
	v_pk_add_f32 v[16:17], v[156:157], v[158:159]
	v_mov_b32_e32 v18, v167
	v_pk_add_f32 v[16:17], v[16:17], v[160:161]
	v_mov_b32_e32 v21, v19
	s_waitcnt lgkmcnt(3)
	v_pk_mul_f32 v[18:19], v[2:3], v[18:19] op_sel_hi:[1,0]
	v_pk_add_f32 v[16:17], v[16:17], v[20:21]
	v_pk_fma_f32 v[20:21], v[2:3], v[166:167], v[18:19] op_sel:[0,0,1] op_sel_hi:[1,1,0] neg_lo:[0,0,1] neg_hi:[0,0,1]
	v_pk_fma_f32 v[2:3], v[2:3], v[166:167], v[18:19] op_sel:[0,0,1] op_sel_hi:[1,0,0]
	v_mov_b32_e32 v21, v3
	v_pk_add_f32 v[2:3], v[16:17], v[20:21]
	v_mov_b32_e32 v16, v165
	v_pk_mul_f32 v[16:17], v[4:5], v[16:17] op_sel_hi:[1,0]
	v_pk_fma_f32 v[18:19], v[4:5], v[164:165], v[16:17] op_sel:[0,0,1] op_sel_hi:[1,1,0] neg_lo:[0,0,1] neg_hi:[0,0,1]
	v_pk_fma_f32 v[4:5], v[4:5], v[164:165], v[16:17] op_sel:[0,0,1] op_sel_hi:[1,0,0]
	v_mov_b32_e32 v4, v163
	v_mov_b32_e32 v19, v5
	s_waitcnt lgkmcnt(2)
	v_pk_mul_f32 v[4:5], v[6:7], v[4:5] op_sel_hi:[1,0]
	v_pk_fma_f32 v[16:17], v[6:7], v[162:163], v[4:5] op_sel:[0,0,1] op_sel_hi:[1,1,0] neg_lo:[0,0,1] neg_hi:[0,0,1]
	v_pk_fma_f32 v[4:5], v[6:7], v[162:163], v[4:5] op_sel:[0,0,1] op_sel_hi:[1,0,0]
	s_waitcnt vmcnt(1)
	v_mov_b32_e32 v4, v177
	v_mov_b32_e32 v17, v5
	v_pk_mul_f32 v[4:5], v[8:9], v[4:5] op_sel_hi:[1,0]
	s_waitcnt vmcnt(0)
	v_pk_fma_f32 v[6:7], v[8:9], v[176:177], v[4:5] op_sel:[0,0,1] op_sel_hi:[1,1,0] neg_lo:[0,0,1] neg_hi:[0,0,1]
	v_pk_fma_f32 v[4:5], v[8:9], v[176:177], v[4:5] op_sel:[0,0,1] op_sel_hi:[1,0,0]
	v_pk_add_f32 v[2:3], v[2:3], v[18:19]
	v_mov_b32_e32 v4, v175
	v_pk_add_f32 v[2:3], v[2:3], v[16:17]
	v_mov_b32_e32 v7, v5
	s_waitcnt lgkmcnt(1)
	v_pk_mul_f32 v[4:5], v[10:11], v[4:5] op_sel_hi:[1,0]
	v_pk_add_f32 v[2:3], v[2:3], v[6:7]
	v_pk_fma_f32 v[6:7], v[10:11], v[174:175], v[4:5] op_sel:[0,0,1] op_sel_hi:[1,1,0] neg_lo:[0,0,1] neg_hi:[0,0,1]
	v_pk_fma_f32 v[4:5], v[10:11], v[174:175], v[4:5] op_sel:[0,0,1] op_sel_hi:[1,0,0]
	v_mov_b32_e32 v4, v173
	v_mov_b32_e32 v7, v5
	v_pk_mul_f32 v[4:5], v[12:13], v[4:5] op_sel_hi:[1,0]
	v_pk_add_f32 v[2:3], v[2:3], v[6:7]
	v_pk_fma_f32 v[6:7], v[12:13], v[172:173], v[4:5] op_sel:[0,0,1] op_sel_hi:[1,1,0] neg_lo:[0,0,1] neg_hi:[0,0,1]
	v_pk_fma_f32 v[4:5], v[12:13], v[172:173], v[4:5] op_sel:[0,0,1] op_sel_hi:[1,0,0]
	v_mov_b32_e32 v4, v171
	v_mov_b32_e32 v7, v5
	s_waitcnt lgkmcnt(0)
	v_pk_mul_f32 v[4:5], v[14:15], v[4:5] op_sel_hi:[1,0]
	v_pk_add_f32 v[2:3], v[2:3], v[6:7]
	v_pk_fma_f32 v[6:7], v[14:15], v[170:171], v[4:5] op_sel:[0,0,1] op_sel_hi:[1,1,0] neg_lo:[0,0,1] neg_hi:[0,0,1]
	v_pk_fma_f32 v[4:5], v[14:15], v[170:171], v[4:5] op_sel:[0,0,1] op_sel_hi:[1,0,0]
	v_mov_b32_e32 v7, v5
	v_pk_add_f32 v[2:3], v[2:3], v[6:7]
	v_pk_add_f32 v[2:3], v[58:59], v[2:3] neg_lo:[0,1] neg_hi:[0,1]
	buffer_store_dword v3, off, s[0:3], 0 offset:12
	buffer_store_dword v2, off, s[0:3], 0 offset:8
	s_and_saveexec_b64 s[4:5], vcc
	s_cbranch_execz .LBB124_379
; %bb.378:
	buffer_load_dword v0, off, s[0:3], 0
	buffer_load_dword v1, off, s[0:3], 0 offset:4
	s_waitcnt vmcnt(0)
	ds_write_b64 v199, v[0:1]
	buffer_store_dword v60, off, s[0:3], 0
	buffer_store_dword v60, off, s[0:3], 0 offset:4
.LBB124_379:
	s_or_b64 exec, exec, s[4:5]
	s_waitcnt lgkmcnt(0)
	; wave barrier
	s_waitcnt lgkmcnt(0)
	buffer_load_dword v64, off, s[0:3], 0 offset:12
	buffer_load_dword v63, off, s[0:3], 0 offset:20
	;; [unrolled: 1-line block ×38, first 2 shown]
	buffer_load_dword v56, off, s[0:3], 0
	buffer_load_dword v57, off, s[0:3], 0 offset:4
	ds_read2_b64 v[24:27], v60 offset0:63 offset1:64
	ds_read2_b64 v[20:23], v60 offset0:65 offset1:66
	;; [unrolled: 1-line block ×7, first 2 shown]
	buffer_load_dword v97, off, s[0:3], 0 offset:160
	buffer_load_dword v98, off, s[0:3], 0 offset:164
	;; [unrolled: 1-line block ×12, first 2 shown]
	s_and_b64 vcc, exec, s[16:17]
	s_waitcnt vmcnt(51) lgkmcnt(6)
	v_mul_f32_e32 v28, v24, v64
	s_waitcnt vmcnt(50)
	v_mul_f32_e32 v29, v26, v63
	s_waitcnt vmcnt(49) lgkmcnt(5)
	v_mul_f32_e32 v31, v22, v62
	s_waitcnt vmcnt(48) lgkmcnt(4)
	v_mul_f32_e32 v32, v16, v61
	s_waitcnt vmcnt(47)
	v_mul_f32_e32 v33, v18, v58
	s_waitcnt vmcnt(46)
	v_mul_f32_e32 v30, v20, v65
	s_waitcnt vmcnt(45) lgkmcnt(3)
	v_mul_f32_e32 v34, v12, v59
	s_waitcnt vmcnt(44)
	v_mul_f32_e32 v35, v14, v66
	s_waitcnt vmcnt(43) lgkmcnt(2)
	;; [unrolled: 4-line block ×3, first 2 shown]
	v_mul_f32_e32 v38, v4, v69
	s_waitcnt vmcnt(40)
	v_mul_f32_e32 v39, v6, v70
	s_waitcnt vmcnt(39)
	v_fmac_f32_e32 v30, v21, v76
	s_waitcnt vmcnt(38)
	v_fmac_f32_e32 v29, v27, v79
	;; [unrolled: 2-line block ×3, first 2 shown]
	v_add_f32_e32 v28, 0, v28
	v_add_f32_e32 v28, v28, v29
	;; [unrolled: 1-line block ×3, first 2 shown]
	s_waitcnt vmcnt(33)
	v_fmac_f32_e32 v31, v23, v81
	v_fmac_f32_e32 v32, v17, v78
	v_add_f32_e32 v28, v28, v31
	v_fmac_f32_e32 v33, v19, v75
	v_add_f32_e32 v28, v28, v32
	;; [unrolled: 2-line block ×3, first 2 shown]
	s_waitcnt vmcnt(29)
	v_fmac_f32_e32 v35, v15, v77
	v_add_f32_e32 v28, v28, v34
	v_fmac_f32_e32 v36, v9, v74
	v_add_f32_e32 v28, v28, v35
	;; [unrolled: 2-line block ×4, first 2 shown]
	v_add_f32_e32 v28, v28, v38
	s_waitcnt vmcnt(25)
	v_fmac_f32_e32 v39, v7, v88
	v_add_f32_e32 v32, v28, v39
	ds_read2_b64 v[28:31], v60 offset0:77 offset1:78
	s_waitcnt vmcnt(24) lgkmcnt(1)
	v_mul_f32_e32 v33, v0, v87
	buffer_load_dword v178, off, s[0:3], 0 offset:208
	buffer_load_dword v179, off, s[0:3], 0 offset:212
	v_fmac_f32_e32 v33, v1, v85
	v_add_f32_e32 v32, v32, v33
	s_waitcnt vmcnt(25)
	v_mul_f32_e32 v33, v2, v86
	buffer_load_dword v180, off, s[0:3], 0 offset:216
	buffer_load_dword v181, off, s[0:3], 0 offset:220
	v_fmac_f32_e32 v33, v3, v83
	v_add_f32_e32 v32, v32, v33
	s_waitcnt vmcnt(26) lgkmcnt(0)
	v_mul_f32_e32 v33, v28, v84
	v_fmac_f32_e32 v33, v29, v80
	v_add_f32_e32 v36, v32, v33
	ds_read2_b64 v[32:35], v60 offset0:79 offset1:80
	buffer_load_dword v182, off, s[0:3], 0 offset:224
	buffer_load_dword v183, off, s[0:3], 0 offset:228
	s_waitcnt vmcnt(21)
	v_mul_f32_e32 v37, v30, v96
	s_waitcnt vmcnt(20)
	v_fmac_f32_e32 v37, v31, v95
	v_add_f32_e32 v40, v36, v37
	ds_read2_b64 v[36:39], v60 offset0:81 offset1:82
	buffer_load_dword v184, off, s[0:3], 0 offset:232
	buffer_load_dword v185, off, s[0:3], 0 offset:236
	s_waitcnt lgkmcnt(1)
	v_mul_f32_e32 v41, v32, v90
	buffer_load_dword v186, off, s[0:3], 0 offset:240
	buffer_load_dword v187, off, s[0:3], 0 offset:244
	v_fmac_f32_e32 v41, v33, v89
	v_add_f32_e32 v40, v40, v41
	v_mul_f32_e32 v41, v34, v92
	buffer_load_dword v188, off, s[0:3], 0 offset:248
	buffer_load_dword v189, off, s[0:3], 0 offset:252
	v_fmac_f32_e32 v41, v35, v91
	v_add_f32_e32 v40, v40, v41
	s_waitcnt lgkmcnt(0)
	v_mul_f32_e32 v41, v36, v94
	v_fmac_f32_e32 v41, v37, v93
	v_add_f32_e32 v44, v40, v41
	ds_read2_b64 v[40:43], v60 offset0:83 offset1:84
	buffer_load_dword v190, off, s[0:3], 0 offset:256
	buffer_load_dword v191, off, s[0:3], 0 offset:260
	s_waitcnt vmcnt(24)
	v_mul_f32_e32 v45, v38, v98
	v_fmac_f32_e32 v45, v39, v97
	v_add_f32_e32 v48, v44, v45
	ds_read2_b64 v[44:47], v60 offset0:85 offset1:86
	buffer_load_dword v192, off, s[0:3], 0 offset:264
	buffer_load_dword v193, off, s[0:3], 0 offset:268
	;; [unrolled: 1-line block ×12, first 2 shown]
	s_waitcnt vmcnt(34) lgkmcnt(1)
	v_mul_f32_e32 v49, v40, v100
	v_fmac_f32_e32 v49, v41, v99
	buffer_load_dword v228, off, s[0:3], 0 offset:312
	buffer_load_dword v229, off, s[0:3], 0 offset:316
	v_add_f32_e32 v48, v48, v49
	s_waitcnt vmcnt(34)
	v_mul_f32_e32 v49, v42, v104
	v_fmac_f32_e32 v49, v43, v101
	v_add_f32_e32 v48, v48, v49
	s_waitcnt vmcnt(32) lgkmcnt(0)
	v_mul_f32_e32 v49, v44, v106
	v_fmac_f32_e32 v49, v45, v105
	buffer_load_dword v230, off, s[0:3], 0 offset:320
	buffer_load_dword v231, off, s[0:3], 0 offset:324
	v_add_f32_e32 v48, v48, v49
	s_waitcnt vmcnt(32)
	v_mul_f32_e32 v49, v46, v164
	v_fmac_f32_e32 v49, v47, v156
	v_add_f32_e32 v107, v48, v49
	ds_read2_b64 v[48:51], v60 offset0:87 offset1:88
	buffer_load_dword v232, off, s[0:3], 0 offset:328
	buffer_load_dword v233, off, s[0:3], 0 offset:332
	ds_read2_b64 v[52:55], v60 offset0:89 offset1:90
	buffer_load_dword v234, off, s[0:3], 0 offset:336
	buffer_load_dword v235, off, s[0:3], 0 offset:340
	;; [unrolled: 1-line block ×14, first 2 shown]
	s_waitcnt vmcnt(46) lgkmcnt(1)
	v_mul_f32_e32 v108, v48, v177
	v_fmac_f32_e32 v108, v49, v176
	v_add_f32_e32 v107, v107, v108
	buffer_load_dword v248, off, s[0:3], 0 offset:392
	buffer_load_dword v249, off, s[0:3], 0 offset:396
	v_mul_f32_e32 v25, v25, v64
	v_fma_f32 v24, v24, v82, -v25
	v_mul_f32_e32 v25, v27, v63
	v_add_f32_e32 v24, 0, v24
	v_fma_f32 v25, v26, v79, -v25
	v_mul_f32_e32 v21, v21, v65
	v_add_f32_e32 v24, v24, v25
	;; [unrolled: 3-line block ×3, first 2 shown]
	v_fma_f32 v21, v22, v81, -v21
	v_mul_f32_e32 v17, v17, v61
	s_waitcnt vmcnt(46)
	v_mul_f32_e32 v108, v50, v179
	v_fmac_f32_e32 v108, v51, v178
	v_add_f32_e32 v107, v107, v108
	v_add_f32_e32 v20, v20, v21
	s_waitcnt vmcnt(44) lgkmcnt(0)
	v_mul_f32_e32 v108, v52, v181
	v_fmac_f32_e32 v108, v53, v180
	v_add_f32_e32 v107, v107, v108
	ds_read2_b64 v[108:111], v60 offset0:91 offset1:92
	buffer_load_dword v250, off, s[0:3], 0 offset:400
	buffer_load_dword v251, off, s[0:3], 0 offset:404
	;; [unrolled: 1-line block ×4, first 2 shown]
	v_fma_f32 v16, v16, v78, -v17
	s_waitcnt vmcnt(46)
	v_mul_f32_e32 v112, v54, v183
	v_fmac_f32_e32 v112, v55, v182
	v_add_f32_e32 v107, v107, v112
	ds_read2_b64 v[112:115], v60 offset0:93 offset1:94
	buffer_load_dword v254, off, s[0:3], 0 offset:416
	buffer_load_dword v255, off, s[0:3], 0 offset:420
	s_waitcnt vmcnt(46) lgkmcnt(1)
	v_mul_f32_e32 v116, v108, v185
	v_fmac_f32_e32 v116, v109, v184
	v_add_f32_e32 v107, v107, v116
	s_waitcnt vmcnt(44)
	v_mul_f32_e32 v116, v110, v187
	v_fmac_f32_e32 v116, v111, v186
	v_add_f32_e32 v107, v107, v116
	s_waitcnt vmcnt(42) lgkmcnt(0)
	v_mul_f32_e32 v116, v112, v189
	v_fmac_f32_e32 v116, v113, v188
	v_add_f32_e32 v107, v107, v116
	ds_read2_b64 v[116:119], v60 offset0:95 offset1:96
	v_mul_f32_e32 v17, v19, v58
	v_add_f32_e32 v16, v20, v16
	v_fma_f32 v17, v18, v75, -v17
	s_waitcnt vmcnt(40)
	v_mul_f32_e32 v120, v114, v191
	v_fmac_f32_e32 v120, v115, v190
	v_add_f32_e32 v107, v107, v120
	ds_read2_b64 v[120:123], v60 offset0:97 offset1:98
	v_mul_f32_e32 v13, v13, v59
	s_waitcnt vmcnt(38) lgkmcnt(1)
	v_mul_f32_e32 v124, v116, v193
	v_fmac_f32_e32 v124, v117, v192
	v_add_f32_e32 v107, v107, v124
	s_waitcnt vmcnt(36)
	v_mul_f32_e32 v124, v118, v195
	v_fmac_f32_e32 v124, v119, v194
	v_add_f32_e32 v107, v107, v124
	s_waitcnt vmcnt(34) lgkmcnt(0)
	v_mul_f32_e32 v124, v120, v197
	v_fmac_f32_e32 v124, v121, v196
	v_add_f32_e32 v107, v107, v124
	ds_read2_b64 v[124:127], v60 offset0:99 offset1:100
	s_waitcnt vmcnt(32)
	v_mul_f32_e32 v128, v122, v199
	v_fmac_f32_e32 v128, v123, v198
	v_add_f32_e32 v107, v107, v128
	ds_read2_b64 v[128:131], v60 offset0:101 offset1:102
	s_waitcnt vmcnt(30) lgkmcnt(1)
	v_mul_f32_e32 v132, v124, v225
	v_fmac_f32_e32 v132, v125, v224
	v_add_f32_e32 v107, v107, v132
	s_waitcnt vmcnt(28)
	v_mul_f32_e32 v132, v126, v227
	v_fmac_f32_e32 v132, v127, v226
	v_add_f32_e32 v107, v107, v132
	s_waitcnt vmcnt(26) lgkmcnt(0)
	v_mul_f32_e32 v132, v128, v229
	v_fmac_f32_e32 v132, v129, v228
	v_add_f32_e32 v107, v107, v132
	ds_read2_b64 v[132:135], v60 offset0:103 offset1:104
	s_waitcnt vmcnt(24)
	v_mul_f32_e32 v136, v130, v231
	v_fmac_f32_e32 v136, v131, v230
	v_add_f32_e32 v107, v107, v136
	ds_read2_b64 v[136:139], v60 offset0:105 offset1:106
	;; [unrolled: 18-line block ×3, first 2 shown]
	s_waitcnt vmcnt(14) lgkmcnt(1)
	v_mul_f32_e32 v148, v140, v241
	v_fmac_f32_e32 v148, v141, v240
	v_add_f32_e32 v107, v107, v148
	s_waitcnt vmcnt(12)
	v_mul_f32_e32 v148, v142, v243
	v_fmac_f32_e32 v148, v143, v242
	v_add_f32_e32 v16, v16, v17
	v_fma_f32 v12, v12, v73, -v13
	v_mul_f32_e32 v13, v15, v66
	v_add_f32_e32 v107, v107, v148
	s_waitcnt vmcnt(10) lgkmcnt(0)
	v_mul_f32_e32 v148, v144, v245
	v_add_f32_e32 v12, v16, v12
	v_fma_f32 v13, v14, v77, -v13
	v_mul_f32_e32 v9, v9, v67
	v_fmac_f32_e32 v148, v145, v244
	s_waitcnt vmcnt(8)
	v_mul_f32_e32 v152, v146, v247
	v_add_f32_e32 v12, v12, v13
	v_fma_f32 v8, v8, v74, -v9
	v_mul_f32_e32 v9, v11, v68
	v_add_f32_e32 v107, v107, v148
	v_fmac_f32_e32 v152, v147, v246
	v_add_f32_e32 v8, v12, v8
	v_fma_f32 v9, v10, v72, -v9
	v_mul_f32_e32 v5, v5, v69
	ds_read2_b64 v[148:151], v60 offset0:111 offset1:112
	v_add_f32_e32 v107, v107, v152
	ds_read2_b64 v[152:155], v60 offset0:113 offset1:114
	buffer_load_dword v159, off, s[0:3], 0 offset:444
	buffer_load_dword v158, off, s[0:3], 0 offset:440
	;; [unrolled: 1-line block ×6, first 2 shown]
	v_add_f32_e32 v8, v8, v9
	v_fma_f32 v4, v4, v71, -v5
	v_mul_f32_e32 v5, v7, v70
	v_add_f32_e32 v4, v8, v4
	v_fma_f32 v5, v6, v88, -v5
	v_mul_f32_e32 v1, v1, v87
	;; [unrolled: 3-line block ×3, first 2 shown]
	v_add_f32_e32 v0, v4, v0
	v_fma_f32 v1, v2, v83, -v1
	v_add_f32_e32 v0, v0, v1
	v_mul_f32_e32 v1, v29, v84
	v_fma_f32 v1, v28, v80, -v1
	v_add_f32_e32 v0, v0, v1
	v_mul_f32_e32 v1, v31, v96
	;; [unrolled: 3-line block ×4, first 2 shown]
	v_fma_f32 v1, v34, v91, -v1
	buffer_load_dword v167, off, s[0:3], 0 offset:476
	buffer_load_dword v166, off, s[0:3], 0 offset:472
	;; [unrolled: 1-line block ×10, first 2 shown]
	v_add_f32_e32 v0, v0, v1
	v_mul_f32_e32 v1, v37, v94
	v_fma_f32 v1, v36, v93, -v1
	v_add_f32_e32 v0, v0, v1
	v_mul_f32_e32 v1, v39, v98
	v_fma_f32 v1, v38, v97, -v1
	;; [unrolled: 3-line block ×30, first 2 shown]
	v_add_f32_e32 v0, v0, v1
	s_waitcnt vmcnt(22) lgkmcnt(1)
	v_mul_f32_e32 v1, v149, v249
	v_fma_f32 v1, v148, v248, -v1
	v_add_f32_e32 v0, v0, v1
	s_waitcnt vmcnt(20)
	v_mul_f32_e32 v1, v151, v251
	v_mul_f32_e32 v157, v148, v249
	v_fma_f32 v1, v150, v250, -v1
	v_fmac_f32_e32 v157, v149, v248
	v_add_f32_e32 v106, v0, v1
	s_waitcnt vmcnt(18) lgkmcnt(0)
	v_mul_f32_e32 v0, v153, v253
	v_add_f32_e32 v107, v107, v157
	v_mul_f32_e32 v157, v150, v251
	v_fma_f32 v156, v152, v252, -v0
	s_waitcnt vmcnt(16)
	v_mul_f32_e32 v0, v155, v255
	v_fmac_f32_e32 v157, v151, v250
	v_fma_f32 v164, v154, v254, -v0
	ds_read2_b64 v[0:3], v60 offset0:115 offset1:116
	ds_read2_b64 v[4:7], v60 offset0:117 offset1:118
	;; [unrolled: 1-line block ×4, first 2 shown]
	v_add_f32_e32 v107, v107, v157
	v_mul_f32_e32 v157, v152, v253
	s_waitcnt vmcnt(11)
	v_mov_b32_e32 v18, v163
	v_fmac_f32_e32 v157, v153, v252
	v_mul_f32_e32 v165, v154, v255
	s_waitcnt lgkmcnt(3)
	v_pk_mul_f32 v[18:19], v[0:1], v[18:19] op_sel_hi:[1,0]
	v_fmac_f32_e32 v165, v155, v254
	v_pk_add_f32 v[16:17], v[106:107], v[156:157]
	s_waitcnt vmcnt(10)
	v_pk_fma_f32 v[20:21], v[0:1], v[162:163], v[18:19] op_sel:[0,0,1] op_sel_hi:[1,1,0] neg_lo:[0,0,1] neg_hi:[0,0,1]
	v_pk_fma_f32 v[0:1], v[0:1], v[162:163], v[18:19] op_sel:[0,0,1] op_sel_hi:[1,0,0]
	v_pk_add_f32 v[16:17], v[16:17], v[164:165]
	v_mov_b32_e32 v21, v1
	v_pk_add_f32 v[0:1], v[16:17], v[20:21]
	v_mov_b32_e32 v16, v161
	v_pk_mul_f32 v[16:17], v[2:3], v[16:17] op_sel_hi:[1,0]
	v_pk_fma_f32 v[18:19], v[2:3], v[160:161], v[16:17] op_sel:[0,0,1] op_sel_hi:[1,1,0] neg_lo:[0,0,1] neg_hi:[0,0,1]
	v_pk_fma_f32 v[2:3], v[2:3], v[160:161], v[16:17] op_sel:[0,0,1] op_sel_hi:[1,0,0]
	v_mov_b32_e32 v2, v159
	v_mov_b32_e32 v19, v3
	s_waitcnt lgkmcnt(2)
	v_pk_mul_f32 v[2:3], v[4:5], v[2:3] op_sel_hi:[1,0]
	v_pk_fma_f32 v[16:17], v[4:5], v[158:159], v[2:3] op_sel:[0,0,1] op_sel_hi:[1,1,0] neg_lo:[0,0,1] neg_hi:[0,0,1]
	v_pk_fma_f32 v[2:3], v[4:5], v[158:159], v[2:3] op_sel:[0,0,1] op_sel_hi:[1,0,0]
	s_waitcnt vmcnt(3)
	v_mov_b32_e32 v2, v173
	v_mov_b32_e32 v17, v3
	v_pk_mul_f32 v[2:3], v[6:7], v[2:3] op_sel_hi:[1,0]
	s_waitcnt vmcnt(2)
	v_pk_fma_f32 v[4:5], v[6:7], v[172:173], v[2:3] op_sel:[0,0,1] op_sel_hi:[1,1,0] neg_lo:[0,0,1] neg_hi:[0,0,1]
	v_pk_fma_f32 v[2:3], v[6:7], v[172:173], v[2:3] op_sel:[0,0,1] op_sel_hi:[1,0,0]
	v_pk_add_f32 v[0:1], v[0:1], v[18:19]
	v_mov_b32_e32 v2, v171
	v_pk_add_f32 v[0:1], v[0:1], v[16:17]
	v_mov_b32_e32 v5, v3
	s_waitcnt lgkmcnt(1)
	v_pk_mul_f32 v[2:3], v[8:9], v[2:3] op_sel_hi:[1,0]
	v_pk_add_f32 v[0:1], v[0:1], v[4:5]
	v_pk_fma_f32 v[4:5], v[8:9], v[170:171], v[2:3] op_sel:[0,0,1] op_sel_hi:[1,1,0] neg_lo:[0,0,1] neg_hi:[0,0,1]
	v_pk_fma_f32 v[2:3], v[8:9], v[170:171], v[2:3] op_sel:[0,0,1] op_sel_hi:[1,0,0]
	v_mov_b32_e32 v2, v169
	v_mov_b32_e32 v5, v3
	v_pk_mul_f32 v[2:3], v[10:11], v[2:3] op_sel_hi:[1,0]
	v_pk_add_f32 v[0:1], v[0:1], v[4:5]
	v_pk_fma_f32 v[4:5], v[10:11], v[168:169], v[2:3] op_sel:[0,0,1] op_sel_hi:[1,1,0] neg_lo:[0,0,1] neg_hi:[0,0,1]
	v_pk_fma_f32 v[2:3], v[10:11], v[168:169], v[2:3] op_sel:[0,0,1] op_sel_hi:[1,0,0]
	v_mov_b32_e32 v2, v167
	v_mov_b32_e32 v5, v3
	s_waitcnt lgkmcnt(0)
	v_pk_mul_f32 v[2:3], v[12:13], v[2:3] op_sel_hi:[1,0]
	v_pk_add_f32 v[0:1], v[0:1], v[4:5]
	v_pk_fma_f32 v[4:5], v[12:13], v[166:167], v[2:3] op_sel:[0,0,1] op_sel_hi:[1,1,0] neg_lo:[0,0,1] neg_hi:[0,0,1]
	v_pk_fma_f32 v[2:3], v[12:13], v[166:167], v[2:3] op_sel:[0,0,1] op_sel_hi:[1,0,0]
	s_waitcnt vmcnt(1)
	v_mov_b32_e32 v2, v175
	v_mov_b32_e32 v5, v3
	v_pk_mul_f32 v[2:3], v[14:15], v[2:3] op_sel_hi:[1,0]
	v_pk_add_f32 v[0:1], v[0:1], v[4:5]
	s_waitcnt vmcnt(0)
	v_pk_fma_f32 v[4:5], v[14:15], v[174:175], v[2:3] op_sel:[0,0,1] op_sel_hi:[1,1,0] neg_lo:[0,0,1] neg_hi:[0,0,1]
	v_pk_fma_f32 v[2:3], v[14:15], v[174:175], v[2:3] op_sel:[0,0,1] op_sel_hi:[1,0,0]
	v_mov_b32_e32 v5, v3
	v_pk_add_f32 v[0:1], v[0:1], v[4:5]
	v_pk_add_f32 v[0:1], v[56:57], v[0:1] neg_lo:[0,1] neg_hi:[0,1]
	buffer_store_dword v1, off, s[0:3], 0 offset:4
	buffer_store_dword v0, off, s[0:3], 0
	s_cbranch_vccz .LBB124_501
; %bb.380:
	v_pk_mov_b32 v[0:1], s[10:11], s[10:11] op_sel:[0,1]
	flat_load_dword v0, v[0:1] offset:236
	s_waitcnt vmcnt(0) lgkmcnt(0)
	v_add_u32_e32 v0, -1, v0
	v_cmp_ne_u32_e32 vcc, 59, v0
	s_and_saveexec_b64 s[4:5], vcc
	s_cbranch_execz .LBB124_382
; %bb.381:
	v_mov_b32_e32 v1, 0
	v_lshl_add_u32 v0, v0, 3, v1
	buffer_load_dword v1, v0, s[0:3], 0 offen
	buffer_load_dword v2, v0, s[0:3], 0 offen offset:4
	buffer_load_dword v3, off, s[0:3], 0 offset:472
	buffer_load_dword v4, off, s[0:3], 0 offset:476
	s_waitcnt vmcnt(3)
	buffer_store_dword v1, off, s[0:3], 0 offset:472
	s_waitcnt vmcnt(3)
	buffer_store_dword v2, off, s[0:3], 0 offset:476
	s_waitcnt vmcnt(3)
	buffer_store_dword v3, v0, s[0:3], 0 offen
	s_waitcnt vmcnt(3)
	buffer_store_dword v4, v0, s[0:3], 0 offen offset:4
.LBB124_382:
	s_or_b64 exec, exec, s[4:5]
	v_pk_mov_b32 v[0:1], s[10:11], s[10:11] op_sel:[0,1]
	flat_load_dword v0, v[0:1] offset:232
	s_waitcnt vmcnt(0) lgkmcnt(0)
	v_add_u32_e32 v0, -1, v0
	v_cmp_ne_u32_e32 vcc, 58, v0
	s_and_saveexec_b64 s[4:5], vcc
	s_cbranch_execz .LBB124_384
; %bb.383:
	v_mov_b32_e32 v1, 0
	v_lshl_add_u32 v0, v0, 3, v1
	buffer_load_dword v1, v0, s[0:3], 0 offen
	buffer_load_dword v2, v0, s[0:3], 0 offen offset:4
	buffer_load_dword v3, off, s[0:3], 0 offset:468
	buffer_load_dword v4, off, s[0:3], 0 offset:464
	s_waitcnt vmcnt(3)
	buffer_store_dword v1, off, s[0:3], 0 offset:464
	s_waitcnt vmcnt(3)
	buffer_store_dword v2, off, s[0:3], 0 offset:468
	s_waitcnt vmcnt(3)
	buffer_store_dword v3, v0, s[0:3], 0 offen offset:4
	s_waitcnt vmcnt(3)
	buffer_store_dword v4, v0, s[0:3], 0 offen
.LBB124_384:
	s_or_b64 exec, exec, s[4:5]
	v_pk_mov_b32 v[0:1], s[10:11], s[10:11] op_sel:[0,1]
	flat_load_dword v0, v[0:1] offset:228
	s_waitcnt vmcnt(0) lgkmcnt(0)
	v_add_u32_e32 v0, -1, v0
	v_cmp_ne_u32_e32 vcc, 57, v0
	s_and_saveexec_b64 s[4:5], vcc
	s_cbranch_execz .LBB124_386
; %bb.385:
	v_mov_b32_e32 v1, 0
	v_lshl_add_u32 v0, v0, 3, v1
	buffer_load_dword v1, v0, s[0:3], 0 offen
	buffer_load_dword v2, v0, s[0:3], 0 offen offset:4
	buffer_load_dword v3, off, s[0:3], 0 offset:456
	buffer_load_dword v4, off, s[0:3], 0 offset:460
	s_waitcnt vmcnt(3)
	buffer_store_dword v1, off, s[0:3], 0 offset:456
	s_waitcnt vmcnt(3)
	buffer_store_dword v2, off, s[0:3], 0 offset:460
	s_waitcnt vmcnt(3)
	buffer_store_dword v3, v0, s[0:3], 0 offen
	s_waitcnt vmcnt(3)
	buffer_store_dword v4, v0, s[0:3], 0 offen offset:4
.LBB124_386:
	s_or_b64 exec, exec, s[4:5]
	v_pk_mov_b32 v[0:1], s[10:11], s[10:11] op_sel:[0,1]
	flat_load_dword v0, v[0:1] offset:224
	s_waitcnt vmcnt(0) lgkmcnt(0)
	v_add_u32_e32 v0, -1, v0
	v_cmp_ne_u32_e32 vcc, 56, v0
	s_and_saveexec_b64 s[4:5], vcc
	s_cbranch_execz .LBB124_388
; %bb.387:
	v_mov_b32_e32 v1, 0
	v_lshl_add_u32 v0, v0, 3, v1
	buffer_load_dword v1, v0, s[0:3], 0 offen
	buffer_load_dword v2, v0, s[0:3], 0 offen offset:4
	buffer_load_dword v3, off, s[0:3], 0 offset:452
	buffer_load_dword v4, off, s[0:3], 0 offset:448
	s_waitcnt vmcnt(3)
	buffer_store_dword v1, off, s[0:3], 0 offset:448
	s_waitcnt vmcnt(3)
	buffer_store_dword v2, off, s[0:3], 0 offset:452
	s_waitcnt vmcnt(3)
	buffer_store_dword v3, v0, s[0:3], 0 offen offset:4
	s_waitcnt vmcnt(3)
	buffer_store_dword v4, v0, s[0:3], 0 offen
.LBB124_388:
	s_or_b64 exec, exec, s[4:5]
	;; [unrolled: 48-line block ×29, first 2 shown]
	v_pk_mov_b32 v[0:1], s[10:11], s[10:11] op_sel:[0,1]
	flat_load_dword v0, v[0:1] offset:4
	s_waitcnt vmcnt(0) lgkmcnt(0)
	v_add_u32_e32 v0, -1, v0
	v_cmp_ne_u32_e32 vcc, 1, v0
	s_and_saveexec_b64 s[4:5], vcc
	s_cbranch_execz .LBB124_498
; %bb.497:
	v_mov_b32_e32 v1, 0
	v_lshl_add_u32 v0, v0, 3, v1
	buffer_load_dword v1, v0, s[0:3], 0 offen
	buffer_load_dword v2, v0, s[0:3], 0 offen offset:4
	buffer_load_dword v3, off, s[0:3], 0 offset:8
	buffer_load_dword v4, off, s[0:3], 0 offset:12
	s_waitcnt vmcnt(3)
	buffer_store_dword v1, off, s[0:3], 0 offset:8
	s_waitcnt vmcnt(3)
	buffer_store_dword v2, off, s[0:3], 0 offset:12
	s_waitcnt vmcnt(3)
	buffer_store_dword v3, v0, s[0:3], 0 offen
	s_waitcnt vmcnt(3)
	buffer_store_dword v4, v0, s[0:3], 0 offen offset:4
.LBB124_498:
	s_or_b64 exec, exec, s[4:5]
	v_pk_mov_b32 v[0:1], s[10:11], s[10:11] op_sel:[0,1]
	flat_load_dword v2, v[0:1]
	s_nop 0
	buffer_load_dword v0, off, s[0:3], 0
	buffer_load_dword v1, off, s[0:3], 0 offset:4
	s_waitcnt vmcnt(0) lgkmcnt(0)
	v_add_u32_e32 v2, -1, v2
	v_cmp_ne_u32_e32 vcc, 0, v2
	s_and_saveexec_b64 s[4:5], vcc
	s_cbranch_execz .LBB124_500
; %bb.499:
	v_mov_b32_e32 v3, 0
	v_lshl_add_u32 v2, v2, 3, v3
	buffer_load_dword v3, v2, s[0:3], 0 offen offset:4
	buffer_load_dword v4, v2, s[0:3], 0 offen
	s_waitcnt vmcnt(1)
	buffer_store_dword v3, off, s[0:3], 0 offset:4
	s_waitcnt vmcnt(1)
	buffer_store_dword v4, off, s[0:3], 0
	buffer_store_dword v1, v2, s[0:3], 0 offen offset:4
	buffer_store_dword v0, v2, s[0:3], 0 offen
	buffer_load_dword v0, off, s[0:3], 0
	s_nop 0
	buffer_load_dword v1, off, s[0:3], 0 offset:4
.LBB124_500:
	s_or_b64 exec, exec, s[4:5]
.LBB124_501:
	buffer_load_dword v2, off, s[0:3], 0 offset:8
	buffer_load_dword v3, off, s[0:3], 0 offset:12
	;; [unrolled: 1-line block ×120, first 2 shown]
	s_waitcnt vmcnt(62)
	global_store_dwordx2 v[102:103], v[0:1], off
	v_accvgpr_read_b32 v0, a0
	v_accvgpr_read_b32 v1, a1
	global_store_dwordx2 v[0:1], v[2:3], off
	v_accvgpr_read_b32 v0, a2
	v_accvgpr_read_b32 v1, a3
	;; [unrolled: 3-line block ×30, first 2 shown]
	s_waitcnt vmcnt(62)
	global_store_dwordx2 v[0:1], v[60:61], off
	v_accvgpr_read_b32 v0, a60
	v_accvgpr_read_b32 v1, a61
	global_store_dwordx2 v[0:1], v[62:63], off
	v_accvgpr_read_b32 v0, a62
	v_accvgpr_read_b32 v1, a63
	;; [unrolled: 3-line block ×15, first 2 shown]
	s_waitcnt vmcnt(62)
	global_store_dwordx2 v[0:1], v[90:91], off
	v_accvgpr_read_b32 v0, a90
	v_accvgpr_read_b32 v1, a91
	global_store_dwordx2 v[0:1], v[92:93], off
	v_accvgpr_read_b32 v0, a92
	v_accvgpr_read_b32 v1, a93
	;; [unrolled: 3-line block ×3, first 2 shown]
	global_store_dwordx2 v[0:1], v[96:97], off
	global_store_dwordx2 v[200:201], v[98:99], off
	;; [unrolled: 1-line block ×4, first 2 shown]
	s_waitcnt vmcnt(62)
	global_store_dwordx2 v[206:207], v[106:107], off
	global_store_dwordx2 v[208:209], v[108:109], off
	;; [unrolled: 1-line block ×4, first 2 shown]
	s_waitcnt vmcnt(62)
	global_store_dwordx2 v[214:215], v[114:115], off
	global_store_dwordx2 v[216:217], v[116:117], off
	s_waitcnt vmcnt(62)
	global_store_dwordx2 v[218:219], v[118:119], off
	s_waitcnt vmcnt(61)
	global_store_dwordx2 v[220:221], v[120:121], off
	s_waitcnt vmcnt(60)
	global_store_dwordx2 v[222:223], v[122:123], off
	s_endpgm
	.section	.rodata,"a",@progbits
	.p2align	6, 0x0
	.amdhsa_kernel _ZN9rocsolver6v33100L18getri_kernel_smallILi61E19rocblas_complex_numIfEPKPS3_EEvT1_iilPiilS8_bb
		.amdhsa_group_segment_fixed_size 984
		.amdhsa_private_segment_fixed_size 496
		.amdhsa_kernarg_size 60
		.amdhsa_user_sgpr_count 8
		.amdhsa_user_sgpr_private_segment_buffer 1
		.amdhsa_user_sgpr_dispatch_ptr 0
		.amdhsa_user_sgpr_queue_ptr 0
		.amdhsa_user_sgpr_kernarg_segment_ptr 1
		.amdhsa_user_sgpr_dispatch_id 0
		.amdhsa_user_sgpr_flat_scratch_init 1
		.amdhsa_user_sgpr_kernarg_preload_length 0
		.amdhsa_user_sgpr_kernarg_preload_offset 0
		.amdhsa_user_sgpr_private_segment_size 0
		.amdhsa_uses_dynamic_stack 0
		.amdhsa_system_sgpr_private_segment_wavefront_offset 1
		.amdhsa_system_sgpr_workgroup_id_x 1
		.amdhsa_system_sgpr_workgroup_id_y 0
		.amdhsa_system_sgpr_workgroup_id_z 0
		.amdhsa_system_sgpr_workgroup_info 0
		.amdhsa_system_vgpr_workitem_id 0
		.amdhsa_next_free_vgpr 352
		.amdhsa_next_free_sgpr 22
		.amdhsa_accum_offset 256
		.amdhsa_reserve_vcc 1
		.amdhsa_reserve_flat_scratch 1
		.amdhsa_float_round_mode_32 0
		.amdhsa_float_round_mode_16_64 0
		.amdhsa_float_denorm_mode_32 3
		.amdhsa_float_denorm_mode_16_64 3
		.amdhsa_dx10_clamp 1
		.amdhsa_ieee_mode 1
		.amdhsa_fp16_overflow 0
		.amdhsa_tg_split 0
		.amdhsa_exception_fp_ieee_invalid_op 0
		.amdhsa_exception_fp_denorm_src 0
		.amdhsa_exception_fp_ieee_div_zero 0
		.amdhsa_exception_fp_ieee_overflow 0
		.amdhsa_exception_fp_ieee_underflow 0
		.amdhsa_exception_fp_ieee_inexact 0
		.amdhsa_exception_int_div_zero 0
	.end_amdhsa_kernel
	.section	.text._ZN9rocsolver6v33100L18getri_kernel_smallILi61E19rocblas_complex_numIfEPKPS3_EEvT1_iilPiilS8_bb,"axG",@progbits,_ZN9rocsolver6v33100L18getri_kernel_smallILi61E19rocblas_complex_numIfEPKPS3_EEvT1_iilPiilS8_bb,comdat
.Lfunc_end124:
	.size	_ZN9rocsolver6v33100L18getri_kernel_smallILi61E19rocblas_complex_numIfEPKPS3_EEvT1_iilPiilS8_bb, .Lfunc_end124-_ZN9rocsolver6v33100L18getri_kernel_smallILi61E19rocblas_complex_numIfEPKPS3_EEvT1_iilPiilS8_bb
                                        ; -- End function
	.section	.AMDGPU.csdata,"",@progbits
; Kernel info:
; codeLenInByte = 138388
; NumSgprs: 28
; NumVgprs: 256
; NumAgprs: 96
; TotalNumVgprs: 352
; ScratchSize: 496
; MemoryBound: 0
; FloatMode: 240
; IeeeMode: 1
; LDSByteSize: 984 bytes/workgroup (compile time only)
; SGPRBlocks: 3
; VGPRBlocks: 43
; NumSGPRsForWavesPerEU: 28
; NumVGPRsForWavesPerEU: 352
; AccumOffset: 256
; Occupancy: 1
; WaveLimiterHint : 1
; COMPUTE_PGM_RSRC2:SCRATCH_EN: 1
; COMPUTE_PGM_RSRC2:USER_SGPR: 8
; COMPUTE_PGM_RSRC2:TRAP_HANDLER: 0
; COMPUTE_PGM_RSRC2:TGID_X_EN: 1
; COMPUTE_PGM_RSRC2:TGID_Y_EN: 0
; COMPUTE_PGM_RSRC2:TGID_Z_EN: 0
; COMPUTE_PGM_RSRC2:TIDIG_COMP_CNT: 0
; COMPUTE_PGM_RSRC3_GFX90A:ACCUM_OFFSET: 63
; COMPUTE_PGM_RSRC3_GFX90A:TG_SPLIT: 0
	.section	.text._ZN9rocsolver6v33100L18getri_kernel_smallILi62E19rocblas_complex_numIfEPKPS3_EEvT1_iilPiilS8_bb,"axG",@progbits,_ZN9rocsolver6v33100L18getri_kernel_smallILi62E19rocblas_complex_numIfEPKPS3_EEvT1_iilPiilS8_bb,comdat
	.globl	_ZN9rocsolver6v33100L18getri_kernel_smallILi62E19rocblas_complex_numIfEPKPS3_EEvT1_iilPiilS8_bb ; -- Begin function _ZN9rocsolver6v33100L18getri_kernel_smallILi62E19rocblas_complex_numIfEPKPS3_EEvT1_iilPiilS8_bb
	.p2align	8
	.type	_ZN9rocsolver6v33100L18getri_kernel_smallILi62E19rocblas_complex_numIfEPKPS3_EEvT1_iilPiilS8_bb,@function
_ZN9rocsolver6v33100L18getri_kernel_smallILi62E19rocblas_complex_numIfEPKPS3_EEvT1_iilPiilS8_bb: ; @_ZN9rocsolver6v33100L18getri_kernel_smallILi62E19rocblas_complex_numIfEPKPS3_EEvT1_iilPiilS8_bb
; %bb.0:
	s_add_u32 flat_scratch_lo, s6, s9
	s_addc_u32 flat_scratch_hi, s7, 0
	s_add_u32 s0, s0, s9
	s_addc_u32 s1, s1, 0
	v_cmp_gt_u32_e32 vcc, 62, v0
	s_and_saveexec_b64 s[6:7], vcc
	s_cbranch_execz .LBB125_262
; %bb.1:
	s_load_dword s20, s[4:5], 0x38
	s_load_dwordx2 s[6:7], s[4:5], 0x0
	s_load_dwordx4 s[12:15], s[4:5], 0x28
	s_waitcnt lgkmcnt(0)
	s_bitcmp1_b32 s20, 8
	s_cselect_b64 s[16:17], -1, 0
	s_ashr_i32 s9, s8, 31
	s_lshl_b64 s[10:11], s[8:9], 3
	s_add_u32 s6, s6, s10
	s_addc_u32 s7, s7, s11
	s_load_dwordx2 s[18:19], s[6:7], 0x0
	s_bfe_u32 s6, s20, 0x10008
	s_cmp_eq_u32 s6, 0
                                        ; implicit-def: $sgpr10_sgpr11
	s_cbranch_scc1 .LBB125_3
; %bb.2:
	s_load_dword s6, s[4:5], 0x20
	s_load_dwordx2 s[10:11], s[4:5], 0x18
	s_mul_i32 s7, s8, s13
	s_mul_hi_u32 s13, s8, s12
	s_add_i32 s13, s13, s7
	s_mul_i32 s21, s9, s12
	s_add_i32 s13, s13, s21
	s_mul_i32 s12, s8, s12
	s_waitcnt lgkmcnt(0)
	s_ashr_i32 s7, s6, 31
	s_lshl_b64 s[12:13], s[12:13], 2
	s_add_u32 s10, s10, s12
	s_addc_u32 s11, s11, s13
	s_lshl_b64 s[6:7], s[6:7], 2
	s_add_u32 s10, s10, s6
	s_addc_u32 s11, s11, s7
.LBB125_3:
	s_load_dwordx2 s[6:7], s[4:5], 0x8
	v_lshlrev_b32_e32 v232, 3, v0
	s_waitcnt lgkmcnt(0)
	s_ashr_i32 s5, s6, 31
	s_mov_b32 s4, s6
	s_lshl_b64 s[4:5], s[4:5], 3
	s_add_u32 s4, s18, s4
	s_addc_u32 s5, s19, s5
	v_mov_b32_e32 v1, s5
	v_add_co_u32_e32 v108, vcc, s4, v232
	s_ashr_i32 s13, s7, 31
	s_mov_b32 s12, s7
	s_add_i32 s6, s7, s7
	v_addc_co_u32_e32 v109, vcc, 0, v1, vcc
	s_lshl_b64 s[12:13], s[12:13], 3
	v_add_u32_e32 v4, s6, v0
	v_mov_b32_e32 v1, s13
	v_add_co_u32_e32 v8, vcc, s12, v108
	v_ashrrev_i32_e32 v5, 31, v4
	v_addc_co_u32_e32 v9, vcc, v109, v1, vcc
	v_lshlrev_b64 v[6:7], 3, v[4:5]
	v_add_u32_e32 v4, s7, v4
	v_mov_b32_e32 v1, s5
	v_add_co_u32_e32 v14, vcc, s4, v6
	v_ashrrev_i32_e32 v5, 31, v4
	v_addc_co_u32_e32 v15, vcc, v1, v7, vcc
	v_lshlrev_b64 v[6:7], 3, v[4:5]
	v_add_u32_e32 v12, s7, v4
	v_add_co_u32_e32 v6, vcc, s4, v6
	v_ashrrev_i32_e32 v13, 31, v12
	global_load_dwordx2 v[2:3], v232, s[4:5]
	v_addc_co_u32_e32 v7, vcc, v1, v7, vcc
	v_lshlrev_b64 v[4:5], 3, v[12:13]
	v_add_u32_e32 v12, s7, v12
	v_add_co_u32_e32 v4, vcc, s4, v4
	v_accvgpr_write_b32 a0, v8
	v_accvgpr_write_b32 a2, v14
	;; [unrolled: 1-line block ×3, first 2 shown]
	v_ashrrev_i32_e32 v13, 31, v12
	v_addc_co_u32_e32 v5, vcc, v1, v5, vcc
	v_accvgpr_write_b32 a1, v9
	global_load_dwordx2 v[10:11], v[8:9], off
	v_accvgpr_write_b32 a3, v15
	v_accvgpr_write_b32 a5, v7
	global_load_dwordx2 v[6:7], v[6:7], off
	v_accvgpr_write_b32 a7, v5
	global_load_dwordx2 v[8:9], v[14:15], off
	v_lshlrev_b64 v[14:15], 3, v[12:13]
	v_add_u32_e32 v12, s7, v12
	v_add_co_u32_e32 v16, vcc, s4, v14
	v_ashrrev_i32_e32 v13, 31, v12
	v_addc_co_u32_e32 v17, vcc, v1, v15, vcc
	v_lshlrev_b64 v[14:15], 3, v[12:13]
	v_add_u32_e32 v12, s7, v12
	v_add_co_u32_e32 v18, vcc, s4, v14
	v_ashrrev_i32_e32 v13, 31, v12
	v_addc_co_u32_e32 v19, vcc, v1, v15, vcc
	v_lshlrev_b64 v[14:15], 3, v[12:13]
	v_add_u32_e32 v12, s7, v12
	v_add_co_u32_e32 v22, vcc, s4, v14
	v_ashrrev_i32_e32 v13, 31, v12
	v_accvgpr_write_b32 a6, v4
	global_load_dwordx2 v[4:5], v[4:5], off
	v_addc_co_u32_e32 v23, vcc, v1, v15, vcc
	v_lshlrev_b64 v[14:15], 3, v[12:13]
	v_add_co_u32_e32 v14, vcc, s4, v14
	v_add_u32_e32 v12, s7, v12
	v_addc_co_u32_e32 v15, vcc, v1, v15, vcc
	v_accvgpr_write_b32 a8, v16
	global_load_dwordx2 v[20:21], v[16:17], off
	v_accvgpr_write_b32 a10, v18
	v_accvgpr_write_b32 a12, v22
	;; [unrolled: 1-line block ×3, first 2 shown]
	v_ashrrev_i32_e32 v13, 31, v12
	v_accvgpr_write_b32 a9, v17
	v_accvgpr_write_b32 a11, v19
	global_load_dwordx2 v[18:19], v[18:19], off
	v_accvgpr_write_b32 a13, v23
	v_accvgpr_write_b32 a15, v15
	global_load_dwordx2 v[14:15], v[14:15], off
	s_bitcmp0_b32 s20, 0
	global_load_dwordx2 v[16:17], v[22:23], off
	v_lshlrev_b64 v[22:23], 3, v[12:13]
	v_add_u32_e32 v12, s7, v12
	v_add_co_u32_e32 v24, vcc, s4, v22
	v_ashrrev_i32_e32 v13, 31, v12
	v_addc_co_u32_e32 v25, vcc, v1, v23, vcc
	v_lshlrev_b64 v[22:23], 3, v[12:13]
	v_add_u32_e32 v12, s7, v12
	v_add_co_u32_e32 v26, vcc, s4, v22
	v_ashrrev_i32_e32 v13, 31, v12
	v_addc_co_u32_e32 v27, vcc, v1, v23, vcc
	;; [unrolled: 5-line block ×3, first 2 shown]
	v_lshlrev_b64 v[22:23], 3, v[12:13]
	v_add_co_u32_e32 v22, vcc, s4, v22
	global_load_dwordx2 v[28:29], v[24:25], off
	v_add_u32_e32 v12, s7, v12
	v_addc_co_u32_e32 v23, vcc, v1, v23, vcc
	v_accvgpr_write_b32 a16, v24
	v_accvgpr_write_b32 a18, v26
	;; [unrolled: 1-line block ×4, first 2 shown]
	v_ashrrev_i32_e32 v13, 31, v12
	v_accvgpr_write_b32 a17, v25
	v_accvgpr_write_b32 a19, v27
	global_load_dwordx2 v[26:27], v[26:27], off
	v_accvgpr_write_b32 a21, v31
	v_accvgpr_write_b32 a23, v23
	global_load_dwordx2 v[22:23], v[22:23], off
	s_nop 0
	global_load_dwordx2 v[24:25], v[30:31], off
	v_lshlrev_b64 v[30:31], 3, v[12:13]
	v_add_u32_e32 v12, s7, v12
	v_add_co_u32_e32 v32, vcc, s4, v30
	v_ashrrev_i32_e32 v13, 31, v12
	v_addc_co_u32_e32 v33, vcc, v1, v31, vcc
	v_lshlrev_b64 v[30:31], 3, v[12:13]
	v_add_u32_e32 v12, s7, v12
	v_add_co_u32_e32 v34, vcc, s4, v30
	v_ashrrev_i32_e32 v13, 31, v12
	v_addc_co_u32_e32 v35, vcc, v1, v31, vcc
	;; [unrolled: 5-line block ×3, first 2 shown]
	v_lshlrev_b64 v[30:31], 3, v[12:13]
	global_load_dwordx2 v[36:37], v[32:33], off
	v_add_co_u32_e32 v30, vcc, s4, v30
	v_accvgpr_write_b32 a26, v34
	v_add_u32_e32 v12, s7, v12
	v_addc_co_u32_e32 v31, vcc, v1, v31, vcc
	v_accvgpr_write_b32 a24, v32
	v_accvgpr_write_b32 a27, v35
	global_load_dwordx2 v[34:35], v[34:35], off
	v_accvgpr_write_b32 a28, v38
	v_accvgpr_write_b32 a30, v30
	v_ashrrev_i32_e32 v13, 31, v12
	v_accvgpr_write_b32 a25, v33
	v_accvgpr_write_b32 a29, v39
	v_accvgpr_write_b32 a31, v31
	global_load_dwordx2 v[30:31], v[30:31], off
	s_nop 0
	global_load_dwordx2 v[32:33], v[38:39], off
	v_lshlrev_b64 v[38:39], 3, v[12:13]
	v_add_u32_e32 v12, s7, v12
	v_add_co_u32_e32 v40, vcc, s4, v38
	v_ashrrev_i32_e32 v13, 31, v12
	v_addc_co_u32_e32 v41, vcc, v1, v39, vcc
	v_lshlrev_b64 v[38:39], 3, v[12:13]
	v_add_u32_e32 v12, s7, v12
	v_add_co_u32_e32 v46, vcc, s4, v38
	v_ashrrev_i32_e32 v13, 31, v12
	v_addc_co_u32_e32 v47, vcc, v1, v39, vcc
	v_lshlrev_b64 v[38:39], 3, v[12:13]
	v_add_u32_e32 v44, s7, v12
	v_add_co_u32_e32 v38, vcc, s4, v38
	v_ashrrev_i32_e32 v45, 31, v44
	global_load_dwordx2 v[42:43], v[40:41], off
	v_addc_co_u32_e32 v39, vcc, v1, v39, vcc
	v_lshlrev_b64 v[12:13], 3, v[44:45]
	v_accvgpr_write_b32 a32, v40
	v_accvgpr_write_b32 a34, v46
	;; [unrolled: 1-line block ×3, first 2 shown]
	v_add_u32_e32 v44, s7, v44
	v_accvgpr_write_b32 a33, v41
	v_accvgpr_write_b32 a35, v47
	;; [unrolled: 1-line block ×3, first 2 shown]
	global_load_dwordx2 v[38:39], v[38:39], off
	v_add_co_u32_e32 v12, vcc, s4, v12
	global_load_dwordx2 v[40:41], v[46:47], off
	v_add_u32_e32 v46, s7, v44
	v_add_u32_e32 v48, s7, v46
	v_addc_co_u32_e32 v13, vcc, v1, v13, vcc
	v_add_u32_e32 v50, s7, v48
	v_accvgpr_write_b32 a39, v13
	v_add_u32_e32 v52, s7, v50
	v_accvgpr_write_b32 a38, v12
	global_load_dwordx2 v[12:13], v[12:13], off
	v_add_u32_e32 v54, s7, v52
	v_add_u32_e32 v56, s7, v54
	;; [unrolled: 1-line block ×36, first 2 shown]
	v_ashrrev_i32_e32 v89, 31, v88
	v_lshlrev_b64 v[88:89], 3, v[88:89]
	v_add_co_u32_e32 v88, vcc, s4, v88
	v_addc_co_u32_e32 v89, vcc, v1, v89, vcc
	v_accvgpr_write_b32 a40, v88
	v_ashrrev_i32_e32 v45, 31, v44
	v_accvgpr_write_b32 a41, v89
	global_load_dwordx2 v[88:89], v[88:89], off
	s_waitcnt vmcnt(21)
	buffer_store_dword v3, off, s[0:3], 0 offset:4
	buffer_store_dword v2, off, s[0:3], 0
	s_waitcnt vmcnt(22)
	buffer_store_dword v11, off, s[0:3], 0 offset:12
	buffer_store_dword v10, off, s[0:3], 0 offset:8
	s_waitcnt vmcnt(22)
	buffer_store_dword v9, off, s[0:3], 0 offset:20
	buffer_store_dword v8, off, s[0:3], 0 offset:16
	;; [unrolled: 1-line block ×4, first 2 shown]
	s_waitcnt vmcnt(25)
	buffer_store_dword v5, off, s[0:3], 0 offset:36
	buffer_store_dword v4, off, s[0:3], 0 offset:32
	s_waitcnt vmcnt(26)
	buffer_store_dword v21, off, s[0:3], 0 offset:44
	buffer_store_dword v20, off, s[0:3], 0 offset:40
	s_waitcnt vmcnt(27)
	buffer_store_dword v19, off, s[0:3], 0 offset:52
	buffer_store_dword v18, off, s[0:3], 0 offset:48
	s_waitcnt vmcnt(27)
	buffer_store_dword v17, off, s[0:3], 0 offset:60
	buffer_store_dword v16, off, s[0:3], 0 offset:56
	buffer_store_dword v15, off, s[0:3], 0 offset:68
	buffer_store_dword v14, off, s[0:3], 0 offset:64
	s_waitcnt vmcnt(30)
	buffer_store_dword v28, off, s[0:3], 0 offset:72
	buffer_store_dword v29, off, s[0:3], 0 offset:76
	s_waitcnt vmcnt(31)
	;; [unrolled: 3-line block ×3, first 2 shown]
	buffer_store_dword v24, off, s[0:3], 0 offset:88
	buffer_store_dword v25, off, s[0:3], 0 offset:92
	;; [unrolled: 1-line block ×4, first 2 shown]
	s_waitcnt vmcnt(34)
	buffer_store_dword v36, off, s[0:3], 0 offset:104
	buffer_store_dword v37, off, s[0:3], 0 offset:108
	s_waitcnt vmcnt(35)
	buffer_store_dword v35, off, s[0:3], 0 offset:116
	buffer_store_dword v34, off, s[0:3], 0 offset:112
	;; [unrolled: 3-line block ×3, first 2 shown]
	buffer_store_dword v30, off, s[0:3], 0 offset:128
	buffer_store_dword v31, off, s[0:3], 0 offset:132
	s_waitcnt vmcnt(38)
	buffer_store_dword v42, off, s[0:3], 0 offset:136
	buffer_store_dword v43, off, s[0:3], 0 offset:140
	s_waitcnt vmcnt(38)
	buffer_store_dword v40, off, s[0:3], 0 offset:144
	buffer_store_dword v41, off, s[0:3], 0 offset:148
	;; [unrolled: 1-line block ×4, first 2 shown]
	s_waitcnt vmcnt(41)
	buffer_store_dword v13, off, s[0:3], 0 offset:164
	v_lshlrev_b64 v[2:3], 3, v[44:45]
	v_add_co_u32_e32 v4, vcc, s4, v2
	v_ashrrev_i32_e32 v47, 31, v46
	v_addc_co_u32_e32 v5, vcc, v1, v3, vcc
	v_lshlrev_b64 v[2:3], 3, v[46:47]
	v_add_co_u32_e32 v6, vcc, s4, v2
	v_ashrrev_i32_e32 v49, 31, v48
	v_addc_co_u32_e32 v7, vcc, v1, v3, vcc
	v_lshlrev_b64 v[2:3], 3, v[48:49]
	v_add_co_u32_e32 v8, vcc, s4, v2
	v_ashrrev_i32_e32 v51, 31, v50
	v_addc_co_u32_e32 v9, vcc, v1, v3, vcc
	v_lshlrev_b64 v[2:3], 3, v[50:51]
	v_add_co_u32_e32 v10, vcc, s4, v2
	v_addc_co_u32_e32 v11, vcc, v1, v3, vcc
	v_accvgpr_write_b32 a43, v5
	v_accvgpr_write_b32 a45, v7
	v_accvgpr_write_b32 a47, v9
	v_accvgpr_write_b32 a49, v11
	v_ashrrev_i32_e32 v53, 31, v52
	v_accvgpr_write_b32 a42, v4
	global_load_dwordx2 v[2:3], v[4:5], off
	v_accvgpr_write_b32 a44, v6
	global_load_dwordx2 v[4:5], v[6:7], off
	v_accvgpr_write_b32 a46, v8
	global_load_dwordx2 v[6:7], v[8:9], off
	v_accvgpr_write_b32 a48, v10
	global_load_dwordx2 v[8:9], v[10:11], off
	v_lshlrev_b64 v[10:11], 3, v[52:53]
	v_add_co_u32_e32 v14, vcc, s4, v10
	v_ashrrev_i32_e32 v55, 31, v54
	v_addc_co_u32_e32 v15, vcc, v1, v11, vcc
	v_lshlrev_b64 v[10:11], 3, v[54:55]
	v_add_co_u32_e32 v16, vcc, s4, v10
	v_ashrrev_i32_e32 v57, 31, v56
	v_addc_co_u32_e32 v17, vcc, v1, v11, vcc
	v_lshlrev_b64 v[10:11], 3, v[56:57]
	v_add_co_u32_e32 v18, vcc, s4, v10
	v_ashrrev_i32_e32 v59, 31, v58
	v_addc_co_u32_e32 v19, vcc, v1, v11, vcc
	v_lshlrev_b64 v[10:11], 3, v[58:59]
	v_add_co_u32_e32 v20, vcc, s4, v10
	v_addc_co_u32_e32 v21, vcc, v1, v11, vcc
	v_accvgpr_write_b32 a51, v15
	v_accvgpr_write_b32 a53, v17
	v_accvgpr_write_b32 a55, v19
	v_accvgpr_write_b32 a57, v21
	v_ashrrev_i32_e32 v61, 31, v60
	v_accvgpr_write_b32 a50, v14
	global_load_dwordx2 v[10:11], v[14:15], off
	v_accvgpr_write_b32 a52, v16
	global_load_dwordx2 v[14:15], v[16:17], off
	v_accvgpr_write_b32 a54, v18
	global_load_dwordx2 v[16:17], v[18:19], off
	v_accvgpr_write_b32 a56, v20
	global_load_dwordx2 v[18:19], v[20:21], off
	;; [unrolled: 28-line block ×7, first 2 shown]
	v_lshlrev_b64 v[60:61], 3, v[102:103]
	v_add_co_u32_e32 v62, vcc, s4, v60
	v_ashrrev_i32_e32 v105, 31, v104
	v_addc_co_u32_e32 v63, vcc, v1, v61, vcc
	v_lshlrev_b64 v[60:61], 3, v[104:105]
	v_add_co_u32_e32 v64, vcc, s4, v60
	v_ashrrev_i32_e32 v107, 31, v106
	v_addc_co_u32_e32 v65, vcc, v1, v61, vcc
	;; [unrolled: 4-line block ×10, first 2 shown]
	v_lshlrev_b64 v[76:77], 3, v[228:229]
	v_accvgpr_write_b32 a99, v63
	v_accvgpr_write_b32 a101, v65
	;; [unrolled: 1-line block ×3, first 2 shown]
	v_add_co_u32_e32 v228, vcc, s4, v76
	v_accvgpr_write_b32 a98, v62
	global_load_dwordx2 v[60:61], v[62:63], off
	v_accvgpr_write_b32 a100, v64
	global_load_dwordx2 v[62:63], v[64:65], off
	;; [unrolled: 2-line block ×3, first 2 shown]
	s_nop 0
	global_load_dwordx2 v[66:67], v[214:215], off
	global_load_dwordx2 v[68:69], v[216:217], off
	;; [unrolled: 1-line block ×5, first 2 shown]
	v_addc_co_u32_e32 v229, vcc, v1, v77, vcc
	global_load_dwordx2 v[76:77], v[224:225], off
	global_load_dwordx2 v[78:79], v[226:227], off
	;; [unrolled: 1-line block ×3, first 2 shown]
	v_ashrrev_i32_e32 v231, 31, v230
	v_lshlrev_b64 v[82:83], 3, v[230:231]
	v_add_co_u32_e32 v230, vcc, s4, v82
	v_addc_co_u32_e32 v231, vcc, v1, v83, vcc
	global_load_dwordx2 v[82:83], v[230:231], off
	s_mov_b64 s[6:7], -1
	buffer_store_dword v12, off, s[0:3], 0 offset:160
	s_waitcnt vmcnt(40)
	buffer_store_dword v2, off, s[0:3], 0 offset:168
	buffer_store_dword v3, off, s[0:3], 0 offset:172
	s_waitcnt vmcnt(41)
	buffer_store_dword v4, off, s[0:3], 0 offset:176
	;; [unrolled: 3-line block ×24, first 2 shown]
	buffer_store_dword v50, off, s[0:3], 0 offset:352
	buffer_store_dword v52, off, s[0:3], 0 offset:360
	;; [unrolled: 1-line block ×3, first 2 shown]
	s_waitcnt vmcnt(62)
	buffer_store_dword v54, off, s[0:3], 0 offset:368
	buffer_store_dword v55, off, s[0:3], 0 offset:372
	;; [unrolled: 1-line block ×8, first 2 shown]
	s_waitcnt vmcnt(62)
	buffer_store_dword v63, off, s[0:3], 0 offset:404
	buffer_store_dword v62, off, s[0:3], 0 offset:400
	;; [unrolled: 1-line block ×16, first 2 shown]
	s_waitcnt vmcnt(62)
	buffer_store_dword v78, off, s[0:3], 0 offset:464
	buffer_store_dword v79, off, s[0:3], 0 offset:468
	;; [unrolled: 1-line block ×8, first 2 shown]
	s_cbranch_scc1 .LBB125_260
; %bb.4:
	v_cmp_eq_u32_e64 s[4:5], 0, v0
	s_and_saveexec_b64 s[6:7], s[4:5]
	s_cbranch_execz .LBB125_6
; %bb.5:
	v_mov_b32_e32 v1, 0
	ds_write_b32 v1, v1 offset:992
.LBB125_6:
	s_or_b64 exec, exec, s[6:7]
	v_mov_b32_e32 v1, 0
	v_lshl_add_u32 v6, v0, 3, v1
	s_waitcnt lgkmcnt(0)
	; wave barrier
	s_waitcnt lgkmcnt(0)
	buffer_load_dword v1, v6, s[0:3], 0 offen
	buffer_load_dword v2, v6, s[0:3], 0 offen offset:4
	s_waitcnt vmcnt(1)
	v_cmp_eq_f32_e32 vcc, 0, v1
	s_waitcnt vmcnt(0)
	v_cmp_eq_f32_e64 s[6:7], 0, v2
	s_and_b64 s[6:7], vcc, s[6:7]
	s_and_saveexec_b64 s[12:13], s[6:7]
	s_cbranch_execz .LBB125_10
; %bb.7:
	v_mov_b32_e32 v1, 0
	ds_read_b32 v3, v1 offset:992
	v_add_u32_e32 v2, 1, v0
	s_waitcnt lgkmcnt(0)
	v_readfirstlane_b32 s6, v3
	s_cmp_eq_u32 s6, 0
	s_cselect_b64 s[18:19], -1, 0
	v_cmp_gt_i32_e32 vcc, s6, v2
	s_or_b64 s[18:19], s[18:19], vcc
	s_and_b64 exec, exec, s[18:19]
	s_cbranch_execz .LBB125_10
; %bb.8:
	s_mov_b64 s[18:19], 0
	v_mov_b32_e32 v3, s6
.LBB125_9:                              ; =>This Inner Loop Header: Depth=1
	ds_cmpst_rtn_b32 v3, v1, v3, v2 offset:992
	s_waitcnt lgkmcnt(0)
	v_cmp_ne_u32_e32 vcc, 0, v3
	v_cmp_le_i32_e64 s[6:7], v3, v2
	s_and_b64 s[6:7], vcc, s[6:7]
	s_and_b64 s[6:7], exec, s[6:7]
	s_or_b64 s[18:19], s[6:7], s[18:19]
	s_andn2_b64 exec, exec, s[18:19]
	s_cbranch_execnz .LBB125_9
.LBB125_10:
	s_or_b64 exec, exec, s[12:13]
	v_mov_b32_e32 v2, 0
	s_waitcnt lgkmcnt(0)
	; wave barrier
	ds_read_b32 v1, v2 offset:992
	s_and_saveexec_b64 s[6:7], s[4:5]
	s_cbranch_execz .LBB125_12
; %bb.11:
	s_lshl_b64 s[12:13], s[8:9], 2
	s_add_u32 s12, s14, s12
	s_addc_u32 s13, s15, s13
	s_waitcnt lgkmcnt(0)
	global_store_dword v2, v1, s[12:13]
.LBB125_12:
	s_or_b64 exec, exec, s[6:7]
	s_waitcnt lgkmcnt(0)
	v_cmp_ne_u32_e32 vcc, 0, v1
	s_mov_b64 s[6:7], 0
	s_cbranch_vccnz .LBB125_260
; %bb.13:
	buffer_load_dword v7, v6, s[0:3], 0 offen offset:4
	buffer_load_dword v3, v6, s[0:3], 0 offen
	s_waitcnt vmcnt(1)
	v_cmp_gt_f32_e32 vcc, 0, v7
	v_cndmask_b32_e64 v1, v7, -v7, vcc
	s_waitcnt vmcnt(0)
	v_cmp_gt_f32_e32 vcc, 0, v3
	v_cndmask_b32_e64 v2, v3, -v3, vcc
	v_cmp_ngt_f32_e32 vcc, v2, v1
                                        ; implicit-def: $vgpr1
                                        ; implicit-def: $vgpr2
	s_and_saveexec_b64 s[6:7], vcc
	s_xor_b64 s[6:7], exec, s[6:7]
                                        ; implicit-def: $vgpr4_vgpr5
	s_cbranch_execz .LBB125_15
; %bb.14:
	v_div_scale_f32 v1, s[12:13], v7, v7, v3
	v_rcp_f32_e32 v2, v1
	v_div_scale_f32 v4, vcc, v3, v7, v3
	v_fma_f32 v5, -v1, v2, 1.0
	v_fmac_f32_e32 v2, v5, v2
	v_mul_f32_e32 v5, v4, v2
	v_fma_f32 v8, -v1, v5, v4
	v_fmac_f32_e32 v5, v8, v2
	v_fma_f32 v1, -v1, v5, v4
	v_div_fmas_f32 v1, v1, v2, v5
	v_div_fixup_f32 v2, v1, v7, v3
	v_fmac_f32_e32 v7, v3, v2
	v_div_scale_f32 v1, s[12:13], v7, v7, -1.0
	v_rcp_f32_e32 v3, v1
	v_fma_f32 v4, -v1, v3, 1.0
	v_fmac_f32_e32 v3, v4, v3
	v_div_scale_f32 v4, vcc, -1.0, v7, -1.0
	v_mul_f32_e32 v5, v4, v3
	v_fma_f32 v8, -v1, v5, v4
	v_fmac_f32_e32 v5, v8, v3
	v_fma_f32 v1, -v1, v5, v4
	v_div_fmas_f32 v1, v1, v3, v5
	v_div_fixup_f32 v1, v1, v7, -1.0
	v_mul_f32_e32 v2, v2, v1
	v_xor_b32_e32 v4, 0x80000000, v2
                                        ; implicit-def: $vgpr3
                                        ; implicit-def: $vgpr7
.LBB125_15:
	s_andn2_saveexec_b64 s[6:7], s[6:7]
	s_cbranch_execz .LBB125_17
; %bb.16:
	v_div_scale_f32 v1, s[12:13], v3, v3, v7
	v_rcp_f32_e32 v2, v1
	v_div_scale_f32 v4, vcc, v7, v3, v7
	v_fma_f32 v5, -v1, v2, 1.0
	v_fmac_f32_e32 v2, v5, v2
	v_mul_f32_e32 v5, v4, v2
	v_fma_f32 v8, -v1, v5, v4
	v_fmac_f32_e32 v5, v8, v2
	v_fma_f32 v1, -v1, v5, v4
	v_div_fmas_f32 v1, v1, v2, v5
	v_div_fixup_f32 v1, v1, v3, v7
	v_fmac_f32_e32 v3, v7, v1
	v_div_scale_f32 v2, s[12:13], v3, v3, 1.0
	v_rcp_f32_e32 v4, v2
	v_fma_f32 v5, -v2, v4, 1.0
	v_fmac_f32_e32 v4, v5, v4
	v_div_scale_f32 v5, vcc, 1.0, v3, 1.0
	v_mul_f32_e32 v7, v5, v4
	v_fma_f32 v8, -v2, v7, v5
	v_fmac_f32_e32 v7, v8, v4
	v_fma_f32 v2, -v2, v7, v5
	v_div_fmas_f32 v2, v2, v4, v7
	v_div_fixup_f32 v4, v2, v3, 1.0
	v_xor_b32_e32 v2, 0x80000000, v4
	v_mul_f32_e64 v1, v1, -v4
.LBB125_17:
	s_or_b64 exec, exec, s[6:7]
	buffer_store_dword v1, v6, s[0:3], 0 offen offset:4
	buffer_store_dword v4, v6, s[0:3], 0 offen
	buffer_load_dword v5, off, s[0:3], 0 offset:12
	s_nop 0
	buffer_load_dword v4, off, s[0:3], 0 offset:8
	v_xor_b32_e32 v3, 0x80000000, v1
	v_add_u32_e32 v1, 0x1f0, v232
	s_waitcnt vmcnt(0)
	ds_write2_b64 v232, v[2:3], v[4:5] offset1:62
	s_waitcnt lgkmcnt(0)
	; wave barrier
	s_waitcnt lgkmcnt(0)
	s_and_saveexec_b64 s[6:7], s[4:5]
	s_cbranch_execz .LBB125_19
; %bb.18:
	buffer_load_dword v7, v6, s[0:3], 0 offen offset:4
	buffer_load_dword v8, v6, s[0:3], 0 offen
	ds_read_b64 v[2:3], v1
	v_mov_b32_e32 v4, 0
	ds_read_b64 v[4:5], v4 offset:8
	s_waitcnt vmcnt(1) lgkmcnt(1)
	v_mul_f32_e32 v9, v3, v7
	v_mul_f32_e32 v7, v2, v7
	s_waitcnt vmcnt(0)
	v_fmac_f32_e32 v7, v3, v8
	v_fma_f32 v2, v2, v8, -v9
	v_add_f32_e32 v3, 0, v7
	v_add_f32_e32 v2, 0, v2
	s_waitcnt lgkmcnt(0)
	v_mul_f32_e32 v7, v3, v5
	v_mul_f32_e32 v5, v2, v5
	v_fma_f32 v2, v2, v4, -v7
	v_fmac_f32_e32 v5, v3, v4
	buffer_store_dword v2, off, s[0:3], 0 offset:8
	buffer_store_dword v5, off, s[0:3], 0 offset:12
.LBB125_19:
	s_or_b64 exec, exec, s[6:7]
	s_waitcnt lgkmcnt(0)
	; wave barrier
	buffer_load_dword v2, off, s[0:3], 0 offset:16
	buffer_load_dword v3, off, s[0:3], 0 offset:20
	v_cmp_gt_u32_e32 vcc, 2, v0
	s_waitcnt vmcnt(0)
	ds_write_b64 v1, v[2:3]
	s_waitcnt lgkmcnt(0)
	; wave barrier
	s_waitcnt lgkmcnt(0)
	s_and_saveexec_b64 s[6:7], vcc
	s_cbranch_execz .LBB125_23
; %bb.20:
	buffer_load_dword v4, v6, s[0:3], 0 offen offset:4
	buffer_load_dword v5, v6, s[0:3], 0 offen
	ds_read_b64 v[2:3], v1
	s_waitcnt vmcnt(1) lgkmcnt(0)
	v_mul_f32_e32 v6, v3, v4
	v_mul_f32_e32 v4, v2, v4
	s_waitcnt vmcnt(0)
	v_fma_f32 v2, v2, v5, -v6
	v_fmac_f32_e32 v4, v3, v5
	v_add_f32_e32 v3, 0, v2
	v_add_f32_e32 v2, 0, v4
	s_and_saveexec_b64 s[12:13], s[4:5]
	s_cbranch_execz .LBB125_22
; %bb.21:
	buffer_load_dword v6, off, s[0:3], 0 offset:12
	buffer_load_dword v7, off, s[0:3], 0 offset:8
	v_mov_b32_e32 v4, 0
	ds_read_b64 v[4:5], v4 offset:504
	s_waitcnt vmcnt(1) lgkmcnt(0)
	v_mul_f32_e32 v8, v4, v6
	v_mul_f32_e32 v6, v5, v6
	s_waitcnt vmcnt(0)
	v_fmac_f32_e32 v8, v5, v7
	v_fma_f32 v4, v4, v7, -v6
	v_add_f32_e32 v2, v2, v8
	v_add_f32_e32 v3, v3, v4
.LBB125_22:
	s_or_b64 exec, exec, s[12:13]
	v_mov_b32_e32 v4, 0
	ds_read_b64 v[4:5], v4 offset:16
	s_waitcnt lgkmcnt(0)
	v_mul_f32_e32 v6, v2, v5
	v_mul_f32_e32 v5, v3, v5
	v_fma_f32 v3, v3, v4, -v6
	v_fmac_f32_e32 v5, v2, v4
	buffer_store_dword v3, off, s[0:3], 0 offset:16
	buffer_store_dword v5, off, s[0:3], 0 offset:20
.LBB125_23:
	s_or_b64 exec, exec, s[6:7]
	s_waitcnt lgkmcnt(0)
	; wave barrier
	buffer_load_dword v2, off, s[0:3], 0 offset:24
	buffer_load_dword v3, off, s[0:3], 0 offset:28
	v_cmp_gt_u32_e32 vcc, 3, v0
	s_waitcnt vmcnt(0)
	ds_write_b64 v1, v[2:3]
	v_add_u32_e32 v2, -1, v0
	s_waitcnt lgkmcnt(0)
	; wave barrier
	s_waitcnt lgkmcnt(0)
	s_and_saveexec_b64 s[4:5], vcc
	s_cbranch_execz .LBB125_27
; %bb.24:
	v_add_u32_e32 v4, -1, v0
	v_add_u32_e32 v5, 0x1f0, v232
	v_add_u32_e32 v6, 0, v232
	s_mov_b64 s[6:7], 0
	v_mov_b32_e32 v3, 0
	v_mov_b32_e32 v7, 0
.LBB125_25:                             ; =>This Inner Loop Header: Depth=1
	buffer_load_dword v10, v6, s[0:3], 0 offen offset:4
	buffer_load_dword v11, v6, s[0:3], 0 offen
	ds_read_b64 v[8:9], v5
	v_add_u32_e32 v4, 1, v4
	v_cmp_lt_u32_e32 vcc, 1, v4
	v_add_u32_e32 v5, 8, v5
	v_add_u32_e32 v6, 8, v6
	s_or_b64 s[6:7], vcc, s[6:7]
	s_waitcnt vmcnt(1) lgkmcnt(0)
	v_mul_f32_e32 v12, v9, v10
	v_mul_f32_e32 v10, v8, v10
	s_waitcnt vmcnt(0)
	v_fma_f32 v8, v8, v11, -v12
	v_fmac_f32_e32 v10, v9, v11
	v_add_f32_e32 v7, v7, v8
	v_add_f32_e32 v3, v3, v10
	s_andn2_b64 exec, exec, s[6:7]
	s_cbranch_execnz .LBB125_25
; %bb.26:
	s_or_b64 exec, exec, s[6:7]
	v_mov_b32_e32 v4, 0
	ds_read_b64 v[4:5], v4 offset:24
	s_waitcnt lgkmcnt(0)
	v_mul_f32_e32 v6, v3, v5
	v_mul_f32_e32 v5, v7, v5
	v_fma_f32 v6, v7, v4, -v6
	v_fmac_f32_e32 v5, v3, v4
	buffer_store_dword v6, off, s[0:3], 0 offset:24
	buffer_store_dword v5, off, s[0:3], 0 offset:28
.LBB125_27:
	s_or_b64 exec, exec, s[4:5]
	s_waitcnt lgkmcnt(0)
	; wave barrier
	buffer_load_dword v4, off, s[0:3], 0 offset:32
	buffer_load_dword v5, off, s[0:3], 0 offset:36
	v_cmp_gt_u32_e32 vcc, 4, v0
	s_waitcnt vmcnt(0)
	ds_write_b64 v1, v[4:5]
	s_waitcnt lgkmcnt(0)
	; wave barrier
	s_waitcnt lgkmcnt(0)
	s_and_saveexec_b64 s[4:5], vcc
	s_cbranch_execz .LBB125_31
; %bb.28:
	v_add_u32_e32 v4, -1, v0
	v_add_u32_e32 v5, 0x1f0, v232
	v_add_u32_e32 v6, 0, v232
	s_mov_b64 s[6:7], 0
	v_mov_b32_e32 v3, 0
	v_mov_b32_e32 v7, 0
.LBB125_29:                             ; =>This Inner Loop Header: Depth=1
	buffer_load_dword v10, v6, s[0:3], 0 offen offset:4
	buffer_load_dword v11, v6, s[0:3], 0 offen
	ds_read_b64 v[8:9], v5
	v_add_u32_e32 v4, 1, v4
	v_cmp_lt_u32_e32 vcc, 2, v4
	v_add_u32_e32 v5, 8, v5
	v_add_u32_e32 v6, 8, v6
	s_or_b64 s[6:7], vcc, s[6:7]
	s_waitcnt vmcnt(1) lgkmcnt(0)
	v_mul_f32_e32 v12, v9, v10
	v_mul_f32_e32 v10, v8, v10
	s_waitcnt vmcnt(0)
	v_fma_f32 v8, v8, v11, -v12
	v_fmac_f32_e32 v10, v9, v11
	v_add_f32_e32 v7, v7, v8
	v_add_f32_e32 v3, v3, v10
	s_andn2_b64 exec, exec, s[6:7]
	s_cbranch_execnz .LBB125_29
; %bb.30:
	s_or_b64 exec, exec, s[6:7]
	v_mov_b32_e32 v4, 0
	ds_read_b64 v[4:5], v4 offset:32
	s_waitcnt lgkmcnt(0)
	v_mul_f32_e32 v6, v3, v5
	v_mul_f32_e32 v5, v7, v5
	v_fma_f32 v6, v7, v4, -v6
	v_fmac_f32_e32 v5, v3, v4
	buffer_store_dword v6, off, s[0:3], 0 offset:32
	buffer_store_dword v5, off, s[0:3], 0 offset:36
.LBB125_31:
	s_or_b64 exec, exec, s[4:5]
	s_waitcnt lgkmcnt(0)
	; wave barrier
	buffer_load_dword v4, off, s[0:3], 0 offset:40
	buffer_load_dword v5, off, s[0:3], 0 offset:44
	v_cmp_gt_u32_e32 vcc, 5, v0
	s_waitcnt vmcnt(0)
	ds_write_b64 v1, v[4:5]
	;; [unrolled: 51-line block ×19, first 2 shown]
	s_waitcnt lgkmcnt(0)
	; wave barrier
	s_waitcnt lgkmcnt(0)
	s_and_saveexec_b64 s[4:5], vcc
	s_cbranch_execz .LBB125_103
; %bb.100:
	v_add_u32_e32 v4, -1, v0
	v_add_u32_e32 v5, 0x1f0, v232
	v_add_u32_e32 v6, 0, v232
	s_mov_b64 s[6:7], 0
	v_mov_b32_e32 v3, 0
	v_mov_b32_e32 v7, 0
.LBB125_101:                            ; =>This Inner Loop Header: Depth=1
	buffer_load_dword v10, v6, s[0:3], 0 offen offset:4
	buffer_load_dword v11, v6, s[0:3], 0 offen
	ds_read_b64 v[8:9], v5
	v_add_u32_e32 v4, 1, v4
	v_cmp_lt_u32_e32 vcc, 20, v4
	v_add_u32_e32 v5, 8, v5
	v_add_u32_e32 v6, 8, v6
	s_or_b64 s[6:7], vcc, s[6:7]
	s_waitcnt vmcnt(1) lgkmcnt(0)
	v_mul_f32_e32 v12, v9, v10
	v_mul_f32_e32 v10, v8, v10
	s_waitcnt vmcnt(0)
	v_fma_f32 v8, v8, v11, -v12
	v_fmac_f32_e32 v10, v9, v11
	v_add_f32_e32 v7, v7, v8
	v_add_f32_e32 v3, v3, v10
	s_andn2_b64 exec, exec, s[6:7]
	s_cbranch_execnz .LBB125_101
; %bb.102:
	s_or_b64 exec, exec, s[6:7]
	v_mov_b32_e32 v4, 0
	ds_read_b64 v[4:5], v4 offset:176
	s_waitcnt lgkmcnt(0)
	v_mul_f32_e32 v6, v3, v5
	v_mul_f32_e32 v5, v7, v5
	v_fma_f32 v6, v7, v4, -v6
	v_fmac_f32_e32 v5, v3, v4
	buffer_store_dword v6, off, s[0:3], 0 offset:176
	buffer_store_dword v5, off, s[0:3], 0 offset:180
.LBB125_103:
	s_or_b64 exec, exec, s[4:5]
	s_waitcnt lgkmcnt(0)
	; wave barrier
	buffer_load_dword v4, off, s[0:3], 0 offset:184
	buffer_load_dword v5, off, s[0:3], 0 offset:188
	v_cmp_gt_u32_e32 vcc, 23, v0
	s_waitcnt vmcnt(0)
	ds_write_b64 v1, v[4:5]
	s_waitcnt lgkmcnt(0)
	; wave barrier
	s_waitcnt lgkmcnt(0)
	s_and_saveexec_b64 s[4:5], vcc
	s_cbranch_execz .LBB125_107
; %bb.104:
	v_add_u32_e32 v4, -1, v0
	v_add_u32_e32 v5, 0x1f0, v232
	v_add_u32_e32 v6, 0, v232
	s_mov_b64 s[6:7], 0
	v_mov_b32_e32 v3, 0
	v_mov_b32_e32 v7, 0
.LBB125_105:                            ; =>This Inner Loop Header: Depth=1
	buffer_load_dword v10, v6, s[0:3], 0 offen offset:4
	buffer_load_dword v11, v6, s[0:3], 0 offen
	ds_read_b64 v[8:9], v5
	v_add_u32_e32 v4, 1, v4
	v_cmp_lt_u32_e32 vcc, 21, v4
	v_add_u32_e32 v5, 8, v5
	v_add_u32_e32 v6, 8, v6
	s_or_b64 s[6:7], vcc, s[6:7]
	s_waitcnt vmcnt(1) lgkmcnt(0)
	v_mul_f32_e32 v12, v9, v10
	v_mul_f32_e32 v10, v8, v10
	s_waitcnt vmcnt(0)
	v_fma_f32 v8, v8, v11, -v12
	v_fmac_f32_e32 v10, v9, v11
	v_add_f32_e32 v7, v7, v8
	v_add_f32_e32 v3, v3, v10
	s_andn2_b64 exec, exec, s[6:7]
	s_cbranch_execnz .LBB125_105
; %bb.106:
	s_or_b64 exec, exec, s[6:7]
	v_mov_b32_e32 v4, 0
	ds_read_b64 v[4:5], v4 offset:184
	s_waitcnt lgkmcnt(0)
	v_mul_f32_e32 v6, v3, v5
	v_mul_f32_e32 v5, v7, v5
	v_fma_f32 v6, v7, v4, -v6
	v_fmac_f32_e32 v5, v3, v4
	buffer_store_dword v6, off, s[0:3], 0 offset:184
	buffer_store_dword v5, off, s[0:3], 0 offset:188
.LBB125_107:
	s_or_b64 exec, exec, s[4:5]
	s_waitcnt lgkmcnt(0)
	; wave barrier
	buffer_load_dword v4, off, s[0:3], 0 offset:192
	buffer_load_dword v5, off, s[0:3], 0 offset:196
	v_cmp_gt_u32_e32 vcc, 24, v0
	s_waitcnt vmcnt(0)
	ds_write_b64 v1, v[4:5]
	;; [unrolled: 51-line block ×38, first 2 shown]
	s_waitcnt lgkmcnt(0)
	; wave barrier
	s_waitcnt lgkmcnt(0)
	s_and_saveexec_b64 s[4:5], vcc
	s_cbranch_execz .LBB125_255
; %bb.252:
	v_add_u32_e32 v4, -1, v0
	v_add_u32_e32 v5, 0x1f0, v232
	v_add_u32_e32 v6, 0, v232
	s_mov_b64 s[6:7], 0
	v_mov_b32_e32 v3, 0
	v_mov_b32_e32 v7, 0
.LBB125_253:                            ; =>This Inner Loop Header: Depth=1
	buffer_load_dword v10, v6, s[0:3], 0 offen offset:4
	buffer_load_dword v11, v6, s[0:3], 0 offen
	ds_read_b64 v[8:9], v5
	v_add_u32_e32 v4, 1, v4
	v_cmp_lt_u32_e32 vcc, 58, v4
	v_add_u32_e32 v5, 8, v5
	v_add_u32_e32 v6, 8, v6
	s_or_b64 s[6:7], vcc, s[6:7]
	s_waitcnt vmcnt(1) lgkmcnt(0)
	v_mul_f32_e32 v12, v9, v10
	v_mul_f32_e32 v10, v8, v10
	s_waitcnt vmcnt(0)
	v_fma_f32 v8, v8, v11, -v12
	v_fmac_f32_e32 v10, v9, v11
	v_add_f32_e32 v7, v7, v8
	v_add_f32_e32 v3, v3, v10
	s_andn2_b64 exec, exec, s[6:7]
	s_cbranch_execnz .LBB125_253
; %bb.254:
	s_or_b64 exec, exec, s[6:7]
	v_mov_b32_e32 v4, 0
	ds_read_b64 v[4:5], v4 offset:480
	s_waitcnt lgkmcnt(0)
	v_mul_f32_e32 v6, v3, v5
	v_mul_f32_e32 v5, v7, v5
	v_fma_f32 v6, v7, v4, -v6
	v_fmac_f32_e32 v5, v3, v4
	buffer_store_dword v6, off, s[0:3], 0 offset:480
	buffer_store_dword v5, off, s[0:3], 0 offset:484
.LBB125_255:
	s_or_b64 exec, exec, s[4:5]
	s_waitcnt lgkmcnt(0)
	; wave barrier
	buffer_load_dword v4, off, s[0:3], 0 offset:488
	buffer_load_dword v5, off, s[0:3], 0 offset:492
	v_cmp_ne_u32_e32 vcc, 61, v0
	s_waitcnt vmcnt(0)
	ds_write_b64 v1, v[4:5]
	s_waitcnt lgkmcnt(0)
	; wave barrier
	s_waitcnt lgkmcnt(0)
	s_and_saveexec_b64 s[4:5], vcc
	s_cbranch_execz .LBB125_259
; %bb.256:
	v_add_u32_e32 v3, 0x1f0, v232
	v_add_u32_e32 v4, 0, v232
	s_mov_b64 s[6:7], 0
	v_mov_b32_e32 v1, 0
	v_mov_b32_e32 v5, 0
.LBB125_257:                            ; =>This Inner Loop Header: Depth=1
	buffer_load_dword v8, v4, s[0:3], 0 offen offset:4
	buffer_load_dword v9, v4, s[0:3], 0 offen
	ds_read_b64 v[6:7], v3
	v_add_u32_e32 v2, 1, v2
	v_cmp_lt_u32_e32 vcc, 59, v2
	v_add_u32_e32 v3, 8, v3
	v_add_u32_e32 v4, 8, v4
	s_or_b64 s[6:7], vcc, s[6:7]
	s_waitcnt vmcnt(1) lgkmcnt(0)
	v_mul_f32_e32 v10, v7, v8
	v_mul_f32_e32 v8, v6, v8
	s_waitcnt vmcnt(0)
	v_fma_f32 v6, v6, v9, -v10
	v_fmac_f32_e32 v8, v7, v9
	v_add_f32_e32 v5, v5, v6
	v_add_f32_e32 v1, v1, v8
	s_andn2_b64 exec, exec, s[6:7]
	s_cbranch_execnz .LBB125_257
; %bb.258:
	s_or_b64 exec, exec, s[6:7]
	v_mov_b32_e32 v2, 0
	ds_read_b64 v[2:3], v2 offset:488
	s_waitcnt lgkmcnt(0)
	v_mul_f32_e32 v4, v1, v3
	v_mul_f32_e32 v3, v5, v3
	v_fma_f32 v4, v5, v2, -v4
	v_fmac_f32_e32 v3, v1, v2
	buffer_store_dword v4, off, s[0:3], 0 offset:488
	buffer_store_dword v3, off, s[0:3], 0 offset:492
.LBB125_259:
	s_or_b64 exec, exec, s[4:5]
	s_mov_b64 s[6:7], -1
	s_waitcnt lgkmcnt(0)
	; wave barrier
.LBB125_260:
	s_and_b64 vcc, exec, s[6:7]
	s_cbranch_vccz .LBB125_262
; %bb.261:
	s_lshl_b64 s[4:5], s[8:9], 2
	s_add_u32 s4, s14, s4
	s_addc_u32 s5, s15, s5
	v_mov_b32_e32 v1, 0
	global_load_dword v1, v1, s[4:5]
	s_waitcnt vmcnt(0)
	v_cmp_ne_u32_e32 vcc, 0, v1
	s_cbranch_vccz .LBB125_263
.LBB125_262:
	s_endpgm
.LBB125_263:
	v_mov_b32_e32 v1, 0x1f0
	v_lshl_add_u32 v210, v0, 3, v1
	v_cmp_eq_u32_e32 vcc, 61, v0
	s_and_saveexec_b64 s[4:5], vcc
	s_cbranch_execz .LBB125_265
; %bb.264:
	buffer_load_dword v2, off, s[0:3], 0 offset:480
	buffer_load_dword v3, off, s[0:3], 0 offset:484
	v_mov_b32_e32 v4, 0
	buffer_store_dword v4, off, s[0:3], 0 offset:480
	buffer_store_dword v4, off, s[0:3], 0 offset:484
	s_waitcnt vmcnt(2)
	ds_write_b64 v210, v[2:3]
.LBB125_265:
	s_or_b64 exec, exec, s[4:5]
	s_waitcnt lgkmcnt(0)
	; wave barrier
	s_waitcnt lgkmcnt(0)
	buffer_load_dword v5, off, s[0:3], 0 offset:492
	buffer_load_dword v4, off, s[0:3], 0 offset:488
	;; [unrolled: 1-line block ×4, first 2 shown]
	v_mov_b32_e32 v2, 0
	ds_read_b64 v[8:9], v2 offset:984
	v_cmp_lt_u32_e32 vcc, 59, v0
	s_waitcnt vmcnt(3)
	v_mov_b32_e32 v10, v5
	s_waitcnt lgkmcnt(0)
	v_pk_mul_f32 v[10:11], v[8:9], v[10:11] op_sel_hi:[1,0]
	s_waitcnt vmcnt(2)
	v_pk_fma_f32 v[12:13], v[8:9], v[4:5], v[10:11] op_sel:[0,0,1] op_sel_hi:[1,1,0] neg_lo:[0,0,1] neg_hi:[0,0,1]
	v_pk_fma_f32 v[4:5], v[8:9], v[4:5], v[10:11] op_sel:[0,0,1] op_sel_hi:[1,0,0]
	v_mov_b32_e32 v13, v5
	v_pk_add_f32 v[4:5], v[12:13], 0 op_sel_hi:[1,0]
	s_waitcnt vmcnt(0)
	v_pk_add_f32 v[4:5], v[6:7], v[4:5] neg_lo:[0,1] neg_hi:[0,1]
	buffer_store_dword v4, off, s[0:3], 0 offset:480
	buffer_store_dword v5, off, s[0:3], 0 offset:484
	s_and_saveexec_b64 s[4:5], vcc
	s_cbranch_execz .LBB125_267
; %bb.266:
	buffer_load_dword v4, off, s[0:3], 0 offset:472
	buffer_load_dword v5, off, s[0:3], 0 offset:476
	s_waitcnt vmcnt(0)
	ds_write_b64 v210, v[4:5]
	buffer_store_dword v2, off, s[0:3], 0 offset:472
	buffer_store_dword v2, off, s[0:3], 0 offset:476
.LBB125_267:
	s_or_b64 exec, exec, s[4:5]
	s_waitcnt lgkmcnt(0)
	; wave barrier
	s_waitcnt lgkmcnt(0)
	buffer_load_dword v7, off, s[0:3], 0 offset:484
	buffer_load_dword v9, off, s[0:3], 0 offset:492
	;; [unrolled: 1-line block ×6, first 2 shown]
	ds_read_b128 v[2:5], v2 offset:976
	v_cmp_lt_u32_e32 vcc, 58, v0
	s_waitcnt vmcnt(5)
	v_mov_b32_e32 v12, v7
	s_waitcnt vmcnt(4)
	v_mov_b32_e32 v14, v9
	s_waitcnt lgkmcnt(0)
	v_pk_mul_f32 v[12:13], v[2:3], v[12:13] op_sel_hi:[1,0]
	v_pk_mul_f32 v[14:15], v[4:5], v[14:15] op_sel_hi:[1,0]
	s_waitcnt vmcnt(3)
	v_pk_fma_f32 v[16:17], v[2:3], v[6:7], v[12:13] op_sel:[0,0,1] op_sel_hi:[1,1,0] neg_lo:[0,0,1] neg_hi:[0,0,1]
	v_pk_fma_f32 v[2:3], v[2:3], v[6:7], v[12:13] op_sel:[0,0,1] op_sel_hi:[1,0,0]
	s_waitcnt vmcnt(2)
	v_pk_fma_f32 v[6:7], v[4:5], v[8:9], v[14:15] op_sel:[0,0,1] op_sel_hi:[1,1,0] neg_lo:[0,0,1] neg_hi:[0,0,1]
	v_pk_fma_f32 v[4:5], v[4:5], v[8:9], v[14:15] op_sel:[0,0,1] op_sel_hi:[1,0,0]
	v_mov_b32_e32 v17, v3
	v_mov_b32_e32 v7, v5
	v_pk_add_f32 v[2:3], v[16:17], 0 op_sel_hi:[1,0]
	v_pk_add_f32 v[2:3], v[2:3], v[6:7]
	s_waitcnt vmcnt(0)
	v_pk_add_f32 v[2:3], v[10:11], v[2:3] neg_lo:[0,1] neg_hi:[0,1]
	buffer_store_dword v2, off, s[0:3], 0 offset:472
	buffer_store_dword v3, off, s[0:3], 0 offset:476
	s_and_saveexec_b64 s[4:5], vcc
	s_cbranch_execz .LBB125_269
; %bb.268:
	buffer_load_dword v2, off, s[0:3], 0 offset:464
	buffer_load_dword v3, off, s[0:3], 0 offset:468
	v_mov_b32_e32 v4, 0
	buffer_store_dword v4, off, s[0:3], 0 offset:464
	buffer_store_dword v4, off, s[0:3], 0 offset:468
	s_waitcnt vmcnt(2)
	ds_write_b64 v210, v[2:3]
.LBB125_269:
	s_or_b64 exec, exec, s[4:5]
	s_waitcnt lgkmcnt(0)
	; wave barrier
	s_waitcnt lgkmcnt(0)
	buffer_load_dword v9, off, s[0:3], 0 offset:476
	buffer_load_dword v11, off, s[0:3], 0 offset:484
	;; [unrolled: 1-line block ×8, first 2 shown]
	v_mov_b32_e32 v2, 0
	ds_read2_b64 v[4:7], v2 offset0:121 offset1:122
	ds_read_b64 v[16:17], v2 offset:984
	v_cmp_lt_u32_e32 vcc, 57, v0
	s_waitcnt vmcnt(7)
	v_mov_b32_e32 v18, v9
	s_waitcnt vmcnt(6)
	v_mov_b32_e32 v20, v11
	s_waitcnt lgkmcnt(1)
	v_pk_mul_f32 v[18:19], v[4:5], v[18:19] op_sel_hi:[1,0]
	s_waitcnt vmcnt(5)
	v_mov_b32_e32 v22, v13
	v_pk_mul_f32 v[20:21], v[6:7], v[20:21] op_sel_hi:[1,0]
	s_waitcnt vmcnt(4)
	v_pk_fma_f32 v[24:25], v[4:5], v[8:9], v[18:19] op_sel:[0,0,1] op_sel_hi:[1,1,0] neg_lo:[0,0,1] neg_hi:[0,0,1]
	v_pk_fma_f32 v[4:5], v[4:5], v[8:9], v[18:19] op_sel:[0,0,1] op_sel_hi:[1,0,0]
	s_waitcnt lgkmcnt(0)
	v_pk_mul_f32 v[22:23], v[16:17], v[22:23] op_sel_hi:[1,0]
	s_waitcnt vmcnt(3)
	v_pk_fma_f32 v[8:9], v[6:7], v[10:11], v[20:21] op_sel:[0,0,1] op_sel_hi:[1,1,0] neg_lo:[0,0,1] neg_hi:[0,0,1]
	v_pk_fma_f32 v[6:7], v[6:7], v[10:11], v[20:21] op_sel:[0,0,1] op_sel_hi:[1,0,0]
	v_mov_b32_e32 v25, v5
	s_waitcnt vmcnt(2)
	v_pk_fma_f32 v[10:11], v[16:17], v[12:13], v[22:23] op_sel:[0,0,1] op_sel_hi:[1,1,0] neg_lo:[0,0,1] neg_hi:[0,0,1]
	v_pk_fma_f32 v[12:13], v[16:17], v[12:13], v[22:23] op_sel:[0,0,1] op_sel_hi:[1,0,0]
	v_mov_b32_e32 v9, v7
	v_pk_add_f32 v[4:5], v[24:25], 0 op_sel_hi:[1,0]
	v_mov_b32_e32 v11, v13
	v_pk_add_f32 v[4:5], v[4:5], v[8:9]
	v_pk_add_f32 v[4:5], v[4:5], v[10:11]
	s_waitcnt vmcnt(0)
	v_pk_add_f32 v[4:5], v[14:15], v[4:5] neg_lo:[0,1] neg_hi:[0,1]
	buffer_store_dword v4, off, s[0:3], 0 offset:464
	buffer_store_dword v5, off, s[0:3], 0 offset:468
	s_and_saveexec_b64 s[4:5], vcc
	s_cbranch_execz .LBB125_271
; %bb.270:
	buffer_load_dword v4, off, s[0:3], 0 offset:456
	buffer_load_dword v5, off, s[0:3], 0 offset:460
	s_waitcnt vmcnt(0)
	ds_write_b64 v210, v[4:5]
	buffer_store_dword v2, off, s[0:3], 0 offset:456
	buffer_store_dword v2, off, s[0:3], 0 offset:460
.LBB125_271:
	s_or_b64 exec, exec, s[4:5]
	s_waitcnt lgkmcnt(0)
	; wave barrier
	s_waitcnt lgkmcnt(0)
	buffer_load_dword v13, off, s[0:3], 0 offset:468
	buffer_load_dword v15, off, s[0:3], 0 offset:476
	;; [unrolled: 1-line block ×10, first 2 shown]
	ds_read_b128 v[4:7], v2 offset:960
	ds_read_b128 v[8:11], v2 offset:976
	v_cmp_lt_u32_e32 vcc, 56, v0
	s_waitcnt vmcnt(9)
	v_mov_b32_e32 v2, v13
	s_waitcnt vmcnt(8)
	v_mov_b32_e32 v22, v15
	s_waitcnt lgkmcnt(1)
	v_pk_mul_f32 v[2:3], v[4:5], v[2:3] op_sel_hi:[1,0]
	s_waitcnt vmcnt(7)
	v_mov_b32_e32 v24, v17
	v_pk_mul_f32 v[22:23], v[6:7], v[22:23] op_sel_hi:[1,0]
	s_waitcnt vmcnt(5)
	v_pk_fma_f32 v[28:29], v[4:5], v[12:13], v[2:3] op_sel:[0,0,1] op_sel_hi:[1,1,0] neg_lo:[0,0,1] neg_hi:[0,0,1]
	v_pk_fma_f32 v[2:3], v[4:5], v[12:13], v[2:3] op_sel:[0,0,1] op_sel_hi:[1,0,0]
	v_mov_b32_e32 v26, v19
	s_waitcnt lgkmcnt(0)
	v_pk_mul_f32 v[24:25], v[8:9], v[24:25] op_sel_hi:[1,0]
	s_waitcnt vmcnt(4)
	v_pk_fma_f32 v[4:5], v[6:7], v[14:15], v[22:23] op_sel:[0,0,1] op_sel_hi:[1,1,0] neg_lo:[0,0,1] neg_hi:[0,0,1]
	v_pk_fma_f32 v[6:7], v[6:7], v[14:15], v[22:23] op_sel:[0,0,1] op_sel_hi:[1,0,0]
	v_mov_b32_e32 v29, v3
	v_pk_mul_f32 v[26:27], v[10:11], v[26:27] op_sel_hi:[1,0]
	s_waitcnt vmcnt(3)
	v_pk_fma_f32 v[12:13], v[8:9], v[16:17], v[24:25] op_sel:[0,0,1] op_sel_hi:[1,1,0] neg_lo:[0,0,1] neg_hi:[0,0,1]
	v_pk_fma_f32 v[8:9], v[8:9], v[16:17], v[24:25] op_sel:[0,0,1] op_sel_hi:[1,0,0]
	v_mov_b32_e32 v5, v7
	v_pk_add_f32 v[2:3], v[28:29], 0 op_sel_hi:[1,0]
	s_waitcnt vmcnt(2)
	v_pk_fma_f32 v[14:15], v[10:11], v[18:19], v[26:27] op_sel:[0,0,1] op_sel_hi:[1,1,0] neg_lo:[0,0,1] neg_hi:[0,0,1]
	v_pk_fma_f32 v[10:11], v[10:11], v[18:19], v[26:27] op_sel:[0,0,1] op_sel_hi:[1,0,0]
	v_mov_b32_e32 v13, v9
	v_pk_add_f32 v[2:3], v[2:3], v[4:5]
	v_mov_b32_e32 v15, v11
	v_pk_add_f32 v[2:3], v[2:3], v[12:13]
	v_pk_add_f32 v[2:3], v[2:3], v[14:15]
	s_waitcnt vmcnt(0)
	v_pk_add_f32 v[2:3], v[20:21], v[2:3] neg_lo:[0,1] neg_hi:[0,1]
	buffer_store_dword v2, off, s[0:3], 0 offset:456
	buffer_store_dword v3, off, s[0:3], 0 offset:460
	s_and_saveexec_b64 s[4:5], vcc
	s_cbranch_execz .LBB125_273
; %bb.272:
	buffer_load_dword v2, off, s[0:3], 0 offset:448
	buffer_load_dword v3, off, s[0:3], 0 offset:452
	v_mov_b32_e32 v4, 0
	buffer_store_dword v4, off, s[0:3], 0 offset:448
	buffer_store_dword v4, off, s[0:3], 0 offset:452
	s_waitcnt vmcnt(2)
	ds_write_b64 v210, v[2:3]
.LBB125_273:
	s_or_b64 exec, exec, s[4:5]
	s_waitcnt lgkmcnt(0)
	; wave barrier
	s_waitcnt lgkmcnt(0)
	buffer_load_dword v13, off, s[0:3], 0 offset:460
	buffer_load_dword v15, off, s[0:3], 0 offset:468
	;; [unrolled: 1-line block ×12, first 2 shown]
	v_mov_b32_e32 v2, 0
	ds_read2_b64 v[4:7], v2 offset0:119 offset1:120
	ds_read2_b64 v[8:11], v2 offset0:121 offset1:122
	ds_read_b64 v[24:25], v2 offset:984
	v_cmp_lt_u32_e32 vcc, 55, v0
	s_waitcnt vmcnt(11)
	v_mov_b32_e32 v26, v13
	s_waitcnt vmcnt(10)
	v_mov_b32_e32 v28, v15
	s_waitcnt lgkmcnt(2)
	v_pk_mul_f32 v[26:27], v[4:5], v[26:27] op_sel_hi:[1,0]
	s_waitcnt vmcnt(9)
	v_mov_b32_e32 v30, v17
	v_pk_mul_f32 v[28:29], v[6:7], v[28:29] op_sel_hi:[1,0]
	s_waitcnt vmcnt(6)
	v_pk_fma_f32 v[36:37], v[4:5], v[12:13], v[26:27] op_sel:[0,0,1] op_sel_hi:[1,1,0] neg_lo:[0,0,1] neg_hi:[0,0,1]
	v_pk_fma_f32 v[4:5], v[4:5], v[12:13], v[26:27] op_sel:[0,0,1] op_sel_hi:[1,0,0]
	v_mov_b32_e32 v32, v19
	s_waitcnt lgkmcnt(1)
	v_pk_mul_f32 v[30:31], v[8:9], v[30:31] op_sel_hi:[1,0]
	s_waitcnt vmcnt(5)
	v_pk_fma_f32 v[12:13], v[6:7], v[14:15], v[28:29] op_sel:[0,0,1] op_sel_hi:[1,1,0] neg_lo:[0,0,1] neg_hi:[0,0,1]
	v_pk_fma_f32 v[6:7], v[6:7], v[14:15], v[28:29] op_sel:[0,0,1] op_sel_hi:[1,0,0]
	v_mov_b32_e32 v37, v5
	v_mov_b32_e32 v34, v21
	v_pk_mul_f32 v[32:33], v[10:11], v[32:33] op_sel_hi:[1,0]
	s_waitcnt vmcnt(4)
	v_pk_fma_f32 v[14:15], v[8:9], v[16:17], v[30:31] op_sel:[0,0,1] op_sel_hi:[1,1,0] neg_lo:[0,0,1] neg_hi:[0,0,1]
	v_pk_fma_f32 v[8:9], v[8:9], v[16:17], v[30:31] op_sel:[0,0,1] op_sel_hi:[1,0,0]
	v_mov_b32_e32 v13, v7
	v_pk_add_f32 v[4:5], v[36:37], 0 op_sel_hi:[1,0]
	s_waitcnt lgkmcnt(0)
	v_pk_mul_f32 v[34:35], v[24:25], v[34:35] op_sel_hi:[1,0]
	s_waitcnt vmcnt(3)
	v_pk_fma_f32 v[16:17], v[10:11], v[18:19], v[32:33] op_sel:[0,0,1] op_sel_hi:[1,1,0] neg_lo:[0,0,1] neg_hi:[0,0,1]
	v_pk_fma_f32 v[10:11], v[10:11], v[18:19], v[32:33] op_sel:[0,0,1] op_sel_hi:[1,0,0]
	v_mov_b32_e32 v15, v9
	v_pk_add_f32 v[4:5], v[4:5], v[12:13]
	s_waitcnt vmcnt(2)
	v_pk_fma_f32 v[18:19], v[24:25], v[20:21], v[34:35] op_sel:[0,0,1] op_sel_hi:[1,1,0] neg_lo:[0,0,1] neg_hi:[0,0,1]
	v_pk_fma_f32 v[20:21], v[24:25], v[20:21], v[34:35] op_sel:[0,0,1] op_sel_hi:[1,0,0]
	v_mov_b32_e32 v17, v11
	v_pk_add_f32 v[4:5], v[4:5], v[14:15]
	v_mov_b32_e32 v19, v21
	v_pk_add_f32 v[4:5], v[4:5], v[16:17]
	v_pk_add_f32 v[4:5], v[4:5], v[18:19]
	s_waitcnt vmcnt(0)
	v_pk_add_f32 v[4:5], v[22:23], v[4:5] neg_lo:[0,1] neg_hi:[0,1]
	buffer_store_dword v4, off, s[0:3], 0 offset:448
	buffer_store_dword v5, off, s[0:3], 0 offset:452
	s_and_saveexec_b64 s[4:5], vcc
	s_cbranch_execz .LBB125_275
; %bb.274:
	buffer_load_dword v4, off, s[0:3], 0 offset:440
	buffer_load_dword v5, off, s[0:3], 0 offset:444
	s_waitcnt vmcnt(0)
	ds_write_b64 v210, v[4:5]
	buffer_store_dword v2, off, s[0:3], 0 offset:440
	buffer_store_dword v2, off, s[0:3], 0 offset:444
.LBB125_275:
	s_or_b64 exec, exec, s[4:5]
	s_waitcnt lgkmcnt(0)
	; wave barrier
	s_waitcnt lgkmcnt(0)
	buffer_load_dword v17, off, s[0:3], 0 offset:452
	buffer_load_dword v19, off, s[0:3], 0 offset:460
	;; [unrolled: 1-line block ×14, first 2 shown]
	ds_read_b128 v[4:7], v2 offset:944
	ds_read_b128 v[8:11], v2 offset:960
	;; [unrolled: 1-line block ×3, first 2 shown]
	v_cmp_lt_u32_e32 vcc, 54, v0
	s_waitcnt vmcnt(13)
	v_mov_b32_e32 v2, v17
	s_waitcnt vmcnt(12)
	v_mov_b32_e32 v30, v19
	s_waitcnt lgkmcnt(2)
	v_pk_mul_f32 v[2:3], v[4:5], v[2:3] op_sel_hi:[1,0]
	s_waitcnt vmcnt(11)
	v_mov_b32_e32 v32, v21
	v_pk_mul_f32 v[30:31], v[6:7], v[30:31] op_sel_hi:[1,0]
	s_waitcnt vmcnt(10)
	v_mov_b32_e32 v34, v23
	s_waitcnt vmcnt(7)
	v_pk_fma_f32 v[40:41], v[4:5], v[16:17], v[2:3] op_sel:[0,0,1] op_sel_hi:[1,1,0] neg_lo:[0,0,1] neg_hi:[0,0,1]
	v_pk_fma_f32 v[2:3], v[4:5], v[16:17], v[2:3] op_sel:[0,0,1] op_sel_hi:[1,0,0]
	s_waitcnt lgkmcnt(1)
	v_pk_mul_f32 v[32:33], v[8:9], v[32:33] op_sel_hi:[1,0]
	s_waitcnt vmcnt(6)
	v_pk_fma_f32 v[4:5], v[6:7], v[18:19], v[30:31] op_sel:[0,0,1] op_sel_hi:[1,1,0] neg_lo:[0,0,1] neg_hi:[0,0,1]
	v_pk_fma_f32 v[6:7], v[6:7], v[18:19], v[30:31] op_sel:[0,0,1] op_sel_hi:[1,0,0]
	v_mov_b32_e32 v41, v3
	v_mov_b32_e32 v36, v25
	v_pk_mul_f32 v[34:35], v[10:11], v[34:35] op_sel_hi:[1,0]
	s_waitcnt vmcnt(5)
	v_pk_fma_f32 v[16:17], v[8:9], v[20:21], v[32:33] op_sel:[0,0,1] op_sel_hi:[1,1,0] neg_lo:[0,0,1] neg_hi:[0,0,1]
	v_pk_fma_f32 v[8:9], v[8:9], v[20:21], v[32:33] op_sel:[0,0,1] op_sel_hi:[1,0,0]
	v_mov_b32_e32 v5, v7
	v_pk_add_f32 v[2:3], v[40:41], 0 op_sel_hi:[1,0]
	v_mov_b32_e32 v38, v27
	s_waitcnt lgkmcnt(0)
	v_pk_mul_f32 v[36:37], v[12:13], v[36:37] op_sel_hi:[1,0]
	s_waitcnt vmcnt(4)
	v_pk_fma_f32 v[18:19], v[10:11], v[22:23], v[34:35] op_sel:[0,0,1] op_sel_hi:[1,1,0] neg_lo:[0,0,1] neg_hi:[0,0,1]
	v_pk_fma_f32 v[10:11], v[10:11], v[22:23], v[34:35] op_sel:[0,0,1] op_sel_hi:[1,0,0]
	v_mov_b32_e32 v17, v9
	v_pk_add_f32 v[2:3], v[2:3], v[4:5]
	v_pk_mul_f32 v[38:39], v[14:15], v[38:39] op_sel_hi:[1,0]
	s_waitcnt vmcnt(3)
	v_pk_fma_f32 v[20:21], v[12:13], v[24:25], v[36:37] op_sel:[0,0,1] op_sel_hi:[1,1,0] neg_lo:[0,0,1] neg_hi:[0,0,1]
	v_pk_fma_f32 v[12:13], v[12:13], v[24:25], v[36:37] op_sel:[0,0,1] op_sel_hi:[1,0,0]
	v_mov_b32_e32 v19, v11
	v_pk_add_f32 v[2:3], v[2:3], v[16:17]
	s_waitcnt vmcnt(2)
	v_pk_fma_f32 v[22:23], v[14:15], v[26:27], v[38:39] op_sel:[0,0,1] op_sel_hi:[1,1,0] neg_lo:[0,0,1] neg_hi:[0,0,1]
	v_pk_fma_f32 v[14:15], v[14:15], v[26:27], v[38:39] op_sel:[0,0,1] op_sel_hi:[1,0,0]
	v_mov_b32_e32 v21, v13
	v_pk_add_f32 v[2:3], v[2:3], v[18:19]
	v_mov_b32_e32 v23, v15
	v_pk_add_f32 v[2:3], v[2:3], v[20:21]
	v_pk_add_f32 v[2:3], v[2:3], v[22:23]
	s_waitcnt vmcnt(0)
	v_pk_add_f32 v[2:3], v[28:29], v[2:3] neg_lo:[0,1] neg_hi:[0,1]
	buffer_store_dword v2, off, s[0:3], 0 offset:440
	buffer_store_dword v3, off, s[0:3], 0 offset:444
	s_and_saveexec_b64 s[4:5], vcc
	s_cbranch_execz .LBB125_277
; %bb.276:
	buffer_load_dword v2, off, s[0:3], 0 offset:432
	buffer_load_dword v3, off, s[0:3], 0 offset:436
	v_mov_b32_e32 v4, 0
	buffer_store_dword v4, off, s[0:3], 0 offset:432
	buffer_store_dword v4, off, s[0:3], 0 offset:436
	s_waitcnt vmcnt(2)
	ds_write_b64 v210, v[2:3]
.LBB125_277:
	s_or_b64 exec, exec, s[4:5]
	s_waitcnt lgkmcnt(0)
	; wave barrier
	s_waitcnt lgkmcnt(0)
	buffer_load_dword v16, off, s[0:3], 0 offset:432
	buffer_load_dword v17, off, s[0:3], 0 offset:436
	;; [unrolled: 1-line block ×16, first 2 shown]
	v_mov_b32_e32 v2, 0
	ds_read2_b64 v[4:7], v2 offset0:117 offset1:118
	ds_read2_b64 v[8:11], v2 offset0:119 offset1:120
	;; [unrolled: 1-line block ×3, first 2 shown]
	ds_read_b64 v[32:33], v2 offset:984
	v_cmp_lt_u32_e32 vcc, 53, v0
	s_waitcnt vmcnt(12)
	v_mov_b32_e32 v34, v19
	s_waitcnt lgkmcnt(3)
	v_pk_mul_f32 v[34:35], v[4:5], v[34:35] op_sel_hi:[1,0]
	v_pk_fma_f32 v[36:37], v[4:5], v[18:19], v[34:35] op_sel:[0,0,1] op_sel_hi:[1,1,0] neg_lo:[0,0,1] neg_hi:[0,0,1]
	v_pk_fma_f32 v[4:5], v[4:5], v[18:19], v[34:35] op_sel:[0,0,1] op_sel_hi:[1,0,0]
	s_waitcnt vmcnt(10)
	v_mov_b32_e32 v18, v21
	v_pk_mul_f32 v[18:19], v[6:7], v[18:19] op_sel_hi:[1,0]
	v_pk_fma_f32 v[34:35], v[6:7], v[20:21], v[18:19] op_sel:[0,0,1] op_sel_hi:[1,1,0] neg_lo:[0,0,1] neg_hi:[0,0,1]
	v_pk_fma_f32 v[6:7], v[6:7], v[20:21], v[18:19] op_sel:[0,0,1] op_sel_hi:[1,0,0]
	s_waitcnt vmcnt(8)
	v_mov_b32_e32 v6, v23
	v_mov_b32_e32 v35, v7
	s_waitcnt lgkmcnt(2)
	v_pk_mul_f32 v[6:7], v[8:9], v[6:7] op_sel_hi:[1,0]
	v_pk_fma_f32 v[18:19], v[8:9], v[22:23], v[6:7] op_sel:[0,0,1] op_sel_hi:[1,1,0] neg_lo:[0,0,1] neg_hi:[0,0,1]
	v_pk_fma_f32 v[6:7], v[8:9], v[22:23], v[6:7] op_sel:[0,0,1] op_sel_hi:[1,0,0]
	s_waitcnt vmcnt(6)
	v_mov_b32_e32 v6, v25
	v_mov_b32_e32 v37, v5
	;; [unrolled: 1-line block ×3, first 2 shown]
	v_pk_mul_f32 v[6:7], v[10:11], v[6:7] op_sel_hi:[1,0]
	v_pk_add_f32 v[4:5], v[36:37], 0 op_sel_hi:[1,0]
	v_pk_fma_f32 v[8:9], v[10:11], v[24:25], v[6:7] op_sel:[0,0,1] op_sel_hi:[1,1,0] neg_lo:[0,0,1] neg_hi:[0,0,1]
	v_pk_fma_f32 v[6:7], v[10:11], v[24:25], v[6:7] op_sel:[0,0,1] op_sel_hi:[1,0,0]
	v_pk_add_f32 v[4:5], v[4:5], v[34:35]
	s_waitcnt vmcnt(4)
	v_mov_b32_e32 v6, v27
	v_pk_add_f32 v[4:5], v[4:5], v[18:19]
	v_mov_b32_e32 v9, v7
	s_waitcnt lgkmcnt(1)
	v_pk_mul_f32 v[6:7], v[12:13], v[6:7] op_sel_hi:[1,0]
	v_pk_add_f32 v[4:5], v[4:5], v[8:9]
	v_pk_fma_f32 v[8:9], v[12:13], v[26:27], v[6:7] op_sel:[0,0,1] op_sel_hi:[1,1,0] neg_lo:[0,0,1] neg_hi:[0,0,1]
	v_pk_fma_f32 v[6:7], v[12:13], v[26:27], v[6:7] op_sel:[0,0,1] op_sel_hi:[1,0,0]
	s_waitcnt vmcnt(2)
	v_mov_b32_e32 v6, v29
	v_mov_b32_e32 v9, v7
	v_pk_mul_f32 v[6:7], v[14:15], v[6:7] op_sel_hi:[1,0]
	v_pk_add_f32 v[4:5], v[4:5], v[8:9]
	v_pk_fma_f32 v[8:9], v[14:15], v[28:29], v[6:7] op_sel:[0,0,1] op_sel_hi:[1,1,0] neg_lo:[0,0,1] neg_hi:[0,0,1]
	v_pk_fma_f32 v[6:7], v[14:15], v[28:29], v[6:7] op_sel:[0,0,1] op_sel_hi:[1,0,0]
	s_waitcnt vmcnt(0)
	v_mov_b32_e32 v6, v31
	v_mov_b32_e32 v9, v7
	s_waitcnt lgkmcnt(0)
	v_pk_mul_f32 v[6:7], v[32:33], v[6:7] op_sel_hi:[1,0]
	v_pk_add_f32 v[4:5], v[4:5], v[8:9]
	v_pk_fma_f32 v[8:9], v[32:33], v[30:31], v[6:7] op_sel:[0,0,1] op_sel_hi:[1,1,0] neg_lo:[0,0,1] neg_hi:[0,0,1]
	v_pk_fma_f32 v[6:7], v[32:33], v[30:31], v[6:7] op_sel:[0,0,1] op_sel_hi:[1,0,0]
	v_mov_b32_e32 v9, v7
	v_pk_add_f32 v[4:5], v[4:5], v[8:9]
	v_pk_add_f32 v[4:5], v[16:17], v[4:5] neg_lo:[0,1] neg_hi:[0,1]
	buffer_store_dword v4, off, s[0:3], 0 offset:432
	buffer_store_dword v5, off, s[0:3], 0 offset:436
	s_and_saveexec_b64 s[4:5], vcc
	s_cbranch_execz .LBB125_279
; %bb.278:
	buffer_load_dword v4, off, s[0:3], 0 offset:424
	buffer_load_dword v5, off, s[0:3], 0 offset:428
	s_waitcnt vmcnt(0)
	ds_write_b64 v210, v[4:5]
	buffer_store_dword v2, off, s[0:3], 0 offset:424
	buffer_store_dword v2, off, s[0:3], 0 offset:428
.LBB125_279:
	s_or_b64 exec, exec, s[4:5]
	s_waitcnt lgkmcnt(0)
	; wave barrier
	s_waitcnt lgkmcnt(0)
	buffer_load_dword v20, off, s[0:3], 0 offset:424
	buffer_load_dword v21, off, s[0:3], 0 offset:428
	;; [unrolled: 1-line block ×16, first 2 shown]
	ds_read_b128 v[4:7], v2 offset:928
	ds_read_b128 v[8:11], v2 offset:944
	;; [unrolled: 1-line block ×4, first 2 shown]
	buffer_load_dword v3, off, s[0:3], 0 offset:492
	buffer_load_dword v2, off, s[0:3], 0 offset:488
	v_cmp_lt_u32_e32 vcc, 52, v0
	s_waitcnt vmcnt(14)
	v_mov_b32_e32 v36, v23
	s_waitcnt lgkmcnt(3)
	v_pk_mul_f32 v[36:37], v[4:5], v[36:37] op_sel_hi:[1,0]
	v_pk_fma_f32 v[38:39], v[4:5], v[22:23], v[36:37] op_sel:[0,0,1] op_sel_hi:[1,1,0] neg_lo:[0,0,1] neg_hi:[0,0,1]
	v_pk_fma_f32 v[4:5], v[4:5], v[22:23], v[36:37] op_sel:[0,0,1] op_sel_hi:[1,0,0]
	s_waitcnt vmcnt(12)
	v_mov_b32_e32 v22, v25
	v_pk_mul_f32 v[22:23], v[6:7], v[22:23] op_sel_hi:[1,0]
	v_pk_fma_f32 v[36:37], v[6:7], v[24:25], v[22:23] op_sel:[0,0,1] op_sel_hi:[1,1,0] neg_lo:[0,0,1] neg_hi:[0,0,1]
	v_pk_fma_f32 v[6:7], v[6:7], v[24:25], v[22:23] op_sel:[0,0,1] op_sel_hi:[1,0,0]
	s_waitcnt vmcnt(10)
	v_mov_b32_e32 v6, v27
	v_mov_b32_e32 v37, v7
	s_waitcnt lgkmcnt(2)
	v_pk_mul_f32 v[6:7], v[8:9], v[6:7] op_sel_hi:[1,0]
	v_pk_fma_f32 v[22:23], v[8:9], v[26:27], v[6:7] op_sel:[0,0,1] op_sel_hi:[1,1,0] neg_lo:[0,0,1] neg_hi:[0,0,1]
	v_pk_fma_f32 v[6:7], v[8:9], v[26:27], v[6:7] op_sel:[0,0,1] op_sel_hi:[1,0,0]
	s_waitcnt vmcnt(8)
	v_mov_b32_e32 v6, v29
	v_mov_b32_e32 v39, v5
	;; [unrolled: 1-line block ×3, first 2 shown]
	v_pk_mul_f32 v[6:7], v[10:11], v[6:7] op_sel_hi:[1,0]
	v_pk_add_f32 v[4:5], v[38:39], 0 op_sel_hi:[1,0]
	v_pk_fma_f32 v[8:9], v[10:11], v[28:29], v[6:7] op_sel:[0,0,1] op_sel_hi:[1,1,0] neg_lo:[0,0,1] neg_hi:[0,0,1]
	v_pk_fma_f32 v[6:7], v[10:11], v[28:29], v[6:7] op_sel:[0,0,1] op_sel_hi:[1,0,0]
	v_pk_add_f32 v[4:5], v[4:5], v[36:37]
	s_waitcnt vmcnt(6)
	v_mov_b32_e32 v6, v31
	v_pk_add_f32 v[4:5], v[4:5], v[22:23]
	v_mov_b32_e32 v9, v7
	s_waitcnt lgkmcnt(1)
	v_pk_mul_f32 v[6:7], v[12:13], v[6:7] op_sel_hi:[1,0]
	v_pk_add_f32 v[4:5], v[4:5], v[8:9]
	v_pk_fma_f32 v[8:9], v[12:13], v[30:31], v[6:7] op_sel:[0,0,1] op_sel_hi:[1,1,0] neg_lo:[0,0,1] neg_hi:[0,0,1]
	v_pk_fma_f32 v[6:7], v[12:13], v[30:31], v[6:7] op_sel:[0,0,1] op_sel_hi:[1,0,0]
	s_waitcnt vmcnt(4)
	v_mov_b32_e32 v6, v33
	v_mov_b32_e32 v9, v7
	v_pk_mul_f32 v[6:7], v[14:15], v[6:7] op_sel_hi:[1,0]
	v_pk_add_f32 v[4:5], v[4:5], v[8:9]
	v_pk_fma_f32 v[8:9], v[14:15], v[32:33], v[6:7] op_sel:[0,0,1] op_sel_hi:[1,1,0] neg_lo:[0,0,1] neg_hi:[0,0,1]
	v_pk_fma_f32 v[6:7], v[14:15], v[32:33], v[6:7] op_sel:[0,0,1] op_sel_hi:[1,0,0]
	s_waitcnt vmcnt(2)
	v_mov_b32_e32 v6, v35
	v_mov_b32_e32 v9, v7
	s_waitcnt lgkmcnt(0)
	v_pk_mul_f32 v[6:7], v[16:17], v[6:7] op_sel_hi:[1,0]
	v_pk_add_f32 v[4:5], v[4:5], v[8:9]
	v_pk_fma_f32 v[8:9], v[16:17], v[34:35], v[6:7] op_sel:[0,0,1] op_sel_hi:[1,1,0] neg_lo:[0,0,1] neg_hi:[0,0,1]
	v_pk_fma_f32 v[6:7], v[16:17], v[34:35], v[6:7] op_sel:[0,0,1] op_sel_hi:[1,0,0]
	s_waitcnt vmcnt(1)
	v_mov_b32_e32 v6, v3
	v_mov_b32_e32 v9, v7
	v_pk_mul_f32 v[6:7], v[18:19], v[6:7] op_sel_hi:[1,0]
	v_pk_add_f32 v[4:5], v[4:5], v[8:9]
	s_waitcnt vmcnt(0)
	v_pk_fma_f32 v[8:9], v[18:19], v[2:3], v[6:7] op_sel:[0,0,1] op_sel_hi:[1,1,0] neg_lo:[0,0,1] neg_hi:[0,0,1]
	v_pk_fma_f32 v[2:3], v[18:19], v[2:3], v[6:7] op_sel:[0,0,1] op_sel_hi:[1,0,0]
	v_mov_b32_e32 v9, v3
	v_pk_add_f32 v[2:3], v[4:5], v[8:9]
	v_pk_add_f32 v[2:3], v[20:21], v[2:3] neg_lo:[0,1] neg_hi:[0,1]
	buffer_store_dword v2, off, s[0:3], 0 offset:424
	buffer_store_dword v3, off, s[0:3], 0 offset:428
	s_and_saveexec_b64 s[4:5], vcc
	s_cbranch_execz .LBB125_281
; %bb.280:
	buffer_load_dword v2, off, s[0:3], 0 offset:416
	buffer_load_dword v3, off, s[0:3], 0 offset:420
	v_mov_b32_e32 v4, 0
	buffer_store_dword v4, off, s[0:3], 0 offset:416
	buffer_store_dword v4, off, s[0:3], 0 offset:420
	s_waitcnt vmcnt(2)
	ds_write_b64 v210, v[2:3]
.LBB125_281:
	s_or_b64 exec, exec, s[4:5]
	v_mov_b32_e32 v4, 0
	s_waitcnt lgkmcnt(0)
	; wave barrier
	s_waitcnt lgkmcnt(0)
	ds_read2_b64 v[6:9], v4 offset0:115 offset1:116
	buffer_load_dword v2, off, s[0:3], 0 offset:416
	buffer_load_dword v3, off, s[0:3], 0 offset:420
	;; [unrolled: 1-line block ×20, first 2 shown]
	v_cmp_lt_u32_e32 vcc, 51, v0
	s_waitcnt vmcnt(16) lgkmcnt(0)
	v_mul_f32_e32 v35, v6, v10
	v_fmac_f32_e32 v35, v7, v5
	v_mul_f32_e32 v7, v7, v10
	s_waitcnt vmcnt(14)
	v_mov_b32_e32 v40, v23
	v_fma_f32 v34, v6, v5, -v7
	ds_read2_b64 v[10:13], v4 offset0:117 offset1:118
	ds_read2_b64 v[14:17], v4 offset0:119 offset1:120
	;; [unrolled: 1-line block ×3, first 2 shown]
	ds_read_b64 v[6:7], v4 offset:984
	v_pk_mul_f32 v[40:41], v[8:9], v[40:41] op_sel_hi:[1,0]
	v_pk_fma_f32 v[42:43], v[8:9], v[22:23], v[40:41] op_sel:[0,0,1] op_sel_hi:[1,1,0] neg_lo:[0,0,1] neg_hi:[0,0,1]
	v_pk_fma_f32 v[8:9], v[8:9], v[22:23], v[40:41] op_sel:[0,0,1] op_sel_hi:[1,0,0]
	s_waitcnt vmcnt(12)
	v_mov_b32_e32 v22, v25
	v_pk_add_f32 v[34:35], v[34:35], 0 op_sel_hi:[1,0]
	v_mov_b32_e32 v43, v9
	s_waitcnt lgkmcnt(3)
	v_pk_mul_f32 v[22:23], v[10:11], v[22:23] op_sel_hi:[1,0]
	v_pk_add_f32 v[8:9], v[34:35], v[42:43]
	v_pk_fma_f32 v[34:35], v[10:11], v[24:25], v[22:23] op_sel:[0,0,1] op_sel_hi:[1,1,0] neg_lo:[0,0,1] neg_hi:[0,0,1]
	v_pk_fma_f32 v[10:11], v[10:11], v[24:25], v[22:23] op_sel:[0,0,1] op_sel_hi:[1,0,0]
	s_waitcnt vmcnt(10)
	v_mov_b32_e32 v10, v27
	v_mov_b32_e32 v35, v11
	v_pk_mul_f32 v[10:11], v[12:13], v[10:11] op_sel_hi:[1,0]
	v_pk_fma_f32 v[22:23], v[12:13], v[26:27], v[10:11] op_sel:[0,0,1] op_sel_hi:[1,1,0] neg_lo:[0,0,1] neg_hi:[0,0,1]
	v_pk_fma_f32 v[10:11], v[12:13], v[26:27], v[10:11] op_sel:[0,0,1] op_sel_hi:[1,0,0]
	s_waitcnt vmcnt(8)
	v_mov_b32_e32 v10, v29
	v_mov_b32_e32 v23, v11
	s_waitcnt lgkmcnt(2)
	v_pk_mul_f32 v[10:11], v[14:15], v[10:11] op_sel_hi:[1,0]
	v_pk_fma_f32 v[12:13], v[14:15], v[28:29], v[10:11] op_sel:[0,0,1] op_sel_hi:[1,1,0] neg_lo:[0,0,1] neg_hi:[0,0,1]
	v_pk_fma_f32 v[10:11], v[14:15], v[28:29], v[10:11] op_sel:[0,0,1] op_sel_hi:[1,0,0]
	v_pk_add_f32 v[8:9], v[8:9], v[34:35]
	s_waitcnt vmcnt(6)
	v_mov_b32_e32 v10, v31
	v_pk_add_f32 v[8:9], v[8:9], v[22:23]
	v_mov_b32_e32 v13, v11
	v_pk_mul_f32 v[10:11], v[16:17], v[10:11] op_sel_hi:[1,0]
	v_pk_add_f32 v[8:9], v[8:9], v[12:13]
	v_pk_fma_f32 v[12:13], v[16:17], v[30:31], v[10:11] op_sel:[0,0,1] op_sel_hi:[1,1,0] neg_lo:[0,0,1] neg_hi:[0,0,1]
	v_pk_fma_f32 v[10:11], v[16:17], v[30:31], v[10:11] op_sel:[0,0,1] op_sel_hi:[1,0,0]
	s_waitcnt vmcnt(4)
	v_mov_b32_e32 v10, v33
	v_mov_b32_e32 v13, v11
	s_waitcnt lgkmcnt(1)
	v_pk_mul_f32 v[10:11], v[18:19], v[10:11] op_sel_hi:[1,0]
	v_pk_add_f32 v[8:9], v[8:9], v[12:13]
	v_pk_fma_f32 v[12:13], v[18:19], v[32:33], v[10:11] op_sel:[0,0,1] op_sel_hi:[1,1,0] neg_lo:[0,0,1] neg_hi:[0,0,1]
	v_pk_fma_f32 v[10:11], v[18:19], v[32:33], v[10:11] op_sel:[0,0,1] op_sel_hi:[1,0,0]
	s_waitcnt vmcnt(3)
	v_mov_b32_e32 v10, v37
	v_mov_b32_e32 v13, v11
	v_pk_mul_f32 v[10:11], v[20:21], v[10:11] op_sel_hi:[1,0]
	v_pk_add_f32 v[8:9], v[8:9], v[12:13]
	s_waitcnt vmcnt(2)
	v_pk_fma_f32 v[12:13], v[20:21], v[36:37], v[10:11] op_sel:[0,0,1] op_sel_hi:[1,1,0] neg_lo:[0,0,1] neg_hi:[0,0,1]
	v_pk_fma_f32 v[10:11], v[20:21], v[36:37], v[10:11] op_sel:[0,0,1] op_sel_hi:[1,0,0]
	s_waitcnt vmcnt(1)
	v_mov_b32_e32 v10, v39
	v_mov_b32_e32 v13, v11
	s_waitcnt lgkmcnt(0)
	v_pk_mul_f32 v[10:11], v[6:7], v[10:11] op_sel_hi:[1,0]
	v_pk_add_f32 v[8:9], v[8:9], v[12:13]
	s_waitcnt vmcnt(0)
	v_pk_fma_f32 v[12:13], v[6:7], v[38:39], v[10:11] op_sel:[0,0,1] op_sel_hi:[1,1,0] neg_lo:[0,0,1] neg_hi:[0,0,1]
	v_pk_fma_f32 v[6:7], v[6:7], v[38:39], v[10:11] op_sel:[0,0,1] op_sel_hi:[1,0,0]
	v_mov_b32_e32 v13, v7
	v_pk_add_f32 v[6:7], v[8:9], v[12:13]
	v_pk_add_f32 v[2:3], v[2:3], v[6:7] neg_lo:[0,1] neg_hi:[0,1]
	buffer_store_dword v2, off, s[0:3], 0 offset:416
	buffer_store_dword v3, off, s[0:3], 0 offset:420
	s_and_saveexec_b64 s[4:5], vcc
	s_cbranch_execz .LBB125_283
; %bb.282:
	buffer_load_dword v2, off, s[0:3], 0 offset:408
	buffer_load_dword v3, off, s[0:3], 0 offset:412
	s_waitcnt vmcnt(0)
	ds_write_b64 v210, v[2:3]
	buffer_store_dword v4, off, s[0:3], 0 offset:408
	buffer_store_dword v4, off, s[0:3], 0 offset:412
.LBB125_283:
	s_or_b64 exec, exec, s[4:5]
	s_waitcnt lgkmcnt(0)
	; wave barrier
	s_waitcnt lgkmcnt(0)
	ds_read_b128 v[6:9], v4 offset:912
	ds_read_b128 v[10:13], v4 offset:928
	ds_read_b128 v[14:17], v4 offset:944
	ds_read_b128 v[18:21], v4 offset:960
	buffer_load_dword v2, off, s[0:3], 0 offset:408
	buffer_load_dword v3, off, s[0:3], 0 offset:412
	;; [unrolled: 1-line block ×22, first 2 shown]
	v_cmp_lt_u32_e32 vcc, 50, v0
	s_waitcnt vmcnt(18) lgkmcnt(3)
	v_mul_f32_e32 v33, v6, v32
	v_fmac_f32_e32 v33, v7, v5
	v_mul_f32_e32 v7, v7, v32
	s_waitcnt vmcnt(16)
	v_mul_f32_e32 v35, v8, v42
	v_fma_f32 v32, v6, v5, -v7
	v_mul_f32_e32 v5, v9, v42
	v_fmac_f32_e32 v35, v9, v34
	v_fma_f32 v34, v8, v34, -v5
	v_pk_add_f32 v[8:9], v[32:33], 0 op_sel_hi:[1,0]
	s_waitcnt vmcnt(14)
	v_mov_b32_e32 v32, v23
	s_waitcnt lgkmcnt(2)
	v_pk_mul_f32 v[32:33], v[10:11], v[32:33] op_sel_hi:[1,0]
	v_pk_add_f32 v[8:9], v[8:9], v[34:35]
	v_pk_fma_f32 v[34:35], v[10:11], v[22:23], v[32:33] op_sel:[0,0,1] op_sel_hi:[1,1,0] neg_lo:[0,0,1] neg_hi:[0,0,1]
	v_pk_fma_f32 v[10:11], v[10:11], v[22:23], v[32:33] op_sel:[0,0,1] op_sel_hi:[1,0,0]
	s_waitcnt vmcnt(12)
	v_mov_b32_e32 v10, v25
	v_mov_b32_e32 v35, v11
	v_pk_mul_f32 v[10:11], v[12:13], v[10:11] op_sel_hi:[1,0]
	v_pk_fma_f32 v[22:23], v[12:13], v[24:25], v[10:11] op_sel:[0,0,1] op_sel_hi:[1,1,0] neg_lo:[0,0,1] neg_hi:[0,0,1]
	v_pk_fma_f32 v[10:11], v[12:13], v[24:25], v[10:11] op_sel:[0,0,1] op_sel_hi:[1,0,0]
	s_waitcnt vmcnt(10)
	v_mov_b32_e32 v10, v27
	v_mov_b32_e32 v23, v11
	s_waitcnt lgkmcnt(1)
	v_pk_mul_f32 v[10:11], v[14:15], v[10:11] op_sel_hi:[1,0]
	v_pk_fma_f32 v[12:13], v[14:15], v[26:27], v[10:11] op_sel:[0,0,1] op_sel_hi:[1,1,0] neg_lo:[0,0,1] neg_hi:[0,0,1]
	v_pk_fma_f32 v[10:11], v[14:15], v[26:27], v[10:11] op_sel:[0,0,1] op_sel_hi:[1,0,0]
	v_pk_add_f32 v[8:9], v[8:9], v[34:35]
	s_waitcnt vmcnt(8)
	v_mov_b32_e32 v10, v29
	v_pk_add_f32 v[8:9], v[8:9], v[22:23]
	v_mov_b32_e32 v13, v11
	v_pk_mul_f32 v[10:11], v[16:17], v[10:11] op_sel_hi:[1,0]
	v_pk_add_f32 v[8:9], v[8:9], v[12:13]
	v_pk_fma_f32 v[12:13], v[16:17], v[28:29], v[10:11] op_sel:[0,0,1] op_sel_hi:[1,1,0] neg_lo:[0,0,1] neg_hi:[0,0,1]
	v_pk_fma_f32 v[10:11], v[16:17], v[28:29], v[10:11] op_sel:[0,0,1] op_sel_hi:[1,0,0]
	s_waitcnt vmcnt(6)
	v_mov_b32_e32 v10, v31
	v_mov_b32_e32 v13, v11
	s_waitcnt lgkmcnt(0)
	v_pk_mul_f32 v[10:11], v[18:19], v[10:11] op_sel_hi:[1,0]
	ds_read_b128 v[4:7], v4 offset:976
	v_pk_add_f32 v[8:9], v[8:9], v[12:13]
	v_pk_fma_f32 v[12:13], v[18:19], v[30:31], v[10:11] op_sel:[0,0,1] op_sel_hi:[1,1,0] neg_lo:[0,0,1] neg_hi:[0,0,1]
	v_pk_fma_f32 v[10:11], v[18:19], v[30:31], v[10:11] op_sel:[0,0,1] op_sel_hi:[1,0,0]
	s_waitcnt vmcnt(5)
	v_mov_b32_e32 v10, v37
	v_mov_b32_e32 v13, v11
	v_pk_mul_f32 v[10:11], v[20:21], v[10:11] op_sel_hi:[1,0]
	v_pk_add_f32 v[8:9], v[8:9], v[12:13]
	s_waitcnt vmcnt(4)
	v_pk_fma_f32 v[12:13], v[20:21], v[36:37], v[10:11] op_sel:[0,0,1] op_sel_hi:[1,1,0] neg_lo:[0,0,1] neg_hi:[0,0,1]
	v_pk_fma_f32 v[10:11], v[20:21], v[36:37], v[10:11] op_sel:[0,0,1] op_sel_hi:[1,0,0]
	s_waitcnt vmcnt(3)
	v_mov_b32_e32 v10, v39
	v_mov_b32_e32 v13, v11
	s_waitcnt lgkmcnt(0)
	v_pk_mul_f32 v[10:11], v[4:5], v[10:11] op_sel_hi:[1,0]
	v_pk_add_f32 v[8:9], v[8:9], v[12:13]
	s_waitcnt vmcnt(2)
	v_pk_fma_f32 v[12:13], v[4:5], v[38:39], v[10:11] op_sel:[0,0,1] op_sel_hi:[1,1,0] neg_lo:[0,0,1] neg_hi:[0,0,1]
	v_pk_fma_f32 v[4:5], v[4:5], v[38:39], v[10:11] op_sel:[0,0,1] op_sel_hi:[1,0,0]
	v_mov_b32_e32 v13, v5
	v_pk_add_f32 v[4:5], v[8:9], v[12:13]
	s_waitcnt vmcnt(1)
	v_mov_b32_e32 v8, v41
	v_pk_mul_f32 v[8:9], v[6:7], v[8:9] op_sel_hi:[1,0]
	s_waitcnt vmcnt(0)
	v_pk_fma_f32 v[10:11], v[6:7], v[40:41], v[8:9] op_sel:[0,0,1] op_sel_hi:[1,1,0] neg_lo:[0,0,1] neg_hi:[0,0,1]
	v_pk_fma_f32 v[6:7], v[6:7], v[40:41], v[8:9] op_sel:[0,0,1] op_sel_hi:[1,0,0]
	v_mov_b32_e32 v11, v7
	v_pk_add_f32 v[4:5], v[4:5], v[10:11]
	v_pk_add_f32 v[2:3], v[2:3], v[4:5] neg_lo:[0,1] neg_hi:[0,1]
	buffer_store_dword v2, off, s[0:3], 0 offset:408
	buffer_store_dword v3, off, s[0:3], 0 offset:412
	s_and_saveexec_b64 s[4:5], vcc
	s_cbranch_execz .LBB125_285
; %bb.284:
	buffer_load_dword v2, off, s[0:3], 0 offset:400
	buffer_load_dword v3, off, s[0:3], 0 offset:404
	v_mov_b32_e32 v4, 0
	buffer_store_dword v4, off, s[0:3], 0 offset:400
	buffer_store_dword v4, off, s[0:3], 0 offset:404
	s_waitcnt vmcnt(2)
	ds_write_b64 v210, v[2:3]
.LBB125_285:
	s_or_b64 exec, exec, s[4:5]
	s_waitcnt lgkmcnt(0)
	; wave barrier
	s_waitcnt lgkmcnt(0)
	buffer_load_dword v3, off, s[0:3], 0 offset:412
	buffer_load_dword v44, off, s[0:3], 0 offset:420
	;; [unrolled: 1-line block ×24, first 2 shown]
	v_mov_b32_e32 v2, 0
	ds_read2_b64 v[4:7], v2 offset0:113 offset1:114
	ds_read2_b64 v[8:11], v2 offset0:115 offset1:116
	;; [unrolled: 1-line block ×5, first 2 shown]
	ds_read_b64 v[42:43], v2 offset:984
	v_cmp_lt_u32_e32 vcc, 49, v0
	s_waitcnt vmcnt(23) lgkmcnt(5)
	v_mul_f32_e32 v57, v4, v3
	v_mul_f32_e32 v3, v5, v3
	s_waitcnt vmcnt(22)
	v_mul_f32_e32 v45, v6, v44
	s_waitcnt vmcnt(21) lgkmcnt(4)
	v_mul_f32_e32 v47, v8, v46
	v_mul_f32_e32 v44, v7, v44
	;; [unrolled: 1-line block ×3, first 2 shown]
	s_waitcnt vmcnt(20)
	v_mov_b32_e32 v48, v25
	s_waitcnt vmcnt(19)
	v_mov_b32_e32 v50, v27
	;; [unrolled: 2-line block ×5, first 2 shown]
	s_waitcnt vmcnt(12)
	v_fmac_f32_e32 v57, v5, v49
	v_fma_f32 v3, v4, v49, -v3
	v_mov_b32_e32 v58, v35
	s_waitcnt vmcnt(11)
	v_fmac_f32_e32 v45, v7, v51
	s_waitcnt vmcnt(10)
	v_fmac_f32_e32 v47, v9, v53
	v_fma_f32 v44, v6, v51, -v44
	v_fma_f32 v46, v8, v53, -v46
	v_pk_mul_f32 v[4:5], v[10:11], v[48:49] op_sel_hi:[1,0]
	s_waitcnt lgkmcnt(3)
	v_pk_mul_f32 v[6:7], v[12:13], v[50:51] op_sel_hi:[1,0]
	v_pk_mul_f32 v[8:9], v[14:15], v[52:53] op_sel_hi:[1,0]
	s_waitcnt lgkmcnt(2)
	v_pk_mul_f32 v[48:49], v[16:17], v[54:55] op_sel_hi:[1,0]
	v_pk_mul_f32 v[50:51], v[18:19], v[56:57] op_sel_hi:[1,0]
	v_add_f32_e32 v57, 0, v57
	v_add_f32_e32 v56, 0, v3
	s_waitcnt lgkmcnt(1)
	v_pk_mul_f32 v[52:53], v[20:21], v[58:59] op_sel_hi:[1,0]
	s_waitcnt vmcnt(9)
	v_pk_fma_f32 v[58:59], v[10:11], v[24:25], v[4:5] op_sel:[0,0,1] op_sel_hi:[1,1,0] neg_lo:[0,0,1] neg_hi:[0,0,1]
	v_pk_fma_f32 v[4:5], v[10:11], v[24:25], v[4:5] op_sel:[0,0,1] op_sel_hi:[1,0,0]
	s_waitcnt vmcnt(8)
	v_pk_fma_f32 v[10:11], v[12:13], v[26:27], v[6:7] op_sel:[0,0,1] op_sel_hi:[1,1,0] neg_lo:[0,0,1] neg_hi:[0,0,1]
	v_pk_fma_f32 v[6:7], v[12:13], v[26:27], v[6:7] op_sel:[0,0,1] op_sel_hi:[1,0,0]
	;; [unrolled: 3-line block ×4, first 2 shown]
	v_pk_add_f32 v[30:31], v[56:57], v[44:45]
	v_mov_b32_e32 v59, v5
	v_pk_add_f32 v[4:5], v[30:31], v[46:47]
	v_mov_b32_e32 v11, v7
	;; [unrolled: 2-line block ×4, first 2 shown]
	s_waitcnt vmcnt(2)
	v_pk_fma_f32 v[24:25], v[18:19], v[32:33], v[50:51] op_sel:[0,0,1] op_sel_hi:[1,1,0] neg_lo:[0,0,1] neg_hi:[0,0,1]
	v_pk_fma_f32 v[18:19], v[18:19], v[32:33], v[50:51] op_sel:[0,0,1] op_sel_hi:[1,0,0]
	v_mov_b32_e32 v15, v17
	v_pk_add_f32 v[4:5], v[4:5], v[12:13]
	v_mov_b32_e32 v62, v39
	v_pk_mul_f32 v[54:55], v[22:23], v[60:61] op_sel_hi:[1,0]
	v_pk_fma_f32 v[26:27], v[20:21], v[34:35], v[52:53] op_sel:[0,0,1] op_sel_hi:[1,1,0] neg_lo:[0,0,1] neg_hi:[0,0,1]
	v_pk_fma_f32 v[20:21], v[20:21], v[34:35], v[52:53] op_sel:[0,0,1] op_sel_hi:[1,0,0]
	v_mov_b32_e32 v25, v19
	v_pk_add_f32 v[4:5], v[4:5], v[14:15]
	v_pk_fma_f32 v[28:29], v[22:23], v[36:37], v[54:55] op_sel:[0,0,1] op_sel_hi:[1,1,0] neg_lo:[0,0,1] neg_hi:[0,0,1]
	v_pk_fma_f32 v[22:23], v[22:23], v[36:37], v[54:55] op_sel:[0,0,1] op_sel_hi:[1,0,0]
	v_mov_b32_e32 v27, v21
	v_pk_add_f32 v[4:5], v[4:5], v[24:25]
	s_waitcnt lgkmcnt(0)
	v_pk_mul_f32 v[6:7], v[42:43], v[62:63] op_sel_hi:[1,0]
	v_mov_b32_e32 v29, v23
	v_pk_add_f32 v[4:5], v[4:5], v[26:27]
	v_pk_fma_f32 v[8:9], v[42:43], v[38:39], v[6:7] op_sel:[0,0,1] op_sel_hi:[1,1,0] neg_lo:[0,0,1] neg_hi:[0,0,1]
	v_pk_fma_f32 v[6:7], v[42:43], v[38:39], v[6:7] op_sel:[0,0,1] op_sel_hi:[1,0,0]
	v_pk_add_f32 v[4:5], v[4:5], v[28:29]
	v_mov_b32_e32 v9, v7
	v_pk_add_f32 v[4:5], v[4:5], v[8:9]
	s_waitcnt vmcnt(0)
	v_pk_add_f32 v[4:5], v[40:41], v[4:5] neg_lo:[0,1] neg_hi:[0,1]
	buffer_store_dword v5, off, s[0:3], 0 offset:404
	buffer_store_dword v4, off, s[0:3], 0 offset:400
	s_and_saveexec_b64 s[4:5], vcc
	s_cbranch_execz .LBB125_287
; %bb.286:
	buffer_load_dword v4, off, s[0:3], 0 offset:392
	buffer_load_dword v5, off, s[0:3], 0 offset:396
	s_waitcnt vmcnt(0)
	ds_write_b64 v210, v[4:5]
	buffer_store_dword v2, off, s[0:3], 0 offset:392
	buffer_store_dword v2, off, s[0:3], 0 offset:396
.LBB125_287:
	s_or_b64 exec, exec, s[4:5]
	s_waitcnt lgkmcnt(0)
	; wave barrier
	s_waitcnt lgkmcnt(0)
	buffer_load_dword v46, off, s[0:3], 0 offset:404
	buffer_load_dword v48, off, s[0:3], 0 offset:412
	;; [unrolled: 1-line block ×26, first 2 shown]
	ds_read_b128 v[4:7], v2 offset:896
	ds_read_b128 v[8:11], v2 offset:912
	;; [unrolled: 1-line block ×6, first 2 shown]
	v_cmp_lt_u32_e32 vcc, 48, v0
	s_waitcnt vmcnt(25) lgkmcnt(5)
	v_mul_f32_e32 v59, v4, v46
	v_mul_f32_e32 v2, v5, v46
	s_waitcnt vmcnt(24)
	v_mul_f32_e32 v60, v6, v48
	s_waitcnt vmcnt(23) lgkmcnt(4)
	v_mul_f32_e32 v3, v8, v49
	s_waitcnt vmcnt(22)
	v_mul_f32_e32 v47, v10, v50
	v_mul_f32_e32 v46, v7, v48
	;; [unrolled: 1-line block ×4, first 2 shown]
	s_waitcnt vmcnt(21)
	v_mov_b32_e32 v48, v29
	s_waitcnt vmcnt(20)
	v_mov_b32_e32 v50, v31
	;; [unrolled: 2-line block ×3, first 2 shown]
	s_waitcnt vmcnt(15)
	v_fmac_f32_e32 v59, v5, v51
	v_fma_f32 v62, v4, v51, -v2
	v_mov_b32_e32 v52, v33
	s_waitcnt vmcnt(14)
	v_fmac_f32_e32 v60, v7, v53
	s_waitcnt vmcnt(13)
	v_fmac_f32_e32 v3, v9, v55
	;; [unrolled: 2-line block ×3, first 2 shown]
	v_fma_f32 v63, v6, v53, -v46
	v_fma_f32 v2, v8, v55, -v49
	;; [unrolled: 1-line block ×3, first 2 shown]
	s_waitcnt lgkmcnt(3)
	v_pk_mul_f32 v[4:5], v[12:13], v[48:49] op_sel_hi:[1,0]
	v_pk_mul_f32 v[6:7], v[14:15], v[50:51] op_sel_hi:[1,0]
	s_waitcnt lgkmcnt(2)
	v_pk_mul_f32 v[10:11], v[18:19], v[54:55] op_sel_hi:[1,0]
	v_add_f32_e32 v54, 0, v59
	v_add_f32_e32 v55, 0, v62
	v_pk_mul_f32 v[8:9], v[16:17], v[52:53] op_sel_hi:[1,0]
	s_waitcnt vmcnt(11)
	v_pk_fma_f32 v[52:53], v[12:13], v[28:29], v[4:5] op_sel:[0,0,1] op_sel_hi:[1,1,0] neg_lo:[0,0,1] neg_hi:[0,0,1]
	v_pk_fma_f32 v[4:5], v[12:13], v[28:29], v[4:5] op_sel:[0,0,1] op_sel_hi:[1,0,0]
	s_waitcnt vmcnt(10)
	v_pk_fma_f32 v[12:13], v[14:15], v[30:31], v[6:7] op_sel:[0,0,1] op_sel_hi:[1,1,0] neg_lo:[0,0,1] neg_hi:[0,0,1]
	v_pk_fma_f32 v[6:7], v[14:15], v[30:31], v[6:7] op_sel:[0,0,1] op_sel_hi:[1,0,0]
	v_add_f32_e32 v31, v54, v60
	v_add_f32_e32 v30, v55, v63
	v_pk_add_f32 v[2:3], v[30:31], v[2:3]
	v_mov_b32_e32 v53, v5
	v_pk_add_f32 v[2:3], v[2:3], v[46:47]
	v_mov_b32_e32 v56, v37
	s_waitcnt vmcnt(9)
	v_pk_fma_f32 v[14:15], v[16:17], v[32:33], v[8:9] op_sel:[0,0,1] op_sel_hi:[1,1,0] neg_lo:[0,0,1] neg_hi:[0,0,1]
	v_pk_fma_f32 v[8:9], v[16:17], v[32:33], v[8:9] op_sel:[0,0,1] op_sel_hi:[1,0,0]
	v_mov_b32_e32 v13, v7
	v_pk_add_f32 v[2:3], v[2:3], v[52:53]
	v_mov_b32_e32 v58, v39
	s_waitcnt lgkmcnt(1)
	v_pk_mul_f32 v[48:49], v[20:21], v[56:57] op_sel_hi:[1,0]
	s_waitcnt vmcnt(5)
	v_pk_fma_f32 v[16:17], v[18:19], v[34:35], v[10:11] op_sel:[0,0,1] op_sel_hi:[1,1,0] neg_lo:[0,0,1] neg_hi:[0,0,1]
	v_pk_fma_f32 v[10:11], v[18:19], v[34:35], v[10:11] op_sel:[0,0,1] op_sel_hi:[1,0,0]
	v_mov_b32_e32 v15, v9
	v_pk_add_f32 v[2:3], v[2:3], v[12:13]
	s_waitcnt vmcnt(4)
	v_mov_b32_e32 v4, v41
	v_pk_mul_f32 v[50:51], v[22:23], v[58:59] op_sel_hi:[1,0]
	v_pk_fma_f32 v[18:19], v[20:21], v[36:37], v[48:49] op_sel:[0,0,1] op_sel_hi:[1,1,0] neg_lo:[0,0,1] neg_hi:[0,0,1]
	v_pk_fma_f32 v[20:21], v[20:21], v[36:37], v[48:49] op_sel:[0,0,1] op_sel_hi:[1,0,0]
	v_mov_b32_e32 v17, v11
	v_pk_add_f32 v[2:3], v[2:3], v[14:15]
	s_waitcnt lgkmcnt(0)
	v_pk_mul_f32 v[4:5], v[24:25], v[4:5] op_sel_hi:[1,0]
	v_pk_fma_f32 v[28:29], v[22:23], v[38:39], v[50:51] op_sel:[0,0,1] op_sel_hi:[1,1,0] neg_lo:[0,0,1] neg_hi:[0,0,1]
	v_pk_fma_f32 v[22:23], v[22:23], v[38:39], v[50:51] op_sel:[0,0,1] op_sel_hi:[1,0,0]
	v_mov_b32_e32 v19, v21
	v_pk_add_f32 v[2:3], v[2:3], v[16:17]
	v_pk_fma_f32 v[6:7], v[24:25], v[40:41], v[4:5] op_sel:[0,0,1] op_sel_hi:[1,1,0] neg_lo:[0,0,1] neg_hi:[0,0,1]
	v_pk_fma_f32 v[4:5], v[24:25], v[40:41], v[4:5] op_sel:[0,0,1] op_sel_hi:[1,0,0]
	v_mov_b32_e32 v29, v23
	v_pk_add_f32 v[2:3], v[2:3], v[18:19]
	s_waitcnt vmcnt(3)
	v_mov_b32_e32 v4, v43
	v_pk_add_f32 v[2:3], v[2:3], v[28:29]
	v_mov_b32_e32 v7, v5
	v_pk_mul_f32 v[4:5], v[26:27], v[4:5] op_sel_hi:[1,0]
	v_pk_add_f32 v[2:3], v[2:3], v[6:7]
	s_waitcnt vmcnt(2)
	v_pk_fma_f32 v[6:7], v[26:27], v[42:43], v[4:5] op_sel:[0,0,1] op_sel_hi:[1,1,0] neg_lo:[0,0,1] neg_hi:[0,0,1]
	v_pk_fma_f32 v[4:5], v[26:27], v[42:43], v[4:5] op_sel:[0,0,1] op_sel_hi:[1,0,0]
	v_mov_b32_e32 v7, v5
	v_pk_add_f32 v[2:3], v[2:3], v[6:7]
	s_waitcnt vmcnt(0)
	v_pk_add_f32 v[2:3], v[44:45], v[2:3] neg_lo:[0,1] neg_hi:[0,1]
	buffer_store_dword v3, off, s[0:3], 0 offset:396
	buffer_store_dword v2, off, s[0:3], 0 offset:392
	s_and_saveexec_b64 s[4:5], vcc
	s_cbranch_execz .LBB125_289
; %bb.288:
	buffer_load_dword v2, off, s[0:3], 0 offset:384
	buffer_load_dword v3, off, s[0:3], 0 offset:388
	v_mov_b32_e32 v4, 0
	buffer_store_dword v4, off, s[0:3], 0 offset:384
	buffer_store_dword v4, off, s[0:3], 0 offset:388
	s_waitcnt vmcnt(2)
	ds_write_b64 v210, v[2:3]
.LBB125_289:
	s_or_b64 exec, exec, s[4:5]
	s_waitcnt lgkmcnt(0)
	; wave barrier
	s_waitcnt lgkmcnt(0)
	buffer_load_dword v3, off, s[0:3], 0 offset:396
	buffer_load_dword v48, off, s[0:3], 0 offset:404
	;; [unrolled: 1-line block ×28, first 2 shown]
	v_mov_b32_e32 v2, 0
	ds_read2_b64 v[4:7], v2 offset0:111 offset1:112
	ds_read2_b64 v[8:11], v2 offset0:113 offset1:114
	;; [unrolled: 1-line block ×6, first 2 shown]
	ds_read_b64 v[46:47], v2 offset:984
	v_cmp_lt_u32_e32 vcc, 47, v0
	s_waitcnt vmcnt(27) lgkmcnt(6)
	v_mul_f32_e32 v63, v4, v3
	v_mul_f32_e32 v3, v5, v3
	s_waitcnt vmcnt(26)
	v_mul_f32_e32 v64, v6, v48
	s_waitcnt vmcnt(24) lgkmcnt(5)
	v_mul_f32_e32 v49, v10, v52
	s_waitcnt vmcnt(23) lgkmcnt(4)
	v_mul_f32_e32 v51, v12, v53
	v_mul_f32_e32 v66, v11, v52
	;; [unrolled: 1-line block ×3, first 2 shown]
	s_waitcnt vmcnt(22)
	v_mov_b32_e32 v52, v29
	v_mul_f32_e32 v65, v8, v50
	v_mul_f32_e32 v48, v7, v48
	;; [unrolled: 1-line block ×3, first 2 shown]
	s_waitcnt vmcnt(17)
	v_fmac_f32_e32 v63, v5, v55
	v_fma_f32 v3, v4, v55, -v3
	v_pk_mul_f32 v[4:5], v[14:15], v[52:53] op_sel_hi:[1,0]
	s_waitcnt vmcnt(16)
	v_fmac_f32_e32 v64, v7, v57
	s_waitcnt vmcnt(13)
	v_fmac_f32_e32 v51, v13, v62
	v_fma_f32 v55, v6, v57, -v48
	v_fma_f32 v57, v8, v59, -v50
	;; [unrolled: 1-line block ×3, first 2 shown]
	v_add_f32_e32 v52, 0, v63
	v_add_f32_e32 v3, 0, v3
	s_waitcnt vmcnt(12)
	v_pk_fma_f32 v[12:13], v[14:15], v[28:29], v[4:5] op_sel:[0,0,1] op_sel_hi:[1,1,0] neg_lo:[0,0,1] neg_hi:[0,0,1]
	v_pk_fma_f32 v[4:5], v[14:15], v[28:29], v[4:5] op_sel:[0,0,1] op_sel_hi:[1,0,0]
	v_fmac_f32_e32 v65, v9, v59
	v_add_f32_e32 v4, v52, v64
	v_add_f32_e32 v3, v3, v55
	v_mov_b32_e32 v54, v31
	v_fmac_f32_e32 v49, v11, v61
	v_fma_f32 v48, v10, v61, -v66
	v_mov_b32_e32 v13, v5
	v_add_f32_e32 v5, v4, v65
	v_add_f32_e32 v4, v3, v57
	v_mov_b32_e32 v56, v33
	s_waitcnt lgkmcnt(3)
	v_pk_mul_f32 v[6:7], v[16:17], v[54:55] op_sel_hi:[1,0]
	v_pk_add_f32 v[4:5], v[4:5], v[48:49]
	v_mov_b32_e32 v58, v35
	v_mov_b32_e32 v60, v37
	v_pk_mul_f32 v[8:9], v[18:19], v[56:57] op_sel_hi:[1,0]
	s_waitcnt vmcnt(11)
	v_pk_fma_f32 v[14:15], v[16:17], v[30:31], v[6:7] op_sel:[0,0,1] op_sel_hi:[1,1,0] neg_lo:[0,0,1] neg_hi:[0,0,1]
	v_pk_fma_f32 v[6:7], v[16:17], v[30:31], v[6:7] op_sel:[0,0,1] op_sel_hi:[1,0,0]
	v_pk_add_f32 v[4:5], v[4:5], v[50:51]
	s_waitcnt lgkmcnt(2)
	v_pk_mul_f32 v[10:11], v[20:21], v[58:59] op_sel_hi:[1,0]
	s_waitcnt vmcnt(7)
	v_pk_fma_f32 v[16:17], v[18:19], v[32:33], v[8:9] op_sel:[0,0,1] op_sel_hi:[1,1,0] neg_lo:[0,0,1] neg_hi:[0,0,1]
	v_pk_fma_f32 v[8:9], v[18:19], v[32:33], v[8:9] op_sel:[0,0,1] op_sel_hi:[1,0,0]
	v_mov_b32_e32 v15, v7
	v_pk_add_f32 v[4:5], v[4:5], v[12:13]
	v_pk_mul_f32 v[6:7], v[22:23], v[60:61] op_sel_hi:[1,0]
	v_pk_fma_f32 v[18:19], v[20:21], v[34:35], v[10:11] op_sel:[0,0,1] op_sel_hi:[1,1,0] neg_lo:[0,0,1] neg_hi:[0,0,1]
	v_pk_fma_f32 v[10:11], v[20:21], v[34:35], v[10:11] op_sel:[0,0,1] op_sel_hi:[1,0,0]
	v_mov_b32_e32 v17, v9
	v_pk_add_f32 v[4:5], v[4:5], v[14:15]
	v_pk_fma_f32 v[8:9], v[22:23], v[36:37], v[6:7] op_sel:[0,0,1] op_sel_hi:[1,1,0] neg_lo:[0,0,1] neg_hi:[0,0,1]
	v_pk_fma_f32 v[6:7], v[22:23], v[36:37], v[6:7] op_sel:[0,0,1] op_sel_hi:[1,0,0]
	v_mov_b32_e32 v19, v11
	v_pk_add_f32 v[4:5], v[4:5], v[16:17]
	s_waitcnt vmcnt(6)
	v_mov_b32_e32 v6, v39
	v_pk_add_f32 v[4:5], v[4:5], v[18:19]
	v_mov_b32_e32 v9, v7
	s_waitcnt lgkmcnt(1)
	v_pk_mul_f32 v[6:7], v[24:25], v[6:7] op_sel_hi:[1,0]
	v_pk_add_f32 v[4:5], v[4:5], v[8:9]
	v_pk_fma_f32 v[8:9], v[24:25], v[38:39], v[6:7] op_sel:[0,0,1] op_sel_hi:[1,1,0] neg_lo:[0,0,1] neg_hi:[0,0,1]
	v_pk_fma_f32 v[6:7], v[24:25], v[38:39], v[6:7] op_sel:[0,0,1] op_sel_hi:[1,0,0]
	s_waitcnt vmcnt(5)
	v_mov_b32_e32 v6, v41
	v_mov_b32_e32 v9, v7
	v_pk_mul_f32 v[6:7], v[26:27], v[6:7] op_sel_hi:[1,0]
	v_pk_add_f32 v[4:5], v[4:5], v[8:9]
	s_waitcnt vmcnt(3)
	v_pk_fma_f32 v[8:9], v[26:27], v[40:41], v[6:7] op_sel:[0,0,1] op_sel_hi:[1,1,0] neg_lo:[0,0,1] neg_hi:[0,0,1]
	v_pk_fma_f32 v[6:7], v[26:27], v[40:41], v[6:7] op_sel:[0,0,1] op_sel_hi:[1,0,0]
	s_waitcnt vmcnt(2)
	v_mov_b32_e32 v6, v43
	v_mov_b32_e32 v9, v7
	s_waitcnt lgkmcnt(0)
	v_pk_mul_f32 v[6:7], v[46:47], v[6:7] op_sel_hi:[1,0]
	v_pk_add_f32 v[4:5], v[4:5], v[8:9]
	v_pk_fma_f32 v[8:9], v[46:47], v[42:43], v[6:7] op_sel:[0,0,1] op_sel_hi:[1,1,0] neg_lo:[0,0,1] neg_hi:[0,0,1]
	v_pk_fma_f32 v[6:7], v[46:47], v[42:43], v[6:7] op_sel:[0,0,1] op_sel_hi:[1,0,0]
	v_mov_b32_e32 v9, v7
	v_pk_add_f32 v[4:5], v[4:5], v[8:9]
	s_waitcnt vmcnt(0)
	v_pk_add_f32 v[4:5], v[44:45], v[4:5] neg_lo:[0,1] neg_hi:[0,1]
	buffer_store_dword v5, off, s[0:3], 0 offset:388
	buffer_store_dword v4, off, s[0:3], 0 offset:384
	s_and_saveexec_b64 s[4:5], vcc
	s_cbranch_execz .LBB125_291
; %bb.290:
	buffer_load_dword v4, off, s[0:3], 0 offset:376
	buffer_load_dword v5, off, s[0:3], 0 offset:380
	s_waitcnt vmcnt(0)
	ds_write_b64 v210, v[4:5]
	buffer_store_dword v2, off, s[0:3], 0 offset:376
	buffer_store_dword v2, off, s[0:3], 0 offset:380
.LBB125_291:
	s_or_b64 exec, exec, s[4:5]
	s_waitcnt lgkmcnt(0)
	; wave barrier
	s_waitcnt lgkmcnt(0)
	buffer_load_dword v50, off, s[0:3], 0 offset:388
	buffer_load_dword v52, off, s[0:3], 0 offset:396
	;; [unrolled: 1-line block ×30, first 2 shown]
	ds_read_b128 v[4:7], v2 offset:880
	ds_read_b128 v[8:11], v2 offset:896
	;; [unrolled: 1-line block ×7, first 2 shown]
	v_cmp_lt_u32_e32 vcc, 46, v0
	s_waitcnt vmcnt(29) lgkmcnt(6)
	v_mul_f32_e32 v63, v4, v50
	s_waitcnt vmcnt(28)
	v_mul_f32_e32 v64, v6, v52
	s_waitcnt vmcnt(27) lgkmcnt(5)
	v_mul_f32_e32 v65, v8, v53
	v_mul_f32_e32 v53, v9, v53
	s_waitcnt vmcnt(26)
	v_mul_f32_e32 v66, v10, v54
	s_waitcnt vmcnt(25) lgkmcnt(4)
	v_mul_f32_e32 v3, v12, v55
	v_mul_f32_e32 v2, v5, v50
	;; [unrolled: 1-line block ×5, first 2 shown]
	s_waitcnt vmcnt(23)
	v_mov_b32_e32 v52, v33
	s_waitcnt vmcnt(22)
	v_mov_b32_e32 v54, v35
	s_waitcnt vmcnt(18)
	v_fma_f32 v53, v8, v59, -v53
	v_fmac_f32_e32 v63, v5, v57
	v_fmac_f32_e32 v64, v7, v58
	s_waitcnt vmcnt(17)
	v_fmac_f32_e32 v66, v11, v60
	v_fma_f32 v11, v4, v57, -v2
	v_fma_f32 v57, v6, v58, -v50
	s_waitcnt lgkmcnt(3)
	v_pk_mul_f32 v[4:5], v[16:17], v[52:53] op_sel_hi:[1,0]
	v_pk_mul_f32 v[6:7], v[18:19], v[54:55] op_sel_hi:[1,0]
	s_waitcnt vmcnt(16)
	v_fmac_f32_e32 v3, v13, v61
	v_fma_f32 v58, v10, v60, -v67
	v_fma_f32 v2, v12, v61, -v55
	v_add_f32_e32 v52, 0, v63
	v_add_f32_e32 v54, 0, v11
	s_waitcnt vmcnt(14)
	v_pk_fma_f32 v[10:11], v[16:17], v[32:33], v[4:5] op_sel:[0,0,1] op_sel_hi:[1,1,0] neg_lo:[0,0,1] neg_hi:[0,0,1]
	v_pk_fma_f32 v[4:5], v[16:17], v[32:33], v[4:5] op_sel:[0,0,1] op_sel_hi:[1,0,0]
	s_waitcnt vmcnt(10)
	v_pk_fma_f32 v[12:13], v[18:19], v[34:35], v[6:7] op_sel:[0,0,1] op_sel_hi:[1,1,0] neg_lo:[0,0,1] neg_hi:[0,0,1]
	v_pk_fma_f32 v[6:7], v[18:19], v[34:35], v[6:7] op_sel:[0,0,1] op_sel_hi:[1,0,0]
	v_fmac_f32_e32 v65, v9, v59
	v_add_f32_e32 v4, v52, v64
	v_add_f32_e32 v6, v54, v57
	;; [unrolled: 1-line block ×4, first 2 shown]
	v_mul_f32_e32 v51, v14, v56
	v_mul_f32_e32 v68, v15, v56
	v_mov_b32_e32 v11, v5
	v_add_f32_e32 v5, v4, v66
	v_add_f32_e32 v4, v6, v58
	v_mov_b32_e32 v56, v37
	v_fmac_f32_e32 v51, v15, v62
	v_fma_f32 v50, v14, v62, -v68
	v_pk_add_f32 v[2:3], v[4:5], v[2:3]
	s_waitcnt vmcnt(9)
	v_mov_b32_e32 v4, v41
	s_waitcnt lgkmcnt(2)
	v_pk_mul_f32 v[8:9], v[20:21], v[56:57] op_sel_hi:[1,0]
	v_pk_add_f32 v[2:3], v[2:3], v[50:51]
	v_pk_mul_f32 v[4:5], v[22:23], v[4:5] op_sel_hi:[1,0]
	v_pk_fma_f32 v[14:15], v[20:21], v[36:37], v[8:9] op_sel:[0,0,1] op_sel_hi:[1,1,0] neg_lo:[0,0,1] neg_hi:[0,0,1]
	v_pk_fma_f32 v[8:9], v[20:21], v[36:37], v[8:9] op_sel:[0,0,1] op_sel_hi:[1,0,0]
	v_mov_b32_e32 v13, v7
	v_pk_add_f32 v[2:3], v[2:3], v[10:11]
	v_pk_fma_f32 v[6:7], v[22:23], v[40:41], v[4:5] op_sel:[0,0,1] op_sel_hi:[1,1,0] neg_lo:[0,0,1] neg_hi:[0,0,1]
	v_pk_fma_f32 v[4:5], v[22:23], v[40:41], v[4:5] op_sel:[0,0,1] op_sel_hi:[1,0,0]
	v_mov_b32_e32 v15, v9
	v_pk_add_f32 v[2:3], v[2:3], v[12:13]
	s_waitcnt vmcnt(8)
	v_mov_b32_e32 v4, v39
	v_pk_add_f32 v[2:3], v[2:3], v[14:15]
	v_mov_b32_e32 v7, v5
	s_waitcnt lgkmcnt(1)
	v_pk_mul_f32 v[4:5], v[24:25], v[4:5] op_sel_hi:[1,0]
	v_pk_add_f32 v[2:3], v[2:3], v[6:7]
	v_pk_fma_f32 v[6:7], v[24:25], v[38:39], v[4:5] op_sel:[0,0,1] op_sel_hi:[1,1,0] neg_lo:[0,0,1] neg_hi:[0,0,1]
	v_pk_fma_f32 v[4:5], v[24:25], v[38:39], v[4:5] op_sel:[0,0,1] op_sel_hi:[1,0,0]
	s_waitcnt vmcnt(7)
	v_mov_b32_e32 v4, v43
	v_mov_b32_e32 v7, v5
	v_pk_mul_f32 v[4:5], v[26:27], v[4:5] op_sel_hi:[1,0]
	v_pk_add_f32 v[2:3], v[2:3], v[6:7]
	s_waitcnt vmcnt(4)
	v_pk_fma_f32 v[6:7], v[26:27], v[42:43], v[4:5] op_sel:[0,0,1] op_sel_hi:[1,1,0] neg_lo:[0,0,1] neg_hi:[0,0,1]
	v_pk_fma_f32 v[4:5], v[26:27], v[42:43], v[4:5] op_sel:[0,0,1] op_sel_hi:[1,0,0]
	s_waitcnt vmcnt(3)
	v_mov_b32_e32 v4, v47
	v_mov_b32_e32 v7, v5
	s_waitcnt lgkmcnt(0)
	v_pk_mul_f32 v[4:5], v[28:29], v[4:5] op_sel_hi:[1,0]
	v_pk_add_f32 v[2:3], v[2:3], v[6:7]
	v_pk_fma_f32 v[6:7], v[28:29], v[46:47], v[4:5] op_sel:[0,0,1] op_sel_hi:[1,1,0] neg_lo:[0,0,1] neg_hi:[0,0,1]
	v_pk_fma_f32 v[4:5], v[28:29], v[46:47], v[4:5] op_sel:[0,0,1] op_sel_hi:[1,0,0]
	s_waitcnt vmcnt(0)
	v_mov_b32_e32 v4, v45
	v_mov_b32_e32 v7, v5
	v_pk_mul_f32 v[4:5], v[30:31], v[4:5] op_sel_hi:[1,0]
	v_pk_add_f32 v[2:3], v[2:3], v[6:7]
	v_pk_fma_f32 v[6:7], v[30:31], v[44:45], v[4:5] op_sel:[0,0,1] op_sel_hi:[1,1,0] neg_lo:[0,0,1] neg_hi:[0,0,1]
	v_pk_fma_f32 v[4:5], v[30:31], v[44:45], v[4:5] op_sel:[0,0,1] op_sel_hi:[1,0,0]
	v_mov_b32_e32 v7, v5
	v_pk_add_f32 v[2:3], v[2:3], v[6:7]
	v_pk_add_f32 v[2:3], v[48:49], v[2:3] neg_lo:[0,1] neg_hi:[0,1]
	buffer_store_dword v3, off, s[0:3], 0 offset:380
	buffer_store_dword v2, off, s[0:3], 0 offset:376
	s_and_saveexec_b64 s[4:5], vcc
	s_cbranch_execz .LBB125_293
; %bb.292:
	buffer_load_dword v2, off, s[0:3], 0 offset:368
	buffer_load_dword v3, off, s[0:3], 0 offset:372
	v_mov_b32_e32 v4, 0
	buffer_store_dword v4, off, s[0:3], 0 offset:368
	buffer_store_dword v4, off, s[0:3], 0 offset:372
	s_waitcnt vmcnt(2)
	ds_write_b64 v210, v[2:3]
.LBB125_293:
	s_or_b64 exec, exec, s[4:5]
	s_waitcnt lgkmcnt(0)
	; wave barrier
	s_waitcnt lgkmcnt(0)
	buffer_load_dword v3, off, s[0:3], 0 offset:380
	buffer_load_dword v52, off, s[0:3], 0 offset:388
	buffer_load_dword v54, off, s[0:3], 0 offset:396
	buffer_load_dword v56, off, s[0:3], 0 offset:404
	buffer_load_dword v57, off, s[0:3], 0 offset:412
	buffer_load_dword v58, off, s[0:3], 0 offset:420
	buffer_load_dword v59, off, s[0:3], 0 offset:428
	buffer_load_dword v33, off, s[0:3], 0 offset:436
	buffer_load_dword v35, off, s[0:3], 0 offset:444
	buffer_load_dword v60, off, s[0:3], 0 offset:376
	buffer_load_dword v61, off, s[0:3], 0 offset:384
	buffer_load_dword v62, off, s[0:3], 0 offset:392
	buffer_load_dword v63, off, s[0:3], 0 offset:400
	buffer_load_dword v64, off, s[0:3], 0 offset:408
	buffer_load_dword v65, off, s[0:3], 0 offset:416
	buffer_load_dword v66, off, s[0:3], 0 offset:424
	buffer_load_dword v36, off, s[0:3], 0 offset:456
	buffer_load_dword v38, off, s[0:3], 0 offset:448
	buffer_load_dword v34, off, s[0:3], 0 offset:440
	buffer_load_dword v32, off, s[0:3], 0 offset:432
	buffer_load_dword v39, off, s[0:3], 0 offset:452
	buffer_load_dword v37, off, s[0:3], 0 offset:460
	buffer_load_dword v41, off, s[0:3], 0 offset:468
	buffer_load_dword v42, off, s[0:3], 0 offset:488
	buffer_load_dword v44, off, s[0:3], 0 offset:480
	buffer_load_dword v47, off, s[0:3], 0 offset:476
	buffer_load_dword v46, off, s[0:3], 0 offset:472
	buffer_load_dword v40, off, s[0:3], 0 offset:464
	buffer_load_dword v45, off, s[0:3], 0 offset:484
	buffer_load_dword v48, off, s[0:3], 0 offset:368
	buffer_load_dword v49, off, s[0:3], 0 offset:372
	buffer_load_dword v43, off, s[0:3], 0 offset:492
	v_mov_b32_e32 v2, 0
	ds_read2_b64 v[4:7], v2 offset0:109 offset1:110
	ds_read2_b64 v[8:11], v2 offset0:111 offset1:112
	;; [unrolled: 1-line block ×7, first 2 shown]
	ds_read_b64 v[50:51], v2 offset:984
	v_cmp_lt_u32_e32 vcc, 45, v0
	s_waitcnt vmcnt(31) lgkmcnt(7)
	v_mul_f32_e32 v67, v4, v3
	v_mul_f32_e32 v3, v5, v3
	s_waitcnt vmcnt(30)
	v_mul_f32_e32 v68, v6, v52
	s_waitcnt vmcnt(28) lgkmcnt(6)
	v_mul_f32_e32 v70, v10, v56
	s_waitcnt vmcnt(27) lgkmcnt(5)
	v_mul_f32_e32 v71, v12, v57
	v_mul_f32_e32 v72, v11, v56
	;; [unrolled: 1-line block ×3, first 2 shown]
	s_waitcnt vmcnt(24)
	v_mov_b32_e32 v56, v33
	v_mul_f32_e32 v69, v8, v54
	v_mul_f32_e32 v52, v7, v52
	s_waitcnt vmcnt(22)
	v_fmac_f32_e32 v67, v5, v60
	v_fma_f32 v3, v4, v60, -v3
	s_waitcnt lgkmcnt(4)
	v_pk_mul_f32 v[4:5], v[18:19], v[56:57] op_sel_hi:[1,0]
	v_mul_f32_e32 v54, v9, v54
	s_waitcnt vmcnt(21)
	v_fmac_f32_e32 v68, v7, v61
	s_waitcnt vmcnt(20)
	v_fmac_f32_e32 v69, v9, v62
	;; [unrolled: 2-line block ×3, first 2 shown]
	v_fma_f32 v9, v6, v61, -v52
	s_waitcnt vmcnt(18)
	v_fma_f32 v11, v12, v64, -v57
	v_add_f32_e32 v12, 0, v67
	v_add_f32_e32 v3, 0, v3
	s_waitcnt vmcnt(12)
	v_pk_fma_f32 v[6:7], v[18:19], v[32:33], v[4:5] op_sel:[0,0,1] op_sel_hi:[1,1,0] neg_lo:[0,0,1] neg_hi:[0,0,1]
	v_pk_fma_f32 v[4:5], v[18:19], v[32:33], v[4:5] op_sel:[0,0,1] op_sel_hi:[1,0,0]
	v_fma_f32 v8, v8, v62, -v54
	v_add_f32_e32 v4, v12, v68
	v_add_f32_e32 v3, v3, v9
	v_fma_f32 v10, v10, v63, -v72
	v_add_f32_e32 v4, v4, v69
	v_add_f32_e32 v3, v3, v8
	v_mul_f32_e32 v53, v14, v58
	v_mul_f32_e32 v73, v15, v58
	v_fmac_f32_e32 v71, v13, v64
	v_add_f32_e32 v4, v4, v70
	v_add_f32_e32 v3, v3, v10
	v_mul_f32_e32 v55, v16, v59
	v_mul_f32_e32 v59, v17, v59
	v_fmac_f32_e32 v53, v15, v65
	v_fma_f32 v52, v14, v65, -v73
	v_mov_b32_e32 v7, v5
	v_add_f32_e32 v5, v4, v71
	v_add_f32_e32 v4, v3, v11
	v_fmac_f32_e32 v55, v17, v66
	v_fma_f32 v54, v16, v66, -v59
	v_pk_add_f32 v[4:5], v[4:5], v[52:53]
	v_mov_b32_e32 v58, v35
	v_pk_add_f32 v[4:5], v[4:5], v[54:55]
	v_pk_add_f32 v[4:5], v[4:5], v[6:7]
	s_waitcnt lgkmcnt(3)
	v_pk_mul_f32 v[6:7], v[20:21], v[58:59] op_sel_hi:[1,0]
	v_pk_fma_f32 v[8:9], v[20:21], v[34:35], v[6:7] op_sel:[0,0,1] op_sel_hi:[1,1,0] neg_lo:[0,0,1] neg_hi:[0,0,1]
	v_pk_fma_f32 v[6:7], v[20:21], v[34:35], v[6:7] op_sel:[0,0,1] op_sel_hi:[1,0,0]
	s_waitcnt vmcnt(11)
	v_mov_b32_e32 v6, v39
	v_mov_b32_e32 v9, v7
	v_pk_mul_f32 v[6:7], v[22:23], v[6:7] op_sel_hi:[1,0]
	v_pk_add_f32 v[4:5], v[4:5], v[8:9]
	v_pk_fma_f32 v[8:9], v[22:23], v[38:39], v[6:7] op_sel:[0,0,1] op_sel_hi:[1,1,0] neg_lo:[0,0,1] neg_hi:[0,0,1]
	v_pk_fma_f32 v[6:7], v[22:23], v[38:39], v[6:7] op_sel:[0,0,1] op_sel_hi:[1,0,0]
	s_waitcnt vmcnt(10)
	v_mov_b32_e32 v6, v37
	v_mov_b32_e32 v9, v7
	s_waitcnt lgkmcnt(2)
	v_pk_mul_f32 v[6:7], v[24:25], v[6:7] op_sel_hi:[1,0]
	v_pk_add_f32 v[4:5], v[4:5], v[8:9]
	v_pk_fma_f32 v[8:9], v[24:25], v[36:37], v[6:7] op_sel:[0,0,1] op_sel_hi:[1,1,0] neg_lo:[0,0,1] neg_hi:[0,0,1]
	v_pk_fma_f32 v[6:7], v[24:25], v[36:37], v[6:7] op_sel:[0,0,1] op_sel_hi:[1,0,0]
	s_waitcnt vmcnt(9)
	v_mov_b32_e32 v6, v41
	v_mov_b32_e32 v9, v7
	v_pk_mul_f32 v[6:7], v[26:27], v[6:7] op_sel_hi:[1,0]
	v_pk_add_f32 v[4:5], v[4:5], v[8:9]
	s_waitcnt vmcnt(4)
	v_pk_fma_f32 v[8:9], v[26:27], v[40:41], v[6:7] op_sel:[0,0,1] op_sel_hi:[1,1,0] neg_lo:[0,0,1] neg_hi:[0,0,1]
	v_pk_fma_f32 v[6:7], v[26:27], v[40:41], v[6:7] op_sel:[0,0,1] op_sel_hi:[1,0,0]
	v_mov_b32_e32 v6, v47
	v_mov_b32_e32 v9, v7
	s_waitcnt lgkmcnt(1)
	v_pk_mul_f32 v[6:7], v[28:29], v[6:7] op_sel_hi:[1,0]
	v_pk_add_f32 v[4:5], v[4:5], v[8:9]
	v_pk_fma_f32 v[8:9], v[28:29], v[46:47], v[6:7] op_sel:[0,0,1] op_sel_hi:[1,1,0] neg_lo:[0,0,1] neg_hi:[0,0,1]
	v_pk_fma_f32 v[6:7], v[28:29], v[46:47], v[6:7] op_sel:[0,0,1] op_sel_hi:[1,0,0]
	s_waitcnt vmcnt(3)
	v_mov_b32_e32 v6, v45
	v_mov_b32_e32 v9, v7
	v_pk_mul_f32 v[6:7], v[30:31], v[6:7] op_sel_hi:[1,0]
	v_pk_add_f32 v[4:5], v[4:5], v[8:9]
	v_pk_fma_f32 v[8:9], v[30:31], v[44:45], v[6:7] op_sel:[0,0,1] op_sel_hi:[1,1,0] neg_lo:[0,0,1] neg_hi:[0,0,1]
	v_pk_fma_f32 v[6:7], v[30:31], v[44:45], v[6:7] op_sel:[0,0,1] op_sel_hi:[1,0,0]
	s_waitcnt vmcnt(0)
	v_mov_b32_e32 v6, v43
	v_mov_b32_e32 v9, v7
	s_waitcnt lgkmcnt(0)
	v_pk_mul_f32 v[6:7], v[50:51], v[6:7] op_sel_hi:[1,0]
	v_pk_add_f32 v[4:5], v[4:5], v[8:9]
	v_pk_fma_f32 v[8:9], v[50:51], v[42:43], v[6:7] op_sel:[0,0,1] op_sel_hi:[1,1,0] neg_lo:[0,0,1] neg_hi:[0,0,1]
	v_pk_fma_f32 v[6:7], v[50:51], v[42:43], v[6:7] op_sel:[0,0,1] op_sel_hi:[1,0,0]
	v_mov_b32_e32 v9, v7
	v_pk_add_f32 v[4:5], v[4:5], v[8:9]
	v_pk_add_f32 v[4:5], v[48:49], v[4:5] neg_lo:[0,1] neg_hi:[0,1]
	buffer_store_dword v5, off, s[0:3], 0 offset:372
	buffer_store_dword v4, off, s[0:3], 0 offset:368
	s_and_saveexec_b64 s[4:5], vcc
	s_cbranch_execz .LBB125_295
; %bb.294:
	buffer_load_dword v4, off, s[0:3], 0 offset:360
	buffer_load_dword v5, off, s[0:3], 0 offset:364
	s_waitcnt vmcnt(0)
	ds_write_b64 v210, v[4:5]
	buffer_store_dword v2, off, s[0:3], 0 offset:360
	buffer_store_dword v2, off, s[0:3], 0 offset:364
.LBB125_295:
	s_or_b64 exec, exec, s[4:5]
	s_waitcnt lgkmcnt(0)
	; wave barrier
	s_waitcnt lgkmcnt(0)
	buffer_load_dword v54, off, s[0:3], 0 offset:372
	buffer_load_dword v56, off, s[0:3], 0 offset:380
	;; [unrolled: 1-line block ×32, first 2 shown]
	ds_read_b128 v[4:7], v2 offset:864
	ds_read_b128 v[8:11], v2 offset:880
	;; [unrolled: 1-line block ×4, first 2 shown]
	buffer_load_dword v53, off, s[0:3], 0 offset:492
	buffer_load_dword v52, off, s[0:3], 0 offset:488
	ds_read_b128 v[20:23], v2 offset:928
	ds_read_b128 v[24:27], v2 offset:944
	;; [unrolled: 1-line block ×4, first 2 shown]
	v_cmp_lt_u32_e32 vcc, 44, v0
	s_waitcnt vmcnt(33) lgkmcnt(7)
	v_mul_f32_e32 v71, v4, v54
	v_mul_f32_e32 v2, v5, v54
	s_waitcnt vmcnt(32)
	v_mul_f32_e32 v72, v6, v56
	s_waitcnt vmcnt(31) lgkmcnt(6)
	v_mul_f32_e32 v73, v8, v57
	v_mul_f32_e32 v54, v7, v56
	;; [unrolled: 1-line block ×3, first 2 shown]
	s_waitcnt vmcnt(30)
	v_mul_f32_e32 v57, v11, v58
	v_mul_f32_e32 v74, v10, v58
	s_waitcnt vmcnt(25)
	v_fmac_f32_e32 v71, v5, v63
	v_fma_f32 v4, v4, v63, -v2
	s_waitcnt vmcnt(24)
	v_fmac_f32_e32 v72, v7, v64
	v_fma_f32 v5, v6, v64, -v54
	s_waitcnt vmcnt(22)
	v_fma_f32 v7, v10, v66, -v57
	v_add_f32_e32 v10, 0, v71
	v_add_f32_e32 v4, 0, v4
	v_fmac_f32_e32 v73, v9, v65
	v_fma_f32 v6, v8, v65, -v56
	v_add_f32_e32 v10, v10, v72
	v_add_f32_e32 v4, v4, v5
	s_waitcnt lgkmcnt(5)
	v_mul_f32_e32 v75, v12, v59
	v_mul_f32_e32 v58, v13, v59
	v_fmac_f32_e32 v74, v11, v66
	v_add_f32_e32 v5, v10, v73
	v_add_f32_e32 v4, v4, v6
	v_mul_f32_e32 v76, v14, v60
	v_mul_f32_e32 v59, v15, v60
	s_waitcnt vmcnt(21)
	v_fmac_f32_e32 v75, v13, v67
	v_fma_f32 v8, v12, v67, -v58
	v_add_f32_e32 v5, v5, v74
	v_add_f32_e32 v4, v4, v7
	s_waitcnt lgkmcnt(4)
	v_mul_f32_e32 v3, v16, v61
	v_mul_f32_e32 v60, v17, v61
	s_waitcnt vmcnt(20)
	v_fmac_f32_e32 v76, v15, v68
	v_fma_f32 v9, v14, v68, -v59
	v_add_f32_e32 v5, v5, v75
	v_add_f32_e32 v4, v4, v8
	s_waitcnt vmcnt(19)
	v_fmac_f32_e32 v3, v17, v69
	v_fma_f32 v2, v16, v69, -v60
	v_add_f32_e32 v5, v5, v76
	v_add_f32_e32 v4, v4, v9
	v_pk_add_f32 v[2:3], v[4:5], v[2:3]
	s_waitcnt vmcnt(17)
	v_mov_b32_e32 v4, v37
	s_waitcnt lgkmcnt(3)
	v_pk_mul_f32 v[4:5], v[20:21], v[4:5] op_sel_hi:[1,0]
	v_mul_f32_e32 v55, v18, v62
	v_mul_f32_e32 v61, v19, v62
	s_waitcnt vmcnt(14)
	v_pk_fma_f32 v[6:7], v[20:21], v[36:37], v[4:5] op_sel:[0,0,1] op_sel_hi:[1,1,0] neg_lo:[0,0,1] neg_hi:[0,0,1]
	v_pk_fma_f32 v[4:5], v[20:21], v[36:37], v[4:5] op_sel:[0,0,1] op_sel_hi:[1,0,0]
	v_fmac_f32_e32 v55, v19, v70
	v_fma_f32 v54, v18, v70, -v61
	s_waitcnt vmcnt(13)
	v_mov_b32_e32 v4, v41
	v_pk_add_f32 v[2:3], v[2:3], v[54:55]
	v_mov_b32_e32 v7, v5
	v_pk_mul_f32 v[4:5], v[22:23], v[4:5] op_sel_hi:[1,0]
	v_pk_add_f32 v[2:3], v[2:3], v[6:7]
	v_pk_fma_f32 v[6:7], v[22:23], v[40:41], v[4:5] op_sel:[0,0,1] op_sel_hi:[1,1,0] neg_lo:[0,0,1] neg_hi:[0,0,1]
	v_pk_fma_f32 v[4:5], v[22:23], v[40:41], v[4:5] op_sel:[0,0,1] op_sel_hi:[1,0,0]
	s_waitcnt vmcnt(12)
	v_mov_b32_e32 v4, v39
	v_mov_b32_e32 v7, v5
	s_waitcnt lgkmcnt(2)
	v_pk_mul_f32 v[4:5], v[24:25], v[4:5] op_sel_hi:[1,0]
	v_pk_add_f32 v[2:3], v[2:3], v[6:7]
	v_pk_fma_f32 v[6:7], v[24:25], v[38:39], v[4:5] op_sel:[0,0,1] op_sel_hi:[1,1,0] neg_lo:[0,0,1] neg_hi:[0,0,1]
	v_pk_fma_f32 v[4:5], v[24:25], v[38:39], v[4:5] op_sel:[0,0,1] op_sel_hi:[1,0,0]
	s_waitcnt vmcnt(11)
	v_mov_b32_e32 v4, v43
	v_mov_b32_e32 v7, v5
	v_pk_mul_f32 v[4:5], v[26:27], v[4:5] op_sel_hi:[1,0]
	v_pk_add_f32 v[2:3], v[2:3], v[6:7]
	s_waitcnt vmcnt(5)
	v_pk_fma_f32 v[6:7], v[26:27], v[42:43], v[4:5] op_sel:[0,0,1] op_sel_hi:[1,1,0] neg_lo:[0,0,1] neg_hi:[0,0,1]
	v_pk_fma_f32 v[4:5], v[26:27], v[42:43], v[4:5] op_sel:[0,0,1] op_sel_hi:[1,0,0]
	v_mov_b32_e32 v4, v49
	v_mov_b32_e32 v7, v5
	s_waitcnt lgkmcnt(1)
	v_pk_mul_f32 v[4:5], v[28:29], v[4:5] op_sel_hi:[1,0]
	v_pk_add_f32 v[2:3], v[2:3], v[6:7]
	v_pk_fma_f32 v[6:7], v[28:29], v[48:49], v[4:5] op_sel:[0,0,1] op_sel_hi:[1,1,0] neg_lo:[0,0,1] neg_hi:[0,0,1]
	v_pk_fma_f32 v[4:5], v[28:29], v[48:49], v[4:5] op_sel:[0,0,1] op_sel_hi:[1,0,0]
	v_mov_b32_e32 v4, v47
	v_mov_b32_e32 v7, v5
	v_pk_mul_f32 v[4:5], v[30:31], v[4:5] op_sel_hi:[1,0]
	v_pk_add_f32 v[2:3], v[2:3], v[6:7]
	v_pk_fma_f32 v[6:7], v[30:31], v[46:47], v[4:5] op_sel:[0,0,1] op_sel_hi:[1,1,0] neg_lo:[0,0,1] neg_hi:[0,0,1]
	v_pk_fma_f32 v[4:5], v[30:31], v[46:47], v[4:5] op_sel:[0,0,1] op_sel_hi:[1,0,0]
	s_waitcnt vmcnt(2)
	v_mov_b32_e32 v4, v45
	v_mov_b32_e32 v7, v5
	s_waitcnt lgkmcnt(0)
	v_pk_mul_f32 v[4:5], v[32:33], v[4:5] op_sel_hi:[1,0]
	v_pk_add_f32 v[2:3], v[2:3], v[6:7]
	v_pk_fma_f32 v[6:7], v[32:33], v[44:45], v[4:5] op_sel:[0,0,1] op_sel_hi:[1,1,0] neg_lo:[0,0,1] neg_hi:[0,0,1]
	v_pk_fma_f32 v[4:5], v[32:33], v[44:45], v[4:5] op_sel:[0,0,1] op_sel_hi:[1,0,0]
	s_waitcnt vmcnt(1)
	v_mov_b32_e32 v4, v53
	v_mov_b32_e32 v7, v5
	v_pk_mul_f32 v[4:5], v[34:35], v[4:5] op_sel_hi:[1,0]
	v_pk_add_f32 v[2:3], v[2:3], v[6:7]
	s_waitcnt vmcnt(0)
	v_pk_fma_f32 v[6:7], v[34:35], v[52:53], v[4:5] op_sel:[0,0,1] op_sel_hi:[1,1,0] neg_lo:[0,0,1] neg_hi:[0,0,1]
	v_pk_fma_f32 v[4:5], v[34:35], v[52:53], v[4:5] op_sel:[0,0,1] op_sel_hi:[1,0,0]
	v_mov_b32_e32 v7, v5
	v_pk_add_f32 v[2:3], v[2:3], v[6:7]
	v_pk_add_f32 v[2:3], v[50:51], v[2:3] neg_lo:[0,1] neg_hi:[0,1]
	buffer_store_dword v3, off, s[0:3], 0 offset:364
	buffer_store_dword v2, off, s[0:3], 0 offset:360
	s_and_saveexec_b64 s[4:5], vcc
	s_cbranch_execz .LBB125_297
; %bb.296:
	buffer_load_dword v2, off, s[0:3], 0 offset:352
	buffer_load_dword v3, off, s[0:3], 0 offset:356
	v_mov_b32_e32 v4, 0
	buffer_store_dword v4, off, s[0:3], 0 offset:352
	buffer_store_dword v4, off, s[0:3], 0 offset:356
	s_waitcnt vmcnt(2)
	ds_write_b64 v210, v[2:3]
.LBB125_297:
	s_or_b64 exec, exec, s[4:5]
	s_waitcnt lgkmcnt(0)
	; wave barrier
	s_waitcnt lgkmcnt(0)
	buffer_load_dword v3, off, s[0:3], 0 offset:364
	buffer_load_dword v46, off, s[0:3], 0 offset:372
	;; [unrolled: 1-line block ×36, first 2 shown]
	v_mov_b32_e32 v2, 0
	ds_read2_b64 v[4:7], v2 offset0:107 offset1:108
	ds_read2_b64 v[8:11], v2 offset0:109 offset1:110
	;; [unrolled: 1-line block ×6, first 2 shown]
	v_cmp_lt_u32_e32 vcc, 43, v0
	s_waitcnt vmcnt(35) lgkmcnt(5)
	v_mul_f32_e32 v65, v4, v3
	s_waitcnt vmcnt(34)
	v_mul_f32_e32 v66, v6, v46
	s_waitcnt vmcnt(33) lgkmcnt(4)
	v_mul_f32_e32 v67, v8, v48
	v_mul_f32_e32 v3, v5, v3
	;; [unrolled: 1-line block ×4, first 2 shown]
	s_waitcnt vmcnt(32)
	v_mul_f32_e32 v68, v10, v50
	s_waitcnt vmcnt(31) lgkmcnt(3)
	v_mul_f32_e32 v69, v12, v51
	v_mul_f32_e32 v50, v11, v50
	s_waitcnt vmcnt(26)
	v_fmac_f32_e32 v65, v5, v56
	s_waitcnt vmcnt(25)
	v_fmac_f32_e32 v66, v7, v57
	;; [unrolled: 2-line block ×3, first 2 shown]
	v_fma_f32 v3, v4, v56, -v3
	v_add_f32_e32 v9, 0, v65
	v_fma_f32 v4, v6, v57, -v46
	v_add_f32_e32 v3, 0, v3
	v_add_f32_e32 v9, v9, v66
	s_waitcnt vmcnt(23)
	v_fmac_f32_e32 v68, v11, v59
	v_fma_f32 v5, v8, v58, -v48
	v_add_f32_e32 v3, v3, v4
	v_add_f32_e32 v4, v9, v67
	v_mul_f32_e32 v70, v14, v52
	v_mul_f32_e32 v51, v13, v51
	s_waitcnt vmcnt(22)
	v_fmac_f32_e32 v69, v13, v60
	v_fma_f32 v6, v10, v59, -v50
	v_add_f32_e32 v3, v3, v5
	v_add_f32_e32 v4, v4, v68
	s_waitcnt lgkmcnt(2)
	v_mul_f32_e32 v71, v16, v53
	v_mul_f32_e32 v52, v15, v52
	s_waitcnt vmcnt(21)
	v_fmac_f32_e32 v70, v15, v61
	v_fma_f32 v7, v12, v60, -v51
	v_add_f32_e32 v3, v3, v6
	v_add_f32_e32 v4, v4, v69
	v_mul_f32_e32 v53, v17, v53
	s_waitcnt vmcnt(20)
	v_fmac_f32_e32 v71, v17, v62
	v_fma_f32 v8, v14, v61, -v52
	v_add_f32_e32 v3, v3, v7
	v_add_f32_e32 v4, v4, v70
	;; [unrolled: 1-line block ×4, first 2 shown]
	v_fma_f32 v4, v16, v62, -v53
	s_waitcnt vmcnt(17)
	v_mov_b32_e32 v16, v29
	v_mul_f32_e32 v47, v18, v54
	v_add_f32_e32 v12, v3, v4
	v_mul_f32_e32 v3, v19, v54
	s_waitcnt lgkmcnt(1)
	v_pk_mul_f32 v[16:17], v[22:23], v[16:17] op_sel_hi:[1,0]
	v_mul_f32_e32 v49, v20, v55
	v_fmac_f32_e32 v47, v19, v63
	v_fma_f32 v46, v18, v63, -v3
	v_mul_f32_e32 v3, v21, v55
	s_waitcnt vmcnt(15)
	v_pk_fma_f32 v[18:19], v[22:23], v[28:29], v[16:17] op_sel:[0,0,1] op_sel_hi:[1,1,0] neg_lo:[0,0,1] neg_hi:[0,0,1]
	v_pk_fma_f32 v[16:17], v[22:23], v[28:29], v[16:17] op_sel:[0,0,1] op_sel_hi:[1,0,0]
	v_fmac_f32_e32 v49, v21, v64
	v_fma_f32 v48, v20, v64, -v3
	v_pk_add_f32 v[12:13], v[12:13], v[46:47]
	s_waitcnt vmcnt(12)
	v_mov_b32_e32 v16, v31
	v_pk_add_f32 v[12:13], v[12:13], v[48:49]
	v_mov_b32_e32 v19, v17
	s_waitcnt lgkmcnt(0)
	v_pk_mul_f32 v[16:17], v[24:25], v[16:17] op_sel_hi:[1,0]
	v_pk_add_f32 v[12:13], v[12:13], v[18:19]
	v_pk_fma_f32 v[18:19], v[24:25], v[30:31], v[16:17] op_sel:[0,0,1] op_sel_hi:[1,1,0] neg_lo:[0,0,1] neg_hi:[0,0,1]
	v_pk_fma_f32 v[16:17], v[24:25], v[30:31], v[16:17] op_sel:[0,0,1] op_sel_hi:[1,0,0]
	s_waitcnt vmcnt(11)
	v_mov_b32_e32 v16, v35
	ds_read2_b64 v[4:7], v2 offset0:119 offset1:120
	ds_read2_b64 v[8:11], v2 offset0:121 offset1:122
	ds_read_b64 v[14:15], v2 offset:984
	v_mov_b32_e32 v19, v17
	v_pk_mul_f32 v[16:17], v[26:27], v[16:17] op_sel_hi:[1,0]
	v_pk_add_f32 v[12:13], v[12:13], v[18:19]
	s_waitcnt vmcnt(4)
	v_pk_fma_f32 v[18:19], v[26:27], v[34:35], v[16:17] op_sel:[0,0,1] op_sel_hi:[1,1,0] neg_lo:[0,0,1] neg_hi:[0,0,1]
	v_pk_fma_f32 v[16:17], v[26:27], v[34:35], v[16:17] op_sel:[0,0,1] op_sel_hi:[1,0,0]
	v_mov_b32_e32 v16, v41
	v_mov_b32_e32 v19, v17
	s_waitcnt lgkmcnt(2)
	v_pk_mul_f32 v[16:17], v[4:5], v[16:17] op_sel_hi:[1,0]
	v_pk_add_f32 v[12:13], v[12:13], v[18:19]
	v_pk_fma_f32 v[18:19], v[4:5], v[40:41], v[16:17] op_sel:[0,0,1] op_sel_hi:[1,1,0] neg_lo:[0,0,1] neg_hi:[0,0,1]
	v_pk_fma_f32 v[4:5], v[4:5], v[40:41], v[16:17] op_sel:[0,0,1] op_sel_hi:[1,0,0]
	v_mov_b32_e32 v19, v5
	v_pk_add_f32 v[4:5], v[12:13], v[18:19]
	v_mov_b32_e32 v12, v39
	v_pk_mul_f32 v[12:13], v[6:7], v[12:13] op_sel_hi:[1,0]
	v_pk_fma_f32 v[16:17], v[6:7], v[38:39], v[12:13] op_sel:[0,0,1] op_sel_hi:[1,1,0] neg_lo:[0,0,1] neg_hi:[0,0,1]
	v_pk_fma_f32 v[6:7], v[6:7], v[38:39], v[12:13] op_sel:[0,0,1] op_sel_hi:[1,0,0]
	v_mov_b32_e32 v6, v37
	v_mov_b32_e32 v17, v7
	s_waitcnt lgkmcnt(1)
	v_pk_mul_f32 v[6:7], v[8:9], v[6:7] op_sel_hi:[1,0]
	v_pk_fma_f32 v[12:13], v[8:9], v[36:37], v[6:7] op_sel:[0,0,1] op_sel_hi:[1,1,0] neg_lo:[0,0,1] neg_hi:[0,0,1]
	v_pk_fma_f32 v[6:7], v[8:9], v[36:37], v[6:7] op_sel:[0,0,1] op_sel_hi:[1,0,0]
	s_waitcnt vmcnt(1)
	v_mov_b32_e32 v6, v45
	v_mov_b32_e32 v13, v7
	v_pk_mul_f32 v[6:7], v[10:11], v[6:7] op_sel_hi:[1,0]
	s_waitcnt vmcnt(0)
	v_pk_fma_f32 v[8:9], v[10:11], v[44:45], v[6:7] op_sel:[0,0,1] op_sel_hi:[1,1,0] neg_lo:[0,0,1] neg_hi:[0,0,1]
	v_pk_fma_f32 v[6:7], v[10:11], v[44:45], v[6:7] op_sel:[0,0,1] op_sel_hi:[1,0,0]
	v_pk_add_f32 v[4:5], v[4:5], v[16:17]
	v_mov_b32_e32 v6, v43
	v_pk_add_f32 v[4:5], v[4:5], v[12:13]
	v_mov_b32_e32 v9, v7
	s_waitcnt lgkmcnt(0)
	v_pk_mul_f32 v[6:7], v[14:15], v[6:7] op_sel_hi:[1,0]
	v_pk_add_f32 v[4:5], v[4:5], v[8:9]
	v_pk_fma_f32 v[8:9], v[14:15], v[42:43], v[6:7] op_sel:[0,0,1] op_sel_hi:[1,1,0] neg_lo:[0,0,1] neg_hi:[0,0,1]
	v_pk_fma_f32 v[6:7], v[14:15], v[42:43], v[6:7] op_sel:[0,0,1] op_sel_hi:[1,0,0]
	v_mov_b32_e32 v9, v7
	v_pk_add_f32 v[4:5], v[4:5], v[8:9]
	v_pk_add_f32 v[4:5], v[32:33], v[4:5] neg_lo:[0,1] neg_hi:[0,1]
	buffer_store_dword v5, off, s[0:3], 0 offset:356
	buffer_store_dword v4, off, s[0:3], 0 offset:352
	s_and_saveexec_b64 s[4:5], vcc
	s_cbranch_execz .LBB125_299
; %bb.298:
	buffer_load_dword v4, off, s[0:3], 0 offset:344
	buffer_load_dword v5, off, s[0:3], 0 offset:348
	s_waitcnt vmcnt(0)
	ds_write_b64 v210, v[4:5]
	buffer_store_dword v2, off, s[0:3], 0 offset:344
	buffer_store_dword v2, off, s[0:3], 0 offset:348
.LBB125_299:
	s_or_b64 exec, exec, s[4:5]
	s_waitcnt lgkmcnt(0)
	; wave barrier
	s_waitcnt lgkmcnt(0)
	buffer_load_dword v3, off, s[0:3], 0 offset:356
	buffer_load_dword v46, off, s[0:3], 0 offset:364
	;; [unrolled: 1-line block ×22, first 2 shown]
	ds_read_b128 v[4:7], v2 offset:848
	ds_read_b128 v[8:11], v2 offset:864
	buffer_load_dword v31, off, s[0:3], 0 offset:436
	buffer_load_dword v30, off, s[0:3], 0 offset:432
	;; [unrolled: 1-line block ×10, first 2 shown]
	ds_read_b128 v[12:15], v2 offset:880
	ds_read_b128 v[16:19], v2 offset:896
	;; [unrolled: 1-line block ×4, first 2 shown]
	buffer_load_dword v41, off, s[0:3], 0 offset:492
	buffer_load_dword v40, off, s[0:3], 0 offset:488
	;; [unrolled: 1-line block ×6, first 2 shown]
	v_cmp_lt_u32_e32 vcc, 42, v0
	s_waitcnt vmcnt(37) lgkmcnt(5)
	v_mul_f32_e32 v67, v4, v3
	s_waitcnt vmcnt(36)
	v_mul_f32_e32 v68, v6, v46
	s_waitcnt vmcnt(35) lgkmcnt(4)
	v_mul_f32_e32 v69, v8, v48
	v_mul_f32_e32 v3, v5, v3
	;; [unrolled: 1-line block ×4, first 2 shown]
	s_waitcnt vmcnt(34)
	v_mul_f32_e32 v70, v10, v50
	s_waitcnt vmcnt(33) lgkmcnt(3)
	v_mul_f32_e32 v71, v12, v51
	s_waitcnt vmcnt(32)
	v_mul_f32_e32 v72, v14, v52
	s_waitcnt vmcnt(31) lgkmcnt(2)
	v_mul_f32_e32 v73, v16, v53
	s_waitcnt vmcnt(27)
	v_fmac_f32_e32 v67, v5, v57
	s_waitcnt vmcnt(26)
	v_fmac_f32_e32 v68, v7, v58
	v_fma_f32 v3, v4, v57, -v3
	s_waitcnt vmcnt(25)
	v_fma_f32 v5, v8, v59, -v48
	v_add_f32_e32 v8, 0, v67
	v_fmac_f32_e32 v69, v9, v59
	v_fma_f32 v4, v6, v58, -v46
	v_add_f32_e32 v3, 0, v3
	v_add_f32_e32 v8, v8, v68
	s_waitcnt vmcnt(24)
	v_fmac_f32_e32 v70, v11, v60
	v_add_f32_e32 v3, v3, v4
	v_add_f32_e32 v4, v8, v69
	s_waitcnt vmcnt(23)
	v_fmac_f32_e32 v71, v13, v61
	v_add_f32_e32 v4, v4, v70
	v_mul_f32_e32 v50, v11, v50
	s_waitcnt vmcnt(22)
	v_fmac_f32_e32 v72, v15, v62
	v_add_f32_e32 v4, v4, v71
	v_mul_f32_e32 v74, v18, v54
	v_mul_f32_e32 v51, v13, v51
	s_waitcnt vmcnt(21)
	v_fmac_f32_e32 v73, v17, v63
	v_fma_f32 v6, v10, v60, -v50
	v_add_f32_e32 v3, v3, v5
	v_add_f32_e32 v4, v4, v72
	v_mul_f32_e32 v52, v15, v52
	s_waitcnt vmcnt(20)
	v_fmac_f32_e32 v74, v19, v64
	v_fma_f32 v7, v12, v61, -v51
	v_add_f32_e32 v3, v3, v6
	v_add_f32_e32 v4, v4, v73
	v_add_f32_e32 v3, v3, v7
	v_add_f32_e32 v51, v4, v74
	v_fma_f32 v4, v14, v62, -v52
	v_add_f32_e32 v3, v3, v4
	v_mul_f32_e32 v4, v17, v53
	v_fma_f32 v4, v16, v63, -v4
	v_add_f32_e32 v3, v3, v4
	v_mul_f32_e32 v4, v19, v54
	v_fma_f32 v4, v18, v64, -v4
	s_waitcnt vmcnt(15)
	v_mov_b32_e32 v16, v31
	s_waitcnt lgkmcnt(1)
	v_mul_f32_e32 v47, v20, v55
	v_add_f32_e32 v50, v3, v4
	v_mul_f32_e32 v3, v21, v55
	s_waitcnt lgkmcnt(0)
	v_pk_mul_f32 v[16:17], v[24:25], v[16:17] op_sel_hi:[1,0]
	v_mul_f32_e32 v49, v22, v56
	v_fmac_f32_e32 v47, v21, v65
	v_fma_f32 v46, v20, v65, -v3
	v_mul_f32_e32 v3, v23, v56
	s_waitcnt vmcnt(14)
	v_pk_fma_f32 v[18:19], v[24:25], v[30:31], v[16:17] op_sel:[0,0,1] op_sel_hi:[1,1,0] neg_lo:[0,0,1] neg_hi:[0,0,1]
	v_pk_fma_f32 v[16:17], v[24:25], v[30:31], v[16:17] op_sel:[0,0,1] op_sel_hi:[1,0,0]
	v_fmac_f32_e32 v49, v23, v66
	v_fma_f32 v48, v22, v66, -v3
	ds_read_b128 v[4:7], v2 offset:944
	ds_read_b128 v[8:11], v2 offset:960
	;; [unrolled: 1-line block ×3, first 2 shown]
	v_pk_add_f32 v[2:3], v[50:51], v[46:47]
	s_waitcnt vmcnt(13)
	v_mov_b32_e32 v16, v33
	v_pk_add_f32 v[2:3], v[2:3], v[48:49]
	v_mov_b32_e32 v19, v17
	v_pk_mul_f32 v[16:17], v[26:27], v[16:17] op_sel_hi:[1,0]
	v_pk_add_f32 v[2:3], v[2:3], v[18:19]
	s_waitcnt vmcnt(6)
	v_pk_fma_f32 v[18:19], v[26:27], v[32:33], v[16:17] op_sel:[0,0,1] op_sel_hi:[1,1,0] neg_lo:[0,0,1] neg_hi:[0,0,1]
	v_pk_fma_f32 v[16:17], v[26:27], v[32:33], v[16:17] op_sel:[0,0,1] op_sel_hi:[1,0,0]
	v_mov_b32_e32 v16, v39
	v_mov_b32_e32 v19, v17
	s_waitcnt lgkmcnt(2)
	v_pk_mul_f32 v[16:17], v[4:5], v[16:17] op_sel_hi:[1,0]
	v_pk_add_f32 v[2:3], v[2:3], v[18:19]
	v_pk_fma_f32 v[18:19], v[4:5], v[38:39], v[16:17] op_sel:[0,0,1] op_sel_hi:[1,1,0] neg_lo:[0,0,1] neg_hi:[0,0,1]
	v_pk_fma_f32 v[4:5], v[4:5], v[38:39], v[16:17] op_sel:[0,0,1] op_sel_hi:[1,0,0]
	v_mov_b32_e32 v4, v37
	v_mov_b32_e32 v19, v5
	v_pk_mul_f32 v[4:5], v[6:7], v[4:5] op_sel_hi:[1,0]
	v_pk_fma_f32 v[16:17], v[6:7], v[36:37], v[4:5] op_sel:[0,0,1] op_sel_hi:[1,1,0] neg_lo:[0,0,1] neg_hi:[0,0,1]
	v_pk_fma_f32 v[4:5], v[6:7], v[36:37], v[4:5] op_sel:[0,0,1] op_sel_hi:[1,0,0]
	v_mov_b32_e32 v4, v35
	v_mov_b32_e32 v17, v5
	s_waitcnt lgkmcnt(1)
	v_pk_mul_f32 v[4:5], v[8:9], v[4:5] op_sel_hi:[1,0]
	v_pk_fma_f32 v[6:7], v[8:9], v[34:35], v[4:5] op_sel:[0,0,1] op_sel_hi:[1,1,0] neg_lo:[0,0,1] neg_hi:[0,0,1]
	v_pk_fma_f32 v[4:5], v[8:9], v[34:35], v[4:5] op_sel:[0,0,1] op_sel_hi:[1,0,0]
	v_pk_add_f32 v[2:3], v[2:3], v[18:19]
	s_waitcnt vmcnt(1)
	v_mov_b32_e32 v4, v45
	v_pk_add_f32 v[2:3], v[2:3], v[16:17]
	v_mov_b32_e32 v7, v5
	v_pk_mul_f32 v[4:5], v[10:11], v[4:5] op_sel_hi:[1,0]
	v_pk_add_f32 v[2:3], v[2:3], v[6:7]
	s_waitcnt vmcnt(0)
	v_pk_fma_f32 v[6:7], v[10:11], v[44:45], v[4:5] op_sel:[0,0,1] op_sel_hi:[1,1,0] neg_lo:[0,0,1] neg_hi:[0,0,1]
	v_pk_fma_f32 v[4:5], v[10:11], v[44:45], v[4:5] op_sel:[0,0,1] op_sel_hi:[1,0,0]
	v_mov_b32_e32 v4, v43
	v_mov_b32_e32 v7, v5
	s_waitcnt lgkmcnt(0)
	v_pk_mul_f32 v[4:5], v[12:13], v[4:5] op_sel_hi:[1,0]
	v_pk_add_f32 v[2:3], v[2:3], v[6:7]
	v_pk_fma_f32 v[6:7], v[12:13], v[42:43], v[4:5] op_sel:[0,0,1] op_sel_hi:[1,1,0] neg_lo:[0,0,1] neg_hi:[0,0,1]
	v_pk_fma_f32 v[4:5], v[12:13], v[42:43], v[4:5] op_sel:[0,0,1] op_sel_hi:[1,0,0]
	v_mov_b32_e32 v4, v41
	v_mov_b32_e32 v7, v5
	v_pk_mul_f32 v[4:5], v[14:15], v[4:5] op_sel_hi:[1,0]
	v_pk_add_f32 v[2:3], v[2:3], v[6:7]
	v_pk_fma_f32 v[6:7], v[14:15], v[40:41], v[4:5] op_sel:[0,0,1] op_sel_hi:[1,1,0] neg_lo:[0,0,1] neg_hi:[0,0,1]
	v_pk_fma_f32 v[4:5], v[14:15], v[40:41], v[4:5] op_sel:[0,0,1] op_sel_hi:[1,0,0]
	v_mov_b32_e32 v7, v5
	v_pk_add_f32 v[2:3], v[2:3], v[6:7]
	v_pk_add_f32 v[2:3], v[28:29], v[2:3] neg_lo:[0,1] neg_hi:[0,1]
	buffer_store_dword v3, off, s[0:3], 0 offset:348
	buffer_store_dword v2, off, s[0:3], 0 offset:344
	s_and_saveexec_b64 s[4:5], vcc
	s_cbranch_execz .LBB125_301
; %bb.300:
	buffer_load_dword v2, off, s[0:3], 0 offset:336
	buffer_load_dword v3, off, s[0:3], 0 offset:340
	v_mov_b32_e32 v4, 0
	buffer_store_dword v4, off, s[0:3], 0 offset:336
	buffer_store_dword v4, off, s[0:3], 0 offset:340
	s_waitcnt vmcnt(2)
	ds_write_b64 v210, v[2:3]
.LBB125_301:
	s_or_b64 exec, exec, s[4:5]
	s_waitcnt lgkmcnt(0)
	; wave barrier
	s_waitcnt lgkmcnt(0)
	buffer_load_dword v3, off, s[0:3], 0 offset:348
	buffer_load_dword v46, off, s[0:3], 0 offset:356
	;; [unrolled: 1-line block ×40, first 2 shown]
	v_mov_b32_e32 v2, 0
	ds_read2_b64 v[4:7], v2 offset0:105 offset1:106
	ds_read2_b64 v[8:11], v2 offset0:107 offset1:108
	;; [unrolled: 1-line block ×6, first 2 shown]
	v_cmp_lt_u32_e32 vcc, 41, v0
	s_waitcnt vmcnt(39) lgkmcnt(5)
	v_mul_f32_e32 v69, v4, v3
	s_waitcnt vmcnt(38)
	v_mul_f32_e32 v70, v6, v46
	v_mul_f32_e32 v3, v5, v3
	s_waitcnt vmcnt(37) lgkmcnt(4)
	v_mul_f32_e32 v71, v8, v48
	v_mul_f32_e32 v46, v7, v46
	s_waitcnt vmcnt(36)
	v_mul_f32_e32 v72, v10, v50
	s_waitcnt vmcnt(35) lgkmcnt(3)
	v_mul_f32_e32 v73, v12, v52
	s_waitcnt vmcnt(34)
	v_mul_f32_e32 v74, v14, v53
	s_waitcnt vmcnt(33) lgkmcnt(2)
	;; [unrolled: 4-line block ×3, first 2 shown]
	v_mul_f32_e32 v77, v20, v56
	s_waitcnt vmcnt(28)
	v_fmac_f32_e32 v69, v5, v51
	s_waitcnt vmcnt(27)
	v_fmac_f32_e32 v70, v7, v59
	v_fma_f32 v3, v4, v51, -v3
	v_add_f32_e32 v7, 0, v69
	s_waitcnt vmcnt(26)
	v_fmac_f32_e32 v71, v9, v60
	v_fma_f32 v4, v6, v59, -v46
	v_add_f32_e32 v3, 0, v3
	v_add_f32_e32 v7, v7, v70
	s_waitcnt vmcnt(25)
	v_fmac_f32_e32 v72, v11, v61
	v_add_f32_e32 v3, v3, v4
	v_add_f32_e32 v4, v7, v71
	s_waitcnt vmcnt(24)
	v_fmac_f32_e32 v73, v13, v62
	v_add_f32_e32 v4, v4, v72
	s_waitcnt vmcnt(23)
	v_fmac_f32_e32 v74, v15, v63
	v_add_f32_e32 v4, v4, v73
	s_waitcnt vmcnt(22)
	v_fmac_f32_e32 v75, v17, v64
	v_add_f32_e32 v4, v4, v74
	v_mul_f32_e32 v48, v9, v48
	s_waitcnt vmcnt(21)
	v_fmac_f32_e32 v76, v19, v65
	v_add_f32_e32 v4, v4, v75
	v_mul_f32_e32 v50, v11, v50
	s_waitcnt vmcnt(20)
	v_fmac_f32_e32 v77, v21, v66
	v_fma_f32 v5, v8, v60, -v48
	v_add_f32_e32 v4, v4, v76
	v_fma_f32 v6, v10, v61, -v50
	v_add_f32_e32 v3, v3, v5
	v_add_f32_e32 v51, v4, v77
	v_mul_f32_e32 v4, v13, v52
	v_add_f32_e32 v3, v3, v6
	v_fma_f32 v4, v12, v62, -v4
	v_add_f32_e32 v3, v3, v4
	v_mul_f32_e32 v4, v15, v53
	v_fma_f32 v4, v14, v63, -v4
	v_add_f32_e32 v3, v3, v4
	v_mul_f32_e32 v4, v17, v54
	v_fma_f32 v4, v16, v64, -v4
	v_add_f32_e32 v3, v3, v4
	v_mul_f32_e32 v4, v19, v55
	v_fma_f32 v4, v18, v65, -v4
	v_add_f32_e32 v3, v3, v4
	v_mul_f32_e32 v4, v21, v56
	v_fma_f32 v4, v20, v66, -v4
	s_waitcnt vmcnt(9)
	v_mov_b32_e32 v20, v37
	v_mul_f32_e32 v47, v22, v57
	v_add_f32_e32 v50, v3, v4
	v_mul_f32_e32 v3, v23, v57
	s_waitcnt lgkmcnt(0)
	v_pk_mul_f32 v[20:21], v[26:27], v[20:21] op_sel_hi:[1,0]
	v_mul_f32_e32 v49, v24, v58
	v_fmac_f32_e32 v47, v23, v67
	v_fma_f32 v46, v22, v67, -v3
	v_mul_f32_e32 v3, v25, v58
	ds_read2_b64 v[4:7], v2 offset0:117 offset1:118
	ds_read2_b64 v[8:11], v2 offset0:119 offset1:120
	;; [unrolled: 1-line block ×3, first 2 shown]
	ds_read_b64 v[16:17], v2 offset:984
	s_waitcnt vmcnt(8)
	v_pk_fma_f32 v[22:23], v[26:27], v[36:37], v[20:21] op_sel:[0,0,1] op_sel_hi:[1,1,0] neg_lo:[0,0,1] neg_hi:[0,0,1]
	v_pk_fma_f32 v[20:21], v[26:27], v[36:37], v[20:21] op_sel:[0,0,1] op_sel_hi:[1,0,0]
	v_fmac_f32_e32 v49, v25, v68
	v_fma_f32 v48, v24, v68, -v3
	v_pk_add_f32 v[18:19], v[50:51], v[46:47]
	v_mov_b32_e32 v20, v35
	v_pk_add_f32 v[18:19], v[18:19], v[48:49]
	v_mov_b32_e32 v23, v21
	s_waitcnt lgkmcnt(3)
	v_pk_mul_f32 v[20:21], v[4:5], v[20:21] op_sel_hi:[1,0]
	v_pk_add_f32 v[18:19], v[18:19], v[22:23]
	v_pk_fma_f32 v[22:23], v[4:5], v[34:35], v[20:21] op_sel:[0,0,1] op_sel_hi:[1,1,0] neg_lo:[0,0,1] neg_hi:[0,0,1]
	v_pk_fma_f32 v[4:5], v[4:5], v[34:35], v[20:21] op_sel:[0,0,1] op_sel_hi:[1,0,0]
	v_mov_b32_e32 v23, v5
	v_pk_add_f32 v[4:5], v[18:19], v[22:23]
	v_mov_b32_e32 v18, v33
	v_pk_mul_f32 v[18:19], v[6:7], v[18:19] op_sel_hi:[1,0]
	v_pk_fma_f32 v[20:21], v[6:7], v[32:33], v[18:19] op_sel:[0,0,1] op_sel_hi:[1,1,0] neg_lo:[0,0,1] neg_hi:[0,0,1]
	v_pk_fma_f32 v[6:7], v[6:7], v[32:33], v[18:19] op_sel:[0,0,1] op_sel_hi:[1,0,0]
	v_mov_b32_e32 v6, v31
	v_mov_b32_e32 v21, v7
	s_waitcnt lgkmcnt(2)
	v_pk_mul_f32 v[6:7], v[8:9], v[6:7] op_sel_hi:[1,0]
	v_pk_fma_f32 v[18:19], v[8:9], v[30:31], v[6:7] op_sel:[0,0,1] op_sel_hi:[1,1,0] neg_lo:[0,0,1] neg_hi:[0,0,1]
	v_pk_fma_f32 v[6:7], v[8:9], v[30:31], v[6:7] op_sel:[0,0,1] op_sel_hi:[1,0,0]
	s_waitcnt vmcnt(1)
	v_mov_b32_e32 v6, v45
	v_mov_b32_e32 v19, v7
	v_pk_mul_f32 v[6:7], v[10:11], v[6:7] op_sel_hi:[1,0]
	s_waitcnt vmcnt(0)
	v_pk_fma_f32 v[8:9], v[10:11], v[44:45], v[6:7] op_sel:[0,0,1] op_sel_hi:[1,1,0] neg_lo:[0,0,1] neg_hi:[0,0,1]
	v_pk_fma_f32 v[6:7], v[10:11], v[44:45], v[6:7] op_sel:[0,0,1] op_sel_hi:[1,0,0]
	v_pk_add_f32 v[4:5], v[4:5], v[20:21]
	v_mov_b32_e32 v6, v43
	v_pk_add_f32 v[4:5], v[4:5], v[18:19]
	v_mov_b32_e32 v9, v7
	s_waitcnt lgkmcnt(1)
	v_pk_mul_f32 v[6:7], v[12:13], v[6:7] op_sel_hi:[1,0]
	v_pk_add_f32 v[4:5], v[4:5], v[8:9]
	v_pk_fma_f32 v[8:9], v[12:13], v[42:43], v[6:7] op_sel:[0,0,1] op_sel_hi:[1,1,0] neg_lo:[0,0,1] neg_hi:[0,0,1]
	v_pk_fma_f32 v[6:7], v[12:13], v[42:43], v[6:7] op_sel:[0,0,1] op_sel_hi:[1,0,0]
	v_mov_b32_e32 v6, v41
	v_mov_b32_e32 v9, v7
	v_pk_mul_f32 v[6:7], v[14:15], v[6:7] op_sel_hi:[1,0]
	v_pk_add_f32 v[4:5], v[4:5], v[8:9]
	v_pk_fma_f32 v[8:9], v[14:15], v[40:41], v[6:7] op_sel:[0,0,1] op_sel_hi:[1,1,0] neg_lo:[0,0,1] neg_hi:[0,0,1]
	v_pk_fma_f32 v[6:7], v[14:15], v[40:41], v[6:7] op_sel:[0,0,1] op_sel_hi:[1,0,0]
	v_mov_b32_e32 v6, v39
	v_mov_b32_e32 v9, v7
	s_waitcnt lgkmcnt(0)
	v_pk_mul_f32 v[6:7], v[16:17], v[6:7] op_sel_hi:[1,0]
	v_pk_add_f32 v[4:5], v[4:5], v[8:9]
	v_pk_fma_f32 v[8:9], v[16:17], v[38:39], v[6:7] op_sel:[0,0,1] op_sel_hi:[1,1,0] neg_lo:[0,0,1] neg_hi:[0,0,1]
	v_pk_fma_f32 v[6:7], v[16:17], v[38:39], v[6:7] op_sel:[0,0,1] op_sel_hi:[1,0,0]
	v_mov_b32_e32 v9, v7
	v_pk_add_f32 v[4:5], v[4:5], v[8:9]
	v_pk_add_f32 v[4:5], v[28:29], v[4:5] neg_lo:[0,1] neg_hi:[0,1]
	buffer_store_dword v5, off, s[0:3], 0 offset:340
	buffer_store_dword v4, off, s[0:3], 0 offset:336
	s_and_saveexec_b64 s[4:5], vcc
	s_cbranch_execz .LBB125_303
; %bb.302:
	buffer_load_dword v4, off, s[0:3], 0 offset:328
	buffer_load_dword v5, off, s[0:3], 0 offset:332
	s_waitcnt vmcnt(0)
	ds_write_b64 v210, v[4:5]
	buffer_store_dword v2, off, s[0:3], 0 offset:328
	buffer_store_dword v2, off, s[0:3], 0 offset:332
.LBB125_303:
	s_or_b64 exec, exec, s[4:5]
	s_waitcnt lgkmcnt(0)
	; wave barrier
	s_waitcnt lgkmcnt(0)
	buffer_load_dword v3, off, s[0:3], 0 offset:340
	buffer_load_dword v46, off, s[0:3], 0 offset:348
	;; [unrolled: 1-line block ×26, first 2 shown]
	ds_read_b128 v[4:7], v2 offset:832
	ds_read_b128 v[8:11], v2 offset:848
	;; [unrolled: 1-line block ×6, first 2 shown]
	buffer_load_dword v31, off, s[0:3], 0 offset:452
	buffer_load_dword v30, off, s[0:3], 0 offset:448
	;; [unrolled: 1-line block ×16, first 2 shown]
	v_cmp_lt_u32_e32 vcc, 40, v0
	s_waitcnt vmcnt(41) lgkmcnt(5)
	v_mul_f32_e32 v71, v4, v3
	s_waitcnt vmcnt(40)
	v_mul_f32_e32 v72, v6, v46
	v_mul_f32_e32 v3, v5, v3
	;; [unrolled: 1-line block ×3, first 2 shown]
	s_waitcnt vmcnt(39) lgkmcnt(4)
	v_mul_f32_e32 v73, v8, v48
	s_waitcnt vmcnt(38)
	v_mul_f32_e32 v74, v10, v50
	s_waitcnt vmcnt(37) lgkmcnt(3)
	v_mul_f32_e32 v75, v12, v52
	s_waitcnt vmcnt(36)
	v_mul_f32_e32 v76, v14, v53
	;; [unrolled: 4-line block ×4, first 2 shown]
	s_waitcnt vmcnt(29)
	v_fmac_f32_e32 v71, v5, v51
	s_waitcnt vmcnt(28)
	v_fmac_f32_e32 v72, v7, v60
	v_fma_f32 v3, v4, v51, -v3
	v_fma_f32 v4, v6, v60, -v46
	v_add_f32_e32 v6, 0, v71
	s_waitcnt vmcnt(27)
	v_fmac_f32_e32 v73, v9, v61
	v_add_f32_e32 v3, 0, v3
	v_add_f32_e32 v6, v6, v72
	s_waitcnt vmcnt(26)
	v_fmac_f32_e32 v74, v11, v62
	v_add_f32_e32 v3, v3, v4
	;; [unrolled: 4-line block ×3, first 2 shown]
	s_waitcnt vmcnt(24)
	v_fmac_f32_e32 v76, v15, v64
	v_add_f32_e32 v4, v4, v75
	s_waitcnt vmcnt(23)
	v_fmac_f32_e32 v77, v17, v65
	v_add_f32_e32 v4, v4, v76
	;; [unrolled: 3-line block ×4, first 2 shown]
	v_mul_f32_e32 v48, v9, v48
	s_waitcnt vmcnt(20)
	v_fmac_f32_e32 v80, v23, v68
	v_add_f32_e32 v4, v4, v79
	v_fma_f32 v5, v8, v61, -v48
	v_add_f32_e32 v51, v4, v80
	v_mul_f32_e32 v4, v11, v50
	v_add_f32_e32 v3, v3, v5
	v_fma_f32 v4, v10, v62, -v4
	v_add_f32_e32 v3, v3, v4
	v_mul_f32_e32 v4, v13, v52
	v_fma_f32 v4, v12, v63, -v4
	v_add_f32_e32 v3, v3, v4
	v_mul_f32_e32 v4, v15, v53
	;; [unrolled: 3-line block ×6, first 2 shown]
	v_fma_f32 v4, v22, v68, -v4
	v_add_f32_e32 v50, v3, v4
	ds_read_b128 v[4:7], v2 offset:928
	ds_read_b128 v[8:11], v2 offset:944
	;; [unrolled: 1-line block ×4, first 2 shown]
	s_waitcnt vmcnt(11)
	v_mov_b32_e32 v20, v35
	s_waitcnt lgkmcnt(3)
	v_pk_mul_f32 v[20:21], v[4:5], v[20:21] op_sel_hi:[1,0]
	s_waitcnt vmcnt(10)
	v_pk_fma_f32 v[22:23], v[4:5], v[34:35], v[20:21] op_sel:[0,0,1] op_sel_hi:[1,1,0] neg_lo:[0,0,1] neg_hi:[0,0,1]
	v_pk_fma_f32 v[4:5], v[4:5], v[34:35], v[20:21] op_sel:[0,0,1] op_sel_hi:[1,0,0]
	v_mov_b32_e32 v4, v33
	v_mov_b32_e32 v23, v5
	v_pk_mul_f32 v[4:5], v[6:7], v[4:5] op_sel_hi:[1,0]
	v_mul_f32_e32 v47, v24, v58
	v_mul_f32_e32 v3, v25, v58
	v_pk_fma_f32 v[20:21], v[6:7], v[32:33], v[4:5] op_sel:[0,0,1] op_sel_hi:[1,1,0] neg_lo:[0,0,1] neg_hi:[0,0,1]
	v_pk_fma_f32 v[4:5], v[6:7], v[32:33], v[4:5] op_sel:[0,0,1] op_sel_hi:[1,0,0]
	v_mul_f32_e32 v49, v26, v59
	v_fmac_f32_e32 v47, v25, v69
	v_fma_f32 v46, v24, v69, -v3
	v_mul_f32_e32 v3, v27, v59
	v_mov_b32_e32 v4, v31
	v_fmac_f32_e32 v49, v27, v70
	v_fma_f32 v48, v26, v70, -v3
	v_pk_add_f32 v[2:3], v[50:51], v[46:47]
	v_mov_b32_e32 v21, v5
	s_waitcnt lgkmcnt(2)
	v_pk_mul_f32 v[4:5], v[8:9], v[4:5] op_sel_hi:[1,0]
	v_pk_add_f32 v[2:3], v[2:3], v[48:49]
	v_pk_fma_f32 v[6:7], v[8:9], v[30:31], v[4:5] op_sel:[0,0,1] op_sel_hi:[1,1,0] neg_lo:[0,0,1] neg_hi:[0,0,1]
	v_pk_fma_f32 v[4:5], v[8:9], v[30:31], v[4:5] op_sel:[0,0,1] op_sel_hi:[1,0,0]
	v_pk_add_f32 v[2:3], v[2:3], v[22:23]
	s_waitcnt vmcnt(3)
	v_mov_b32_e32 v4, v43
	v_pk_add_f32 v[2:3], v[2:3], v[20:21]
	v_mov_b32_e32 v7, v5
	v_pk_mul_f32 v[4:5], v[10:11], v[4:5] op_sel_hi:[1,0]
	v_pk_add_f32 v[2:3], v[2:3], v[6:7]
	s_waitcnt vmcnt(2)
	v_pk_fma_f32 v[6:7], v[10:11], v[42:43], v[4:5] op_sel:[0,0,1] op_sel_hi:[1,1,0] neg_lo:[0,0,1] neg_hi:[0,0,1]
	v_pk_fma_f32 v[4:5], v[10:11], v[42:43], v[4:5] op_sel:[0,0,1] op_sel_hi:[1,0,0]
	v_mov_b32_e32 v4, v41
	v_mov_b32_e32 v7, v5
	s_waitcnt lgkmcnt(1)
	v_pk_mul_f32 v[4:5], v[12:13], v[4:5] op_sel_hi:[1,0]
	v_pk_add_f32 v[2:3], v[2:3], v[6:7]
	v_pk_fma_f32 v[6:7], v[12:13], v[40:41], v[4:5] op_sel:[0,0,1] op_sel_hi:[1,1,0] neg_lo:[0,0,1] neg_hi:[0,0,1]
	v_pk_fma_f32 v[4:5], v[12:13], v[40:41], v[4:5] op_sel:[0,0,1] op_sel_hi:[1,0,0]
	v_mov_b32_e32 v4, v39
	v_mov_b32_e32 v7, v5
	v_pk_mul_f32 v[4:5], v[14:15], v[4:5] op_sel_hi:[1,0]
	v_pk_add_f32 v[2:3], v[2:3], v[6:7]
	v_pk_fma_f32 v[6:7], v[14:15], v[38:39], v[4:5] op_sel:[0,0,1] op_sel_hi:[1,1,0] neg_lo:[0,0,1] neg_hi:[0,0,1]
	v_pk_fma_f32 v[4:5], v[14:15], v[38:39], v[4:5] op_sel:[0,0,1] op_sel_hi:[1,0,0]
	v_mov_b32_e32 v4, v37
	v_mov_b32_e32 v7, v5
	s_waitcnt lgkmcnt(0)
	v_pk_mul_f32 v[4:5], v[16:17], v[4:5] op_sel_hi:[1,0]
	v_pk_add_f32 v[2:3], v[2:3], v[6:7]
	v_pk_fma_f32 v[6:7], v[16:17], v[36:37], v[4:5] op_sel:[0,0,1] op_sel_hi:[1,1,0] neg_lo:[0,0,1] neg_hi:[0,0,1]
	v_pk_fma_f32 v[4:5], v[16:17], v[36:37], v[4:5] op_sel:[0,0,1] op_sel_hi:[1,0,0]
	s_waitcnt vmcnt(1)
	v_mov_b32_e32 v4, v45
	v_mov_b32_e32 v7, v5
	v_pk_mul_f32 v[4:5], v[18:19], v[4:5] op_sel_hi:[1,0]
	v_pk_add_f32 v[2:3], v[2:3], v[6:7]
	s_waitcnt vmcnt(0)
	v_pk_fma_f32 v[6:7], v[18:19], v[44:45], v[4:5] op_sel:[0,0,1] op_sel_hi:[1,1,0] neg_lo:[0,0,1] neg_hi:[0,0,1]
	v_pk_fma_f32 v[4:5], v[18:19], v[44:45], v[4:5] op_sel:[0,0,1] op_sel_hi:[1,0,0]
	v_mov_b32_e32 v7, v5
	v_pk_add_f32 v[2:3], v[2:3], v[6:7]
	v_pk_add_f32 v[2:3], v[28:29], v[2:3] neg_lo:[0,1] neg_hi:[0,1]
	buffer_store_dword v3, off, s[0:3], 0 offset:332
	buffer_store_dword v2, off, s[0:3], 0 offset:328
	s_and_saveexec_b64 s[4:5], vcc
	s_cbranch_execz .LBB125_305
; %bb.304:
	buffer_load_dword v2, off, s[0:3], 0 offset:320
	buffer_load_dword v3, off, s[0:3], 0 offset:324
	v_mov_b32_e32 v4, 0
	buffer_store_dword v4, off, s[0:3], 0 offset:320
	buffer_store_dword v4, off, s[0:3], 0 offset:324
	s_waitcnt vmcnt(2)
	ds_write_b64 v210, v[2:3]
.LBB125_305:
	s_or_b64 exec, exec, s[4:5]
	s_waitcnt lgkmcnt(0)
	; wave barrier
	s_waitcnt lgkmcnt(0)
	buffer_load_dword v3, off, s[0:3], 0 offset:332
	buffer_load_dword v54, off, s[0:3], 0 offset:340
	;; [unrolled: 1-line block ×44, first 2 shown]
	v_mov_b32_e32 v2, 0
	ds_read2_b64 v[4:7], v2 offset0:103 offset1:104
	ds_read2_b64 v[8:11], v2 offset0:105 offset1:106
	;; [unrolled: 1-line block ×8, first 2 shown]
	v_cmp_lt_u32_e32 vcc, 39, v0
	s_waitcnt vmcnt(43) lgkmcnt(7)
	v_mul_f32_e32 v59, v4, v3
	v_mul_f32_e32 v3, v5, v3
	s_waitcnt vmcnt(42)
	v_mul_f32_e32 v82, v6, v54
	s_waitcnt vmcnt(41) lgkmcnt(6)
	v_mul_f32_e32 v83, v8, v56
	s_waitcnt vmcnt(40)
	v_mul_f32_e32 v84, v10, v58
	s_waitcnt vmcnt(39) lgkmcnt(5)
	;; [unrolled: 4-line block ×5, first 2 shown]
	v_mul_f32_e32 v91, v24, v66
	s_waitcnt vmcnt(32)
	v_mul_f32_e32 v55, v26, v67
	s_waitcnt vmcnt(30)
	v_fma_f32 v3, v4, v69, -v3
	v_mul_f32_e32 v4, v7, v54
	v_add_f32_e32 v3, 0, v3
	s_waitcnt vmcnt(29)
	v_fma_f32 v4, v6, v70, -v4
	v_add_f32_e32 v3, v3, v4
	v_mul_f32_e32 v4, v9, v56
	s_waitcnt vmcnt(28)
	v_fma_f32 v4, v8, v71, -v4
	v_add_f32_e32 v3, v3, v4
	v_mul_f32_e32 v4, v11, v58
	;; [unrolled: 4-line block ×4, first 2 shown]
	s_waitcnt vmcnt(25)
	v_fma_f32 v4, v14, v74, -v4
	v_fmac_f32_e32 v59, v5, v69
	v_add_f32_e32 v3, v3, v4
	v_mul_f32_e32 v4, v17, v62
	v_fmac_f32_e32 v82, v7, v70
	v_add_f32_e32 v5, 0, v59
	s_waitcnt vmcnt(24)
	v_fma_f32 v4, v16, v75, -v4
	v_fmac_f32_e32 v83, v9, v71
	v_add_f32_e32 v5, v5, v82
	v_add_f32_e32 v3, v3, v4
	v_mul_f32_e32 v4, v19, v63
	v_fmac_f32_e32 v84, v11, v72
	v_add_f32_e32 v5, v5, v83
	s_waitcnt vmcnt(23)
	v_fma_f32 v4, v18, v76, -v4
	v_fmac_f32_e32 v85, v13, v73
	v_add_f32_e32 v5, v5, v84
	v_add_f32_e32 v3, v3, v4
	v_mul_f32_e32 v4, v21, v64
	v_fmac_f32_e32 v86, v15, v74
	v_add_f32_e32 v5, v5, v85
	s_waitcnt vmcnt(22)
	v_fma_f32 v4, v20, v77, -v4
	v_fmac_f32_e32 v87, v17, v75
	v_add_f32_e32 v5, v5, v86
	v_add_f32_e32 v3, v3, v4
	v_mul_f32_e32 v4, v23, v65
	v_fmac_f32_e32 v88, v19, v76
	v_add_f32_e32 v5, v5, v87
	s_waitcnt vmcnt(21)
	v_fma_f32 v4, v22, v78, -v4
	v_fmac_f32_e32 v89, v21, v77
	v_add_f32_e32 v5, v5, v88
	v_add_f32_e32 v3, v3, v4
	v_mul_f32_e32 v4, v25, v66
	v_fmac_f32_e32 v90, v23, v78
	v_add_f32_e32 v5, v5, v89
	s_waitcnt vmcnt(20)
	v_fma_f32 v4, v24, v79, -v4
	s_waitcnt vmcnt(13)
	v_mov_b32_e32 v16, v41
	v_fmac_f32_e32 v91, v25, v79
	v_add_f32_e32 v5, v5, v90
	v_add_f32_e32 v58, v3, v4
	v_mul_f32_e32 v3, v27, v67
	s_waitcnt lgkmcnt(1)
	v_pk_mul_f32 v[16:17], v[30:31], v[16:17] op_sel_hi:[1,0]
	v_mul_f32_e32 v57, v28, v68
	v_fmac_f32_e32 v55, v27, v80
	v_add_f32_e32 v59, v5, v91
	v_fma_f32 v54, v26, v80, -v3
	v_mul_f32_e32 v3, v29, v68
	s_waitcnt vmcnt(12)
	v_pk_fma_f32 v[18:19], v[30:31], v[40:41], v[16:17] op_sel:[0,0,1] op_sel_hi:[1,1,0] neg_lo:[0,0,1] neg_hi:[0,0,1]
	v_pk_fma_f32 v[16:17], v[30:31], v[40:41], v[16:17] op_sel:[0,0,1] op_sel_hi:[1,0,0]
	v_fmac_f32_e32 v57, v29, v81
	v_fma_f32 v56, v28, v81, -v3
	v_pk_add_f32 v[14:15], v[58:59], v[54:55]
	v_mov_b32_e32 v16, v39
	v_pk_add_f32 v[14:15], v[14:15], v[56:57]
	v_mov_b32_e32 v19, v17
	s_waitcnt lgkmcnt(0)
	v_pk_mul_f32 v[16:17], v[32:33], v[16:17] op_sel_hi:[1,0]
	v_pk_add_f32 v[14:15], v[14:15], v[18:19]
	v_pk_fma_f32 v[18:19], v[32:33], v[38:39], v[16:17] op_sel:[0,0,1] op_sel_hi:[1,1,0] neg_lo:[0,0,1] neg_hi:[0,0,1]
	v_pk_fma_f32 v[16:17], v[32:33], v[38:39], v[16:17] op_sel:[0,0,1] op_sel_hi:[1,0,0]
	s_waitcnt vmcnt(5)
	v_mov_b32_e32 v16, v49
	ds_read2_b64 v[4:7], v2 offset0:119 offset1:120
	ds_read2_b64 v[8:11], v2 offset0:121 offset1:122
	ds_read_b64 v[12:13], v2 offset:984
	v_mov_b32_e32 v19, v17
	v_pk_mul_f32 v[16:17], v[34:35], v[16:17] op_sel_hi:[1,0]
	v_pk_add_f32 v[14:15], v[14:15], v[18:19]
	s_waitcnt vmcnt(4)
	v_pk_fma_f32 v[18:19], v[34:35], v[48:49], v[16:17] op_sel:[0,0,1] op_sel_hi:[1,1,0] neg_lo:[0,0,1] neg_hi:[0,0,1]
	v_pk_fma_f32 v[16:17], v[34:35], v[48:49], v[16:17] op_sel:[0,0,1] op_sel_hi:[1,0,0]
	v_mov_b32_e32 v16, v47
	v_mov_b32_e32 v19, v17
	s_waitcnt lgkmcnt(2)
	v_pk_mul_f32 v[16:17], v[4:5], v[16:17] op_sel_hi:[1,0]
	v_pk_add_f32 v[14:15], v[14:15], v[18:19]
	v_pk_fma_f32 v[18:19], v[4:5], v[46:47], v[16:17] op_sel:[0,0,1] op_sel_hi:[1,1,0] neg_lo:[0,0,1] neg_hi:[0,0,1]
	v_pk_fma_f32 v[4:5], v[4:5], v[46:47], v[16:17] op_sel:[0,0,1] op_sel_hi:[1,0,0]
	v_mov_b32_e32 v19, v5
	v_pk_add_f32 v[4:5], v[14:15], v[18:19]
	v_mov_b32_e32 v14, v45
	v_pk_mul_f32 v[14:15], v[6:7], v[14:15] op_sel_hi:[1,0]
	v_pk_fma_f32 v[16:17], v[6:7], v[44:45], v[14:15] op_sel:[0,0,1] op_sel_hi:[1,1,0] neg_lo:[0,0,1] neg_hi:[0,0,1]
	v_pk_fma_f32 v[6:7], v[6:7], v[44:45], v[14:15] op_sel:[0,0,1] op_sel_hi:[1,0,0]
	v_mov_b32_e32 v6, v43
	v_mov_b32_e32 v17, v7
	s_waitcnt lgkmcnt(1)
	v_pk_mul_f32 v[6:7], v[8:9], v[6:7] op_sel_hi:[1,0]
	v_pk_fma_f32 v[14:15], v[8:9], v[42:43], v[6:7] op_sel:[0,0,1] op_sel_hi:[1,1,0] neg_lo:[0,0,1] neg_hi:[0,0,1]
	v_pk_fma_f32 v[6:7], v[8:9], v[42:43], v[6:7] op_sel:[0,0,1] op_sel_hi:[1,0,0]
	s_waitcnt vmcnt(1)
	v_mov_b32_e32 v6, v53
	v_mov_b32_e32 v15, v7
	v_pk_mul_f32 v[6:7], v[10:11], v[6:7] op_sel_hi:[1,0]
	s_waitcnt vmcnt(0)
	v_pk_fma_f32 v[8:9], v[10:11], v[52:53], v[6:7] op_sel:[0,0,1] op_sel_hi:[1,1,0] neg_lo:[0,0,1] neg_hi:[0,0,1]
	v_pk_fma_f32 v[6:7], v[10:11], v[52:53], v[6:7] op_sel:[0,0,1] op_sel_hi:[1,0,0]
	v_pk_add_f32 v[4:5], v[4:5], v[16:17]
	v_mov_b32_e32 v6, v51
	v_pk_add_f32 v[4:5], v[4:5], v[14:15]
	v_mov_b32_e32 v9, v7
	s_waitcnt lgkmcnt(0)
	v_pk_mul_f32 v[6:7], v[12:13], v[6:7] op_sel_hi:[1,0]
	v_pk_add_f32 v[4:5], v[4:5], v[8:9]
	v_pk_fma_f32 v[8:9], v[12:13], v[50:51], v[6:7] op_sel:[0,0,1] op_sel_hi:[1,1,0] neg_lo:[0,0,1] neg_hi:[0,0,1]
	v_pk_fma_f32 v[6:7], v[12:13], v[50:51], v[6:7] op_sel:[0,0,1] op_sel_hi:[1,0,0]
	v_mov_b32_e32 v9, v7
	v_pk_add_f32 v[4:5], v[4:5], v[8:9]
	v_pk_add_f32 v[4:5], v[36:37], v[4:5] neg_lo:[0,1] neg_hi:[0,1]
	buffer_store_dword v5, off, s[0:3], 0 offset:324
	buffer_store_dword v4, off, s[0:3], 0 offset:320
	s_and_saveexec_b64 s[4:5], vcc
	s_cbranch_execz .LBB125_307
; %bb.306:
	buffer_load_dword v4, off, s[0:3], 0 offset:312
	buffer_load_dword v5, off, s[0:3], 0 offset:316
	s_waitcnt vmcnt(0)
	ds_write_b64 v210, v[4:5]
	buffer_store_dword v2, off, s[0:3], 0 offset:312
	buffer_store_dword v2, off, s[0:3], 0 offset:316
.LBB125_307:
	s_or_b64 exec, exec, s[4:5]
	s_waitcnt lgkmcnt(0)
	; wave barrier
	s_waitcnt lgkmcnt(0)
	buffer_load_dword v3, off, s[0:3], 0 offset:324
	buffer_load_dword v54, off, s[0:3], 0 offset:332
	;; [unrolled: 1-line block ×30, first 2 shown]
	ds_read_b128 v[4:7], v2 offset:816
	ds_read_b128 v[8:11], v2 offset:832
	;; [unrolled: 1-line block ×6, first 2 shown]
	buffer_load_dword v39, off, s[0:3], 0 offset:436
	buffer_load_dword v38, off, s[0:3], 0 offset:432
	ds_read_b128 v[28:31], v2 offset:912
	ds_read_b128 v[32:35], v2 offset:928
	buffer_load_dword v41, off, s[0:3], 0 offset:468
	buffer_load_dword v40, off, s[0:3], 0 offset:464
	;; [unrolled: 1-line block ×14, first 2 shown]
	v_cmp_lt_u32_e32 vcc, 38, v0
	s_waitcnt vmcnt(45) lgkmcnt(7)
	v_mul_f32_e32 v57, v4, v3
	v_mul_f32_e32 v3, v5, v3
	s_waitcnt vmcnt(44)
	v_mul_f32_e32 v59, v6, v54
	s_waitcnt vmcnt(43) lgkmcnt(6)
	v_mul_f32_e32 v84, v8, v56
	s_waitcnt vmcnt(42)
	v_mul_f32_e32 v85, v10, v58
	s_waitcnt vmcnt(41) lgkmcnt(5)
	;; [unrolled: 4-line block ×5, first 2 shown]
	v_mul_f32_e32 v92, v24, v66
	s_waitcnt vmcnt(34)
	v_mul_f32_e32 v93, v26, v67
	s_waitcnt vmcnt(32)
	v_fma_f32 v3, v4, v69, -v3
	v_mul_f32_e32 v4, v7, v54
	v_add_f32_e32 v3, 0, v3
	s_waitcnt vmcnt(31)
	v_fma_f32 v4, v6, v70, -v4
	v_add_f32_e32 v3, v3, v4
	v_mul_f32_e32 v4, v9, v56
	s_waitcnt vmcnt(30)
	v_fma_f32 v4, v8, v71, -v4
	v_add_f32_e32 v3, v3, v4
	v_mul_f32_e32 v4, v11, v58
	;; [unrolled: 4-line block ×5, first 2 shown]
	v_fmac_f32_e32 v57, v5, v69
	s_waitcnt vmcnt(26)
	v_fma_f32 v4, v16, v75, -v4
	v_fmac_f32_e32 v59, v7, v70
	v_add_f32_e32 v57, 0, v57
	v_add_f32_e32 v3, v3, v4
	v_mul_f32_e32 v4, v19, v63
	v_fmac_f32_e32 v84, v9, v71
	v_add_f32_e32 v57, v57, v59
	s_waitcnt vmcnt(25)
	v_fma_f32 v4, v18, v76, -v4
	v_fmac_f32_e32 v85, v11, v72
	v_add_f32_e32 v57, v57, v84
	v_add_f32_e32 v3, v3, v4
	v_mul_f32_e32 v4, v21, v64
	v_fmac_f32_e32 v86, v13, v73
	v_add_f32_e32 v57, v57, v85
	;; [unrolled: 8-line block ×5, first 2 shown]
	s_waitcnt vmcnt(21)
	v_fma_f32 v4, v26, v80, -v4
	s_waitcnt vmcnt(15)
	v_mov_b32_e32 v16, v39
	s_waitcnt lgkmcnt(1)
	v_mul_f32_e32 v55, v28, v68
	v_fmac_f32_e32 v93, v27, v80
	v_add_f32_e32 v57, v57, v92
	v_add_f32_e32 v56, v3, v4
	v_mul_f32_e32 v3, v29, v68
	s_waitcnt lgkmcnt(0)
	v_pk_mul_f32 v[16:17], v[32:33], v[16:17] op_sel_hi:[1,0]
	v_fmac_f32_e32 v55, v29, v81
	v_add_f32_e32 v57, v57, v93
	v_mul_f32_e32 v59, v30, v82
	v_fma_f32 v54, v28, v81, -v3
	v_mul_f32_e32 v3, v31, v82
	s_waitcnt vmcnt(14)
	v_pk_fma_f32 v[18:19], v[32:33], v[38:39], v[16:17] op_sel:[0,0,1] op_sel_hi:[1,1,0] neg_lo:[0,0,1] neg_hi:[0,0,1]
	v_pk_fma_f32 v[16:17], v[32:33], v[38:39], v[16:17] op_sel:[0,0,1] op_sel_hi:[1,0,0]
	v_fmac_f32_e32 v59, v31, v83
	v_fma_f32 v58, v30, v83, -v3
	ds_read_b128 v[4:7], v2 offset:944
	ds_read_b128 v[8:11], v2 offset:960
	;; [unrolled: 1-line block ×3, first 2 shown]
	v_pk_add_f32 v[2:3], v[56:57], v[54:55]
	s_waitcnt vmcnt(7)
	v_mov_b32_e32 v16, v47
	v_pk_add_f32 v[2:3], v[2:3], v[58:59]
	v_mov_b32_e32 v19, v17
	v_pk_mul_f32 v[16:17], v[34:35], v[16:17] op_sel_hi:[1,0]
	v_pk_add_f32 v[2:3], v[2:3], v[18:19]
	s_waitcnt vmcnt(6)
	v_pk_fma_f32 v[18:19], v[34:35], v[46:47], v[16:17] op_sel:[0,0,1] op_sel_hi:[1,1,0] neg_lo:[0,0,1] neg_hi:[0,0,1]
	v_pk_fma_f32 v[16:17], v[34:35], v[46:47], v[16:17] op_sel:[0,0,1] op_sel_hi:[1,0,0]
	v_mov_b32_e32 v16, v45
	v_mov_b32_e32 v19, v17
	s_waitcnt lgkmcnt(2)
	v_pk_mul_f32 v[16:17], v[4:5], v[16:17] op_sel_hi:[1,0]
	v_pk_add_f32 v[2:3], v[2:3], v[18:19]
	v_pk_fma_f32 v[18:19], v[4:5], v[44:45], v[16:17] op_sel:[0,0,1] op_sel_hi:[1,1,0] neg_lo:[0,0,1] neg_hi:[0,0,1]
	v_pk_fma_f32 v[4:5], v[4:5], v[44:45], v[16:17] op_sel:[0,0,1] op_sel_hi:[1,0,0]
	v_mov_b32_e32 v4, v43
	v_mov_b32_e32 v19, v5
	v_pk_mul_f32 v[4:5], v[6:7], v[4:5] op_sel_hi:[1,0]
	v_pk_fma_f32 v[16:17], v[6:7], v[42:43], v[4:5] op_sel:[0,0,1] op_sel_hi:[1,1,0] neg_lo:[0,0,1] neg_hi:[0,0,1]
	v_pk_fma_f32 v[4:5], v[6:7], v[42:43], v[4:5] op_sel:[0,0,1] op_sel_hi:[1,0,0]
	v_mov_b32_e32 v4, v41
	v_mov_b32_e32 v17, v5
	s_waitcnt lgkmcnt(1)
	v_pk_mul_f32 v[4:5], v[8:9], v[4:5] op_sel_hi:[1,0]
	v_pk_fma_f32 v[6:7], v[8:9], v[40:41], v[4:5] op_sel:[0,0,1] op_sel_hi:[1,1,0] neg_lo:[0,0,1] neg_hi:[0,0,1]
	v_pk_fma_f32 v[4:5], v[8:9], v[40:41], v[4:5] op_sel:[0,0,1] op_sel_hi:[1,0,0]
	v_pk_add_f32 v[2:3], v[2:3], v[18:19]
	s_waitcnt vmcnt(1)
	v_mov_b32_e32 v4, v53
	v_pk_add_f32 v[2:3], v[2:3], v[16:17]
	v_mov_b32_e32 v7, v5
	v_pk_mul_f32 v[4:5], v[10:11], v[4:5] op_sel_hi:[1,0]
	v_pk_add_f32 v[2:3], v[2:3], v[6:7]
	s_waitcnt vmcnt(0)
	v_pk_fma_f32 v[6:7], v[10:11], v[52:53], v[4:5] op_sel:[0,0,1] op_sel_hi:[1,1,0] neg_lo:[0,0,1] neg_hi:[0,0,1]
	v_pk_fma_f32 v[4:5], v[10:11], v[52:53], v[4:5] op_sel:[0,0,1] op_sel_hi:[1,0,0]
	v_mov_b32_e32 v4, v51
	v_mov_b32_e32 v7, v5
	s_waitcnt lgkmcnt(0)
	v_pk_mul_f32 v[4:5], v[12:13], v[4:5] op_sel_hi:[1,0]
	v_pk_add_f32 v[2:3], v[2:3], v[6:7]
	v_pk_fma_f32 v[6:7], v[12:13], v[50:51], v[4:5] op_sel:[0,0,1] op_sel_hi:[1,1,0] neg_lo:[0,0,1] neg_hi:[0,0,1]
	v_pk_fma_f32 v[4:5], v[12:13], v[50:51], v[4:5] op_sel:[0,0,1] op_sel_hi:[1,0,0]
	v_mov_b32_e32 v4, v49
	v_mov_b32_e32 v7, v5
	v_pk_mul_f32 v[4:5], v[14:15], v[4:5] op_sel_hi:[1,0]
	v_pk_add_f32 v[2:3], v[2:3], v[6:7]
	v_pk_fma_f32 v[6:7], v[14:15], v[48:49], v[4:5] op_sel:[0,0,1] op_sel_hi:[1,1,0] neg_lo:[0,0,1] neg_hi:[0,0,1]
	v_pk_fma_f32 v[4:5], v[14:15], v[48:49], v[4:5] op_sel:[0,0,1] op_sel_hi:[1,0,0]
	v_mov_b32_e32 v7, v5
	v_pk_add_f32 v[2:3], v[2:3], v[6:7]
	v_pk_add_f32 v[2:3], v[36:37], v[2:3] neg_lo:[0,1] neg_hi:[0,1]
	buffer_store_dword v3, off, s[0:3], 0 offset:316
	buffer_store_dword v2, off, s[0:3], 0 offset:312
	s_and_saveexec_b64 s[4:5], vcc
	s_cbranch_execz .LBB125_309
; %bb.308:
	buffer_load_dword v2, off, s[0:3], 0 offset:304
	buffer_load_dword v3, off, s[0:3], 0 offset:308
	v_mov_b32_e32 v4, 0
	buffer_store_dword v4, off, s[0:3], 0 offset:304
	buffer_store_dword v4, off, s[0:3], 0 offset:308
	s_waitcnt vmcnt(2)
	ds_write_b64 v210, v[2:3]
.LBB125_309:
	s_or_b64 exec, exec, s[4:5]
	s_waitcnt lgkmcnt(0)
	; wave barrier
	s_waitcnt lgkmcnt(0)
	buffer_load_dword v3, off, s[0:3], 0 offset:316
	buffer_load_dword v52, off, s[0:3], 0 offset:324
	;; [unrolled: 1-line block ×32, first 2 shown]
	v_mov_b32_e32 v2, 0
	buffer_load_dword v39, off, s[0:3], 0 offset:460
	buffer_load_dword v38, off, s[0:3], 0 offset:456
	;; [unrolled: 1-line block ×13, first 2 shown]
	ds_read2_b64 v[4:7], v2 offset0:101 offset1:102
	ds_read2_b64 v[8:11], v2 offset0:103 offset1:104
	;; [unrolled: 1-line block ×8, first 2 shown]
	v_cmp_lt_u32_e32 vcc, 37, v0
	s_waitcnt vmcnt(44) lgkmcnt(7)
	v_mul_f32_e32 v46, v4, v3
	s_waitcnt vmcnt(43)
	v_mul_f32_e32 v53, v6, v52
	s_waitcnt vmcnt(42) lgkmcnt(6)
	v_mul_f32_e32 v54, v8, v56
	s_waitcnt vmcnt(41)
	v_mul_f32_e32 v55, v10, v58
	;; [unrolled: 4-line block ×6, first 2 shown]
	s_waitcnt vmcnt(32) lgkmcnt(1)
	v_mul_f32_e32 v92, v28, v68
	s_waitcnt vmcnt(31)
	v_fmac_f32_e32 v46, v5, v69
	s_waitcnt vmcnt(30)
	v_fmac_f32_e32 v53, v7, v70
	v_add_f32_e32 v46, 0, v46
	s_waitcnt vmcnt(29)
	v_fmac_f32_e32 v54, v9, v71
	v_add_f32_e32 v46, v46, v53
	;; [unrolled: 3-line block ×12, first 2 shown]
	v_add_f32_e32 v53, v46, v92
	buffer_load_dword v55, off, s[0:3], 0 offset:476
	buffer_load_dword v54, off, s[0:3], 0 offset:472
	;; [unrolled: 1-line block ×3, first 2 shown]
	v_mul_f32_e32 v3, v5, v3
	v_fma_f32 v3, v4, v69, -v3
	v_mul_f32_e32 v4, v7, v52
	v_add_f32_e32 v3, 0, v3
	v_fma_f32 v4, v6, v70, -v4
	v_add_f32_e32 v3, v3, v4
	v_mul_f32_e32 v4, v9, v56
	v_fma_f32 v4, v8, v71, -v4
	v_add_f32_e32 v3, v3, v4
	v_mul_f32_e32 v4, v11, v58
	;; [unrolled: 3-line block ×11, first 2 shown]
	v_fma_f32 v4, v28, v81, -v4
	s_waitcnt vmcnt(9)
	v_mov_b32_e32 v20, v45
	v_mul_f32_e32 v57, v30, v82
	v_add_f32_e32 v52, v3, v4
	v_mul_f32_e32 v3, v31, v82
	s_waitcnt lgkmcnt(0)
	v_pk_mul_f32 v[20:21], v[34:35], v[20:21] op_sel_hi:[1,0]
	v_fmac_f32_e32 v57, v31, v83
	v_mul_f32_e32 v59, v32, v84
	v_fma_f32 v56, v30, v83, -v3
	v_mul_f32_e32 v3, v33, v84
	ds_read2_b64 v[4:7], v2 offset0:117 offset1:118
	ds_read2_b64 v[8:11], v2 offset0:119 offset1:120
	;; [unrolled: 1-line block ×3, first 2 shown]
	ds_read_b64 v[16:17], v2 offset:984
	s_waitcnt vmcnt(8)
	v_pk_fma_f32 v[22:23], v[34:35], v[44:45], v[20:21] op_sel:[0,0,1] op_sel_hi:[1,1,0] neg_lo:[0,0,1] neg_hi:[0,0,1]
	v_pk_fma_f32 v[20:21], v[34:35], v[44:45], v[20:21] op_sel:[0,0,1] op_sel_hi:[1,0,0]
	v_fmac_f32_e32 v59, v33, v85
	v_fma_f32 v58, v32, v85, -v3
	v_pk_add_f32 v[18:19], v[52:53], v[56:57]
	v_mov_b32_e32 v20, v43
	v_pk_add_f32 v[18:19], v[18:19], v[58:59]
	v_mov_b32_e32 v23, v21
	s_waitcnt lgkmcnt(3)
	v_pk_mul_f32 v[20:21], v[4:5], v[20:21] op_sel_hi:[1,0]
	v_pk_add_f32 v[18:19], v[18:19], v[22:23]
	v_pk_fma_f32 v[22:23], v[4:5], v[42:43], v[20:21] op_sel:[0,0,1] op_sel_hi:[1,1,0] neg_lo:[0,0,1] neg_hi:[0,0,1]
	v_pk_fma_f32 v[4:5], v[4:5], v[42:43], v[20:21] op_sel:[0,0,1] op_sel_hi:[1,0,0]
	v_mov_b32_e32 v23, v5
	v_pk_add_f32 v[4:5], v[18:19], v[22:23]
	v_mov_b32_e32 v18, v41
	v_pk_mul_f32 v[18:19], v[6:7], v[18:19] op_sel_hi:[1,0]
	v_pk_fma_f32 v[20:21], v[6:7], v[40:41], v[18:19] op_sel:[0,0,1] op_sel_hi:[1,1,0] neg_lo:[0,0,1] neg_hi:[0,0,1]
	v_pk_fma_f32 v[6:7], v[6:7], v[40:41], v[18:19] op_sel:[0,0,1] op_sel_hi:[1,0,0]
	v_mov_b32_e32 v6, v39
	v_mov_b32_e32 v21, v7
	s_waitcnt lgkmcnt(2)
	v_pk_mul_f32 v[6:7], v[8:9], v[6:7] op_sel_hi:[1,0]
	v_pk_fma_f32 v[18:19], v[8:9], v[38:39], v[6:7] op_sel:[0,0,1] op_sel_hi:[1,1,0] neg_lo:[0,0,1] neg_hi:[0,0,1]
	v_pk_fma_f32 v[6:7], v[8:9], v[38:39], v[6:7] op_sel:[0,0,1] op_sel_hi:[1,0,0]
	s_waitcnt vmcnt(7)
	v_mov_b32_e32 v6, v47
	v_mov_b32_e32 v19, v7
	v_pk_mul_f32 v[6:7], v[10:11], v[6:7] op_sel_hi:[1,0]
	v_pk_add_f32 v[4:5], v[4:5], v[20:21]
	v_pk_add_f32 v[4:5], v[4:5], v[18:19]
	s_waitcnt vmcnt(0)
	v_pk_fma_f32 v[8:9], v[10:11], v[46:47], v[6:7] op_sel:[0,0,1] op_sel_hi:[1,1,0] neg_lo:[0,0,1] neg_hi:[0,0,1]
	v_pk_fma_f32 v[6:7], v[10:11], v[46:47], v[6:7] op_sel:[0,0,1] op_sel_hi:[1,0,0]
	v_mov_b32_e32 v6, v55
	v_mov_b32_e32 v9, v7
	s_waitcnt lgkmcnt(1)
	v_pk_mul_f32 v[6:7], v[12:13], v[6:7] op_sel_hi:[1,0]
	v_pk_add_f32 v[4:5], v[4:5], v[8:9]
	v_pk_fma_f32 v[8:9], v[12:13], v[54:55], v[6:7] op_sel:[0,0,1] op_sel_hi:[1,1,0] neg_lo:[0,0,1] neg_hi:[0,0,1]
	v_pk_fma_f32 v[6:7], v[12:13], v[54:55], v[6:7] op_sel:[0,0,1] op_sel_hi:[1,0,0]
	v_mov_b32_e32 v6, v51
	v_mov_b32_e32 v9, v7
	v_pk_mul_f32 v[6:7], v[14:15], v[6:7] op_sel_hi:[1,0]
	v_pk_add_f32 v[4:5], v[4:5], v[8:9]
	v_pk_fma_f32 v[8:9], v[14:15], v[50:51], v[6:7] op_sel:[0,0,1] op_sel_hi:[1,1,0] neg_lo:[0,0,1] neg_hi:[0,0,1]
	v_pk_fma_f32 v[6:7], v[14:15], v[50:51], v[6:7] op_sel:[0,0,1] op_sel_hi:[1,0,0]
	v_mov_b32_e32 v6, v49
	v_mov_b32_e32 v9, v7
	s_waitcnt lgkmcnt(0)
	v_pk_mul_f32 v[6:7], v[16:17], v[6:7] op_sel_hi:[1,0]
	v_pk_add_f32 v[4:5], v[4:5], v[8:9]
	v_pk_fma_f32 v[8:9], v[16:17], v[48:49], v[6:7] op_sel:[0,0,1] op_sel_hi:[1,1,0] neg_lo:[0,0,1] neg_hi:[0,0,1]
	v_pk_fma_f32 v[6:7], v[16:17], v[48:49], v[6:7] op_sel:[0,0,1] op_sel_hi:[1,0,0]
	v_mov_b32_e32 v9, v7
	v_pk_add_f32 v[4:5], v[4:5], v[8:9]
	v_pk_add_f32 v[4:5], v[36:37], v[4:5] neg_lo:[0,1] neg_hi:[0,1]
	buffer_store_dword v5, off, s[0:3], 0 offset:308
	buffer_store_dword v4, off, s[0:3], 0 offset:304
	s_and_saveexec_b64 s[4:5], vcc
	s_cbranch_execz .LBB125_311
; %bb.310:
	buffer_load_dword v4, off, s[0:3], 0 offset:296
	buffer_load_dword v5, off, s[0:3], 0 offset:300
	s_waitcnt vmcnt(0)
	ds_write_b64 v210, v[4:5]
	buffer_store_dword v2, off, s[0:3], 0 offset:296
	buffer_store_dword v2, off, s[0:3], 0 offset:300
.LBB125_311:
	s_or_b64 exec, exec, s[4:5]
	s_waitcnt lgkmcnt(0)
	; wave barrier
	s_waitcnt lgkmcnt(0)
	buffer_load_dword v3, off, s[0:3], 0 offset:308
	buffer_load_dword v52, off, s[0:3], 0 offset:316
	;; [unrolled: 1-line block ×34, first 2 shown]
	ds_read_b128 v[4:7], v2 offset:800
	ds_read_b128 v[8:11], v2 offset:816
	;; [unrolled: 1-line block ×8, first 2 shown]
	buffer_load_dword v39, off, s[0:3], 0 offset:452
	buffer_load_dword v38, off, s[0:3], 0 offset:448
	;; [unrolled: 1-line block ×9, first 2 shown]
	v_cmp_lt_u32_e32 vcc, 36, v0
	s_waitcnt vmcnt(42) lgkmcnt(7)
	v_mul_f32_e32 v44, v4, v3
	s_waitcnt vmcnt(41)
	v_mul_f32_e32 v48, v6, v52
	s_waitcnt vmcnt(40) lgkmcnt(6)
	v_mul_f32_e32 v49, v8, v54
	s_waitcnt vmcnt(39)
	v_mul_f32_e32 v50, v10, v56
	;; [unrolled: 4-line block ×6, first 2 shown]
	s_waitcnt vmcnt(30) lgkmcnt(1)
	v_mul_f32_e32 v90, v28, v68
	v_mul_f32_e32 v3, v5, v3
	s_waitcnt vmcnt(28)
	v_fmac_f32_e32 v44, v5, v70
	s_waitcnt vmcnt(27)
	v_fmac_f32_e32 v48, v7, v71
	v_add_f32_e32 v44, 0, v44
	s_waitcnt vmcnt(26)
	v_fmac_f32_e32 v49, v9, v72
	v_add_f32_e32 v44, v44, v48
	;; [unrolled: 3-line block ×12, first 2 shown]
	v_add_f32_e32 v53, v44, v90
	buffer_load_dword v49, off, s[0:3], 0 offset:476
	buffer_load_dword v48, off, s[0:3], 0 offset:472
	;; [unrolled: 1-line block ×7, first 2 shown]
	v_fma_f32 v3, v4, v70, -v3
	v_mul_f32_e32 v4, v7, v52
	v_add_f32_e32 v3, 0, v3
	v_fma_f32 v4, v6, v71, -v4
	v_add_f32_e32 v3, v3, v4
	v_mul_f32_e32 v4, v9, v54
	v_fma_f32 v4, v8, v72, -v4
	v_add_f32_e32 v3, v3, v4
	v_mul_f32_e32 v4, v11, v56
	;; [unrolled: 3-line block ×12, first 2 shown]
	s_waitcnt vmcnt(22)
	v_fma_f32 v4, v30, v83, -v4
	v_add_f32_e32 v52, v3, v4
	ds_read_b128 v[4:7], v2 offset:928
	ds_read_b128 v[8:11], v2 offset:944
	;; [unrolled: 1-line block ×4, first 2 shown]
	s_waitcnt vmcnt(11)
	v_mov_b32_e32 v20, v43
	s_waitcnt lgkmcnt(3)
	v_pk_mul_f32 v[20:21], v[4:5], v[20:21] op_sel_hi:[1,0]
	s_waitcnt vmcnt(10)
	v_pk_fma_f32 v[22:23], v[4:5], v[42:43], v[20:21] op_sel:[0,0,1] op_sel_hi:[1,1,0] neg_lo:[0,0,1] neg_hi:[0,0,1]
	v_pk_fma_f32 v[4:5], v[4:5], v[42:43], v[20:21] op_sel:[0,0,1] op_sel_hi:[1,0,0]
	v_mov_b32_e32 v4, v41
	v_mul_f32_e32 v91, v30, v69
	v_mov_b32_e32 v23, v5
	v_pk_mul_f32 v[4:5], v[6:7], v[4:5] op_sel_hi:[1,0]
	v_fmac_f32_e32 v91, v31, v83
	v_mul_f32_e32 v55, v32, v84
	v_mul_f32_e32 v3, v33, v84
	v_pk_fma_f32 v[20:21], v[6:7], v[40:41], v[4:5] op_sel:[0,0,1] op_sel_hi:[1,1,0] neg_lo:[0,0,1] neg_hi:[0,0,1]
	v_pk_fma_f32 v[4:5], v[6:7], v[40:41], v[4:5] op_sel:[0,0,1] op_sel_hi:[1,0,0]
	v_add_f32_e32 v53, v53, v91
	v_fmac_f32_e32 v55, v33, v85
	v_mul_f32_e32 v57, v34, v86
	v_fma_f32 v54, v32, v85, -v3
	v_mul_f32_e32 v3, v35, v86
	v_mov_b32_e32 v4, v39
	v_fmac_f32_e32 v57, v35, v87
	v_fma_f32 v56, v34, v87, -v3
	v_pk_add_f32 v[2:3], v[52:53], v[54:55]
	v_mov_b32_e32 v21, v5
	s_waitcnt lgkmcnt(2)
	v_pk_mul_f32 v[4:5], v[8:9], v[4:5] op_sel_hi:[1,0]
	v_pk_add_f32 v[2:3], v[2:3], v[56:57]
	v_pk_fma_f32 v[6:7], v[8:9], v[38:39], v[4:5] op_sel:[0,0,1] op_sel_hi:[1,1,0] neg_lo:[0,0,1] neg_hi:[0,0,1]
	v_pk_fma_f32 v[4:5], v[8:9], v[38:39], v[4:5] op_sel:[0,0,1] op_sel_hi:[1,0,0]
	v_pk_add_f32 v[2:3], v[2:3], v[22:23]
	s_waitcnt vmcnt(9)
	v_mov_b32_e32 v4, v45
	v_pk_add_f32 v[2:3], v[2:3], v[20:21]
	v_mov_b32_e32 v7, v5
	v_pk_mul_f32 v[4:5], v[10:11], v[4:5] op_sel_hi:[1,0]
	v_pk_add_f32 v[2:3], v[2:3], v[6:7]
	s_waitcnt vmcnt(2)
	v_pk_fma_f32 v[6:7], v[10:11], v[44:45], v[4:5] op_sel:[0,0,1] op_sel_hi:[1,1,0] neg_lo:[0,0,1] neg_hi:[0,0,1]
	v_pk_fma_f32 v[4:5], v[10:11], v[44:45], v[4:5] op_sel:[0,0,1] op_sel_hi:[1,0,0]
	v_mov_b32_e32 v4, v51
	v_mov_b32_e32 v7, v5
	s_waitcnt lgkmcnt(1)
	v_pk_mul_f32 v[4:5], v[12:13], v[4:5] op_sel_hi:[1,0]
	v_pk_add_f32 v[2:3], v[2:3], v[6:7]
	v_pk_fma_f32 v[6:7], v[12:13], v[50:51], v[4:5] op_sel:[0,0,1] op_sel_hi:[1,1,0] neg_lo:[0,0,1] neg_hi:[0,0,1]
	v_pk_fma_f32 v[4:5], v[12:13], v[50:51], v[4:5] op_sel:[0,0,1] op_sel_hi:[1,0,0]
	v_mov_b32_e32 v4, v49
	v_mov_b32_e32 v7, v5
	v_pk_mul_f32 v[4:5], v[14:15], v[4:5] op_sel_hi:[1,0]
	v_pk_add_f32 v[2:3], v[2:3], v[6:7]
	v_pk_fma_f32 v[6:7], v[14:15], v[48:49], v[4:5] op_sel:[0,0,1] op_sel_hi:[1,1,0] neg_lo:[0,0,1] neg_hi:[0,0,1]
	v_pk_fma_f32 v[4:5], v[14:15], v[48:49], v[4:5] op_sel:[0,0,1] op_sel_hi:[1,0,0]
	v_mov_b32_e32 v4, v47
	v_mov_b32_e32 v7, v5
	s_waitcnt lgkmcnt(0)
	v_pk_mul_f32 v[4:5], v[16:17], v[4:5] op_sel_hi:[1,0]
	v_pk_add_f32 v[2:3], v[2:3], v[6:7]
	v_pk_fma_f32 v[6:7], v[16:17], v[46:47], v[4:5] op_sel:[0,0,1] op_sel_hi:[1,1,0] neg_lo:[0,0,1] neg_hi:[0,0,1]
	v_pk_fma_f32 v[4:5], v[16:17], v[46:47], v[4:5] op_sel:[0,0,1] op_sel_hi:[1,0,0]
	s_waitcnt vmcnt(1)
	v_mov_b32_e32 v4, v59
	v_mov_b32_e32 v7, v5
	v_pk_mul_f32 v[4:5], v[18:19], v[4:5] op_sel_hi:[1,0]
	v_pk_add_f32 v[2:3], v[2:3], v[6:7]
	s_waitcnt vmcnt(0)
	v_pk_fma_f32 v[6:7], v[18:19], v[58:59], v[4:5] op_sel:[0,0,1] op_sel_hi:[1,1,0] neg_lo:[0,0,1] neg_hi:[0,0,1]
	v_pk_fma_f32 v[4:5], v[18:19], v[58:59], v[4:5] op_sel:[0,0,1] op_sel_hi:[1,0,0]
	v_mov_b32_e32 v7, v5
	v_pk_add_f32 v[2:3], v[2:3], v[6:7]
	v_pk_add_f32 v[2:3], v[36:37], v[2:3] neg_lo:[0,1] neg_hi:[0,1]
	buffer_store_dword v3, off, s[0:3], 0 offset:300
	buffer_store_dword v2, off, s[0:3], 0 offset:296
	s_and_saveexec_b64 s[4:5], vcc
	s_cbranch_execz .LBB125_313
; %bb.312:
	buffer_load_dword v2, off, s[0:3], 0 offset:288
	buffer_load_dword v3, off, s[0:3], 0 offset:292
	v_mov_b32_e32 v4, 0
	buffer_store_dword v4, off, s[0:3], 0 offset:288
	buffer_store_dword v4, off, s[0:3], 0 offset:292
	s_waitcnt vmcnt(2)
	ds_write_b64 v210, v[2:3]
.LBB125_313:
	s_or_b64 exec, exec, s[4:5]
	s_waitcnt lgkmcnt(0)
	; wave barrier
	s_waitcnt lgkmcnt(0)
	buffer_load_dword v5, off, s[0:3], 0 offset:300
	buffer_load_dword v58, off, s[0:3], 0 offset:308
	;; [unrolled: 1-line block ×36, first 2 shown]
	v_mov_b32_e32 v4, 0
	buffer_load_dword v47, off, s[0:3], 0 offset:444
	buffer_load_dword v46, off, s[0:3], 0 offset:440
	buffer_load_dword v49, off, s[0:3], 0 offset:436
	buffer_load_dword v48, off, s[0:3], 0 offset:432
	buffer_load_dword v51, off, s[0:3], 0 offset:452
	ds_read2_b64 v[6:9], v4 offset0:99 offset1:100
	ds_read2_b64 v[10:13], v4 offset0:101 offset1:102
	;; [unrolled: 1-line block ×8, first 2 shown]
	v_cmp_lt_u32_e32 vcc, 35, v0
	s_waitcnt vmcnt(40) lgkmcnt(7)
	v_mul_f32_e32 v38, v6, v5
	s_waitcnt vmcnt(39)
	v_mul_f32_e32 v39, v8, v58
	s_waitcnt vmcnt(38) lgkmcnt(6)
	v_mul_f32_e32 v40, v10, v60
	s_waitcnt vmcnt(37)
	v_mul_f32_e32 v41, v12, v62
	;; [unrolled: 4-line block ×7, first 2 shown]
	s_waitcnt vmcnt(26) lgkmcnt(0)
	v_mul_f32_e32 v59, v34, v78
	s_waitcnt vmcnt(25)
	v_fmac_f32_e32 v38, v7, v79
	s_waitcnt vmcnt(24)
	v_fmac_f32_e32 v39, v9, v80
	v_add_f32_e32 v38, 0, v38
	s_waitcnt vmcnt(23)
	v_fmac_f32_e32 v40, v11, v81
	v_add_f32_e32 v38, v38, v39
	;; [unrolled: 3-line block ×13, first 2 shown]
	v_add_f32_e32 v42, v38, v56
	buffer_load_dword v53, off, s[0:3], 0 offset:476
	buffer_load_dword v52, off, s[0:3], 0 offset:472
	;; [unrolled: 1-line block ×7, first 2 shown]
	s_waitcnt vmcnt(18)
	v_fmac_f32_e32 v59, v35, v93
	ds_read2_b64 v[38:41], v4 offset0:115 offset1:116
	v_add_f32_e32 v59, v42, v59
	ds_read2_b64 v[42:45], v4 offset0:117 offset1:118
	buffer_load_dword v65, off, s[0:3], 0 offset:492
	buffer_load_dword v64, off, s[0:3], 0 offset:488
	;; [unrolled: 1-line block ×4, first 2 shown]
	v_mul_f32_e32 v5, v7, v5
	v_fma_f32 v5, v6, v79, -v5
	v_mul_f32_e32 v6, v9, v58
	v_add_f32_e32 v5, 0, v5
	v_fma_f32 v6, v8, v80, -v6
	v_add_f32_e32 v5, v5, v6
	v_mul_f32_e32 v6, v11, v60
	v_fma_f32 v6, v10, v81, -v6
	v_add_f32_e32 v5, v5, v6
	v_mul_f32_e32 v6, v13, v62
	;; [unrolled: 3-line block ×13, first 2 shown]
	v_fma_f32 v6, v34, v93, -v6
	s_waitcnt vmcnt(13)
	v_mov_b32_e32 v18, v49
	v_mul_f32_e32 v61, v36, v94
	v_add_f32_e32 v58, v5, v6
	v_mul_f32_e32 v5, v37, v94
	s_waitcnt lgkmcnt(1)
	v_pk_mul_f32 v[18:19], v[40:41], v[18:19] op_sel_hi:[1,0]
	v_fmac_f32_e32 v61, v37, v95
	v_mul_f32_e32 v63, v38, v96
	v_fma_f32 v60, v36, v95, -v5
	v_mul_f32_e32 v5, v39, v96
	s_waitcnt vmcnt(12)
	v_pk_fma_f32 v[20:21], v[40:41], v[48:49], v[18:19] op_sel:[0,0,1] op_sel_hi:[1,1,0] neg_lo:[0,0,1] neg_hi:[0,0,1]
	v_pk_fma_f32 v[18:19], v[40:41], v[48:49], v[18:19] op_sel:[0,0,1] op_sel_hi:[1,0,0]
	v_fmac_f32_e32 v63, v39, v97
	v_fma_f32 v62, v38, v97, -v5
	v_pk_add_f32 v[16:17], v[58:59], v[60:61]
	v_mov_b32_e32 v18, v47
	v_pk_add_f32 v[16:17], v[16:17], v[62:63]
	v_mov_b32_e32 v21, v19
	s_waitcnt lgkmcnt(0)
	v_pk_mul_f32 v[18:19], v[42:43], v[18:19] op_sel_hi:[1,0]
	v_pk_add_f32 v[16:17], v[16:17], v[20:21]
	v_pk_fma_f32 v[20:21], v[42:43], v[46:47], v[18:19] op_sel:[0,0,1] op_sel_hi:[1,1,0] neg_lo:[0,0,1] neg_hi:[0,0,1]
	v_pk_fma_f32 v[18:19], v[42:43], v[46:47], v[18:19] op_sel:[0,0,1] op_sel_hi:[1,0,0]
	s_waitcnt vmcnt(11)
	v_mov_b32_e32 v18, v51
	ds_read2_b64 v[6:9], v4 offset0:119 offset1:120
	ds_read2_b64 v[10:13], v4 offset0:121 offset1:122
	ds_read_b64 v[14:15], v4 offset:984
	v_mov_b32_e32 v21, v19
	v_pk_mul_f32 v[18:19], v[44:45], v[18:19] op_sel_hi:[1,0]
	v_pk_add_f32 v[16:17], v[16:17], v[20:21]
	s_waitcnt vmcnt(4)
	v_pk_fma_f32 v[20:21], v[44:45], v[50:51], v[18:19] op_sel:[0,0,1] op_sel_hi:[1,1,0] neg_lo:[0,0,1] neg_hi:[0,0,1]
	v_pk_fma_f32 v[18:19], v[44:45], v[50:51], v[18:19] op_sel:[0,0,1] op_sel_hi:[1,0,0]
	v_mov_b32_e32 v18, v57
	v_mov_b32_e32 v21, v19
	s_waitcnt lgkmcnt(2)
	v_pk_mul_f32 v[18:19], v[6:7], v[18:19] op_sel_hi:[1,0]
	v_pk_add_f32 v[16:17], v[16:17], v[20:21]
	v_pk_fma_f32 v[20:21], v[6:7], v[56:57], v[18:19] op_sel:[0,0,1] op_sel_hi:[1,1,0] neg_lo:[0,0,1] neg_hi:[0,0,1]
	v_pk_fma_f32 v[6:7], v[6:7], v[56:57], v[18:19] op_sel:[0,0,1] op_sel_hi:[1,0,0]
	v_mov_b32_e32 v21, v7
	v_pk_add_f32 v[6:7], v[16:17], v[20:21]
	v_mov_b32_e32 v16, v55
	v_pk_mul_f32 v[16:17], v[8:9], v[16:17] op_sel_hi:[1,0]
	v_pk_fma_f32 v[18:19], v[8:9], v[54:55], v[16:17] op_sel:[0,0,1] op_sel_hi:[1,1,0] neg_lo:[0,0,1] neg_hi:[0,0,1]
	v_pk_fma_f32 v[8:9], v[8:9], v[54:55], v[16:17] op_sel:[0,0,1] op_sel_hi:[1,0,0]
	v_mov_b32_e32 v8, v53
	v_mov_b32_e32 v19, v9
	s_waitcnt lgkmcnt(1)
	v_pk_mul_f32 v[8:9], v[10:11], v[8:9] op_sel_hi:[1,0]
	v_pk_fma_f32 v[16:17], v[10:11], v[52:53], v[8:9] op_sel:[0,0,1] op_sel_hi:[1,1,0] neg_lo:[0,0,1] neg_hi:[0,0,1]
	v_pk_fma_f32 v[8:9], v[10:11], v[52:53], v[8:9] op_sel:[0,0,1] op_sel_hi:[1,0,0]
	s_waitcnt vmcnt(1)
	v_mov_b32_e32 v8, v67
	v_mov_b32_e32 v17, v9
	v_pk_mul_f32 v[8:9], v[12:13], v[8:9] op_sel_hi:[1,0]
	s_waitcnt vmcnt(0)
	v_pk_fma_f32 v[10:11], v[12:13], v[66:67], v[8:9] op_sel:[0,0,1] op_sel_hi:[1,1,0] neg_lo:[0,0,1] neg_hi:[0,0,1]
	v_pk_fma_f32 v[8:9], v[12:13], v[66:67], v[8:9] op_sel:[0,0,1] op_sel_hi:[1,0,0]
	v_pk_add_f32 v[6:7], v[6:7], v[18:19]
	v_mov_b32_e32 v8, v65
	v_pk_add_f32 v[6:7], v[6:7], v[16:17]
	v_mov_b32_e32 v11, v9
	s_waitcnt lgkmcnt(0)
	v_pk_mul_f32 v[8:9], v[14:15], v[8:9] op_sel_hi:[1,0]
	v_pk_add_f32 v[6:7], v[6:7], v[10:11]
	v_pk_fma_f32 v[10:11], v[14:15], v[64:65], v[8:9] op_sel:[0,0,1] op_sel_hi:[1,1,0] neg_lo:[0,0,1] neg_hi:[0,0,1]
	v_pk_fma_f32 v[8:9], v[14:15], v[64:65], v[8:9] op_sel:[0,0,1] op_sel_hi:[1,0,0]
	v_mov_b32_e32 v11, v9
	v_pk_add_f32 v[6:7], v[6:7], v[10:11]
	v_pk_add_f32 v[2:3], v[2:3], v[6:7] neg_lo:[0,1] neg_hi:[0,1]
	buffer_store_dword v3, off, s[0:3], 0 offset:292
	buffer_store_dword v2, off, s[0:3], 0 offset:288
	s_and_saveexec_b64 s[4:5], vcc
	s_cbranch_execz .LBB125_315
; %bb.314:
	buffer_load_dword v2, off, s[0:3], 0 offset:280
	buffer_load_dword v3, off, s[0:3], 0 offset:284
	s_waitcnt vmcnt(0)
	ds_write_b64 v210, v[2:3]
	buffer_store_dword v4, off, s[0:3], 0 offset:280
	buffer_store_dword v4, off, s[0:3], 0 offset:284
.LBB125_315:
	s_or_b64 exec, exec, s[4:5]
	s_waitcnt lgkmcnt(0)
	; wave barrier
	s_waitcnt lgkmcnt(0)
	buffer_load_dword v2, off, s[0:3], 0 offset:292
	buffer_load_dword v3, off, s[0:3], 0 offset:300
	buffer_load_dword v5, off, s[0:3], 0 offset:308
	buffer_load_dword v58, off, s[0:3], 0 offset:316
	buffer_load_dword v60, off, s[0:3], 0 offset:324
	buffer_load_dword v62, off, s[0:3], 0 offset:332
	buffer_load_dword v70, off, s[0:3], 0 offset:340
	buffer_load_dword v71, off, s[0:3], 0 offset:348
	buffer_load_dword v72, off, s[0:3], 0 offset:356
	buffer_load_dword v73, off, s[0:3], 0 offset:364
	buffer_load_dword v74, off, s[0:3], 0 offset:372
	buffer_load_dword v75, off, s[0:3], 0 offset:380
	buffer_load_dword v76, off, s[0:3], 0 offset:388
	buffer_load_dword v77, off, s[0:3], 0 offset:396
	buffer_load_dword v78, off, s[0:3], 0 offset:404
	buffer_load_dword v79, off, s[0:3], 0 offset:288
	buffer_load_dword v80, off, s[0:3], 0 offset:296
	buffer_load_dword v81, off, s[0:3], 0 offset:304
	buffer_load_dword v82, off, s[0:3], 0 offset:312
	buffer_load_dword v83, off, s[0:3], 0 offset:320
	buffer_load_dword v84, off, s[0:3], 0 offset:328
	buffer_load_dword v85, off, s[0:3], 0 offset:336
	buffer_load_dword v86, off, s[0:3], 0 offset:344
	buffer_load_dword v87, off, s[0:3], 0 offset:352
	buffer_load_dword v88, off, s[0:3], 0 offset:360
	buffer_load_dword v89, off, s[0:3], 0 offset:368
	buffer_load_dword v90, off, s[0:3], 0 offset:376
	buffer_load_dword v91, off, s[0:3], 0 offset:384
	buffer_load_dword v92, off, s[0:3], 0 offset:392
	buffer_load_dword v93, off, s[0:3], 0 offset:400
	buffer_load_dword v94, off, s[0:3], 0 offset:412
	buffer_load_dword v95, off, s[0:3], 0 offset:408
	buffer_load_dword v96, off, s[0:3], 0 offset:420
	buffer_load_dword v97, off, s[0:3], 0 offset:416
	buffer_load_dword v98, off, s[0:3], 0 offset:428
	buffer_load_dword v99, off, s[0:3], 0 offset:424
	buffer_load_dword v46, off, s[0:3], 0 offset:280
	buffer_load_dword v47, off, s[0:3], 0 offset:284
	ds_read_b128 v[6:9], v4 offset:784
	ds_read_b128 v[10:13], v4 offset:800
	ds_read_b128 v[14:17], v4 offset:816
	ds_read_b128 v[18:21], v4 offset:832
	ds_read_b128 v[22:25], v4 offset:848
	ds_read_b128 v[26:29], v4 offset:864
	ds_read_b128 v[30:33], v4 offset:880
	ds_read_b128 v[34:37], v4 offset:896
	buffer_load_dword v49, off, s[0:3], 0 offset:436
	buffer_load_dword v48, off, s[0:3], 0 offset:432
	;; [unrolled: 1-line block ×4, first 2 shown]
	v_cmp_lt_u32_e32 vcc, 34, v0
	s_waitcnt vmcnt(41) lgkmcnt(7)
	v_mul_f32_e32 v38, v6, v2
	s_waitcnt vmcnt(40)
	v_mul_f32_e32 v39, v8, v3
	s_waitcnt vmcnt(39) lgkmcnt(6)
	v_mul_f32_e32 v40, v10, v5
	s_waitcnt vmcnt(38)
	v_mul_f32_e32 v41, v12, v58
	s_waitcnt vmcnt(37) lgkmcnt(5)
	v_mul_f32_e32 v42, v14, v60
	s_waitcnt vmcnt(36)
	v_mul_f32_e32 v43, v16, v62
	s_waitcnt vmcnt(35) lgkmcnt(4)
	v_mul_f32_e32 v44, v18, v70
	s_waitcnt vmcnt(34)
	v_mul_f32_e32 v45, v20, v71
	s_waitcnt vmcnt(33) lgkmcnt(3)
	v_mul_f32_e32 v52, v22, v72
	s_waitcnt vmcnt(32)
	v_mul_f32_e32 v53, v24, v73
	s_waitcnt vmcnt(31) lgkmcnt(2)
	v_mul_f32_e32 v54, v26, v74
	s_waitcnt vmcnt(30)
	v_mul_f32_e32 v55, v28, v75
	s_waitcnt vmcnt(29) lgkmcnt(1)
	v_mul_f32_e32 v56, v30, v76
	s_waitcnt vmcnt(28)
	v_mul_f32_e32 v57, v32, v77
	s_waitcnt vmcnt(27) lgkmcnt(0)
	v_mul_f32_e32 v59, v34, v78
	s_waitcnt vmcnt(26)
	v_fmac_f32_e32 v38, v7, v79
	s_waitcnt vmcnt(25)
	v_fmac_f32_e32 v39, v9, v80
	v_add_f32_e32 v38, 0, v38
	s_waitcnt vmcnt(24)
	v_fmac_f32_e32 v40, v11, v81
	v_add_f32_e32 v38, v38, v39
	;; [unrolled: 3-line block ×13, first 2 shown]
	v_add_f32_e32 v38, v38, v57
	buffer_load_dword v53, off, s[0:3], 0 offset:460
	buffer_load_dword v52, off, s[0:3], 0 offset:456
	;; [unrolled: 1-line block ×6, first 2 shown]
	s_waitcnt vmcnt(18)
	v_fmac_f32_e32 v59, v35, v93
	s_waitcnt vmcnt(17)
	v_mul_f32_e32 v43, v36, v94
	v_add_f32_e32 v42, v38, v59
	s_waitcnt vmcnt(16)
	v_fmac_f32_e32 v43, v37, v95
	ds_read_b128 v[38:41], v4 offset:912
	v_add_f32_e32 v59, v42, v43
	ds_read_b128 v[42:45], v4 offset:928
	buffer_load_dword v65, off, s[0:3], 0 offset:492
	buffer_load_dword v64, off, s[0:3], 0 offset:488
	;; [unrolled: 1-line block ×6, first 2 shown]
	v_mul_f32_e32 v2, v7, v2
	v_fma_f32 v2, v6, v79, -v2
	v_mul_f32_e32 v3, v9, v3
	v_add_f32_e32 v2, 0, v2
	v_fma_f32 v3, v8, v80, -v3
	v_add_f32_e32 v2, v2, v3
	v_mul_f32_e32 v3, v11, v5
	v_fma_f32 v3, v10, v81, -v3
	v_add_f32_e32 v2, v2, v3
	v_mul_f32_e32 v3, v13, v58
	;; [unrolled: 3-line block ×14, first 2 shown]
	v_fma_f32 v3, v36, v95, -v3
	s_waitcnt vmcnt(15)
	v_mov_b32_e32 v16, v49
	s_waitcnt lgkmcnt(1)
	v_mul_f32_e32 v61, v38, v96
	v_add_f32_e32 v58, v2, v3
	v_mul_f32_e32 v2, v39, v96
	s_waitcnt lgkmcnt(0)
	v_pk_mul_f32 v[16:17], v[42:43], v[16:17] op_sel_hi:[1,0]
	v_fmac_f32_e32 v61, v39, v97
	v_mul_f32_e32 v63, v40, v98
	v_fma_f32 v60, v38, v97, -v2
	v_mul_f32_e32 v2, v41, v98
	s_waitcnt vmcnt(14)
	v_pk_fma_f32 v[18:19], v[42:43], v[48:49], v[16:17] op_sel:[0,0,1] op_sel_hi:[1,1,0] neg_lo:[0,0,1] neg_hi:[0,0,1]
	v_pk_fma_f32 v[16:17], v[42:43], v[48:49], v[16:17] op_sel:[0,0,1] op_sel_hi:[1,0,0]
	v_fmac_f32_e32 v63, v41, v99
	v_fma_f32 v62, v40, v99, -v2
	v_pk_add_f32 v[14:15], v[58:59], v[60:61]
	ds_read_b128 v[6:9], v4 offset:944
	ds_read_b128 v[10:13], v4 offset:960
	;; [unrolled: 1-line block ×3, first 2 shown]
	v_pk_add_f32 v[14:15], v[14:15], v[62:63]
	v_mov_b32_e32 v19, v17
	v_pk_add_f32 v[14:15], v[14:15], v[18:19]
	s_waitcnt vmcnt(7)
	v_mov_b32_e32 v16, v57
	v_pk_mul_f32 v[16:17], v[44:45], v[16:17] op_sel_hi:[1,0]
	s_waitcnt vmcnt(6)
	v_pk_fma_f32 v[18:19], v[44:45], v[56:57], v[16:17] op_sel:[0,0,1] op_sel_hi:[1,1,0] neg_lo:[0,0,1] neg_hi:[0,0,1]
	v_pk_fma_f32 v[16:17], v[44:45], v[56:57], v[16:17] op_sel:[0,0,1] op_sel_hi:[1,0,0]
	v_mov_b32_e32 v16, v55
	v_mov_b32_e32 v19, v17
	s_waitcnt lgkmcnt(2)
	v_pk_mul_f32 v[16:17], v[6:7], v[16:17] op_sel_hi:[1,0]
	v_pk_add_f32 v[14:15], v[14:15], v[18:19]
	v_pk_fma_f32 v[18:19], v[6:7], v[54:55], v[16:17] op_sel:[0,0,1] op_sel_hi:[1,1,0] neg_lo:[0,0,1] neg_hi:[0,0,1]
	v_pk_fma_f32 v[6:7], v[6:7], v[54:55], v[16:17] op_sel:[0,0,1] op_sel_hi:[1,0,0]
	v_mov_b32_e32 v19, v7
	v_pk_add_f32 v[6:7], v[14:15], v[18:19]
	v_mov_b32_e32 v14, v53
	v_pk_mul_f32 v[14:15], v[8:9], v[14:15] op_sel_hi:[1,0]
	v_pk_fma_f32 v[16:17], v[8:9], v[52:53], v[14:15] op_sel:[0,0,1] op_sel_hi:[1,1,0] neg_lo:[0,0,1] neg_hi:[0,0,1]
	v_pk_fma_f32 v[8:9], v[8:9], v[52:53], v[14:15] op_sel:[0,0,1] op_sel_hi:[1,0,0]
	v_mov_b32_e32 v8, v51
	v_mov_b32_e32 v17, v9
	s_waitcnt lgkmcnt(1)
	v_pk_mul_f32 v[8:9], v[10:11], v[8:9] op_sel_hi:[1,0]
	v_pk_fma_f32 v[14:15], v[10:11], v[50:51], v[8:9] op_sel:[0,0,1] op_sel_hi:[1,1,0] neg_lo:[0,0,1] neg_hi:[0,0,1]
	v_pk_fma_f32 v[8:9], v[10:11], v[50:51], v[8:9] op_sel:[0,0,1] op_sel_hi:[1,0,0]
	s_waitcnt vmcnt(1)
	v_mov_b32_e32 v8, v69
	v_mov_b32_e32 v15, v9
	v_pk_mul_f32 v[8:9], v[12:13], v[8:9] op_sel_hi:[1,0]
	s_waitcnt vmcnt(0)
	v_pk_fma_f32 v[10:11], v[12:13], v[68:69], v[8:9] op_sel:[0,0,1] op_sel_hi:[1,1,0] neg_lo:[0,0,1] neg_hi:[0,0,1]
	v_pk_fma_f32 v[8:9], v[12:13], v[68:69], v[8:9] op_sel:[0,0,1] op_sel_hi:[1,0,0]
	v_pk_add_f32 v[6:7], v[6:7], v[16:17]
	v_mov_b32_e32 v8, v67
	v_pk_add_f32 v[6:7], v[6:7], v[14:15]
	v_mov_b32_e32 v11, v9
	s_waitcnt lgkmcnt(0)
	v_pk_mul_f32 v[8:9], v[2:3], v[8:9] op_sel_hi:[1,0]
	v_pk_add_f32 v[6:7], v[6:7], v[10:11]
	v_pk_fma_f32 v[10:11], v[2:3], v[66:67], v[8:9] op_sel:[0,0,1] op_sel_hi:[1,1,0] neg_lo:[0,0,1] neg_hi:[0,0,1]
	v_pk_fma_f32 v[2:3], v[2:3], v[66:67], v[8:9] op_sel:[0,0,1] op_sel_hi:[1,0,0]
	v_mov_b32_e32 v11, v3
	v_pk_add_f32 v[2:3], v[6:7], v[10:11]
	v_mov_b32_e32 v6, v65
	v_pk_mul_f32 v[6:7], v[4:5], v[6:7] op_sel_hi:[1,0]
	v_pk_fma_f32 v[8:9], v[4:5], v[64:65], v[6:7] op_sel:[0,0,1] op_sel_hi:[1,1,0] neg_lo:[0,0,1] neg_hi:[0,0,1]
	v_pk_fma_f32 v[4:5], v[4:5], v[64:65], v[6:7] op_sel:[0,0,1] op_sel_hi:[1,0,0]
	v_mov_b32_e32 v9, v5
	v_pk_add_f32 v[2:3], v[2:3], v[8:9]
	v_pk_add_f32 v[2:3], v[46:47], v[2:3] neg_lo:[0,1] neg_hi:[0,1]
	buffer_store_dword v3, off, s[0:3], 0 offset:284
	buffer_store_dword v2, off, s[0:3], 0 offset:280
	s_and_saveexec_b64 s[4:5], vcc
	s_cbranch_execz .LBB125_317
; %bb.316:
	buffer_load_dword v2, off, s[0:3], 0 offset:272
	buffer_load_dword v3, off, s[0:3], 0 offset:276
	v_mov_b32_e32 v4, 0
	buffer_store_dword v4, off, s[0:3], 0 offset:272
	buffer_store_dword v4, off, s[0:3], 0 offset:276
	s_waitcnt vmcnt(2)
	ds_write_b64 v210, v[2:3]
.LBB125_317:
	s_or_b64 exec, exec, s[4:5]
	s_waitcnt lgkmcnt(0)
	; wave barrier
	s_waitcnt lgkmcnt(0)
	buffer_load_dword v5, off, s[0:3], 0 offset:284
	buffer_load_dword v54, off, s[0:3], 0 offset:292
	;; [unrolled: 1-line block ×40, first 2 shown]
	v_mov_b32_e32 v4, 0
	ds_read2_b64 v[6:9], v4 offset0:97 offset1:98
	ds_read2_b64 v[10:13], v4 offset0:99 offset1:100
	ds_read2_b64 v[14:17], v4 offset0:101 offset1:102
	ds_read2_b64 v[18:21], v4 offset0:103 offset1:104
	ds_read2_b64 v[22:25], v4 offset0:105 offset1:106
	ds_read2_b64 v[26:29], v4 offset0:107 offset1:108
	ds_read2_b64 v[30:33], v4 offset0:109 offset1:110
	ds_read2_b64 v[34:37], v4 offset0:111 offset1:112
	v_cmp_lt_u32_e32 vcc, 33, v0
	s_waitcnt vmcnt(39) lgkmcnt(7)
	v_mul_f32_e32 v38, v6, v5
	s_waitcnt vmcnt(38)
	v_mul_f32_e32 v39, v8, v54
	s_waitcnt vmcnt(37) lgkmcnt(6)
	v_mul_f32_e32 v40, v10, v56
	s_waitcnt vmcnt(36)
	v_mul_f32_e32 v41, v12, v58
	;; [unrolled: 4-line block ×8, first 2 shown]
	s_waitcnt vmcnt(23)
	v_fmac_f32_e32 v38, v7, v80
	s_waitcnt vmcnt(22)
	v_fmac_f32_e32 v39, v9, v81
	v_add_f32_e32 v38, 0, v38
	s_waitcnt vmcnt(21)
	v_fmac_f32_e32 v40, v11, v82
	v_add_f32_e32 v38, v38, v39
	;; [unrolled: 3-line block ×14, first 2 shown]
	v_add_f32_e32 v38, v38, v52
	s_waitcnt vmcnt(8)
	v_fmac_f32_e32 v53, v37, v95
	v_add_f32_e32 v55, v38, v53
	ds_read2_b64 v[38:41], v4 offset0:113 offset1:114
	buffer_load_dword v47, off, s[0:3], 0 offset:436
	buffer_load_dword v49, off, s[0:3], 0 offset:460
	;; [unrolled: 1-line block ×8, first 2 shown]
	ds_read2_b64 v[42:45], v4 offset0:115 offset1:116
	buffer_load_dword v61, off, s[0:3], 0 offset:492
	buffer_load_dword v60, off, s[0:3], 0 offset:488
	;; [unrolled: 1-line block ×8, first 2 shown]
	v_mul_f32_e32 v5, v7, v5
	v_fma_f32 v5, v6, v80, -v5
	v_mul_f32_e32 v6, v9, v54
	v_add_f32_e32 v5, 0, v5
	v_fma_f32 v6, v8, v81, -v6
	v_add_f32_e32 v5, v5, v6
	v_mul_f32_e32 v6, v11, v56
	v_fma_f32 v6, v10, v82, -v6
	v_add_f32_e32 v5, v5, v6
	v_mul_f32_e32 v6, v13, v58
	;; [unrolled: 3-line block ×14, first 2 shown]
	v_fma_f32 v6, v36, v95, -v6
	s_waitcnt vmcnt(23) lgkmcnt(1)
	v_mul_f32_e32 v57, v38, v96
	v_add_f32_e32 v5, v5, v6
	v_mul_f32_e32 v6, v39, v96
	s_waitcnt vmcnt(22)
	v_fmac_f32_e32 v57, v39, v97
	v_fma_f32 v6, v38, v97, -v6
	v_add_f32_e32 v55, v55, v57
	s_waitcnt vmcnt(21)
	v_mul_f32_e32 v57, v40, v98
	v_add_f32_e32 v54, v5, v6
	v_mul_f32_e32 v5, v41, v98
	s_waitcnt vmcnt(20)
	v_fmac_f32_e32 v57, v41, v99
	s_waitcnt vmcnt(19) lgkmcnt(0)
	v_mul_f32_e32 v59, v42, v100
	v_fma_f32 v56, v40, v99, -v5
	v_mul_f32_e32 v5, v43, v100
	ds_read2_b64 v[6:9], v4 offset0:117 offset1:118
	ds_read2_b64 v[10:13], v4 offset0:119 offset1:120
	;; [unrolled: 1-line block ×3, first 2 shown]
	ds_read_b64 v[18:19], v4 offset:984
	s_waitcnt vmcnt(18)
	v_fmac_f32_e32 v59, v43, v101
	v_fma_f32 v58, v42, v101, -v5
	v_pk_add_f32 v[20:21], v[54:55], v[56:57]
	v_pk_add_f32 v[20:21], v[20:21], v[58:59]
	s_waitcnt vmcnt(15)
	v_mov_b32_e32 v22, v47
	v_pk_mul_f32 v[22:23], v[44:45], v[22:23] op_sel_hi:[1,0]
	s_waitcnt vmcnt(8)
	v_pk_fma_f32 v[24:25], v[44:45], v[46:47], v[22:23] op_sel:[0,0,1] op_sel_hi:[1,1,0] neg_lo:[0,0,1] neg_hi:[0,0,1]
	v_pk_fma_f32 v[22:23], v[44:45], v[46:47], v[22:23] op_sel:[0,0,1] op_sel_hi:[1,0,0]
	v_mov_b32_e32 v22, v53
	v_mov_b32_e32 v25, v23
	s_waitcnt lgkmcnt(3)
	v_pk_mul_f32 v[22:23], v[6:7], v[22:23] op_sel_hi:[1,0]
	v_pk_add_f32 v[20:21], v[20:21], v[24:25]
	v_pk_fma_f32 v[24:25], v[6:7], v[52:53], v[22:23] op_sel:[0,0,1] op_sel_hi:[1,1,0] neg_lo:[0,0,1] neg_hi:[0,0,1]
	v_pk_fma_f32 v[6:7], v[6:7], v[52:53], v[22:23] op_sel:[0,0,1] op_sel_hi:[1,0,0]
	v_mov_b32_e32 v25, v7
	v_pk_add_f32 v[6:7], v[20:21], v[24:25]
	v_mov_b32_e32 v20, v51
	v_pk_mul_f32 v[20:21], v[8:9], v[20:21] op_sel_hi:[1,0]
	v_pk_fma_f32 v[22:23], v[8:9], v[50:51], v[20:21] op_sel:[0,0,1] op_sel_hi:[1,1,0] neg_lo:[0,0,1] neg_hi:[0,0,1]
	v_pk_fma_f32 v[8:9], v[8:9], v[50:51], v[20:21] op_sel:[0,0,1] op_sel_hi:[1,0,0]
	v_mov_b32_e32 v8, v49
	v_mov_b32_e32 v23, v9
	s_waitcnt lgkmcnt(2)
	v_pk_mul_f32 v[8:9], v[10:11], v[8:9] op_sel_hi:[1,0]
	v_pk_fma_f32 v[20:21], v[10:11], v[48:49], v[8:9] op_sel:[0,0,1] op_sel_hi:[1,1,0] neg_lo:[0,0,1] neg_hi:[0,0,1]
	v_pk_fma_f32 v[8:9], v[10:11], v[48:49], v[8:9] op_sel:[0,0,1] op_sel_hi:[1,0,0]
	s_waitcnt vmcnt(1)
	v_mov_b32_e32 v8, v67
	v_mov_b32_e32 v21, v9
	v_pk_mul_f32 v[8:9], v[12:13], v[8:9] op_sel_hi:[1,0]
	s_waitcnt vmcnt(0)
	v_pk_fma_f32 v[10:11], v[12:13], v[66:67], v[8:9] op_sel:[0,0,1] op_sel_hi:[1,1,0] neg_lo:[0,0,1] neg_hi:[0,0,1]
	v_pk_fma_f32 v[8:9], v[12:13], v[66:67], v[8:9] op_sel:[0,0,1] op_sel_hi:[1,0,0]
	v_pk_add_f32 v[6:7], v[6:7], v[22:23]
	v_mov_b32_e32 v8, v65
	v_pk_add_f32 v[6:7], v[6:7], v[20:21]
	v_mov_b32_e32 v11, v9
	s_waitcnt lgkmcnt(1)
	v_pk_mul_f32 v[8:9], v[14:15], v[8:9] op_sel_hi:[1,0]
	v_pk_add_f32 v[6:7], v[6:7], v[10:11]
	v_pk_fma_f32 v[10:11], v[14:15], v[64:65], v[8:9] op_sel:[0,0,1] op_sel_hi:[1,1,0] neg_lo:[0,0,1] neg_hi:[0,0,1]
	v_pk_fma_f32 v[8:9], v[14:15], v[64:65], v[8:9] op_sel:[0,0,1] op_sel_hi:[1,0,0]
	v_mov_b32_e32 v8, v63
	v_mov_b32_e32 v11, v9
	v_pk_mul_f32 v[8:9], v[16:17], v[8:9] op_sel_hi:[1,0]
	v_pk_add_f32 v[6:7], v[6:7], v[10:11]
	v_pk_fma_f32 v[10:11], v[16:17], v[62:63], v[8:9] op_sel:[0,0,1] op_sel_hi:[1,1,0] neg_lo:[0,0,1] neg_hi:[0,0,1]
	v_pk_fma_f32 v[8:9], v[16:17], v[62:63], v[8:9] op_sel:[0,0,1] op_sel_hi:[1,0,0]
	v_mov_b32_e32 v8, v61
	v_mov_b32_e32 v11, v9
	s_waitcnt lgkmcnt(0)
	v_pk_mul_f32 v[8:9], v[18:19], v[8:9] op_sel_hi:[1,0]
	v_pk_add_f32 v[6:7], v[6:7], v[10:11]
	v_pk_fma_f32 v[10:11], v[18:19], v[60:61], v[8:9] op_sel:[0,0,1] op_sel_hi:[1,1,0] neg_lo:[0,0,1] neg_hi:[0,0,1]
	v_pk_fma_f32 v[8:9], v[18:19], v[60:61], v[8:9] op_sel:[0,0,1] op_sel_hi:[1,0,0]
	v_mov_b32_e32 v11, v9
	v_pk_add_f32 v[6:7], v[6:7], v[10:11]
	v_pk_add_f32 v[2:3], v[2:3], v[6:7] neg_lo:[0,1] neg_hi:[0,1]
	buffer_store_dword v3, off, s[0:3], 0 offset:276
	buffer_store_dword v2, off, s[0:3], 0 offset:272
	s_and_saveexec_b64 s[4:5], vcc
	s_cbranch_execz .LBB125_319
; %bb.318:
	buffer_load_dword v2, off, s[0:3], 0 offset:264
	buffer_load_dword v3, off, s[0:3], 0 offset:268
	s_waitcnt vmcnt(0)
	ds_write_b64 v210, v[2:3]
	buffer_store_dword v4, off, s[0:3], 0 offset:264
	buffer_store_dword v4, off, s[0:3], 0 offset:268
.LBB125_319:
	s_or_b64 exec, exec, s[4:5]
	s_waitcnt lgkmcnt(0)
	; wave barrier
	s_waitcnt lgkmcnt(0)
	buffer_load_dword v5, off, s[0:3], 0 offset:276
	buffer_load_dword v46, off, s[0:3], 0 offset:284
	;; [unrolled: 1-line block ×42, first 2 shown]
	ds_read_b128 v[6:9], v4 offset:768
	ds_read_b128 v[10:13], v4 offset:784
	;; [unrolled: 1-line block ×8, first 2 shown]
	v_cmp_lt_u32_e32 vcc, 32, v0
	s_waitcnt vmcnt(41) lgkmcnt(7)
	v_mul_f32_e32 v38, v6, v5
	s_waitcnt vmcnt(40)
	v_mul_f32_e32 v39, v8, v46
	s_waitcnt vmcnt(39) lgkmcnt(6)
	v_mul_f32_e32 v40, v10, v48
	s_waitcnt vmcnt(38)
	v_mul_f32_e32 v41, v12, v56
	s_waitcnt vmcnt(37) lgkmcnt(5)
	v_mul_f32_e32 v42, v14, v68
	s_waitcnt vmcnt(36)
	v_mul_f32_e32 v43, v16, v69
	s_waitcnt vmcnt(35) lgkmcnt(4)
	v_mul_f32_e32 v44, v18, v70
	s_waitcnt vmcnt(34)
	v_mul_f32_e32 v45, v20, v71
	s_waitcnt vmcnt(33) lgkmcnt(3)
	v_mul_f32_e32 v47, v22, v72
	s_waitcnt vmcnt(32)
	v_mul_f32_e32 v49, v24, v73
	s_waitcnt vmcnt(31) lgkmcnt(2)
	v_mul_f32_e32 v50, v26, v74
	s_waitcnt vmcnt(30)
	v_mul_f32_e32 v51, v28, v75
	s_waitcnt vmcnt(29) lgkmcnt(1)
	v_mul_f32_e32 v52, v30, v76
	s_waitcnt vmcnt(28)
	v_mul_f32_e32 v53, v32, v77
	s_waitcnt vmcnt(27) lgkmcnt(0)
	v_mul_f32_e32 v54, v34, v78
	s_waitcnt vmcnt(26)
	v_fmac_f32_e32 v38, v7, v79
	s_waitcnt vmcnt(25)
	v_fmac_f32_e32 v39, v9, v80
	v_add_f32_e32 v38, 0, v38
	s_waitcnt vmcnt(24)
	v_fmac_f32_e32 v40, v11, v81
	v_add_f32_e32 v38, v38, v39
	;; [unrolled: 3-line block ×14, first 2 shown]
	s_waitcnt vmcnt(11)
	v_mul_f32_e32 v43, v36, v94
	v_add_f32_e32 v42, v38, v54
	s_waitcnt vmcnt(10)
	v_fmac_f32_e32 v43, v37, v95
	ds_read_b128 v[38:41], v4 offset:896
	v_add_f32_e32 v47, v42, v43
	ds_read_b128 v[42:45], v4 offset:912
	buffer_load_dword v51, off, s[0:3], 0 offset:436
	buffer_load_dword v53, off, s[0:3], 0 offset:452
	;; [unrolled: 1-line block ×16, first 2 shown]
	v_mul_f32_e32 v5, v7, v5
	v_fma_f32 v5, v6, v79, -v5
	v_mul_f32_e32 v6, v9, v46
	v_add_f32_e32 v5, 0, v5
	v_fma_f32 v6, v8, v80, -v6
	v_add_f32_e32 v5, v5, v6
	v_mul_f32_e32 v6, v11, v48
	v_fma_f32 v6, v10, v81, -v6
	v_add_f32_e32 v5, v5, v6
	v_mul_f32_e32 v6, v13, v56
	;; [unrolled: 3-line block ×14, first 2 shown]
	v_fma_f32 v6, v36, v95, -v6
	v_add_f32_e32 v5, v5, v6
	s_waitcnt vmcnt(25) lgkmcnt(1)
	v_mul_f32_e32 v6, v39, v96
	s_waitcnt vmcnt(24)
	v_fma_f32 v6, v38, v97, -v6
	v_add_f32_e32 v5, v5, v6
	s_waitcnt vmcnt(23)
	v_mul_f32_e32 v6, v41, v98
	s_waitcnt vmcnt(22)
	v_fma_f32 v6, v40, v99, -v6
	v_add_f32_e32 v46, v5, v6
	ds_read_b128 v[6:9], v4 offset:928
	ds_read_b128 v[10:13], v4 offset:944
	;; [unrolled: 1-line block ×4, first 2 shown]
	v_mul_f32_e32 v49, v38, v96
	v_fmac_f32_e32 v49, v39, v97
	v_add_f32_e32 v47, v47, v49
	v_mul_f32_e32 v49, v40, v98
	v_fmac_f32_e32 v49, v41, v99
	v_add_f32_e32 v47, v47, v49
	s_waitcnt vmcnt(21) lgkmcnt(4)
	v_mul_f32_e32 v49, v42, v100
	v_mul_f32_e32 v5, v43, v100
	s_waitcnt vmcnt(20)
	v_fmac_f32_e32 v49, v43, v101
	s_waitcnt vmcnt(19)
	v_mul_f32_e32 v57, v44, v102
	v_fma_f32 v48, v42, v101, -v5
	v_mul_f32_e32 v5, v45, v102
	s_waitcnt vmcnt(18)
	v_fmac_f32_e32 v57, v45, v103
	v_fma_f32 v56, v44, v103, -v5
	v_pk_add_f32 v[4:5], v[46:47], v[48:49]
	v_pk_add_f32 v[4:5], v[4:5], v[56:57]
	s_waitcnt vmcnt(15)
	v_mov_b32_e32 v22, v51
	s_waitcnt lgkmcnt(3)
	v_pk_mul_f32 v[22:23], v[6:7], v[22:23] op_sel_hi:[1,0]
	s_waitcnt vmcnt(10)
	v_pk_fma_f32 v[24:25], v[6:7], v[50:51], v[22:23] op_sel:[0,0,1] op_sel_hi:[1,1,0] neg_lo:[0,0,1] neg_hi:[0,0,1]
	v_pk_fma_f32 v[6:7], v[6:7], v[50:51], v[22:23] op_sel:[0,0,1] op_sel_hi:[1,0,0]
	v_mov_b32_e32 v6, v55
	v_mov_b32_e32 v25, v7
	v_pk_mul_f32 v[6:7], v[8:9], v[6:7] op_sel_hi:[1,0]
	v_pk_fma_f32 v[22:23], v[8:9], v[54:55], v[6:7] op_sel:[0,0,1] op_sel_hi:[1,1,0] neg_lo:[0,0,1] neg_hi:[0,0,1]
	v_pk_fma_f32 v[6:7], v[8:9], v[54:55], v[6:7] op_sel:[0,0,1] op_sel_hi:[1,0,0]
	v_mov_b32_e32 v6, v53
	v_mov_b32_e32 v23, v7
	s_waitcnt lgkmcnt(2)
	v_pk_mul_f32 v[6:7], v[10:11], v[6:7] op_sel_hi:[1,0]
	v_pk_fma_f32 v[8:9], v[10:11], v[52:53], v[6:7] op_sel:[0,0,1] op_sel_hi:[1,1,0] neg_lo:[0,0,1] neg_hi:[0,0,1]
	v_pk_fma_f32 v[6:7], v[10:11], v[52:53], v[6:7] op_sel:[0,0,1] op_sel_hi:[1,0,0]
	v_pk_add_f32 v[4:5], v[4:5], v[24:25]
	s_waitcnt vmcnt(3)
	v_mov_b32_e32 v6, v65
	v_pk_add_f32 v[4:5], v[4:5], v[22:23]
	v_mov_b32_e32 v9, v7
	v_pk_mul_f32 v[6:7], v[12:13], v[6:7] op_sel_hi:[1,0]
	v_pk_add_f32 v[4:5], v[4:5], v[8:9]
	s_waitcnt vmcnt(2)
	v_pk_fma_f32 v[8:9], v[12:13], v[64:65], v[6:7] op_sel:[0,0,1] op_sel_hi:[1,1,0] neg_lo:[0,0,1] neg_hi:[0,0,1]
	v_pk_fma_f32 v[6:7], v[12:13], v[64:65], v[6:7] op_sel:[0,0,1] op_sel_hi:[1,0,0]
	v_mov_b32_e32 v6, v63
	v_mov_b32_e32 v9, v7
	s_waitcnt lgkmcnt(1)
	v_pk_mul_f32 v[6:7], v[14:15], v[6:7] op_sel_hi:[1,0]
	v_pk_add_f32 v[4:5], v[4:5], v[8:9]
	v_pk_fma_f32 v[8:9], v[14:15], v[62:63], v[6:7] op_sel:[0,0,1] op_sel_hi:[1,1,0] neg_lo:[0,0,1] neg_hi:[0,0,1]
	v_pk_fma_f32 v[6:7], v[14:15], v[62:63], v[6:7] op_sel:[0,0,1] op_sel_hi:[1,0,0]
	v_mov_b32_e32 v6, v61
	v_mov_b32_e32 v9, v7
	v_pk_mul_f32 v[6:7], v[16:17], v[6:7] op_sel_hi:[1,0]
	v_pk_add_f32 v[4:5], v[4:5], v[8:9]
	v_pk_fma_f32 v[8:9], v[16:17], v[60:61], v[6:7] op_sel:[0,0,1] op_sel_hi:[1,1,0] neg_lo:[0,0,1] neg_hi:[0,0,1]
	v_pk_fma_f32 v[6:7], v[16:17], v[60:61], v[6:7] op_sel:[0,0,1] op_sel_hi:[1,0,0]
	v_mov_b32_e32 v6, v59
	v_mov_b32_e32 v9, v7
	s_waitcnt lgkmcnt(0)
	v_pk_mul_f32 v[6:7], v[18:19], v[6:7] op_sel_hi:[1,0]
	v_pk_add_f32 v[4:5], v[4:5], v[8:9]
	v_pk_fma_f32 v[8:9], v[18:19], v[58:59], v[6:7] op_sel:[0,0,1] op_sel_hi:[1,1,0] neg_lo:[0,0,1] neg_hi:[0,0,1]
	v_pk_fma_f32 v[6:7], v[18:19], v[58:59], v[6:7] op_sel:[0,0,1] op_sel_hi:[1,0,0]
	s_waitcnt vmcnt(1)
	v_mov_b32_e32 v6, v67
	v_mov_b32_e32 v9, v7
	v_pk_mul_f32 v[6:7], v[20:21], v[6:7] op_sel_hi:[1,0]
	v_pk_add_f32 v[4:5], v[4:5], v[8:9]
	s_waitcnt vmcnt(0)
	v_pk_fma_f32 v[8:9], v[20:21], v[66:67], v[6:7] op_sel:[0,0,1] op_sel_hi:[1,1,0] neg_lo:[0,0,1] neg_hi:[0,0,1]
	v_pk_fma_f32 v[6:7], v[20:21], v[66:67], v[6:7] op_sel:[0,0,1] op_sel_hi:[1,0,0]
	v_mov_b32_e32 v9, v7
	v_pk_add_f32 v[4:5], v[4:5], v[8:9]
	v_pk_add_f32 v[2:3], v[2:3], v[4:5] neg_lo:[0,1] neg_hi:[0,1]
	buffer_store_dword v3, off, s[0:3], 0 offset:268
	buffer_store_dword v2, off, s[0:3], 0 offset:264
	s_and_saveexec_b64 s[4:5], vcc
	s_cbranch_execz .LBB125_321
; %bb.320:
	buffer_load_dword v2, off, s[0:3], 0 offset:256
	buffer_load_dword v3, off, s[0:3], 0 offset:260
	v_mov_b32_e32 v4, 0
	buffer_store_dword v4, off, s[0:3], 0 offset:256
	buffer_store_dword v4, off, s[0:3], 0 offset:260
	s_waitcnt vmcnt(2)
	ds_write_b64 v210, v[2:3]
.LBB125_321:
	s_or_b64 exec, exec, s[4:5]
	s_waitcnt lgkmcnt(0)
	; wave barrier
	s_waitcnt lgkmcnt(0)
	buffer_load_dword v5, off, s[0:3], 0 offset:268
	buffer_load_dword v54, off, s[0:3], 0 offset:276
	;; [unrolled: 1-line block ×44, first 2 shown]
	v_mov_b32_e32 v4, 0
	ds_read2_b64 v[6:9], v4 offset0:95 offset1:96
	ds_read2_b64 v[10:13], v4 offset0:97 offset1:98
	;; [unrolled: 1-line block ×8, first 2 shown]
	v_cmp_lt_u32_e32 vcc, 31, v0
	s_waitcnt vmcnt(43) lgkmcnt(7)
	v_mul_f32_e32 v38, v6, v5
	s_waitcnt vmcnt(42)
	v_mul_f32_e32 v39, v8, v54
	s_waitcnt vmcnt(41) lgkmcnt(6)
	v_mul_f32_e32 v40, v10, v60
	s_waitcnt vmcnt(40)
	v_mul_f32_e32 v41, v12, v62
	;; [unrolled: 4-line block ×7, first 2 shown]
	s_waitcnt vmcnt(29)
	v_fmac_f32_e32 v38, v7, v86
	s_waitcnt vmcnt(28)
	v_fmac_f32_e32 v39, v9, v87
	v_add_f32_e32 v38, 0, v38
	s_waitcnt vmcnt(27)
	v_fmac_f32_e32 v40, v11, v88
	v_add_f32_e32 v38, v38, v39
	;; [unrolled: 3-line block ×12, first 2 shown]
	v_add_f32_e32 v38, v38, v50
	s_waitcnt vmcnt(16)
	v_fmac_f32_e32 v51, v33, v99
	s_waitcnt vmcnt(15) lgkmcnt(0)
	v_mul_f32_e32 v39, v34, v100
	v_add_f32_e32 v38, v38, v51
	s_waitcnt vmcnt(14)
	v_fmac_f32_e32 v39, v35, v101
	v_add_f32_e32 v42, v38, v39
	ds_read2_b64 v[38:41], v4 offset0:111 offset1:112
	s_waitcnt vmcnt(13)
	v_mul_f32_e32 v43, v36, v102
	s_waitcnt vmcnt(12)
	v_fmac_f32_e32 v43, v37, v103
	v_add_f32_e32 v46, v42, v43
	ds_read2_b64 v[42:45], v4 offset0:113 offset1:114
	s_waitcnt vmcnt(11) lgkmcnt(1)
	v_mul_f32_e32 v47, v38, v104
	s_waitcnt vmcnt(10)
	v_fmac_f32_e32 v47, v39, v105
	v_add_f32_e32 v46, v46, v47
	s_waitcnt vmcnt(9)
	v_mul_f32_e32 v47, v40, v106
	s_waitcnt vmcnt(8)
	v_fmac_f32_e32 v47, v41, v107
	v_add_f32_e32 v46, v46, v47
	s_waitcnt vmcnt(7) lgkmcnt(0)
	v_mul_f32_e32 v47, v42, v110
	s_waitcnt vmcnt(6)
	v_fmac_f32_e32 v47, v43, v111
	v_add_f32_e32 v55, v46, v47
	ds_read2_b64 v[46:49], v4 offset0:115 offset1:116
	buffer_load_dword v57, off, s[0:3], 0 offset:444
	buffer_load_dword v56, off, s[0:3], 0 offset:440
	buffer_load_dword v59, off, s[0:3], 0 offset:436
	buffer_load_dword v58, off, s[0:3], 0 offset:432
	ds_read2_b64 v[50:53], v4 offset0:117 offset1:118
	buffer_load_dword v65, off, s[0:3], 0 offset:476
	buffer_load_dword v64, off, s[0:3], 0 offset:472
	;; [unrolled: 1-line block ×12, first 2 shown]
	v_mul_f32_e32 v5, v7, v5
	v_fma_f32 v5, v6, v86, -v5
	v_mul_f32_e32 v6, v9, v54
	v_add_f32_e32 v5, 0, v5
	v_fma_f32 v6, v8, v87, -v6
	v_add_f32_e32 v5, v5, v6
	v_mul_f32_e32 v6, v11, v60
	v_fma_f32 v6, v10, v88, -v6
	v_add_f32_e32 v5, v5, v6
	v_mul_f32_e32 v6, v13, v62
	;; [unrolled: 3-line block ×17, first 2 shown]
	v_fma_f32 v6, v42, v111, -v6
	s_waitcnt vmcnt(21)
	v_mul_f32_e32 v61, v44, v112
	v_add_f32_e32 v54, v5, v6
	v_mul_f32_e32 v5, v45, v112
	s_waitcnt vmcnt(20)
	v_fmac_f32_e32 v61, v45, v113
	s_waitcnt vmcnt(19) lgkmcnt(1)
	v_mul_f32_e32 v63, v46, v114
	v_fma_f32 v60, v44, v113, -v5
	v_mul_f32_e32 v5, v47, v114
	s_waitcnt vmcnt(18)
	v_fmac_f32_e32 v63, v47, v115
	v_fma_f32 v62, v46, v115, -v5
	v_pk_add_f32 v[16:17], v[54:55], v[60:61]
	v_pk_add_f32 v[16:17], v[16:17], v[62:63]
	ds_read2_b64 v[6:9], v4 offset0:119 offset1:120
	ds_read2_b64 v[10:13], v4 offset0:121 offset1:122
	ds_read_b64 v[14:15], v4 offset:984
	s_waitcnt vmcnt(13)
	v_mov_b32_e32 v18, v59
	v_pk_mul_f32 v[18:19], v[48:49], v[18:19] op_sel_hi:[1,0]
	s_waitcnt vmcnt(12)
	v_pk_fma_f32 v[20:21], v[48:49], v[58:59], v[18:19] op_sel:[0,0,1] op_sel_hi:[1,1,0] neg_lo:[0,0,1] neg_hi:[0,0,1]
	v_pk_fma_f32 v[18:19], v[48:49], v[58:59], v[18:19] op_sel:[0,0,1] op_sel_hi:[1,0,0]
	v_mov_b32_e32 v18, v57
	v_mov_b32_e32 v21, v19
	s_waitcnt lgkmcnt(3)
	v_pk_mul_f32 v[18:19], v[50:51], v[18:19] op_sel_hi:[1,0]
	v_pk_add_f32 v[16:17], v[16:17], v[20:21]
	v_pk_fma_f32 v[20:21], v[50:51], v[56:57], v[18:19] op_sel:[0,0,1] op_sel_hi:[1,1,0] neg_lo:[0,0,1] neg_hi:[0,0,1]
	v_pk_fma_f32 v[18:19], v[50:51], v[56:57], v[18:19] op_sel:[0,0,1] op_sel_hi:[1,0,0]
	s_waitcnt vmcnt(5)
	v_mov_b32_e32 v18, v71
	v_mov_b32_e32 v21, v19
	v_pk_mul_f32 v[18:19], v[52:53], v[18:19] op_sel_hi:[1,0]
	v_pk_add_f32 v[16:17], v[16:17], v[20:21]
	s_waitcnt vmcnt(4)
	v_pk_fma_f32 v[20:21], v[52:53], v[70:71], v[18:19] op_sel:[0,0,1] op_sel_hi:[1,1,0] neg_lo:[0,0,1] neg_hi:[0,0,1]
	v_pk_fma_f32 v[18:19], v[52:53], v[70:71], v[18:19] op_sel:[0,0,1] op_sel_hi:[1,0,0]
	v_mov_b32_e32 v18, v69
	v_mov_b32_e32 v21, v19
	s_waitcnt lgkmcnt(2)
	v_pk_mul_f32 v[18:19], v[6:7], v[18:19] op_sel_hi:[1,0]
	v_pk_add_f32 v[16:17], v[16:17], v[20:21]
	v_pk_fma_f32 v[20:21], v[6:7], v[68:69], v[18:19] op_sel:[0,0,1] op_sel_hi:[1,1,0] neg_lo:[0,0,1] neg_hi:[0,0,1]
	v_pk_fma_f32 v[6:7], v[6:7], v[68:69], v[18:19] op_sel:[0,0,1] op_sel_hi:[1,0,0]
	v_mov_b32_e32 v21, v7
	v_pk_add_f32 v[6:7], v[16:17], v[20:21]
	v_mov_b32_e32 v16, v67
	v_pk_mul_f32 v[16:17], v[8:9], v[16:17] op_sel_hi:[1,0]
	v_pk_fma_f32 v[18:19], v[8:9], v[66:67], v[16:17] op_sel:[0,0,1] op_sel_hi:[1,1,0] neg_lo:[0,0,1] neg_hi:[0,0,1]
	v_pk_fma_f32 v[8:9], v[8:9], v[66:67], v[16:17] op_sel:[0,0,1] op_sel_hi:[1,0,0]
	v_mov_b32_e32 v8, v65
	v_mov_b32_e32 v19, v9
	s_waitcnt lgkmcnt(1)
	v_pk_mul_f32 v[8:9], v[10:11], v[8:9] op_sel_hi:[1,0]
	v_pk_fma_f32 v[16:17], v[10:11], v[64:65], v[8:9] op_sel:[0,0,1] op_sel_hi:[1,1,0] neg_lo:[0,0,1] neg_hi:[0,0,1]
	v_pk_fma_f32 v[8:9], v[10:11], v[64:65], v[8:9] op_sel:[0,0,1] op_sel_hi:[1,0,0]
	s_waitcnt vmcnt(1)
	v_mov_b32_e32 v8, v75
	v_mov_b32_e32 v17, v9
	v_pk_mul_f32 v[8:9], v[12:13], v[8:9] op_sel_hi:[1,0]
	s_waitcnt vmcnt(0)
	v_pk_fma_f32 v[10:11], v[12:13], v[74:75], v[8:9] op_sel:[0,0,1] op_sel_hi:[1,1,0] neg_lo:[0,0,1] neg_hi:[0,0,1]
	v_pk_fma_f32 v[8:9], v[12:13], v[74:75], v[8:9] op_sel:[0,0,1] op_sel_hi:[1,0,0]
	v_pk_add_f32 v[6:7], v[6:7], v[18:19]
	v_mov_b32_e32 v8, v73
	v_pk_add_f32 v[6:7], v[6:7], v[16:17]
	v_mov_b32_e32 v11, v9
	s_waitcnt lgkmcnt(0)
	v_pk_mul_f32 v[8:9], v[14:15], v[8:9] op_sel_hi:[1,0]
	v_pk_add_f32 v[6:7], v[6:7], v[10:11]
	v_pk_fma_f32 v[10:11], v[14:15], v[72:73], v[8:9] op_sel:[0,0,1] op_sel_hi:[1,1,0] neg_lo:[0,0,1] neg_hi:[0,0,1]
	v_pk_fma_f32 v[8:9], v[14:15], v[72:73], v[8:9] op_sel:[0,0,1] op_sel_hi:[1,0,0]
	v_mov_b32_e32 v11, v9
	v_pk_add_f32 v[6:7], v[6:7], v[10:11]
	v_pk_add_f32 v[2:3], v[2:3], v[6:7] neg_lo:[0,1] neg_hi:[0,1]
	buffer_store_dword v3, off, s[0:3], 0 offset:260
	buffer_store_dword v2, off, s[0:3], 0 offset:256
	s_and_saveexec_b64 s[4:5], vcc
	s_cbranch_execz .LBB125_323
; %bb.322:
	buffer_load_dword v2, off, s[0:3], 0 offset:248
	buffer_load_dword v3, off, s[0:3], 0 offset:252
	s_waitcnt vmcnt(0)
	ds_write_b64 v210, v[2:3]
	buffer_store_dword v4, off, s[0:3], 0 offset:248
	buffer_store_dword v4, off, s[0:3], 0 offset:252
.LBB125_323:
	s_or_b64 exec, exec, s[4:5]
	s_waitcnt lgkmcnt(0)
	; wave barrier
	s_waitcnt lgkmcnt(0)
	buffer_load_dword v5, off, s[0:3], 0 offset:260
	buffer_load_dword v56, off, s[0:3], 0 offset:268
	;; [unrolled: 1-line block ×46, first 2 shown]
	ds_read_b128 v[6:9], v4 offset:752
	ds_read_b128 v[10:13], v4 offset:768
	;; [unrolled: 1-line block ×8, first 2 shown]
	v_cmp_lt_u32_e32 vcc, 30, v0
	s_waitcnt vmcnt(45) lgkmcnt(7)
	v_mul_f32_e32 v38, v6, v5
	s_waitcnt vmcnt(44)
	v_mul_f32_e32 v39, v8, v56
	s_waitcnt vmcnt(43) lgkmcnt(6)
	v_mul_f32_e32 v40, v10, v58
	s_waitcnt vmcnt(42)
	v_mul_f32_e32 v41, v12, v60
	;; [unrolled: 4-line block ×6, first 2 shown]
	s_waitcnt vmcnt(33) lgkmcnt(1)
	v_mul_f32_e32 v50, v30, v84
	s_waitcnt vmcnt(32)
	v_fmac_f32_e32 v38, v7, v85
	s_waitcnt vmcnt(31)
	v_fmac_f32_e32 v39, v9, v86
	v_add_f32_e32 v38, 0, v38
	s_waitcnt vmcnt(30)
	v_fmac_f32_e32 v40, v11, v87
	v_add_f32_e32 v38, v38, v39
	;; [unrolled: 3-line block ×12, first 2 shown]
	s_waitcnt vmcnt(19)
	v_mul_f32_e32 v39, v32, v98
	v_add_f32_e32 v38, v38, v50
	s_waitcnt vmcnt(18)
	v_fmac_f32_e32 v39, v33, v99
	v_add_f32_e32 v38, v38, v39
	s_waitcnt vmcnt(17) lgkmcnt(0)
	v_mul_f32_e32 v39, v34, v100
	s_waitcnt vmcnt(16)
	v_fmac_f32_e32 v39, v35, v101
	v_add_f32_e32 v42, v38, v39
	ds_read_b128 v[38:41], v4 offset:880
	s_waitcnt vmcnt(15)
	v_mul_f32_e32 v43, v36, v102
	s_waitcnt vmcnt(14)
	v_fmac_f32_e32 v43, v37, v103
	v_add_f32_e32 v46, v42, v43
	ds_read_b128 v[42:45], v4 offset:896
	buffer_load_dword v55, off, s[0:3], 0 offset:436
	buffer_load_dword v54, off, s[0:3], 0 offset:432
	s_waitcnt vmcnt(15) lgkmcnt(1)
	v_mul_f32_e32 v47, v38, v104
	s_waitcnt vmcnt(14)
	v_fmac_f32_e32 v47, v39, v105
	v_add_f32_e32 v46, v46, v47
	s_waitcnt vmcnt(13)
	v_mul_f32_e32 v47, v40, v106
	s_waitcnt vmcnt(12)
	v_fmac_f32_e32 v47, v41, v107
	v_add_f32_e32 v46, v46, v47
	s_waitcnt vmcnt(11) lgkmcnt(0)
	v_mul_f32_e32 v47, v42, v110
	s_waitcnt vmcnt(10)
	v_fmac_f32_e32 v47, v43, v111
	s_waitcnt vmcnt(9)
	v_mul_f32_e32 v51, v44, v112
	v_add_f32_e32 v50, v46, v47
	s_waitcnt vmcnt(8)
	v_fmac_f32_e32 v51, v45, v113
	ds_read_b128 v[46:49], v4 offset:912
	v_add_f32_e32 v57, v50, v51
	ds_read_b128 v[50:53], v4 offset:928
	buffer_load_dword v63, off, s[0:3], 0 offset:468
	buffer_load_dword v62, off, s[0:3], 0 offset:464
	;; [unrolled: 1-line block ×14, first 2 shown]
	v_mul_f32_e32 v5, v7, v5
	v_fma_f32 v5, v6, v85, -v5
	v_mul_f32_e32 v6, v9, v56
	v_add_f32_e32 v5, 0, v5
	v_fma_f32 v6, v8, v86, -v6
	v_add_f32_e32 v5, v5, v6
	v_mul_f32_e32 v6, v11, v58
	v_fma_f32 v6, v10, v87, -v6
	v_add_f32_e32 v5, v5, v6
	v_mul_f32_e32 v6, v13, v60
	;; [unrolled: 3-line block ×18, first 2 shown]
	v_fma_f32 v6, v44, v113, -v6
	s_waitcnt vmcnt(21) lgkmcnt(1)
	v_mul_f32_e32 v59, v46, v114
	v_add_f32_e32 v56, v5, v6
	v_mul_f32_e32 v5, v47, v114
	s_waitcnt vmcnt(20)
	v_fmac_f32_e32 v59, v47, v115
	s_waitcnt vmcnt(15)
	v_mov_b32_e32 v18, v55
	s_waitcnt lgkmcnt(0)
	v_pk_mul_f32 v[18:19], v[50:51], v[18:19] op_sel_hi:[1,0]
	v_mul_f32_e32 v61, v48, v116
	v_fma_f32 v58, v46, v115, -v5
	v_mul_f32_e32 v5, v49, v116
	s_waitcnt vmcnt(14)
	v_pk_fma_f32 v[20:21], v[50:51], v[54:55], v[18:19] op_sel:[0,0,1] op_sel_hi:[1,1,0] neg_lo:[0,0,1] neg_hi:[0,0,1]
	v_pk_fma_f32 v[18:19], v[50:51], v[54:55], v[18:19] op_sel:[0,0,1] op_sel_hi:[1,0,0]
	v_fmac_f32_e32 v61, v49, v117
	v_fma_f32 v60, v48, v117, -v5
	ds_read_b128 v[6:9], v4 offset:944
	ds_read_b128 v[10:13], v4 offset:960
	;; [unrolled: 1-line block ×3, first 2 shown]
	v_pk_add_f32 v[4:5], v[56:57], v[58:59]
	s_waitcnt vmcnt(7)
	v_mov_b32_e32 v18, v69
	v_pk_add_f32 v[4:5], v[4:5], v[60:61]
	v_mov_b32_e32 v21, v19
	v_pk_mul_f32 v[18:19], v[52:53], v[18:19] op_sel_hi:[1,0]
	v_pk_add_f32 v[4:5], v[4:5], v[20:21]
	s_waitcnt vmcnt(6)
	v_pk_fma_f32 v[20:21], v[52:53], v[68:69], v[18:19] op_sel:[0,0,1] op_sel_hi:[1,1,0] neg_lo:[0,0,1] neg_hi:[0,0,1]
	v_pk_fma_f32 v[18:19], v[52:53], v[68:69], v[18:19] op_sel:[0,0,1] op_sel_hi:[1,0,0]
	v_mov_b32_e32 v18, v67
	v_mov_b32_e32 v21, v19
	s_waitcnt lgkmcnt(2)
	v_pk_mul_f32 v[18:19], v[6:7], v[18:19] op_sel_hi:[1,0]
	v_pk_add_f32 v[4:5], v[4:5], v[20:21]
	v_pk_fma_f32 v[20:21], v[6:7], v[66:67], v[18:19] op_sel:[0,0,1] op_sel_hi:[1,1,0] neg_lo:[0,0,1] neg_hi:[0,0,1]
	v_pk_fma_f32 v[6:7], v[6:7], v[66:67], v[18:19] op_sel:[0,0,1] op_sel_hi:[1,0,0]
	v_mov_b32_e32 v6, v65
	v_mov_b32_e32 v21, v7
	v_pk_mul_f32 v[6:7], v[8:9], v[6:7] op_sel_hi:[1,0]
	v_pk_fma_f32 v[18:19], v[8:9], v[64:65], v[6:7] op_sel:[0,0,1] op_sel_hi:[1,1,0] neg_lo:[0,0,1] neg_hi:[0,0,1]
	v_pk_fma_f32 v[6:7], v[8:9], v[64:65], v[6:7] op_sel:[0,0,1] op_sel_hi:[1,0,0]
	v_mov_b32_e32 v6, v63
	v_mov_b32_e32 v19, v7
	s_waitcnt lgkmcnt(1)
	v_pk_mul_f32 v[6:7], v[10:11], v[6:7] op_sel_hi:[1,0]
	v_pk_fma_f32 v[8:9], v[10:11], v[62:63], v[6:7] op_sel:[0,0,1] op_sel_hi:[1,1,0] neg_lo:[0,0,1] neg_hi:[0,0,1]
	v_pk_fma_f32 v[6:7], v[10:11], v[62:63], v[6:7] op_sel:[0,0,1] op_sel_hi:[1,0,0]
	v_pk_add_f32 v[4:5], v[4:5], v[20:21]
	s_waitcnt vmcnt(1)
	v_mov_b32_e32 v6, v75
	v_pk_add_f32 v[4:5], v[4:5], v[18:19]
	v_mov_b32_e32 v9, v7
	v_pk_mul_f32 v[6:7], v[12:13], v[6:7] op_sel_hi:[1,0]
	v_pk_add_f32 v[4:5], v[4:5], v[8:9]
	s_waitcnt vmcnt(0)
	v_pk_fma_f32 v[8:9], v[12:13], v[74:75], v[6:7] op_sel:[0,0,1] op_sel_hi:[1,1,0] neg_lo:[0,0,1] neg_hi:[0,0,1]
	v_pk_fma_f32 v[6:7], v[12:13], v[74:75], v[6:7] op_sel:[0,0,1] op_sel_hi:[1,0,0]
	v_mov_b32_e32 v6, v73
	v_mov_b32_e32 v9, v7
	s_waitcnt lgkmcnt(0)
	v_pk_mul_f32 v[6:7], v[14:15], v[6:7] op_sel_hi:[1,0]
	v_pk_add_f32 v[4:5], v[4:5], v[8:9]
	v_pk_fma_f32 v[8:9], v[14:15], v[72:73], v[6:7] op_sel:[0,0,1] op_sel_hi:[1,1,0] neg_lo:[0,0,1] neg_hi:[0,0,1]
	v_pk_fma_f32 v[6:7], v[14:15], v[72:73], v[6:7] op_sel:[0,0,1] op_sel_hi:[1,0,0]
	v_mov_b32_e32 v6, v71
	v_mov_b32_e32 v9, v7
	v_pk_mul_f32 v[6:7], v[16:17], v[6:7] op_sel_hi:[1,0]
	v_pk_add_f32 v[4:5], v[4:5], v[8:9]
	v_pk_fma_f32 v[8:9], v[16:17], v[70:71], v[6:7] op_sel:[0,0,1] op_sel_hi:[1,1,0] neg_lo:[0,0,1] neg_hi:[0,0,1]
	v_pk_fma_f32 v[6:7], v[16:17], v[70:71], v[6:7] op_sel:[0,0,1] op_sel_hi:[1,0,0]
	v_mov_b32_e32 v9, v7
	v_pk_add_f32 v[4:5], v[4:5], v[8:9]
	v_pk_add_f32 v[2:3], v[2:3], v[4:5] neg_lo:[0,1] neg_hi:[0,1]
	buffer_store_dword v3, off, s[0:3], 0 offset:252
	buffer_store_dword v2, off, s[0:3], 0 offset:248
	s_and_saveexec_b64 s[4:5], vcc
	s_cbranch_execz .LBB125_325
; %bb.324:
	buffer_load_dword v2, off, s[0:3], 0 offset:240
	buffer_load_dword v3, off, s[0:3], 0 offset:244
	v_mov_b32_e32 v4, 0
	buffer_store_dword v4, off, s[0:3], 0 offset:240
	buffer_store_dword v4, off, s[0:3], 0 offset:244
	s_waitcnt vmcnt(2)
	ds_write_b64 v210, v[2:3]
.LBB125_325:
	s_or_b64 exec, exec, s[4:5]
	s_waitcnt lgkmcnt(0)
	; wave barrier
	s_waitcnt lgkmcnt(0)
	buffer_load_dword v5, off, s[0:3], 0 offset:252
	buffer_load_dword v54, off, s[0:3], 0 offset:260
	;; [unrolled: 1-line block ×48, first 2 shown]
	v_mov_b32_e32 v4, 0
	ds_read2_b64 v[6:9], v4 offset0:93 offset1:94
	ds_read2_b64 v[10:13], v4 offset0:95 offset1:96
	;; [unrolled: 1-line block ×6, first 2 shown]
	v_cmp_lt_u32_e32 vcc, 29, v0
	s_waitcnt vmcnt(47) lgkmcnt(5)
	v_mul_f32_e32 v30, v6, v5
	s_waitcnt vmcnt(46)
	v_mul_f32_e32 v31, v8, v54
	s_waitcnt vmcnt(45) lgkmcnt(4)
	v_mul_f32_e32 v32, v10, v56
	s_waitcnt vmcnt(44)
	v_mul_f32_e32 v33, v12, v58
	;; [unrolled: 4-line block ×6, first 2 shown]
	s_waitcnt vmcnt(35)
	v_fmac_f32_e32 v30, v7, v84
	s_waitcnt vmcnt(34)
	v_fmac_f32_e32 v31, v9, v85
	v_add_f32_e32 v30, 0, v30
	s_waitcnt vmcnt(33)
	v_fmac_f32_e32 v32, v11, v86
	v_add_f32_e32 v30, v30, v31
	s_waitcnt vmcnt(32)
	v_fmac_f32_e32 v33, v13, v87
	v_add_f32_e32 v30, v30, v32
	s_waitcnt vmcnt(31)
	v_fmac_f32_e32 v34, v15, v88
	v_add_f32_e32 v30, v30, v33
	s_waitcnt vmcnt(30)
	v_fmac_f32_e32 v35, v17, v89
	v_add_f32_e32 v30, v30, v34
	s_waitcnt vmcnt(29)
	v_fmac_f32_e32 v36, v19, v90
	v_add_f32_e32 v30, v30, v35
	s_waitcnt vmcnt(28)
	v_fmac_f32_e32 v37, v21, v91
	v_add_f32_e32 v30, v30, v36
	s_waitcnt vmcnt(27)
	v_fmac_f32_e32 v38, v23, v92
	v_add_f32_e32 v30, v30, v37
	v_add_f32_e32 v34, v30, v38
	ds_read2_b64 v[30:33], v4 offset0:105 offset1:106
	s_waitcnt vmcnt(26)
	v_fmac_f32_e32 v39, v25, v93
	s_waitcnt vmcnt(25)
	v_fmac_f32_e32 v40, v27, v94
	v_add_f32_e32 v34, v34, v39
	s_waitcnt vmcnt(24)
	v_fmac_f32_e32 v41, v29, v95
	v_add_f32_e32 v34, v34, v40
	v_add_f32_e32 v38, v34, v41
	ds_read2_b64 v[34:37], v4 offset0:107 offset1:108
	s_waitcnt vmcnt(23) lgkmcnt(1)
	v_mul_f32_e32 v39, v30, v96
	s_waitcnt vmcnt(22)
	v_fmac_f32_e32 v39, v31, v97
	v_add_f32_e32 v38, v38, v39
	s_waitcnt vmcnt(21)
	v_mul_f32_e32 v39, v32, v98
	s_waitcnt vmcnt(20)
	v_fmac_f32_e32 v39, v33, v99
	v_add_f32_e32 v38, v38, v39
	s_waitcnt vmcnt(19) lgkmcnt(0)
	v_mul_f32_e32 v39, v34, v100
	s_waitcnt vmcnt(18)
	v_fmac_f32_e32 v39, v35, v101
	v_add_f32_e32 v42, v38, v39
	ds_read2_b64 v[38:41], v4 offset0:109 offset1:110
	s_waitcnt vmcnt(17)
	v_mul_f32_e32 v43, v36, v102
	s_waitcnt vmcnt(16)
	v_fmac_f32_e32 v43, v37, v103
	v_add_f32_e32 v46, v42, v43
	ds_read2_b64 v[42:45], v4 offset0:111 offset1:112
	s_waitcnt vmcnt(15) lgkmcnt(1)
	v_mul_f32_e32 v47, v38, v104
	s_waitcnt vmcnt(14)
	v_fmac_f32_e32 v47, v39, v105
	v_add_f32_e32 v46, v46, v47
	s_waitcnt vmcnt(13)
	v_mul_f32_e32 v47, v40, v106
	s_waitcnt vmcnt(12)
	v_fmac_f32_e32 v47, v41, v107
	v_add_f32_e32 v46, v46, v47
	s_waitcnt vmcnt(11) lgkmcnt(0)
	v_mul_f32_e32 v47, v42, v110
	s_waitcnt vmcnt(10)
	v_fmac_f32_e32 v47, v43, v111
	s_waitcnt vmcnt(9)
	v_mul_f32_e32 v51, v44, v112
	v_add_f32_e32 v50, v46, v47
	s_waitcnt vmcnt(8)
	v_fmac_f32_e32 v51, v45, v113
	ds_read2_b64 v[46:49], v4 offset0:113 offset1:114
	v_add_f32_e32 v55, v50, v51
	ds_read2_b64 v[50:53], v4 offset0:115 offset1:116
	buffer_load_dword v61, off, s[0:3], 0 offset:460
	buffer_load_dword v60, off, s[0:3], 0 offset:456
	;; [unrolled: 1-line block ×16, first 2 shown]
	v_mul_f32_e32 v5, v7, v5
	v_fma_f32 v5, v6, v84, -v5
	v_mul_f32_e32 v6, v9, v54
	v_add_f32_e32 v5, 0, v5
	v_fma_f32 v6, v8, v85, -v6
	v_add_f32_e32 v5, v5, v6
	v_mul_f32_e32 v6, v11, v56
	v_fma_f32 v6, v10, v86, -v6
	v_add_f32_e32 v5, v5, v6
	v_mul_f32_e32 v6, v13, v58
	;; [unrolled: 3-line block ×18, first 2 shown]
	v_fma_f32 v6, v44, v113, -v6
	s_waitcnt vmcnt(22) lgkmcnt(1)
	v_mul_f32_e32 v57, v46, v115
	v_add_f32_e32 v5, v5, v6
	v_mul_f32_e32 v6, v47, v115
	v_fmac_f32_e32 v57, v47, v114
	v_fma_f32 v6, v46, v114, -v6
	v_add_f32_e32 v55, v55, v57
	s_waitcnt vmcnt(19)
	v_mul_f32_e32 v57, v48, v116
	v_add_f32_e32 v54, v5, v6
	v_mul_f32_e32 v5, v49, v116
	s_waitcnt vmcnt(18)
	v_fmac_f32_e32 v57, v49, v117
	s_waitcnt vmcnt(17) lgkmcnt(0)
	v_mul_f32_e32 v59, v50, v118
	s_waitcnt vmcnt(9)
	v_mov_b32_e32 v22, v67
	v_pk_mul_f32 v[22:23], v[52:53], v[22:23] op_sel_hi:[1,0]
	v_fma_f32 v56, v48, v117, -v5
	v_mul_f32_e32 v5, v51, v118
	ds_read2_b64 v[6:9], v4 offset0:117 offset1:118
	ds_read2_b64 v[10:13], v4 offset0:119 offset1:120
	;; [unrolled: 1-line block ×3, first 2 shown]
	ds_read_b64 v[18:19], v4 offset:984
	s_waitcnt vmcnt(8)
	v_pk_fma_f32 v[24:25], v[52:53], v[66:67], v[22:23] op_sel:[0,0,1] op_sel_hi:[1,1,0] neg_lo:[0,0,1] neg_hi:[0,0,1]
	v_pk_fma_f32 v[22:23], v[52:53], v[66:67], v[22:23] op_sel:[0,0,1] op_sel_hi:[1,0,0]
	v_fmac_f32_e32 v59, v51, v119
	v_fma_f32 v58, v50, v119, -v5
	v_pk_add_f32 v[20:21], v[54:55], v[56:57]
	v_mov_b32_e32 v22, v65
	v_pk_add_f32 v[20:21], v[20:21], v[58:59]
	v_mov_b32_e32 v25, v23
	s_waitcnt lgkmcnt(3)
	v_pk_mul_f32 v[22:23], v[6:7], v[22:23] op_sel_hi:[1,0]
	v_pk_add_f32 v[20:21], v[20:21], v[24:25]
	v_pk_fma_f32 v[24:25], v[6:7], v[64:65], v[22:23] op_sel:[0,0,1] op_sel_hi:[1,1,0] neg_lo:[0,0,1] neg_hi:[0,0,1]
	v_pk_fma_f32 v[6:7], v[6:7], v[64:65], v[22:23] op_sel:[0,0,1] op_sel_hi:[1,0,0]
	v_mov_b32_e32 v25, v7
	v_pk_add_f32 v[6:7], v[20:21], v[24:25]
	v_mov_b32_e32 v20, v63
	v_pk_mul_f32 v[20:21], v[8:9], v[20:21] op_sel_hi:[1,0]
	v_pk_fma_f32 v[22:23], v[8:9], v[62:63], v[20:21] op_sel:[0,0,1] op_sel_hi:[1,1,0] neg_lo:[0,0,1] neg_hi:[0,0,1]
	v_pk_fma_f32 v[8:9], v[8:9], v[62:63], v[20:21] op_sel:[0,0,1] op_sel_hi:[1,0,0]
	v_mov_b32_e32 v8, v61
	v_mov_b32_e32 v23, v9
	s_waitcnt lgkmcnt(2)
	v_pk_mul_f32 v[8:9], v[10:11], v[8:9] op_sel_hi:[1,0]
	v_pk_fma_f32 v[20:21], v[10:11], v[60:61], v[8:9] op_sel:[0,0,1] op_sel_hi:[1,1,0] neg_lo:[0,0,1] neg_hi:[0,0,1]
	v_pk_fma_f32 v[8:9], v[10:11], v[60:61], v[8:9] op_sel:[0,0,1] op_sel_hi:[1,0,0]
	s_waitcnt vmcnt(1)
	v_mov_b32_e32 v8, v75
	v_mov_b32_e32 v21, v9
	v_pk_mul_f32 v[8:9], v[12:13], v[8:9] op_sel_hi:[1,0]
	s_waitcnt vmcnt(0)
	v_pk_fma_f32 v[10:11], v[12:13], v[74:75], v[8:9] op_sel:[0,0,1] op_sel_hi:[1,1,0] neg_lo:[0,0,1] neg_hi:[0,0,1]
	v_pk_fma_f32 v[8:9], v[12:13], v[74:75], v[8:9] op_sel:[0,0,1] op_sel_hi:[1,0,0]
	v_pk_add_f32 v[6:7], v[6:7], v[22:23]
	v_mov_b32_e32 v8, v73
	v_pk_add_f32 v[6:7], v[6:7], v[20:21]
	v_mov_b32_e32 v11, v9
	s_waitcnt lgkmcnt(1)
	v_pk_mul_f32 v[8:9], v[14:15], v[8:9] op_sel_hi:[1,0]
	v_pk_add_f32 v[6:7], v[6:7], v[10:11]
	v_pk_fma_f32 v[10:11], v[14:15], v[72:73], v[8:9] op_sel:[0,0,1] op_sel_hi:[1,1,0] neg_lo:[0,0,1] neg_hi:[0,0,1]
	v_pk_fma_f32 v[8:9], v[14:15], v[72:73], v[8:9] op_sel:[0,0,1] op_sel_hi:[1,0,0]
	v_mov_b32_e32 v8, v71
	v_mov_b32_e32 v11, v9
	v_pk_mul_f32 v[8:9], v[16:17], v[8:9] op_sel_hi:[1,0]
	v_pk_add_f32 v[6:7], v[6:7], v[10:11]
	v_pk_fma_f32 v[10:11], v[16:17], v[70:71], v[8:9] op_sel:[0,0,1] op_sel_hi:[1,1,0] neg_lo:[0,0,1] neg_hi:[0,0,1]
	v_pk_fma_f32 v[8:9], v[16:17], v[70:71], v[8:9] op_sel:[0,0,1] op_sel_hi:[1,0,0]
	v_mov_b32_e32 v8, v69
	v_mov_b32_e32 v11, v9
	s_waitcnt lgkmcnt(0)
	v_pk_mul_f32 v[8:9], v[18:19], v[8:9] op_sel_hi:[1,0]
	v_pk_add_f32 v[6:7], v[6:7], v[10:11]
	v_pk_fma_f32 v[10:11], v[18:19], v[68:69], v[8:9] op_sel:[0,0,1] op_sel_hi:[1,1,0] neg_lo:[0,0,1] neg_hi:[0,0,1]
	v_pk_fma_f32 v[8:9], v[18:19], v[68:69], v[8:9] op_sel:[0,0,1] op_sel_hi:[1,0,0]
	v_mov_b32_e32 v11, v9
	v_pk_add_f32 v[6:7], v[6:7], v[10:11]
	v_pk_add_f32 v[2:3], v[2:3], v[6:7] neg_lo:[0,1] neg_hi:[0,1]
	buffer_store_dword v3, off, s[0:3], 0 offset:244
	buffer_store_dword v2, off, s[0:3], 0 offset:240
	s_and_saveexec_b64 s[4:5], vcc
	s_cbranch_execz .LBB125_327
; %bb.326:
	buffer_load_dword v2, off, s[0:3], 0 offset:232
	buffer_load_dword v3, off, s[0:3], 0 offset:236
	s_waitcnt vmcnt(0)
	ds_write_b64 v210, v[2:3]
	buffer_store_dword v4, off, s[0:3], 0 offset:232
	buffer_store_dword v4, off, s[0:3], 0 offset:236
.LBB125_327:
	s_or_b64 exec, exec, s[4:5]
	s_waitcnt lgkmcnt(0)
	; wave barrier
	s_waitcnt lgkmcnt(0)
	buffer_load_dword v5, off, s[0:3], 0 offset:244
	buffer_load_dword v54, off, s[0:3], 0 offset:252
	;; [unrolled: 1-line block ×48, first 2 shown]
	ds_read_b128 v[6:9], v4 offset:736
	ds_read_b128 v[10:13], v4 offset:752
	;; [unrolled: 1-line block ×6, first 2 shown]
	buffer_load_dword v120, off, s[0:3], 0 offset:424
	buffer_load_dword v121, off, s[0:3], 0 offset:428
	v_cmp_lt_u32_e32 vcc, 28, v0
	s_waitcnt vmcnt(49) lgkmcnt(5)
	v_mul_f32_e32 v30, v6, v5
	s_waitcnt vmcnt(48)
	v_mul_f32_e32 v31, v8, v54
	s_waitcnt vmcnt(47) lgkmcnt(4)
	v_mul_f32_e32 v32, v10, v56
	s_waitcnt vmcnt(46)
	v_mul_f32_e32 v33, v12, v64
	;; [unrolled: 4-line block ×6, first 2 shown]
	s_waitcnt vmcnt(37)
	v_fmac_f32_e32 v30, v7, v84
	s_waitcnt vmcnt(36)
	v_fmac_f32_e32 v31, v9, v85
	v_add_f32_e32 v30, 0, v30
	s_waitcnt vmcnt(35)
	v_fmac_f32_e32 v32, v11, v86
	v_add_f32_e32 v30, v30, v31
	;; [unrolled: 3-line block ×9, first 2 shown]
	v_add_f32_e32 v34, v30, v39
	ds_read_b128 v[30:33], v4 offset:832
	s_waitcnt vmcnt(27)
	v_fmac_f32_e32 v40, v27, v94
	v_add_f32_e32 v34, v34, v40
	s_waitcnt vmcnt(26)
	v_fmac_f32_e32 v41, v29, v95
	v_add_f32_e32 v38, v34, v41
	ds_read_b128 v[34:37], v4 offset:848
	s_waitcnt vmcnt(25) lgkmcnt(1)
	v_mul_f32_e32 v39, v30, v96
	s_waitcnt vmcnt(24)
	v_fmac_f32_e32 v39, v31, v97
	v_add_f32_e32 v38, v38, v39
	s_waitcnt vmcnt(23)
	v_mul_f32_e32 v39, v32, v98
	s_waitcnt vmcnt(22)
	v_fmac_f32_e32 v39, v33, v99
	v_add_f32_e32 v38, v38, v39
	s_waitcnt vmcnt(21) lgkmcnt(0)
	v_mul_f32_e32 v39, v34, v100
	s_waitcnt vmcnt(20)
	v_fmac_f32_e32 v39, v35, v101
	v_add_f32_e32 v42, v38, v39
	ds_read_b128 v[38:41], v4 offset:864
	s_waitcnt vmcnt(19)
	v_mul_f32_e32 v43, v36, v102
	s_waitcnt vmcnt(18)
	v_fmac_f32_e32 v43, v37, v103
	v_add_f32_e32 v46, v42, v43
	ds_read_b128 v[42:45], v4 offset:880
	s_waitcnt vmcnt(17) lgkmcnt(1)
	v_mul_f32_e32 v47, v38, v104
	s_waitcnt vmcnt(16)
	v_fmac_f32_e32 v47, v39, v105
	v_add_f32_e32 v46, v46, v47
	s_waitcnt vmcnt(15)
	v_mul_f32_e32 v47, v40, v106
	s_waitcnt vmcnt(14)
	v_fmac_f32_e32 v47, v41, v107
	v_add_f32_e32 v46, v46, v47
	s_waitcnt vmcnt(13) lgkmcnt(0)
	v_mul_f32_e32 v47, v42, v110
	s_waitcnt vmcnt(12)
	v_fmac_f32_e32 v47, v43, v111
	s_waitcnt vmcnt(11)
	v_mul_f32_e32 v51, v44, v112
	v_add_f32_e32 v50, v46, v47
	s_waitcnt vmcnt(10)
	v_fmac_f32_e32 v51, v45, v113
	ds_read_b128 v[46:49], v4 offset:896
	v_add_f32_e32 v55, v50, v51
	ds_read_b128 v[50:53], v4 offset:912
	buffer_load_dword v59, off, s[0:3], 0 offset:452
	buffer_load_dword v58, off, s[0:3], 0 offset:448
	;; [unrolled: 1-line block ×16, first 2 shown]
	v_mul_f32_e32 v5, v7, v5
	v_fma_f32 v5, v6, v84, -v5
	v_mul_f32_e32 v6, v9, v54
	v_add_f32_e32 v5, 0, v5
	v_fma_f32 v6, v8, v85, -v6
	v_add_f32_e32 v5, v5, v6
	v_mul_f32_e32 v6, v11, v56
	v_fma_f32 v6, v10, v86, -v6
	v_add_f32_e32 v5, v5, v6
	v_mul_f32_e32 v6, v13, v64
	;; [unrolled: 3-line block ×18, first 2 shown]
	v_fma_f32 v6, v44, v113, -v6
	v_add_f32_e32 v5, v5, v6
	s_waitcnt vmcnt(23) lgkmcnt(1)
	v_mul_f32_e32 v6, v47, v114
	s_waitcnt vmcnt(22)
	v_fma_f32 v6, v46, v115, -v6
	v_add_f32_e32 v5, v5, v6
	s_waitcnt vmcnt(20)
	v_mul_f32_e32 v6, v49, v117
	v_fma_f32 v6, v48, v116, -v6
	v_add_f32_e32 v54, v5, v6
	ds_read_b128 v[6:9], v4 offset:928
	ds_read_b128 v[10:13], v4 offset:944
	ds_read_b128 v[14:17], v4 offset:960
	ds_read_b128 v[18:21], v4 offset:976
	v_mul_f32_e32 v57, v46, v114
	v_fmac_f32_e32 v57, v47, v115
	v_add_f32_e32 v55, v55, v57
	v_mul_f32_e32 v57, v48, v117
	v_fmac_f32_e32 v57, v49, v116
	v_add_f32_e32 v55, v55, v57
	s_waitcnt vmcnt(18) lgkmcnt(4)
	v_mul_f32_e32 v57, v50, v119
	v_mul_f32_e32 v5, v51, v119
	v_fmac_f32_e32 v57, v51, v118
	s_waitcnt vmcnt(16)
	v_mul_f32_e32 v65, v52, v121
	s_waitcnt vmcnt(11)
	v_mov_b32_e32 v22, v63
	s_waitcnt lgkmcnt(3)
	v_pk_mul_f32 v[22:23], v[6:7], v[22:23] op_sel_hi:[1,0]
	s_waitcnt vmcnt(10)
	v_pk_fma_f32 v[24:25], v[6:7], v[62:63], v[22:23] op_sel:[0,0,1] op_sel_hi:[1,1,0] neg_lo:[0,0,1] neg_hi:[0,0,1]
	v_pk_fma_f32 v[6:7], v[6:7], v[62:63], v[22:23] op_sel:[0,0,1] op_sel_hi:[1,0,0]
	v_mov_b32_e32 v6, v61
	v_mov_b32_e32 v25, v7
	v_pk_mul_f32 v[6:7], v[8:9], v[6:7] op_sel_hi:[1,0]
	v_pk_fma_f32 v[22:23], v[8:9], v[60:61], v[6:7] op_sel:[0,0,1] op_sel_hi:[1,1,0] neg_lo:[0,0,1] neg_hi:[0,0,1]
	v_pk_fma_f32 v[6:7], v[8:9], v[60:61], v[6:7] op_sel:[0,0,1] op_sel_hi:[1,0,0]
	v_fma_f32 v56, v50, v118, -v5
	v_mul_f32_e32 v5, v53, v121
	v_mov_b32_e32 v6, v59
	v_fmac_f32_e32 v65, v53, v120
	v_fma_f32 v64, v52, v120, -v5
	v_pk_add_f32 v[4:5], v[54:55], v[56:57]
	v_mov_b32_e32 v23, v7
	s_waitcnt lgkmcnt(2)
	v_pk_mul_f32 v[6:7], v[10:11], v[6:7] op_sel_hi:[1,0]
	v_pk_add_f32 v[4:5], v[4:5], v[64:65]
	v_pk_fma_f32 v[8:9], v[10:11], v[58:59], v[6:7] op_sel:[0,0,1] op_sel_hi:[1,1,0] neg_lo:[0,0,1] neg_hi:[0,0,1]
	v_pk_fma_f32 v[6:7], v[10:11], v[58:59], v[6:7] op_sel:[0,0,1] op_sel_hi:[1,0,0]
	v_pk_add_f32 v[4:5], v[4:5], v[24:25]
	s_waitcnt vmcnt(3)
	v_mov_b32_e32 v6, v73
	v_pk_add_f32 v[4:5], v[4:5], v[22:23]
	v_mov_b32_e32 v9, v7
	v_pk_mul_f32 v[6:7], v[12:13], v[6:7] op_sel_hi:[1,0]
	v_pk_add_f32 v[4:5], v[4:5], v[8:9]
	s_waitcnt vmcnt(2)
	v_pk_fma_f32 v[8:9], v[12:13], v[72:73], v[6:7] op_sel:[0,0,1] op_sel_hi:[1,1,0] neg_lo:[0,0,1] neg_hi:[0,0,1]
	v_pk_fma_f32 v[6:7], v[12:13], v[72:73], v[6:7] op_sel:[0,0,1] op_sel_hi:[1,0,0]
	v_mov_b32_e32 v6, v71
	v_mov_b32_e32 v9, v7
	s_waitcnt lgkmcnt(1)
	v_pk_mul_f32 v[6:7], v[14:15], v[6:7] op_sel_hi:[1,0]
	v_pk_add_f32 v[4:5], v[4:5], v[8:9]
	v_pk_fma_f32 v[8:9], v[14:15], v[70:71], v[6:7] op_sel:[0,0,1] op_sel_hi:[1,1,0] neg_lo:[0,0,1] neg_hi:[0,0,1]
	v_pk_fma_f32 v[6:7], v[14:15], v[70:71], v[6:7] op_sel:[0,0,1] op_sel_hi:[1,0,0]
	v_mov_b32_e32 v6, v69
	v_mov_b32_e32 v9, v7
	v_pk_mul_f32 v[6:7], v[16:17], v[6:7] op_sel_hi:[1,0]
	v_pk_add_f32 v[4:5], v[4:5], v[8:9]
	v_pk_fma_f32 v[8:9], v[16:17], v[68:69], v[6:7] op_sel:[0,0,1] op_sel_hi:[1,1,0] neg_lo:[0,0,1] neg_hi:[0,0,1]
	v_pk_fma_f32 v[6:7], v[16:17], v[68:69], v[6:7] op_sel:[0,0,1] op_sel_hi:[1,0,0]
	v_mov_b32_e32 v6, v67
	v_mov_b32_e32 v9, v7
	s_waitcnt lgkmcnt(0)
	v_pk_mul_f32 v[6:7], v[18:19], v[6:7] op_sel_hi:[1,0]
	v_pk_add_f32 v[4:5], v[4:5], v[8:9]
	v_pk_fma_f32 v[8:9], v[18:19], v[66:67], v[6:7] op_sel:[0,0,1] op_sel_hi:[1,1,0] neg_lo:[0,0,1] neg_hi:[0,0,1]
	v_pk_fma_f32 v[6:7], v[18:19], v[66:67], v[6:7] op_sel:[0,0,1] op_sel_hi:[1,0,0]
	s_waitcnt vmcnt(1)
	v_mov_b32_e32 v6, v75
	v_mov_b32_e32 v9, v7
	v_pk_mul_f32 v[6:7], v[20:21], v[6:7] op_sel_hi:[1,0]
	v_pk_add_f32 v[4:5], v[4:5], v[8:9]
	s_waitcnt vmcnt(0)
	v_pk_fma_f32 v[8:9], v[20:21], v[74:75], v[6:7] op_sel:[0,0,1] op_sel_hi:[1,1,0] neg_lo:[0,0,1] neg_hi:[0,0,1]
	v_pk_fma_f32 v[6:7], v[20:21], v[74:75], v[6:7] op_sel:[0,0,1] op_sel_hi:[1,0,0]
	v_mov_b32_e32 v9, v7
	v_pk_add_f32 v[4:5], v[4:5], v[8:9]
	v_pk_add_f32 v[2:3], v[2:3], v[4:5] neg_lo:[0,1] neg_hi:[0,1]
	buffer_store_dword v3, off, s[0:3], 0 offset:236
	buffer_store_dword v2, off, s[0:3], 0 offset:232
	s_and_saveexec_b64 s[4:5], vcc
	s_cbranch_execz .LBB125_329
; %bb.328:
	buffer_load_dword v2, off, s[0:3], 0 offset:224
	buffer_load_dword v3, off, s[0:3], 0 offset:228
	v_mov_b32_e32 v4, 0
	buffer_store_dword v4, off, s[0:3], 0 offset:224
	buffer_store_dword v4, off, s[0:3], 0 offset:228
	s_waitcnt vmcnt(2)
	ds_write_b64 v210, v[2:3]
.LBB125_329:
	s_or_b64 exec, exec, s[4:5]
	s_waitcnt lgkmcnt(0)
	; wave barrier
	s_waitcnt lgkmcnt(0)
	buffer_load_dword v5, off, s[0:3], 0 offset:236
	buffer_load_dword v62, off, s[0:3], 0 offset:244
	;; [unrolled: 1-line block ×52, first 2 shown]
	v_mov_b32_e32 v4, 0
	ds_read2_b64 v[6:9], v4 offset0:91 offset1:92
	ds_read2_b64 v[10:13], v4 offset0:93 offset1:94
	;; [unrolled: 1-line block ×6, first 2 shown]
	v_cmp_lt_u32_e32 vcc, 27, v0
	s_waitcnt vmcnt(51) lgkmcnt(5)
	v_mul_f32_e32 v30, v6, v5
	s_waitcnt vmcnt(50)
	v_mul_f32_e32 v31, v8, v62
	s_waitcnt vmcnt(49) lgkmcnt(4)
	v_mul_f32_e32 v32, v10, v68
	s_waitcnt vmcnt(48)
	v_mul_f32_e32 v33, v12, v70
	;; [unrolled: 4-line block ×5, first 2 shown]
	s_waitcnt vmcnt(41) lgkmcnt(0)
	v_mul_f32_e32 v40, v26, v90
	s_waitcnt vmcnt(40)
	v_fmac_f32_e32 v30, v7, v91
	s_waitcnt vmcnt(39)
	v_fmac_f32_e32 v31, v9, v92
	v_add_f32_e32 v30, 0, v30
	s_waitcnt vmcnt(38)
	v_fmac_f32_e32 v32, v11, v93
	v_add_f32_e32 v30, v30, v31
	;; [unrolled: 3-line block ×9, first 2 shown]
	v_add_f32_e32 v30, v30, v39
	s_waitcnt vmcnt(30)
	v_fmac_f32_e32 v40, v27, v101
	v_add_f32_e32 v34, v30, v40
	ds_read2_b64 v[30:33], v4 offset0:103 offset1:104
	s_waitcnt vmcnt(29)
	v_mul_f32_e32 v35, v28, v102
	s_waitcnt vmcnt(28)
	v_fmac_f32_e32 v35, v29, v103
	v_add_f32_e32 v38, v34, v35
	ds_read2_b64 v[34:37], v4 offset0:105 offset1:106
	s_waitcnt vmcnt(27) lgkmcnt(1)
	v_mul_f32_e32 v39, v30, v104
	s_waitcnt vmcnt(26)
	v_fmac_f32_e32 v39, v31, v105
	v_add_f32_e32 v38, v38, v39
	s_waitcnt vmcnt(25)
	v_mul_f32_e32 v39, v32, v106
	s_waitcnt vmcnt(24)
	v_fmac_f32_e32 v39, v33, v107
	v_add_f32_e32 v38, v38, v39
	s_waitcnt vmcnt(23) lgkmcnt(0)
	v_mul_f32_e32 v39, v34, v110
	s_waitcnt vmcnt(22)
	v_fmac_f32_e32 v39, v35, v111
	v_add_f32_e32 v42, v38, v39
	ds_read2_b64 v[38:41], v4 offset0:107 offset1:108
	s_waitcnt vmcnt(21)
	v_mul_f32_e32 v43, v36, v112
	s_waitcnt vmcnt(20)
	v_fmac_f32_e32 v43, v37, v113
	v_add_f32_e32 v46, v42, v43
	ds_read2_b64 v[42:45], v4 offset0:109 offset1:110
	s_waitcnt vmcnt(19) lgkmcnt(1)
	v_mul_f32_e32 v47, v38, v114
	s_waitcnt vmcnt(18)
	v_fmac_f32_e32 v47, v39, v115
	v_add_f32_e32 v46, v46, v47
	s_waitcnt vmcnt(17)
	v_mul_f32_e32 v47, v40, v116
	s_waitcnt vmcnt(16)
	v_fmac_f32_e32 v47, v41, v117
	v_add_f32_e32 v46, v46, v47
	s_waitcnt vmcnt(14) lgkmcnt(0)
	v_mul_f32_e32 v47, v42, v119
	v_fmac_f32_e32 v47, v43, v118
	v_add_f32_e32 v50, v46, v47
	ds_read2_b64 v[46:49], v4 offset0:111 offset1:112
	s_waitcnt vmcnt(10)
	v_mul_f32_e32 v51, v44, v121
	v_fmac_f32_e32 v51, v45, v120
	v_add_f32_e32 v54, v50, v51
	ds_read2_b64 v[50:53], v4 offset0:113 offset1:114
	s_waitcnt vmcnt(8) lgkmcnt(1)
	v_mul_f32_e32 v55, v46, v123
	v_fmac_f32_e32 v55, v47, v122
	v_add_f32_e32 v54, v54, v55
	s_waitcnt vmcnt(6)
	v_mul_f32_e32 v55, v48, v125
	v_fmac_f32_e32 v55, v49, v124
	v_add_f32_e32 v54, v54, v55
	s_waitcnt vmcnt(4) lgkmcnt(0)
	v_mul_f32_e32 v55, v50, v127
	v_fmac_f32_e32 v55, v51, v126
	v_add_f32_e32 v63, v54, v55
	ds_read2_b64 v[54:57], v4 offset0:115 offset1:116
	buffer_load_dword v65, off, s[0:3], 0 offset:444
	buffer_load_dword v64, off, s[0:3], 0 offset:440
	;; [unrolled: 1-line block ×4, first 2 shown]
	ds_read2_b64 v[58:61], v4 offset0:117 offset1:118
	buffer_load_dword v73, off, s[0:3], 0 offset:476
	buffer_load_dword v72, off, s[0:3], 0 offset:472
	;; [unrolled: 1-line block ×12, first 2 shown]
	v_mul_f32_e32 v5, v7, v5
	v_fma_f32 v5, v6, v91, -v5
	v_mul_f32_e32 v6, v9, v62
	v_add_f32_e32 v5, 0, v5
	v_fma_f32 v6, v8, v92, -v6
	v_add_f32_e32 v5, v5, v6
	v_mul_f32_e32 v6, v11, v68
	v_fma_f32 v6, v10, v93, -v6
	v_add_f32_e32 v5, v5, v6
	v_mul_f32_e32 v6, v13, v70
	;; [unrolled: 3-line block ×21, first 2 shown]
	v_fma_f32 v6, v50, v126, -v6
	s_waitcnt vmcnt(18)
	v_mul_f32_e32 v69, v52, v129
	v_add_f32_e32 v62, v5, v6
	v_mul_f32_e32 v5, v53, v129
	v_fmac_f32_e32 v69, v53, v128
	s_waitcnt vmcnt(16) lgkmcnt(1)
	v_mul_f32_e32 v71, v54, v131
	v_fma_f32 v68, v52, v128, -v5
	v_mul_f32_e32 v5, v55, v131
	v_fmac_f32_e32 v71, v55, v130
	s_waitcnt vmcnt(13)
	v_mov_b32_e32 v18, v67
	v_pk_mul_f32 v[18:19], v[56:57], v[18:19] op_sel_hi:[1,0]
	s_waitcnt vmcnt(12)
	v_pk_fma_f32 v[20:21], v[56:57], v[66:67], v[18:19] op_sel:[0,0,1] op_sel_hi:[1,1,0] neg_lo:[0,0,1] neg_hi:[0,0,1]
	v_pk_fma_f32 v[18:19], v[56:57], v[66:67], v[18:19] op_sel:[0,0,1] op_sel_hi:[1,0,0]
	v_fma_f32 v70, v54, v130, -v5
	v_pk_add_f32 v[16:17], v[62:63], v[68:69]
	v_mov_b32_e32 v18, v65
	v_pk_add_f32 v[16:17], v[16:17], v[70:71]
	v_mov_b32_e32 v21, v19
	s_waitcnt lgkmcnt(0)
	v_pk_mul_f32 v[18:19], v[58:59], v[18:19] op_sel_hi:[1,0]
	v_pk_add_f32 v[16:17], v[16:17], v[20:21]
	v_pk_fma_f32 v[20:21], v[58:59], v[64:65], v[18:19] op_sel:[0,0,1] op_sel_hi:[1,1,0] neg_lo:[0,0,1] neg_hi:[0,0,1]
	v_pk_fma_f32 v[18:19], v[58:59], v[64:65], v[18:19] op_sel:[0,0,1] op_sel_hi:[1,0,0]
	s_waitcnt vmcnt(5)
	v_mov_b32_e32 v18, v79
	ds_read2_b64 v[6:9], v4 offset0:119 offset1:120
	ds_read2_b64 v[10:13], v4 offset0:121 offset1:122
	ds_read_b64 v[14:15], v4 offset:984
	v_mov_b32_e32 v21, v19
	v_pk_mul_f32 v[18:19], v[60:61], v[18:19] op_sel_hi:[1,0]
	v_pk_add_f32 v[16:17], v[16:17], v[20:21]
	s_waitcnt vmcnt(4)
	v_pk_fma_f32 v[20:21], v[60:61], v[78:79], v[18:19] op_sel:[0,0,1] op_sel_hi:[1,1,0] neg_lo:[0,0,1] neg_hi:[0,0,1]
	v_pk_fma_f32 v[18:19], v[60:61], v[78:79], v[18:19] op_sel:[0,0,1] op_sel_hi:[1,0,0]
	v_mov_b32_e32 v18, v77
	v_mov_b32_e32 v21, v19
	s_waitcnt lgkmcnt(2)
	v_pk_mul_f32 v[18:19], v[6:7], v[18:19] op_sel_hi:[1,0]
	v_pk_add_f32 v[16:17], v[16:17], v[20:21]
	v_pk_fma_f32 v[20:21], v[6:7], v[76:77], v[18:19] op_sel:[0,0,1] op_sel_hi:[1,1,0] neg_lo:[0,0,1] neg_hi:[0,0,1]
	v_pk_fma_f32 v[6:7], v[6:7], v[76:77], v[18:19] op_sel:[0,0,1] op_sel_hi:[1,0,0]
	v_mov_b32_e32 v21, v7
	v_pk_add_f32 v[6:7], v[16:17], v[20:21]
	v_mov_b32_e32 v16, v75
	v_pk_mul_f32 v[16:17], v[8:9], v[16:17] op_sel_hi:[1,0]
	v_pk_fma_f32 v[18:19], v[8:9], v[74:75], v[16:17] op_sel:[0,0,1] op_sel_hi:[1,1,0] neg_lo:[0,0,1] neg_hi:[0,0,1]
	v_pk_fma_f32 v[8:9], v[8:9], v[74:75], v[16:17] op_sel:[0,0,1] op_sel_hi:[1,0,0]
	v_mov_b32_e32 v8, v73
	v_mov_b32_e32 v19, v9
	s_waitcnt lgkmcnt(1)
	v_pk_mul_f32 v[8:9], v[10:11], v[8:9] op_sel_hi:[1,0]
	v_pk_fma_f32 v[16:17], v[10:11], v[72:73], v[8:9] op_sel:[0,0,1] op_sel_hi:[1,1,0] neg_lo:[0,0,1] neg_hi:[0,0,1]
	v_pk_fma_f32 v[8:9], v[10:11], v[72:73], v[8:9] op_sel:[0,0,1] op_sel_hi:[1,0,0]
	s_waitcnt vmcnt(1)
	v_mov_b32_e32 v8, v83
	v_mov_b32_e32 v17, v9
	v_pk_mul_f32 v[8:9], v[12:13], v[8:9] op_sel_hi:[1,0]
	s_waitcnt vmcnt(0)
	v_pk_fma_f32 v[10:11], v[12:13], v[82:83], v[8:9] op_sel:[0,0,1] op_sel_hi:[1,1,0] neg_lo:[0,0,1] neg_hi:[0,0,1]
	v_pk_fma_f32 v[8:9], v[12:13], v[82:83], v[8:9] op_sel:[0,0,1] op_sel_hi:[1,0,0]
	v_pk_add_f32 v[6:7], v[6:7], v[18:19]
	v_mov_b32_e32 v8, v81
	v_pk_add_f32 v[6:7], v[6:7], v[16:17]
	v_mov_b32_e32 v11, v9
	s_waitcnt lgkmcnt(0)
	v_pk_mul_f32 v[8:9], v[14:15], v[8:9] op_sel_hi:[1,0]
	v_pk_add_f32 v[6:7], v[6:7], v[10:11]
	v_pk_fma_f32 v[10:11], v[14:15], v[80:81], v[8:9] op_sel:[0,0,1] op_sel_hi:[1,1,0] neg_lo:[0,0,1] neg_hi:[0,0,1]
	v_pk_fma_f32 v[8:9], v[14:15], v[80:81], v[8:9] op_sel:[0,0,1] op_sel_hi:[1,0,0]
	v_mov_b32_e32 v11, v9
	v_pk_add_f32 v[6:7], v[6:7], v[10:11]
	v_pk_add_f32 v[2:3], v[2:3], v[6:7] neg_lo:[0,1] neg_hi:[0,1]
	buffer_store_dword v3, off, s[0:3], 0 offset:228
	buffer_store_dword v2, off, s[0:3], 0 offset:224
	s_and_saveexec_b64 s[4:5], vcc
	s_cbranch_execz .LBB125_331
; %bb.330:
	buffer_load_dword v2, off, s[0:3], 0 offset:216
	buffer_load_dword v3, off, s[0:3], 0 offset:220
	s_waitcnt vmcnt(0)
	ds_write_b64 v210, v[2:3]
	buffer_store_dword v4, off, s[0:3], 0 offset:216
	buffer_store_dword v4, off, s[0:3], 0 offset:220
.LBB125_331:
	s_or_b64 exec, exec, s[4:5]
	s_waitcnt lgkmcnt(0)
	; wave barrier
	s_waitcnt lgkmcnt(0)
	buffer_load_dword v5, off, s[0:3], 0 offset:228
	buffer_load_dword v64, off, s[0:3], 0 offset:236
	;; [unrolled: 1-line block ×42, first 2 shown]
	ds_read_b128 v[6:9], v4 offset:720
	ds_read_b128 v[10:13], v4 offset:736
	buffer_load_dword v122, off, s[0:3], 0 offset:384
	buffer_load_dword v123, off, s[0:3], 0 offset:388
	ds_read_b128 v[14:17], v4 offset:752
	ds_read_b128 v[18:21], v4 offset:768
	buffer_load_dword v124, off, s[0:3], 0 offset:392
	buffer_load_dword v125, off, s[0:3], 0 offset:396
	;; [unrolled: 1-line block ×4, first 2 shown]
	ds_read_b128 v[22:25], v4 offset:784
	ds_read_b128 v[26:29], v4 offset:800
	buffer_load_dword v128, off, s[0:3], 0 offset:408
	buffer_load_dword v129, off, s[0:3], 0 offset:412
	;; [unrolled: 1-line block ×6, first 2 shown]
	v_cmp_lt_u32_e32 vcc, 26, v0
	s_waitcnt vmcnt(53) lgkmcnt(5)
	v_mul_f32_e32 v30, v6, v5
	s_waitcnt vmcnt(52)
	v_mul_f32_e32 v31, v8, v64
	s_waitcnt vmcnt(51) lgkmcnt(4)
	v_mul_f32_e32 v33, v12, v66
	s_waitcnt vmcnt(50) lgkmcnt(3)
	v_mul_f32_e32 v34, v14, v68
	s_waitcnt vmcnt(49)
	v_mul_f32_e32 v35, v16, v84
	s_waitcnt vmcnt(48)
	v_mul_f32_e32 v32, v10, v85
	s_waitcnt vmcnt(47) lgkmcnt(2)
	v_mul_f32_e32 v36, v18, v86
	s_waitcnt vmcnt(46)
	v_mul_f32_e32 v37, v20, v87
	s_waitcnt vmcnt(45) lgkmcnt(1)
	v_mul_f32_e32 v38, v22, v88
	s_waitcnt vmcnt(44)
	v_mul_f32_e32 v39, v24, v89
	s_waitcnt vmcnt(43)
	v_fmac_f32_e32 v32, v11, v90
	s_waitcnt vmcnt(42)
	v_fmac_f32_e32 v31, v9, v91
	;; [unrolled: 2-line block ×3, first 2 shown]
	v_add_f32_e32 v30, 0, v30
	v_add_f32_e32 v30, v30, v31
	;; [unrolled: 1-line block ×3, first 2 shown]
	s_waitcnt vmcnt(37)
	v_fmac_f32_e32 v33, v13, v96
	v_fmac_f32_e32 v34, v15, v95
	v_add_f32_e32 v30, v30, v33
	v_fmac_f32_e32 v35, v17, v94
	v_add_f32_e32 v30, v30, v34
	;; [unrolled: 2-line block ×3, first 2 shown]
	s_waitcnt vmcnt(33)
	v_fmac_f32_e32 v37, v21, v100
	v_add_f32_e32 v30, v30, v36
	v_fmac_f32_e32 v38, v23, v99
	v_add_f32_e32 v30, v30, v37
	;; [unrolled: 2-line block ×3, first 2 shown]
	s_waitcnt vmcnt(32) lgkmcnt(0)
	v_mul_f32_e32 v31, v26, v101
	v_add_f32_e32 v30, v30, v39
	v_fmac_f32_e32 v31, v27, v97
	v_add_f32_e32 v34, v30, v31
	ds_read_b128 v[30:33], v4 offset:816
	s_waitcnt vmcnt(28)
	v_mul_f32_e32 v35, v28, v105
	s_waitcnt vmcnt(27)
	v_fmac_f32_e32 v35, v29, v106
	v_add_f32_e32 v38, v34, v35
	ds_read_b128 v[34:37], v4 offset:832
	s_waitcnt vmcnt(26) lgkmcnt(1)
	v_mul_f32_e32 v39, v30, v107
	v_fmac_f32_e32 v39, v31, v104
	v_add_f32_e32 v38, v38, v39
	s_waitcnt vmcnt(25)
	v_mul_f32_e32 v39, v32, v110
	v_fmac_f32_e32 v39, v33, v103
	v_add_f32_e32 v38, v38, v39
	s_waitcnt vmcnt(24) lgkmcnt(0)
	v_mul_f32_e32 v39, v34, v111
	v_fmac_f32_e32 v39, v35, v102
	v_add_f32_e32 v42, v38, v39
	ds_read_b128 v[38:41], v4 offset:848
	s_waitcnt vmcnt(19)
	v_mul_f32_e32 v43, v36, v116
	s_waitcnt vmcnt(18)
	v_fmac_f32_e32 v43, v37, v117
	v_add_f32_e32 v46, v42, v43
	ds_read_b128 v[42:45], v4 offset:864
	s_waitcnt vmcnt(17) lgkmcnt(1)
	v_mul_f32_e32 v47, v38, v118
	v_fmac_f32_e32 v47, v39, v115
	v_add_f32_e32 v46, v46, v47
	v_mul_f32_e32 v47, v40, v113
	v_fmac_f32_e32 v47, v41, v112
	v_add_f32_e32 v46, v46, v47
	s_waitcnt vmcnt(16) lgkmcnt(0)
	v_mul_f32_e32 v47, v42, v119
	v_fmac_f32_e32 v47, v43, v114
	v_add_f32_e32 v50, v46, v47
	ds_read_b128 v[46:49], v4 offset:880
	s_waitcnt vmcnt(12)
	v_mul_f32_e32 v51, v44, v121
	v_fmac_f32_e32 v51, v45, v120
	v_add_f32_e32 v54, v50, v51
	ds_read_b128 v[50:53], v4 offset:896
	buffer_load_dword v63, off, s[0:3], 0 offset:436
	buffer_load_dword v62, off, s[0:3], 0 offset:432
	s_waitcnt vmcnt(12) lgkmcnt(1)
	v_mul_f32_e32 v55, v46, v123
	v_fmac_f32_e32 v55, v47, v122
	v_add_f32_e32 v54, v54, v55
	s_waitcnt vmcnt(10)
	v_mul_f32_e32 v55, v48, v125
	v_fmac_f32_e32 v55, v49, v124
	v_add_f32_e32 v54, v54, v55
	s_waitcnt vmcnt(8) lgkmcnt(0)
	v_mul_f32_e32 v55, v50, v127
	v_fmac_f32_e32 v55, v51, v126
	s_waitcnt vmcnt(6)
	v_mul_f32_e32 v59, v52, v129
	v_add_f32_e32 v58, v54, v55
	v_fmac_f32_e32 v59, v53, v128
	ds_read_b128 v[54:57], v4 offset:912
	v_add_f32_e32 v65, v58, v59
	ds_read_b128 v[58:61], v4 offset:928
	buffer_load_dword v71, off, s[0:3], 0 offset:468
	buffer_load_dword v70, off, s[0:3], 0 offset:464
	;; [unrolled: 1-line block ×14, first 2 shown]
	v_mul_f32_e32 v5, v7, v5
	v_fma_f32 v5, v6, v92, -v5
	v_mul_f32_e32 v6, v9, v64
	v_add_f32_e32 v5, 0, v5
	v_fma_f32 v6, v8, v91, -v6
	v_add_f32_e32 v5, v5, v6
	v_mul_f32_e32 v6, v11, v85
	v_fma_f32 v6, v10, v90, -v6
	v_add_f32_e32 v5, v5, v6
	v_mul_f32_e32 v6, v13, v66
	;; [unrolled: 3-line block ×22, first 2 shown]
	v_fma_f32 v6, v52, v128, -v6
	s_waitcnt vmcnt(15)
	v_mov_b32_e32 v18, v63
	s_waitcnt lgkmcnt(1)
	v_mul_f32_e32 v67, v54, v131
	v_add_f32_e32 v64, v5, v6
	v_mul_f32_e32 v5, v55, v131
	s_waitcnt lgkmcnt(0)
	v_pk_mul_f32 v[18:19], v[58:59], v[18:19] op_sel_hi:[1,0]
	v_fmac_f32_e32 v67, v55, v130
	v_mul_f32_e32 v69, v56, v133
	v_fma_f32 v66, v54, v130, -v5
	v_mul_f32_e32 v5, v57, v133
	s_waitcnt vmcnt(14)
	v_pk_fma_f32 v[20:21], v[58:59], v[62:63], v[18:19] op_sel:[0,0,1] op_sel_hi:[1,1,0] neg_lo:[0,0,1] neg_hi:[0,0,1]
	v_pk_fma_f32 v[18:19], v[58:59], v[62:63], v[18:19] op_sel:[0,0,1] op_sel_hi:[1,0,0]
	v_fmac_f32_e32 v69, v57, v132
	v_fma_f32 v68, v56, v132, -v5
	ds_read_b128 v[6:9], v4 offset:944
	ds_read_b128 v[10:13], v4 offset:960
	;; [unrolled: 1-line block ×3, first 2 shown]
	v_pk_add_f32 v[4:5], v[64:65], v[66:67]
	s_waitcnt vmcnt(7)
	v_mov_b32_e32 v18, v77
	v_pk_add_f32 v[4:5], v[4:5], v[68:69]
	v_mov_b32_e32 v21, v19
	v_pk_mul_f32 v[18:19], v[60:61], v[18:19] op_sel_hi:[1,0]
	v_pk_add_f32 v[4:5], v[4:5], v[20:21]
	s_waitcnt vmcnt(6)
	v_pk_fma_f32 v[20:21], v[60:61], v[76:77], v[18:19] op_sel:[0,0,1] op_sel_hi:[1,1,0] neg_lo:[0,0,1] neg_hi:[0,0,1]
	v_pk_fma_f32 v[18:19], v[60:61], v[76:77], v[18:19] op_sel:[0,0,1] op_sel_hi:[1,0,0]
	v_mov_b32_e32 v18, v75
	v_mov_b32_e32 v21, v19
	s_waitcnt lgkmcnt(2)
	v_pk_mul_f32 v[18:19], v[6:7], v[18:19] op_sel_hi:[1,0]
	v_pk_add_f32 v[4:5], v[4:5], v[20:21]
	v_pk_fma_f32 v[20:21], v[6:7], v[74:75], v[18:19] op_sel:[0,0,1] op_sel_hi:[1,1,0] neg_lo:[0,0,1] neg_hi:[0,0,1]
	v_pk_fma_f32 v[6:7], v[6:7], v[74:75], v[18:19] op_sel:[0,0,1] op_sel_hi:[1,0,0]
	v_mov_b32_e32 v6, v73
	v_mov_b32_e32 v21, v7
	v_pk_mul_f32 v[6:7], v[8:9], v[6:7] op_sel_hi:[1,0]
	v_pk_fma_f32 v[18:19], v[8:9], v[72:73], v[6:7] op_sel:[0,0,1] op_sel_hi:[1,1,0] neg_lo:[0,0,1] neg_hi:[0,0,1]
	v_pk_fma_f32 v[6:7], v[8:9], v[72:73], v[6:7] op_sel:[0,0,1] op_sel_hi:[1,0,0]
	v_mov_b32_e32 v6, v71
	v_mov_b32_e32 v19, v7
	s_waitcnt lgkmcnt(1)
	v_pk_mul_f32 v[6:7], v[10:11], v[6:7] op_sel_hi:[1,0]
	v_pk_fma_f32 v[8:9], v[10:11], v[70:71], v[6:7] op_sel:[0,0,1] op_sel_hi:[1,1,0] neg_lo:[0,0,1] neg_hi:[0,0,1]
	v_pk_fma_f32 v[6:7], v[10:11], v[70:71], v[6:7] op_sel:[0,0,1] op_sel_hi:[1,0,0]
	v_pk_add_f32 v[4:5], v[4:5], v[20:21]
	s_waitcnt vmcnt(1)
	v_mov_b32_e32 v6, v83
	v_pk_add_f32 v[4:5], v[4:5], v[18:19]
	v_mov_b32_e32 v9, v7
	v_pk_mul_f32 v[6:7], v[12:13], v[6:7] op_sel_hi:[1,0]
	v_pk_add_f32 v[4:5], v[4:5], v[8:9]
	s_waitcnt vmcnt(0)
	v_pk_fma_f32 v[8:9], v[12:13], v[82:83], v[6:7] op_sel:[0,0,1] op_sel_hi:[1,1,0] neg_lo:[0,0,1] neg_hi:[0,0,1]
	v_pk_fma_f32 v[6:7], v[12:13], v[82:83], v[6:7] op_sel:[0,0,1] op_sel_hi:[1,0,0]
	v_mov_b32_e32 v6, v81
	v_mov_b32_e32 v9, v7
	s_waitcnt lgkmcnt(0)
	v_pk_mul_f32 v[6:7], v[14:15], v[6:7] op_sel_hi:[1,0]
	v_pk_add_f32 v[4:5], v[4:5], v[8:9]
	v_pk_fma_f32 v[8:9], v[14:15], v[80:81], v[6:7] op_sel:[0,0,1] op_sel_hi:[1,1,0] neg_lo:[0,0,1] neg_hi:[0,0,1]
	v_pk_fma_f32 v[6:7], v[14:15], v[80:81], v[6:7] op_sel:[0,0,1] op_sel_hi:[1,0,0]
	v_mov_b32_e32 v6, v79
	v_mov_b32_e32 v9, v7
	v_pk_mul_f32 v[6:7], v[16:17], v[6:7] op_sel_hi:[1,0]
	v_pk_add_f32 v[4:5], v[4:5], v[8:9]
	v_pk_fma_f32 v[8:9], v[16:17], v[78:79], v[6:7] op_sel:[0,0,1] op_sel_hi:[1,1,0] neg_lo:[0,0,1] neg_hi:[0,0,1]
	v_pk_fma_f32 v[6:7], v[16:17], v[78:79], v[6:7] op_sel:[0,0,1] op_sel_hi:[1,0,0]
	v_mov_b32_e32 v9, v7
	v_pk_add_f32 v[4:5], v[4:5], v[8:9]
	v_pk_add_f32 v[2:3], v[2:3], v[4:5] neg_lo:[0,1] neg_hi:[0,1]
	buffer_store_dword v3, off, s[0:3], 0 offset:220
	buffer_store_dword v2, off, s[0:3], 0 offset:216
	s_and_saveexec_b64 s[4:5], vcc
	s_cbranch_execz .LBB125_333
; %bb.332:
	buffer_load_dword v2, off, s[0:3], 0 offset:208
	buffer_load_dword v3, off, s[0:3], 0 offset:212
	v_mov_b32_e32 v4, 0
	buffer_store_dword v4, off, s[0:3], 0 offset:208
	buffer_store_dword v4, off, s[0:3], 0 offset:212
	s_waitcnt vmcnt(2)
	ds_write_b64 v210, v[2:3]
.LBB125_333:
	s_or_b64 exec, exec, s[4:5]
	s_waitcnt lgkmcnt(0)
	; wave barrier
	s_waitcnt lgkmcnt(0)
	buffer_load_dword v5, off, s[0:3], 0 offset:220
	buffer_load_dword v62, off, s[0:3], 0 offset:228
	;; [unrolled: 1-line block ×56, first 2 shown]
	v_mov_b32_e32 v4, 0
	ds_read2_b64 v[6:9], v4 offset0:89 offset1:90
	ds_read2_b64 v[10:13], v4 offset0:91 offset1:92
	ds_read2_b64 v[14:17], v4 offset0:93 offset1:94
	ds_read2_b64 v[18:21], v4 offset0:95 offset1:96
	ds_read2_b64 v[22:25], v4 offset0:97 offset1:98
	ds_read2_b64 v[26:29], v4 offset0:99 offset1:100
	v_cmp_lt_u32_e32 vcc, 25, v0
	s_waitcnt vmcnt(55) lgkmcnt(5)
	v_mul_f32_e32 v30, v6, v5
	s_waitcnt vmcnt(54)
	v_mul_f32_e32 v31, v8, v62
	s_waitcnt vmcnt(53) lgkmcnt(4)
	v_mul_f32_e32 v33, v12, v64
	s_waitcnt vmcnt(52) lgkmcnt(3)
	v_mul_f32_e32 v34, v14, v66
	s_waitcnt vmcnt(51)
	v_mul_f32_e32 v35, v16, v84
	s_waitcnt vmcnt(50)
	v_mul_f32_e32 v32, v10, v85
	s_waitcnt vmcnt(49) lgkmcnt(2)
	v_mul_f32_e32 v36, v18, v86
	s_waitcnt vmcnt(48)
	v_mul_f32_e32 v37, v20, v87
	s_waitcnt vmcnt(47) lgkmcnt(1)
	v_mul_f32_e32 v38, v22, v88
	s_waitcnt vmcnt(46)
	v_fmac_f32_e32 v32, v11, v89
	s_waitcnt vmcnt(45)
	v_fmac_f32_e32 v31, v9, v90
	;; [unrolled: 2-line block ×3, first 2 shown]
	v_add_f32_e32 v30, 0, v30
	v_add_f32_e32 v30, v30, v31
	;; [unrolled: 1-line block ×3, first 2 shown]
	s_waitcnt vmcnt(40)
	v_fmac_f32_e32 v33, v13, v95
	v_fmac_f32_e32 v34, v15, v94
	v_add_f32_e32 v30, v30, v33
	v_fmac_f32_e32 v35, v17, v93
	v_add_f32_e32 v30, v30, v34
	;; [unrolled: 2-line block ×3, first 2 shown]
	s_waitcnt vmcnt(36)
	v_fmac_f32_e32 v37, v21, v99
	v_add_f32_e32 v30, v30, v36
	v_add_f32_e32 v30, v30, v37
	v_fmac_f32_e32 v38, v23, v98
	s_waitcnt vmcnt(35)
	v_mul_f32_e32 v31, v24, v100
	v_add_f32_e32 v30, v30, v38
	v_fmac_f32_e32 v31, v25, v97
	v_add_f32_e32 v30, v30, v31
	s_waitcnt vmcnt(34) lgkmcnt(0)
	v_mul_f32_e32 v31, v26, v101
	v_fmac_f32_e32 v31, v27, v96
	v_add_f32_e32 v34, v30, v31
	ds_read2_b64 v[30:33], v4 offset0:101 offset1:102
	s_waitcnt vmcnt(30)
	v_mul_f32_e32 v35, v28, v105
	s_waitcnt vmcnt(29)
	v_fmac_f32_e32 v35, v29, v106
	v_add_f32_e32 v38, v34, v35
	ds_read2_b64 v[34:37], v4 offset0:103 offset1:104
	s_waitcnt vmcnt(28) lgkmcnt(1)
	v_mul_f32_e32 v39, v30, v107
	v_fmac_f32_e32 v39, v31, v104
	v_add_f32_e32 v38, v38, v39
	s_waitcnt vmcnt(27)
	v_mul_f32_e32 v39, v32, v110
	v_fmac_f32_e32 v39, v33, v103
	v_add_f32_e32 v38, v38, v39
	s_waitcnt vmcnt(26) lgkmcnt(0)
	v_mul_f32_e32 v39, v34, v111
	v_fmac_f32_e32 v39, v35, v102
	v_add_f32_e32 v42, v38, v39
	ds_read2_b64 v[38:41], v4 offset0:105 offset1:106
	s_waitcnt vmcnt(24)
	v_mul_f32_e32 v43, v36, v113
	v_fmac_f32_e32 v43, v37, v112
	v_add_f32_e32 v46, v42, v43
	ds_read2_b64 v[42:45], v4 offset0:107 offset1:108
	s_waitcnt vmcnt(20) lgkmcnt(1)
	v_mul_f32_e32 v47, v38, v115
	v_fmac_f32_e32 v47, v39, v114
	v_add_f32_e32 v46, v46, v47
	s_waitcnt vmcnt(18)
	v_mul_f32_e32 v47, v40, v117
	v_fmac_f32_e32 v47, v41, v116
	v_add_f32_e32 v46, v46, v47
	s_waitcnt vmcnt(16) lgkmcnt(0)
	v_mul_f32_e32 v47, v42, v119
	v_fmac_f32_e32 v47, v43, v118
	v_add_f32_e32 v50, v46, v47
	ds_read2_b64 v[46:49], v4 offset0:109 offset1:110
	s_waitcnt vmcnt(14)
	v_mul_f32_e32 v51, v44, v121
	v_fmac_f32_e32 v51, v45, v120
	v_add_f32_e32 v54, v50, v51
	ds_read2_b64 v[50:53], v4 offset0:111 offset1:112
	s_waitcnt vmcnt(12) lgkmcnt(1)
	v_mul_f32_e32 v55, v46, v123
	v_fmac_f32_e32 v55, v47, v122
	v_add_f32_e32 v54, v54, v55
	s_waitcnt vmcnt(10)
	v_mul_f32_e32 v55, v48, v125
	v_fmac_f32_e32 v55, v49, v124
	v_add_f32_e32 v54, v54, v55
	s_waitcnt vmcnt(8) lgkmcnt(0)
	v_mul_f32_e32 v55, v50, v127
	v_fmac_f32_e32 v55, v51, v126
	s_waitcnt vmcnt(6)
	v_mul_f32_e32 v59, v52, v129
	v_add_f32_e32 v58, v54, v55
	v_fmac_f32_e32 v59, v53, v128
	ds_read2_b64 v[54:57], v4 offset0:113 offset1:114
	v_add_f32_e32 v63, v58, v59
	ds_read2_b64 v[58:61], v4 offset0:115 offset1:116
	buffer_load_dword v69, off, s[0:3], 0 offset:460
	buffer_load_dword v68, off, s[0:3], 0 offset:456
	;; [unrolled: 1-line block ×16, first 2 shown]
	v_mul_f32_e32 v5, v7, v5
	v_fma_f32 v5, v6, v91, -v5
	v_mul_f32_e32 v6, v9, v62
	v_add_f32_e32 v5, 0, v5
	v_fma_f32 v6, v8, v90, -v6
	v_add_f32_e32 v5, v5, v6
	v_mul_f32_e32 v6, v11, v85
	v_fma_f32 v6, v10, v89, -v6
	v_add_f32_e32 v5, v5, v6
	v_mul_f32_e32 v6, v13, v64
	;; [unrolled: 3-line block ×22, first 2 shown]
	v_fma_f32 v6, v52, v128, -v6
	s_waitcnt vmcnt(20) lgkmcnt(1)
	v_mul_f32_e32 v65, v54, v131
	v_add_f32_e32 v5, v5, v6
	v_mul_f32_e32 v6, v55, v131
	v_fmac_f32_e32 v65, v55, v130
	v_fma_f32 v6, v54, v130, -v6
	s_waitcnt vmcnt(9)
	v_mov_b32_e32 v22, v75
	v_add_f32_e32 v63, v63, v65
	v_mul_f32_e32 v65, v56, v133
	v_add_f32_e32 v62, v5, v6
	v_mul_f32_e32 v5, v57, v133
	s_waitcnt lgkmcnt(0)
	v_pk_mul_f32 v[22:23], v[60:61], v[22:23] op_sel_hi:[1,0]
	v_fmac_f32_e32 v65, v57, v132
	v_mul_f32_e32 v67, v58, v135
	v_fma_f32 v64, v56, v132, -v5
	v_mul_f32_e32 v5, v59, v135
	ds_read2_b64 v[6:9], v4 offset0:117 offset1:118
	ds_read2_b64 v[10:13], v4 offset0:119 offset1:120
	;; [unrolled: 1-line block ×3, first 2 shown]
	ds_read_b64 v[18:19], v4 offset:984
	s_waitcnt vmcnt(8)
	v_pk_fma_f32 v[24:25], v[60:61], v[74:75], v[22:23] op_sel:[0,0,1] op_sel_hi:[1,1,0] neg_lo:[0,0,1] neg_hi:[0,0,1]
	v_pk_fma_f32 v[22:23], v[60:61], v[74:75], v[22:23] op_sel:[0,0,1] op_sel_hi:[1,0,0]
	v_fmac_f32_e32 v67, v59, v134
	v_fma_f32 v66, v58, v134, -v5
	v_pk_add_f32 v[20:21], v[62:63], v[64:65]
	v_mov_b32_e32 v22, v73
	v_pk_add_f32 v[20:21], v[20:21], v[66:67]
	v_mov_b32_e32 v25, v23
	s_waitcnt lgkmcnt(3)
	v_pk_mul_f32 v[22:23], v[6:7], v[22:23] op_sel_hi:[1,0]
	v_pk_add_f32 v[20:21], v[20:21], v[24:25]
	v_pk_fma_f32 v[24:25], v[6:7], v[72:73], v[22:23] op_sel:[0,0,1] op_sel_hi:[1,1,0] neg_lo:[0,0,1] neg_hi:[0,0,1]
	v_pk_fma_f32 v[6:7], v[6:7], v[72:73], v[22:23] op_sel:[0,0,1] op_sel_hi:[1,0,0]
	v_mov_b32_e32 v25, v7
	v_pk_add_f32 v[6:7], v[20:21], v[24:25]
	v_mov_b32_e32 v20, v71
	v_pk_mul_f32 v[20:21], v[8:9], v[20:21] op_sel_hi:[1,0]
	v_pk_fma_f32 v[22:23], v[8:9], v[70:71], v[20:21] op_sel:[0,0,1] op_sel_hi:[1,1,0] neg_lo:[0,0,1] neg_hi:[0,0,1]
	v_pk_fma_f32 v[8:9], v[8:9], v[70:71], v[20:21] op_sel:[0,0,1] op_sel_hi:[1,0,0]
	v_mov_b32_e32 v8, v69
	v_mov_b32_e32 v23, v9
	s_waitcnt lgkmcnt(2)
	v_pk_mul_f32 v[8:9], v[10:11], v[8:9] op_sel_hi:[1,0]
	v_pk_fma_f32 v[20:21], v[10:11], v[68:69], v[8:9] op_sel:[0,0,1] op_sel_hi:[1,1,0] neg_lo:[0,0,1] neg_hi:[0,0,1]
	v_pk_fma_f32 v[8:9], v[10:11], v[68:69], v[8:9] op_sel:[0,0,1] op_sel_hi:[1,0,0]
	s_waitcnt vmcnt(1)
	v_mov_b32_e32 v8, v83
	v_mov_b32_e32 v21, v9
	v_pk_mul_f32 v[8:9], v[12:13], v[8:9] op_sel_hi:[1,0]
	s_waitcnt vmcnt(0)
	v_pk_fma_f32 v[10:11], v[12:13], v[82:83], v[8:9] op_sel:[0,0,1] op_sel_hi:[1,1,0] neg_lo:[0,0,1] neg_hi:[0,0,1]
	v_pk_fma_f32 v[8:9], v[12:13], v[82:83], v[8:9] op_sel:[0,0,1] op_sel_hi:[1,0,0]
	v_pk_add_f32 v[6:7], v[6:7], v[22:23]
	v_mov_b32_e32 v8, v81
	v_pk_add_f32 v[6:7], v[6:7], v[20:21]
	v_mov_b32_e32 v11, v9
	s_waitcnt lgkmcnt(1)
	v_pk_mul_f32 v[8:9], v[14:15], v[8:9] op_sel_hi:[1,0]
	v_pk_add_f32 v[6:7], v[6:7], v[10:11]
	v_pk_fma_f32 v[10:11], v[14:15], v[80:81], v[8:9] op_sel:[0,0,1] op_sel_hi:[1,1,0] neg_lo:[0,0,1] neg_hi:[0,0,1]
	v_pk_fma_f32 v[8:9], v[14:15], v[80:81], v[8:9] op_sel:[0,0,1] op_sel_hi:[1,0,0]
	v_mov_b32_e32 v8, v79
	v_mov_b32_e32 v11, v9
	v_pk_mul_f32 v[8:9], v[16:17], v[8:9] op_sel_hi:[1,0]
	v_pk_add_f32 v[6:7], v[6:7], v[10:11]
	v_pk_fma_f32 v[10:11], v[16:17], v[78:79], v[8:9] op_sel:[0,0,1] op_sel_hi:[1,1,0] neg_lo:[0,0,1] neg_hi:[0,0,1]
	v_pk_fma_f32 v[8:9], v[16:17], v[78:79], v[8:9] op_sel:[0,0,1] op_sel_hi:[1,0,0]
	v_mov_b32_e32 v8, v77
	v_mov_b32_e32 v11, v9
	s_waitcnt lgkmcnt(0)
	v_pk_mul_f32 v[8:9], v[18:19], v[8:9] op_sel_hi:[1,0]
	v_pk_add_f32 v[6:7], v[6:7], v[10:11]
	v_pk_fma_f32 v[10:11], v[18:19], v[76:77], v[8:9] op_sel:[0,0,1] op_sel_hi:[1,1,0] neg_lo:[0,0,1] neg_hi:[0,0,1]
	v_pk_fma_f32 v[8:9], v[18:19], v[76:77], v[8:9] op_sel:[0,0,1] op_sel_hi:[1,0,0]
	v_mov_b32_e32 v11, v9
	v_pk_add_f32 v[6:7], v[6:7], v[10:11]
	v_pk_add_f32 v[2:3], v[2:3], v[6:7] neg_lo:[0,1] neg_hi:[0,1]
	buffer_store_dword v3, off, s[0:3], 0 offset:212
	buffer_store_dword v2, off, s[0:3], 0 offset:208
	s_and_saveexec_b64 s[4:5], vcc
	s_cbranch_execz .LBB125_335
; %bb.334:
	buffer_load_dword v2, off, s[0:3], 0 offset:200
	buffer_load_dword v3, off, s[0:3], 0 offset:204
	s_waitcnt vmcnt(0)
	ds_write_b64 v210, v[2:3]
	buffer_store_dword v4, off, s[0:3], 0 offset:200
	buffer_store_dword v4, off, s[0:3], 0 offset:204
.LBB125_335:
	s_or_b64 exec, exec, s[4:5]
	s_waitcnt lgkmcnt(0)
	; wave barrier
	s_waitcnt lgkmcnt(0)
	buffer_load_dword v5, off, s[0:3], 0 offset:212
	buffer_load_dword v62, off, s[0:3], 0 offset:220
	;; [unrolled: 1-line block ×40, first 2 shown]
	ds_read_b128 v[6:9], v4 offset:704
	ds_read_b128 v[10:13], v4 offset:720
	;; [unrolled: 1-line block ×4, first 2 shown]
	buffer_load_dword v120, off, s[0:3], 0 offset:360
	buffer_load_dword v121, off, s[0:3], 0 offset:364
	ds_read_b128 v[22:25], v4 offset:768
	ds_read_b128 v[26:29], v4 offset:784
	buffer_load_dword v122, off, s[0:3], 0 offset:368
	buffer_load_dword v123, off, s[0:3], 0 offset:372
	;; [unrolled: 1-line block ×16, first 2 shown]
	v_cmp_lt_u32_e32 vcc, 24, v0
	s_waitcnt vmcnt(57) lgkmcnt(5)
	v_mul_f32_e32 v30, v6, v5
	s_waitcnt vmcnt(56)
	v_mul_f32_e32 v31, v8, v62
	s_waitcnt vmcnt(55) lgkmcnt(4)
	v_mul_f32_e32 v33, v12, v64
	s_waitcnt vmcnt(54) lgkmcnt(3)
	v_mul_f32_e32 v34, v14, v72
	s_waitcnt vmcnt(53)
	v_mul_f32_e32 v35, v16, v84
	s_waitcnt vmcnt(52)
	v_mul_f32_e32 v32, v10, v85
	s_waitcnt vmcnt(51) lgkmcnt(2)
	v_mul_f32_e32 v36, v18, v86
	s_waitcnt vmcnt(50)
	v_mul_f32_e32 v37, v20, v87
	s_waitcnt vmcnt(49)
	v_fmac_f32_e32 v32, v11, v88
	s_waitcnt vmcnt(48)
	v_fmac_f32_e32 v31, v9, v89
	;; [unrolled: 2-line block ×3, first 2 shown]
	v_add_f32_e32 v30, 0, v30
	v_add_f32_e32 v30, v30, v31
	;; [unrolled: 1-line block ×3, first 2 shown]
	s_waitcnt vmcnt(43)
	v_fmac_f32_e32 v33, v13, v94
	v_fmac_f32_e32 v34, v15, v93
	v_add_f32_e32 v30, v30, v33
	v_fmac_f32_e32 v35, v17, v92
	v_add_f32_e32 v30, v30, v34
	;; [unrolled: 2-line block ×3, first 2 shown]
	s_waitcnt vmcnt(39)
	v_fmac_f32_e32 v37, v21, v98
	v_add_f32_e32 v30, v30, v36
	s_waitcnt vmcnt(38) lgkmcnt(1)
	v_mul_f32_e32 v31, v22, v99
	v_add_f32_e32 v30, v30, v37
	v_fmac_f32_e32 v31, v23, v97
	v_add_f32_e32 v30, v30, v31
	s_waitcnt vmcnt(37)
	v_mul_f32_e32 v31, v24, v100
	v_fmac_f32_e32 v31, v25, v96
	v_add_f32_e32 v30, v30, v31
	s_waitcnt vmcnt(36) lgkmcnt(0)
	v_mul_f32_e32 v31, v26, v101
	v_fmac_f32_e32 v31, v27, v95
	v_add_f32_e32 v34, v30, v31
	ds_read_b128 v[30:33], v4 offset:800
	s_waitcnt vmcnt(32)
	v_mul_f32_e32 v35, v28, v105
	s_waitcnt vmcnt(31)
	v_fmac_f32_e32 v35, v29, v106
	v_add_f32_e32 v38, v34, v35
	ds_read_b128 v[34:37], v4 offset:816
	s_waitcnt vmcnt(30) lgkmcnt(1)
	v_mul_f32_e32 v39, v30, v107
	v_fmac_f32_e32 v39, v31, v104
	v_add_f32_e32 v38, v38, v39
	s_waitcnt vmcnt(29)
	v_mul_f32_e32 v39, v32, v110
	v_fmac_f32_e32 v39, v33, v103
	v_add_f32_e32 v38, v38, v39
	s_waitcnt vmcnt(28) lgkmcnt(0)
	v_mul_f32_e32 v39, v34, v111
	v_fmac_f32_e32 v39, v35, v102
	v_add_f32_e32 v42, v38, v39
	ds_read_b128 v[38:41], v4 offset:832
	s_waitcnt vmcnt(21)
	v_mul_f32_e32 v43, v36, v118
	s_waitcnt vmcnt(20)
	v_fmac_f32_e32 v43, v37, v119
	v_add_f32_e32 v46, v42, v43
	ds_read_b128 v[42:45], v4 offset:848
	s_waitcnt lgkmcnt(1)
	v_mul_f32_e32 v47, v38, v113
	v_fmac_f32_e32 v47, v39, v112
	v_add_f32_e32 v46, v46, v47
	v_mul_f32_e32 v47, v40, v115
	v_fmac_f32_e32 v47, v41, v114
	v_add_f32_e32 v46, v46, v47
	s_waitcnt lgkmcnt(0)
	v_mul_f32_e32 v47, v42, v117
	v_fmac_f32_e32 v47, v43, v116
	v_add_f32_e32 v50, v46, v47
	ds_read_b128 v[46:49], v4 offset:864
	s_waitcnt vmcnt(16)
	v_mul_f32_e32 v51, v44, v121
	v_fmac_f32_e32 v51, v45, v120
	v_add_f32_e32 v54, v50, v51
	ds_read_b128 v[50:53], v4 offset:880
	s_waitcnt vmcnt(14) lgkmcnt(1)
	v_mul_f32_e32 v55, v46, v123
	v_fmac_f32_e32 v55, v47, v122
	v_add_f32_e32 v54, v54, v55
	s_waitcnt vmcnt(12)
	v_mul_f32_e32 v55, v48, v125
	v_fmac_f32_e32 v55, v49, v124
	v_add_f32_e32 v54, v54, v55
	s_waitcnt vmcnt(10) lgkmcnt(0)
	v_mul_f32_e32 v55, v50, v127
	v_fmac_f32_e32 v55, v51, v126
	s_waitcnt vmcnt(8)
	v_mul_f32_e32 v59, v52, v129
	v_add_f32_e32 v58, v54, v55
	v_fmac_f32_e32 v59, v53, v128
	ds_read_b128 v[54:57], v4 offset:896
	v_add_f32_e32 v63, v58, v59
	ds_read_b128 v[58:61], v4 offset:912
	buffer_load_dword v67, off, s[0:3], 0 offset:452
	buffer_load_dword v66, off, s[0:3], 0 offset:448
	;; [unrolled: 1-line block ×16, first 2 shown]
	v_mul_f32_e32 v5, v7, v5
	v_fma_f32 v5, v6, v90, -v5
	v_mul_f32_e32 v6, v9, v62
	v_add_f32_e32 v5, 0, v5
	v_fma_f32 v6, v8, v89, -v6
	v_add_f32_e32 v5, v5, v6
	v_mul_f32_e32 v6, v11, v85
	v_fma_f32 v6, v10, v88, -v6
	v_add_f32_e32 v5, v5, v6
	v_mul_f32_e32 v6, v13, v64
	;; [unrolled: 3-line block ×22, first 2 shown]
	v_fma_f32 v6, v52, v128, -v6
	v_add_f32_e32 v5, v5, v6
	s_waitcnt vmcnt(22) lgkmcnt(1)
	v_mul_f32_e32 v6, v55, v131
	v_fma_f32 v6, v54, v130, -v6
	v_add_f32_e32 v5, v5, v6
	s_waitcnt vmcnt(20)
	v_mul_f32_e32 v6, v57, v133
	v_fma_f32 v6, v56, v132, -v6
	v_add_f32_e32 v62, v5, v6
	ds_read_b128 v[6:9], v4 offset:928
	ds_read_b128 v[10:13], v4 offset:944
	ds_read_b128 v[14:17], v4 offset:960
	ds_read_b128 v[18:21], v4 offset:976
	s_waitcnt vmcnt(11)
	v_mov_b32_e32 v22, v71
	v_mul_f32_e32 v65, v54, v131
	s_waitcnt lgkmcnt(3)
	v_pk_mul_f32 v[22:23], v[6:7], v[22:23] op_sel_hi:[1,0]
	v_fmac_f32_e32 v65, v55, v130
	s_waitcnt vmcnt(10)
	v_pk_fma_f32 v[24:25], v[6:7], v[70:71], v[22:23] op_sel:[0,0,1] op_sel_hi:[1,1,0] neg_lo:[0,0,1] neg_hi:[0,0,1]
	v_pk_fma_f32 v[6:7], v[6:7], v[70:71], v[22:23] op_sel:[0,0,1] op_sel_hi:[1,0,0]
	v_add_f32_e32 v63, v63, v65
	v_mul_f32_e32 v65, v56, v133
	v_mov_b32_e32 v6, v69
	v_fmac_f32_e32 v65, v57, v132
	v_mov_b32_e32 v25, v7
	v_pk_mul_f32 v[6:7], v[8:9], v[6:7] op_sel_hi:[1,0]
	v_add_f32_e32 v63, v63, v65
	v_mul_f32_e32 v65, v58, v135
	v_mul_f32_e32 v5, v59, v135
	v_pk_fma_f32 v[22:23], v[8:9], v[68:69], v[6:7] op_sel:[0,0,1] op_sel_hi:[1,1,0] neg_lo:[0,0,1] neg_hi:[0,0,1]
	v_pk_fma_f32 v[6:7], v[8:9], v[68:69], v[6:7] op_sel:[0,0,1] op_sel_hi:[1,0,0]
	v_fmac_f32_e32 v65, v59, v134
	v_mul_f32_e32 v73, v60, v137
	v_fma_f32 v64, v58, v134, -v5
	v_mul_f32_e32 v5, v61, v137
	v_mov_b32_e32 v6, v67
	v_fmac_f32_e32 v73, v61, v136
	v_fma_f32 v72, v60, v136, -v5
	v_pk_add_f32 v[4:5], v[62:63], v[64:65]
	v_mov_b32_e32 v23, v7
	s_waitcnt lgkmcnt(2)
	v_pk_mul_f32 v[6:7], v[10:11], v[6:7] op_sel_hi:[1,0]
	v_pk_add_f32 v[4:5], v[4:5], v[72:73]
	v_pk_fma_f32 v[8:9], v[10:11], v[66:67], v[6:7] op_sel:[0,0,1] op_sel_hi:[1,1,0] neg_lo:[0,0,1] neg_hi:[0,0,1]
	v_pk_fma_f32 v[6:7], v[10:11], v[66:67], v[6:7] op_sel:[0,0,1] op_sel_hi:[1,0,0]
	v_pk_add_f32 v[4:5], v[4:5], v[24:25]
	s_waitcnt vmcnt(3)
	v_mov_b32_e32 v6, v81
	v_pk_add_f32 v[4:5], v[4:5], v[22:23]
	v_mov_b32_e32 v9, v7
	v_pk_mul_f32 v[6:7], v[12:13], v[6:7] op_sel_hi:[1,0]
	v_pk_add_f32 v[4:5], v[4:5], v[8:9]
	s_waitcnt vmcnt(2)
	v_pk_fma_f32 v[8:9], v[12:13], v[80:81], v[6:7] op_sel:[0,0,1] op_sel_hi:[1,1,0] neg_lo:[0,0,1] neg_hi:[0,0,1]
	v_pk_fma_f32 v[6:7], v[12:13], v[80:81], v[6:7] op_sel:[0,0,1] op_sel_hi:[1,0,0]
	v_mov_b32_e32 v6, v79
	v_mov_b32_e32 v9, v7
	s_waitcnt lgkmcnt(1)
	v_pk_mul_f32 v[6:7], v[14:15], v[6:7] op_sel_hi:[1,0]
	v_pk_add_f32 v[4:5], v[4:5], v[8:9]
	v_pk_fma_f32 v[8:9], v[14:15], v[78:79], v[6:7] op_sel:[0,0,1] op_sel_hi:[1,1,0] neg_lo:[0,0,1] neg_hi:[0,0,1]
	v_pk_fma_f32 v[6:7], v[14:15], v[78:79], v[6:7] op_sel:[0,0,1] op_sel_hi:[1,0,0]
	v_mov_b32_e32 v6, v77
	v_mov_b32_e32 v9, v7
	v_pk_mul_f32 v[6:7], v[16:17], v[6:7] op_sel_hi:[1,0]
	v_pk_add_f32 v[4:5], v[4:5], v[8:9]
	v_pk_fma_f32 v[8:9], v[16:17], v[76:77], v[6:7] op_sel:[0,0,1] op_sel_hi:[1,1,0] neg_lo:[0,0,1] neg_hi:[0,0,1]
	v_pk_fma_f32 v[6:7], v[16:17], v[76:77], v[6:7] op_sel:[0,0,1] op_sel_hi:[1,0,0]
	v_mov_b32_e32 v6, v75
	v_mov_b32_e32 v9, v7
	s_waitcnt lgkmcnt(0)
	v_pk_mul_f32 v[6:7], v[18:19], v[6:7] op_sel_hi:[1,0]
	v_pk_add_f32 v[4:5], v[4:5], v[8:9]
	v_pk_fma_f32 v[8:9], v[18:19], v[74:75], v[6:7] op_sel:[0,0,1] op_sel_hi:[1,1,0] neg_lo:[0,0,1] neg_hi:[0,0,1]
	v_pk_fma_f32 v[6:7], v[18:19], v[74:75], v[6:7] op_sel:[0,0,1] op_sel_hi:[1,0,0]
	s_waitcnt vmcnt(1)
	v_mov_b32_e32 v6, v83
	v_mov_b32_e32 v9, v7
	v_pk_mul_f32 v[6:7], v[20:21], v[6:7] op_sel_hi:[1,0]
	v_pk_add_f32 v[4:5], v[4:5], v[8:9]
	s_waitcnt vmcnt(0)
	v_pk_fma_f32 v[8:9], v[20:21], v[82:83], v[6:7] op_sel:[0,0,1] op_sel_hi:[1,1,0] neg_lo:[0,0,1] neg_hi:[0,0,1]
	v_pk_fma_f32 v[6:7], v[20:21], v[82:83], v[6:7] op_sel:[0,0,1] op_sel_hi:[1,0,0]
	v_mov_b32_e32 v9, v7
	v_pk_add_f32 v[4:5], v[4:5], v[8:9]
	v_pk_add_f32 v[2:3], v[2:3], v[4:5] neg_lo:[0,1] neg_hi:[0,1]
	buffer_store_dword v3, off, s[0:3], 0 offset:204
	buffer_store_dword v2, off, s[0:3], 0 offset:200
	s_and_saveexec_b64 s[4:5], vcc
	s_cbranch_execz .LBB125_337
; %bb.336:
	buffer_load_dword v2, off, s[0:3], 0 offset:192
	buffer_load_dword v3, off, s[0:3], 0 offset:196
	v_mov_b32_e32 v4, 0
	buffer_store_dword v4, off, s[0:3], 0 offset:192
	buffer_store_dword v4, off, s[0:3], 0 offset:196
	s_waitcnt vmcnt(2)
	ds_write_b64 v210, v[2:3]
.LBB125_337:
	s_or_b64 exec, exec, s[4:5]
	v_mov_b32_e32 v86, 0
	s_waitcnt lgkmcnt(0)
	; wave barrier
	s_waitcnt lgkmcnt(0)
	ds_read2_b64 v[2:5], v86 offset0:87 offset1:88
	buffer_load_dword v62, off, s[0:3], 0 offset:192
	buffer_load_dword v63, off, s[0:3], 0 offset:196
	;; [unrolled: 1-line block ×16, first 2 shown]
	ds_read2_b64 v[10:13], v86 offset0:89 offset1:90
	ds_read2_b64 v[14:17], v86 offset0:91 offset1:92
	ds_read2_b64 v[18:21], v86 offset0:93 offset1:94
	buffer_load_dword v98, off, s[0:3], 0 offset:256
	buffer_load_dword v99, off, s[0:3], 0 offset:260
	ds_read2_b64 v[22:25], v86 offset0:95 offset1:96
	buffer_load_dword v100, off, s[0:3], 0 offset:264
	buffer_load_dword v101, off, s[0:3], 0 offset:268
	buffer_load_dword v102, off, s[0:3], 0 offset:272
	buffer_load_dword v103, off, s[0:3], 0 offset:276
	ds_read2_b64 v[26:29], v86 offset0:97 offset1:98
	buffer_load_dword v104, off, s[0:3], 0 offset:280
	buffer_load_dword v105, off, s[0:3], 0 offset:284
	;; [unrolled: 5-line block ×10, first 2 shown]
	buffer_load_dword v140, off, s[0:3], 0 offset:416
	buffer_load_dword v141, off, s[0:3], 0 offset:420
	v_cmp_lt_u32_e32 vcc, 23, v0
	s_waitcnt vmcnt(54) lgkmcnt(13)
	v_mul_f32_e32 v6, v2, v87
	v_fmac_f32_e32 v6, v3, v64
	s_waitcnt vmcnt(52)
	v_mul_f32_e32 v7, v4, v89
	v_add_f32_e32 v6, 0, v6
	v_fmac_f32_e32 v7, v5, v66
	v_add_f32_e32 v6, v6, v7
	s_waitcnt vmcnt(50) lgkmcnt(12)
	v_mul_f32_e32 v7, v10, v91
	v_fmac_f32_e32 v7, v11, v70
	v_add_f32_e32 v6, v6, v7
	s_waitcnt vmcnt(48)
	v_mul_f32_e32 v7, v12, v93
	v_fmac_f32_e32 v7, v13, v88
	v_add_f32_e32 v6, v6, v7
	s_waitcnt vmcnt(46) lgkmcnt(11)
	v_mul_f32_e32 v7, v14, v95
	v_fmac_f32_e32 v7, v15, v90
	v_add_f32_e32 v6, v6, v7
	s_waitcnt vmcnt(44)
	v_mul_f32_e32 v7, v16, v96
	;; [unrolled: 8-line block ×12, first 2 shown]
	v_fmac_f32_e32 v7, v57, v136
	v_add_f32_e32 v6, v6, v7
	s_waitcnt vmcnt(2) lgkmcnt(0)
	v_mul_f32_e32 v7, v58, v139
	v_fmac_f32_e32 v7, v59, v138
	v_add_f32_e32 v65, v6, v7
	ds_read2_b64 v[6:9], v86 offset0:115 offset1:116
	buffer_load_dword v142, off, s[0:3], 0 offset:424
	buffer_load_dword v143, off, s[0:3], 0 offset:428
	;; [unrolled: 1-line block ×18, first 2 shown]
	v_mul_f32_e32 v3, v3, v87
	v_fma_f32 v2, v2, v64, -v3
	v_mul_f32_e32 v3, v5, v89
	v_add_f32_e32 v2, 0, v2
	v_fma_f32 v3, v4, v66, -v3
	v_add_f32_e32 v2, v2, v3
	v_mul_f32_e32 v3, v11, v91
	v_fma_f32 v3, v10, v70, -v3
	v_add_f32_e32 v2, v2, v3
	v_mul_f32_e32 v3, v13, v93
	;; [unrolled: 3-line block ×25, first 2 shown]
	v_fma_f32 v3, v58, v138, -v3
	s_waitcnt vmcnt(18)
	v_mul_f32_e32 v67, v60, v141
	v_add_f32_e32 v64, v2, v3
	v_mul_f32_e32 v2, v61, v141
	s_waitcnt vmcnt(15)
	v_mov_b32_e32 v20, v69
	v_fmac_f32_e32 v67, v61, v140
	s_waitcnt lgkmcnt(0)
	v_mul_f32_e32 v71, v6, v143
	v_fma_f32 v66, v60, v140, -v2
	v_mul_f32_e32 v2, v7, v143
	v_pk_mul_f32 v[20:21], v[8:9], v[20:21] op_sel_hi:[1,0]
	v_fmac_f32_e32 v71, v7, v142
	v_fma_f32 v70, v6, v142, -v2
	v_pk_add_f32 v[18:19], v[64:65], v[66:67]
	s_waitcnt vmcnt(14)
	v_pk_fma_f32 v[22:23], v[8:9], v[68:69], v[20:21] op_sel:[0,0,1] op_sel_hi:[1,1,0] neg_lo:[0,0,1] neg_hi:[0,0,1]
	v_pk_fma_f32 v[8:9], v[8:9], v[68:69], v[20:21] op_sel:[0,0,1] op_sel_hi:[1,0,0]
	ds_read2_b64 v[2:5], v86 offset0:117 offset1:118
	ds_read2_b64 v[10:13], v86 offset0:119 offset1:120
	;; [unrolled: 1-line block ×3, first 2 shown]
	ds_read_b64 v[6:7], v86 offset:984
	v_pk_add_f32 v[18:19], v[18:19], v[70:71]
	v_mov_b32_e32 v23, v9
	v_pk_add_f32 v[8:9], v[18:19], v[22:23]
	s_waitcnt vmcnt(13)
	v_mov_b32_e32 v18, v85
	s_waitcnt lgkmcnt(3)
	v_pk_mul_f32 v[18:19], v[2:3], v[18:19] op_sel_hi:[1,0]
	s_waitcnt vmcnt(12)
	v_pk_fma_f32 v[20:21], v[2:3], v[84:85], v[18:19] op_sel:[0,0,1] op_sel_hi:[1,1,0] neg_lo:[0,0,1] neg_hi:[0,0,1]
	v_pk_fma_f32 v[2:3], v[2:3], v[84:85], v[18:19] op_sel:[0,0,1] op_sel_hi:[1,0,0]
	v_mov_b32_e32 v21, v3
	v_pk_add_f32 v[2:3], v[8:9], v[20:21]
	s_waitcnt vmcnt(11)
	v_mov_b32_e32 v8, v83
	v_pk_mul_f32 v[8:9], v[4:5], v[8:9] op_sel_hi:[1,0]
	s_waitcnt vmcnt(10)
	v_pk_fma_f32 v[18:19], v[4:5], v[82:83], v[8:9] op_sel:[0,0,1] op_sel_hi:[1,1,0] neg_lo:[0,0,1] neg_hi:[0,0,1]
	v_pk_fma_f32 v[4:5], v[4:5], v[82:83], v[8:9] op_sel:[0,0,1] op_sel_hi:[1,0,0]
	s_waitcnt vmcnt(9)
	v_mov_b32_e32 v4, v81
	v_mov_b32_e32 v19, v5
	s_waitcnt lgkmcnt(2)
	v_pk_mul_f32 v[4:5], v[10:11], v[4:5] op_sel_hi:[1,0]
	s_waitcnt vmcnt(8)
	v_pk_fma_f32 v[8:9], v[10:11], v[80:81], v[4:5] op_sel:[0,0,1] op_sel_hi:[1,1,0] neg_lo:[0,0,1] neg_hi:[0,0,1]
	v_pk_fma_f32 v[4:5], v[10:11], v[80:81], v[4:5] op_sel:[0,0,1] op_sel_hi:[1,0,0]
	s_waitcnt vmcnt(7)
	v_mov_b32_e32 v4, v79
	v_pk_add_f32 v[2:3], v[2:3], v[18:19]
	v_mov_b32_e32 v9, v5
	v_pk_mul_f32 v[4:5], v[12:13], v[4:5] op_sel_hi:[1,0]
	v_pk_add_f32 v[2:3], v[2:3], v[8:9]
	s_waitcnt vmcnt(6)
	v_pk_fma_f32 v[8:9], v[12:13], v[78:79], v[4:5] op_sel:[0,0,1] op_sel_hi:[1,1,0] neg_lo:[0,0,1] neg_hi:[0,0,1]
	v_pk_fma_f32 v[4:5], v[12:13], v[78:79], v[4:5] op_sel:[0,0,1] op_sel_hi:[1,0,0]
	s_waitcnt vmcnt(5)
	v_mov_b32_e32 v4, v77
	v_mov_b32_e32 v9, v5
	s_waitcnt lgkmcnt(1)
	v_pk_mul_f32 v[4:5], v[14:15], v[4:5] op_sel_hi:[1,0]
	v_pk_add_f32 v[2:3], v[2:3], v[8:9]
	s_waitcnt vmcnt(4)
	v_pk_fma_f32 v[8:9], v[14:15], v[76:77], v[4:5] op_sel:[0,0,1] op_sel_hi:[1,1,0] neg_lo:[0,0,1] neg_hi:[0,0,1]
	v_pk_fma_f32 v[4:5], v[14:15], v[76:77], v[4:5] op_sel:[0,0,1] op_sel_hi:[1,0,0]
	s_waitcnt vmcnt(3)
	v_mov_b32_e32 v4, v75
	v_mov_b32_e32 v9, v5
	v_pk_mul_f32 v[4:5], v[16:17], v[4:5] op_sel_hi:[1,0]
	v_pk_add_f32 v[2:3], v[2:3], v[8:9]
	s_waitcnt vmcnt(2)
	v_pk_fma_f32 v[8:9], v[16:17], v[74:75], v[4:5] op_sel:[0,0,1] op_sel_hi:[1,1,0] neg_lo:[0,0,1] neg_hi:[0,0,1]
	v_pk_fma_f32 v[4:5], v[16:17], v[74:75], v[4:5] op_sel:[0,0,1] op_sel_hi:[1,0,0]
	s_waitcnt vmcnt(1)
	v_mov_b32_e32 v4, v73
	v_mov_b32_e32 v9, v5
	s_waitcnt lgkmcnt(0)
	v_pk_mul_f32 v[4:5], v[6:7], v[4:5] op_sel_hi:[1,0]
	v_pk_add_f32 v[2:3], v[2:3], v[8:9]
	s_waitcnt vmcnt(0)
	v_pk_fma_f32 v[8:9], v[6:7], v[72:73], v[4:5] op_sel:[0,0,1] op_sel_hi:[1,1,0] neg_lo:[0,0,1] neg_hi:[0,0,1]
	v_pk_fma_f32 v[4:5], v[6:7], v[72:73], v[4:5] op_sel:[0,0,1] op_sel_hi:[1,0,0]
	v_mov_b32_e32 v9, v5
	v_pk_add_f32 v[2:3], v[2:3], v[8:9]
	v_pk_add_f32 v[2:3], v[62:63], v[2:3] neg_lo:[0,1] neg_hi:[0,1]
	buffer_store_dword v3, off, s[0:3], 0 offset:196
	buffer_store_dword v2, off, s[0:3], 0 offset:192
	s_and_saveexec_b64 s[4:5], vcc
	s_cbranch_execz .LBB125_339
; %bb.338:
	buffer_load_dword v2, off, s[0:3], 0 offset:184
	buffer_load_dword v3, off, s[0:3], 0 offset:188
	s_waitcnt vmcnt(0)
	ds_write_b64 v210, v[2:3]
	buffer_store_dword v86, off, s[0:3], 0 offset:184
	buffer_store_dword v86, off, s[0:3], 0 offset:188
.LBB125_339:
	s_or_b64 exec, exec, s[4:5]
	s_waitcnt lgkmcnt(0)
	; wave barrier
	s_waitcnt lgkmcnt(0)
	buffer_load_dword v70, off, s[0:3], 0 offset:196
	buffer_load_dword v72, off, s[0:3], 0 offset:204
	;; [unrolled: 1-line block ×32, first 2 shown]
	ds_read_b128 v[16:19], v86 offset:688
	ds_read_b128 v[6:9], v86 offset:704
	buffer_load_dword v120, off, s[0:3], 0 offset:312
	buffer_load_dword v121, off, s[0:3], 0 offset:316
	ds_read_b128 v[10:13], v86 offset:720
	ds_read_b128 v[2:5], v86 offset:736
	buffer_load_dword v122, off, s[0:3], 0 offset:320
	buffer_load_dword v123, off, s[0:3], 0 offset:324
	;; [unrolled: 1-line block ×28, first 2 shown]
	v_cmp_lt_u32_e32 vcc, 22, v0
	s_waitcnt vmcnt(61) lgkmcnt(3)
	v_mul_f32_e32 v20, v16, v70
	s_waitcnt vmcnt(60)
	v_mul_f32_e32 v21, v18, v72
	s_waitcnt vmcnt(59) lgkmcnt(2)
	v_mul_f32_e32 v23, v8, v74
	s_waitcnt vmcnt(58) lgkmcnt(1)
	v_mul_f32_e32 v24, v10, v87
	s_waitcnt vmcnt(57)
	v_mul_f32_e32 v25, v12, v92
	s_waitcnt vmcnt(56)
	;; [unrolled: 2-line block ×3, first 2 shown]
	v_fmac_f32_e32 v22, v7, v94
	s_waitcnt vmcnt(54)
	v_fmac_f32_e32 v21, v19, v95
	s_waitcnt vmcnt(53)
	v_fmac_f32_e32 v20, v17, v96
	v_add_f32_e32 v20, 0, v20
	v_add_f32_e32 v20, v20, v21
	;; [unrolled: 1-line block ×3, first 2 shown]
	s_waitcnt vmcnt(49)
	v_fmac_f32_e32 v24, v11, v100
	s_waitcnt vmcnt(48)
	v_fmac_f32_e32 v23, v9, v101
	v_add_f32_e32 v20, v20, v23
	s_waitcnt lgkmcnt(0)
	v_mul_f32_e32 v26, v2, v97
	v_fmac_f32_e32 v25, v13, v99
	v_add_f32_e32 v20, v20, v24
	v_fmac_f32_e32 v26, v3, v98
	v_add_f32_e32 v20, v20, v25
	v_add_f32_e32 v24, v20, v26
	ds_read_b128 v[20:23], v86 offset:752
	s_waitcnt vmcnt(44)
	v_mul_f32_e32 v25, v4, v105
	s_waitcnt vmcnt(43)
	v_fmac_f32_e32 v25, v5, v106
	v_add_f32_e32 v28, v24, v25
	ds_read_b128 v[24:27], v86 offset:768
	s_waitcnt vmcnt(42) lgkmcnt(1)
	v_mul_f32_e32 v29, v20, v107
	v_fmac_f32_e32 v29, v21, v104
	v_add_f32_e32 v28, v28, v29
	s_waitcnt vmcnt(41)
	v_mul_f32_e32 v29, v22, v110
	v_fmac_f32_e32 v29, v23, v103
	v_add_f32_e32 v28, v28, v29
	s_waitcnt vmcnt(40) lgkmcnt(0)
	v_mul_f32_e32 v29, v24, v111
	v_fmac_f32_e32 v29, v25, v102
	v_add_f32_e32 v32, v28, v29
	ds_read_b128 v[28:31], v86 offset:784
	s_waitcnt vmcnt(34)
	v_mul_f32_e32 v33, v26, v117
	s_waitcnt vmcnt(33)
	v_fmac_f32_e32 v33, v27, v118
	v_add_f32_e32 v36, v32, v33
	ds_read_b128 v[32:35], v86 offset:800
	s_waitcnt vmcnt(32) lgkmcnt(1)
	v_mul_f32_e32 v37, v28, v119
	v_fmac_f32_e32 v37, v29, v116
	v_add_f32_e32 v36, v36, v37
	v_mul_f32_e32 v37, v30, v113
	v_fmac_f32_e32 v37, v31, v112
	v_add_f32_e32 v36, v36, v37
	s_waitcnt lgkmcnt(0)
	v_mul_f32_e32 v37, v32, v115
	v_fmac_f32_e32 v37, v33, v114
	v_add_f32_e32 v40, v36, v37
	ds_read_b128 v[36:39], v86 offset:816
	s_waitcnt vmcnt(28)
	v_mul_f32_e32 v41, v34, v121
	v_fmac_f32_e32 v41, v35, v120
	v_add_f32_e32 v44, v40, v41
	ds_read_b128 v[40:43], v86 offset:832
	s_waitcnt vmcnt(26) lgkmcnt(1)
	v_mul_f32_e32 v45, v36, v123
	v_fmac_f32_e32 v45, v37, v122
	v_add_f32_e32 v44, v44, v45
	s_waitcnt vmcnt(24)
	v_mul_f32_e32 v45, v38, v125
	v_fmac_f32_e32 v45, v39, v124
	v_add_f32_e32 v44, v44, v45
	s_waitcnt vmcnt(22) lgkmcnt(0)
	v_mul_f32_e32 v45, v40, v127
	v_fmac_f32_e32 v45, v41, v126
	v_add_f32_e32 v48, v44, v45
	ds_read_b128 v[44:47], v86 offset:848
	s_waitcnt vmcnt(20)
	v_mul_f32_e32 v49, v42, v129
	v_fmac_f32_e32 v49, v43, v128
	v_add_f32_e32 v52, v48, v49
	ds_read_b128 v[48:51], v86 offset:864
	s_waitcnt vmcnt(18) lgkmcnt(1)
	v_mul_f32_e32 v53, v44, v131
	v_fmac_f32_e32 v53, v45, v130
	v_add_f32_e32 v52, v52, v53
	s_waitcnt vmcnt(16)
	v_mul_f32_e32 v53, v46, v133
	v_fmac_f32_e32 v53, v47, v132
	v_add_f32_e32 v52, v52, v53
	s_waitcnt vmcnt(14) lgkmcnt(0)
	v_mul_f32_e32 v53, v48, v135
	v_fmac_f32_e32 v53, v49, v134
	v_add_f32_e32 v56, v52, v53
	ds_read_b128 v[52:55], v86 offset:880
	s_waitcnt vmcnt(12)
	v_mul_f32_e32 v57, v50, v137
	v_fmac_f32_e32 v57, v51, v136
	v_add_f32_e32 v60, v56, v57
	ds_read_b128 v[56:59], v86 offset:896
	buffer_load_dword v69, off, s[0:3], 0 offset:436
	buffer_load_dword v68, off, s[0:3], 0 offset:432
	s_waitcnt vmcnt(12) lgkmcnt(1)
	v_mul_f32_e32 v61, v52, v139
	v_fmac_f32_e32 v61, v53, v138
	v_add_f32_e32 v60, v60, v61
	s_waitcnt vmcnt(10)
	v_mul_f32_e32 v61, v54, v141
	v_fmac_f32_e32 v61, v55, v140
	v_add_f32_e32 v60, v60, v61
	s_waitcnt vmcnt(8) lgkmcnt(0)
	v_mul_f32_e32 v61, v56, v143
	v_fmac_f32_e32 v61, v57, v142
	s_waitcnt vmcnt(6)
	v_mul_f32_e32 v65, v58, v145
	v_add_f32_e32 v64, v60, v61
	v_fmac_f32_e32 v65, v59, v144
	ds_read_b128 v[60:63], v86 offset:912
	v_add_f32_e32 v71, v64, v65
	ds_read_b128 v[64:67], v86 offset:928
	buffer_load_dword v77, off, s[0:3], 0 offset:468
	buffer_load_dword v76, off, s[0:3], 0 offset:464
	;; [unrolled: 1-line block ×14, first 2 shown]
	v_mul_f32_e32 v17, v17, v70
	v_fma_f32 v16, v16, v96, -v17
	v_mul_f32_e32 v17, v19, v72
	v_add_f32_e32 v16, 0, v16
	v_fma_f32 v17, v18, v95, -v17
	v_mul_f32_e32 v7, v7, v93
	v_add_f32_e32 v16, v16, v17
	;; [unrolled: 3-line block ×3, first 2 shown]
	v_fma_f32 v7, v8, v101, -v7
	v_add_f32_e32 v6, v6, v7
	v_mul_f32_e32 v7, v11, v87
	v_fma_f32 v7, v10, v100, -v7
	v_add_f32_e32 v6, v6, v7
	v_mul_f32_e32 v7, v13, v92
	v_fma_f32 v7, v12, v99, -v7
	v_mul_f32_e32 v3, v3, v97
	v_add_f32_e32 v6, v6, v7
	v_fma_f32 v2, v2, v98, -v3
	v_mul_f32_e32 v3, v5, v105
	v_add_f32_e32 v2, v6, v2
	v_fma_f32 v3, v4, v106, -v3
	v_add_f32_e32 v2, v2, v3
	v_mul_f32_e32 v3, v21, v107
	v_fma_f32 v3, v20, v104, -v3
	v_add_f32_e32 v2, v2, v3
	v_mul_f32_e32 v3, v23, v110
	;; [unrolled: 3-line block ×20, first 2 shown]
	v_fma_f32 v3, v58, v144, -v3
	s_waitcnt vmcnt(15)
	v_mov_b32_e32 v18, v69
	s_waitcnt lgkmcnt(1)
	v_mul_f32_e32 v73, v60, v147
	v_add_f32_e32 v70, v2, v3
	v_mul_f32_e32 v2, v61, v147
	s_waitcnt lgkmcnt(0)
	v_pk_mul_f32 v[18:19], v[64:65], v[18:19] op_sel_hi:[1,0]
	v_fmac_f32_e32 v73, v61, v146
	v_mul_f32_e32 v75, v62, v149
	v_fma_f32 v72, v60, v146, -v2
	v_mul_f32_e32 v2, v63, v149
	s_waitcnt vmcnt(14)
	v_pk_fma_f32 v[20:21], v[64:65], v[68:69], v[18:19] op_sel:[0,0,1] op_sel_hi:[1,1,0] neg_lo:[0,0,1] neg_hi:[0,0,1]
	v_pk_fma_f32 v[18:19], v[64:65], v[68:69], v[18:19] op_sel:[0,0,1] op_sel_hi:[1,0,0]
	v_fmac_f32_e32 v75, v63, v148
	v_fma_f32 v74, v62, v148, -v2
	v_pk_add_f32 v[16:17], v[70:71], v[72:73]
	s_waitcnt vmcnt(7)
	v_mov_b32_e32 v18, v83
	ds_read_b128 v[2:5], v86 offset:944
	ds_read_b128 v[6:9], v86 offset:960
	;; [unrolled: 1-line block ×3, first 2 shown]
	v_pk_add_f32 v[16:17], v[16:17], v[74:75]
	v_mov_b32_e32 v21, v19
	v_pk_mul_f32 v[18:19], v[66:67], v[18:19] op_sel_hi:[1,0]
	v_pk_add_f32 v[16:17], v[16:17], v[20:21]
	s_waitcnt vmcnt(6)
	v_pk_fma_f32 v[20:21], v[66:67], v[82:83], v[18:19] op_sel:[0,0,1] op_sel_hi:[1,1,0] neg_lo:[0,0,1] neg_hi:[0,0,1]
	v_pk_fma_f32 v[18:19], v[66:67], v[82:83], v[18:19] op_sel:[0,0,1] op_sel_hi:[1,0,0]
	v_mov_b32_e32 v18, v81
	v_mov_b32_e32 v21, v19
	s_waitcnt lgkmcnt(2)
	v_pk_mul_f32 v[18:19], v[2:3], v[18:19] op_sel_hi:[1,0]
	v_pk_add_f32 v[16:17], v[16:17], v[20:21]
	v_pk_fma_f32 v[20:21], v[2:3], v[80:81], v[18:19] op_sel:[0,0,1] op_sel_hi:[1,1,0] neg_lo:[0,0,1] neg_hi:[0,0,1]
	v_pk_fma_f32 v[2:3], v[2:3], v[80:81], v[18:19] op_sel:[0,0,1] op_sel_hi:[1,0,0]
	v_mov_b32_e32 v21, v3
	v_pk_add_f32 v[2:3], v[16:17], v[20:21]
	v_mov_b32_e32 v16, v79
	v_pk_mul_f32 v[16:17], v[4:5], v[16:17] op_sel_hi:[1,0]
	v_pk_fma_f32 v[18:19], v[4:5], v[78:79], v[16:17] op_sel:[0,0,1] op_sel_hi:[1,1,0] neg_lo:[0,0,1] neg_hi:[0,0,1]
	v_pk_fma_f32 v[4:5], v[4:5], v[78:79], v[16:17] op_sel:[0,0,1] op_sel_hi:[1,0,0]
	v_mov_b32_e32 v4, v77
	v_mov_b32_e32 v19, v5
	s_waitcnt lgkmcnt(1)
	v_pk_mul_f32 v[4:5], v[6:7], v[4:5] op_sel_hi:[1,0]
	v_pk_fma_f32 v[16:17], v[6:7], v[76:77], v[4:5] op_sel:[0,0,1] op_sel_hi:[1,1,0] neg_lo:[0,0,1] neg_hi:[0,0,1]
	v_pk_fma_f32 v[4:5], v[6:7], v[76:77], v[4:5] op_sel:[0,0,1] op_sel_hi:[1,0,0]
	s_waitcnt vmcnt(1)
	v_mov_b32_e32 v4, v91
	v_mov_b32_e32 v17, v5
	v_pk_mul_f32 v[4:5], v[8:9], v[4:5] op_sel_hi:[1,0]
	s_waitcnt vmcnt(0)
	v_pk_fma_f32 v[6:7], v[8:9], v[90:91], v[4:5] op_sel:[0,0,1] op_sel_hi:[1,1,0] neg_lo:[0,0,1] neg_hi:[0,0,1]
	v_pk_fma_f32 v[4:5], v[8:9], v[90:91], v[4:5] op_sel:[0,0,1] op_sel_hi:[1,0,0]
	v_pk_add_f32 v[2:3], v[2:3], v[18:19]
	v_mov_b32_e32 v4, v89
	v_pk_add_f32 v[2:3], v[2:3], v[16:17]
	v_mov_b32_e32 v7, v5
	s_waitcnt lgkmcnt(0)
	v_pk_mul_f32 v[4:5], v[10:11], v[4:5] op_sel_hi:[1,0]
	v_pk_add_f32 v[2:3], v[2:3], v[6:7]
	v_pk_fma_f32 v[6:7], v[10:11], v[88:89], v[4:5] op_sel:[0,0,1] op_sel_hi:[1,1,0] neg_lo:[0,0,1] neg_hi:[0,0,1]
	v_pk_fma_f32 v[4:5], v[10:11], v[88:89], v[4:5] op_sel:[0,0,1] op_sel_hi:[1,0,0]
	v_mov_b32_e32 v4, v85
	v_mov_b32_e32 v7, v5
	v_pk_mul_f32 v[4:5], v[12:13], v[4:5] op_sel_hi:[1,0]
	v_pk_add_f32 v[2:3], v[2:3], v[6:7]
	v_pk_fma_f32 v[6:7], v[12:13], v[84:85], v[4:5] op_sel:[0,0,1] op_sel_hi:[1,1,0] neg_lo:[0,0,1] neg_hi:[0,0,1]
	v_pk_fma_f32 v[4:5], v[12:13], v[84:85], v[4:5] op_sel:[0,0,1] op_sel_hi:[1,0,0]
	v_mov_b32_e32 v7, v5
	v_pk_add_f32 v[2:3], v[2:3], v[6:7]
	v_pk_add_f32 v[2:3], v[14:15], v[2:3] neg_lo:[0,1] neg_hi:[0,1]
	buffer_store_dword v3, off, s[0:3], 0 offset:188
	buffer_store_dword v2, off, s[0:3], 0 offset:184
	s_and_saveexec_b64 s[4:5], vcc
	s_cbranch_execz .LBB125_341
; %bb.340:
	buffer_load_dword v2, off, s[0:3], 0 offset:176
	buffer_load_dword v3, off, s[0:3], 0 offset:180
	v_mov_b32_e32 v4, 0
	buffer_store_dword v4, off, s[0:3], 0 offset:176
	buffer_store_dword v4, off, s[0:3], 0 offset:180
	s_waitcnt vmcnt(2)
	ds_write_b64 v210, v[2:3]
.LBB125_341:
	s_or_b64 exec, exec, s[4:5]
	s_waitcnt lgkmcnt(0)
	; wave barrier
	s_waitcnt lgkmcnt(0)
	buffer_load_dword v21, off, s[0:3], 0 offset:188
	buffer_load_dword v70, off, s[0:3], 0 offset:196
	;; [unrolled: 1-line block ×48, first 2 shown]
	v_mov_b32_e32 v20, 0
	ds_read2_b64 v[2:5], v20 offset0:85 offset1:86
	buffer_load_dword v136, off, s[0:3], 0 offset:368
	buffer_load_dword v137, off, s[0:3], 0 offset:372
	;; [unrolled: 1-line block ×8, first 2 shown]
	ds_read2_b64 v[8:11], v20 offset0:87 offset1:88
	ds_read2_b64 v[12:15], v20 offset0:89 offset1:90
	;; [unrolled: 1-line block ×3, first 2 shown]
	buffer_load_dword v144, off, s[0:3], 0 offset:400
	buffer_load_dword v145, off, s[0:3], 0 offset:404
	;; [unrolled: 1-line block ×8, first 2 shown]
	v_cmp_lt_u32_e32 vcc, 21, v0
	s_waitcnt vmcnt(62) lgkmcnt(3)
	v_mul_f32_e32 v22, v2, v21
	v_mul_f32_e32 v23, v4, v70
	s_waitcnt vmcnt(61) lgkmcnt(2)
	v_mul_f32_e32 v25, v10, v72
	s_waitcnt vmcnt(60) lgkmcnt(1)
	v_mul_f32_e32 v26, v12, v74
	s_waitcnt vmcnt(59)
	v_mul_f32_e32 v27, v14, v92
	s_waitcnt vmcnt(58)
	;; [unrolled: 2-line block ×3, first 2 shown]
	v_fmac_f32_e32 v24, v9, v94
	s_waitcnt vmcnt(56)
	v_fmac_f32_e32 v23, v5, v95
	s_waitcnt vmcnt(55)
	v_fmac_f32_e32 v22, v3, v96
	v_add_f32_e32 v22, 0, v22
	v_add_f32_e32 v22, v22, v23
	;; [unrolled: 1-line block ×3, first 2 shown]
	s_waitcnt vmcnt(51)
	v_fmac_f32_e32 v26, v13, v100
	s_waitcnt vmcnt(50)
	v_fmac_f32_e32 v25, v11, v101
	v_add_f32_e32 v22, v22, v25
	s_waitcnt lgkmcnt(0)
	v_mul_f32_e32 v28, v16, v97
	v_fmac_f32_e32 v27, v15, v99
	v_add_f32_e32 v22, v22, v26
	v_fmac_f32_e32 v28, v17, v98
	v_add_f32_e32 v22, v22, v27
	v_add_f32_e32 v26, v22, v28
	ds_read2_b64 v[22:25], v20 offset0:93 offset1:94
	s_waitcnt vmcnt(45)
	v_mul_f32_e32 v27, v18, v106
	s_waitcnt vmcnt(44)
	v_fmac_f32_e32 v27, v19, v107
	v_add_f32_e32 v30, v26, v27
	ds_read2_b64 v[26:29], v20 offset0:95 offset1:96
	s_waitcnt vmcnt(43) lgkmcnt(1)
	v_mul_f32_e32 v31, v22, v110
	v_fmac_f32_e32 v31, v23, v105
	v_add_f32_e32 v30, v30, v31
	s_waitcnt vmcnt(42)
	v_mul_f32_e32 v31, v24, v111
	v_fmac_f32_e32 v31, v25, v104
	v_add_f32_e32 v30, v30, v31
	s_waitcnt lgkmcnt(0)
	v_mul_f32_e32 v31, v26, v103
	v_fmac_f32_e32 v31, v27, v102
	v_add_f32_e32 v34, v30, v31
	ds_read2_b64 v[30:33], v20 offset0:97 offset1:98
	s_waitcnt vmcnt(38)
	v_mul_f32_e32 v35, v28, v113
	v_fmac_f32_e32 v35, v29, v112
	v_add_f32_e32 v38, v34, v35
	ds_read2_b64 v[34:37], v20 offset0:99 offset1:100
	s_waitcnt vmcnt(36) lgkmcnt(1)
	v_mul_f32_e32 v39, v30, v115
	v_fmac_f32_e32 v39, v31, v114
	v_add_f32_e32 v38, v38, v39
	s_waitcnt vmcnt(34)
	v_mul_f32_e32 v39, v32, v117
	v_fmac_f32_e32 v39, v33, v116
	v_add_f32_e32 v38, v38, v39
	s_waitcnt vmcnt(32) lgkmcnt(0)
	v_mul_f32_e32 v39, v34, v119
	v_fmac_f32_e32 v39, v35, v118
	v_add_f32_e32 v42, v38, v39
	ds_read2_b64 v[38:41], v20 offset0:101 offset1:102
	s_waitcnt vmcnt(30)
	v_mul_f32_e32 v43, v36, v121
	v_fmac_f32_e32 v43, v37, v120
	v_add_f32_e32 v46, v42, v43
	ds_read2_b64 v[42:45], v20 offset0:103 offset1:104
	s_waitcnt vmcnt(28) lgkmcnt(1)
	v_mul_f32_e32 v47, v38, v123
	v_fmac_f32_e32 v47, v39, v122
	v_add_f32_e32 v46, v46, v47
	s_waitcnt vmcnt(26)
	v_mul_f32_e32 v47, v40, v125
	v_fmac_f32_e32 v47, v41, v124
	v_add_f32_e32 v46, v46, v47
	s_waitcnt vmcnt(24) lgkmcnt(0)
	;; [unrolled: 18-line block ×4, first 2 shown]
	v_mul_f32_e32 v63, v58, v143
	v_fmac_f32_e32 v63, v59, v142
	s_waitcnt vmcnt(6)
	v_mul_f32_e32 v67, v60, v145
	v_add_f32_e32 v66, v62, v63
	v_fmac_f32_e32 v67, v61, v144
	ds_read2_b64 v[62:65], v20 offset0:113 offset1:114
	v_add_f32_e32 v71, v66, v67
	ds_read2_b64 v[66:69], v20 offset0:115 offset1:116
	buffer_load_dword v77, off, s[0:3], 0 offset:460
	buffer_load_dword v76, off, s[0:3], 0 offset:456
	buffer_load_dword v79, off, s[0:3], 0 offset:452
	buffer_load_dword v78, off, s[0:3], 0 offset:448
	buffer_load_dword v81, off, s[0:3], 0 offset:444
	buffer_load_dword v80, off, s[0:3], 0 offset:440
	buffer_load_dword v83, off, s[0:3], 0 offset:436
	buffer_load_dword v82, off, s[0:3], 0 offset:432
	buffer_load_dword v85, off, s[0:3], 0 offset:492
	buffer_load_dword v84, off, s[0:3], 0 offset:488
	buffer_load_dword v87, off, s[0:3], 0 offset:484
	buffer_load_dword v86, off, s[0:3], 0 offset:480
	buffer_load_dword v89, off, s[0:3], 0 offset:476
	buffer_load_dword v88, off, s[0:3], 0 offset:472
	buffer_load_dword v91, off, s[0:3], 0 offset:468
	buffer_load_dword v90, off, s[0:3], 0 offset:464
	v_mul_f32_e32 v3, v3, v21
	v_fma_f32 v2, v2, v96, -v3
	v_mul_f32_e32 v3, v5, v70
	v_add_f32_e32 v2, 0, v2
	v_fma_f32 v3, v4, v95, -v3
	v_add_f32_e32 v2, v2, v3
	v_mul_f32_e32 v3, v9, v93
	v_fma_f32 v3, v8, v94, -v3
	v_add_f32_e32 v2, v2, v3
	v_mul_f32_e32 v3, v11, v72
	v_fma_f32 v3, v10, v101, -v3
	v_add_f32_e32 v2, v2, v3
	v_mul_f32_e32 v3, v13, v74
	v_fma_f32 v3, v12, v100, -v3
	v_add_f32_e32 v2, v2, v3
	v_mul_f32_e32 v3, v15, v92
	v_fma_f32 v3, v14, v99, -v3
	v_add_f32_e32 v2, v2, v3
	v_mul_f32_e32 v3, v17, v97
	v_fma_f32 v3, v16, v98, -v3
	v_add_f32_e32 v2, v2, v3
	v_mul_f32_e32 v3, v19, v106
	v_fma_f32 v3, v18, v107, -v3
	v_add_f32_e32 v2, v2, v3
	v_mul_f32_e32 v3, v23, v110
	v_fma_f32 v3, v22, v105, -v3
	v_add_f32_e32 v2, v2, v3
	v_mul_f32_e32 v3, v25, v111
	v_fma_f32 v3, v24, v104, -v3
	v_add_f32_e32 v2, v2, v3
	v_mul_f32_e32 v3, v27, v103
	v_fma_f32 v3, v26, v102, -v3
	v_add_f32_e32 v2, v2, v3
	v_mul_f32_e32 v3, v29, v113
	v_fma_f32 v3, v28, v112, -v3
	v_add_f32_e32 v2, v2, v3
	v_mul_f32_e32 v3, v31, v115
	v_fma_f32 v3, v30, v114, -v3
	v_add_f32_e32 v2, v2, v3
	v_mul_f32_e32 v3, v33, v117
	v_fma_f32 v3, v32, v116, -v3
	v_add_f32_e32 v2, v2, v3
	v_mul_f32_e32 v3, v35, v119
	v_fma_f32 v3, v34, v118, -v3
	v_add_f32_e32 v2, v2, v3
	v_mul_f32_e32 v3, v37, v121
	v_fma_f32 v3, v36, v120, -v3
	v_add_f32_e32 v2, v2, v3
	v_mul_f32_e32 v3, v39, v123
	v_fma_f32 v3, v38, v122, -v3
	v_add_f32_e32 v2, v2, v3
	v_mul_f32_e32 v3, v41, v125
	v_fma_f32 v3, v40, v124, -v3
	v_add_f32_e32 v2, v2, v3
	v_mul_f32_e32 v3, v43, v127
	v_fma_f32 v3, v42, v126, -v3
	v_add_f32_e32 v2, v2, v3
	v_mul_f32_e32 v3, v45, v129
	v_fma_f32 v3, v44, v128, -v3
	v_add_f32_e32 v2, v2, v3
	v_mul_f32_e32 v3, v47, v131
	v_fma_f32 v3, v46, v130, -v3
	v_add_f32_e32 v2, v2, v3
	v_mul_f32_e32 v3, v49, v133
	v_fma_f32 v3, v48, v132, -v3
	v_add_f32_e32 v2, v2, v3
	v_mul_f32_e32 v3, v51, v135
	v_fma_f32 v3, v50, v134, -v3
	v_add_f32_e32 v2, v2, v3
	v_mul_f32_e32 v3, v53, v137
	v_fma_f32 v3, v52, v136, -v3
	v_add_f32_e32 v2, v2, v3
	v_mul_f32_e32 v3, v55, v139
	v_fma_f32 v3, v54, v138, -v3
	v_add_f32_e32 v2, v2, v3
	v_mul_f32_e32 v3, v57, v141
	v_fma_f32 v3, v56, v140, -v3
	v_add_f32_e32 v2, v2, v3
	v_mul_f32_e32 v3, v59, v143
	v_fma_f32 v3, v58, v142, -v3
	v_add_f32_e32 v2, v2, v3
	v_mul_f32_e32 v3, v61, v145
	v_fma_f32 v3, v60, v144, -v3
	v_add_f32_e32 v2, v2, v3
	s_waitcnt vmcnt(20) lgkmcnt(1)
	v_mul_f32_e32 v3, v63, v147
	v_mul_f32_e32 v73, v62, v147
	v_fma_f32 v3, v62, v146, -v3
	v_fmac_f32_e32 v73, v63, v146
	v_add_f32_e32 v70, v2, v3
	s_waitcnt vmcnt(18)
	v_mul_f32_e32 v2, v65, v149
	s_waitcnt vmcnt(9)
	v_mov_b32_e32 v22, v83
	v_add_f32_e32 v71, v71, v73
	v_mul_f32_e32 v73, v64, v149
	v_fma_f32 v72, v64, v148, -v2
	s_waitcnt lgkmcnt(0)
	v_mul_f32_e32 v2, v67, v151
	v_pk_mul_f32 v[22:23], v[68:69], v[22:23] op_sel_hi:[1,0]
	v_fmac_f32_e32 v73, v65, v148
	v_mul_f32_e32 v75, v66, v151
	v_fma_f32 v74, v66, v150, -v2
	ds_read2_b64 v[2:5], v20 offset0:117 offset1:118
	ds_read2_b64 v[8:11], v20 offset0:119 offset1:120
	;; [unrolled: 1-line block ×3, first 2 shown]
	ds_read_b64 v[16:17], v20 offset:984
	s_waitcnt vmcnt(8)
	v_pk_fma_f32 v[24:25], v[68:69], v[82:83], v[22:23] op_sel:[0,0,1] op_sel_hi:[1,1,0] neg_lo:[0,0,1] neg_hi:[0,0,1]
	v_pk_fma_f32 v[22:23], v[68:69], v[82:83], v[22:23] op_sel:[0,0,1] op_sel_hi:[1,0,0]
	v_fmac_f32_e32 v75, v67, v150
	v_pk_add_f32 v[18:19], v[70:71], v[72:73]
	v_mov_b32_e32 v22, v81
	v_pk_add_f32 v[18:19], v[18:19], v[74:75]
	v_mov_b32_e32 v25, v23
	s_waitcnt lgkmcnt(3)
	v_pk_mul_f32 v[22:23], v[2:3], v[22:23] op_sel_hi:[1,0]
	v_pk_add_f32 v[18:19], v[18:19], v[24:25]
	v_pk_fma_f32 v[24:25], v[2:3], v[80:81], v[22:23] op_sel:[0,0,1] op_sel_hi:[1,1,0] neg_lo:[0,0,1] neg_hi:[0,0,1]
	v_pk_fma_f32 v[2:3], v[2:3], v[80:81], v[22:23] op_sel:[0,0,1] op_sel_hi:[1,0,0]
	v_mov_b32_e32 v25, v3
	v_pk_add_f32 v[2:3], v[18:19], v[24:25]
	v_mov_b32_e32 v18, v79
	v_pk_mul_f32 v[18:19], v[4:5], v[18:19] op_sel_hi:[1,0]
	v_pk_fma_f32 v[22:23], v[4:5], v[78:79], v[18:19] op_sel:[0,0,1] op_sel_hi:[1,1,0] neg_lo:[0,0,1] neg_hi:[0,0,1]
	v_pk_fma_f32 v[4:5], v[4:5], v[78:79], v[18:19] op_sel:[0,0,1] op_sel_hi:[1,0,0]
	v_mov_b32_e32 v4, v77
	v_mov_b32_e32 v23, v5
	s_waitcnt lgkmcnt(2)
	v_pk_mul_f32 v[4:5], v[8:9], v[4:5] op_sel_hi:[1,0]
	v_pk_fma_f32 v[18:19], v[8:9], v[76:77], v[4:5] op_sel:[0,0,1] op_sel_hi:[1,1,0] neg_lo:[0,0,1] neg_hi:[0,0,1]
	v_pk_fma_f32 v[4:5], v[8:9], v[76:77], v[4:5] op_sel:[0,0,1] op_sel_hi:[1,0,0]
	s_waitcnt vmcnt(1)
	v_mov_b32_e32 v4, v91
	v_mov_b32_e32 v19, v5
	v_pk_mul_f32 v[4:5], v[10:11], v[4:5] op_sel_hi:[1,0]
	s_waitcnt vmcnt(0)
	v_pk_fma_f32 v[8:9], v[10:11], v[90:91], v[4:5] op_sel:[0,0,1] op_sel_hi:[1,1,0] neg_lo:[0,0,1] neg_hi:[0,0,1]
	v_pk_fma_f32 v[4:5], v[10:11], v[90:91], v[4:5] op_sel:[0,0,1] op_sel_hi:[1,0,0]
	v_pk_add_f32 v[2:3], v[2:3], v[22:23]
	v_mov_b32_e32 v4, v89
	v_pk_add_f32 v[2:3], v[2:3], v[18:19]
	v_mov_b32_e32 v9, v5
	s_waitcnt lgkmcnt(1)
	v_pk_mul_f32 v[4:5], v[12:13], v[4:5] op_sel_hi:[1,0]
	v_pk_add_f32 v[2:3], v[2:3], v[8:9]
	v_pk_fma_f32 v[8:9], v[12:13], v[88:89], v[4:5] op_sel:[0,0,1] op_sel_hi:[1,1,0] neg_lo:[0,0,1] neg_hi:[0,0,1]
	v_pk_fma_f32 v[4:5], v[12:13], v[88:89], v[4:5] op_sel:[0,0,1] op_sel_hi:[1,0,0]
	v_mov_b32_e32 v4, v87
	v_mov_b32_e32 v9, v5
	v_pk_mul_f32 v[4:5], v[14:15], v[4:5] op_sel_hi:[1,0]
	v_pk_add_f32 v[2:3], v[2:3], v[8:9]
	v_pk_fma_f32 v[8:9], v[14:15], v[86:87], v[4:5] op_sel:[0,0,1] op_sel_hi:[1,1,0] neg_lo:[0,0,1] neg_hi:[0,0,1]
	v_pk_fma_f32 v[4:5], v[14:15], v[86:87], v[4:5] op_sel:[0,0,1] op_sel_hi:[1,0,0]
	v_mov_b32_e32 v4, v85
	v_mov_b32_e32 v9, v5
	s_waitcnt lgkmcnt(0)
	v_pk_mul_f32 v[4:5], v[16:17], v[4:5] op_sel_hi:[1,0]
	v_pk_add_f32 v[2:3], v[2:3], v[8:9]
	v_pk_fma_f32 v[8:9], v[16:17], v[84:85], v[4:5] op_sel:[0,0,1] op_sel_hi:[1,1,0] neg_lo:[0,0,1] neg_hi:[0,0,1]
	v_pk_fma_f32 v[4:5], v[16:17], v[84:85], v[4:5] op_sel:[0,0,1] op_sel_hi:[1,0,0]
	v_mov_b32_e32 v9, v5
	v_pk_add_f32 v[2:3], v[2:3], v[8:9]
	v_pk_add_f32 v[2:3], v[6:7], v[2:3] neg_lo:[0,1] neg_hi:[0,1]
	buffer_store_dword v3, off, s[0:3], 0 offset:180
	buffer_store_dword v2, off, s[0:3], 0 offset:176
	s_and_saveexec_b64 s[4:5], vcc
	s_cbranch_execz .LBB125_343
; %bb.342:
	buffer_load_dword v2, off, s[0:3], 0 offset:168
	buffer_load_dword v3, off, s[0:3], 0 offset:172
	s_waitcnt vmcnt(0)
	ds_write_b64 v210, v[2:3]
	buffer_store_dword v20, off, s[0:3], 0 offset:168
	buffer_store_dword v20, off, s[0:3], 0 offset:172
.LBB125_343:
	s_or_b64 exec, exec, s[4:5]
	s_waitcnt lgkmcnt(0)
	; wave barrier
	s_waitcnt lgkmcnt(0)
	buffer_load_dword v21, off, s[0:3], 0 offset:180
	buffer_load_dword v70, off, s[0:3], 0 offset:188
	;; [unrolled: 1-line block ×26, first 2 shown]
	ds_read_b128 v[14:17], v20 offset:672
	ds_read_b128 v[6:9], v20 offset:688
	buffer_load_dword v114, off, s[0:3], 0 offset:272
	buffer_load_dword v115, off, s[0:3], 0 offset:276
	ds_read_b128 v[10:13], v20 offset:704
	ds_read_b128 v[2:5], v20 offset:720
	buffer_load_dword v116, off, s[0:3], 0 offset:280
	buffer_load_dword v117, off, s[0:3], 0 offset:284
	;; [unrolled: 1-line block ×32, first 2 shown]
	v_cmp_lt_u32_e32 vcc, 20, v0
	s_waitcnt vmcnt(59) lgkmcnt(3)
	v_mul_f32_e32 v22, v14, v21
	s_waitcnt vmcnt(58)
	v_mul_f32_e32 v23, v16, v70
	s_waitcnt vmcnt(57) lgkmcnt(2)
	v_mul_f32_e32 v25, v8, v72
	s_waitcnt vmcnt(56) lgkmcnt(1)
	v_mul_f32_e32 v26, v10, v80
	s_waitcnt vmcnt(55)
	v_mul_f32_e32 v27, v12, v92
	s_waitcnt vmcnt(54)
	v_mul_f32_e32 v24, v6, v93
	s_waitcnt vmcnt(53) lgkmcnt(0)
	v_mul_f32_e32 v28, v2, v94
	s_waitcnt vmcnt(52)
	v_mul_f32_e32 v29, v4, v95
	s_waitcnt vmcnt(51)
	v_fmac_f32_e32 v24, v7, v96
	s_waitcnt vmcnt(50)
	v_fmac_f32_e32 v23, v17, v97
	;; [unrolled: 2-line block ×3, first 2 shown]
	v_add_f32_e32 v22, 0, v22
	v_add_f32_e32 v22, v22, v23
	;; [unrolled: 1-line block ×3, first 2 shown]
	s_waitcnt vmcnt(45)
	v_fmac_f32_e32 v25, v9, v102
	v_fmac_f32_e32 v26, v11, v101
	v_add_f32_e32 v22, v22, v25
	v_fmac_f32_e32 v27, v13, v100
	v_add_f32_e32 v22, v22, v26
	v_fmac_f32_e32 v28, v3, v99
	v_add_f32_e32 v22, v22, v27
	v_add_f32_e32 v26, v22, v28
	ds_read_b128 v[22:25], v20 offset:736
	s_waitcnt vmcnt(41)
	v_fmac_f32_e32 v29, v5, v106
	buffer_load_dword v148, off, s[0:3], 0 offset:408
	buffer_load_dword v149, off, s[0:3], 0 offset:412
	v_add_f32_e32 v30, v26, v29
	buffer_load_dword v150, off, s[0:3], 0 offset:416
	buffer_load_dword v151, off, s[0:3], 0 offset:420
	ds_read_b128 v[26:29], v20 offset:752
	s_waitcnt vmcnt(44) lgkmcnt(1)
	v_mul_f32_e32 v31, v22, v107
	v_fmac_f32_e32 v31, v23, v105
	v_add_f32_e32 v30, v30, v31
	s_waitcnt vmcnt(43)
	v_mul_f32_e32 v31, v24, v110
	v_fmac_f32_e32 v31, v25, v104
	v_add_f32_e32 v30, v30, v31
	s_waitcnt vmcnt(42) lgkmcnt(0)
	v_mul_f32_e32 v31, v26, v111
	v_fmac_f32_e32 v31, v27, v103
	buffer_load_dword v152, off, s[0:3], 0 offset:424
	buffer_load_dword v153, off, s[0:3], 0 offset:428
	v_add_f32_e32 v34, v30, v31
	ds_read_b128 v[30:33], v20 offset:768
	s_waitcnt vmcnt(40)
	v_mul_f32_e32 v35, v28, v113
	v_fmac_f32_e32 v35, v29, v112
	v_add_f32_e32 v38, v34, v35
	ds_read_b128 v[34:37], v20 offset:784
	s_waitcnt vmcnt(38) lgkmcnt(1)
	v_mul_f32_e32 v39, v30, v115
	v_fmac_f32_e32 v39, v31, v114
	v_add_f32_e32 v38, v38, v39
	s_waitcnt vmcnt(36)
	v_mul_f32_e32 v39, v32, v117
	v_fmac_f32_e32 v39, v33, v116
	v_add_f32_e32 v38, v38, v39
	s_waitcnt vmcnt(34) lgkmcnt(0)
	v_mul_f32_e32 v39, v34, v119
	v_fmac_f32_e32 v39, v35, v118
	v_add_f32_e32 v42, v38, v39
	ds_read_b128 v[38:41], v20 offset:800
	s_waitcnt vmcnt(32)
	v_mul_f32_e32 v43, v36, v121
	v_fmac_f32_e32 v43, v37, v120
	v_add_f32_e32 v46, v42, v43
	ds_read_b128 v[42:45], v20 offset:816
	s_waitcnt vmcnt(30) lgkmcnt(1)
	v_mul_f32_e32 v47, v38, v123
	v_fmac_f32_e32 v47, v39, v122
	v_add_f32_e32 v46, v46, v47
	s_waitcnt vmcnt(28)
	v_mul_f32_e32 v47, v40, v125
	v_fmac_f32_e32 v47, v41, v124
	v_add_f32_e32 v46, v46, v47
	s_waitcnt vmcnt(26) lgkmcnt(0)
	v_mul_f32_e32 v47, v42, v127
	v_fmac_f32_e32 v47, v43, v126
	;; [unrolled: 18-line block ×4, first 2 shown]
	s_waitcnt vmcnt(8)
	v_mul_f32_e32 v67, v60, v145
	v_add_f32_e32 v66, v62, v63
	v_fmac_f32_e32 v67, v61, v144
	ds_read_b128 v[62:65], v20 offset:896
	v_add_f32_e32 v71, v66, v67
	ds_read_b128 v[66:69], v20 offset:912
	buffer_load_dword v75, off, s[0:3], 0 offset:452
	buffer_load_dword v74, off, s[0:3], 0 offset:448
	;; [unrolled: 1-line block ×16, first 2 shown]
	v_mul_f32_e32 v15, v15, v21
	v_fma_f32 v14, v14, v98, -v15
	v_mul_f32_e32 v15, v17, v70
	v_add_f32_e32 v14, 0, v14
	v_fma_f32 v15, v16, v97, -v15
	v_mul_f32_e32 v7, v7, v93
	v_add_f32_e32 v14, v14, v15
	;; [unrolled: 3-line block ×3, first 2 shown]
	v_fma_f32 v7, v8, v102, -v7
	v_add_f32_e32 v6, v6, v7
	v_mul_f32_e32 v7, v11, v80
	v_fma_f32 v7, v10, v101, -v7
	v_add_f32_e32 v6, v6, v7
	v_mul_f32_e32 v7, v13, v92
	v_fma_f32 v7, v12, v100, -v7
	v_mul_f32_e32 v3, v3, v94
	v_add_f32_e32 v6, v6, v7
	v_fma_f32 v2, v2, v99, -v3
	v_mul_f32_e32 v3, v5, v95
	v_add_f32_e32 v2, v6, v2
	v_fma_f32 v3, v4, v106, -v3
	v_add_f32_e32 v2, v2, v3
	v_mul_f32_e32 v3, v23, v107
	v_fma_f32 v3, v22, v105, -v3
	v_add_f32_e32 v2, v2, v3
	v_mul_f32_e32 v3, v25, v110
	;; [unrolled: 3-line block ×20, first 2 shown]
	v_fma_f32 v3, v60, v144, -v3
	v_add_f32_e32 v2, v2, v3
	s_waitcnt vmcnt(22) lgkmcnt(1)
	v_mul_f32_e32 v3, v63, v147
	v_fma_f32 v3, v62, v146, -v3
	v_add_f32_e32 v2, v2, v3
	s_waitcnt vmcnt(20)
	v_mul_f32_e32 v3, v65, v149
	v_mul_f32_e32 v73, v62, v147
	v_fma_f32 v3, v64, v148, -v3
	v_fmac_f32_e32 v73, v63, v146
	v_add_f32_e32 v70, v2, v3
	s_waitcnt vmcnt(18) lgkmcnt(0)
	v_mul_f32_e32 v2, v67, v151
	v_add_f32_e32 v71, v71, v73
	v_mul_f32_e32 v73, v64, v149
	v_fma_f32 v72, v66, v150, -v2
	s_waitcnt vmcnt(16)
	v_mul_f32_e32 v2, v69, v153
	v_fmac_f32_e32 v73, v65, v148
	v_fma_f32 v80, v68, v152, -v2
	ds_read_b128 v[2:5], v20 offset:928
	ds_read_b128 v[6:9], v20 offset:944
	ds_read_b128 v[10:13], v20 offset:960
	ds_read_b128 v[14:17], v20 offset:976
	v_add_f32_e32 v71, v71, v73
	v_mul_f32_e32 v73, v66, v151
	s_waitcnt vmcnt(11)
	v_mov_b32_e32 v22, v79
	v_fmac_f32_e32 v73, v67, v150
	v_mul_f32_e32 v81, v68, v153
	s_waitcnt lgkmcnt(3)
	v_pk_mul_f32 v[22:23], v[2:3], v[22:23] op_sel_hi:[1,0]
	v_fmac_f32_e32 v81, v69, v152
	v_pk_add_f32 v[20:21], v[70:71], v[72:73]
	s_waitcnt vmcnt(10)
	v_pk_fma_f32 v[24:25], v[2:3], v[78:79], v[22:23] op_sel:[0,0,1] op_sel_hi:[1,1,0] neg_lo:[0,0,1] neg_hi:[0,0,1]
	v_pk_fma_f32 v[2:3], v[2:3], v[78:79], v[22:23] op_sel:[0,0,1] op_sel_hi:[1,0,0]
	v_pk_add_f32 v[20:21], v[20:21], v[80:81]
	v_mov_b32_e32 v25, v3
	v_pk_add_f32 v[2:3], v[20:21], v[24:25]
	v_mov_b32_e32 v20, v77
	v_pk_mul_f32 v[20:21], v[4:5], v[20:21] op_sel_hi:[1,0]
	v_pk_fma_f32 v[22:23], v[4:5], v[76:77], v[20:21] op_sel:[0,0,1] op_sel_hi:[1,1,0] neg_lo:[0,0,1] neg_hi:[0,0,1]
	v_pk_fma_f32 v[4:5], v[4:5], v[76:77], v[20:21] op_sel:[0,0,1] op_sel_hi:[1,0,0]
	v_mov_b32_e32 v4, v75
	v_mov_b32_e32 v23, v5
	s_waitcnt lgkmcnt(2)
	v_pk_mul_f32 v[4:5], v[6:7], v[4:5] op_sel_hi:[1,0]
	v_pk_fma_f32 v[20:21], v[6:7], v[74:75], v[4:5] op_sel:[0,0,1] op_sel_hi:[1,1,0] neg_lo:[0,0,1] neg_hi:[0,0,1]
	v_pk_fma_f32 v[4:5], v[6:7], v[74:75], v[4:5] op_sel:[0,0,1] op_sel_hi:[1,0,0]
	s_waitcnt vmcnt(3)
	v_mov_b32_e32 v4, v89
	v_mov_b32_e32 v21, v5
	v_pk_mul_f32 v[4:5], v[8:9], v[4:5] op_sel_hi:[1,0]
	s_waitcnt vmcnt(2)
	v_pk_fma_f32 v[6:7], v[8:9], v[88:89], v[4:5] op_sel:[0,0,1] op_sel_hi:[1,1,0] neg_lo:[0,0,1] neg_hi:[0,0,1]
	v_pk_fma_f32 v[4:5], v[8:9], v[88:89], v[4:5] op_sel:[0,0,1] op_sel_hi:[1,0,0]
	v_pk_add_f32 v[2:3], v[2:3], v[22:23]
	v_mov_b32_e32 v4, v87
	v_pk_add_f32 v[2:3], v[2:3], v[20:21]
	v_mov_b32_e32 v7, v5
	s_waitcnt lgkmcnt(1)
	v_pk_mul_f32 v[4:5], v[10:11], v[4:5] op_sel_hi:[1,0]
	v_pk_add_f32 v[2:3], v[2:3], v[6:7]
	v_pk_fma_f32 v[6:7], v[10:11], v[86:87], v[4:5] op_sel:[0,0,1] op_sel_hi:[1,1,0] neg_lo:[0,0,1] neg_hi:[0,0,1]
	v_pk_fma_f32 v[4:5], v[10:11], v[86:87], v[4:5] op_sel:[0,0,1] op_sel_hi:[1,0,0]
	v_mov_b32_e32 v4, v85
	v_mov_b32_e32 v7, v5
	v_pk_mul_f32 v[4:5], v[12:13], v[4:5] op_sel_hi:[1,0]
	v_pk_add_f32 v[2:3], v[2:3], v[6:7]
	v_pk_fma_f32 v[6:7], v[12:13], v[84:85], v[4:5] op_sel:[0,0,1] op_sel_hi:[1,1,0] neg_lo:[0,0,1] neg_hi:[0,0,1]
	v_pk_fma_f32 v[4:5], v[12:13], v[84:85], v[4:5] op_sel:[0,0,1] op_sel_hi:[1,0,0]
	v_mov_b32_e32 v4, v83
	v_mov_b32_e32 v7, v5
	s_waitcnt lgkmcnt(0)
	v_pk_mul_f32 v[4:5], v[14:15], v[4:5] op_sel_hi:[1,0]
	v_pk_add_f32 v[2:3], v[2:3], v[6:7]
	v_pk_fma_f32 v[6:7], v[14:15], v[82:83], v[4:5] op_sel:[0,0,1] op_sel_hi:[1,1,0] neg_lo:[0,0,1] neg_hi:[0,0,1]
	v_pk_fma_f32 v[4:5], v[14:15], v[82:83], v[4:5] op_sel:[0,0,1] op_sel_hi:[1,0,0]
	s_waitcnt vmcnt(1)
	v_mov_b32_e32 v4, v91
	v_mov_b32_e32 v7, v5
	v_pk_mul_f32 v[4:5], v[16:17], v[4:5] op_sel_hi:[1,0]
	v_pk_add_f32 v[2:3], v[2:3], v[6:7]
	s_waitcnt vmcnt(0)
	v_pk_fma_f32 v[6:7], v[16:17], v[90:91], v[4:5] op_sel:[0,0,1] op_sel_hi:[1,1,0] neg_lo:[0,0,1] neg_hi:[0,0,1]
	v_pk_fma_f32 v[4:5], v[16:17], v[90:91], v[4:5] op_sel:[0,0,1] op_sel_hi:[1,0,0]
	v_mov_b32_e32 v7, v5
	v_pk_add_f32 v[2:3], v[2:3], v[6:7]
	v_pk_add_f32 v[2:3], v[18:19], v[2:3] neg_lo:[0,1] neg_hi:[0,1]
	buffer_store_dword v3, off, s[0:3], 0 offset:172
	buffer_store_dword v2, off, s[0:3], 0 offset:168
	s_and_saveexec_b64 s[4:5], vcc
	s_cbranch_execz .LBB125_345
; %bb.344:
	buffer_load_dword v2, off, s[0:3], 0 offset:160
	buffer_load_dword v3, off, s[0:3], 0 offset:164
	v_mov_b32_e32 v4, 0
	buffer_store_dword v4, off, s[0:3], 0 offset:160
	buffer_store_dword v4, off, s[0:3], 0 offset:164
	s_waitcnt vmcnt(2)
	ds_write_b64 v210, v[2:3]
.LBB125_345:
	s_or_b64 exec, exec, s[4:5]
	v_mov_b32_e32 v94, 0
	s_waitcnt lgkmcnt(0)
	; wave barrier
	s_waitcnt lgkmcnt(0)
	ds_read2_b64 v[2:5], v94 offset0:83 offset1:84
	buffer_load_dword v70, off, s[0:3], 0 offset:160
	buffer_load_dword v71, off, s[0:3], 0 offset:164
	;; [unrolled: 1-line block ×16, first 2 shown]
	v_cmp_lt_u32_e32 vcc, 19, v0
	s_waitcnt vmcnt(12) lgkmcnt(0)
	v_mul_f32_e32 v6, v2, v95
	v_fmac_f32_e32 v6, v3, v72
	s_waitcnt vmcnt(10)
	v_mul_f32_e32 v7, v4, v97
	v_add_f32_e32 v6, 0, v6
	v_fmac_f32_e32 v7, v5, v74
	v_add_f32_e32 v10, v6, v7
	ds_read2_b64 v[6:9], v94 offset0:85 offset1:86
	v_mul_f32_e32 v3, v3, v95
	v_fma_f32 v2, v2, v72, -v3
	v_mul_f32_e32 v3, v5, v97
	v_add_f32_e32 v2, 0, v2
	s_waitcnt vmcnt(8) lgkmcnt(0)
	v_mul_f32_e32 v11, v6, v99
	v_fmac_f32_e32 v11, v7, v78
	v_add_f32_e32 v10, v10, v11
	s_waitcnt vmcnt(6)
	v_mul_f32_e32 v11, v8, v101
	v_fmac_f32_e32 v11, v9, v96
	v_add_f32_e32 v14, v10, v11
	ds_read2_b64 v[10:13], v94 offset0:87 offset1:88
	v_fma_f32 v3, v4, v74, -v3
	v_add_f32_e32 v2, v2, v3
	v_mul_f32_e32 v3, v7, v99
	v_fma_f32 v3, v6, v78, -v3
	s_waitcnt vmcnt(4) lgkmcnt(0)
	v_mul_f32_e32 v15, v10, v103
	v_fmac_f32_e32 v15, v11, v98
	v_add_f32_e32 v14, v14, v15
	s_waitcnt vmcnt(2)
	v_mul_f32_e32 v15, v12, v104
	v_fmac_f32_e32 v15, v13, v100
	v_add_f32_e32 v18, v14, v15
	ds_read2_b64 v[14:17], v94 offset0:89 offset1:90
	buffer_load_dword v106, off, s[0:3], 0 offset:224
	buffer_load_dword v107, off, s[0:3], 0 offset:228
	v_add_f32_e32 v2, v2, v3
	v_mul_f32_e32 v3, v9, v101
	v_fma_f32 v3, v8, v96, -v3
	s_waitcnt vmcnt(2) lgkmcnt(0)
	v_mul_f32_e32 v19, v14, v105
	v_fmac_f32_e32 v19, v15, v102
	v_add_f32_e32 v18, v18, v19
	v_add_f32_e32 v2, v2, v3
	v_mul_f32_e32 v3, v11, v103
	v_fma_f32 v3, v10, v98, -v3
	v_add_f32_e32 v2, v2, v3
	v_mul_f32_e32 v3, v13, v104
	v_fma_f32 v3, v12, v100, -v3
	;; [unrolled: 3-line block ×3, first 2 shown]
	v_add_f32_e32 v2, v2, v3
	s_waitcnt vmcnt(0)
	v_mul_f32_e32 v19, v16, v107
	v_fmac_f32_e32 v19, v17, v106
	v_add_f32_e32 v22, v18, v19
	ds_read2_b64 v[18:21], v94 offset0:91 offset1:92
	buffer_load_dword v110, off, s[0:3], 0 offset:232
	buffer_load_dword v111, off, s[0:3], 0 offset:236
	buffer_load_dword v112, off, s[0:3], 0 offset:240
	buffer_load_dword v113, off, s[0:3], 0 offset:244
	ds_read2_b64 v[26:29], v94 offset0:93 offset1:94
	buffer_load_dword v114, off, s[0:3], 0 offset:248
	buffer_load_dword v115, off, s[0:3], 0 offset:252
	buffer_load_dword v116, off, s[0:3], 0 offset:256
	buffer_load_dword v117, off, s[0:3], 0 offset:260
	;; [unrolled: 5-line block ×12, first 2 shown]
	v_mul_f32_e32 v3, v17, v107
	v_fma_f32 v3, v16, v106, -v3
	v_add_f32_e32 v2, v2, v3
	s_waitcnt vmcnt(46) lgkmcnt(11)
	v_mul_f32_e32 v23, v18, v111
	v_fmac_f32_e32 v23, v19, v110
	v_add_f32_e32 v22, v22, v23
	s_waitcnt vmcnt(44)
	v_mul_f32_e32 v23, v20, v113
	v_fmac_f32_e32 v23, v21, v112
	v_add_f32_e32 v22, v22, v23
	s_waitcnt vmcnt(42) lgkmcnt(10)
	v_mul_f32_e32 v23, v26, v115
	v_fmac_f32_e32 v23, v27, v114
	v_add_f32_e32 v22, v22, v23
	s_waitcnt vmcnt(40)
	v_mul_f32_e32 v23, v28, v117
	v_fmac_f32_e32 v23, v29, v116
	;; [unrolled: 8-line block ×11, first 2 shown]
	v_add_f32_e32 v22, v22, v23
	s_waitcnt vmcnt(2) lgkmcnt(0)
	v_mul_f32_e32 v23, v66, v155
	v_fmac_f32_e32 v23, v67, v154
	v_add_f32_e32 v73, v22, v23
	ds_read2_b64 v[22:25], v94 offset0:115 offset1:116
	buffer_load_dword v158, off, s[0:3], 0 offset:424
	buffer_load_dword v159, off, s[0:3], 0 offset:428
	;; [unrolled: 1-line block ×18, first 2 shown]
	v_mul_f32_e32 v3, v19, v111
	v_fma_f32 v3, v18, v110, -v3
	v_add_f32_e32 v2, v2, v3
	v_mul_f32_e32 v3, v21, v113
	v_fma_f32 v3, v20, v112, -v3
	v_add_f32_e32 v2, v2, v3
	;; [unrolled: 3-line block ×23, first 2 shown]
	s_waitcnt vmcnt(18)
	v_mul_f32_e32 v2, v69, v157
	s_waitcnt vmcnt(15)
	v_mov_b32_e32 v18, v77
	v_mul_f32_e32 v75, v68, v157
	v_fma_f32 v74, v68, v156, -v2
	s_waitcnt lgkmcnt(0)
	v_pk_mul_f32 v[18:19], v[24:25], v[18:19] op_sel_hi:[1,0]
	v_fmac_f32_e32 v75, v69, v156
	s_waitcnt vmcnt(14)
	v_pk_fma_f32 v[20:21], v[24:25], v[76:77], v[18:19] op_sel:[0,0,1] op_sel_hi:[1,1,0] neg_lo:[0,0,1] neg_hi:[0,0,1]
	v_pk_fma_f32 v[18:19], v[24:25], v[76:77], v[18:19] op_sel:[0,0,1] op_sel_hi:[1,0,0]
	v_pk_add_f32 v[16:17], v[72:73], v[74:75]
	v_mul_f32_e32 v2, v23, v159
	v_mul_f32_e32 v79, v22, v159
	v_fma_f32 v78, v22, v158, -v2
	ds_read2_b64 v[2:5], v94 offset0:117 offset1:118
	ds_read2_b64 v[6:9], v94 offset0:119 offset1:120
	;; [unrolled: 1-line block ×3, first 2 shown]
	ds_read_b64 v[14:15], v94 offset:984
	v_fmac_f32_e32 v79, v23, v158
	s_waitcnt vmcnt(13)
	v_mov_b32_e32 v18, v93
	v_pk_add_f32 v[16:17], v[16:17], v[78:79]
	v_mov_b32_e32 v21, v19
	s_waitcnt lgkmcnt(3)
	v_pk_mul_f32 v[18:19], v[2:3], v[18:19] op_sel_hi:[1,0]
	v_pk_add_f32 v[16:17], v[16:17], v[20:21]
	s_waitcnt vmcnt(12)
	v_pk_fma_f32 v[20:21], v[2:3], v[92:93], v[18:19] op_sel:[0,0,1] op_sel_hi:[1,1,0] neg_lo:[0,0,1] neg_hi:[0,0,1]
	v_pk_fma_f32 v[2:3], v[2:3], v[92:93], v[18:19] op_sel:[0,0,1] op_sel_hi:[1,0,0]
	v_mov_b32_e32 v21, v3
	v_pk_add_f32 v[2:3], v[16:17], v[20:21]
	s_waitcnt vmcnt(11)
	v_mov_b32_e32 v16, v91
	v_pk_mul_f32 v[16:17], v[4:5], v[16:17] op_sel_hi:[1,0]
	s_waitcnt vmcnt(10)
	v_pk_fma_f32 v[18:19], v[4:5], v[90:91], v[16:17] op_sel:[0,0,1] op_sel_hi:[1,1,0] neg_lo:[0,0,1] neg_hi:[0,0,1]
	v_pk_fma_f32 v[4:5], v[4:5], v[90:91], v[16:17] op_sel:[0,0,1] op_sel_hi:[1,0,0]
	s_waitcnt vmcnt(9)
	v_mov_b32_e32 v4, v89
	v_mov_b32_e32 v19, v5
	s_waitcnt lgkmcnt(2)
	v_pk_mul_f32 v[4:5], v[6:7], v[4:5] op_sel_hi:[1,0]
	s_waitcnt vmcnt(8)
	v_pk_fma_f32 v[16:17], v[6:7], v[88:89], v[4:5] op_sel:[0,0,1] op_sel_hi:[1,1,0] neg_lo:[0,0,1] neg_hi:[0,0,1]
	v_pk_fma_f32 v[4:5], v[6:7], v[88:89], v[4:5] op_sel:[0,0,1] op_sel_hi:[1,0,0]
	s_waitcnt vmcnt(7)
	v_mov_b32_e32 v4, v87
	v_mov_b32_e32 v17, v5
	v_pk_mul_f32 v[4:5], v[8:9], v[4:5] op_sel_hi:[1,0]
	s_waitcnt vmcnt(6)
	v_pk_fma_f32 v[6:7], v[8:9], v[86:87], v[4:5] op_sel:[0,0,1] op_sel_hi:[1,1,0] neg_lo:[0,0,1] neg_hi:[0,0,1]
	v_pk_fma_f32 v[4:5], v[8:9], v[86:87], v[4:5] op_sel:[0,0,1] op_sel_hi:[1,0,0]
	v_pk_add_f32 v[2:3], v[2:3], v[18:19]
	s_waitcnt vmcnt(5)
	v_mov_b32_e32 v4, v85
	v_pk_add_f32 v[2:3], v[2:3], v[16:17]
	v_mov_b32_e32 v7, v5
	s_waitcnt lgkmcnt(1)
	v_pk_mul_f32 v[4:5], v[10:11], v[4:5] op_sel_hi:[1,0]
	v_pk_add_f32 v[2:3], v[2:3], v[6:7]
	s_waitcnt vmcnt(4)
	v_pk_fma_f32 v[6:7], v[10:11], v[84:85], v[4:5] op_sel:[0,0,1] op_sel_hi:[1,1,0] neg_lo:[0,0,1] neg_hi:[0,0,1]
	v_pk_fma_f32 v[4:5], v[10:11], v[84:85], v[4:5] op_sel:[0,0,1] op_sel_hi:[1,0,0]
	s_waitcnt vmcnt(3)
	v_mov_b32_e32 v4, v83
	v_mov_b32_e32 v7, v5
	v_pk_mul_f32 v[4:5], v[12:13], v[4:5] op_sel_hi:[1,0]
	v_pk_add_f32 v[2:3], v[2:3], v[6:7]
	s_waitcnt vmcnt(2)
	v_pk_fma_f32 v[6:7], v[12:13], v[82:83], v[4:5] op_sel:[0,0,1] op_sel_hi:[1,1,0] neg_lo:[0,0,1] neg_hi:[0,0,1]
	v_pk_fma_f32 v[4:5], v[12:13], v[82:83], v[4:5] op_sel:[0,0,1] op_sel_hi:[1,0,0]
	s_waitcnt vmcnt(1)
	v_mov_b32_e32 v4, v81
	v_mov_b32_e32 v7, v5
	s_waitcnt lgkmcnt(0)
	v_pk_mul_f32 v[4:5], v[14:15], v[4:5] op_sel_hi:[1,0]
	v_pk_add_f32 v[2:3], v[2:3], v[6:7]
	s_waitcnt vmcnt(0)
	v_pk_fma_f32 v[6:7], v[14:15], v[80:81], v[4:5] op_sel:[0,0,1] op_sel_hi:[1,1,0] neg_lo:[0,0,1] neg_hi:[0,0,1]
	v_pk_fma_f32 v[4:5], v[14:15], v[80:81], v[4:5] op_sel:[0,0,1] op_sel_hi:[1,0,0]
	v_mov_b32_e32 v7, v5
	v_pk_add_f32 v[2:3], v[2:3], v[6:7]
	v_pk_add_f32 v[2:3], v[70:71], v[2:3] neg_lo:[0,1] neg_hi:[0,1]
	buffer_store_dword v3, off, s[0:3], 0 offset:164
	buffer_store_dword v2, off, s[0:3], 0 offset:160
	s_and_saveexec_b64 s[4:5], vcc
	s_cbranch_execz .LBB125_347
; %bb.346:
	buffer_load_dword v2, off, s[0:3], 0 offset:152
	buffer_load_dword v3, off, s[0:3], 0 offset:156
	s_waitcnt vmcnt(0)
	ds_write_b64 v210, v[2:3]
	buffer_store_dword v94, off, s[0:3], 0 offset:152
	buffer_store_dword v94, off, s[0:3], 0 offset:156
.LBB125_347:
	s_or_b64 exec, exec, s[4:5]
	s_waitcnt lgkmcnt(0)
	; wave barrier
	s_waitcnt lgkmcnt(0)
	buffer_load_dword v78, off, s[0:3], 0 offset:164
	buffer_load_dword v80, off, s[0:3], 0 offset:172
	;; [unrolled: 1-line block ×24, first 2 shown]
	ds_read_b128 v[22:25], v94 offset:656
	ds_read_b128 v[18:21], v94 offset:672
	;; [unrolled: 1-line block ×4, first 2 shown]
	buffer_load_dword v120, off, s[0:3], 0 offset:248
	buffer_load_dword v121, off, s[0:3], 0 offset:252
	ds_read_b128 v[10:13], v94 offset:720
	ds_read_b128 v[2:5], v94 offset:736
	buffer_load_dword v122, off, s[0:3], 0 offset:256
	buffer_load_dword v123, off, s[0:3], 0 offset:260
	;; [unrolled: 1-line block ×44, first 2 shown]
	v_cmp_lt_u32_e32 vcc, 18, v0
	s_waitcnt vmcnt(62) lgkmcnt(5)
	v_mul_f32_e32 v28, v22, v78
	v_mul_f32_e32 v29, v24, v80
	s_waitcnt lgkmcnt(4)
	v_mul_f32_e32 v31, v20, v82
	s_waitcnt lgkmcnt(3)
	v_mul_f32_e32 v32, v14, v95
	v_mul_f32_e32 v33, v16, v100
	;; [unrolled: 1-line block ×3, first 2 shown]
	s_waitcnt lgkmcnt(2)
	v_mul_f32_e32 v34, v6, v102
	v_mul_f32_e32 v35, v8, v103
	s_waitcnt vmcnt(61)
	v_fmac_f32_e32 v30, v19, v104
	s_waitcnt vmcnt(60)
	v_fmac_f32_e32 v29, v25, v105
	;; [unrolled: 2-line block ×3, first 2 shown]
	v_add_f32_e32 v28, 0, v28
	v_add_f32_e32 v28, v28, v29
	;; [unrolled: 1-line block ×3, first 2 shown]
	s_waitcnt vmcnt(55)
	v_fmac_f32_e32 v31, v21, v112
	v_fmac_f32_e32 v32, v15, v111
	v_add_f32_e32 v28, v28, v31
	v_fmac_f32_e32 v33, v17, v110
	v_add_f32_e32 v28, v28, v32
	;; [unrolled: 2-line block ×3, first 2 shown]
	s_waitcnt vmcnt(51)
	v_fmac_f32_e32 v35, v9, v116
	v_add_f32_e32 v28, v28, v34
	s_waitcnt vmcnt(50) lgkmcnt(1)
	v_mul_f32_e32 v29, v10, v117
	v_add_f32_e32 v28, v28, v35
	v_fmac_f32_e32 v29, v11, v115
	v_add_f32_e32 v28, v28, v29
	s_waitcnt vmcnt(49)
	v_mul_f32_e32 v29, v12, v118
	v_fmac_f32_e32 v29, v13, v114
	v_add_f32_e32 v28, v28, v29
	s_waitcnt vmcnt(48) lgkmcnt(0)
	v_mul_f32_e32 v29, v2, v119
	v_fmac_f32_e32 v29, v3, v113
	v_add_f32_e32 v32, v28, v29
	ds_read_b128 v[28:31], v94 offset:752
	s_waitcnt vmcnt(44)
	v_mul_f32_e32 v33, v4, v121
	v_fmac_f32_e32 v33, v5, v120
	v_add_f32_e32 v36, v32, v33
	ds_read_b128 v[32:35], v94 offset:768
	s_waitcnt vmcnt(42) lgkmcnt(1)
	v_mul_f32_e32 v37, v28, v123
	v_fmac_f32_e32 v37, v29, v122
	v_add_f32_e32 v36, v36, v37
	s_waitcnt vmcnt(40)
	v_mul_f32_e32 v37, v30, v125
	v_fmac_f32_e32 v37, v31, v124
	v_add_f32_e32 v36, v36, v37
	s_waitcnt vmcnt(38) lgkmcnt(0)
	v_mul_f32_e32 v37, v32, v127
	v_fmac_f32_e32 v37, v33, v126
	v_add_f32_e32 v40, v36, v37
	ds_read_b128 v[36:39], v94 offset:784
	s_waitcnt vmcnt(36)
	v_mul_f32_e32 v41, v34, v129
	v_fmac_f32_e32 v41, v35, v128
	v_add_f32_e32 v44, v40, v41
	ds_read_b128 v[40:43], v94 offset:800
	s_waitcnt vmcnt(34) lgkmcnt(1)
	v_mul_f32_e32 v45, v36, v131
	;; [unrolled: 18-line block ×4, first 2 shown]
	v_fmac_f32_e32 v61, v53, v146
	v_add_f32_e32 v60, v60, v61
	s_waitcnt vmcnt(16)
	v_mul_f32_e32 v61, v54, v149
	v_fmac_f32_e32 v61, v55, v148
	v_add_f32_e32 v60, v60, v61
	s_waitcnt vmcnt(14) lgkmcnt(0)
	v_mul_f32_e32 v61, v56, v151
	v_fmac_f32_e32 v61, v57, v150
	v_add_f32_e32 v64, v60, v61
	ds_read_b128 v[60:63], v94 offset:880
	s_waitcnt vmcnt(12)
	v_mul_f32_e32 v65, v58, v153
	v_fmac_f32_e32 v65, v59, v152
	v_add_f32_e32 v68, v64, v65
	ds_read_b128 v[64:67], v94 offset:896
	buffer_load_dword v77, off, s[0:3], 0 offset:436
	buffer_load_dword v76, off, s[0:3], 0 offset:432
	s_waitcnt vmcnt(12) lgkmcnt(1)
	v_mul_f32_e32 v69, v60, v155
	v_fmac_f32_e32 v69, v61, v154
	v_add_f32_e32 v68, v68, v69
	s_waitcnt vmcnt(10)
	v_mul_f32_e32 v69, v62, v157
	v_fmac_f32_e32 v69, v63, v156
	v_add_f32_e32 v68, v68, v69
	s_waitcnt vmcnt(8) lgkmcnt(0)
	v_mul_f32_e32 v69, v64, v159
	v_fmac_f32_e32 v69, v65, v158
	s_waitcnt vmcnt(6)
	v_mul_f32_e32 v73, v66, v161
	v_add_f32_e32 v72, v68, v69
	v_fmac_f32_e32 v73, v67, v160
	ds_read_b128 v[68:71], v94 offset:912
	v_add_f32_e32 v79, v72, v73
	ds_read_b128 v[72:75], v94 offset:928
	buffer_load_dword v85, off, s[0:3], 0 offset:468
	buffer_load_dword v84, off, s[0:3], 0 offset:464
	buffer_load_dword v87, off, s[0:3], 0 offset:460
	buffer_load_dword v86, off, s[0:3], 0 offset:456
	buffer_load_dword v89, off, s[0:3], 0 offset:452
	buffer_load_dword v88, off, s[0:3], 0 offset:448
	buffer_load_dword v91, off, s[0:3], 0 offset:444
	buffer_load_dword v90, off, s[0:3], 0 offset:440
	buffer_load_dword v93, off, s[0:3], 0 offset:492
	buffer_load_dword v92, off, s[0:3], 0 offset:488
	buffer_load_dword v97, off, s[0:3], 0 offset:484
	buffer_load_dword v96, off, s[0:3], 0 offset:480
	buffer_load_dword v99, off, s[0:3], 0 offset:476
	buffer_load_dword v98, off, s[0:3], 0 offset:472
	v_mul_f32_e32 v23, v23, v78
	v_fma_f32 v22, v22, v106, -v23
	v_mul_f32_e32 v23, v25, v80
	v_add_f32_e32 v22, 0, v22
	v_fma_f32 v23, v24, v105, -v23
	v_mul_f32_e32 v19, v19, v101
	v_add_f32_e32 v22, v22, v23
	;; [unrolled: 3-line block ×7, first 2 shown]
	v_fma_f32 v7, v8, v116, -v7
	v_add_f32_e32 v6, v6, v7
	v_mul_f32_e32 v7, v11, v117
	v_fma_f32 v7, v10, v115, -v7
	v_add_f32_e32 v6, v6, v7
	v_mul_f32_e32 v7, v13, v118
	v_fma_f32 v7, v12, v114, -v7
	v_mul_f32_e32 v3, v3, v119
	v_add_f32_e32 v6, v6, v7
	v_fma_f32 v2, v2, v113, -v3
	v_mul_f32_e32 v3, v5, v121
	v_add_f32_e32 v2, v6, v2
	v_fma_f32 v3, v4, v120, -v3
	v_add_f32_e32 v2, v2, v3
	v_mul_f32_e32 v3, v29, v123
	v_fma_f32 v3, v28, v122, -v3
	v_add_f32_e32 v2, v2, v3
	v_mul_f32_e32 v3, v31, v125
	;; [unrolled: 3-line block ×20, first 2 shown]
	v_fma_f32 v3, v66, v160, -v3
	s_waitcnt vmcnt(15)
	v_mov_b32_e32 v16, v77
	s_waitcnt lgkmcnt(1)
	v_mul_f32_e32 v81, v68, v163
	v_add_f32_e32 v78, v2, v3
	v_mul_f32_e32 v2, v69, v163
	s_waitcnt lgkmcnt(0)
	v_pk_mul_f32 v[16:17], v[72:73], v[16:17] op_sel_hi:[1,0]
	v_fmac_f32_e32 v81, v69, v162
	v_mul_f32_e32 v83, v70, v165
	v_fma_f32 v80, v68, v162, -v2
	v_mul_f32_e32 v2, v71, v165
	s_waitcnt vmcnt(14)
	v_pk_fma_f32 v[18:19], v[72:73], v[76:77], v[16:17] op_sel:[0,0,1] op_sel_hi:[1,1,0] neg_lo:[0,0,1] neg_hi:[0,0,1]
	v_pk_fma_f32 v[16:17], v[72:73], v[76:77], v[16:17] op_sel:[0,0,1] op_sel_hi:[1,0,0]
	v_fmac_f32_e32 v83, v71, v164
	v_fma_f32 v82, v70, v164, -v2
	v_pk_add_f32 v[14:15], v[78:79], v[80:81]
	s_waitcnt vmcnt(7)
	v_mov_b32_e32 v16, v91
	ds_read_b128 v[2:5], v94 offset:944
	ds_read_b128 v[6:9], v94 offset:960
	;; [unrolled: 1-line block ×3, first 2 shown]
	v_pk_add_f32 v[14:15], v[14:15], v[82:83]
	v_mov_b32_e32 v19, v17
	v_pk_mul_f32 v[16:17], v[74:75], v[16:17] op_sel_hi:[1,0]
	v_pk_add_f32 v[14:15], v[14:15], v[18:19]
	s_waitcnt vmcnt(6)
	v_pk_fma_f32 v[18:19], v[74:75], v[90:91], v[16:17] op_sel:[0,0,1] op_sel_hi:[1,1,0] neg_lo:[0,0,1] neg_hi:[0,0,1]
	v_pk_fma_f32 v[16:17], v[74:75], v[90:91], v[16:17] op_sel:[0,0,1] op_sel_hi:[1,0,0]
	v_mov_b32_e32 v16, v89
	v_mov_b32_e32 v19, v17
	s_waitcnt lgkmcnt(2)
	v_pk_mul_f32 v[16:17], v[2:3], v[16:17] op_sel_hi:[1,0]
	v_pk_add_f32 v[14:15], v[14:15], v[18:19]
	v_pk_fma_f32 v[18:19], v[2:3], v[88:89], v[16:17] op_sel:[0,0,1] op_sel_hi:[1,1,0] neg_lo:[0,0,1] neg_hi:[0,0,1]
	v_pk_fma_f32 v[2:3], v[2:3], v[88:89], v[16:17] op_sel:[0,0,1] op_sel_hi:[1,0,0]
	v_mov_b32_e32 v19, v3
	v_pk_add_f32 v[2:3], v[14:15], v[18:19]
	v_mov_b32_e32 v14, v87
	v_pk_mul_f32 v[14:15], v[4:5], v[14:15] op_sel_hi:[1,0]
	v_pk_fma_f32 v[16:17], v[4:5], v[86:87], v[14:15] op_sel:[0,0,1] op_sel_hi:[1,1,0] neg_lo:[0,0,1] neg_hi:[0,0,1]
	v_pk_fma_f32 v[4:5], v[4:5], v[86:87], v[14:15] op_sel:[0,0,1] op_sel_hi:[1,0,0]
	v_mov_b32_e32 v4, v85
	v_mov_b32_e32 v17, v5
	s_waitcnt lgkmcnt(1)
	v_pk_mul_f32 v[4:5], v[6:7], v[4:5] op_sel_hi:[1,0]
	v_pk_fma_f32 v[14:15], v[6:7], v[84:85], v[4:5] op_sel:[0,0,1] op_sel_hi:[1,1,0] neg_lo:[0,0,1] neg_hi:[0,0,1]
	v_pk_fma_f32 v[4:5], v[6:7], v[84:85], v[4:5] op_sel:[0,0,1] op_sel_hi:[1,0,0]
	s_waitcnt vmcnt(1)
	v_mov_b32_e32 v4, v99
	v_mov_b32_e32 v15, v5
	v_pk_mul_f32 v[4:5], v[8:9], v[4:5] op_sel_hi:[1,0]
	s_waitcnt vmcnt(0)
	v_pk_fma_f32 v[6:7], v[8:9], v[98:99], v[4:5] op_sel:[0,0,1] op_sel_hi:[1,1,0] neg_lo:[0,0,1] neg_hi:[0,0,1]
	v_pk_fma_f32 v[4:5], v[8:9], v[98:99], v[4:5] op_sel:[0,0,1] op_sel_hi:[1,0,0]
	v_pk_add_f32 v[2:3], v[2:3], v[16:17]
	v_mov_b32_e32 v4, v97
	v_pk_add_f32 v[2:3], v[2:3], v[14:15]
	v_mov_b32_e32 v7, v5
	s_waitcnt lgkmcnt(0)
	v_pk_mul_f32 v[4:5], v[10:11], v[4:5] op_sel_hi:[1,0]
	v_pk_add_f32 v[2:3], v[2:3], v[6:7]
	v_pk_fma_f32 v[6:7], v[10:11], v[96:97], v[4:5] op_sel:[0,0,1] op_sel_hi:[1,1,0] neg_lo:[0,0,1] neg_hi:[0,0,1]
	v_pk_fma_f32 v[4:5], v[10:11], v[96:97], v[4:5] op_sel:[0,0,1] op_sel_hi:[1,0,0]
	v_mov_b32_e32 v4, v93
	v_mov_b32_e32 v7, v5
	v_pk_mul_f32 v[4:5], v[12:13], v[4:5] op_sel_hi:[1,0]
	v_pk_add_f32 v[2:3], v[2:3], v[6:7]
	v_pk_fma_f32 v[6:7], v[12:13], v[92:93], v[4:5] op_sel:[0,0,1] op_sel_hi:[1,1,0] neg_lo:[0,0,1] neg_hi:[0,0,1]
	v_pk_fma_f32 v[4:5], v[12:13], v[92:93], v[4:5] op_sel:[0,0,1] op_sel_hi:[1,0,0]
	v_mov_b32_e32 v7, v5
	v_pk_add_f32 v[2:3], v[2:3], v[6:7]
	v_pk_add_f32 v[2:3], v[26:27], v[2:3] neg_lo:[0,1] neg_hi:[0,1]
	buffer_store_dword v3, off, s[0:3], 0 offset:156
	buffer_store_dword v2, off, s[0:3], 0 offset:152
	s_and_saveexec_b64 s[4:5], vcc
	s_cbranch_execz .LBB125_349
; %bb.348:
	buffer_load_dword v2, off, s[0:3], 0 offset:144
	buffer_load_dword v3, off, s[0:3], 0 offset:148
	v_mov_b32_e32 v4, 0
	buffer_store_dword v4, off, s[0:3], 0 offset:144
	buffer_store_dword v4, off, s[0:3], 0 offset:148
	s_waitcnt vmcnt(2)
	ds_write_b64 v210, v[2:3]
.LBB125_349:
	s_or_b64 exec, exec, s[4:5]
	s_waitcnt lgkmcnt(0)
	; wave barrier
	s_waitcnt lgkmcnt(0)
	buffer_load_dword v29, off, s[0:3], 0 offset:156
	buffer_load_dword v78, off, s[0:3], 0 offset:164
	;; [unrolled: 1-line block ×56, first 2 shown]
	v_mov_b32_e32 v28, 0
	ds_read2_b64 v[4:7], v28 offset0:81 offset1:82
	ds_read2_b64 v[8:11], v28 offset0:83 offset1:84
	;; [unrolled: 1-line block ×6, first 2 shown]
	buffer_load_dword v152, off, s[0:3], 0 offset:368
	buffer_load_dword v153, off, s[0:3], 0 offset:372
	;; [unrolled: 1-line block ×16, first 2 shown]
	v_cmp_lt_u32_e32 vcc, 17, v0
	s_waitcnt vmcnt(62) lgkmcnt(5)
	v_mul_f32_e32 v30, v4, v29
	v_mul_f32_e32 v31, v6, v78
	s_waitcnt lgkmcnt(4)
	v_mul_f32_e32 v33, v10, v80
	s_waitcnt lgkmcnt(3)
	v_mul_f32_e32 v34, v12, v82
	v_mul_f32_e32 v35, v14, v100
	;; [unrolled: 1-line block ×3, first 2 shown]
	s_waitcnt lgkmcnt(2)
	v_mul_f32_e32 v36, v16, v102
	v_mul_f32_e32 v37, v18, v103
	s_waitcnt lgkmcnt(1)
	v_mul_f32_e32 v38, v20, v104
	v_fmac_f32_e32 v32, v9, v105
	s_waitcnt vmcnt(61)
	v_fmac_f32_e32 v31, v7, v106
	s_waitcnt vmcnt(60)
	v_fmac_f32_e32 v30, v5, v107
	v_add_f32_e32 v30, 0, v30
	v_add_f32_e32 v30, v30, v31
	;; [unrolled: 1-line block ×3, first 2 shown]
	s_waitcnt vmcnt(56)
	v_fmac_f32_e32 v33, v11, v113
	v_fmac_f32_e32 v34, v13, v112
	v_add_f32_e32 v30, v30, v33
	v_fmac_f32_e32 v35, v15, v111
	v_add_f32_e32 v30, v30, v34
	v_fmac_f32_e32 v36, v17, v110
	v_add_f32_e32 v30, v30, v35
	s_waitcnt vmcnt(52)
	v_fmac_f32_e32 v37, v19, v117
	v_add_f32_e32 v30, v30, v36
	v_add_f32_e32 v30, v30, v37
	v_fmac_f32_e32 v38, v21, v116
	s_waitcnt vmcnt(51)
	v_mul_f32_e32 v31, v22, v118
	v_add_f32_e32 v30, v30, v38
	v_fmac_f32_e32 v31, v23, v115
	v_add_f32_e32 v30, v30, v31
	s_waitcnt vmcnt(50) lgkmcnt(0)
	v_mul_f32_e32 v31, v24, v119
	v_fmac_f32_e32 v31, v25, v114
	v_add_f32_e32 v34, v30, v31
	ds_read2_b64 v[30:33], v28 offset0:93 offset1:94
	s_waitcnt vmcnt(46)
	v_mul_f32_e32 v35, v26, v121
	v_fmac_f32_e32 v35, v27, v120
	v_add_f32_e32 v38, v34, v35
	ds_read2_b64 v[34:37], v28 offset0:95 offset1:96
	s_waitcnt vmcnt(44) lgkmcnt(1)
	v_mul_f32_e32 v39, v30, v123
	v_fmac_f32_e32 v39, v31, v122
	v_add_f32_e32 v38, v38, v39
	s_waitcnt vmcnt(42)
	v_mul_f32_e32 v39, v32, v125
	v_fmac_f32_e32 v39, v33, v124
	v_add_f32_e32 v38, v38, v39
	s_waitcnt vmcnt(40) lgkmcnt(0)
	v_mul_f32_e32 v39, v34, v127
	v_fmac_f32_e32 v39, v35, v126
	v_add_f32_e32 v42, v38, v39
	ds_read2_b64 v[38:41], v28 offset0:97 offset1:98
	s_waitcnt vmcnt(38)
	v_mul_f32_e32 v43, v36, v129
	v_fmac_f32_e32 v43, v37, v128
	v_add_f32_e32 v46, v42, v43
	ds_read2_b64 v[42:45], v28 offset0:99 offset1:100
	s_waitcnt vmcnt(36) lgkmcnt(1)
	v_mul_f32_e32 v47, v38, v131
	v_fmac_f32_e32 v47, v39, v130
	v_add_f32_e32 v46, v46, v47
	s_waitcnt vmcnt(34)
	v_mul_f32_e32 v47, v40, v133
	;; [unrolled: 18-line block ×5, first 2 shown]
	v_fmac_f32_e32 v71, v65, v156
	v_add_f32_e32 v70, v70, v71
	s_waitcnt vmcnt(8) lgkmcnt(0)
	v_mul_f32_e32 v71, v66, v159
	v_fmac_f32_e32 v71, v67, v158
	s_waitcnt vmcnt(6)
	v_mul_f32_e32 v75, v68, v161
	v_add_f32_e32 v74, v70, v71
	v_fmac_f32_e32 v75, v69, v160
	ds_read2_b64 v[70:73], v28 offset0:113 offset1:114
	v_add_f32_e32 v79, v74, v75
	ds_read2_b64 v[74:77], v28 offset0:115 offset1:116
	buffer_load_dword v85, off, s[0:3], 0 offset:460
	buffer_load_dword v84, off, s[0:3], 0 offset:456
	buffer_load_dword v87, off, s[0:3], 0 offset:452
	buffer_load_dword v86, off, s[0:3], 0 offset:448
	buffer_load_dword v89, off, s[0:3], 0 offset:444
	buffer_load_dword v88, off, s[0:3], 0 offset:440
	buffer_load_dword v91, off, s[0:3], 0 offset:436
	buffer_load_dword v90, off, s[0:3], 0 offset:432
	buffer_load_dword v93, off, s[0:3], 0 offset:492
	buffer_load_dword v92, off, s[0:3], 0 offset:488
	buffer_load_dword v95, off, s[0:3], 0 offset:484
	buffer_load_dword v94, off, s[0:3], 0 offset:480
	buffer_load_dword v97, off, s[0:3], 0 offset:476
	buffer_load_dword v96, off, s[0:3], 0 offset:472
	buffer_load_dword v99, off, s[0:3], 0 offset:468
	buffer_load_dword v98, off, s[0:3], 0 offset:464
	v_mul_f32_e32 v5, v5, v29
	v_fma_f32 v4, v4, v107, -v5
	v_mul_f32_e32 v5, v7, v78
	v_add_f32_e32 v4, 0, v4
	v_fma_f32 v5, v6, v106, -v5
	v_add_f32_e32 v4, v4, v5
	v_mul_f32_e32 v5, v9, v101
	v_fma_f32 v5, v8, v105, -v5
	v_add_f32_e32 v4, v4, v5
	v_mul_f32_e32 v5, v11, v80
	;; [unrolled: 3-line block ×30, first 2 shown]
	v_fma_f32 v5, v68, v160, -v5
	v_add_f32_e32 v4, v4, v5
	s_waitcnt vmcnt(20) lgkmcnt(1)
	v_mul_f32_e32 v5, v71, v163
	v_mul_f32_e32 v81, v70, v163
	v_fma_f32 v5, v70, v162, -v5
	v_fmac_f32_e32 v81, v71, v162
	v_add_f32_e32 v78, v4, v5
	s_waitcnt vmcnt(18)
	v_mul_f32_e32 v4, v73, v165
	s_waitcnt vmcnt(9)
	v_mov_b32_e32 v20, v91
	v_add_f32_e32 v79, v79, v81
	v_mul_f32_e32 v81, v72, v165
	v_fma_f32 v80, v72, v164, -v4
	s_waitcnt lgkmcnt(0)
	v_mul_f32_e32 v4, v75, v167
	v_pk_mul_f32 v[20:21], v[76:77], v[20:21] op_sel_hi:[1,0]
	v_fmac_f32_e32 v81, v73, v164
	v_mul_f32_e32 v83, v74, v167
	v_fma_f32 v82, v74, v166, -v4
	ds_read2_b64 v[4:7], v28 offset0:117 offset1:118
	ds_read2_b64 v[8:11], v28 offset0:119 offset1:120
	;; [unrolled: 1-line block ×3, first 2 shown]
	ds_read_b64 v[16:17], v28 offset:984
	s_waitcnt vmcnt(8)
	v_pk_fma_f32 v[22:23], v[76:77], v[90:91], v[20:21] op_sel:[0,0,1] op_sel_hi:[1,1,0] neg_lo:[0,0,1] neg_hi:[0,0,1]
	v_pk_fma_f32 v[20:21], v[76:77], v[90:91], v[20:21] op_sel:[0,0,1] op_sel_hi:[1,0,0]
	v_fmac_f32_e32 v83, v75, v166
	v_pk_add_f32 v[18:19], v[78:79], v[80:81]
	v_mov_b32_e32 v20, v89
	v_pk_add_f32 v[18:19], v[18:19], v[82:83]
	v_mov_b32_e32 v23, v21
	s_waitcnt lgkmcnt(3)
	v_pk_mul_f32 v[20:21], v[4:5], v[20:21] op_sel_hi:[1,0]
	v_pk_add_f32 v[18:19], v[18:19], v[22:23]
	v_pk_fma_f32 v[22:23], v[4:5], v[88:89], v[20:21] op_sel:[0,0,1] op_sel_hi:[1,1,0] neg_lo:[0,0,1] neg_hi:[0,0,1]
	v_pk_fma_f32 v[4:5], v[4:5], v[88:89], v[20:21] op_sel:[0,0,1] op_sel_hi:[1,0,0]
	v_mov_b32_e32 v23, v5
	v_pk_add_f32 v[4:5], v[18:19], v[22:23]
	v_mov_b32_e32 v18, v87
	v_pk_mul_f32 v[18:19], v[6:7], v[18:19] op_sel_hi:[1,0]
	v_pk_fma_f32 v[20:21], v[6:7], v[86:87], v[18:19] op_sel:[0,0,1] op_sel_hi:[1,1,0] neg_lo:[0,0,1] neg_hi:[0,0,1]
	v_pk_fma_f32 v[6:7], v[6:7], v[86:87], v[18:19] op_sel:[0,0,1] op_sel_hi:[1,0,0]
	v_mov_b32_e32 v6, v85
	v_mov_b32_e32 v21, v7
	s_waitcnt lgkmcnt(2)
	v_pk_mul_f32 v[6:7], v[8:9], v[6:7] op_sel_hi:[1,0]
	v_pk_fma_f32 v[18:19], v[8:9], v[84:85], v[6:7] op_sel:[0,0,1] op_sel_hi:[1,1,0] neg_lo:[0,0,1] neg_hi:[0,0,1]
	v_pk_fma_f32 v[6:7], v[8:9], v[84:85], v[6:7] op_sel:[0,0,1] op_sel_hi:[1,0,0]
	s_waitcnt vmcnt(1)
	v_mov_b32_e32 v6, v99
	v_mov_b32_e32 v19, v7
	v_pk_mul_f32 v[6:7], v[10:11], v[6:7] op_sel_hi:[1,0]
	s_waitcnt vmcnt(0)
	v_pk_fma_f32 v[8:9], v[10:11], v[98:99], v[6:7] op_sel:[0,0,1] op_sel_hi:[1,1,0] neg_lo:[0,0,1] neg_hi:[0,0,1]
	v_pk_fma_f32 v[6:7], v[10:11], v[98:99], v[6:7] op_sel:[0,0,1] op_sel_hi:[1,0,0]
	v_pk_add_f32 v[4:5], v[4:5], v[20:21]
	v_mov_b32_e32 v6, v97
	v_pk_add_f32 v[4:5], v[4:5], v[18:19]
	v_mov_b32_e32 v9, v7
	s_waitcnt lgkmcnt(1)
	v_pk_mul_f32 v[6:7], v[12:13], v[6:7] op_sel_hi:[1,0]
	v_pk_add_f32 v[4:5], v[4:5], v[8:9]
	v_pk_fma_f32 v[8:9], v[12:13], v[96:97], v[6:7] op_sel:[0,0,1] op_sel_hi:[1,1,0] neg_lo:[0,0,1] neg_hi:[0,0,1]
	v_pk_fma_f32 v[6:7], v[12:13], v[96:97], v[6:7] op_sel:[0,0,1] op_sel_hi:[1,0,0]
	v_mov_b32_e32 v6, v95
	v_mov_b32_e32 v9, v7
	v_pk_mul_f32 v[6:7], v[14:15], v[6:7] op_sel_hi:[1,0]
	v_pk_add_f32 v[4:5], v[4:5], v[8:9]
	v_pk_fma_f32 v[8:9], v[14:15], v[94:95], v[6:7] op_sel:[0,0,1] op_sel_hi:[1,1,0] neg_lo:[0,0,1] neg_hi:[0,0,1]
	v_pk_fma_f32 v[6:7], v[14:15], v[94:95], v[6:7] op_sel:[0,0,1] op_sel_hi:[1,0,0]
	v_mov_b32_e32 v6, v93
	v_mov_b32_e32 v9, v7
	s_waitcnt lgkmcnt(0)
	v_pk_mul_f32 v[6:7], v[16:17], v[6:7] op_sel_hi:[1,0]
	v_pk_add_f32 v[4:5], v[4:5], v[8:9]
	v_pk_fma_f32 v[8:9], v[16:17], v[92:93], v[6:7] op_sel:[0,0,1] op_sel_hi:[1,1,0] neg_lo:[0,0,1] neg_hi:[0,0,1]
	v_pk_fma_f32 v[6:7], v[16:17], v[92:93], v[6:7] op_sel:[0,0,1] op_sel_hi:[1,0,0]
	v_mov_b32_e32 v9, v7
	v_pk_add_f32 v[4:5], v[4:5], v[8:9]
	v_pk_add_f32 v[2:3], v[2:3], v[4:5] neg_lo:[0,1] neg_hi:[0,1]
	buffer_store_dword v3, off, s[0:3], 0 offset:148
	buffer_store_dword v2, off, s[0:3], 0 offset:144
	s_and_saveexec_b64 s[4:5], vcc
	s_cbranch_execz .LBB125_351
; %bb.350:
	buffer_load_dword v2, off, s[0:3], 0 offset:136
	buffer_load_dword v3, off, s[0:3], 0 offset:140
	s_waitcnt vmcnt(0)
	ds_write_b64 v210, v[2:3]
	buffer_store_dword v28, off, s[0:3], 0 offset:136
	buffer_store_dword v28, off, s[0:3], 0 offset:140
.LBB125_351:
	s_or_b64 exec, exec, s[4:5]
	s_waitcnt lgkmcnt(0)
	; wave barrier
	s_waitcnt lgkmcnt(0)
	buffer_load_dword v29, off, s[0:3], 0 offset:148
	buffer_load_dword v78, off, s[0:3], 0 offset:156
	buffer_load_dword v80, off, s[0:3], 0 offset:172
	buffer_load_dword v88, off, s[0:3], 0 offset:180
	buffer_load_dword v100, off, s[0:3], 0 offset:188
	buffer_load_dword v101, off, s[0:3], 0 offset:164
	buffer_load_dword v102, off, s[0:3], 0 offset:196
	buffer_load_dword v103, off, s[0:3], 0 offset:204
	buffer_load_dword v104, off, s[0:3], 0 offset:212
	buffer_load_dword v105, off, s[0:3], 0 offset:160
	buffer_load_dword v106, off, s[0:3], 0 offset:152
	buffer_load_dword v107, off, s[0:3], 0 offset:144
	buffer_load_dword v110, off, s[0:3], 0 offset:192
	buffer_load_dword v111, off, s[0:3], 0 offset:184
	buffer_load_dword v112, off, s[0:3], 0 offset:176
	buffer_load_dword v113, off, s[0:3], 0 offset:168
	buffer_load_dword v114, off, s[0:3], 0 offset:224
	buffer_load_dword v115, off, s[0:3], 0 offset:216
	buffer_load_dword v116, off, s[0:3], 0 offset:208
	buffer_load_dword v117, off, s[0:3], 0 offset:200
	buffer_load_dword v118, off, s[0:3], 0 offset:220
	buffer_load_dword v119, off, s[0:3], 0 offset:228
	buffer_load_dword v26, off, s[0:3], 0 offset:136
	buffer_load_dword v27, off, s[0:3], 0 offset:140
	buffer_load_dword v120, off, s[0:3], 0 offset:232
	buffer_load_dword v121, off, s[0:3], 0 offset:236
	ds_read_b128 v[22:25], v28 offset:640
	ds_read_b128 v[18:21], v28 offset:656
	;; [unrolled: 1-line block ×6, first 2 shown]
	buffer_load_dword v122, off, s[0:3], 0 offset:240
	buffer_load_dword v123, off, s[0:3], 0 offset:244
	;; [unrolled: 1-line block ×42, first 2 shown]
	v_cmp_lt_u32_e32 vcc, 16, v0
	s_waitcnt vmcnt(62) lgkmcnt(5)
	v_mul_f32_e32 v30, v22, v29
	v_mul_f32_e32 v31, v24, v78
	s_waitcnt lgkmcnt(4)
	v_mul_f32_e32 v33, v20, v80
	s_waitcnt lgkmcnt(3)
	v_mul_f32_e32 v34, v14, v88
	v_mul_f32_e32 v35, v16, v100
	;; [unrolled: 1-line block ×3, first 2 shown]
	s_waitcnt vmcnt(61) lgkmcnt(2)
	v_mul_f32_e32 v36, v10, v102
	s_waitcnt vmcnt(60)
	v_mul_f32_e32 v37, v12, v103
	s_waitcnt vmcnt(59) lgkmcnt(1)
	v_mul_f32_e32 v38, v6, v104
	s_waitcnt vmcnt(58)
	v_fmac_f32_e32 v32, v19, v105
	s_waitcnt vmcnt(57)
	v_fmac_f32_e32 v31, v25, v106
	;; [unrolled: 2-line block ×3, first 2 shown]
	v_add_f32_e32 v30, 0, v30
	v_add_f32_e32 v30, v30, v31
	;; [unrolled: 1-line block ×3, first 2 shown]
	s_waitcnt vmcnt(52)
	v_fmac_f32_e32 v33, v21, v113
	v_fmac_f32_e32 v34, v15, v112
	v_add_f32_e32 v30, v30, v33
	v_fmac_f32_e32 v35, v17, v111
	v_add_f32_e32 v30, v30, v34
	;; [unrolled: 2-line block ×3, first 2 shown]
	s_waitcnt vmcnt(48)
	v_fmac_f32_e32 v37, v13, v117
	v_add_f32_e32 v30, v30, v36
	v_fmac_f32_e32 v38, v7, v116
	v_add_f32_e32 v30, v30, v37
	s_waitcnt vmcnt(47)
	v_mul_f32_e32 v31, v8, v118
	v_add_f32_e32 v30, v30, v38
	v_fmac_f32_e32 v31, v9, v115
	v_add_f32_e32 v30, v30, v31
	s_waitcnt vmcnt(46) lgkmcnt(0)
	v_mul_f32_e32 v31, v2, v119
	v_fmac_f32_e32 v31, v3, v114
	v_add_f32_e32 v34, v30, v31
	ds_read_b128 v[30:33], v28 offset:736
	s_waitcnt vmcnt(42)
	v_mul_f32_e32 v35, v4, v121
	v_fmac_f32_e32 v35, v5, v120
	buffer_load_dword v164, off, s[0:3], 0 offset:408
	buffer_load_dword v165, off, s[0:3], 0 offset:412
	v_add_f32_e32 v38, v34, v35
	buffer_load_dword v166, off, s[0:3], 0 offset:416
	buffer_load_dword v167, off, s[0:3], 0 offset:420
	ds_read_b128 v[34:37], v28 offset:752
	s_waitcnt vmcnt(44) lgkmcnt(1)
	v_mul_f32_e32 v39, v30, v123
	v_fmac_f32_e32 v39, v31, v122
	v_add_f32_e32 v38, v38, v39
	s_waitcnt vmcnt(42)
	v_mul_f32_e32 v39, v32, v125
	v_fmac_f32_e32 v39, v33, v124
	v_add_f32_e32 v38, v38, v39
	s_waitcnt vmcnt(40) lgkmcnt(0)
	v_mul_f32_e32 v39, v34, v127
	v_fmac_f32_e32 v39, v35, v126
	buffer_load_dword v168, off, s[0:3], 0 offset:424
	buffer_load_dword v169, off, s[0:3], 0 offset:428
	v_add_f32_e32 v42, v38, v39
	ds_read_b128 v[38:41], v28 offset:768
	s_waitcnt vmcnt(40)
	v_mul_f32_e32 v43, v36, v129
	v_fmac_f32_e32 v43, v37, v128
	v_add_f32_e32 v46, v42, v43
	ds_read_b128 v[42:45], v28 offset:784
	s_waitcnt vmcnt(38) lgkmcnt(1)
	v_mul_f32_e32 v47, v38, v131
	v_fmac_f32_e32 v47, v39, v130
	v_add_f32_e32 v46, v46, v47
	s_waitcnt vmcnt(36)
	v_mul_f32_e32 v47, v40, v133
	v_fmac_f32_e32 v47, v41, v132
	v_add_f32_e32 v46, v46, v47
	s_waitcnt vmcnt(34) lgkmcnt(0)
	v_mul_f32_e32 v47, v42, v135
	v_fmac_f32_e32 v47, v43, v134
	v_add_f32_e32 v50, v46, v47
	ds_read_b128 v[46:49], v28 offset:800
	s_waitcnt vmcnt(32)
	v_mul_f32_e32 v51, v44, v137
	v_fmac_f32_e32 v51, v45, v136
	v_add_f32_e32 v54, v50, v51
	ds_read_b128 v[50:53], v28 offset:816
	s_waitcnt vmcnt(30) lgkmcnt(1)
	v_mul_f32_e32 v55, v46, v139
	v_fmac_f32_e32 v55, v47, v138
	v_add_f32_e32 v54, v54, v55
	s_waitcnt vmcnt(28)
	v_mul_f32_e32 v55, v48, v141
	v_fmac_f32_e32 v55, v49, v140
	v_add_f32_e32 v54, v54, v55
	s_waitcnt vmcnt(26) lgkmcnt(0)
	v_mul_f32_e32 v55, v50, v143
	v_fmac_f32_e32 v55, v51, v142
	;; [unrolled: 18-line block ×4, first 2 shown]
	s_waitcnt vmcnt(8)
	v_mul_f32_e32 v75, v68, v161
	v_add_f32_e32 v74, v70, v71
	v_fmac_f32_e32 v75, v69, v160
	ds_read_b128 v[70:73], v28 offset:896
	v_add_f32_e32 v79, v74, v75
	ds_read_b128 v[74:77], v28 offset:912
	buffer_load_dword v83, off, s[0:3], 0 offset:452
	buffer_load_dword v82, off, s[0:3], 0 offset:448
	buffer_load_dword v85, off, s[0:3], 0 offset:444
	buffer_load_dword v84, off, s[0:3], 0 offset:440
	buffer_load_dword v87, off, s[0:3], 0 offset:436
	buffer_load_dword v86, off, s[0:3], 0 offset:432
	buffer_load_dword v91, off, s[0:3], 0 offset:484
	buffer_load_dword v90, off, s[0:3], 0 offset:480
	buffer_load_dword v93, off, s[0:3], 0 offset:476
	buffer_load_dword v92, off, s[0:3], 0 offset:472
	buffer_load_dword v95, off, s[0:3], 0 offset:468
	buffer_load_dword v94, off, s[0:3], 0 offset:464
	buffer_load_dword v97, off, s[0:3], 0 offset:460
	buffer_load_dword v96, off, s[0:3], 0 offset:456
	buffer_load_dword v99, off, s[0:3], 0 offset:492
	buffer_load_dword v98, off, s[0:3], 0 offset:488
	v_mul_f32_e32 v23, v23, v29
	v_fma_f32 v22, v22, v107, -v23
	v_mul_f32_e32 v23, v25, v78
	v_add_f32_e32 v22, 0, v22
	v_fma_f32 v23, v24, v106, -v23
	v_mul_f32_e32 v19, v19, v101
	v_add_f32_e32 v22, v22, v23
	v_fma_f32 v18, v18, v105, -v19
	v_mul_f32_e32 v19, v21, v80
	v_add_f32_e32 v18, v22, v18
	v_fma_f32 v19, v20, v113, -v19
	v_mul_f32_e32 v15, v15, v88
	v_add_f32_e32 v18, v18, v19
	v_fma_f32 v14, v14, v112, -v15
	v_mul_f32_e32 v15, v17, v100
	v_add_f32_e32 v14, v18, v14
	v_fma_f32 v15, v16, v111, -v15
	v_mul_f32_e32 v11, v11, v102
	v_add_f32_e32 v14, v14, v15
	v_fma_f32 v10, v10, v110, -v11
	v_mul_f32_e32 v11, v13, v103
	v_add_f32_e32 v10, v14, v10
	v_fma_f32 v11, v12, v117, -v11
	v_mul_f32_e32 v7, v7, v104
	v_add_f32_e32 v10, v10, v11
	v_fma_f32 v6, v6, v116, -v7
	v_mul_f32_e32 v7, v9, v118
	v_add_f32_e32 v6, v10, v6
	v_fma_f32 v7, v8, v115, -v7
	v_mul_f32_e32 v3, v3, v119
	v_add_f32_e32 v6, v6, v7
	v_fma_f32 v2, v2, v114, -v3
	v_mul_f32_e32 v3, v5, v121
	v_add_f32_e32 v2, v6, v2
	v_fma_f32 v3, v4, v120, -v3
	v_add_f32_e32 v2, v2, v3
	v_mul_f32_e32 v3, v31, v123
	v_fma_f32 v3, v30, v122, -v3
	v_add_f32_e32 v2, v2, v3
	v_mul_f32_e32 v3, v33, v125
	;; [unrolled: 3-line block ×20, first 2 shown]
	v_fma_f32 v3, v68, v160, -v3
	v_add_f32_e32 v2, v2, v3
	s_waitcnt vmcnt(22) lgkmcnt(1)
	v_mul_f32_e32 v3, v71, v163
	v_fma_f32 v3, v70, v162, -v3
	v_add_f32_e32 v2, v2, v3
	s_waitcnt vmcnt(20)
	v_mul_f32_e32 v3, v73, v165
	v_mul_f32_e32 v81, v70, v163
	v_fma_f32 v3, v72, v164, -v3
	v_fmac_f32_e32 v81, v71, v162
	v_add_f32_e32 v78, v2, v3
	s_waitcnt vmcnt(18) lgkmcnt(0)
	v_mul_f32_e32 v2, v75, v167
	v_add_f32_e32 v79, v79, v81
	v_mul_f32_e32 v81, v72, v165
	v_fma_f32 v80, v74, v166, -v2
	s_waitcnt vmcnt(16)
	v_mul_f32_e32 v2, v77, v169
	v_fmac_f32_e32 v81, v73, v164
	v_fma_f32 v88, v76, v168, -v2
	ds_read_b128 v[2:5], v28 offset:928
	ds_read_b128 v[6:9], v28 offset:944
	;; [unrolled: 1-line block ×4, first 2 shown]
	v_add_f32_e32 v79, v79, v81
	v_mul_f32_e32 v81, v74, v167
	s_waitcnt vmcnt(11)
	v_mov_b32_e32 v20, v87
	v_fmac_f32_e32 v81, v75, v166
	v_mul_f32_e32 v89, v76, v169
	s_waitcnt lgkmcnt(3)
	v_pk_mul_f32 v[20:21], v[2:3], v[20:21] op_sel_hi:[1,0]
	v_fmac_f32_e32 v89, v77, v168
	v_pk_add_f32 v[18:19], v[78:79], v[80:81]
	s_waitcnt vmcnt(10)
	v_pk_fma_f32 v[22:23], v[2:3], v[86:87], v[20:21] op_sel:[0,0,1] op_sel_hi:[1,1,0] neg_lo:[0,0,1] neg_hi:[0,0,1]
	v_pk_fma_f32 v[2:3], v[2:3], v[86:87], v[20:21] op_sel:[0,0,1] op_sel_hi:[1,0,0]
	v_pk_add_f32 v[18:19], v[18:19], v[88:89]
	v_mov_b32_e32 v23, v3
	v_pk_add_f32 v[2:3], v[18:19], v[22:23]
	v_mov_b32_e32 v18, v85
	v_pk_mul_f32 v[18:19], v[4:5], v[18:19] op_sel_hi:[1,0]
	v_pk_fma_f32 v[20:21], v[4:5], v[84:85], v[18:19] op_sel:[0,0,1] op_sel_hi:[1,1,0] neg_lo:[0,0,1] neg_hi:[0,0,1]
	v_pk_fma_f32 v[4:5], v[4:5], v[84:85], v[18:19] op_sel:[0,0,1] op_sel_hi:[1,0,0]
	v_mov_b32_e32 v4, v83
	v_mov_b32_e32 v21, v5
	s_waitcnt lgkmcnt(2)
	v_pk_mul_f32 v[4:5], v[6:7], v[4:5] op_sel_hi:[1,0]
	v_pk_fma_f32 v[18:19], v[6:7], v[82:83], v[4:5] op_sel:[0,0,1] op_sel_hi:[1,1,0] neg_lo:[0,0,1] neg_hi:[0,0,1]
	v_pk_fma_f32 v[4:5], v[6:7], v[82:83], v[4:5] op_sel:[0,0,1] op_sel_hi:[1,0,0]
	s_waitcnt vmcnt(3)
	v_mov_b32_e32 v4, v97
	v_mov_b32_e32 v19, v5
	v_pk_mul_f32 v[4:5], v[8:9], v[4:5] op_sel_hi:[1,0]
	s_waitcnt vmcnt(2)
	v_pk_fma_f32 v[6:7], v[8:9], v[96:97], v[4:5] op_sel:[0,0,1] op_sel_hi:[1,1,0] neg_lo:[0,0,1] neg_hi:[0,0,1]
	v_pk_fma_f32 v[4:5], v[8:9], v[96:97], v[4:5] op_sel:[0,0,1] op_sel_hi:[1,0,0]
	v_pk_add_f32 v[2:3], v[2:3], v[20:21]
	v_mov_b32_e32 v4, v95
	v_pk_add_f32 v[2:3], v[2:3], v[18:19]
	v_mov_b32_e32 v7, v5
	s_waitcnt lgkmcnt(1)
	v_pk_mul_f32 v[4:5], v[10:11], v[4:5] op_sel_hi:[1,0]
	v_pk_add_f32 v[2:3], v[2:3], v[6:7]
	v_pk_fma_f32 v[6:7], v[10:11], v[94:95], v[4:5] op_sel:[0,0,1] op_sel_hi:[1,1,0] neg_lo:[0,0,1] neg_hi:[0,0,1]
	v_pk_fma_f32 v[4:5], v[10:11], v[94:95], v[4:5] op_sel:[0,0,1] op_sel_hi:[1,0,0]
	v_mov_b32_e32 v4, v93
	v_mov_b32_e32 v7, v5
	v_pk_mul_f32 v[4:5], v[12:13], v[4:5] op_sel_hi:[1,0]
	v_pk_add_f32 v[2:3], v[2:3], v[6:7]
	v_pk_fma_f32 v[6:7], v[12:13], v[92:93], v[4:5] op_sel:[0,0,1] op_sel_hi:[1,1,0] neg_lo:[0,0,1] neg_hi:[0,0,1]
	v_pk_fma_f32 v[4:5], v[12:13], v[92:93], v[4:5] op_sel:[0,0,1] op_sel_hi:[1,0,0]
	v_mov_b32_e32 v4, v91
	v_mov_b32_e32 v7, v5
	s_waitcnt lgkmcnt(0)
	v_pk_mul_f32 v[4:5], v[14:15], v[4:5] op_sel_hi:[1,0]
	v_pk_add_f32 v[2:3], v[2:3], v[6:7]
	v_pk_fma_f32 v[6:7], v[14:15], v[90:91], v[4:5] op_sel:[0,0,1] op_sel_hi:[1,1,0] neg_lo:[0,0,1] neg_hi:[0,0,1]
	v_pk_fma_f32 v[4:5], v[14:15], v[90:91], v[4:5] op_sel:[0,0,1] op_sel_hi:[1,0,0]
	s_waitcnt vmcnt(1)
	v_mov_b32_e32 v4, v99
	v_mov_b32_e32 v7, v5
	v_pk_mul_f32 v[4:5], v[16:17], v[4:5] op_sel_hi:[1,0]
	v_pk_add_f32 v[2:3], v[2:3], v[6:7]
	s_waitcnt vmcnt(0)
	v_pk_fma_f32 v[6:7], v[16:17], v[98:99], v[4:5] op_sel:[0,0,1] op_sel_hi:[1,1,0] neg_lo:[0,0,1] neg_hi:[0,0,1]
	v_pk_fma_f32 v[4:5], v[16:17], v[98:99], v[4:5] op_sel:[0,0,1] op_sel_hi:[1,0,0]
	v_mov_b32_e32 v7, v5
	v_pk_add_f32 v[2:3], v[2:3], v[6:7]
	v_pk_add_f32 v[2:3], v[26:27], v[2:3] neg_lo:[0,1] neg_hi:[0,1]
	buffer_store_dword v3, off, s[0:3], 0 offset:140
	buffer_store_dword v2, off, s[0:3], 0 offset:136
	s_and_saveexec_b64 s[4:5], vcc
	s_cbranch_execz .LBB125_353
; %bb.352:
	buffer_load_dword v2, off, s[0:3], 0 offset:128
	buffer_load_dword v3, off, s[0:3], 0 offset:132
	v_mov_b32_e32 v4, 0
	buffer_store_dword v4, off, s[0:3], 0 offset:128
	buffer_store_dword v4, off, s[0:3], 0 offset:132
	s_waitcnt vmcnt(2)
	ds_write_b64 v210, v[2:3]
.LBB125_353:
	s_or_b64 exec, exec, s[4:5]
	v_mov_b32_e32 v102, 0
	s_waitcnt lgkmcnt(0)
	; wave barrier
	s_waitcnt lgkmcnt(0)
	ds_read2_b64 v[2:5], v102 offset0:79 offset1:80
	buffer_load_dword v78, off, s[0:3], 0 offset:128
	buffer_load_dword v79, off, s[0:3], 0 offset:132
	;; [unrolled: 1-line block ×16, first 2 shown]
	v_cmp_lt_u32_e32 vcc, 15, v0
	s_waitcnt vmcnt(12) lgkmcnt(0)
	v_mul_f32_e32 v6, v2, v103
	v_fmac_f32_e32 v6, v3, v80
	s_waitcnt vmcnt(10)
	v_mul_f32_e32 v7, v4, v105
	v_add_f32_e32 v6, 0, v6
	v_fmac_f32_e32 v7, v5, v82
	v_add_f32_e32 v10, v6, v7
	ds_read2_b64 v[6:9], v102 offset0:81 offset1:82
	v_mul_f32_e32 v3, v3, v103
	v_fma_f32 v2, v2, v80, -v3
	v_mul_f32_e32 v3, v5, v105
	v_add_f32_e32 v2, 0, v2
	s_waitcnt vmcnt(8) lgkmcnt(0)
	v_mul_f32_e32 v11, v6, v107
	v_fmac_f32_e32 v11, v7, v86
	v_add_f32_e32 v10, v10, v11
	s_waitcnt vmcnt(6)
	v_mul_f32_e32 v11, v8, v111
	v_fmac_f32_e32 v11, v9, v104
	v_add_f32_e32 v14, v10, v11
	ds_read2_b64 v[10:13], v102 offset0:83 offset1:84
	v_fma_f32 v3, v4, v82, -v3
	v_add_f32_e32 v2, v2, v3
	v_mul_f32_e32 v3, v7, v107
	v_fma_f32 v3, v6, v86, -v3
	s_waitcnt vmcnt(4) lgkmcnt(0)
	v_mul_f32_e32 v15, v10, v113
	v_fmac_f32_e32 v15, v11, v106
	v_add_f32_e32 v14, v14, v15
	s_waitcnt vmcnt(2)
	v_mul_f32_e32 v15, v12, v114
	v_fmac_f32_e32 v15, v13, v110
	v_add_f32_e32 v18, v14, v15
	ds_read2_b64 v[14:17], v102 offset0:85 offset1:86
	buffer_load_dword v116, off, s[0:3], 0 offset:192
	buffer_load_dword v117, off, s[0:3], 0 offset:196
	v_add_f32_e32 v2, v2, v3
	v_mul_f32_e32 v3, v9, v111
	v_fma_f32 v3, v8, v104, -v3
	s_waitcnt vmcnt(2) lgkmcnt(0)
	v_mul_f32_e32 v19, v14, v115
	v_fmac_f32_e32 v19, v15, v112
	v_add_f32_e32 v18, v18, v19
	v_add_f32_e32 v2, v2, v3
	v_mul_f32_e32 v3, v11, v113
	v_fma_f32 v3, v10, v106, -v3
	v_add_f32_e32 v2, v2, v3
	v_mul_f32_e32 v3, v13, v114
	v_fma_f32 v3, v12, v110, -v3
	;; [unrolled: 3-line block ×3, first 2 shown]
	v_add_f32_e32 v2, v2, v3
	s_waitcnt vmcnt(0)
	v_mul_f32_e32 v19, v16, v117
	v_fmac_f32_e32 v19, v17, v116
	v_add_f32_e32 v22, v18, v19
	ds_read2_b64 v[18:21], v102 offset0:87 offset1:88
	buffer_load_dword v118, off, s[0:3], 0 offset:200
	buffer_load_dword v119, off, s[0:3], 0 offset:204
	buffer_load_dword v120, off, s[0:3], 0 offset:208
	buffer_load_dword v121, off, s[0:3], 0 offset:212
	v_mul_f32_e32 v3, v17, v117
	v_fma_f32 v3, v16, v116, -v3
	v_add_f32_e32 v2, v2, v3
	s_waitcnt vmcnt(2) lgkmcnt(0)
	v_mul_f32_e32 v23, v18, v119
	v_fmac_f32_e32 v23, v19, v118
	v_add_f32_e32 v22, v22, v23
	s_waitcnt vmcnt(0)
	v_mul_f32_e32 v23, v20, v121
	v_fmac_f32_e32 v23, v21, v120
	v_add_f32_e32 v26, v22, v23
	ds_read2_b64 v[22:25], v102 offset0:89 offset1:90
	buffer_load_dword v122, off, s[0:3], 0 offset:216
	buffer_load_dword v123, off, s[0:3], 0 offset:220
	buffer_load_dword v124, off, s[0:3], 0 offset:224
	buffer_load_dword v125, off, s[0:3], 0 offset:228
	ds_read2_b64 v[30:33], v102 offset0:91 offset1:92
	buffer_load_dword v126, off, s[0:3], 0 offset:232
	buffer_load_dword v127, off, s[0:3], 0 offset:236
	buffer_load_dword v128, off, s[0:3], 0 offset:240
	buffer_load_dword v129, off, s[0:3], 0 offset:244
	;; [unrolled: 5-line block ×13, first 2 shown]
	v_mul_f32_e32 v3, v19, v119
	v_fma_f32 v3, v18, v118, -v3
	v_add_f32_e32 v2, v2, v3
	v_mul_f32_e32 v3, v21, v121
	v_fma_f32 v3, v20, v120, -v3
	v_add_f32_e32 v2, v2, v3
	s_waitcnt vmcnt(50) lgkmcnt(12)
	v_mul_f32_e32 v27, v22, v123
	v_fmac_f32_e32 v27, v23, v122
	v_add_f32_e32 v26, v26, v27
	s_waitcnt vmcnt(48)
	v_mul_f32_e32 v27, v24, v125
	v_fmac_f32_e32 v27, v25, v124
	v_add_f32_e32 v26, v26, v27
	s_waitcnt vmcnt(46) lgkmcnt(11)
	v_mul_f32_e32 v27, v30, v127
	v_fmac_f32_e32 v27, v31, v126
	v_add_f32_e32 v26, v26, v27
	s_waitcnt vmcnt(44)
	v_mul_f32_e32 v27, v32, v129
	v_fmac_f32_e32 v27, v33, v128
	;; [unrolled: 8-line block ×12, first 2 shown]
	v_add_f32_e32 v26, v26, v27
	s_waitcnt vmcnt(2) lgkmcnt(0)
	v_mul_f32_e32 v27, v74, v171
	v_fmac_f32_e32 v27, v75, v170
	v_add_f32_e32 v81, v26, v27
	ds_read2_b64 v[26:29], v102 offset0:115 offset1:116
	buffer_load_dword v174, off, s[0:3], 0 offset:424
	buffer_load_dword v175, off, s[0:3], 0 offset:428
	;; [unrolled: 1-line block ×18, first 2 shown]
	v_mul_f32_e32 v3, v23, v123
	v_fma_f32 v3, v22, v122, -v3
	v_add_f32_e32 v2, v2, v3
	v_mul_f32_e32 v3, v25, v125
	v_fma_f32 v3, v24, v124, -v3
	v_add_f32_e32 v2, v2, v3
	;; [unrolled: 3-line block ×25, first 2 shown]
	s_waitcnt vmcnt(18)
	v_mul_f32_e32 v2, v77, v173
	s_waitcnt vmcnt(15)
	v_mov_b32_e32 v18, v85
	v_mul_f32_e32 v83, v76, v173
	v_fma_f32 v82, v76, v172, -v2
	s_waitcnt lgkmcnt(0)
	v_mul_f32_e32 v2, v27, v175
	v_pk_mul_f32 v[18:19], v[28:29], v[18:19] op_sel_hi:[1,0]
	v_fmac_f32_e32 v83, v77, v172
	v_mul_f32_e32 v87, v26, v175
	v_fma_f32 v86, v26, v174, -v2
	ds_read2_b64 v[2:5], v102 offset0:117 offset1:118
	ds_read2_b64 v[6:9], v102 offset0:119 offset1:120
	;; [unrolled: 1-line block ×3, first 2 shown]
	ds_read_b64 v[14:15], v102 offset:984
	s_waitcnt vmcnt(14)
	v_pk_fma_f32 v[20:21], v[28:29], v[84:85], v[18:19] op_sel:[0,0,1] op_sel_hi:[1,1,0] neg_lo:[0,0,1] neg_hi:[0,0,1]
	v_pk_fma_f32 v[18:19], v[28:29], v[84:85], v[18:19] op_sel:[0,0,1] op_sel_hi:[1,0,0]
	v_fmac_f32_e32 v87, v27, v174
	v_pk_add_f32 v[16:17], v[80:81], v[82:83]
	s_waitcnt vmcnt(13)
	v_mov_b32_e32 v18, v101
	v_pk_add_f32 v[16:17], v[16:17], v[86:87]
	v_mov_b32_e32 v21, v19
	s_waitcnt lgkmcnt(3)
	v_pk_mul_f32 v[18:19], v[2:3], v[18:19] op_sel_hi:[1,0]
	v_pk_add_f32 v[16:17], v[16:17], v[20:21]
	s_waitcnt vmcnt(12)
	v_pk_fma_f32 v[20:21], v[2:3], v[100:101], v[18:19] op_sel:[0,0,1] op_sel_hi:[1,1,0] neg_lo:[0,0,1] neg_hi:[0,0,1]
	v_pk_fma_f32 v[2:3], v[2:3], v[100:101], v[18:19] op_sel:[0,0,1] op_sel_hi:[1,0,0]
	v_mov_b32_e32 v21, v3
	v_pk_add_f32 v[2:3], v[16:17], v[20:21]
	s_waitcnt vmcnt(11)
	v_mov_b32_e32 v16, v99
	v_pk_mul_f32 v[16:17], v[4:5], v[16:17] op_sel_hi:[1,0]
	s_waitcnt vmcnt(10)
	v_pk_fma_f32 v[18:19], v[4:5], v[98:99], v[16:17] op_sel:[0,0,1] op_sel_hi:[1,1,0] neg_lo:[0,0,1] neg_hi:[0,0,1]
	v_pk_fma_f32 v[4:5], v[4:5], v[98:99], v[16:17] op_sel:[0,0,1] op_sel_hi:[1,0,0]
	s_waitcnt vmcnt(9)
	v_mov_b32_e32 v4, v97
	v_mov_b32_e32 v19, v5
	s_waitcnt lgkmcnt(2)
	v_pk_mul_f32 v[4:5], v[6:7], v[4:5] op_sel_hi:[1,0]
	s_waitcnt vmcnt(8)
	v_pk_fma_f32 v[16:17], v[6:7], v[96:97], v[4:5] op_sel:[0,0,1] op_sel_hi:[1,1,0] neg_lo:[0,0,1] neg_hi:[0,0,1]
	v_pk_fma_f32 v[4:5], v[6:7], v[96:97], v[4:5] op_sel:[0,0,1] op_sel_hi:[1,0,0]
	s_waitcnt vmcnt(7)
	v_mov_b32_e32 v4, v95
	v_mov_b32_e32 v17, v5
	v_pk_mul_f32 v[4:5], v[8:9], v[4:5] op_sel_hi:[1,0]
	s_waitcnt vmcnt(6)
	v_pk_fma_f32 v[6:7], v[8:9], v[94:95], v[4:5] op_sel:[0,0,1] op_sel_hi:[1,1,0] neg_lo:[0,0,1] neg_hi:[0,0,1]
	v_pk_fma_f32 v[4:5], v[8:9], v[94:95], v[4:5] op_sel:[0,0,1] op_sel_hi:[1,0,0]
	v_pk_add_f32 v[2:3], v[2:3], v[18:19]
	s_waitcnt vmcnt(5)
	v_mov_b32_e32 v4, v93
	v_pk_add_f32 v[2:3], v[2:3], v[16:17]
	v_mov_b32_e32 v7, v5
	s_waitcnt lgkmcnt(1)
	v_pk_mul_f32 v[4:5], v[10:11], v[4:5] op_sel_hi:[1,0]
	v_pk_add_f32 v[2:3], v[2:3], v[6:7]
	s_waitcnt vmcnt(4)
	v_pk_fma_f32 v[6:7], v[10:11], v[92:93], v[4:5] op_sel:[0,0,1] op_sel_hi:[1,1,0] neg_lo:[0,0,1] neg_hi:[0,0,1]
	v_pk_fma_f32 v[4:5], v[10:11], v[92:93], v[4:5] op_sel:[0,0,1] op_sel_hi:[1,0,0]
	s_waitcnt vmcnt(3)
	v_mov_b32_e32 v4, v91
	v_mov_b32_e32 v7, v5
	v_pk_mul_f32 v[4:5], v[12:13], v[4:5] op_sel_hi:[1,0]
	v_pk_add_f32 v[2:3], v[2:3], v[6:7]
	s_waitcnt vmcnt(2)
	v_pk_fma_f32 v[6:7], v[12:13], v[90:91], v[4:5] op_sel:[0,0,1] op_sel_hi:[1,1,0] neg_lo:[0,0,1] neg_hi:[0,0,1]
	v_pk_fma_f32 v[4:5], v[12:13], v[90:91], v[4:5] op_sel:[0,0,1] op_sel_hi:[1,0,0]
	s_waitcnt vmcnt(1)
	v_mov_b32_e32 v4, v89
	v_mov_b32_e32 v7, v5
	s_waitcnt lgkmcnt(0)
	v_pk_mul_f32 v[4:5], v[14:15], v[4:5] op_sel_hi:[1,0]
	v_pk_add_f32 v[2:3], v[2:3], v[6:7]
	s_waitcnt vmcnt(0)
	v_pk_fma_f32 v[6:7], v[14:15], v[88:89], v[4:5] op_sel:[0,0,1] op_sel_hi:[1,1,0] neg_lo:[0,0,1] neg_hi:[0,0,1]
	v_pk_fma_f32 v[4:5], v[14:15], v[88:89], v[4:5] op_sel:[0,0,1] op_sel_hi:[1,0,0]
	v_mov_b32_e32 v7, v5
	v_pk_add_f32 v[2:3], v[2:3], v[6:7]
	v_pk_add_f32 v[2:3], v[78:79], v[2:3] neg_lo:[0,1] neg_hi:[0,1]
	buffer_store_dword v3, off, s[0:3], 0 offset:132
	buffer_store_dword v2, off, s[0:3], 0 offset:128
	s_and_saveexec_b64 s[4:5], vcc
	s_cbranch_execz .LBB125_355
; %bb.354:
	buffer_load_dword v2, off, s[0:3], 0 offset:120
	buffer_load_dword v3, off, s[0:3], 0 offset:124
	s_waitcnt vmcnt(0)
	ds_write_b64 v210, v[2:3]
	buffer_store_dword v102, off, s[0:3], 0 offset:120
	buffer_store_dword v102, off, s[0:3], 0 offset:124
.LBB125_355:
	s_or_b64 exec, exec, s[4:5]
	s_waitcnt lgkmcnt(0)
	; wave barrier
	s_waitcnt lgkmcnt(0)
	buffer_load_dword v86, off, s[0:3], 0 offset:132
	buffer_load_dword v88, off, s[0:3], 0 offset:140
	;; [unrolled: 1-line block ×32, first 2 shown]
	ds_read_b128 v[22:25], v102 offset:624
	ds_read_b128 v[18:21], v102 offset:640
	ds_read_b128 v[14:17], v102 offset:656
	ds_read_b128 v[10:13], v102 offset:672
	ds_read_b128 v[6:9], v102 offset:688
	ds_read_b128 v[2:5], v102 offset:704
	buffer_load_dword v136, off, s[0:3], 0 offset:248
	buffer_load_dword v137, off, s[0:3], 0 offset:252
	;; [unrolled: 1-line block ×32, first 2 shown]
	v_cmp_lt_u32_e32 vcc, 14, v0
	s_waitcnt vmcnt(62) lgkmcnt(5)
	v_mul_f32_e32 v28, v22, v86
	v_mul_f32_e32 v29, v24, v88
	s_waitcnt vmcnt(61) lgkmcnt(4)
	v_mul_f32_e32 v31, v20, v90
	s_waitcnt vmcnt(60) lgkmcnt(3)
	v_mul_f32_e32 v32, v14, v103
	s_waitcnt vmcnt(59)
	v_mul_f32_e32 v33, v16, v110
	s_waitcnt vmcnt(58)
	v_mul_f32_e32 v30, v18, v111
	s_waitcnt vmcnt(57) lgkmcnt(2)
	v_mul_f32_e32 v34, v10, v112
	s_waitcnt vmcnt(56)
	v_mul_f32_e32 v35, v12, v113
	s_waitcnt vmcnt(55) lgkmcnt(1)
	v_mul_f32_e32 v36, v6, v114
	s_waitcnt vmcnt(54)
	v_mul_f32_e32 v37, v8, v115
	s_waitcnt vmcnt(53)
	v_fmac_f32_e32 v30, v19, v116
	s_waitcnt vmcnt(52)
	v_fmac_f32_e32 v29, v25, v117
	;; [unrolled: 2-line block ×3, first 2 shown]
	v_add_f32_e32 v28, 0, v28
	v_add_f32_e32 v28, v28, v29
	;; [unrolled: 1-line block ×3, first 2 shown]
	s_waitcnt vmcnt(47)
	v_fmac_f32_e32 v31, v21, v122
	v_fmac_f32_e32 v32, v15, v121
	v_add_f32_e32 v28, v28, v31
	v_fmac_f32_e32 v33, v17, v120
	v_add_f32_e32 v28, v28, v32
	;; [unrolled: 2-line block ×3, first 2 shown]
	s_waitcnt vmcnt(43)
	v_fmac_f32_e32 v35, v13, v126
	v_add_f32_e32 v28, v28, v34
	v_fmac_f32_e32 v36, v7, v125
	v_add_f32_e32 v28, v28, v35
	;; [unrolled: 2-line block ×3, first 2 shown]
	s_waitcnt vmcnt(42) lgkmcnt(0)
	v_mul_f32_e32 v29, v2, v127
	v_add_f32_e32 v28, v28, v37
	v_fmac_f32_e32 v29, v3, v123
	v_add_f32_e32 v32, v28, v29
	ds_read_b128 v[28:31], v102 offset:720
	buffer_load_dword v168, off, s[0:3], 0 offset:376
	buffer_load_dword v169, off, s[0:3], 0 offset:380
	s_waitcnt vmcnt(43)
	v_mul_f32_e32 v33, v4, v128
	s_waitcnt vmcnt(36)
	v_fmac_f32_e32 v33, v5, v135
	v_add_f32_e32 v36, v32, v33
	ds_read_b128 v[32:35], v102 offset:736
	buffer_load_dword v170, off, s[0:3], 0 offset:384
	buffer_load_dword v171, off, s[0:3], 0 offset:388
	;; [unrolled: 1-line block ×8, first 2 shown]
	s_waitcnt lgkmcnt(1)
	v_mul_f32_e32 v37, v28, v130
	v_fmac_f32_e32 v37, v29, v129
	v_add_f32_e32 v36, v36, v37
	v_mul_f32_e32 v37, v30, v132
	v_fmac_f32_e32 v37, v31, v131
	v_add_f32_e32 v36, v36, v37
	s_waitcnt lgkmcnt(0)
	v_mul_f32_e32 v37, v32, v134
	v_fmac_f32_e32 v37, v33, v133
	v_add_f32_e32 v40, v36, v37
	buffer_load_dword v178, off, s[0:3], 0 offset:416
	buffer_load_dword v179, off, s[0:3], 0 offset:420
	;; [unrolled: 1-line block ×4, first 2 shown]
	ds_read_b128 v[36:39], v102 offset:752
	s_waitcnt vmcnt(44)
	v_mul_f32_e32 v41, v34, v137
	v_fmac_f32_e32 v41, v35, v136
	v_add_f32_e32 v44, v40, v41
	ds_read_b128 v[40:43], v102 offset:768
	s_waitcnt vmcnt(42) lgkmcnt(1)
	v_mul_f32_e32 v45, v36, v139
	v_fmac_f32_e32 v45, v37, v138
	v_add_f32_e32 v44, v44, v45
	s_waitcnt vmcnt(40)
	v_mul_f32_e32 v45, v38, v141
	v_fmac_f32_e32 v45, v39, v140
	v_add_f32_e32 v44, v44, v45
	s_waitcnt vmcnt(38) lgkmcnt(0)
	v_mul_f32_e32 v45, v40, v143
	v_fmac_f32_e32 v45, v41, v142
	v_add_f32_e32 v48, v44, v45
	ds_read_b128 v[44:47], v102 offset:784
	s_waitcnt vmcnt(36)
	v_mul_f32_e32 v49, v42, v145
	v_fmac_f32_e32 v49, v43, v144
	v_add_f32_e32 v52, v48, v49
	ds_read_b128 v[48:51], v102 offset:800
	s_waitcnt vmcnt(34) lgkmcnt(1)
	v_mul_f32_e32 v53, v44, v147
	v_fmac_f32_e32 v53, v45, v146
	v_add_f32_e32 v52, v52, v53
	s_waitcnt vmcnt(32)
	v_mul_f32_e32 v53, v46, v149
	v_fmac_f32_e32 v53, v47, v148
	v_add_f32_e32 v52, v52, v53
	s_waitcnt vmcnt(30) lgkmcnt(0)
	v_mul_f32_e32 v53, v48, v151
	v_fmac_f32_e32 v53, v49, v150
	v_add_f32_e32 v56, v52, v53
	;; [unrolled: 18-line block ×4, first 2 shown]
	ds_read_b128 v[68:71], v102 offset:880
	v_mul_f32_e32 v23, v23, v86
	v_fma_f32 v22, v22, v118, -v23
	v_mul_f32_e32 v23, v25, v88
	v_add_f32_e32 v22, 0, v22
	s_waitcnt vmcnt(12)
	v_mul_f32_e32 v73, v66, v169
	v_fmac_f32_e32 v73, v67, v168
	v_add_f32_e32 v76, v72, v73
	ds_read_b128 v[72:75], v102 offset:896
	buffer_load_dword v85, off, s[0:3], 0 offset:436
	buffer_load_dword v84, off, s[0:3], 0 offset:432
	s_waitcnt vmcnt(12) lgkmcnt(1)
	v_mul_f32_e32 v77, v68, v171
	v_fmac_f32_e32 v77, v69, v170
	v_add_f32_e32 v76, v76, v77
	s_waitcnt vmcnt(10)
	v_mul_f32_e32 v77, v70, v173
	v_fmac_f32_e32 v77, v71, v172
	v_add_f32_e32 v76, v76, v77
	s_waitcnt vmcnt(8) lgkmcnt(0)
	v_mul_f32_e32 v77, v72, v175
	v_fmac_f32_e32 v77, v73, v174
	s_waitcnt vmcnt(6)
	v_mul_f32_e32 v81, v74, v177
	v_add_f32_e32 v80, v76, v77
	v_fmac_f32_e32 v81, v75, v176
	ds_read_b128 v[76:79], v102 offset:912
	v_add_f32_e32 v87, v80, v81
	ds_read_b128 v[80:83], v102 offset:928
	buffer_load_dword v93, off, s[0:3], 0 offset:468
	buffer_load_dword v92, off, s[0:3], 0 offset:464
	;; [unrolled: 1-line block ×14, first 2 shown]
	v_fma_f32 v23, v24, v117, -v23
	v_mul_f32_e32 v19, v19, v111
	v_add_f32_e32 v22, v22, v23
	v_fma_f32 v18, v18, v116, -v19
	v_mul_f32_e32 v19, v21, v90
	v_add_f32_e32 v18, v22, v18
	;; [unrolled: 3-line block ×10, first 2 shown]
	v_fma_f32 v3, v4, v135, -v3
	v_add_f32_e32 v2, v2, v3
	v_mul_f32_e32 v3, v29, v130
	v_fma_f32 v3, v28, v129, -v3
	v_add_f32_e32 v2, v2, v3
	v_mul_f32_e32 v3, v31, v132
	;; [unrolled: 3-line block ×24, first 2 shown]
	v_fma_f32 v3, v74, v176, -v3
	s_waitcnt vmcnt(15)
	v_mov_b32_e32 v16, v85
	s_waitcnt lgkmcnt(1)
	v_mul_f32_e32 v89, v76, v179
	v_add_f32_e32 v86, v2, v3
	v_mul_f32_e32 v2, v77, v179
	s_waitcnt lgkmcnt(0)
	v_pk_mul_f32 v[16:17], v[80:81], v[16:17] op_sel_hi:[1,0]
	v_fmac_f32_e32 v89, v77, v178
	v_mul_f32_e32 v91, v78, v181
	v_fma_f32 v88, v76, v178, -v2
	v_mul_f32_e32 v2, v79, v181
	s_waitcnt vmcnt(14)
	v_pk_fma_f32 v[18:19], v[80:81], v[84:85], v[16:17] op_sel:[0,0,1] op_sel_hi:[1,1,0] neg_lo:[0,0,1] neg_hi:[0,0,1]
	v_pk_fma_f32 v[16:17], v[80:81], v[84:85], v[16:17] op_sel:[0,0,1] op_sel_hi:[1,0,0]
	v_fmac_f32_e32 v91, v79, v180
	v_fma_f32 v90, v78, v180, -v2
	v_pk_add_f32 v[14:15], v[86:87], v[88:89]
	s_waitcnt vmcnt(7)
	v_mov_b32_e32 v16, v99
	ds_read_b128 v[2:5], v102 offset:944
	ds_read_b128 v[6:9], v102 offset:960
	;; [unrolled: 1-line block ×3, first 2 shown]
	v_pk_add_f32 v[14:15], v[14:15], v[90:91]
	v_mov_b32_e32 v19, v17
	v_pk_mul_f32 v[16:17], v[82:83], v[16:17] op_sel_hi:[1,0]
	v_pk_add_f32 v[14:15], v[14:15], v[18:19]
	s_waitcnt vmcnt(6)
	v_pk_fma_f32 v[18:19], v[82:83], v[98:99], v[16:17] op_sel:[0,0,1] op_sel_hi:[1,1,0] neg_lo:[0,0,1] neg_hi:[0,0,1]
	v_pk_fma_f32 v[16:17], v[82:83], v[98:99], v[16:17] op_sel:[0,0,1] op_sel_hi:[1,0,0]
	v_mov_b32_e32 v16, v97
	v_mov_b32_e32 v19, v17
	s_waitcnt lgkmcnt(2)
	v_pk_mul_f32 v[16:17], v[2:3], v[16:17] op_sel_hi:[1,0]
	v_pk_add_f32 v[14:15], v[14:15], v[18:19]
	v_pk_fma_f32 v[18:19], v[2:3], v[96:97], v[16:17] op_sel:[0,0,1] op_sel_hi:[1,1,0] neg_lo:[0,0,1] neg_hi:[0,0,1]
	v_pk_fma_f32 v[2:3], v[2:3], v[96:97], v[16:17] op_sel:[0,0,1] op_sel_hi:[1,0,0]
	v_mov_b32_e32 v19, v3
	v_pk_add_f32 v[2:3], v[14:15], v[18:19]
	v_mov_b32_e32 v14, v95
	v_pk_mul_f32 v[14:15], v[4:5], v[14:15] op_sel_hi:[1,0]
	v_pk_fma_f32 v[16:17], v[4:5], v[94:95], v[14:15] op_sel:[0,0,1] op_sel_hi:[1,1,0] neg_lo:[0,0,1] neg_hi:[0,0,1]
	v_pk_fma_f32 v[4:5], v[4:5], v[94:95], v[14:15] op_sel:[0,0,1] op_sel_hi:[1,0,0]
	v_mov_b32_e32 v4, v93
	v_mov_b32_e32 v17, v5
	s_waitcnt lgkmcnt(1)
	v_pk_mul_f32 v[4:5], v[6:7], v[4:5] op_sel_hi:[1,0]
	v_pk_fma_f32 v[14:15], v[6:7], v[92:93], v[4:5] op_sel:[0,0,1] op_sel_hi:[1,1,0] neg_lo:[0,0,1] neg_hi:[0,0,1]
	v_pk_fma_f32 v[4:5], v[6:7], v[92:93], v[4:5] op_sel:[0,0,1] op_sel_hi:[1,0,0]
	s_waitcnt vmcnt(1)
	v_mov_b32_e32 v4, v107
	v_mov_b32_e32 v15, v5
	v_pk_mul_f32 v[4:5], v[8:9], v[4:5] op_sel_hi:[1,0]
	s_waitcnt vmcnt(0)
	v_pk_fma_f32 v[6:7], v[8:9], v[106:107], v[4:5] op_sel:[0,0,1] op_sel_hi:[1,1,0] neg_lo:[0,0,1] neg_hi:[0,0,1]
	v_pk_fma_f32 v[4:5], v[8:9], v[106:107], v[4:5] op_sel:[0,0,1] op_sel_hi:[1,0,0]
	v_pk_add_f32 v[2:3], v[2:3], v[16:17]
	v_mov_b32_e32 v4, v105
	v_pk_add_f32 v[2:3], v[2:3], v[14:15]
	v_mov_b32_e32 v7, v5
	s_waitcnt lgkmcnt(0)
	v_pk_mul_f32 v[4:5], v[10:11], v[4:5] op_sel_hi:[1,0]
	v_pk_add_f32 v[2:3], v[2:3], v[6:7]
	v_pk_fma_f32 v[6:7], v[10:11], v[104:105], v[4:5] op_sel:[0,0,1] op_sel_hi:[1,1,0] neg_lo:[0,0,1] neg_hi:[0,0,1]
	v_pk_fma_f32 v[4:5], v[10:11], v[104:105], v[4:5] op_sel:[0,0,1] op_sel_hi:[1,0,0]
	v_mov_b32_e32 v4, v101
	v_mov_b32_e32 v7, v5
	v_pk_mul_f32 v[4:5], v[12:13], v[4:5] op_sel_hi:[1,0]
	v_pk_add_f32 v[2:3], v[2:3], v[6:7]
	v_pk_fma_f32 v[6:7], v[12:13], v[100:101], v[4:5] op_sel:[0,0,1] op_sel_hi:[1,1,0] neg_lo:[0,0,1] neg_hi:[0,0,1]
	v_pk_fma_f32 v[4:5], v[12:13], v[100:101], v[4:5] op_sel:[0,0,1] op_sel_hi:[1,0,0]
	v_mov_b32_e32 v7, v5
	v_pk_add_f32 v[2:3], v[2:3], v[6:7]
	v_pk_add_f32 v[2:3], v[26:27], v[2:3] neg_lo:[0,1] neg_hi:[0,1]
	buffer_store_dword v3, off, s[0:3], 0 offset:124
	buffer_store_dword v2, off, s[0:3], 0 offset:120
	s_and_saveexec_b64 s[4:5], vcc
	s_cbranch_execz .LBB125_357
; %bb.356:
	buffer_load_dword v2, off, s[0:3], 0 offset:112
	buffer_load_dword v3, off, s[0:3], 0 offset:116
	v_mov_b32_e32 v4, 0
	buffer_store_dword v4, off, s[0:3], 0 offset:112
	buffer_store_dword v4, off, s[0:3], 0 offset:116
	s_waitcnt vmcnt(2)
	ds_write_b64 v210, v[2:3]
.LBB125_357:
	s_or_b64 exec, exec, s[4:5]
	s_waitcnt lgkmcnt(0)
	; wave barrier
	s_waitcnt lgkmcnt(0)
	buffer_load_dword v33, off, s[0:3], 0 offset:124
	buffer_load_dword v32, off, s[0:3], 0 offset:132
	;; [unrolled: 1-line block ×48, first 2 shown]
	v_mov_b32_e32 v36, 0
	ds_read2_b64 v[22:25], v36 offset0:77 offset1:78
	ds_read2_b64 v[18:21], v36 offset0:79 offset1:80
	;; [unrolled: 1-line block ×6, first 2 shown]
	buffer_load_dword v152, off, s[0:3], 0 offset:304
	buffer_load_dword v153, off, s[0:3], 0 offset:308
	;; [unrolled: 1-line block ×12, first 2 shown]
	v_cmp_lt_u32_e32 vcc, 13, v0
	s_waitcnt vmcnt(59) lgkmcnt(5)
	v_mul_f32_e32 v35, v22, v33
	s_waitcnt vmcnt(58)
	v_mul_f32_e32 v38, v24, v32
	s_waitcnt vmcnt(57) lgkmcnt(4)
	v_mul_f32_e32 v40, v20, v31
	s_waitcnt vmcnt(56) lgkmcnt(3)
	v_mul_f32_e32 v41, v14, v30
	s_waitcnt vmcnt(55)
	v_mul_f32_e32 v42, v16, v28
	s_waitcnt vmcnt(54)
	v_mul_f32_e32 v39, v18, v34
	s_waitcnt vmcnt(53) lgkmcnt(2)
	v_mul_f32_e32 v43, v10, v29
	s_waitcnt vmcnt(52)
	v_mul_f32_e32 v44, v12, v37
	s_waitcnt vmcnt(51) lgkmcnt(1)
	v_mul_f32_e32 v45, v6, v94
	s_waitcnt vmcnt(50)
	v_mul_f32_e32 v46, v8, v96
	s_waitcnt vmcnt(49)
	v_fmac_f32_e32 v39, v19, v116
	s_waitcnt vmcnt(48)
	v_fmac_f32_e32 v38, v25, v117
	;; [unrolled: 2-line block ×3, first 2 shown]
	v_add_f32_e32 v35, 0, v35
	v_add_f32_e32 v35, v35, v38
	v_add_f32_e32 v35, v35, v39
	s_waitcnt vmcnt(43)
	v_fmac_f32_e32 v40, v21, v122
	v_fmac_f32_e32 v41, v15, v121
	v_add_f32_e32 v35, v35, v40
	v_fmac_f32_e32 v42, v17, v120
	v_add_f32_e32 v35, v35, v41
	;; [unrolled: 2-line block ×3, first 2 shown]
	s_waitcnt vmcnt(39)
	v_fmac_f32_e32 v44, v13, v126
	v_add_f32_e32 v35, v35, v43
	v_fmac_f32_e32 v45, v7, v125
	v_add_f32_e32 v35, v35, v44
	;; [unrolled: 2-line block ×3, first 2 shown]
	s_waitcnt vmcnt(38) lgkmcnt(0)
	v_mul_f32_e32 v38, v2, v127
	v_add_f32_e32 v35, v35, v46
	v_fmac_f32_e32 v38, v3, v123
	v_add_f32_e32 v35, v35, v38
	ds_read2_b64 v[38:41], v36 offset0:89 offset1:90
	buffer_load_dword v164, off, s[0:3], 0 offset:352
	buffer_load_dword v165, off, s[0:3], 0 offset:356
	;; [unrolled: 1-line block ×4, first 2 shown]
	s_waitcnt vmcnt(35)
	v_mul_f32_e32 v42, v4, v134
	s_waitcnt vmcnt(34)
	v_fmac_f32_e32 v42, v5, v135
	v_add_f32_e32 v35, v35, v42
	ds_read2_b64 v[42:45], v36 offset0:91 offset1:92
	buffer_load_dword v168, off, s[0:3], 0 offset:368
	buffer_load_dword v169, off, s[0:3], 0 offset:372
	;; [unrolled: 1-line block ×10, first 2 shown]
	s_waitcnt lgkmcnt(1)
	v_mul_f32_e32 v46, v38, v129
	v_fmac_f32_e32 v46, v39, v128
	v_add_f32_e32 v35, v35, v46
	v_mul_f32_e32 v46, v40, v131
	v_fmac_f32_e32 v46, v41, v130
	v_add_f32_e32 v35, v35, v46
	s_waitcnt lgkmcnt(0)
	v_mul_f32_e32 v46, v42, v133
	v_fmac_f32_e32 v46, v43, v132
	v_add_f32_e32 v35, v35, v46
	buffer_load_dword v178, off, s[0:3], 0 offset:408
	buffer_load_dword v179, off, s[0:3], 0 offset:412
	buffer_load_dword v180, off, s[0:3], 0 offset:416
	buffer_load_dword v181, off, s[0:3], 0 offset:420
	buffer_load_dword v182, off, s[0:3], 0 offset:424
	buffer_load_dword v183, off, s[0:3], 0 offset:428
	ds_read2_b64 v[46:49], v36 offset0:93 offset1:94
	s_waitcnt vmcnt(46)
	v_mul_f32_e32 v50, v44, v137
	v_fmac_f32_e32 v50, v45, v136
	v_add_f32_e32 v35, v35, v50
	ds_read2_b64 v[50:53], v36 offset0:95 offset1:96
	s_waitcnt vmcnt(44) lgkmcnt(1)
	v_mul_f32_e32 v54, v46, v139
	v_fmac_f32_e32 v54, v47, v138
	v_add_f32_e32 v35, v35, v54
	s_waitcnt vmcnt(42)
	v_mul_f32_e32 v54, v48, v141
	v_fmac_f32_e32 v54, v49, v140
	v_add_f32_e32 v35, v35, v54
	s_waitcnt vmcnt(40) lgkmcnt(0)
	v_mul_f32_e32 v54, v50, v143
	v_fmac_f32_e32 v54, v51, v142
	v_add_f32_e32 v35, v35, v54
	ds_read2_b64 v[54:57], v36 offset0:97 offset1:98
	s_waitcnt vmcnt(38)
	v_mul_f32_e32 v58, v52, v145
	v_fmac_f32_e32 v58, v53, v144
	v_add_f32_e32 v35, v35, v58
	ds_read2_b64 v[58:61], v36 offset0:99 offset1:100
	s_waitcnt vmcnt(36) lgkmcnt(1)
	v_mul_f32_e32 v62, v54, v147
	v_fmac_f32_e32 v62, v55, v146
	v_add_f32_e32 v35, v35, v62
	s_waitcnt vmcnt(34)
	v_mul_f32_e32 v62, v56, v149
	v_fmac_f32_e32 v62, v57, v148
	v_add_f32_e32 v35, v35, v62
	s_waitcnt vmcnt(32) lgkmcnt(0)
	v_mul_f32_e32 v62, v58, v151
	v_fmac_f32_e32 v62, v59, v150
	v_add_f32_e32 v35, v35, v62
	;; [unrolled: 18-line block ×3, first 2 shown]
	ds_read2_b64 v[70:73], v36 offset0:105 offset1:106
	s_waitcnt vmcnt(22)
	v_mul_f32_e32 v74, v68, v161
	v_fmac_f32_e32 v74, v69, v160
	v_add_f32_e32 v35, v35, v74
	ds_read2_b64 v[74:77], v36 offset0:107 offset1:108
	s_waitcnt vmcnt(20) lgkmcnt(1)
	v_mul_f32_e32 v78, v70, v163
	v_fmac_f32_e32 v78, v71, v162
	v_add_f32_e32 v35, v35, v78
	v_mul_f32_e32 v23, v23, v33
	v_fma_f32 v22, v22, v118, -v23
	v_mul_f32_e32 v23, v25, v32
	v_add_f32_e32 v22, 0, v22
	v_fma_f32 v23, v24, v117, -v23
	v_mul_f32_e32 v19, v19, v34
	v_add_f32_e32 v22, v22, v23
	v_fma_f32 v18, v18, v116, -v19
	v_mul_f32_e32 v19, v21, v31
	s_waitcnt vmcnt(18)
	v_mul_f32_e32 v78, v72, v165
	v_fmac_f32_e32 v78, v73, v164
	v_add_f32_e32 v35, v35, v78
	s_waitcnt vmcnt(16) lgkmcnt(0)
	v_mul_f32_e32 v78, v74, v167
	v_fmac_f32_e32 v78, v75, v166
	v_add_f32_e32 v35, v35, v78
	ds_read2_b64 v[78:81], v36 offset0:109 offset1:110
	s_waitcnt vmcnt(14)
	v_mul_f32_e32 v82, v76, v169
	v_fmac_f32_e32 v82, v77, v168
	v_add_f32_e32 v35, v35, v82
	ds_read2_b64 v[82:85], v36 offset0:111 offset1:112
	s_waitcnt vmcnt(12) lgkmcnt(1)
	v_mul_f32_e32 v86, v78, v171
	v_fmac_f32_e32 v86, v79, v170
	v_add_f32_e32 v35, v35, v86
	s_waitcnt vmcnt(10)
	v_mul_f32_e32 v86, v80, v173
	v_fmac_f32_e32 v86, v81, v172
	v_add_f32_e32 v35, v35, v86
	s_waitcnt vmcnt(8) lgkmcnt(0)
	v_mul_f32_e32 v86, v82, v175
	v_fmac_f32_e32 v86, v83, v174
	s_waitcnt vmcnt(6)
	v_mul_f32_e32 v90, v84, v177
	v_add_f32_e32 v35, v35, v86
	v_fmac_f32_e32 v90, v85, v176
	ds_read2_b64 v[86:89], v36 offset0:113 offset1:114
	v_add_f32_e32 v35, v35, v90
	ds_read2_b64 v[90:93], v36 offset0:115 offset1:116
	buffer_load_dword v99, off, s[0:3], 0 offset:460
	buffer_load_dword v98, off, s[0:3], 0 offset:456
	;; [unrolled: 1-line block ×16, first 2 shown]
	v_add_f32_e32 v18, v22, v18
	v_fma_f32 v19, v20, v122, -v19
	v_mul_f32_e32 v15, v15, v30
	v_add_f32_e32 v18, v18, v19
	v_fma_f32 v14, v14, v121, -v15
	v_mul_f32_e32 v15, v17, v28
	v_add_f32_e32 v14, v18, v14
	v_fma_f32 v15, v16, v120, -v15
	v_mul_f32_e32 v11, v11, v29
	v_add_f32_e32 v14, v14, v15
	v_fma_f32 v10, v10, v119, -v11
	v_mul_f32_e32 v11, v13, v37
	v_add_f32_e32 v10, v14, v10
	v_fma_f32 v11, v12, v126, -v11
	v_mul_f32_e32 v7, v7, v94
	v_add_f32_e32 v10, v10, v11
	v_fma_f32 v6, v6, v125, -v7
	v_mul_f32_e32 v7, v9, v96
	v_add_f32_e32 v6, v10, v6
	v_fma_f32 v7, v8, v124, -v7
	v_mul_f32_e32 v3, v3, v127
	v_add_f32_e32 v6, v6, v7
	v_fma_f32 v2, v2, v123, -v3
	v_mul_f32_e32 v3, v5, v134
	v_add_f32_e32 v2, v6, v2
	v_fma_f32 v3, v4, v135, -v3
	v_add_f32_e32 v2, v2, v3
	v_mul_f32_e32 v3, v39, v129
	v_fma_f32 v3, v38, v128, -v3
	v_add_f32_e32 v2, v2, v3
	v_mul_f32_e32 v3, v41, v131
	;; [unrolled: 3-line block ×24, first 2 shown]
	v_fma_f32 v3, v84, v176, -v3
	v_add_f32_e32 v2, v2, v3
	s_waitcnt vmcnt(20) lgkmcnt(1)
	v_mul_f32_e32 v3, v87, v179
	v_mul_f32_e32 v95, v86, v179
	v_fma_f32 v3, v86, v178, -v3
	v_fmac_f32_e32 v95, v87, v178
	v_add_f32_e32 v34, v2, v3
	s_waitcnt vmcnt(18)
	v_mul_f32_e32 v2, v89, v181
	s_waitcnt vmcnt(9)
	v_mov_b32_e32 v18, v105
	v_add_f32_e32 v35, v35, v95
	v_mul_f32_e32 v95, v88, v181
	v_fma_f32 v94, v88, v180, -v2
	s_waitcnt lgkmcnt(0)
	v_mul_f32_e32 v2, v91, v183
	v_pk_mul_f32 v[18:19], v[92:93], v[18:19] op_sel_hi:[1,0]
	v_fmac_f32_e32 v95, v89, v180
	v_mul_f32_e32 v97, v90, v183
	v_fma_f32 v96, v90, v182, -v2
	ds_read2_b64 v[2:5], v36 offset0:117 offset1:118
	ds_read2_b64 v[6:9], v36 offset0:119 offset1:120
	;; [unrolled: 1-line block ×3, first 2 shown]
	ds_read_b64 v[14:15], v36 offset:984
	s_waitcnt vmcnt(8)
	v_pk_fma_f32 v[20:21], v[92:93], v[104:105], v[18:19] op_sel:[0,0,1] op_sel_hi:[1,1,0] neg_lo:[0,0,1] neg_hi:[0,0,1]
	v_pk_fma_f32 v[18:19], v[92:93], v[104:105], v[18:19] op_sel:[0,0,1] op_sel_hi:[1,0,0]
	v_fmac_f32_e32 v97, v91, v182
	v_pk_add_f32 v[16:17], v[34:35], v[94:95]
	v_mov_b32_e32 v18, v103
	v_pk_add_f32 v[16:17], v[16:17], v[96:97]
	v_mov_b32_e32 v21, v19
	s_waitcnt lgkmcnt(3)
	v_pk_mul_f32 v[18:19], v[2:3], v[18:19] op_sel_hi:[1,0]
	v_pk_add_f32 v[16:17], v[16:17], v[20:21]
	v_pk_fma_f32 v[20:21], v[2:3], v[102:103], v[18:19] op_sel:[0,0,1] op_sel_hi:[1,1,0] neg_lo:[0,0,1] neg_hi:[0,0,1]
	v_pk_fma_f32 v[2:3], v[2:3], v[102:103], v[18:19] op_sel:[0,0,1] op_sel_hi:[1,0,0]
	v_mov_b32_e32 v21, v3
	v_pk_add_f32 v[2:3], v[16:17], v[20:21]
	v_mov_b32_e32 v16, v101
	v_pk_mul_f32 v[16:17], v[4:5], v[16:17] op_sel_hi:[1,0]
	v_pk_fma_f32 v[18:19], v[4:5], v[100:101], v[16:17] op_sel:[0,0,1] op_sel_hi:[1,1,0] neg_lo:[0,0,1] neg_hi:[0,0,1]
	v_pk_fma_f32 v[4:5], v[4:5], v[100:101], v[16:17] op_sel:[0,0,1] op_sel_hi:[1,0,0]
	v_mov_b32_e32 v4, v99
	v_mov_b32_e32 v19, v5
	s_waitcnt lgkmcnt(2)
	v_pk_mul_f32 v[4:5], v[6:7], v[4:5] op_sel_hi:[1,0]
	v_pk_fma_f32 v[16:17], v[6:7], v[98:99], v[4:5] op_sel:[0,0,1] op_sel_hi:[1,1,0] neg_lo:[0,0,1] neg_hi:[0,0,1]
	v_pk_fma_f32 v[4:5], v[6:7], v[98:99], v[4:5] op_sel:[0,0,1] op_sel_hi:[1,0,0]
	s_waitcnt vmcnt(1)
	v_mov_b32_e32 v4, v115
	v_mov_b32_e32 v17, v5
	v_pk_mul_f32 v[4:5], v[8:9], v[4:5] op_sel_hi:[1,0]
	s_waitcnt vmcnt(0)
	v_pk_fma_f32 v[6:7], v[8:9], v[114:115], v[4:5] op_sel:[0,0,1] op_sel_hi:[1,1,0] neg_lo:[0,0,1] neg_hi:[0,0,1]
	v_pk_fma_f32 v[4:5], v[8:9], v[114:115], v[4:5] op_sel:[0,0,1] op_sel_hi:[1,0,0]
	v_pk_add_f32 v[2:3], v[2:3], v[18:19]
	v_mov_b32_e32 v4, v113
	v_pk_add_f32 v[2:3], v[2:3], v[16:17]
	v_mov_b32_e32 v7, v5
	s_waitcnt lgkmcnt(1)
	v_pk_mul_f32 v[4:5], v[10:11], v[4:5] op_sel_hi:[1,0]
	v_pk_add_f32 v[2:3], v[2:3], v[6:7]
	v_pk_fma_f32 v[6:7], v[10:11], v[112:113], v[4:5] op_sel:[0,0,1] op_sel_hi:[1,1,0] neg_lo:[0,0,1] neg_hi:[0,0,1]
	v_pk_fma_f32 v[4:5], v[10:11], v[112:113], v[4:5] op_sel:[0,0,1] op_sel_hi:[1,0,0]
	v_mov_b32_e32 v4, v111
	v_mov_b32_e32 v7, v5
	v_pk_mul_f32 v[4:5], v[12:13], v[4:5] op_sel_hi:[1,0]
	v_pk_add_f32 v[2:3], v[2:3], v[6:7]
	v_pk_fma_f32 v[6:7], v[12:13], v[110:111], v[4:5] op_sel:[0,0,1] op_sel_hi:[1,1,0] neg_lo:[0,0,1] neg_hi:[0,0,1]
	v_pk_fma_f32 v[4:5], v[12:13], v[110:111], v[4:5] op_sel:[0,0,1] op_sel_hi:[1,0,0]
	v_mov_b32_e32 v4, v107
	v_mov_b32_e32 v7, v5
	s_waitcnt lgkmcnt(0)
	v_pk_mul_f32 v[4:5], v[14:15], v[4:5] op_sel_hi:[1,0]
	v_pk_add_f32 v[2:3], v[2:3], v[6:7]
	v_pk_fma_f32 v[6:7], v[14:15], v[106:107], v[4:5] op_sel:[0,0,1] op_sel_hi:[1,1,0] neg_lo:[0,0,1] neg_hi:[0,0,1]
	v_pk_fma_f32 v[4:5], v[14:15], v[106:107], v[4:5] op_sel:[0,0,1] op_sel_hi:[1,0,0]
	v_mov_b32_e32 v7, v5
	v_pk_add_f32 v[2:3], v[2:3], v[6:7]
	v_pk_add_f32 v[2:3], v[26:27], v[2:3] neg_lo:[0,1] neg_hi:[0,1]
	buffer_store_dword v3, off, s[0:3], 0 offset:116
	buffer_store_dword v2, off, s[0:3], 0 offset:112
	s_and_saveexec_b64 s[4:5], vcc
	s_cbranch_execz .LBB125_359
; %bb.358:
	buffer_load_dword v2, off, s[0:3], 0 offset:104
	buffer_load_dword v3, off, s[0:3], 0 offset:108
	s_waitcnt vmcnt(0)
	ds_write_b64 v210, v[2:3]
	buffer_store_dword v36, off, s[0:3], 0 offset:104
	buffer_store_dword v36, off, s[0:3], 0 offset:108
.LBB125_359:
	s_or_b64 exec, exec, s[4:5]
	s_waitcnt lgkmcnt(0)
	; wave barrier
	s_waitcnt lgkmcnt(0)
	buffer_load_dword v42, off, s[0:3], 0 offset:116
	buffer_load_dword v41, off, s[0:3], 0 offset:124
	;; [unrolled: 1-line block ×32, first 2 shown]
	ds_read_b128 v[22:25], v36 offset:608
	ds_read_b128 v[18:21], v36 offset:624
	;; [unrolled: 1-line block ×6, first 2 shown]
	buffer_load_dword v136, off, s[0:3], 0 offset:232
	buffer_load_dword v137, off, s[0:3], 0 offset:236
	;; [unrolled: 1-line block ×26, first 2 shown]
	v_cmp_lt_u32_e32 vcc, 12, v0
	s_waitcnt vmcnt(57) lgkmcnt(5)
	v_mul_f32_e32 v26, v22, v42
	s_waitcnt vmcnt(56)
	v_mul_f32_e32 v27, v24, v41
	s_waitcnt vmcnt(55) lgkmcnt(4)
	v_mul_f32_e32 v29, v20, v40
	s_waitcnt vmcnt(54) lgkmcnt(3)
	v_mul_f32_e32 v30, v14, v39
	s_waitcnt vmcnt(53)
	v_mul_f32_e32 v31, v16, v37
	s_waitcnt vmcnt(52)
	v_mul_f32_e32 v28, v18, v43
	s_waitcnt vmcnt(51) lgkmcnt(2)
	v_mul_f32_e32 v32, v10, v38
	s_waitcnt vmcnt(50)
	v_mul_f32_e32 v33, v12, v44
	s_waitcnt vmcnt(49) lgkmcnt(1)
	;; [unrolled: 4-line block ×3, first 2 shown]
	v_mul_f32_e32 v47, v2, v116
	s_waitcnt vmcnt(46)
	v_fmac_f32_e32 v28, v19, v117
	s_waitcnt vmcnt(45)
	v_fmac_f32_e32 v27, v25, v118
	;; [unrolled: 2-line block ×3, first 2 shown]
	v_add_f32_e32 v26, 0, v26
	v_add_f32_e32 v26, v26, v27
	;; [unrolled: 1-line block ×3, first 2 shown]
	s_waitcnt vmcnt(40)
	v_fmac_f32_e32 v29, v21, v123
	v_fmac_f32_e32 v30, v15, v122
	v_add_f32_e32 v26, v26, v29
	v_fmac_f32_e32 v31, v17, v121
	v_add_f32_e32 v26, v26, v30
	v_fmac_f32_e32 v32, v11, v120
	v_add_f32_e32 v26, v26, v31
	s_waitcnt vmcnt(36)
	v_fmac_f32_e32 v33, v13, v127
	v_add_f32_e32 v26, v26, v32
	v_fmac_f32_e32 v45, v7, v126
	v_add_f32_e32 v26, v26, v33
	v_fmac_f32_e32 v46, v9, v125
	v_add_f32_e32 v26, v26, v45
	v_fmac_f32_e32 v47, v3, v124
	v_add_f32_e32 v26, v26, v46
	s_waitcnt vmcnt(30)
	v_mul_f32_e32 v27, v4, v133
	v_add_f32_e32 v26, v26, v47
	s_waitcnt vmcnt(29)
	v_fmac_f32_e32 v27, v5, v134
	v_add_f32_e32 v45, v26, v27
	ds_read_b128 v[26:29], v36 offset:704
	buffer_load_dword v162, off, s[0:3], 0 offset:336
	buffer_load_dword v163, off, s[0:3], 0 offset:340
	ds_read_b128 v[30:33], v36 offset:720
	buffer_load_dword v164, off, s[0:3], 0 offset:344
	buffer_load_dword v165, off, s[0:3], 0 offset:348
	;; [unrolled: 1-line block ×14, first 2 shown]
	s_waitcnt vmcnt(44) lgkmcnt(1)
	v_mul_f32_e32 v46, v26, v135
	v_fmac_f32_e32 v46, v27, v132
	v_add_f32_e32 v45, v45, v46
	v_mul_f32_e32 v46, v28, v129
	v_fmac_f32_e32 v46, v29, v128
	v_add_f32_e32 v45, v45, v46
	s_waitcnt lgkmcnt(0)
	v_mul_f32_e32 v46, v30, v131
	v_fmac_f32_e32 v46, v31, v130
	v_add_f32_e32 v45, v45, v46
	buffer_load_dword v178, off, s[0:3], 0 offset:400
	buffer_load_dword v179, off, s[0:3], 0 offset:404
	ds_read_b128 v[46:49], v36 offset:736
	s_waitcnt vmcnt(42)
	v_mul_f32_e32 v50, v32, v137
	v_fmac_f32_e32 v50, v33, v136
	buffer_load_dword v180, off, s[0:3], 0 offset:408
	buffer_load_dword v181, off, s[0:3], 0 offset:412
	v_add_f32_e32 v45, v45, v50
	buffer_load_dword v182, off, s[0:3], 0 offset:416
	buffer_load_dword v183, off, s[0:3], 0 offset:420
	ds_read_b128 v[50:53], v36 offset:752
	s_waitcnt vmcnt(44) lgkmcnt(1)
	v_mul_f32_e32 v54, v46, v139
	v_fmac_f32_e32 v54, v47, v138
	v_add_f32_e32 v45, v45, v54
	s_waitcnt vmcnt(42)
	v_mul_f32_e32 v54, v48, v141
	v_fmac_f32_e32 v54, v49, v140
	v_add_f32_e32 v45, v45, v54
	s_waitcnt vmcnt(40) lgkmcnt(0)
	v_mul_f32_e32 v54, v50, v143
	v_fmac_f32_e32 v54, v51, v142
	buffer_load_dword v184, off, s[0:3], 0 offset:424
	buffer_load_dword v185, off, s[0:3], 0 offset:428
	v_add_f32_e32 v45, v45, v54
	ds_read_b128 v[54:57], v36 offset:768
	s_waitcnt vmcnt(40)
	v_mul_f32_e32 v58, v52, v145
	v_fmac_f32_e32 v58, v53, v144
	v_add_f32_e32 v45, v45, v58
	ds_read_b128 v[58:61], v36 offset:784
	s_waitcnt vmcnt(38) lgkmcnt(1)
	v_mul_f32_e32 v62, v54, v147
	v_fmac_f32_e32 v62, v55, v146
	v_add_f32_e32 v45, v45, v62
	s_waitcnt vmcnt(36)
	v_mul_f32_e32 v62, v56, v149
	v_fmac_f32_e32 v62, v57, v148
	v_add_f32_e32 v45, v45, v62
	s_waitcnt vmcnt(34) lgkmcnt(0)
	v_mul_f32_e32 v62, v58, v151
	v_fmac_f32_e32 v62, v59, v150
	v_add_f32_e32 v45, v45, v62
	ds_read_b128 v[62:65], v36 offset:800
	s_waitcnt vmcnt(32)
	v_mul_f32_e32 v66, v60, v153
	v_fmac_f32_e32 v66, v61, v152
	v_add_f32_e32 v45, v45, v66
	ds_read_b128 v[66:69], v36 offset:816
	s_waitcnt vmcnt(30) lgkmcnt(1)
	v_mul_f32_e32 v70, v62, v155
	v_fmac_f32_e32 v70, v63, v154
	v_add_f32_e32 v45, v45, v70
	s_waitcnt vmcnt(28)
	v_mul_f32_e32 v70, v64, v157
	v_fmac_f32_e32 v70, v65, v156
	v_add_f32_e32 v45, v45, v70
	s_waitcnt vmcnt(26) lgkmcnt(0)
	v_mul_f32_e32 v70, v66, v159
	v_fmac_f32_e32 v70, v67, v158
	v_add_f32_e32 v45, v45, v70
	ds_read_b128 v[70:73], v36 offset:832
	s_waitcnt vmcnt(24)
	v_mul_f32_e32 v74, v68, v161
	v_fmac_f32_e32 v74, v69, v160
	v_add_f32_e32 v45, v45, v74
	ds_read_b128 v[74:77], v36 offset:848
	v_mul_f32_e32 v23, v23, v42
	v_fma_f32 v22, v22, v119, -v23
	v_mul_f32_e32 v23, v25, v41
	v_add_f32_e32 v22, 0, v22
	v_fma_f32 v23, v24, v118, -v23
	v_mul_f32_e32 v19, v19, v43
	v_add_f32_e32 v22, v22, v23
	;; [unrolled: 3-line block ×3, first 2 shown]
	v_fma_f32 v19, v20, v123, -v19
	s_waitcnt vmcnt(22) lgkmcnt(1)
	v_mul_f32_e32 v78, v70, v163
	v_fmac_f32_e32 v78, v71, v162
	v_add_f32_e32 v45, v45, v78
	s_waitcnt vmcnt(20)
	v_mul_f32_e32 v78, v72, v165
	v_fmac_f32_e32 v78, v73, v164
	v_add_f32_e32 v45, v45, v78
	s_waitcnt vmcnt(18) lgkmcnt(0)
	v_mul_f32_e32 v78, v74, v167
	v_fmac_f32_e32 v78, v75, v166
	v_add_f32_e32 v45, v45, v78
	ds_read_b128 v[78:81], v36 offset:864
	s_waitcnt vmcnt(16)
	v_mul_f32_e32 v82, v76, v169
	v_fmac_f32_e32 v82, v77, v168
	v_add_f32_e32 v45, v45, v82
	ds_read_b128 v[82:85], v36 offset:880
	s_waitcnt vmcnt(14) lgkmcnt(1)
	v_mul_f32_e32 v86, v78, v171
	v_fmac_f32_e32 v86, v79, v170
	v_add_f32_e32 v45, v45, v86
	s_waitcnt vmcnt(12)
	v_mul_f32_e32 v86, v80, v173
	v_fmac_f32_e32 v86, v81, v172
	v_add_f32_e32 v45, v45, v86
	s_waitcnt vmcnt(10) lgkmcnt(0)
	v_mul_f32_e32 v86, v82, v175
	v_fmac_f32_e32 v86, v83, v174
	s_waitcnt vmcnt(8)
	v_mul_f32_e32 v90, v84, v177
	v_add_f32_e32 v45, v45, v86
	v_fmac_f32_e32 v90, v85, v176
	ds_read_b128 v[86:89], v36 offset:896
	v_add_f32_e32 v45, v45, v90
	ds_read_b128 v[90:93], v36 offset:912
	buffer_load_dword v97, off, s[0:3], 0 offset:452
	buffer_load_dword v96, off, s[0:3], 0 offset:448
	;; [unrolled: 1-line block ×16, first 2 shown]
	v_mul_f32_e32 v15, v15, v39
	v_add_f32_e32 v18, v18, v19
	v_fma_f32 v14, v14, v122, -v15
	v_mul_f32_e32 v15, v17, v37
	v_add_f32_e32 v14, v18, v14
	v_fma_f32 v15, v16, v121, -v15
	;; [unrolled: 3-line block ×8, first 2 shown]
	v_add_f32_e32 v2, v2, v3
	v_mul_f32_e32 v3, v27, v135
	v_fma_f32 v3, v26, v132, -v3
	v_add_f32_e32 v2, v2, v3
	v_mul_f32_e32 v3, v29, v129
	v_fma_f32 v3, v28, v128, -v3
	;; [unrolled: 3-line block ×24, first 2 shown]
	v_add_f32_e32 v2, v2, v3
	s_waitcnt vmcnt(22) lgkmcnt(1)
	v_mul_f32_e32 v3, v87, v179
	v_fma_f32 v3, v86, v178, -v3
	v_add_f32_e32 v2, v2, v3
	s_waitcnt vmcnt(20)
	v_mul_f32_e32 v3, v89, v181
	v_mul_f32_e32 v95, v86, v179
	v_fma_f32 v3, v88, v180, -v3
	v_fmac_f32_e32 v95, v87, v178
	v_add_f32_e32 v44, v2, v3
	s_waitcnt vmcnt(18) lgkmcnt(0)
	v_mul_f32_e32 v2, v91, v183
	v_add_f32_e32 v45, v45, v95
	v_mul_f32_e32 v95, v88, v181
	v_fma_f32 v94, v90, v182, -v2
	s_waitcnt vmcnt(16)
	v_mul_f32_e32 v2, v93, v185
	v_fmac_f32_e32 v95, v89, v180
	v_fma_f32 v102, v92, v184, -v2
	ds_read_b128 v[2:5], v36 offset:928
	ds_read_b128 v[6:9], v36 offset:944
	;; [unrolled: 1-line block ×4, first 2 shown]
	v_add_f32_e32 v45, v45, v95
	v_mul_f32_e32 v95, v90, v183
	s_waitcnt vmcnt(11)
	v_mov_b32_e32 v20, v101
	v_fmac_f32_e32 v95, v91, v182
	v_mul_f32_e32 v103, v92, v185
	s_waitcnt lgkmcnt(3)
	v_pk_mul_f32 v[20:21], v[2:3], v[20:21] op_sel_hi:[1,0]
	v_fmac_f32_e32 v103, v93, v184
	v_pk_add_f32 v[18:19], v[44:45], v[94:95]
	s_waitcnt vmcnt(10)
	v_pk_fma_f32 v[22:23], v[2:3], v[100:101], v[20:21] op_sel:[0,0,1] op_sel_hi:[1,1,0] neg_lo:[0,0,1] neg_hi:[0,0,1]
	v_pk_fma_f32 v[2:3], v[2:3], v[100:101], v[20:21] op_sel:[0,0,1] op_sel_hi:[1,0,0]
	v_pk_add_f32 v[18:19], v[18:19], v[102:103]
	v_mov_b32_e32 v23, v3
	v_pk_add_f32 v[2:3], v[18:19], v[22:23]
	v_mov_b32_e32 v18, v99
	v_pk_mul_f32 v[18:19], v[4:5], v[18:19] op_sel_hi:[1,0]
	v_pk_fma_f32 v[20:21], v[4:5], v[98:99], v[18:19] op_sel:[0,0,1] op_sel_hi:[1,1,0] neg_lo:[0,0,1] neg_hi:[0,0,1]
	v_pk_fma_f32 v[4:5], v[4:5], v[98:99], v[18:19] op_sel:[0,0,1] op_sel_hi:[1,0,0]
	v_mov_b32_e32 v4, v97
	v_mov_b32_e32 v21, v5
	s_waitcnt lgkmcnt(2)
	v_pk_mul_f32 v[4:5], v[6:7], v[4:5] op_sel_hi:[1,0]
	v_pk_fma_f32 v[18:19], v[6:7], v[96:97], v[4:5] op_sel:[0,0,1] op_sel_hi:[1,1,0] neg_lo:[0,0,1] neg_hi:[0,0,1]
	v_pk_fma_f32 v[4:5], v[6:7], v[96:97], v[4:5] op_sel:[0,0,1] op_sel_hi:[1,0,0]
	s_waitcnt vmcnt(3)
	v_mov_b32_e32 v4, v113
	v_mov_b32_e32 v19, v5
	v_pk_mul_f32 v[4:5], v[8:9], v[4:5] op_sel_hi:[1,0]
	s_waitcnt vmcnt(2)
	v_pk_fma_f32 v[6:7], v[8:9], v[112:113], v[4:5] op_sel:[0,0,1] op_sel_hi:[1,1,0] neg_lo:[0,0,1] neg_hi:[0,0,1]
	v_pk_fma_f32 v[4:5], v[8:9], v[112:113], v[4:5] op_sel:[0,0,1] op_sel_hi:[1,0,0]
	v_pk_add_f32 v[2:3], v[2:3], v[20:21]
	v_mov_b32_e32 v4, v111
	v_pk_add_f32 v[2:3], v[2:3], v[18:19]
	v_mov_b32_e32 v7, v5
	s_waitcnt lgkmcnt(1)
	v_pk_mul_f32 v[4:5], v[10:11], v[4:5] op_sel_hi:[1,0]
	v_pk_add_f32 v[2:3], v[2:3], v[6:7]
	v_pk_fma_f32 v[6:7], v[10:11], v[110:111], v[4:5] op_sel:[0,0,1] op_sel_hi:[1,1,0] neg_lo:[0,0,1] neg_hi:[0,0,1]
	v_pk_fma_f32 v[4:5], v[10:11], v[110:111], v[4:5] op_sel:[0,0,1] op_sel_hi:[1,0,0]
	v_mov_b32_e32 v4, v107
	v_mov_b32_e32 v7, v5
	v_pk_mul_f32 v[4:5], v[12:13], v[4:5] op_sel_hi:[1,0]
	v_pk_add_f32 v[2:3], v[2:3], v[6:7]
	v_pk_fma_f32 v[6:7], v[12:13], v[106:107], v[4:5] op_sel:[0,0,1] op_sel_hi:[1,1,0] neg_lo:[0,0,1] neg_hi:[0,0,1]
	v_pk_fma_f32 v[4:5], v[12:13], v[106:107], v[4:5] op_sel:[0,0,1] op_sel_hi:[1,0,0]
	v_mov_b32_e32 v4, v105
	v_mov_b32_e32 v7, v5
	s_waitcnt lgkmcnt(0)
	v_pk_mul_f32 v[4:5], v[14:15], v[4:5] op_sel_hi:[1,0]
	v_pk_add_f32 v[2:3], v[2:3], v[6:7]
	v_pk_fma_f32 v[6:7], v[14:15], v[104:105], v[4:5] op_sel:[0,0,1] op_sel_hi:[1,1,0] neg_lo:[0,0,1] neg_hi:[0,0,1]
	v_pk_fma_f32 v[4:5], v[14:15], v[104:105], v[4:5] op_sel:[0,0,1] op_sel_hi:[1,0,0]
	s_waitcnt vmcnt(1)
	v_mov_b32_e32 v4, v115
	v_mov_b32_e32 v7, v5
	v_pk_mul_f32 v[4:5], v[16:17], v[4:5] op_sel_hi:[1,0]
	v_pk_add_f32 v[2:3], v[2:3], v[6:7]
	s_waitcnt vmcnt(0)
	v_pk_fma_f32 v[6:7], v[16:17], v[114:115], v[4:5] op_sel:[0,0,1] op_sel_hi:[1,1,0] neg_lo:[0,0,1] neg_hi:[0,0,1]
	v_pk_fma_f32 v[4:5], v[16:17], v[114:115], v[4:5] op_sel:[0,0,1] op_sel_hi:[1,0,0]
	v_mov_b32_e32 v7, v5
	v_pk_add_f32 v[2:3], v[2:3], v[6:7]
	v_pk_add_f32 v[2:3], v[34:35], v[2:3] neg_lo:[0,1] neg_hi:[0,1]
	buffer_store_dword v3, off, s[0:3], 0 offset:108
	buffer_store_dword v2, off, s[0:3], 0 offset:104
	s_and_saveexec_b64 s[4:5], vcc
	s_cbranch_execz .LBB125_361
; %bb.360:
	buffer_load_dword v2, off, s[0:3], 0 offset:96
	buffer_load_dword v3, off, s[0:3], 0 offset:100
	v_mov_b32_e32 v4, 0
	buffer_store_dword v4, off, s[0:3], 0 offset:96
	buffer_store_dword v4, off, s[0:3], 0 offset:100
	s_waitcnt vmcnt(2)
	ds_write_b64 v210, v[2:3]
.LBB125_361:
	s_or_b64 exec, exec, s[4:5]
	v_mov_b32_e32 v234, 0
	s_waitcnt lgkmcnt(0)
	; wave barrier
	s_waitcnt lgkmcnt(0)
	ds_read2_b64 v[2:5], v234 offset0:75 offset1:76
	buffer_load_dword v86, off, s[0:3], 0 offset:96
	buffer_load_dword v87, off, s[0:3], 0 offset:100
	;; [unrolled: 1-line block ×16, first 2 shown]
	v_cmp_lt_u32_e32 vcc, 11, v0
	s_waitcnt vmcnt(12) lgkmcnt(0)
	v_mul_f32_e32 v6, v2, v110
	v_fmac_f32_e32 v6, v3, v88
	s_waitcnt vmcnt(10)
	v_mul_f32_e32 v7, v4, v112
	v_add_f32_e32 v6, 0, v6
	v_fmac_f32_e32 v7, v5, v90
	v_add_f32_e32 v10, v6, v7
	ds_read2_b64 v[6:9], v234 offset0:77 offset1:78
	v_mul_f32_e32 v3, v3, v110
	v_fma_f32 v2, v2, v88, -v3
	v_mul_f32_e32 v3, v5, v112
	v_add_f32_e32 v2, 0, v2
	s_waitcnt vmcnt(8) lgkmcnt(0)
	v_mul_f32_e32 v11, v6, v114
	v_fmac_f32_e32 v11, v7, v94
	v_add_f32_e32 v10, v10, v11
	s_waitcnt vmcnt(6)
	v_mul_f32_e32 v11, v8, v116
	v_fmac_f32_e32 v11, v9, v111
	v_add_f32_e32 v14, v10, v11
	ds_read2_b64 v[10:13], v234 offset0:79 offset1:80
	v_fma_f32 v3, v4, v90, -v3
	v_add_f32_e32 v2, v2, v3
	v_mul_f32_e32 v3, v7, v114
	v_fma_f32 v3, v6, v94, -v3
	s_waitcnt vmcnt(4) lgkmcnt(0)
	v_mul_f32_e32 v15, v10, v118
	v_fmac_f32_e32 v15, v11, v113
	v_add_f32_e32 v14, v14, v15
	s_waitcnt vmcnt(2)
	v_mul_f32_e32 v15, v12, v119
	v_fmac_f32_e32 v15, v13, v115
	v_add_f32_e32 v18, v14, v15
	ds_read2_b64 v[14:17], v234 offset0:81 offset1:82
	buffer_load_dword v121, off, s[0:3], 0 offset:160
	buffer_load_dword v122, off, s[0:3], 0 offset:164
	v_add_f32_e32 v2, v2, v3
	v_mul_f32_e32 v3, v9, v116
	v_fma_f32 v3, v8, v111, -v3
	s_waitcnt vmcnt(2) lgkmcnt(0)
	v_mul_f32_e32 v19, v14, v120
	v_fmac_f32_e32 v19, v15, v117
	v_add_f32_e32 v18, v18, v19
	v_add_f32_e32 v2, v2, v3
	v_mul_f32_e32 v3, v11, v118
	v_fma_f32 v3, v10, v113, -v3
	v_add_f32_e32 v2, v2, v3
	v_mul_f32_e32 v3, v13, v119
	v_fma_f32 v3, v12, v115, -v3
	;; [unrolled: 3-line block ×3, first 2 shown]
	v_add_f32_e32 v2, v2, v3
	s_waitcnt vmcnt(0)
	v_mul_f32_e32 v19, v16, v122
	v_fmac_f32_e32 v19, v17, v121
	v_add_f32_e32 v22, v18, v19
	ds_read2_b64 v[18:21], v234 offset0:83 offset1:84
	buffer_load_dword v123, off, s[0:3], 0 offset:168
	buffer_load_dword v124, off, s[0:3], 0 offset:172
	buffer_load_dword v125, off, s[0:3], 0 offset:176
	buffer_load_dword v126, off, s[0:3], 0 offset:180
	v_mul_f32_e32 v3, v17, v122
	v_fma_f32 v3, v16, v121, -v3
	v_add_f32_e32 v2, v2, v3
	s_waitcnt vmcnt(2) lgkmcnt(0)
	v_mul_f32_e32 v23, v18, v124
	v_fmac_f32_e32 v23, v19, v123
	v_add_f32_e32 v22, v22, v23
	s_waitcnt vmcnt(0)
	v_mul_f32_e32 v23, v20, v126
	v_fmac_f32_e32 v23, v21, v125
	v_add_f32_e32 v26, v22, v23
	ds_read2_b64 v[22:25], v234 offset0:85 offset1:86
	buffer_load_dword v127, off, s[0:3], 0 offset:184
	buffer_load_dword v128, off, s[0:3], 0 offset:188
	;; [unrolled: 1-line block ×4, first 2 shown]
	v_mul_f32_e32 v3, v19, v124
	v_fma_f32 v3, v18, v123, -v3
	v_add_f32_e32 v2, v2, v3
	v_mul_f32_e32 v3, v21, v126
	v_fma_f32 v3, v20, v125, -v3
	v_add_f32_e32 v2, v2, v3
	s_waitcnt vmcnt(2) lgkmcnt(0)
	v_mul_f32_e32 v27, v22, v128
	v_fmac_f32_e32 v27, v23, v127
	v_add_f32_e32 v26, v26, v27
	s_waitcnt vmcnt(0)
	v_mul_f32_e32 v27, v24, v130
	v_fmac_f32_e32 v27, v25, v129
	v_add_f32_e32 v30, v26, v27
	ds_read2_b64 v[26:29], v234 offset0:87 offset1:88
	buffer_load_dword v131, off, s[0:3], 0 offset:200
	buffer_load_dword v132, off, s[0:3], 0 offset:204
	buffer_load_dword v133, off, s[0:3], 0 offset:208
	buffer_load_dword v134, off, s[0:3], 0 offset:212
	v_mul_f32_e32 v3, v23, v128
	v_fma_f32 v3, v22, v127, -v3
	v_add_f32_e32 v2, v2, v3
	v_mul_f32_e32 v3, v25, v130
	v_fma_f32 v3, v24, v129, -v3
	v_add_f32_e32 v2, v2, v3
	s_waitcnt vmcnt(2) lgkmcnt(0)
	v_mul_f32_e32 v31, v26, v132
	v_fmac_f32_e32 v31, v27, v131
	v_add_f32_e32 v30, v30, v31
	s_waitcnt vmcnt(0)
	v_mul_f32_e32 v31, v28, v134
	v_fmac_f32_e32 v31, v29, v133
	v_add_f32_e32 v34, v30, v31
	ds_read2_b64 v[30:33], v234 offset0:89 offset1:90
	buffer_load_dword v135, off, s[0:3], 0 offset:216
	buffer_load_dword v136, off, s[0:3], 0 offset:220
	buffer_load_dword v137, off, s[0:3], 0 offset:224
	buffer_load_dword v138, off, s[0:3], 0 offset:228
	ds_read2_b64 v[38:41], v234 offset0:91 offset1:92
	buffer_load_dword v139, off, s[0:3], 0 offset:232
	buffer_load_dword v140, off, s[0:3], 0 offset:236
	buffer_load_dword v141, off, s[0:3], 0 offset:240
	buffer_load_dword v142, off, s[0:3], 0 offset:244
	;; [unrolled: 5-line block ×13, first 2 shown]
	v_mul_f32_e32 v3, v27, v132
	v_fma_f32 v3, v26, v131, -v3
	v_add_f32_e32 v2, v2, v3
	v_mul_f32_e32 v3, v29, v134
	v_fma_f32 v3, v28, v133, -v3
	v_add_f32_e32 v2, v2, v3
	s_waitcnt vmcnt(50) lgkmcnt(12)
	v_mul_f32_e32 v35, v30, v136
	v_fmac_f32_e32 v35, v31, v135
	v_add_f32_e32 v34, v34, v35
	s_waitcnt vmcnt(48)
	v_mul_f32_e32 v35, v32, v138
	v_fmac_f32_e32 v35, v33, v137
	v_add_f32_e32 v34, v34, v35
	s_waitcnt vmcnt(46) lgkmcnt(11)
	v_mul_f32_e32 v35, v38, v140
	v_fmac_f32_e32 v35, v39, v139
	v_add_f32_e32 v34, v34, v35
	s_waitcnt vmcnt(44)
	v_mul_f32_e32 v35, v40, v142
	v_fmac_f32_e32 v35, v41, v141
	;; [unrolled: 8-line block ×12, first 2 shown]
	v_add_f32_e32 v34, v34, v35
	s_waitcnt vmcnt(2) lgkmcnt(0)
	v_mul_f32_e32 v35, v82, v184
	v_fmac_f32_e32 v35, v83, v183
	v_add_f32_e32 v89, v34, v35
	ds_read2_b64 v[34:37], v234 offset0:115 offset1:116
	buffer_load_dword v187, off, s[0:3], 0 offset:424
	buffer_load_dword v188, off, s[0:3], 0 offset:428
	;; [unrolled: 1-line block ×18, first 2 shown]
	v_mul_f32_e32 v3, v31, v136
	v_fma_f32 v3, v30, v135, -v3
	v_add_f32_e32 v2, v2, v3
	v_mul_f32_e32 v3, v33, v138
	v_fma_f32 v3, v32, v137, -v3
	v_add_f32_e32 v2, v2, v3
	;; [unrolled: 3-line block ×25, first 2 shown]
	s_waitcnt vmcnt(18)
	v_mul_f32_e32 v2, v85, v186
	s_waitcnt vmcnt(15)
	v_mov_b32_e32 v18, v93
	v_mul_f32_e32 v91, v84, v186
	v_fma_f32 v90, v84, v185, -v2
	s_waitcnt lgkmcnt(0)
	v_mul_f32_e32 v2, v35, v188
	v_pk_mul_f32 v[18:19], v[36:37], v[18:19] op_sel_hi:[1,0]
	v_fmac_f32_e32 v91, v85, v185
	v_mul_f32_e32 v95, v34, v188
	v_fma_f32 v94, v34, v187, -v2
	ds_read2_b64 v[2:5], v234 offset0:117 offset1:118
	ds_read2_b64 v[6:9], v234 offset0:119 offset1:120
	ds_read2_b64 v[10:13], v234 offset0:121 offset1:122
	ds_read_b64 v[14:15], v234 offset:984
	s_waitcnt vmcnt(14)
	v_pk_fma_f32 v[20:21], v[36:37], v[92:93], v[18:19] op_sel:[0,0,1] op_sel_hi:[1,1,0] neg_lo:[0,0,1] neg_hi:[0,0,1]
	v_pk_fma_f32 v[18:19], v[36:37], v[92:93], v[18:19] op_sel:[0,0,1] op_sel_hi:[1,0,0]
	v_fmac_f32_e32 v95, v35, v187
	v_pk_add_f32 v[16:17], v[88:89], v[90:91]
	s_waitcnt vmcnt(13)
	v_mov_b32_e32 v18, v233
	v_pk_add_f32 v[16:17], v[16:17], v[94:95]
	v_mov_b32_e32 v21, v19
	s_waitcnt lgkmcnt(3)
	v_pk_mul_f32 v[18:19], v[2:3], v[18:19] op_sel_hi:[1,0]
	v_pk_add_f32 v[16:17], v[16:17], v[20:21]
	s_waitcnt vmcnt(12)
	v_pk_fma_f32 v[20:21], v[2:3], v[232:233], v[18:19] op_sel:[0,0,1] op_sel_hi:[1,1,0] neg_lo:[0,0,1] neg_hi:[0,0,1]
	v_pk_fma_f32 v[2:3], v[2:3], v[232:233], v[18:19] op_sel:[0,0,1] op_sel_hi:[1,0,0]
	v_mov_b32_e32 v21, v3
	v_pk_add_f32 v[2:3], v[16:17], v[20:21]
	s_waitcnt vmcnt(11)
	v_mov_b32_e32 v16, v107
	v_pk_mul_f32 v[16:17], v[4:5], v[16:17] op_sel_hi:[1,0]
	s_waitcnt vmcnt(10)
	v_pk_fma_f32 v[18:19], v[4:5], v[106:107], v[16:17] op_sel:[0,0,1] op_sel_hi:[1,1,0] neg_lo:[0,0,1] neg_hi:[0,0,1]
	v_pk_fma_f32 v[4:5], v[4:5], v[106:107], v[16:17] op_sel:[0,0,1] op_sel_hi:[1,0,0]
	s_waitcnt vmcnt(9)
	v_mov_b32_e32 v4, v105
	v_mov_b32_e32 v19, v5
	s_waitcnt lgkmcnt(2)
	v_pk_mul_f32 v[4:5], v[6:7], v[4:5] op_sel_hi:[1,0]
	s_waitcnt vmcnt(8)
	v_pk_fma_f32 v[16:17], v[6:7], v[104:105], v[4:5] op_sel:[0,0,1] op_sel_hi:[1,1,0] neg_lo:[0,0,1] neg_hi:[0,0,1]
	v_pk_fma_f32 v[4:5], v[6:7], v[104:105], v[4:5] op_sel:[0,0,1] op_sel_hi:[1,0,0]
	s_waitcnt vmcnt(7)
	v_mov_b32_e32 v4, v103
	v_mov_b32_e32 v17, v5
	v_pk_mul_f32 v[4:5], v[8:9], v[4:5] op_sel_hi:[1,0]
	s_waitcnt vmcnt(6)
	v_pk_fma_f32 v[6:7], v[8:9], v[102:103], v[4:5] op_sel:[0,0,1] op_sel_hi:[1,1,0] neg_lo:[0,0,1] neg_hi:[0,0,1]
	v_pk_fma_f32 v[4:5], v[8:9], v[102:103], v[4:5] op_sel:[0,0,1] op_sel_hi:[1,0,0]
	v_pk_add_f32 v[2:3], v[2:3], v[18:19]
	s_waitcnt vmcnt(5)
	v_mov_b32_e32 v4, v101
	v_pk_add_f32 v[2:3], v[2:3], v[16:17]
	v_mov_b32_e32 v7, v5
	s_waitcnt lgkmcnt(1)
	v_pk_mul_f32 v[4:5], v[10:11], v[4:5] op_sel_hi:[1,0]
	v_pk_add_f32 v[2:3], v[2:3], v[6:7]
	s_waitcnt vmcnt(4)
	v_pk_fma_f32 v[6:7], v[10:11], v[100:101], v[4:5] op_sel:[0,0,1] op_sel_hi:[1,1,0] neg_lo:[0,0,1] neg_hi:[0,0,1]
	v_pk_fma_f32 v[4:5], v[10:11], v[100:101], v[4:5] op_sel:[0,0,1] op_sel_hi:[1,0,0]
	s_waitcnt vmcnt(3)
	v_mov_b32_e32 v4, v99
	v_mov_b32_e32 v7, v5
	v_pk_mul_f32 v[4:5], v[12:13], v[4:5] op_sel_hi:[1,0]
	v_pk_add_f32 v[2:3], v[2:3], v[6:7]
	s_waitcnt vmcnt(2)
	v_pk_fma_f32 v[6:7], v[12:13], v[98:99], v[4:5] op_sel:[0,0,1] op_sel_hi:[1,1,0] neg_lo:[0,0,1] neg_hi:[0,0,1]
	v_pk_fma_f32 v[4:5], v[12:13], v[98:99], v[4:5] op_sel:[0,0,1] op_sel_hi:[1,0,0]
	s_waitcnt vmcnt(1)
	v_mov_b32_e32 v4, v97
	v_mov_b32_e32 v7, v5
	s_waitcnt lgkmcnt(0)
	v_pk_mul_f32 v[4:5], v[14:15], v[4:5] op_sel_hi:[1,0]
	v_pk_add_f32 v[2:3], v[2:3], v[6:7]
	s_waitcnt vmcnt(0)
	v_pk_fma_f32 v[6:7], v[14:15], v[96:97], v[4:5] op_sel:[0,0,1] op_sel_hi:[1,1,0] neg_lo:[0,0,1] neg_hi:[0,0,1]
	v_pk_fma_f32 v[4:5], v[14:15], v[96:97], v[4:5] op_sel:[0,0,1] op_sel_hi:[1,0,0]
	v_mov_b32_e32 v7, v5
	v_pk_add_f32 v[2:3], v[2:3], v[6:7]
	v_pk_add_f32 v[2:3], v[86:87], v[2:3] neg_lo:[0,1] neg_hi:[0,1]
	buffer_store_dword v3, off, s[0:3], 0 offset:100
	buffer_store_dword v2, off, s[0:3], 0 offset:96
	s_and_saveexec_b64 s[4:5], vcc
	s_cbranch_execz .LBB125_363
; %bb.362:
	buffer_load_dword v2, off, s[0:3], 0 offset:88
	buffer_load_dword v3, off, s[0:3], 0 offset:92
	s_waitcnt vmcnt(0)
	ds_write_b64 v210, v[2:3]
	buffer_store_dword v234, off, s[0:3], 0 offset:88
	buffer_store_dword v234, off, s[0:3], 0 offset:92
.LBB125_363:
	s_or_b64 exec, exec, s[4:5]
	s_waitcnt lgkmcnt(0)
	; wave barrier
	s_waitcnt lgkmcnt(0)
	buffer_load_dword v41, off, s[0:3], 0 offset:100
	buffer_load_dword v40, off, s[0:3], 0 offset:108
	;; [unrolled: 1-line block ×32, first 2 shown]
	ds_read_b128 v[22:25], v234 offset:592
	ds_read_b128 v[18:21], v234 offset:608
	;; [unrolled: 1-line block ×6, first 2 shown]
	buffer_load_dword v143, off, s[0:3], 0 offset:216
	buffer_load_dword v144, off, s[0:3], 0 offset:220
	;; [unrolled: 1-line block ×20, first 2 shown]
	v_cmp_lt_u32_e32 vcc, 10, v0
	s_waitcnt vmcnt(51) lgkmcnt(5)
	v_mul_f32_e32 v26, v22, v41
	s_waitcnt vmcnt(50)
	v_mul_f32_e32 v27, v24, v40
	s_waitcnt vmcnt(49) lgkmcnt(4)
	v_mul_f32_e32 v29, v20, v39
	s_waitcnt vmcnt(48) lgkmcnt(3)
	v_mul_f32_e32 v30, v14, v38
	s_waitcnt vmcnt(47)
	v_mul_f32_e32 v31, v16, v37
	s_waitcnt vmcnt(46) lgkmcnt(2)
	v_mul_f32_e32 v32, v10, v36
	s_waitcnt vmcnt(45)
	v_mul_f32_e32 v28, v18, v42
	s_waitcnt vmcnt(44)
	v_mul_f32_e32 v33, v12, v43
	s_waitcnt vmcnt(43) lgkmcnt(1)
	v_mul_f32_e32 v48, v6, v44
	s_waitcnt vmcnt(42)
	v_mul_f32_e32 v49, v8, v45
	s_waitcnt vmcnt(41) lgkmcnt(0)
	v_mul_f32_e32 v50, v2, v46
	s_waitcnt vmcnt(40)
	v_mul_f32_e32 v51, v4, v47
	s_waitcnt vmcnt(39)
	v_fmac_f32_e32 v28, v19, v106
	s_waitcnt vmcnt(38)
	v_fmac_f32_e32 v27, v25, v110
	;; [unrolled: 2-line block ×3, first 2 shown]
	v_add_f32_e32 v26, 0, v26
	v_add_f32_e32 v26, v26, v27
	;; [unrolled: 1-line block ×3, first 2 shown]
	s_waitcnt vmcnt(33)
	v_fmac_f32_e32 v29, v21, v131
	v_fmac_f32_e32 v30, v15, v130
	v_add_f32_e32 v26, v26, v29
	v_fmac_f32_e32 v31, v17, v129
	v_add_f32_e32 v26, v26, v30
	;; [unrolled: 2-line block ×3, first 2 shown]
	s_waitcnt vmcnt(29)
	v_fmac_f32_e32 v33, v13, v135
	v_add_f32_e32 v26, v26, v32
	v_fmac_f32_e32 v48, v7, v134
	v_add_f32_e32 v26, v26, v33
	;; [unrolled: 2-line block ×4, first 2 shown]
	v_add_f32_e32 v30, v26, v50
	ds_read_b128 v[26:29], v234 offset:688
	buffer_load_dword v163, off, s[0:3], 0 offset:296
	buffer_load_dword v164, off, s[0:3], 0 offset:300
	;; [unrolled: 1-line block ×4, first 2 shown]
	s_waitcnt vmcnt(28)
	v_fmac_f32_e32 v51, v5, v140
	v_add_f32_e32 v48, v30, v51
	ds_read_b128 v[30:33], v234 offset:704
	buffer_load_dword v167, off, s[0:3], 0 offset:312
	buffer_load_dword v168, off, s[0:3], 0 offset:316
	;; [unrolled: 1-line block ×12, first 2 shown]
	s_waitcnt vmcnt(39) lgkmcnt(1)
	v_mul_f32_e32 v49, v26, v141
	v_fmac_f32_e32 v49, v27, v139
	buffer_load_dword v179, off, s[0:3], 0 offset:360
	buffer_load_dword v180, off, s[0:3], 0 offset:364
	v_add_f32_e32 v48, v48, v49
	s_waitcnt vmcnt(40)
	v_mul_f32_e32 v49, v28, v142
	v_fmac_f32_e32 v49, v29, v138
	buffer_load_dword v181, off, s[0:3], 0 offset:368
	buffer_load_dword v182, off, s[0:3], 0 offset:372
	v_add_f32_e32 v48, v48, v49
	s_waitcnt lgkmcnt(0)
	v_mul_f32_e32 v49, v30, v137
	v_fmac_f32_e32 v49, v31, v136
	v_add_f32_e32 v52, v48, v49
	ds_read_b128 v[48:51], v234 offset:720
	buffer_load_dword v183, off, s[0:3], 0 offset:376
	buffer_load_dword v184, off, s[0:3], 0 offset:380
	s_waitcnt vmcnt(40)
	v_mul_f32_e32 v53, v32, v144
	v_fmac_f32_e32 v53, v33, v143
	v_add_f32_e32 v56, v52, v53
	ds_read_b128 v[52:55], v234 offset:736
	buffer_load_dword v185, off, s[0:3], 0 offset:384
	buffer_load_dword v186, off, s[0:3], 0 offset:388
	;; [unrolled: 1-line block ×8, first 2 shown]
	s_waitcnt vmcnt(46) lgkmcnt(1)
	v_mul_f32_e32 v57, v48, v146
	v_fmac_f32_e32 v57, v49, v145
	v_add_f32_e32 v56, v56, v57
	s_waitcnt vmcnt(44)
	v_mul_f32_e32 v57, v50, v148
	v_fmac_f32_e32 v57, v51, v147
	v_add_f32_e32 v56, v56, v57
	s_waitcnt vmcnt(42) lgkmcnt(0)
	v_mul_f32_e32 v57, v52, v150
	v_fmac_f32_e32 v57, v53, v149
	v_add_f32_e32 v60, v56, v57
	buffer_load_dword v193, off, s[0:3], 0 offset:416
	buffer_load_dword v194, off, s[0:3], 0 offset:420
	;; [unrolled: 1-line block ×4, first 2 shown]
	ds_read_b128 v[56:59], v234 offset:752
	s_waitcnt vmcnt(44)
	v_mul_f32_e32 v61, v54, v152
	v_fmac_f32_e32 v61, v55, v151
	v_add_f32_e32 v64, v60, v61
	ds_read_b128 v[60:63], v234 offset:768
	s_waitcnt vmcnt(42) lgkmcnt(1)
	v_mul_f32_e32 v65, v56, v154
	v_fmac_f32_e32 v65, v57, v153
	v_add_f32_e32 v64, v64, v65
	s_waitcnt vmcnt(40)
	v_mul_f32_e32 v65, v58, v156
	v_fmac_f32_e32 v65, v59, v155
	v_add_f32_e32 v64, v64, v65
	s_waitcnt vmcnt(38) lgkmcnt(0)
	v_mul_f32_e32 v65, v60, v158
	v_fmac_f32_e32 v65, v61, v157
	v_add_f32_e32 v68, v64, v65
	ds_read_b128 v[64:67], v234 offset:784
	s_waitcnt vmcnt(36)
	v_mul_f32_e32 v69, v62, v160
	v_fmac_f32_e32 v69, v63, v159
	v_add_f32_e32 v72, v68, v69
	ds_read_b128 v[68:71], v234 offset:800
	s_waitcnt vmcnt(34) lgkmcnt(1)
	v_mul_f32_e32 v73, v64, v162
	v_fmac_f32_e32 v73, v65, v161
	v_add_f32_e32 v72, v72, v73
	v_mul_f32_e32 v23, v23, v41
	v_fma_f32 v22, v22, v112, -v23
	v_mul_f32_e32 v23, v25, v40
	v_add_f32_e32 v22, 0, v22
	v_fma_f32 v23, v24, v110, -v23
	v_mul_f32_e32 v19, v19, v42
	v_add_f32_e32 v22, v22, v23
	;; [unrolled: 3-line block ×5, first 2 shown]
	s_waitcnt vmcnt(32)
	v_mul_f32_e32 v73, v66, v164
	v_fmac_f32_e32 v73, v67, v163
	v_add_f32_e32 v72, v72, v73
	s_waitcnt vmcnt(30) lgkmcnt(0)
	v_mul_f32_e32 v73, v68, v166
	v_fmac_f32_e32 v73, v69, v165
	v_add_f32_e32 v76, v72, v73
	ds_read_b128 v[72:75], v234 offset:816
	s_waitcnt vmcnt(28)
	v_mul_f32_e32 v77, v70, v168
	v_fmac_f32_e32 v77, v71, v167
	v_add_f32_e32 v80, v76, v77
	ds_read_b128 v[76:79], v234 offset:832
	s_waitcnt vmcnt(26) lgkmcnt(1)
	v_mul_f32_e32 v81, v72, v170
	v_fmac_f32_e32 v81, v73, v169
	v_add_f32_e32 v80, v80, v81
	s_waitcnt vmcnt(24)
	v_mul_f32_e32 v81, v74, v172
	v_fmac_f32_e32 v81, v75, v171
	v_add_f32_e32 v80, v80, v81
	s_waitcnt vmcnt(22) lgkmcnt(0)
	v_mul_f32_e32 v81, v76, v174
	v_fmac_f32_e32 v81, v77, v173
	v_add_f32_e32 v84, v80, v81
	ds_read_b128 v[80:83], v234 offset:848
	s_waitcnt vmcnt(20)
	v_mul_f32_e32 v85, v78, v176
	v_fmac_f32_e32 v85, v79, v175
	v_add_f32_e32 v88, v84, v85
	ds_read_b128 v[84:87], v234 offset:864
	s_waitcnt vmcnt(18) lgkmcnt(1)
	v_mul_f32_e32 v89, v80, v178
	v_fmac_f32_e32 v89, v81, v177
	v_add_f32_e32 v88, v88, v89
	s_waitcnt vmcnt(16)
	v_mul_f32_e32 v89, v82, v180
	v_fmac_f32_e32 v89, v83, v179
	v_add_f32_e32 v88, v88, v89
	s_waitcnt vmcnt(14) lgkmcnt(0)
	v_mul_f32_e32 v89, v84, v182
	v_fmac_f32_e32 v89, v85, v181
	v_add_f32_e32 v92, v88, v89
	ds_read_b128 v[88:91], v234 offset:880
	s_waitcnt vmcnt(12)
	v_mul_f32_e32 v93, v86, v184
	v_fmac_f32_e32 v93, v87, v183
	v_add_f32_e32 v96, v92, v93
	ds_read_b128 v[92:95], v234 offset:896
	buffer_load_dword v105, off, s[0:3], 0 offset:436
	buffer_load_dword v104, off, s[0:3], 0 offset:432
	s_waitcnt vmcnt(12) lgkmcnt(1)
	v_mul_f32_e32 v97, v88, v186
	v_fmac_f32_e32 v97, v89, v185
	v_add_f32_e32 v96, v96, v97
	s_waitcnt vmcnt(10)
	v_mul_f32_e32 v97, v90, v188
	v_fmac_f32_e32 v97, v91, v187
	v_add_f32_e32 v96, v96, v97
	s_waitcnt vmcnt(8) lgkmcnt(0)
	v_mul_f32_e32 v97, v92, v190
	v_fmac_f32_e32 v97, v93, v189
	s_waitcnt vmcnt(6)
	v_mul_f32_e32 v101, v94, v192
	v_add_f32_e32 v100, v96, v97
	v_fmac_f32_e32 v101, v95, v191
	ds_read_b128 v[96:99], v234 offset:912
	v_add_f32_e32 v107, v100, v101
	ds_read_b128 v[100:103], v234 offset:928
	buffer_load_dword v115, off, s[0:3], 0 offset:468
	buffer_load_dword v114, off, s[0:3], 0 offset:464
	;; [unrolled: 1-line block ×14, first 2 shown]
	v_fma_f32 v15, v16, v129, -v15
	v_mul_f32_e32 v11, v11, v36
	v_add_f32_e32 v14, v14, v15
	v_fma_f32 v10, v10, v128, -v11
	v_mul_f32_e32 v11, v13, v43
	v_add_f32_e32 v10, v14, v10
	;; [unrolled: 3-line block ×6, first 2 shown]
	v_fma_f32 v3, v4, v140, -v3
	v_add_f32_e32 v2, v2, v3
	v_mul_f32_e32 v3, v27, v141
	v_fma_f32 v3, v26, v139, -v3
	v_add_f32_e32 v2, v2, v3
	v_mul_f32_e32 v3, v29, v142
	;; [unrolled: 3-line block ×28, first 2 shown]
	v_fma_f32 v3, v94, v191, -v3
	s_waitcnt vmcnt(15)
	v_mov_b32_e32 v16, v105
	s_waitcnt lgkmcnt(1)
	v_mul_f32_e32 v111, v96, v194
	v_add_f32_e32 v106, v2, v3
	v_mul_f32_e32 v2, v97, v194
	s_waitcnt lgkmcnt(0)
	v_pk_mul_f32 v[16:17], v[100:101], v[16:17] op_sel_hi:[1,0]
	v_fmac_f32_e32 v111, v97, v193
	v_mul_f32_e32 v113, v98, v196
	v_fma_f32 v110, v96, v193, -v2
	v_mul_f32_e32 v2, v99, v196
	s_waitcnt vmcnt(14)
	v_pk_fma_f32 v[18:19], v[100:101], v[104:105], v[16:17] op_sel:[0,0,1] op_sel_hi:[1,1,0] neg_lo:[0,0,1] neg_hi:[0,0,1]
	v_pk_fma_f32 v[16:17], v[100:101], v[104:105], v[16:17] op_sel:[0,0,1] op_sel_hi:[1,0,0]
	v_fmac_f32_e32 v113, v99, v195
	v_fma_f32 v112, v98, v195, -v2
	v_pk_add_f32 v[14:15], v[106:107], v[110:111]
	s_waitcnt vmcnt(7)
	v_mov_b32_e32 v16, v121
	ds_read_b128 v[2:5], v234 offset:944
	ds_read_b128 v[6:9], v234 offset:960
	;; [unrolled: 1-line block ×3, first 2 shown]
	v_pk_add_f32 v[14:15], v[14:15], v[112:113]
	v_mov_b32_e32 v19, v17
	v_pk_mul_f32 v[16:17], v[102:103], v[16:17] op_sel_hi:[1,0]
	v_pk_add_f32 v[14:15], v[14:15], v[18:19]
	s_waitcnt vmcnt(6)
	v_pk_fma_f32 v[18:19], v[102:103], v[120:121], v[16:17] op_sel:[0,0,1] op_sel_hi:[1,1,0] neg_lo:[0,0,1] neg_hi:[0,0,1]
	v_pk_fma_f32 v[16:17], v[102:103], v[120:121], v[16:17] op_sel:[0,0,1] op_sel_hi:[1,0,0]
	v_mov_b32_e32 v16, v119
	v_mov_b32_e32 v19, v17
	s_waitcnt lgkmcnt(2)
	v_pk_mul_f32 v[16:17], v[2:3], v[16:17] op_sel_hi:[1,0]
	v_pk_add_f32 v[14:15], v[14:15], v[18:19]
	v_pk_fma_f32 v[18:19], v[2:3], v[118:119], v[16:17] op_sel:[0,0,1] op_sel_hi:[1,1,0] neg_lo:[0,0,1] neg_hi:[0,0,1]
	v_pk_fma_f32 v[2:3], v[2:3], v[118:119], v[16:17] op_sel:[0,0,1] op_sel_hi:[1,0,0]
	v_mov_b32_e32 v19, v3
	v_pk_add_f32 v[2:3], v[14:15], v[18:19]
	v_mov_b32_e32 v14, v117
	v_pk_mul_f32 v[14:15], v[4:5], v[14:15] op_sel_hi:[1,0]
	v_pk_fma_f32 v[16:17], v[4:5], v[116:117], v[14:15] op_sel:[0,0,1] op_sel_hi:[1,1,0] neg_lo:[0,0,1] neg_hi:[0,0,1]
	v_pk_fma_f32 v[4:5], v[4:5], v[116:117], v[14:15] op_sel:[0,0,1] op_sel_hi:[1,0,0]
	v_mov_b32_e32 v4, v115
	v_mov_b32_e32 v17, v5
	s_waitcnt lgkmcnt(1)
	v_pk_mul_f32 v[4:5], v[6:7], v[4:5] op_sel_hi:[1,0]
	v_pk_fma_f32 v[14:15], v[6:7], v[114:115], v[4:5] op_sel:[0,0,1] op_sel_hi:[1,1,0] neg_lo:[0,0,1] neg_hi:[0,0,1]
	v_pk_fma_f32 v[4:5], v[6:7], v[114:115], v[4:5] op_sel:[0,0,1] op_sel_hi:[1,0,0]
	s_waitcnt vmcnt(1)
	v_mov_b32_e32 v4, v127
	v_mov_b32_e32 v15, v5
	v_pk_mul_f32 v[4:5], v[8:9], v[4:5] op_sel_hi:[1,0]
	s_waitcnt vmcnt(0)
	v_pk_fma_f32 v[6:7], v[8:9], v[126:127], v[4:5] op_sel:[0,0,1] op_sel_hi:[1,1,0] neg_lo:[0,0,1] neg_hi:[0,0,1]
	v_pk_fma_f32 v[4:5], v[8:9], v[126:127], v[4:5] op_sel:[0,0,1] op_sel_hi:[1,0,0]
	v_pk_add_f32 v[2:3], v[2:3], v[16:17]
	v_mov_b32_e32 v4, v125
	v_pk_add_f32 v[2:3], v[2:3], v[14:15]
	v_mov_b32_e32 v7, v5
	s_waitcnt lgkmcnt(0)
	v_pk_mul_f32 v[4:5], v[10:11], v[4:5] op_sel_hi:[1,0]
	v_pk_add_f32 v[2:3], v[2:3], v[6:7]
	v_pk_fma_f32 v[6:7], v[10:11], v[124:125], v[4:5] op_sel:[0,0,1] op_sel_hi:[1,1,0] neg_lo:[0,0,1] neg_hi:[0,0,1]
	v_pk_fma_f32 v[4:5], v[10:11], v[124:125], v[4:5] op_sel:[0,0,1] op_sel_hi:[1,0,0]
	v_mov_b32_e32 v4, v123
	v_mov_b32_e32 v7, v5
	v_pk_mul_f32 v[4:5], v[12:13], v[4:5] op_sel_hi:[1,0]
	v_pk_add_f32 v[2:3], v[2:3], v[6:7]
	v_pk_fma_f32 v[6:7], v[12:13], v[122:123], v[4:5] op_sel:[0,0,1] op_sel_hi:[1,1,0] neg_lo:[0,0,1] neg_hi:[0,0,1]
	v_pk_fma_f32 v[4:5], v[12:13], v[122:123], v[4:5] op_sel:[0,0,1] op_sel_hi:[1,0,0]
	v_mov_b32_e32 v7, v5
	v_pk_add_f32 v[2:3], v[2:3], v[6:7]
	v_pk_add_f32 v[2:3], v[34:35], v[2:3] neg_lo:[0,1] neg_hi:[0,1]
	buffer_store_dword v3, off, s[0:3], 0 offset:92
	buffer_store_dword v2, off, s[0:3], 0 offset:88
	s_and_saveexec_b64 s[4:5], vcc
	s_cbranch_execz .LBB125_365
; %bb.364:
	buffer_load_dword v2, off, s[0:3], 0 offset:80
	buffer_load_dword v3, off, s[0:3], 0 offset:84
	v_mov_b32_e32 v4, 0
	buffer_store_dword v4, off, s[0:3], 0 offset:80
	buffer_store_dword v4, off, s[0:3], 0 offset:84
	s_waitcnt vmcnt(2)
	ds_write_b64 v210, v[2:3]
.LBB125_365:
	s_or_b64 exec, exec, s[4:5]
	s_waitcnt lgkmcnt(0)
	; wave barrier
	s_waitcnt lgkmcnt(0)
	buffer_load_dword v46, off, s[0:3], 0 offset:92
	buffer_load_dword v45, off, s[0:3], 0 offset:100
	;; [unrolled: 1-line block ×48, first 2 shown]
	v_mov_b32_e32 v44, 0
	ds_read2_b64 v[22:25], v44 offset0:73 offset1:74
	ds_read2_b64 v[18:21], v44 offset0:75 offset1:76
	;; [unrolled: 1-line block ×6, first 2 shown]
	buffer_load_dword v160, off, s[0:3], 0 offset:272
	buffer_load_dword v161, off, s[0:3], 0 offset:276
	v_cmp_lt_u32_e32 vcc, 9, v0
	s_waitcnt vmcnt(49) lgkmcnt(5)
	v_mul_f32_e32 v26, v22, v46
	s_waitcnt vmcnt(48)
	v_mul_f32_e32 v27, v24, v45
	s_waitcnt vmcnt(47) lgkmcnt(4)
	v_mul_f32_e32 v29, v20, v43
	s_waitcnt vmcnt(46) lgkmcnt(3)
	v_mul_f32_e32 v30, v14, v42
	s_waitcnt vmcnt(45)
	v_mul_f32_e32 v31, v16, v41
	s_waitcnt vmcnt(44) lgkmcnt(2)
	v_mul_f32_e32 v32, v10, v40
	s_waitcnt vmcnt(43)
	v_mul_f32_e32 v28, v18, v47
	s_waitcnt vmcnt(42)
	v_mul_f32_e32 v33, v12, v48
	s_waitcnt vmcnt(41) lgkmcnt(1)
	v_mul_f32_e32 v34, v6, v49
	s_waitcnt vmcnt(40)
	v_mul_f32_e32 v35, v8, v50
	s_waitcnt vmcnt(39) lgkmcnt(0)
	v_mul_f32_e32 v36, v2, v51
	s_waitcnt vmcnt(38)
	v_mul_f32_e32 v37, v4, v52
	s_waitcnt vmcnt(37)
	v_fmac_f32_e32 v28, v19, v58
	s_waitcnt vmcnt(36)
	v_fmac_f32_e32 v27, v25, v61
	;; [unrolled: 2-line block ×3, first 2 shown]
	v_add_f32_e32 v26, 0, v26
	v_add_f32_e32 v26, v26, v27
	v_add_f32_e32 v26, v26, v28
	s_waitcnt vmcnt(31)
	v_fmac_f32_e32 v29, v21, v63
	v_fmac_f32_e32 v30, v15, v60
	v_add_f32_e32 v26, v26, v29
	v_fmac_f32_e32 v31, v17, v57
	v_add_f32_e32 v26, v26, v30
	;; [unrolled: 2-line block ×3, first 2 shown]
	s_waitcnt vmcnt(27)
	v_fmac_f32_e32 v33, v13, v59
	v_add_f32_e32 v26, v26, v32
	v_fmac_f32_e32 v34, v7, v56
	v_add_f32_e32 v26, v26, v33
	;; [unrolled: 2-line block ×4, first 2 shown]
	s_waitcnt vmcnt(22)
	v_fmac_f32_e32 v37, v5, v141
	v_add_f32_e32 v26, v26, v36
	v_add_f32_e32 v34, v26, v37
	ds_read2_b64 v[26:29], v44 offset0:85 offset1:86
	buffer_load_dword v162, off, s[0:3], 0 offset:280
	buffer_load_dword v163, off, s[0:3], 0 offset:284
	ds_read2_b64 v[30:33], v44 offset0:87 offset1:88
	buffer_load_dword v164, off, s[0:3], 0 offset:288
	buffer_load_dword v165, off, s[0:3], 0 offset:292
	;; [unrolled: 1-line block ×12, first 2 shown]
	s_waitcnt vmcnt(35) lgkmcnt(1)
	v_mul_f32_e32 v35, v26, v142
	v_fmac_f32_e32 v35, v27, v140
	buffer_load_dword v176, off, s[0:3], 0 offset:336
	buffer_load_dword v177, off, s[0:3], 0 offset:340
	v_add_f32_e32 v34, v34, v35
	s_waitcnt vmcnt(36)
	v_mul_f32_e32 v35, v28, v143
	v_fmac_f32_e32 v35, v29, v122
	v_add_f32_e32 v34, v34, v35
	s_waitcnt lgkmcnt(0)
	v_mul_f32_e32 v35, v30, v120
	buffer_load_dword v178, off, s[0:3], 0 offset:344
	buffer_load_dword v179, off, s[0:3], 0 offset:348
	v_fmac_f32_e32 v35, v31, v62
	v_add_f32_e32 v64, v34, v35
	ds_read2_b64 v[34:37], v44 offset0:89 offset1:90
	buffer_load_dword v180, off, s[0:3], 0 offset:352
	buffer_load_dword v181, off, s[0:3], 0 offset:356
	;; [unrolled: 1-line block ×4, first 2 shown]
	s_waitcnt vmcnt(38)
	v_mul_f32_e32 v65, v32, v145
	v_fmac_f32_e32 v65, v33, v144
	v_add_f32_e32 v68, v64, v65
	ds_read2_b64 v[64:67], v44 offset0:91 offset1:92
	buffer_load_dword v184, off, s[0:3], 0 offset:368
	buffer_load_dword v185, off, s[0:3], 0 offset:372
	;; [unrolled: 1-line block ×10, first 2 shown]
	s_waitcnt vmcnt(46) lgkmcnt(1)
	v_mul_f32_e32 v69, v34, v147
	v_fmac_f32_e32 v69, v35, v146
	v_add_f32_e32 v68, v68, v69
	s_waitcnt vmcnt(44)
	v_mul_f32_e32 v69, v36, v149
	v_fmac_f32_e32 v69, v37, v148
	v_add_f32_e32 v68, v68, v69
	s_waitcnt vmcnt(42) lgkmcnt(0)
	v_mul_f32_e32 v69, v64, v151
	v_fmac_f32_e32 v69, v65, v150
	v_add_f32_e32 v72, v68, v69
	buffer_load_dword v194, off, s[0:3], 0 offset:408
	buffer_load_dword v195, off, s[0:3], 0 offset:412
	;; [unrolled: 1-line block ×6, first 2 shown]
	ds_read2_b64 v[68:71], v44 offset0:93 offset1:94
	s_waitcnt vmcnt(46)
	v_mul_f32_e32 v73, v66, v153
	v_fmac_f32_e32 v73, v67, v152
	v_add_f32_e32 v76, v72, v73
	ds_read2_b64 v[72:75], v44 offset0:95 offset1:96
	s_waitcnt vmcnt(44) lgkmcnt(1)
	v_mul_f32_e32 v77, v68, v155
	v_fmac_f32_e32 v77, v69, v154
	v_add_f32_e32 v76, v76, v77
	s_waitcnt vmcnt(42)
	v_mul_f32_e32 v77, v70, v157
	v_fmac_f32_e32 v77, v71, v156
	v_add_f32_e32 v76, v76, v77
	s_waitcnt vmcnt(40) lgkmcnt(0)
	v_mul_f32_e32 v77, v72, v159
	v_fmac_f32_e32 v77, v73, v158
	v_add_f32_e32 v80, v76, v77
	ds_read2_b64 v[76:79], v44 offset0:97 offset1:98
	s_waitcnt vmcnt(38)
	v_mul_f32_e32 v81, v74, v161
	v_fmac_f32_e32 v81, v75, v160
	v_add_f32_e32 v84, v80, v81
	ds_read2_b64 v[80:83], v44 offset0:99 offset1:100
	v_mul_f32_e32 v23, v23, v46
	v_fma_f32 v22, v22, v118, -v23
	v_mul_f32_e32 v23, v25, v45
	v_add_f32_e32 v22, 0, v22
	v_fma_f32 v23, v24, v61, -v23
	v_mul_f32_e32 v19, v19, v47
	v_add_f32_e32 v22, v22, v23
	v_fma_f32 v18, v18, v58, -v19
	v_mul_f32_e32 v19, v21, v43
	v_add_f32_e32 v18, v22, v18
	v_fma_f32 v19, v20, v63, -v19
	v_mul_f32_e32 v15, v15, v42
	v_add_f32_e32 v18, v18, v19
	v_fma_f32 v14, v14, v60, -v15
	v_mul_f32_e32 v15, v17, v41
	v_add_f32_e32 v14, v18, v14
	v_fma_f32 v15, v16, v57, -v15
	v_mul_f32_e32 v11, v11, v40
	v_add_f32_e32 v14, v14, v15
	v_fma_f32 v10, v10, v55, -v11
	s_waitcnt vmcnt(36) lgkmcnt(1)
	v_mul_f32_e32 v85, v76, v163
	v_fmac_f32_e32 v85, v77, v162
	v_add_f32_e32 v84, v84, v85
	s_waitcnt vmcnt(34)
	v_mul_f32_e32 v85, v78, v165
	v_fmac_f32_e32 v85, v79, v164
	v_add_f32_e32 v84, v84, v85
	s_waitcnt vmcnt(32) lgkmcnt(0)
	v_mul_f32_e32 v85, v80, v167
	v_fmac_f32_e32 v85, v81, v166
	v_add_f32_e32 v88, v84, v85
	ds_read2_b64 v[84:87], v44 offset0:101 offset1:102
	s_waitcnt vmcnt(30)
	v_mul_f32_e32 v89, v82, v169
	v_fmac_f32_e32 v89, v83, v168
	v_add_f32_e32 v92, v88, v89
	ds_read2_b64 v[88:91], v44 offset0:103 offset1:104
	s_waitcnt vmcnt(28) lgkmcnt(1)
	v_mul_f32_e32 v93, v84, v171
	v_fmac_f32_e32 v93, v85, v170
	v_add_f32_e32 v92, v92, v93
	s_waitcnt vmcnt(26)
	v_mul_f32_e32 v93, v86, v173
	v_fmac_f32_e32 v93, v87, v172
	v_add_f32_e32 v92, v92, v93
	s_waitcnt vmcnt(24) lgkmcnt(0)
	v_mul_f32_e32 v93, v88, v175
	v_fmac_f32_e32 v93, v89, v174
	v_add_f32_e32 v96, v92, v93
	ds_read2_b64 v[92:95], v44 offset0:105 offset1:106
	s_waitcnt vmcnt(22)
	v_mul_f32_e32 v97, v90, v177
	v_fmac_f32_e32 v97, v91, v176
	v_add_f32_e32 v100, v96, v97
	ds_read2_b64 v[96:99], v44 offset0:107 offset1:108
	;; [unrolled: 18-line block ×3, first 2 shown]
	s_waitcnt vmcnt(12) lgkmcnt(1)
	v_mul_f32_e32 v111, v100, v187
	v_fmac_f32_e32 v111, v101, v186
	v_add_f32_e32 v110, v110, v111
	s_waitcnt vmcnt(10)
	v_mul_f32_e32 v111, v102, v189
	v_fmac_f32_e32 v111, v103, v188
	v_add_f32_e32 v110, v110, v111
	s_waitcnt vmcnt(8) lgkmcnt(0)
	v_mul_f32_e32 v111, v104, v191
	v_fmac_f32_e32 v111, v105, v190
	s_waitcnt vmcnt(6)
	v_mul_f32_e32 v115, v106, v193
	v_add_f32_e32 v114, v110, v111
	v_fmac_f32_e32 v115, v107, v192
	ds_read2_b64 v[110:113], v44 offset0:113 offset1:114
	v_add_f32_e32 v119, v114, v115
	ds_read2_b64 v[114:117], v44 offset0:115 offset1:116
	buffer_load_dword v125, off, s[0:3], 0 offset:460
	buffer_load_dword v124, off, s[0:3], 0 offset:456
	;; [unrolled: 1-line block ×16, first 2 shown]
	v_mul_f32_e32 v11, v13, v48
	v_add_f32_e32 v10, v14, v10
	v_fma_f32 v11, v12, v59, -v11
	v_mul_f32_e32 v7, v7, v49
	v_add_f32_e32 v10, v10, v11
	v_fma_f32 v6, v6, v56, -v7
	;; [unrolled: 3-line block ×5, first 2 shown]
	v_add_f32_e32 v2, v2, v3
	v_mul_f32_e32 v3, v27, v142
	v_fma_f32 v3, v26, v140, -v3
	v_add_f32_e32 v2, v2, v3
	v_mul_f32_e32 v3, v29, v143
	v_fma_f32 v3, v28, v122, -v3
	;; [unrolled: 3-line block ×28, first 2 shown]
	v_add_f32_e32 v2, v2, v3
	s_waitcnt vmcnt(20) lgkmcnt(1)
	v_mul_f32_e32 v3, v111, v195
	v_mul_f32_e32 v121, v110, v195
	v_fma_f32 v3, v110, v194, -v3
	v_fmac_f32_e32 v121, v111, v194
	v_add_f32_e32 v118, v2, v3
	s_waitcnt vmcnt(18)
	v_mul_f32_e32 v2, v113, v197
	s_waitcnt vmcnt(9)
	v_mov_b32_e32 v18, v131
	v_add_f32_e32 v119, v119, v121
	v_mul_f32_e32 v121, v112, v197
	v_fma_f32 v120, v112, v196, -v2
	s_waitcnt lgkmcnt(0)
	v_mul_f32_e32 v2, v115, v199
	v_pk_mul_f32 v[18:19], v[116:117], v[18:19] op_sel_hi:[1,0]
	v_fmac_f32_e32 v121, v113, v196
	v_mul_f32_e32 v123, v114, v199
	v_fma_f32 v122, v114, v198, -v2
	ds_read2_b64 v[2:5], v44 offset0:117 offset1:118
	ds_read2_b64 v[6:9], v44 offset0:119 offset1:120
	;; [unrolled: 1-line block ×3, first 2 shown]
	ds_read_b64 v[14:15], v44 offset:984
	s_waitcnt vmcnt(8)
	v_pk_fma_f32 v[20:21], v[116:117], v[130:131], v[18:19] op_sel:[0,0,1] op_sel_hi:[1,1,0] neg_lo:[0,0,1] neg_hi:[0,0,1]
	v_pk_fma_f32 v[18:19], v[116:117], v[130:131], v[18:19] op_sel:[0,0,1] op_sel_hi:[1,0,0]
	v_fmac_f32_e32 v123, v115, v198
	v_pk_add_f32 v[16:17], v[118:119], v[120:121]
	v_mov_b32_e32 v18, v129
	v_pk_add_f32 v[16:17], v[16:17], v[122:123]
	v_mov_b32_e32 v21, v19
	s_waitcnt lgkmcnt(3)
	v_pk_mul_f32 v[18:19], v[2:3], v[18:19] op_sel_hi:[1,0]
	v_pk_add_f32 v[16:17], v[16:17], v[20:21]
	v_pk_fma_f32 v[20:21], v[2:3], v[128:129], v[18:19] op_sel:[0,0,1] op_sel_hi:[1,1,0] neg_lo:[0,0,1] neg_hi:[0,0,1]
	v_pk_fma_f32 v[2:3], v[2:3], v[128:129], v[18:19] op_sel:[0,0,1] op_sel_hi:[1,0,0]
	v_mov_b32_e32 v21, v3
	v_pk_add_f32 v[2:3], v[16:17], v[20:21]
	v_mov_b32_e32 v16, v127
	v_pk_mul_f32 v[16:17], v[4:5], v[16:17] op_sel_hi:[1,0]
	v_pk_fma_f32 v[18:19], v[4:5], v[126:127], v[16:17] op_sel:[0,0,1] op_sel_hi:[1,1,0] neg_lo:[0,0,1] neg_hi:[0,0,1]
	v_pk_fma_f32 v[4:5], v[4:5], v[126:127], v[16:17] op_sel:[0,0,1] op_sel_hi:[1,0,0]
	v_mov_b32_e32 v4, v125
	v_mov_b32_e32 v19, v5
	s_waitcnt lgkmcnt(2)
	v_pk_mul_f32 v[4:5], v[6:7], v[4:5] op_sel_hi:[1,0]
	v_pk_fma_f32 v[16:17], v[6:7], v[124:125], v[4:5] op_sel:[0,0,1] op_sel_hi:[1,1,0] neg_lo:[0,0,1] neg_hi:[0,0,1]
	v_pk_fma_f32 v[4:5], v[6:7], v[124:125], v[4:5] op_sel:[0,0,1] op_sel_hi:[1,0,0]
	s_waitcnt vmcnt(1)
	v_mov_b32_e32 v4, v139
	v_mov_b32_e32 v17, v5
	v_pk_mul_f32 v[4:5], v[8:9], v[4:5] op_sel_hi:[1,0]
	s_waitcnt vmcnt(0)
	v_pk_fma_f32 v[6:7], v[8:9], v[138:139], v[4:5] op_sel:[0,0,1] op_sel_hi:[1,1,0] neg_lo:[0,0,1] neg_hi:[0,0,1]
	v_pk_fma_f32 v[4:5], v[8:9], v[138:139], v[4:5] op_sel:[0,0,1] op_sel_hi:[1,0,0]
	v_pk_add_f32 v[2:3], v[2:3], v[18:19]
	v_mov_b32_e32 v4, v137
	v_pk_add_f32 v[2:3], v[2:3], v[16:17]
	v_mov_b32_e32 v7, v5
	s_waitcnt lgkmcnt(1)
	v_pk_mul_f32 v[4:5], v[10:11], v[4:5] op_sel_hi:[1,0]
	v_pk_add_f32 v[2:3], v[2:3], v[6:7]
	v_pk_fma_f32 v[6:7], v[10:11], v[136:137], v[4:5] op_sel:[0,0,1] op_sel_hi:[1,1,0] neg_lo:[0,0,1] neg_hi:[0,0,1]
	v_pk_fma_f32 v[4:5], v[10:11], v[136:137], v[4:5] op_sel:[0,0,1] op_sel_hi:[1,0,0]
	v_mov_b32_e32 v4, v135
	v_mov_b32_e32 v7, v5
	v_pk_mul_f32 v[4:5], v[12:13], v[4:5] op_sel_hi:[1,0]
	v_pk_add_f32 v[2:3], v[2:3], v[6:7]
	v_pk_fma_f32 v[6:7], v[12:13], v[134:135], v[4:5] op_sel:[0,0,1] op_sel_hi:[1,1,0] neg_lo:[0,0,1] neg_hi:[0,0,1]
	v_pk_fma_f32 v[4:5], v[12:13], v[134:135], v[4:5] op_sel:[0,0,1] op_sel_hi:[1,0,0]
	v_mov_b32_e32 v4, v133
	v_mov_b32_e32 v7, v5
	s_waitcnt lgkmcnt(0)
	v_pk_mul_f32 v[4:5], v[14:15], v[4:5] op_sel_hi:[1,0]
	v_pk_add_f32 v[2:3], v[2:3], v[6:7]
	v_pk_fma_f32 v[6:7], v[14:15], v[132:133], v[4:5] op_sel:[0,0,1] op_sel_hi:[1,1,0] neg_lo:[0,0,1] neg_hi:[0,0,1]
	v_pk_fma_f32 v[4:5], v[14:15], v[132:133], v[4:5] op_sel:[0,0,1] op_sel_hi:[1,0,0]
	v_mov_b32_e32 v7, v5
	v_pk_add_f32 v[2:3], v[2:3], v[6:7]
	v_pk_add_f32 v[2:3], v[38:39], v[2:3] neg_lo:[0,1] neg_hi:[0,1]
	buffer_store_dword v3, off, s[0:3], 0 offset:84
	buffer_store_dword v2, off, s[0:3], 0 offset:80
	s_and_saveexec_b64 s[4:5], vcc
	s_cbranch_execz .LBB125_367
; %bb.366:
	buffer_load_dword v2, off, s[0:3], 0 offset:72
	buffer_load_dword v3, off, s[0:3], 0 offset:76
	s_waitcnt vmcnt(0)
	ds_write_b64 v210, v[2:3]
	buffer_store_dword v44, off, s[0:3], 0 offset:72
	buffer_store_dword v44, off, s[0:3], 0 offset:76
.LBB125_367:
	s_or_b64 exec, exec, s[4:5]
	s_waitcnt lgkmcnt(0)
	; wave barrier
	s_waitcnt lgkmcnt(0)
	buffer_load_dword v50, off, s[0:3], 0 offset:84
	buffer_load_dword v49, off, s[0:3], 0 offset:92
	;; [unrolled: 1-line block ×32, first 2 shown]
	ds_read_b128 v[26:29], v44 offset:576
	ds_read_b128 v[22:25], v44 offset:592
	;; [unrolled: 1-line block ×4, first 2 shown]
	buffer_load_dword v144, off, s[0:3], 0 offset:200
	buffer_load_dword v145, off, s[0:3], 0 offset:204
	ds_read_b128 v[14:17], v44 offset:640
	ds_read_b128 v[6:9], v44 offset:656
	;; [unrolled: 1-line block ×3, first 2 shown]
	buffer_load_dword v146, off, s[0:3], 0 offset:208
	buffer_load_dword v147, off, s[0:3], 0 offset:212
	;; [unrolled: 1-line block ×16, first 2 shown]
	v_cmp_lt_u32_e32 vcc, 8, v0
	s_waitcnt vmcnt(49) lgkmcnt(6)
	v_mul_f32_e32 v30, v26, v50
	s_waitcnt vmcnt(48)
	v_mul_f32_e32 v31, v28, v49
	s_waitcnt vmcnt(47) lgkmcnt(5)
	v_mul_f32_e32 v33, v24, v48
	s_waitcnt vmcnt(46) lgkmcnt(4)
	v_mul_f32_e32 v34, v18, v47
	s_waitcnt vmcnt(45)
	v_mul_f32_e32 v35, v20, v45
	s_waitcnt vmcnt(44)
	v_mul_f32_e32 v32, v22, v51
	s_waitcnt vmcnt(43) lgkmcnt(3)
	v_mul_f32_e32 v36, v10, v46
	s_waitcnt vmcnt(42)
	v_mul_f32_e32 v37, v12, v52
	s_waitcnt vmcnt(41) lgkmcnt(2)
	;; [unrolled: 4-line block ×3, first 2 shown]
	v_mul_f32_e32 v40, v6, v55
	s_waitcnt vmcnt(38)
	v_mul_f32_e32 v41, v8, v56
	s_waitcnt vmcnt(37)
	v_fmac_f32_e32 v32, v23, v62
	s_waitcnt vmcnt(36)
	v_fmac_f32_e32 v31, v29, v65
	;; [unrolled: 2-line block ×3, first 2 shown]
	v_add_f32_e32 v30, 0, v30
	v_add_f32_e32 v30, v30, v31
	;; [unrolled: 1-line block ×3, first 2 shown]
	s_waitcnt vmcnt(31)
	v_fmac_f32_e32 v33, v25, v66
	v_fmac_f32_e32 v34, v19, v64
	v_add_f32_e32 v30, v30, v33
	v_fmac_f32_e32 v35, v21, v61
	v_add_f32_e32 v30, v30, v34
	;; [unrolled: 2-line block ×3, first 2 shown]
	s_waitcnt vmcnt(27)
	v_fmac_f32_e32 v37, v13, v63
	v_add_f32_e32 v30, v30, v36
	v_fmac_f32_e32 v38, v15, v60
	v_add_f32_e32 v30, v30, v37
	;; [unrolled: 2-line block ×4, first 2 shown]
	s_waitcnt vmcnt(23)
	v_fmac_f32_e32 v41, v9, v140
	v_add_f32_e32 v30, v30, v40
	v_add_f32_e32 v34, v30, v41
	ds_read_b128 v[30:33], v44 offset:688
	buffer_load_dword v162, off, s[0:3], 0 offset:272
	buffer_load_dword v163, off, s[0:3], 0 offset:276
	;; [unrolled: 1-line block ×12, first 2 shown]
	s_waitcnt vmcnt(34) lgkmcnt(1)
	v_mul_f32_e32 v35, v2, v141
	v_fmac_f32_e32 v35, v3, v128
	buffer_load_dword v174, off, s[0:3], 0 offset:320
	buffer_load_dword v175, off, s[0:3], 0 offset:324
	v_add_f32_e32 v34, v34, v35
	s_waitcnt vmcnt(35)
	v_mul_f32_e32 v35, v4, v142
	v_fmac_f32_e32 v35, v5, v120
	v_add_f32_e32 v34, v34, v35
	s_waitcnt vmcnt(34) lgkmcnt(0)
	v_mul_f32_e32 v35, v30, v143
	v_fmac_f32_e32 v35, v31, v67
	buffer_load_dword v176, off, s[0:3], 0 offset:328
	buffer_load_dword v177, off, s[0:3], 0 offset:332
	v_add_f32_e32 v34, v34, v35
	s_waitcnt vmcnt(32)
	v_mul_f32_e32 v35, v32, v145
	v_fmac_f32_e32 v35, v33, v144
	v_add_f32_e32 v68, v34, v35
	ds_read_b128 v[34:37], v44 offset:704
	buffer_load_dword v178, off, s[0:3], 0 offset:336
	buffer_load_dword v179, off, s[0:3], 0 offset:340
	ds_read_b128 v[38:41], v44 offset:720
	buffer_load_dword v180, off, s[0:3], 0 offset:344
	buffer_load_dword v181, off, s[0:3], 0 offset:348
	;; [unrolled: 1-line block ×14, first 2 shown]
	s_waitcnt vmcnt(46) lgkmcnt(1)
	v_mul_f32_e32 v69, v34, v147
	v_fmac_f32_e32 v69, v35, v146
	v_add_f32_e32 v68, v68, v69
	s_waitcnt vmcnt(44)
	v_mul_f32_e32 v69, v36, v149
	v_fmac_f32_e32 v69, v37, v148
	v_add_f32_e32 v68, v68, v69
	s_waitcnt vmcnt(42) lgkmcnt(0)
	v_mul_f32_e32 v69, v38, v151
	v_fmac_f32_e32 v69, v39, v150
	v_add_f32_e32 v72, v68, v69
	buffer_load_dword v194, off, s[0:3], 0 offset:400
	buffer_load_dword v195, off, s[0:3], 0 offset:404
	ds_read_b128 v[68:71], v44 offset:736
	s_waitcnt vmcnt(42)
	v_mul_f32_e32 v73, v40, v153
	v_fmac_f32_e32 v73, v41, v152
	buffer_load_dword v196, off, s[0:3], 0 offset:408
	buffer_load_dword v197, off, s[0:3], 0 offset:412
	v_add_f32_e32 v76, v72, v73
	buffer_load_dword v198, off, s[0:3], 0 offset:416
	buffer_load_dword v199, off, s[0:3], 0 offset:420
	ds_read_b128 v[72:75], v44 offset:752
	s_waitcnt vmcnt(44) lgkmcnt(1)
	v_mul_f32_e32 v77, v68, v155
	v_fmac_f32_e32 v77, v69, v154
	v_add_f32_e32 v76, v76, v77
	s_waitcnt vmcnt(42)
	v_mul_f32_e32 v77, v70, v157
	v_fmac_f32_e32 v77, v71, v156
	v_add_f32_e32 v76, v76, v77
	s_waitcnt vmcnt(40) lgkmcnt(0)
	v_mul_f32_e32 v77, v72, v159
	v_fmac_f32_e32 v77, v73, v158
	buffer_load_dword v200, off, s[0:3], 0 offset:424
	buffer_load_dword v201, off, s[0:3], 0 offset:428
	v_add_f32_e32 v80, v76, v77
	ds_read_b128 v[76:79], v44 offset:768
	s_waitcnt vmcnt(40)
	v_mul_f32_e32 v81, v74, v161
	v_fmac_f32_e32 v81, v75, v160
	v_add_f32_e32 v84, v80, v81
	ds_read_b128 v[80:83], v44 offset:784
	v_mul_f32_e32 v27, v27, v50
	v_fma_f32 v26, v26, v118, -v27
	v_mul_f32_e32 v27, v29, v49
	v_add_f32_e32 v26, 0, v26
	v_fma_f32 v27, v28, v65, -v27
	v_mul_f32_e32 v23, v23, v51
	v_add_f32_e32 v26, v26, v27
	;; [unrolled: 3-line block ×5, first 2 shown]
	v_fma_f32 v19, v20, v61, -v19
	v_mul_f32_e32 v11, v11, v46
	s_waitcnt vmcnt(38) lgkmcnt(1)
	v_mul_f32_e32 v85, v76, v163
	v_fmac_f32_e32 v85, v77, v162
	v_add_f32_e32 v84, v84, v85
	s_waitcnt vmcnt(36)
	v_mul_f32_e32 v85, v78, v165
	v_fmac_f32_e32 v85, v79, v164
	v_add_f32_e32 v84, v84, v85
	s_waitcnt vmcnt(34) lgkmcnt(0)
	v_mul_f32_e32 v85, v80, v167
	v_fmac_f32_e32 v85, v81, v166
	v_add_f32_e32 v88, v84, v85
	ds_read_b128 v[84:87], v44 offset:800
	s_waitcnt vmcnt(32)
	v_mul_f32_e32 v89, v82, v169
	v_fmac_f32_e32 v89, v83, v168
	v_add_f32_e32 v92, v88, v89
	ds_read_b128 v[88:91], v44 offset:816
	s_waitcnt vmcnt(30) lgkmcnt(1)
	v_mul_f32_e32 v93, v84, v171
	v_fmac_f32_e32 v93, v85, v170
	v_add_f32_e32 v92, v92, v93
	s_waitcnt vmcnt(28)
	v_mul_f32_e32 v93, v86, v173
	v_fmac_f32_e32 v93, v87, v172
	v_add_f32_e32 v92, v92, v93
	s_waitcnt vmcnt(26) lgkmcnt(0)
	v_mul_f32_e32 v93, v88, v175
	v_fmac_f32_e32 v93, v89, v174
	v_add_f32_e32 v96, v92, v93
	ds_read_b128 v[92:95], v44 offset:832
	s_waitcnt vmcnt(24)
	v_mul_f32_e32 v97, v90, v177
	v_fmac_f32_e32 v97, v91, v176
	v_add_f32_e32 v100, v96, v97
	ds_read_b128 v[96:99], v44 offset:848
	;; [unrolled: 18-line block ×3, first 2 shown]
	s_waitcnt vmcnt(14) lgkmcnt(1)
	v_mul_f32_e32 v111, v100, v187
	v_fmac_f32_e32 v111, v101, v186
	v_add_f32_e32 v110, v110, v111
	s_waitcnt vmcnt(12)
	v_mul_f32_e32 v111, v102, v189
	v_fmac_f32_e32 v111, v103, v188
	v_add_f32_e32 v110, v110, v111
	s_waitcnt vmcnt(10) lgkmcnt(0)
	v_mul_f32_e32 v111, v104, v191
	v_fmac_f32_e32 v111, v105, v190
	s_waitcnt vmcnt(8)
	v_mul_f32_e32 v115, v106, v193
	v_add_f32_e32 v114, v110, v111
	v_fmac_f32_e32 v115, v107, v192
	ds_read_b128 v[110:113], v44 offset:896
	v_add_f32_e32 v119, v114, v115
	ds_read_b128 v[114:117], v44 offset:912
	buffer_load_dword v123, off, s[0:3], 0 offset:452
	buffer_load_dword v122, off, s[0:3], 0 offset:448
	;; [unrolled: 1-line block ×6, first 2 shown]
	v_add_f32_e32 v18, v18, v19
	v_fma_f32 v10, v10, v59, -v11
	v_mul_f32_e32 v11, v13, v52
	v_add_f32_e32 v10, v18, v10
	v_fma_f32 v11, v12, v63, -v11
	buffer_load_dword v131, off, s[0:3], 0 offset:484
	buffer_load_dword v130, off, s[0:3], 0 offset:480
	;; [unrolled: 1-line block ×10, first 2 shown]
	v_add_f32_e32 v10, v10, v11
	v_mul_f32_e32 v11, v15, v53
	v_fma_f32 v11, v14, v60, -v11
	v_add_f32_e32 v10, v10, v11
	v_mul_f32_e32 v11, v17, v54
	v_fma_f32 v11, v16, v58, -v11
	v_mul_f32_e32 v7, v7, v55
	v_add_f32_e32 v10, v10, v11
	v_fma_f32 v6, v6, v57, -v7
	v_mul_f32_e32 v7, v9, v56
	v_add_f32_e32 v6, v10, v6
	v_fma_f32 v7, v8, v140, -v7
	v_mul_f32_e32 v3, v3, v141
	v_add_f32_e32 v6, v6, v7
	v_fma_f32 v2, v2, v128, -v3
	v_mul_f32_e32 v3, v5, v142
	v_add_f32_e32 v2, v6, v2
	v_fma_f32 v3, v4, v120, -v3
	v_add_f32_e32 v2, v2, v3
	v_mul_f32_e32 v3, v31, v143
	v_fma_f32 v3, v30, v67, -v3
	v_add_f32_e32 v2, v2, v3
	v_mul_f32_e32 v3, v33, v145
	;; [unrolled: 3-line block ×26, first 2 shown]
	v_fma_f32 v3, v106, v192, -v3
	v_add_f32_e32 v2, v2, v3
	s_waitcnt vmcnt(22) lgkmcnt(1)
	v_mul_f32_e32 v3, v111, v195
	v_fma_f32 v3, v110, v194, -v3
	v_add_f32_e32 v2, v2, v3
	s_waitcnt vmcnt(20)
	v_mul_f32_e32 v3, v113, v197
	v_mul_f32_e32 v121, v110, v195
	v_fma_f32 v3, v112, v196, -v3
	v_fmac_f32_e32 v121, v111, v194
	v_add_f32_e32 v118, v2, v3
	s_waitcnt vmcnt(18) lgkmcnt(0)
	v_mul_f32_e32 v2, v115, v199
	v_add_f32_e32 v119, v119, v121
	v_mul_f32_e32 v121, v112, v197
	v_fma_f32 v120, v114, v198, -v2
	s_waitcnt vmcnt(16)
	v_mul_f32_e32 v2, v117, v201
	v_fmac_f32_e32 v121, v113, v196
	v_fma_f32 v128, v116, v200, -v2
	ds_read_b128 v[2:5], v44 offset:928
	ds_read_b128 v[6:9], v44 offset:944
	;; [unrolled: 1-line block ×4, first 2 shown]
	v_add_f32_e32 v119, v119, v121
	v_mul_f32_e32 v121, v114, v199
	s_waitcnt vmcnt(11)
	v_mov_b32_e32 v20, v127
	v_fmac_f32_e32 v121, v115, v198
	v_mul_f32_e32 v129, v116, v201
	s_waitcnt lgkmcnt(3)
	v_pk_mul_f32 v[20:21], v[2:3], v[20:21] op_sel_hi:[1,0]
	v_fmac_f32_e32 v129, v117, v200
	v_pk_add_f32 v[18:19], v[118:119], v[120:121]
	s_waitcnt vmcnt(10)
	v_pk_fma_f32 v[22:23], v[2:3], v[126:127], v[20:21] op_sel:[0,0,1] op_sel_hi:[1,1,0] neg_lo:[0,0,1] neg_hi:[0,0,1]
	v_pk_fma_f32 v[2:3], v[2:3], v[126:127], v[20:21] op_sel:[0,0,1] op_sel_hi:[1,0,0]
	v_pk_add_f32 v[18:19], v[18:19], v[128:129]
	v_mov_b32_e32 v23, v3
	v_pk_add_f32 v[2:3], v[18:19], v[22:23]
	v_mov_b32_e32 v18, v125
	v_pk_mul_f32 v[18:19], v[4:5], v[18:19] op_sel_hi:[1,0]
	v_pk_fma_f32 v[20:21], v[4:5], v[124:125], v[18:19] op_sel:[0,0,1] op_sel_hi:[1,1,0] neg_lo:[0,0,1] neg_hi:[0,0,1]
	v_pk_fma_f32 v[4:5], v[4:5], v[124:125], v[18:19] op_sel:[0,0,1] op_sel_hi:[1,0,0]
	v_mov_b32_e32 v4, v123
	v_mov_b32_e32 v21, v5
	s_waitcnt lgkmcnt(2)
	v_pk_mul_f32 v[4:5], v[6:7], v[4:5] op_sel_hi:[1,0]
	v_pk_fma_f32 v[18:19], v[6:7], v[122:123], v[4:5] op_sel:[0,0,1] op_sel_hi:[1,1,0] neg_lo:[0,0,1] neg_hi:[0,0,1]
	v_pk_fma_f32 v[4:5], v[6:7], v[122:123], v[4:5] op_sel:[0,0,1] op_sel_hi:[1,0,0]
	s_waitcnt vmcnt(3)
	v_mov_b32_e32 v4, v137
	v_mov_b32_e32 v19, v5
	v_pk_mul_f32 v[4:5], v[8:9], v[4:5] op_sel_hi:[1,0]
	s_waitcnt vmcnt(2)
	v_pk_fma_f32 v[6:7], v[8:9], v[136:137], v[4:5] op_sel:[0,0,1] op_sel_hi:[1,1,0] neg_lo:[0,0,1] neg_hi:[0,0,1]
	v_pk_fma_f32 v[4:5], v[8:9], v[136:137], v[4:5] op_sel:[0,0,1] op_sel_hi:[1,0,0]
	v_pk_add_f32 v[2:3], v[2:3], v[20:21]
	v_mov_b32_e32 v4, v135
	v_pk_add_f32 v[2:3], v[2:3], v[18:19]
	v_mov_b32_e32 v7, v5
	s_waitcnt lgkmcnt(1)
	v_pk_mul_f32 v[4:5], v[10:11], v[4:5] op_sel_hi:[1,0]
	v_pk_add_f32 v[2:3], v[2:3], v[6:7]
	v_pk_fma_f32 v[6:7], v[10:11], v[134:135], v[4:5] op_sel:[0,0,1] op_sel_hi:[1,1,0] neg_lo:[0,0,1] neg_hi:[0,0,1]
	v_pk_fma_f32 v[4:5], v[10:11], v[134:135], v[4:5] op_sel:[0,0,1] op_sel_hi:[1,0,0]
	v_mov_b32_e32 v4, v133
	v_mov_b32_e32 v7, v5
	v_pk_mul_f32 v[4:5], v[12:13], v[4:5] op_sel_hi:[1,0]
	v_pk_add_f32 v[2:3], v[2:3], v[6:7]
	v_pk_fma_f32 v[6:7], v[12:13], v[132:133], v[4:5] op_sel:[0,0,1] op_sel_hi:[1,1,0] neg_lo:[0,0,1] neg_hi:[0,0,1]
	v_pk_fma_f32 v[4:5], v[12:13], v[132:133], v[4:5] op_sel:[0,0,1] op_sel_hi:[1,0,0]
	v_mov_b32_e32 v4, v131
	v_mov_b32_e32 v7, v5
	s_waitcnt lgkmcnt(0)
	v_pk_mul_f32 v[4:5], v[14:15], v[4:5] op_sel_hi:[1,0]
	v_pk_add_f32 v[2:3], v[2:3], v[6:7]
	v_pk_fma_f32 v[6:7], v[14:15], v[130:131], v[4:5] op_sel:[0,0,1] op_sel_hi:[1,1,0] neg_lo:[0,0,1] neg_hi:[0,0,1]
	v_pk_fma_f32 v[4:5], v[14:15], v[130:131], v[4:5] op_sel:[0,0,1] op_sel_hi:[1,0,0]
	s_waitcnt vmcnt(1)
	v_mov_b32_e32 v4, v139
	v_mov_b32_e32 v7, v5
	v_pk_mul_f32 v[4:5], v[16:17], v[4:5] op_sel_hi:[1,0]
	v_pk_add_f32 v[2:3], v[2:3], v[6:7]
	s_waitcnt vmcnt(0)
	v_pk_fma_f32 v[6:7], v[16:17], v[138:139], v[4:5] op_sel:[0,0,1] op_sel_hi:[1,1,0] neg_lo:[0,0,1] neg_hi:[0,0,1]
	v_pk_fma_f32 v[4:5], v[16:17], v[138:139], v[4:5] op_sel:[0,0,1] op_sel_hi:[1,0,0]
	v_mov_b32_e32 v7, v5
	v_pk_add_f32 v[2:3], v[2:3], v[6:7]
	v_pk_add_f32 v[2:3], v[42:43], v[2:3] neg_lo:[0,1] neg_hi:[0,1]
	buffer_store_dword v3, off, s[0:3], 0 offset:76
	buffer_store_dword v2, off, s[0:3], 0 offset:72
	s_and_saveexec_b64 s[4:5], vcc
	s_cbranch_execz .LBB125_369
; %bb.368:
	buffer_load_dword v2, off, s[0:3], 0 offset:64
	buffer_load_dword v3, off, s[0:3], 0 offset:68
	v_mov_b32_e32 v4, 0
	buffer_store_dword v4, off, s[0:3], 0 offset:64
	buffer_store_dword v4, off, s[0:3], 0 offset:68
	s_waitcnt vmcnt(2)
	ds_write_b64 v210, v[2:3]
.LBB125_369:
	s_or_b64 exec, exec, s[4:5]
	v_mov_b32_e32 v242, 0
	s_waitcnt lgkmcnt(0)
	; wave barrier
	s_waitcnt lgkmcnt(0)
	ds_read2_b64 v[2:5], v242 offset0:71 offset1:72
	buffer_load_dword v94, off, s[0:3], 0 offset:64
	buffer_load_dword v95, off, s[0:3], 0 offset:68
	buffer_load_dword v96, off, s[0:3], 0 offset:72
	buffer_load_dword v110, off, s[0:3], 0 offset:76
	buffer_load_dword v98, off, s[0:3], 0 offset:80
	buffer_load_dword v112, off, s[0:3], 0 offset:84
	buffer_load_dword v102, off, s[0:3], 0 offset:88
	buffer_load_dword v114, off, s[0:3], 0 offset:92
	buffer_load_dword v111, off, s[0:3], 0 offset:96
	buffer_load_dword v116, off, s[0:3], 0 offset:100
	buffer_load_dword v113, off, s[0:3], 0 offset:104
	buffer_load_dword v118, off, s[0:3], 0 offset:108
	buffer_load_dword v115, off, s[0:3], 0 offset:112
	buffer_load_dword v119, off, s[0:3], 0 offset:116
	buffer_load_dword v117, off, s[0:3], 0 offset:120
	buffer_load_dword v120, off, s[0:3], 0 offset:124
	v_cmp_lt_u32_e32 vcc, 7, v0
	s_waitcnt vmcnt(12) lgkmcnt(0)
	v_mul_f32_e32 v6, v2, v110
	v_fmac_f32_e32 v6, v3, v96
	s_waitcnt vmcnt(10)
	v_mul_f32_e32 v7, v4, v112
	v_add_f32_e32 v6, 0, v6
	v_fmac_f32_e32 v7, v5, v98
	v_add_f32_e32 v10, v6, v7
	ds_read2_b64 v[6:9], v242 offset0:73 offset1:74
	v_mul_f32_e32 v3, v3, v110
	v_fma_f32 v2, v2, v96, -v3
	v_mul_f32_e32 v3, v5, v112
	v_add_f32_e32 v2, 0, v2
	s_waitcnt vmcnt(8) lgkmcnt(0)
	v_mul_f32_e32 v11, v6, v114
	v_fmac_f32_e32 v11, v7, v102
	v_add_f32_e32 v10, v10, v11
	s_waitcnt vmcnt(6)
	v_mul_f32_e32 v11, v8, v116
	v_fmac_f32_e32 v11, v9, v111
	v_add_f32_e32 v14, v10, v11
	ds_read2_b64 v[10:13], v242 offset0:75 offset1:76
	v_fma_f32 v3, v4, v98, -v3
	v_add_f32_e32 v2, v2, v3
	v_mul_f32_e32 v3, v7, v114
	v_fma_f32 v3, v6, v102, -v3
	s_waitcnt vmcnt(4) lgkmcnt(0)
	v_mul_f32_e32 v15, v10, v118
	v_fmac_f32_e32 v15, v11, v113
	v_add_f32_e32 v14, v14, v15
	s_waitcnt vmcnt(2)
	v_mul_f32_e32 v15, v12, v119
	v_fmac_f32_e32 v15, v13, v115
	v_add_f32_e32 v18, v14, v15
	ds_read2_b64 v[14:17], v242 offset0:77 offset1:78
	buffer_load_dword v121, off, s[0:3], 0 offset:128
	buffer_load_dword v122, off, s[0:3], 0 offset:132
	v_add_f32_e32 v2, v2, v3
	v_mul_f32_e32 v3, v9, v116
	v_fma_f32 v3, v8, v111, -v3
	s_waitcnt vmcnt(2) lgkmcnt(0)
	v_mul_f32_e32 v19, v14, v120
	v_fmac_f32_e32 v19, v15, v117
	v_add_f32_e32 v18, v18, v19
	v_add_f32_e32 v2, v2, v3
	v_mul_f32_e32 v3, v11, v118
	v_fma_f32 v3, v10, v113, -v3
	v_add_f32_e32 v2, v2, v3
	v_mul_f32_e32 v3, v13, v119
	v_fma_f32 v3, v12, v115, -v3
	;; [unrolled: 3-line block ×3, first 2 shown]
	v_add_f32_e32 v2, v2, v3
	s_waitcnt vmcnt(0)
	v_mul_f32_e32 v19, v16, v122
	v_fmac_f32_e32 v19, v17, v121
	v_add_f32_e32 v22, v18, v19
	ds_read2_b64 v[18:21], v242 offset0:79 offset1:80
	buffer_load_dword v123, off, s[0:3], 0 offset:136
	buffer_load_dword v124, off, s[0:3], 0 offset:140
	;; [unrolled: 1-line block ×4, first 2 shown]
	v_mul_f32_e32 v3, v17, v122
	v_fma_f32 v3, v16, v121, -v3
	v_add_f32_e32 v2, v2, v3
	s_waitcnt vmcnt(2) lgkmcnt(0)
	v_mul_f32_e32 v23, v18, v124
	v_fmac_f32_e32 v23, v19, v123
	v_add_f32_e32 v22, v22, v23
	s_waitcnt vmcnt(0)
	v_mul_f32_e32 v23, v20, v126
	v_fmac_f32_e32 v23, v21, v125
	v_add_f32_e32 v26, v22, v23
	ds_read2_b64 v[22:25], v242 offset0:81 offset1:82
	buffer_load_dword v127, off, s[0:3], 0 offset:152
	buffer_load_dword v128, off, s[0:3], 0 offset:156
	buffer_load_dword v129, off, s[0:3], 0 offset:160
	buffer_load_dword v130, off, s[0:3], 0 offset:164
	v_mul_f32_e32 v3, v19, v124
	v_fma_f32 v3, v18, v123, -v3
	v_add_f32_e32 v2, v2, v3
	v_mul_f32_e32 v3, v21, v126
	v_fma_f32 v3, v20, v125, -v3
	v_add_f32_e32 v2, v2, v3
	s_waitcnt vmcnt(2) lgkmcnt(0)
	v_mul_f32_e32 v27, v22, v128
	v_fmac_f32_e32 v27, v23, v127
	v_add_f32_e32 v26, v26, v27
	s_waitcnt vmcnt(0)
	v_mul_f32_e32 v27, v24, v130
	v_fmac_f32_e32 v27, v25, v129
	v_add_f32_e32 v30, v26, v27
	ds_read2_b64 v[26:29], v242 offset0:83 offset1:84
	buffer_load_dword v131, off, s[0:3], 0 offset:168
	buffer_load_dword v132, off, s[0:3], 0 offset:172
	buffer_load_dword v133, off, s[0:3], 0 offset:176
	buffer_load_dword v134, off, s[0:3], 0 offset:180
	v_mul_f32_e32 v3, v23, v128
	v_fma_f32 v3, v22, v127, -v3
	v_add_f32_e32 v2, v2, v3
	;; [unrolled: 19-line block ×4, first 2 shown]
	v_mul_f32_e32 v3, v33, v138
	v_fma_f32 v3, v32, v137, -v3
	v_add_f32_e32 v2, v2, v3
	s_waitcnt vmcnt(2) lgkmcnt(0)
	v_mul_f32_e32 v39, v34, v140
	v_fmac_f32_e32 v39, v35, v139
	v_add_f32_e32 v38, v38, v39
	s_waitcnt vmcnt(0)
	v_mul_f32_e32 v39, v36, v142
	v_fmac_f32_e32 v39, v37, v141
	v_add_f32_e32 v42, v38, v39
	ds_read2_b64 v[38:41], v242 offset0:89 offset1:90
	buffer_load_dword v143, off, s[0:3], 0 offset:216
	buffer_load_dword v144, off, s[0:3], 0 offset:220
	buffer_load_dword v145, off, s[0:3], 0 offset:224
	buffer_load_dword v146, off, s[0:3], 0 offset:228
	ds_read2_b64 v[46:49], v242 offset0:91 offset1:92
	buffer_load_dword v147, off, s[0:3], 0 offset:232
	buffer_load_dword v148, off, s[0:3], 0 offset:236
	buffer_load_dword v149, off, s[0:3], 0 offset:240
	buffer_load_dword v150, off, s[0:3], 0 offset:244
	;; [unrolled: 5-line block ×13, first 2 shown]
	v_mul_f32_e32 v3, v35, v140
	v_fma_f32 v3, v34, v139, -v3
	v_add_f32_e32 v2, v2, v3
	v_mul_f32_e32 v3, v37, v142
	v_fma_f32 v3, v36, v141, -v3
	v_add_f32_e32 v2, v2, v3
	s_waitcnt vmcnt(50) lgkmcnt(12)
	v_mul_f32_e32 v43, v38, v144
	v_fmac_f32_e32 v43, v39, v143
	v_add_f32_e32 v42, v42, v43
	s_waitcnt vmcnt(48)
	v_mul_f32_e32 v43, v40, v146
	v_fmac_f32_e32 v43, v41, v145
	v_add_f32_e32 v42, v42, v43
	s_waitcnt vmcnt(46) lgkmcnt(11)
	v_mul_f32_e32 v43, v46, v148
	v_fmac_f32_e32 v43, v47, v147
	v_add_f32_e32 v42, v42, v43
	s_waitcnt vmcnt(44)
	v_mul_f32_e32 v43, v48, v150
	v_fmac_f32_e32 v43, v49, v149
	;; [unrolled: 8-line block ×12, first 2 shown]
	v_add_f32_e32 v42, v42, v43
	s_waitcnt vmcnt(2) lgkmcnt(0)
	v_mul_f32_e32 v43, v90, v192
	v_fmac_f32_e32 v43, v91, v191
	v_add_f32_e32 v97, v42, v43
	ds_read2_b64 v[42:45], v242 offset0:115 offset1:116
	buffer_load_dword v195, off, s[0:3], 0 offset:424
	buffer_load_dword v196, off, s[0:3], 0 offset:428
	;; [unrolled: 1-line block ×18, first 2 shown]
	v_mul_f32_e32 v3, v39, v144
	v_fma_f32 v3, v38, v143, -v3
	v_add_f32_e32 v2, v2, v3
	v_mul_f32_e32 v3, v41, v146
	v_fma_f32 v3, v40, v145, -v3
	v_add_f32_e32 v2, v2, v3
	;; [unrolled: 3-line block ×25, first 2 shown]
	s_waitcnt vmcnt(18)
	v_mul_f32_e32 v2, v93, v194
	s_waitcnt vmcnt(15)
	v_mov_b32_e32 v18, v101
	v_mul_f32_e32 v99, v92, v194
	v_fma_f32 v98, v92, v193, -v2
	s_waitcnt lgkmcnt(0)
	v_mul_f32_e32 v2, v43, v196
	v_pk_mul_f32 v[18:19], v[44:45], v[18:19] op_sel_hi:[1,0]
	v_fmac_f32_e32 v99, v93, v193
	v_mul_f32_e32 v103, v42, v196
	v_fma_f32 v102, v42, v195, -v2
	ds_read2_b64 v[2:5], v242 offset0:117 offset1:118
	ds_read2_b64 v[6:9], v242 offset0:119 offset1:120
	ds_read2_b64 v[10:13], v242 offset0:121 offset1:122
	ds_read_b64 v[14:15], v242 offset:984
	s_waitcnt vmcnt(14)
	v_pk_fma_f32 v[20:21], v[44:45], v[100:101], v[18:19] op_sel:[0,0,1] op_sel_hi:[1,1,0] neg_lo:[0,0,1] neg_hi:[0,0,1]
	v_pk_fma_f32 v[18:19], v[44:45], v[100:101], v[18:19] op_sel:[0,0,1] op_sel_hi:[1,0,0]
	v_fmac_f32_e32 v103, v43, v195
	v_pk_add_f32 v[16:17], v[96:97], v[98:99]
	s_waitcnt vmcnt(13)
	v_mov_b32_e32 v18, v241
	v_pk_add_f32 v[16:17], v[16:17], v[102:103]
	v_mov_b32_e32 v21, v19
	s_waitcnt lgkmcnt(3)
	v_pk_mul_f32 v[18:19], v[2:3], v[18:19] op_sel_hi:[1,0]
	v_pk_add_f32 v[16:17], v[16:17], v[20:21]
	s_waitcnt vmcnt(12)
	v_pk_fma_f32 v[20:21], v[2:3], v[240:241], v[18:19] op_sel:[0,0,1] op_sel_hi:[1,1,0] neg_lo:[0,0,1] neg_hi:[0,0,1]
	v_pk_fma_f32 v[2:3], v[2:3], v[240:241], v[18:19] op_sel:[0,0,1] op_sel_hi:[1,0,0]
	v_mov_b32_e32 v21, v3
	v_pk_add_f32 v[2:3], v[16:17], v[20:21]
	s_waitcnt vmcnt(11)
	v_mov_b32_e32 v16, v239
	v_pk_mul_f32 v[16:17], v[4:5], v[16:17] op_sel_hi:[1,0]
	s_waitcnt vmcnt(10)
	v_pk_fma_f32 v[18:19], v[4:5], v[238:239], v[16:17] op_sel:[0,0,1] op_sel_hi:[1,1,0] neg_lo:[0,0,1] neg_hi:[0,0,1]
	v_pk_fma_f32 v[4:5], v[4:5], v[238:239], v[16:17] op_sel:[0,0,1] op_sel_hi:[1,0,0]
	s_waitcnt vmcnt(9)
	v_mov_b32_e32 v4, v237
	v_mov_b32_e32 v19, v5
	s_waitcnt lgkmcnt(2)
	v_pk_mul_f32 v[4:5], v[6:7], v[4:5] op_sel_hi:[1,0]
	s_waitcnt vmcnt(8)
	v_pk_fma_f32 v[16:17], v[6:7], v[236:237], v[4:5] op_sel:[0,0,1] op_sel_hi:[1,1,0] neg_lo:[0,0,1] neg_hi:[0,0,1]
	v_pk_fma_f32 v[4:5], v[6:7], v[236:237], v[4:5] op_sel:[0,0,1] op_sel_hi:[1,0,0]
	s_waitcnt vmcnt(7)
	v_mov_b32_e32 v4, v235
	v_mov_b32_e32 v17, v5
	v_pk_mul_f32 v[4:5], v[8:9], v[4:5] op_sel_hi:[1,0]
	s_waitcnt vmcnt(6)
	v_pk_fma_f32 v[6:7], v[8:9], v[234:235], v[4:5] op_sel:[0,0,1] op_sel_hi:[1,1,0] neg_lo:[0,0,1] neg_hi:[0,0,1]
	v_pk_fma_f32 v[4:5], v[8:9], v[234:235], v[4:5] op_sel:[0,0,1] op_sel_hi:[1,0,0]
	v_pk_add_f32 v[2:3], v[2:3], v[18:19]
	s_waitcnt vmcnt(5)
	v_mov_b32_e32 v4, v233
	v_pk_add_f32 v[2:3], v[2:3], v[16:17]
	v_mov_b32_e32 v7, v5
	s_waitcnt lgkmcnt(1)
	v_pk_mul_f32 v[4:5], v[10:11], v[4:5] op_sel_hi:[1,0]
	v_pk_add_f32 v[2:3], v[2:3], v[6:7]
	s_waitcnt vmcnt(4)
	v_pk_fma_f32 v[6:7], v[10:11], v[232:233], v[4:5] op_sel:[0,0,1] op_sel_hi:[1,1,0] neg_lo:[0,0,1] neg_hi:[0,0,1]
	v_pk_fma_f32 v[4:5], v[10:11], v[232:233], v[4:5] op_sel:[0,0,1] op_sel_hi:[1,0,0]
	s_waitcnt vmcnt(3)
	v_mov_b32_e32 v4, v107
	v_mov_b32_e32 v7, v5
	v_pk_mul_f32 v[4:5], v[12:13], v[4:5] op_sel_hi:[1,0]
	v_pk_add_f32 v[2:3], v[2:3], v[6:7]
	s_waitcnt vmcnt(2)
	v_pk_fma_f32 v[6:7], v[12:13], v[106:107], v[4:5] op_sel:[0,0,1] op_sel_hi:[1,1,0] neg_lo:[0,0,1] neg_hi:[0,0,1]
	v_pk_fma_f32 v[4:5], v[12:13], v[106:107], v[4:5] op_sel:[0,0,1] op_sel_hi:[1,0,0]
	s_waitcnt vmcnt(1)
	v_mov_b32_e32 v4, v105
	v_mov_b32_e32 v7, v5
	s_waitcnt lgkmcnt(0)
	v_pk_mul_f32 v[4:5], v[14:15], v[4:5] op_sel_hi:[1,0]
	v_pk_add_f32 v[2:3], v[2:3], v[6:7]
	s_waitcnt vmcnt(0)
	v_pk_fma_f32 v[6:7], v[14:15], v[104:105], v[4:5] op_sel:[0,0,1] op_sel_hi:[1,1,0] neg_lo:[0,0,1] neg_hi:[0,0,1]
	v_pk_fma_f32 v[4:5], v[14:15], v[104:105], v[4:5] op_sel:[0,0,1] op_sel_hi:[1,0,0]
	v_mov_b32_e32 v7, v5
	v_pk_add_f32 v[2:3], v[2:3], v[6:7]
	v_pk_add_f32 v[2:3], v[94:95], v[2:3] neg_lo:[0,1] neg_hi:[0,1]
	buffer_store_dword v3, off, s[0:3], 0 offset:68
	buffer_store_dword v2, off, s[0:3], 0 offset:64
	s_and_saveexec_b64 s[4:5], vcc
	s_cbranch_execz .LBB125_371
; %bb.370:
	buffer_load_dword v2, off, s[0:3], 0 offset:56
	buffer_load_dword v3, off, s[0:3], 0 offset:60
	s_waitcnt vmcnt(0)
	ds_write_b64 v210, v[2:3]
	buffer_store_dword v242, off, s[0:3], 0 offset:56
	buffer_store_dword v242, off, s[0:3], 0 offset:60
.LBB125_371:
	s_or_b64 exec, exec, s[4:5]
	s_waitcnt lgkmcnt(0)
	; wave barrier
	s_waitcnt lgkmcnt(0)
	buffer_load_dword v49, off, s[0:3], 0 offset:68
	buffer_load_dword v48, off, s[0:3], 0 offset:76
	;; [unrolled: 1-line block ×34, first 2 shown]
	ds_read_b128 v[30:33], v242 offset:560
	ds_read_b128 v[26:29], v242 offset:576
	;; [unrolled: 1-line block ×6, first 2 shown]
	buffer_load_dword v153, off, s[0:3], 0 offset:192
	buffer_load_dword v154, off, s[0:3], 0 offset:196
	ds_read_b128 v[10:13], v242 offset:656
	ds_read_b128 v[2:5], v242 offset:672
	buffer_load_dword v155, off, s[0:3], 0 offset:200
	buffer_load_dword v156, off, s[0:3], 0 offset:204
	;; [unrolled: 1-line block ×24, first 2 shown]
	v_cmp_lt_u32_e32 vcc, 6, v0
	s_waitcnt vmcnt(59) lgkmcnt(7)
	v_mul_f32_e32 v34, v30, v49
	s_waitcnt vmcnt(58)
	v_mul_f32_e32 v35, v32, v48
	s_waitcnt vmcnt(57) lgkmcnt(6)
	v_mul_f32_e32 v37, v28, v47
	s_waitcnt vmcnt(56) lgkmcnt(5)
	v_mul_f32_e32 v38, v22, v46
	s_waitcnt vmcnt(55)
	v_mul_f32_e32 v39, v24, v44
	s_waitcnt vmcnt(54)
	v_mul_f32_e32 v36, v26, v50
	s_waitcnt vmcnt(53) lgkmcnt(4)
	v_mul_f32_e32 v40, v18, v45
	s_waitcnt vmcnt(52)
	v_mul_f32_e32 v41, v20, v112
	s_waitcnt vmcnt(51) lgkmcnt(3)
	;; [unrolled: 4-line block ×3, first 2 shown]
	v_mul_f32_e32 v53, v6, v131
	s_waitcnt vmcnt(48)
	v_mul_f32_e32 v54, v8, v132
	s_waitcnt vmcnt(47)
	v_fmac_f32_e32 v36, v27, v133
	s_waitcnt vmcnt(46)
	v_fmac_f32_e32 v35, v33, v134
	;; [unrolled: 2-line block ×3, first 2 shown]
	v_add_f32_e32 v34, 0, v34
	v_add_f32_e32 v34, v34, v35
	;; [unrolled: 1-line block ×3, first 2 shown]
	s_waitcnt vmcnt(41)
	v_fmac_f32_e32 v37, v29, v139
	v_fmac_f32_e32 v38, v23, v138
	v_add_f32_e32 v34, v34, v37
	v_fmac_f32_e32 v39, v25, v137
	v_add_f32_e32 v34, v34, v38
	v_fmac_f32_e32 v40, v19, v136
	v_add_f32_e32 v34, v34, v39
	s_waitcnt vmcnt(37)
	v_fmac_f32_e32 v41, v21, v143
	v_add_f32_e32 v34, v34, v40
	v_fmac_f32_e32 v51, v15, v142
	v_add_f32_e32 v34, v34, v41
	;; [unrolled: 2-line block ×4, first 2 shown]
	s_waitcnt vmcnt(33)
	v_fmac_f32_e32 v54, v9, v147
	v_add_f32_e32 v34, v34, v53
	s_waitcnt vmcnt(32) lgkmcnt(1)
	v_mul_f32_e32 v35, v10, v148
	v_add_f32_e32 v34, v34, v54
	v_fmac_f32_e32 v35, v11, v146
	v_add_f32_e32 v34, v34, v35
	s_waitcnt vmcnt(31)
	v_mul_f32_e32 v35, v12, v149
	v_fmac_f32_e32 v35, v13, v145
	v_add_f32_e32 v34, v34, v35
	s_waitcnt vmcnt(30) lgkmcnt(0)
	v_mul_f32_e32 v35, v2, v150
	v_fmac_f32_e32 v35, v3, v144
	v_add_f32_e32 v38, v34, v35
	ds_read_b128 v[34:37], v242 offset:688
	buffer_load_dword v179, off, s[0:3], 0 offset:296
	buffer_load_dword v180, off, s[0:3], 0 offset:300
	;; [unrolled: 1-line block ×4, first 2 shown]
	s_waitcnt vmcnt(32)
	v_mul_f32_e32 v39, v4, v152
	v_fmac_f32_e32 v39, v5, v151
	v_add_f32_e32 v51, v38, v39
	ds_read_b128 v[38:41], v242 offset:704
	buffer_load_dword v183, off, s[0:3], 0 offset:312
	buffer_load_dword v184, off, s[0:3], 0 offset:316
	;; [unrolled: 1-line block ×12, first 2 shown]
	s_waitcnt vmcnt(40) lgkmcnt(1)
	v_mul_f32_e32 v52, v34, v154
	v_fmac_f32_e32 v52, v35, v153
	buffer_load_dword v195, off, s[0:3], 0 offset:360
	buffer_load_dword v196, off, s[0:3], 0 offset:364
	v_add_f32_e32 v51, v51, v52
	s_waitcnt vmcnt(40)
	v_mul_f32_e32 v52, v36, v156
	v_fmac_f32_e32 v52, v37, v155
	buffer_load_dword v197, off, s[0:3], 0 offset:368
	buffer_load_dword v198, off, s[0:3], 0 offset:372
	v_add_f32_e32 v51, v51, v52
	s_waitcnt vmcnt(40) lgkmcnt(0)
	v_mul_f32_e32 v52, v38, v158
	v_fmac_f32_e32 v52, v39, v157
	v_add_f32_e32 v51, v51, v52
	ds_read_b128 v[52:55], v242 offset:720
	buffer_load_dword v199, off, s[0:3], 0 offset:376
	buffer_load_dword v200, off, s[0:3], 0 offset:380
	s_waitcnt vmcnt(40)
	v_mul_f32_e32 v56, v40, v160
	v_fmac_f32_e32 v56, v41, v159
	v_add_f32_e32 v51, v51, v56
	ds_read_b128 v[56:59], v242 offset:736
	buffer_load_dword v201, off, s[0:3], 0 offset:384
	buffer_load_dword v202, off, s[0:3], 0 offset:388
	;; [unrolled: 1-line block ×8, first 2 shown]
	s_waitcnt vmcnt(46) lgkmcnt(1)
	v_mul_f32_e32 v60, v52, v162
	v_fmac_f32_e32 v60, v53, v161
	v_add_f32_e32 v51, v51, v60
	s_waitcnt vmcnt(44)
	v_mul_f32_e32 v60, v54, v164
	v_fmac_f32_e32 v60, v55, v163
	v_add_f32_e32 v51, v51, v60
	s_waitcnt vmcnt(42) lgkmcnt(0)
	v_mul_f32_e32 v60, v56, v166
	v_fmac_f32_e32 v60, v57, v165
	v_add_f32_e32 v51, v51, v60
	buffer_load_dword v237, off, s[0:3], 0 offset:416
	buffer_load_dword v238, off, s[0:3], 0 offset:420
	;; [unrolled: 1-line block ×4, first 2 shown]
	ds_read_b128 v[60:63], v242 offset:752
	s_waitcnt vmcnt(44)
	v_mul_f32_e32 v64, v58, v168
	v_fmac_f32_e32 v64, v59, v167
	v_add_f32_e32 v51, v51, v64
	ds_read_b128 v[64:67], v242 offset:768
	s_waitcnt vmcnt(42) lgkmcnt(1)
	v_mul_f32_e32 v68, v60, v170
	v_fmac_f32_e32 v68, v61, v169
	v_add_f32_e32 v51, v51, v68
	s_waitcnt vmcnt(40)
	v_mul_f32_e32 v68, v62, v172
	v_fmac_f32_e32 v68, v63, v171
	v_add_f32_e32 v51, v51, v68
	s_waitcnt vmcnt(38) lgkmcnt(0)
	v_mul_f32_e32 v68, v64, v174
	v_fmac_f32_e32 v68, v65, v173
	v_add_f32_e32 v51, v51, v68
	ds_read_b128 v[68:71], v242 offset:784
	s_waitcnt vmcnt(36)
	v_mul_f32_e32 v72, v66, v176
	v_fmac_f32_e32 v72, v67, v175
	v_add_f32_e32 v51, v51, v72
	ds_read_b128 v[72:75], v242 offset:800
	s_waitcnt vmcnt(34) lgkmcnt(1)
	v_mul_f32_e32 v76, v68, v178
	v_fmac_f32_e32 v76, v69, v177
	v_add_f32_e32 v51, v51, v76
	v_mul_f32_e32 v31, v31, v49
	v_fma_f32 v30, v30, v135, -v31
	v_mul_f32_e32 v31, v33, v48
	v_add_f32_e32 v30, 0, v30
	v_fma_f32 v31, v32, v134, -v31
	v_mul_f32_e32 v27, v27, v50
	v_add_f32_e32 v30, v30, v31
	v_fma_f32 v26, v26, v133, -v27
	v_mul_f32_e32 v27, v29, v47
	v_add_f32_e32 v26, v30, v26
	v_fma_f32 v27, v28, v139, -v27
	v_mul_f32_e32 v23, v23, v46
	v_add_f32_e32 v26, v26, v27
	v_fma_f32 v22, v22, v138, -v23
	v_mul_f32_e32 v23, v25, v44
	s_waitcnt vmcnt(32)
	v_mul_f32_e32 v76, v70, v180
	v_fmac_f32_e32 v76, v71, v179
	v_add_f32_e32 v51, v51, v76
	s_waitcnt vmcnt(30) lgkmcnt(0)
	v_mul_f32_e32 v76, v72, v182
	v_fmac_f32_e32 v76, v73, v181
	v_add_f32_e32 v51, v51, v76
	ds_read_b128 v[76:79], v242 offset:816
	s_waitcnt vmcnt(28)
	v_mul_f32_e32 v80, v74, v184
	v_fmac_f32_e32 v80, v75, v183
	v_add_f32_e32 v51, v51, v80
	ds_read_b128 v[80:83], v242 offset:832
	s_waitcnt vmcnt(26) lgkmcnt(1)
	v_mul_f32_e32 v84, v76, v186
	v_fmac_f32_e32 v84, v77, v185
	v_add_f32_e32 v51, v51, v84
	s_waitcnt vmcnt(24)
	v_mul_f32_e32 v84, v78, v188
	v_fmac_f32_e32 v84, v79, v187
	v_add_f32_e32 v51, v51, v84
	s_waitcnt vmcnt(22) lgkmcnt(0)
	v_mul_f32_e32 v84, v80, v190
	v_fmac_f32_e32 v84, v81, v189
	v_add_f32_e32 v51, v51, v84
	ds_read_b128 v[84:87], v242 offset:848
	s_waitcnt vmcnt(20)
	v_mul_f32_e32 v88, v82, v192
	v_fmac_f32_e32 v88, v83, v191
	v_add_f32_e32 v51, v51, v88
	ds_read_b128 v[88:91], v242 offset:864
	s_waitcnt vmcnt(18) lgkmcnt(1)
	v_mul_f32_e32 v92, v84, v194
	v_fmac_f32_e32 v92, v85, v193
	v_add_f32_e32 v51, v51, v92
	s_waitcnt vmcnt(16)
	v_mul_f32_e32 v92, v86, v196
	v_fmac_f32_e32 v92, v87, v195
	v_add_f32_e32 v51, v51, v92
	s_waitcnt vmcnt(14) lgkmcnt(0)
	v_mul_f32_e32 v92, v88, v198
	v_fmac_f32_e32 v92, v89, v197
	v_add_f32_e32 v51, v51, v92
	ds_read_b128 v[92:95], v242 offset:880
	s_waitcnt vmcnt(12)
	v_mul_f32_e32 v96, v90, v200
	v_fmac_f32_e32 v96, v91, v199
	v_add_f32_e32 v51, v51, v96
	ds_read_b128 v[96:99], v242 offset:896
	buffer_load_dword v111, off, s[0:3], 0 offset:436
	buffer_load_dword v110, off, s[0:3], 0 offset:432
	s_waitcnt vmcnt(12) lgkmcnt(1)
	v_mul_f32_e32 v100, v92, v202
	v_fmac_f32_e32 v100, v93, v201
	v_add_f32_e32 v51, v51, v100
	s_waitcnt vmcnt(10)
	v_mul_f32_e32 v100, v94, v232
	v_fmac_f32_e32 v100, v95, v203
	v_add_f32_e32 v51, v51, v100
	s_waitcnt vmcnt(8) lgkmcnt(0)
	v_mul_f32_e32 v100, v96, v234
	v_fmac_f32_e32 v100, v97, v233
	s_waitcnt vmcnt(6)
	v_mul_f32_e32 v104, v98, v236
	v_add_f32_e32 v51, v51, v100
	v_fmac_f32_e32 v104, v99, v235
	ds_read_b128 v[100:103], v242 offset:912
	v_add_f32_e32 v51, v51, v104
	ds_read_b128 v[104:107], v242 offset:928
	buffer_load_dword v117, off, s[0:3], 0 offset:468
	buffer_load_dword v116, off, s[0:3], 0 offset:464
	;; [unrolled: 1-line block ×14, first 2 shown]
	v_add_f32_e32 v22, v26, v22
	v_fma_f32 v23, v24, v137, -v23
	v_mul_f32_e32 v19, v19, v45
	v_add_f32_e32 v22, v22, v23
	v_fma_f32 v18, v18, v136, -v19
	v_mul_f32_e32 v19, v21, v112
	;; [unrolled: 3-line block ×6, first 2 shown]
	v_add_f32_e32 v6, v14, v6
	v_fma_f32 v7, v8, v147, -v7
	v_add_f32_e32 v6, v6, v7
	v_mul_f32_e32 v7, v11, v148
	v_fma_f32 v7, v10, v146, -v7
	v_add_f32_e32 v6, v6, v7
	v_mul_f32_e32 v7, v13, v149
	v_fma_f32 v7, v12, v145, -v7
	v_mul_f32_e32 v3, v3, v150
	v_add_f32_e32 v6, v6, v7
	v_fma_f32 v2, v2, v144, -v3
	v_mul_f32_e32 v3, v5, v152
	v_add_f32_e32 v2, v6, v2
	v_fma_f32 v3, v4, v151, -v3
	v_add_f32_e32 v2, v2, v3
	v_mul_f32_e32 v3, v35, v154
	v_fma_f32 v3, v34, v153, -v3
	v_add_f32_e32 v2, v2, v3
	v_mul_f32_e32 v3, v37, v156
	;; [unrolled: 3-line block ×28, first 2 shown]
	v_fma_f32 v3, v98, v235, -v3
	s_waitcnt vmcnt(15)
	v_mov_b32_e32 v16, v111
	s_waitcnt lgkmcnt(1)
	v_mul_f32_e32 v113, v100, v238
	v_add_f32_e32 v50, v2, v3
	v_mul_f32_e32 v2, v101, v238
	s_waitcnt lgkmcnt(0)
	v_pk_mul_f32 v[16:17], v[104:105], v[16:17] op_sel_hi:[1,0]
	v_fmac_f32_e32 v113, v101, v237
	v_mul_f32_e32 v115, v102, v240
	v_fma_f32 v112, v100, v237, -v2
	v_mul_f32_e32 v2, v103, v240
	s_waitcnt vmcnt(14)
	v_pk_fma_f32 v[18:19], v[104:105], v[110:111], v[16:17] op_sel:[0,0,1] op_sel_hi:[1,1,0] neg_lo:[0,0,1] neg_hi:[0,0,1]
	v_pk_fma_f32 v[16:17], v[104:105], v[110:111], v[16:17] op_sel:[0,0,1] op_sel_hi:[1,0,0]
	v_fmac_f32_e32 v115, v103, v239
	v_fma_f32 v114, v102, v239, -v2
	v_pk_add_f32 v[14:15], v[50:51], v[112:113]
	s_waitcnt vmcnt(7)
	v_mov_b32_e32 v16, v123
	ds_read_b128 v[2:5], v242 offset:944
	ds_read_b128 v[6:9], v242 offset:960
	;; [unrolled: 1-line block ×3, first 2 shown]
	v_pk_add_f32 v[14:15], v[14:15], v[114:115]
	v_mov_b32_e32 v19, v17
	v_pk_mul_f32 v[16:17], v[106:107], v[16:17] op_sel_hi:[1,0]
	v_pk_add_f32 v[14:15], v[14:15], v[18:19]
	s_waitcnt vmcnt(6)
	v_pk_fma_f32 v[18:19], v[106:107], v[122:123], v[16:17] op_sel:[0,0,1] op_sel_hi:[1,1,0] neg_lo:[0,0,1] neg_hi:[0,0,1]
	v_pk_fma_f32 v[16:17], v[106:107], v[122:123], v[16:17] op_sel:[0,0,1] op_sel_hi:[1,0,0]
	v_mov_b32_e32 v16, v121
	v_mov_b32_e32 v19, v17
	s_waitcnt lgkmcnt(2)
	v_pk_mul_f32 v[16:17], v[2:3], v[16:17] op_sel_hi:[1,0]
	v_pk_add_f32 v[14:15], v[14:15], v[18:19]
	v_pk_fma_f32 v[18:19], v[2:3], v[120:121], v[16:17] op_sel:[0,0,1] op_sel_hi:[1,1,0] neg_lo:[0,0,1] neg_hi:[0,0,1]
	v_pk_fma_f32 v[2:3], v[2:3], v[120:121], v[16:17] op_sel:[0,0,1] op_sel_hi:[1,0,0]
	v_mov_b32_e32 v19, v3
	v_pk_add_f32 v[2:3], v[14:15], v[18:19]
	v_mov_b32_e32 v14, v119
	v_pk_mul_f32 v[14:15], v[4:5], v[14:15] op_sel_hi:[1,0]
	v_pk_fma_f32 v[16:17], v[4:5], v[118:119], v[14:15] op_sel:[0,0,1] op_sel_hi:[1,1,0] neg_lo:[0,0,1] neg_hi:[0,0,1]
	v_pk_fma_f32 v[4:5], v[4:5], v[118:119], v[14:15] op_sel:[0,0,1] op_sel_hi:[1,0,0]
	v_mov_b32_e32 v4, v117
	v_mov_b32_e32 v17, v5
	s_waitcnt lgkmcnt(1)
	v_pk_mul_f32 v[4:5], v[6:7], v[4:5] op_sel_hi:[1,0]
	v_pk_fma_f32 v[14:15], v[6:7], v[116:117], v[4:5] op_sel:[0,0,1] op_sel_hi:[1,1,0] neg_lo:[0,0,1] neg_hi:[0,0,1]
	v_pk_fma_f32 v[4:5], v[6:7], v[116:117], v[4:5] op_sel:[0,0,1] op_sel_hi:[1,0,0]
	s_waitcnt vmcnt(1)
	v_mov_b32_e32 v4, v129
	v_mov_b32_e32 v15, v5
	v_pk_mul_f32 v[4:5], v[8:9], v[4:5] op_sel_hi:[1,0]
	s_waitcnt vmcnt(0)
	v_pk_fma_f32 v[6:7], v[8:9], v[128:129], v[4:5] op_sel:[0,0,1] op_sel_hi:[1,1,0] neg_lo:[0,0,1] neg_hi:[0,0,1]
	v_pk_fma_f32 v[4:5], v[8:9], v[128:129], v[4:5] op_sel:[0,0,1] op_sel_hi:[1,0,0]
	v_pk_add_f32 v[2:3], v[2:3], v[16:17]
	v_mov_b32_e32 v4, v127
	v_pk_add_f32 v[2:3], v[2:3], v[14:15]
	v_mov_b32_e32 v7, v5
	s_waitcnt lgkmcnt(0)
	v_pk_mul_f32 v[4:5], v[10:11], v[4:5] op_sel_hi:[1,0]
	v_pk_add_f32 v[2:3], v[2:3], v[6:7]
	v_pk_fma_f32 v[6:7], v[10:11], v[126:127], v[4:5] op_sel:[0,0,1] op_sel_hi:[1,1,0] neg_lo:[0,0,1] neg_hi:[0,0,1]
	v_pk_fma_f32 v[4:5], v[10:11], v[126:127], v[4:5] op_sel:[0,0,1] op_sel_hi:[1,0,0]
	v_mov_b32_e32 v4, v125
	v_mov_b32_e32 v7, v5
	v_pk_mul_f32 v[4:5], v[12:13], v[4:5] op_sel_hi:[1,0]
	v_pk_add_f32 v[2:3], v[2:3], v[6:7]
	v_pk_fma_f32 v[6:7], v[12:13], v[124:125], v[4:5] op_sel:[0,0,1] op_sel_hi:[1,1,0] neg_lo:[0,0,1] neg_hi:[0,0,1]
	v_pk_fma_f32 v[4:5], v[12:13], v[124:125], v[4:5] op_sel:[0,0,1] op_sel_hi:[1,0,0]
	v_mov_b32_e32 v7, v5
	v_pk_add_f32 v[2:3], v[2:3], v[6:7]
	v_pk_add_f32 v[2:3], v[42:43], v[2:3] neg_lo:[0,1] neg_hi:[0,1]
	buffer_store_dword v3, off, s[0:3], 0 offset:60
	buffer_store_dword v2, off, s[0:3], 0 offset:56
	s_and_saveexec_b64 s[4:5], vcc
	s_cbranch_execz .LBB125_373
; %bb.372:
	buffer_load_dword v2, off, s[0:3], 0 offset:48
	buffer_load_dword v3, off, s[0:3], 0 offset:52
	v_mov_b32_e32 v4, 0
	buffer_store_dword v4, off, s[0:3], 0 offset:48
	buffer_store_dword v4, off, s[0:3], 0 offset:52
	s_waitcnt vmcnt(2)
	ds_write_b64 v210, v[2:3]
.LBB125_373:
	s_or_b64 exec, exec, s[4:5]
	s_waitcnt lgkmcnt(0)
	; wave barrier
	s_waitcnt lgkmcnt(0)
	buffer_load_dword v58, off, s[0:3], 0 offset:60
	buffer_load_dword v57, off, s[0:3], 0 offset:68
	;; [unrolled: 1-line block ×48, first 2 shown]
	v_mov_b32_e32 v52, 0
	ds_read2_b64 v[22:25], v52 offset0:69 offset1:70
	ds_read2_b64 v[18:21], v52 offset0:71 offset1:72
	;; [unrolled: 1-line block ×6, first 2 shown]
	v_cmp_lt_u32_e32 vcc, 5, v0
	s_waitcnt vmcnt(47) lgkmcnt(5)
	v_mul_f32_e32 v26, v22, v58
	s_waitcnt vmcnt(46)
	v_mul_f32_e32 v27, v24, v57
	s_waitcnt vmcnt(45) lgkmcnt(4)
	v_mul_f32_e32 v29, v20, v56
	s_waitcnt vmcnt(44) lgkmcnt(3)
	v_mul_f32_e32 v30, v14, v55
	s_waitcnt vmcnt(43)
	v_mul_f32_e32 v31, v16, v53
	s_waitcnt vmcnt(42)
	v_mul_f32_e32 v28, v18, v59
	s_waitcnt vmcnt(41) lgkmcnt(2)
	v_mul_f32_e32 v32, v10, v54
	s_waitcnt vmcnt(40)
	v_mul_f32_e32 v33, v12, v60
	s_waitcnt vmcnt(39) lgkmcnt(1)
	v_mul_f32_e32 v34, v6, v61
	s_waitcnt vmcnt(38)
	v_mul_f32_e32 v35, v8, v62
	s_waitcnt vmcnt(37) lgkmcnt(0)
	v_mul_f32_e32 v36, v2, v63
	s_waitcnt vmcnt(36)
	v_mul_f32_e32 v37, v4, v64
	s_waitcnt vmcnt(35)
	v_fmac_f32_e32 v28, v19, v70
	s_waitcnt vmcnt(34)
	v_fmac_f32_e32 v27, v25, v73
	;; [unrolled: 2-line block ×3, first 2 shown]
	v_add_f32_e32 v26, 0, v26
	v_add_f32_e32 v26, v26, v27
	;; [unrolled: 1-line block ×3, first 2 shown]
	s_waitcnt vmcnt(29)
	v_fmac_f32_e32 v29, v21, v75
	v_fmac_f32_e32 v30, v15, v72
	v_add_f32_e32 v26, v26, v29
	v_fmac_f32_e32 v31, v17, v69
	v_add_f32_e32 v26, v26, v30
	;; [unrolled: 2-line block ×3, first 2 shown]
	s_waitcnt vmcnt(25)
	v_fmac_f32_e32 v33, v13, v71
	v_add_f32_e32 v26, v26, v32
	v_fmac_f32_e32 v34, v7, v68
	v_add_f32_e32 v26, v26, v33
	;; [unrolled: 2-line block ×4, first 2 shown]
	s_waitcnt vmcnt(21)
	v_fmac_f32_e32 v37, v5, v82
	v_add_f32_e32 v30, v30, v36
	ds_read2_b64 v[26:29], v52 offset0:81 offset1:82
	v_add_f32_e32 v34, v30, v37
	ds_read2_b64 v[30:33], v52 offset0:83 offset1:84
	buffer_load_dword v168, off, s[0:3], 0 offset:240
	buffer_load_dword v169, off, s[0:3], 0 offset:244
	;; [unrolled: 1-line block ×6, first 2 shown]
	s_waitcnt vmcnt(26) lgkmcnt(1)
	v_mul_f32_e32 v35, v26, v81
	v_fmac_f32_e32 v35, v27, v79
	buffer_load_dword v174, off, s[0:3], 0 offset:264
	buffer_load_dword v175, off, s[0:3], 0 offset:268
	v_add_f32_e32 v34, v34, v35
	s_waitcnt vmcnt(27)
	v_mul_f32_e32 v35, v28, v80
	v_fmac_f32_e32 v35, v29, v77
	v_add_f32_e32 v34, v34, v35
	s_waitcnt vmcnt(26) lgkmcnt(0)
	v_mul_f32_e32 v35, v30, v78
	v_fmac_f32_e32 v35, v31, v74
	buffer_load_dword v176, off, s[0:3], 0 offset:272
	buffer_load_dword v177, off, s[0:3], 0 offset:276
	v_add_f32_e32 v34, v34, v35
	s_waitcnt vmcnt(21)
	v_mul_f32_e32 v35, v32, v106
	s_waitcnt vmcnt(20)
	v_fmac_f32_e32 v35, v33, v142
	v_add_f32_e32 v42, v34, v35
	ds_read2_b64 v[34:37], v52 offset0:85 offset1:86
	buffer_load_dword v178, off, s[0:3], 0 offset:280
	buffer_load_dword v179, off, s[0:3], 0 offset:284
	ds_read2_b64 v[38:41], v52 offset0:87 offset1:88
	buffer_load_dword v180, off, s[0:3], 0 offset:288
	buffer_load_dword v181, off, s[0:3], 0 offset:292
	;; [unrolled: 1-line block ×12, first 2 shown]
	s_waitcnt lgkmcnt(1)
	v_mul_f32_e32 v43, v34, v84
	v_fmac_f32_e32 v43, v35, v83
	buffer_load_dword v192, off, s[0:3], 0 offset:336
	buffer_load_dword v193, off, s[0:3], 0 offset:340
	v_add_f32_e32 v42, v42, v43
	v_mul_f32_e32 v43, v36, v86
	v_fmac_f32_e32 v43, v37, v85
	v_add_f32_e32 v42, v42, v43
	s_waitcnt lgkmcnt(0)
	v_mul_f32_e32 v43, v38, v88
	buffer_load_dword v194, off, s[0:3], 0 offset:344
	buffer_load_dword v195, off, s[0:3], 0 offset:348
	v_fmac_f32_e32 v43, v39, v87
	v_add_f32_e32 v46, v42, v43
	ds_read2_b64 v[42:45], v52 offset0:89 offset1:90
	buffer_load_dword v196, off, s[0:3], 0 offset:352
	buffer_load_dword v197, off, s[0:3], 0 offset:356
	buffer_load_dword v198, off, s[0:3], 0 offset:360
	buffer_load_dword v199, off, s[0:3], 0 offset:364
	s_waitcnt vmcnt(38)
	v_mul_f32_e32 v47, v40, v144
	v_fmac_f32_e32 v47, v41, v89
	v_add_f32_e32 v90, v46, v47
	ds_read2_b64 v[46:49], v52 offset0:91 offset1:92
	buffer_load_dword v200, off, s[0:3], 0 offset:368
	buffer_load_dword v201, off, s[0:3], 0 offset:372
	;; [unrolled: 1-line block ×10, first 2 shown]
	s_waitcnt vmcnt(46) lgkmcnt(1)
	v_mul_f32_e32 v91, v42, v163
	v_fmac_f32_e32 v91, v43, v162
	v_add_f32_e32 v90, v90, v91
	s_waitcnt vmcnt(44)
	v_mul_f32_e32 v91, v44, v165
	v_fmac_f32_e32 v91, v45, v164
	v_add_f32_e32 v90, v90, v91
	s_waitcnt vmcnt(42) lgkmcnt(0)
	v_mul_f32_e32 v91, v46, v167
	v_fmac_f32_e32 v91, v47, v166
	v_add_f32_e32 v94, v90, v91
	buffer_load_dword v238, off, s[0:3], 0 offset:408
	buffer_load_dword v239, off, s[0:3], 0 offset:412
	;; [unrolled: 1-line block ×6, first 2 shown]
	ds_read2_b64 v[90:93], v52 offset0:93 offset1:94
	v_mul_f32_e32 v23, v23, v58
	v_fma_f32 v22, v22, v76, -v23
	v_mul_f32_e32 v23, v25, v57
	v_add_f32_e32 v22, 0, v22
	v_fma_f32 v23, v24, v73, -v23
	v_mul_f32_e32 v19, v19, v59
	v_add_f32_e32 v22, v22, v23
	;; [unrolled: 3-line block ×6, first 2 shown]
	v_fma_f32 v10, v10, v67, -v11
	s_waitcnt vmcnt(46)
	v_mul_f32_e32 v95, v48, v169
	v_fmac_f32_e32 v95, v49, v168
	v_add_f32_e32 v98, v94, v95
	ds_read2_b64 v[94:97], v52 offset0:95 offset1:96
	s_waitcnt vmcnt(44) lgkmcnt(1)
	v_mul_f32_e32 v99, v90, v171
	v_fmac_f32_e32 v99, v91, v170
	v_add_f32_e32 v98, v98, v99
	s_waitcnt vmcnt(42)
	v_mul_f32_e32 v99, v92, v173
	v_fmac_f32_e32 v99, v93, v172
	v_add_f32_e32 v98, v98, v99
	s_waitcnt vmcnt(40) lgkmcnt(0)
	v_mul_f32_e32 v99, v94, v175
	v_fmac_f32_e32 v99, v95, v174
	v_add_f32_e32 v102, v98, v99
	ds_read2_b64 v[98:101], v52 offset0:97 offset1:98
	s_waitcnt vmcnt(38)
	v_mul_f32_e32 v103, v96, v177
	v_fmac_f32_e32 v103, v97, v176
	v_add_f32_e32 v107, v102, v103
	ds_read2_b64 v[102:105], v52 offset0:99 offset1:100
	s_waitcnt vmcnt(36) lgkmcnt(1)
	v_mul_f32_e32 v110, v98, v179
	v_fmac_f32_e32 v110, v99, v178
	v_add_f32_e32 v107, v107, v110
	s_waitcnt vmcnt(34)
	v_mul_f32_e32 v110, v100, v181
	v_fmac_f32_e32 v110, v101, v180
	v_add_f32_e32 v107, v107, v110
	s_waitcnt vmcnt(32) lgkmcnt(0)
	v_mul_f32_e32 v110, v102, v183
	v_fmac_f32_e32 v110, v103, v182
	v_add_f32_e32 v107, v107, v110
	ds_read2_b64 v[110:113], v52 offset0:101 offset1:102
	;; [unrolled: 18-line block ×4, first 2 shown]
	s_waitcnt vmcnt(14)
	v_mul_f32_e32 v130, v124, v201
	v_fmac_f32_e32 v130, v125, v200
	v_add_f32_e32 v107, v107, v130
	ds_read2_b64 v[130:133], v52 offset0:111 offset1:112
	s_waitcnt vmcnt(12) lgkmcnt(1)
	v_mul_f32_e32 v134, v126, v203
	v_fmac_f32_e32 v134, v127, v202
	v_add_f32_e32 v107, v107, v134
	s_waitcnt vmcnt(10)
	v_mul_f32_e32 v134, v128, v233
	v_fmac_f32_e32 v134, v129, v232
	v_add_f32_e32 v107, v107, v134
	s_waitcnt vmcnt(8) lgkmcnt(0)
	v_mul_f32_e32 v134, v130, v235
	v_fmac_f32_e32 v134, v131, v234
	s_waitcnt vmcnt(6)
	v_mul_f32_e32 v138, v132, v237
	v_add_f32_e32 v107, v107, v134
	v_fmac_f32_e32 v138, v133, v236
	v_mul_f32_e32 v11, v13, v60
	ds_read2_b64 v[134:137], v52 offset0:113 offset1:114
	v_add_f32_e32 v107, v107, v138
	ds_read2_b64 v[138:141], v52 offset0:115 offset1:116
	buffer_load_dword v147, off, s[0:3], 0 offset:460
	buffer_load_dword v146, off, s[0:3], 0 offset:456
	buffer_load_dword v149, off, s[0:3], 0 offset:452
	buffer_load_dword v148, off, s[0:3], 0 offset:448
	buffer_load_dword v151, off, s[0:3], 0 offset:444
	buffer_load_dword v150, off, s[0:3], 0 offset:440
	buffer_load_dword v153, off, s[0:3], 0 offset:436
	buffer_load_dword v152, off, s[0:3], 0 offset:432
	buffer_load_dword v155, off, s[0:3], 0 offset:492
	buffer_load_dword v154, off, s[0:3], 0 offset:488
	buffer_load_dword v157, off, s[0:3], 0 offset:484
	buffer_load_dword v156, off, s[0:3], 0 offset:480
	buffer_load_dword v159, off, s[0:3], 0 offset:476
	buffer_load_dword v158, off, s[0:3], 0 offset:472
	buffer_load_dword v161, off, s[0:3], 0 offset:468
	buffer_load_dword v160, off, s[0:3], 0 offset:464
	v_add_f32_e32 v10, v14, v10
	v_fma_f32 v11, v12, v71, -v11
	v_mul_f32_e32 v7, v7, v61
	v_add_f32_e32 v10, v10, v11
	v_fma_f32 v6, v6, v68, -v7
	v_mul_f32_e32 v7, v9, v62
	v_add_f32_e32 v6, v10, v6
	v_fma_f32 v7, v8, v66, -v7
	v_mul_f32_e32 v3, v3, v63
	v_add_f32_e32 v6, v6, v7
	v_fma_f32 v2, v2, v65, -v3
	v_mul_f32_e32 v3, v5, v64
	v_add_f32_e32 v2, v6, v2
	v_fma_f32 v3, v4, v82, -v3
	v_add_f32_e32 v2, v2, v3
	v_mul_f32_e32 v3, v27, v81
	v_fma_f32 v3, v26, v79, -v3
	v_add_f32_e32 v2, v2, v3
	v_mul_f32_e32 v3, v29, v80
	;; [unrolled: 3-line block ×32, first 2 shown]
	v_fma_f32 v3, v132, v236, -v3
	v_add_f32_e32 v2, v2, v3
	s_waitcnt vmcnt(20) lgkmcnt(1)
	v_mul_f32_e32 v3, v135, v239
	v_mul_f32_e32 v143, v134, v239
	v_fma_f32 v3, v134, v238, -v3
	v_fmac_f32_e32 v143, v135, v238
	v_add_f32_e32 v106, v2, v3
	s_waitcnt vmcnt(18)
	v_mul_f32_e32 v2, v137, v241
	s_waitcnt vmcnt(9)
	v_mov_b32_e32 v18, v153
	v_add_f32_e32 v107, v107, v143
	v_mul_f32_e32 v143, v136, v241
	v_fma_f32 v142, v136, v240, -v2
	s_waitcnt lgkmcnt(0)
	v_mul_f32_e32 v2, v139, v243
	v_pk_mul_f32 v[18:19], v[140:141], v[18:19] op_sel_hi:[1,0]
	v_fmac_f32_e32 v143, v137, v240
	v_mul_f32_e32 v145, v138, v243
	v_fma_f32 v144, v138, v242, -v2
	ds_read2_b64 v[2:5], v52 offset0:117 offset1:118
	ds_read2_b64 v[6:9], v52 offset0:119 offset1:120
	;; [unrolled: 1-line block ×3, first 2 shown]
	ds_read_b64 v[14:15], v52 offset:984
	s_waitcnt vmcnt(8)
	v_pk_fma_f32 v[20:21], v[140:141], v[152:153], v[18:19] op_sel:[0,0,1] op_sel_hi:[1,1,0] neg_lo:[0,0,1] neg_hi:[0,0,1]
	v_pk_fma_f32 v[18:19], v[140:141], v[152:153], v[18:19] op_sel:[0,0,1] op_sel_hi:[1,0,0]
	v_fmac_f32_e32 v145, v139, v242
	v_pk_add_f32 v[16:17], v[106:107], v[142:143]
	v_mov_b32_e32 v18, v151
	v_pk_add_f32 v[16:17], v[16:17], v[144:145]
	v_mov_b32_e32 v21, v19
	s_waitcnt lgkmcnt(3)
	v_pk_mul_f32 v[18:19], v[2:3], v[18:19] op_sel_hi:[1,0]
	v_pk_add_f32 v[16:17], v[16:17], v[20:21]
	v_pk_fma_f32 v[20:21], v[2:3], v[150:151], v[18:19] op_sel:[0,0,1] op_sel_hi:[1,1,0] neg_lo:[0,0,1] neg_hi:[0,0,1]
	v_pk_fma_f32 v[2:3], v[2:3], v[150:151], v[18:19] op_sel:[0,0,1] op_sel_hi:[1,0,0]
	v_mov_b32_e32 v21, v3
	v_pk_add_f32 v[2:3], v[16:17], v[20:21]
	v_mov_b32_e32 v16, v149
	v_pk_mul_f32 v[16:17], v[4:5], v[16:17] op_sel_hi:[1,0]
	v_pk_fma_f32 v[18:19], v[4:5], v[148:149], v[16:17] op_sel:[0,0,1] op_sel_hi:[1,1,0] neg_lo:[0,0,1] neg_hi:[0,0,1]
	v_pk_fma_f32 v[4:5], v[4:5], v[148:149], v[16:17] op_sel:[0,0,1] op_sel_hi:[1,0,0]
	v_mov_b32_e32 v4, v147
	v_mov_b32_e32 v19, v5
	s_waitcnt lgkmcnt(2)
	v_pk_mul_f32 v[4:5], v[6:7], v[4:5] op_sel_hi:[1,0]
	v_pk_fma_f32 v[16:17], v[6:7], v[146:147], v[4:5] op_sel:[0,0,1] op_sel_hi:[1,1,0] neg_lo:[0,0,1] neg_hi:[0,0,1]
	v_pk_fma_f32 v[4:5], v[6:7], v[146:147], v[4:5] op_sel:[0,0,1] op_sel_hi:[1,0,0]
	s_waitcnt vmcnt(1)
	v_mov_b32_e32 v4, v161
	v_mov_b32_e32 v17, v5
	v_pk_mul_f32 v[4:5], v[8:9], v[4:5] op_sel_hi:[1,0]
	s_waitcnt vmcnt(0)
	v_pk_fma_f32 v[6:7], v[8:9], v[160:161], v[4:5] op_sel:[0,0,1] op_sel_hi:[1,1,0] neg_lo:[0,0,1] neg_hi:[0,0,1]
	v_pk_fma_f32 v[4:5], v[8:9], v[160:161], v[4:5] op_sel:[0,0,1] op_sel_hi:[1,0,0]
	v_pk_add_f32 v[2:3], v[2:3], v[18:19]
	v_mov_b32_e32 v4, v159
	v_pk_add_f32 v[2:3], v[2:3], v[16:17]
	v_mov_b32_e32 v7, v5
	s_waitcnt lgkmcnt(1)
	v_pk_mul_f32 v[4:5], v[10:11], v[4:5] op_sel_hi:[1,0]
	v_pk_add_f32 v[2:3], v[2:3], v[6:7]
	v_pk_fma_f32 v[6:7], v[10:11], v[158:159], v[4:5] op_sel:[0,0,1] op_sel_hi:[1,1,0] neg_lo:[0,0,1] neg_hi:[0,0,1]
	v_pk_fma_f32 v[4:5], v[10:11], v[158:159], v[4:5] op_sel:[0,0,1] op_sel_hi:[1,0,0]
	v_mov_b32_e32 v4, v157
	v_mov_b32_e32 v7, v5
	v_pk_mul_f32 v[4:5], v[12:13], v[4:5] op_sel_hi:[1,0]
	v_pk_add_f32 v[2:3], v[2:3], v[6:7]
	v_pk_fma_f32 v[6:7], v[12:13], v[156:157], v[4:5] op_sel:[0,0,1] op_sel_hi:[1,1,0] neg_lo:[0,0,1] neg_hi:[0,0,1]
	v_pk_fma_f32 v[4:5], v[12:13], v[156:157], v[4:5] op_sel:[0,0,1] op_sel_hi:[1,0,0]
	v_mov_b32_e32 v4, v155
	v_mov_b32_e32 v7, v5
	s_waitcnt lgkmcnt(0)
	v_pk_mul_f32 v[4:5], v[14:15], v[4:5] op_sel_hi:[1,0]
	v_pk_add_f32 v[2:3], v[2:3], v[6:7]
	v_pk_fma_f32 v[6:7], v[14:15], v[154:155], v[4:5] op_sel:[0,0,1] op_sel_hi:[1,1,0] neg_lo:[0,0,1] neg_hi:[0,0,1]
	v_pk_fma_f32 v[4:5], v[14:15], v[154:155], v[4:5] op_sel:[0,0,1] op_sel_hi:[1,0,0]
	v_mov_b32_e32 v7, v5
	v_pk_add_f32 v[2:3], v[2:3], v[6:7]
	v_pk_add_f32 v[2:3], v[50:51], v[2:3] neg_lo:[0,1] neg_hi:[0,1]
	buffer_store_dword v3, off, s[0:3], 0 offset:52
	buffer_store_dword v2, off, s[0:3], 0 offset:48
	s_and_saveexec_b64 s[4:5], vcc
	s_cbranch_execz .LBB125_375
; %bb.374:
	buffer_load_dword v2, off, s[0:3], 0 offset:40
	buffer_load_dword v3, off, s[0:3], 0 offset:44
	s_waitcnt vmcnt(0)
	ds_write_b64 v210, v[2:3]
	buffer_store_dword v52, off, s[0:3], 0 offset:40
	buffer_store_dword v52, off, s[0:3], 0 offset:44
.LBB125_375:
	s_or_b64 exec, exec, s[4:5]
	s_waitcnt lgkmcnt(0)
	; wave barrier
	s_waitcnt lgkmcnt(0)
	buffer_load_dword v58, off, s[0:3], 0 offset:52
	buffer_load_dword v57, off, s[0:3], 0 offset:60
	;; [unrolled: 1-line block ×40, first 2 shown]
	ds_read_b128 v[26:29], v52 offset:544
	ds_read_b128 v[22:25], v52 offset:560
	;; [unrolled: 1-line block ×7, first 2 shown]
	buffer_load_dword v91, off, s[0:3], 0 offset:200
	buffer_load_dword v92, off, s[0:3], 0 offset:204
	buffer_load_dword v93, off, s[0:3], 0 offset:208
	buffer_load_dword v94, off, s[0:3], 0 offset:212
	buffer_load_dword v95, off, s[0:3], 0 offset:216
	buffer_load_dword v146, off, s[0:3], 0 offset:220
	buffer_load_dword v148, off, s[0:3], 0 offset:224
	buffer_load_dword v156, off, s[0:3], 0 offset:228
	buffer_load_dword v168, off, s[0:3], 0 offset:232
	buffer_load_dword v169, off, s[0:3], 0 offset:236
	v_cmp_lt_u32_e32 vcc, 4, v0
	s_waitcnt vmcnt(49) lgkmcnt(6)
	v_mul_f32_e32 v30, v26, v58
	s_waitcnt vmcnt(48)
	v_mul_f32_e32 v31, v28, v57
	s_waitcnt vmcnt(47) lgkmcnt(5)
	v_mul_f32_e32 v33, v24, v56
	s_waitcnt vmcnt(46) lgkmcnt(4)
	v_mul_f32_e32 v34, v18, v55
	s_waitcnt vmcnt(45)
	v_mul_f32_e32 v35, v20, v53
	s_waitcnt vmcnt(44)
	v_mul_f32_e32 v32, v22, v59
	s_waitcnt vmcnt(43) lgkmcnt(3)
	v_mul_f32_e32 v36, v14, v54
	s_waitcnt vmcnt(42)
	v_mul_f32_e32 v37, v16, v60
	s_waitcnt vmcnt(41) lgkmcnt(2)
	;; [unrolled: 4-line block ×3, first 2 shown]
	v_mul_f32_e32 v40, v6, v63
	s_waitcnt vmcnt(38)
	v_mul_f32_e32 v41, v8, v64
	s_waitcnt vmcnt(37)
	v_fmac_f32_e32 v32, v23, v70
	s_waitcnt vmcnt(36)
	v_fmac_f32_e32 v31, v29, v73
	;; [unrolled: 2-line block ×3, first 2 shown]
	v_add_f32_e32 v30, 0, v30
	v_add_f32_e32 v30, v30, v31
	;; [unrolled: 1-line block ×3, first 2 shown]
	s_waitcnt vmcnt(31)
	v_fmac_f32_e32 v33, v25, v75
	v_fmac_f32_e32 v34, v19, v72
	v_add_f32_e32 v30, v30, v33
	v_fmac_f32_e32 v35, v21, v69
	v_add_f32_e32 v30, v30, v34
	;; [unrolled: 2-line block ×3, first 2 shown]
	s_waitcnt vmcnt(27)
	v_fmac_f32_e32 v37, v17, v71
	v_add_f32_e32 v30, v30, v36
	v_fmac_f32_e32 v38, v11, v68
	v_add_f32_e32 v30, v30, v37
	;; [unrolled: 2-line block ×4, first 2 shown]
	s_waitcnt vmcnt(23)
	v_fmac_f32_e32 v41, v9, v82
	v_add_f32_e32 v30, v30, v40
	v_add_f32_e32 v34, v30, v41
	ds_read_b128 v[30:33], v52 offset:656
	buffer_load_dword v170, off, s[0:3], 0 offset:240
	buffer_load_dword v171, off, s[0:3], 0 offset:244
	s_waitcnt vmcnt(24) lgkmcnt(1)
	v_mul_f32_e32 v35, v2, v81
	buffer_load_dword v172, off, s[0:3], 0 offset:248
	buffer_load_dword v173, off, s[0:3], 0 offset:252
	v_fmac_f32_e32 v35, v3, v79
	v_add_f32_e32 v34, v34, v35
	s_waitcnt vmcnt(25)
	v_mul_f32_e32 v35, v4, v80
	buffer_load_dword v174, off, s[0:3], 0 offset:256
	buffer_load_dword v175, off, s[0:3], 0 offset:260
	v_fmac_f32_e32 v35, v5, v77
	v_add_f32_e32 v34, v34, v35
	s_waitcnt vmcnt(26) lgkmcnt(0)
	v_mul_f32_e32 v35, v30, v78
	v_fmac_f32_e32 v35, v31, v74
	v_add_f32_e32 v38, v34, v35
	ds_read_b128 v[34:37], v52 offset:672
	buffer_load_dword v176, off, s[0:3], 0 offset:264
	buffer_load_dword v177, off, s[0:3], 0 offset:268
	s_waitcnt vmcnt(21)
	v_mul_f32_e32 v39, v32, v90
	s_waitcnt vmcnt(20)
	v_fmac_f32_e32 v39, v33, v89
	v_add_f32_e32 v42, v38, v39
	ds_read_b128 v[38:41], v52 offset:688
	buffer_load_dword v178, off, s[0:3], 0 offset:272
	buffer_load_dword v179, off, s[0:3], 0 offset:276
	;; [unrolled: 1-line block ×12, first 2 shown]
	s_waitcnt lgkmcnt(1)
	v_mul_f32_e32 v43, v34, v84
	v_fmac_f32_e32 v43, v35, v83
	buffer_load_dword v190, off, s[0:3], 0 offset:320
	buffer_load_dword v191, off, s[0:3], 0 offset:324
	v_add_f32_e32 v42, v42, v43
	v_mul_f32_e32 v43, v36, v86
	v_fmac_f32_e32 v43, v37, v85
	v_add_f32_e32 v42, v42, v43
	s_waitcnt lgkmcnt(0)
	v_mul_f32_e32 v43, v38, v88
	v_fmac_f32_e32 v43, v39, v87
	buffer_load_dword v192, off, s[0:3], 0 offset:328
	buffer_load_dword v193, off, s[0:3], 0 offset:332
	v_add_f32_e32 v42, v42, v43
	s_waitcnt vmcnt(32)
	v_mul_f32_e32 v43, v40, v92
	v_fmac_f32_e32 v43, v41, v91
	v_add_f32_e32 v96, v42, v43
	ds_read_b128 v[42:45], v52 offset:704
	buffer_load_dword v194, off, s[0:3], 0 offset:336
	buffer_load_dword v195, off, s[0:3], 0 offset:340
	ds_read_b128 v[46:49], v52 offset:720
	buffer_load_dword v196, off, s[0:3], 0 offset:344
	buffer_load_dword v197, off, s[0:3], 0 offset:348
	;; [unrolled: 1-line block ×14, first 2 shown]
	s_waitcnt vmcnt(46) lgkmcnt(1)
	v_mul_f32_e32 v97, v42, v94
	v_fmac_f32_e32 v97, v43, v93
	v_add_f32_e32 v96, v96, v97
	s_waitcnt vmcnt(44)
	v_mul_f32_e32 v97, v44, v146
	v_fmac_f32_e32 v97, v45, v95
	v_add_f32_e32 v96, v96, v97
	s_waitcnt vmcnt(42) lgkmcnt(0)
	v_mul_f32_e32 v97, v46, v156
	v_fmac_f32_e32 v97, v47, v148
	v_add_f32_e32 v100, v96, v97
	buffer_load_dword v238, off, s[0:3], 0 offset:400
	buffer_load_dword v239, off, s[0:3], 0 offset:404
	ds_read_b128 v[96:99], v52 offset:736
	s_waitcnt vmcnt(42)
	v_mul_f32_e32 v101, v48, v169
	v_fmac_f32_e32 v101, v49, v168
	buffer_load_dword v240, off, s[0:3], 0 offset:408
	buffer_load_dword v241, off, s[0:3], 0 offset:412
	v_add_f32_e32 v104, v100, v101
	buffer_load_dword v242, off, s[0:3], 0 offset:416
	buffer_load_dword v243, off, s[0:3], 0 offset:420
	ds_read_b128 v[100:103], v52 offset:752
	buffer_load_dword v244, off, s[0:3], 0 offset:424
	buffer_load_dword v245, off, s[0:3], 0 offset:428
	v_mul_f32_e32 v27, v27, v58
	v_fma_f32 v26, v26, v76, -v27
	v_mul_f32_e32 v27, v29, v57
	v_add_f32_e32 v26, 0, v26
	v_fma_f32 v27, v28, v73, -v27
	v_mul_f32_e32 v23, v23, v59
	v_add_f32_e32 v26, v26, v27
	;; [unrolled: 3-line block ×4, first 2 shown]
	v_fma_f32 v18, v18, v72, -v19
	s_waitcnt vmcnt(46) lgkmcnt(1)
	v_mul_f32_e32 v105, v96, v171
	v_fmac_f32_e32 v105, v97, v170
	v_add_f32_e32 v104, v104, v105
	s_waitcnt vmcnt(44)
	v_mul_f32_e32 v105, v98, v173
	v_fmac_f32_e32 v105, v99, v172
	v_add_f32_e32 v104, v104, v105
	s_waitcnt vmcnt(42) lgkmcnt(0)
	v_mul_f32_e32 v105, v100, v175
	v_fmac_f32_e32 v105, v101, v174
	v_add_f32_e32 v110, v104, v105
	ds_read_b128 v[104:107], v52 offset:768
	v_mul_f32_e32 v19, v21, v53
	v_add_f32_e32 v18, v22, v18
	v_fma_f32 v19, v20, v69, -v19
	s_waitcnt vmcnt(40)
	v_mul_f32_e32 v111, v102, v177
	v_fmac_f32_e32 v111, v103, v176
	v_add_f32_e32 v114, v110, v111
	ds_read_b128 v[110:113], v52 offset:784
	v_mul_f32_e32 v15, v15, v54
	s_waitcnt vmcnt(38) lgkmcnt(1)
	v_mul_f32_e32 v115, v104, v179
	v_fmac_f32_e32 v115, v105, v178
	v_add_f32_e32 v114, v114, v115
	s_waitcnt vmcnt(36)
	v_mul_f32_e32 v115, v106, v181
	v_fmac_f32_e32 v115, v107, v180
	v_add_f32_e32 v114, v114, v115
	s_waitcnt vmcnt(34) lgkmcnt(0)
	v_mul_f32_e32 v115, v110, v183
	v_fmac_f32_e32 v115, v111, v182
	v_add_f32_e32 v118, v114, v115
	ds_read_b128 v[114:117], v52 offset:800
	s_waitcnt vmcnt(32)
	v_mul_f32_e32 v119, v112, v185
	v_fmac_f32_e32 v119, v113, v184
	v_add_f32_e32 v122, v118, v119
	ds_read_b128 v[118:121], v52 offset:816
	s_waitcnt vmcnt(30) lgkmcnt(1)
	v_mul_f32_e32 v123, v114, v187
	v_fmac_f32_e32 v123, v115, v186
	v_add_f32_e32 v122, v122, v123
	s_waitcnt vmcnt(28)
	v_mul_f32_e32 v123, v116, v189
	v_fmac_f32_e32 v123, v117, v188
	v_add_f32_e32 v122, v122, v123
	s_waitcnt vmcnt(26) lgkmcnt(0)
	v_mul_f32_e32 v123, v118, v191
	v_fmac_f32_e32 v123, v119, v190
	v_add_f32_e32 v126, v122, v123
	ds_read_b128 v[122:125], v52 offset:832
	s_waitcnt vmcnt(24)
	v_mul_f32_e32 v127, v120, v193
	v_fmac_f32_e32 v127, v121, v192
	v_add_f32_e32 v130, v126, v127
	ds_read_b128 v[126:129], v52 offset:848
	;; [unrolled: 18-line block ×3, first 2 shown]
	s_waitcnt vmcnt(14) lgkmcnt(1)
	v_mul_f32_e32 v139, v130, v203
	v_fmac_f32_e32 v139, v131, v202
	v_add_f32_e32 v138, v138, v139
	s_waitcnt vmcnt(12)
	v_mul_f32_e32 v139, v132, v233
	v_fmac_f32_e32 v139, v133, v232
	v_add_f32_e32 v138, v138, v139
	s_waitcnt vmcnt(10) lgkmcnt(0)
	v_mul_f32_e32 v139, v134, v235
	v_fmac_f32_e32 v139, v135, v234
	s_waitcnt vmcnt(8)
	v_mul_f32_e32 v143, v136, v237
	v_add_f32_e32 v142, v138, v139
	v_fmac_f32_e32 v143, v137, v236
	ds_read_b128 v[138:141], v52 offset:896
	v_add_f32_e32 v147, v142, v143
	ds_read_b128 v[142:145], v52 offset:912
	buffer_load_dword v151, off, s[0:3], 0 offset:452
	buffer_load_dword v150, off, s[0:3], 0 offset:448
	;; [unrolled: 1-line block ×6, first 2 shown]
	v_add_f32_e32 v18, v18, v19
	v_fma_f32 v14, v14, v67, -v15
	v_mul_f32_e32 v15, v17, v60
	v_add_f32_e32 v14, v18, v14
	v_fma_f32 v15, v16, v71, -v15
	v_mul_f32_e32 v11, v11, v61
	;; [unrolled: 3-line block ×7, first 2 shown]
	v_add_f32_e32 v2, v6, v2
	v_fma_f32 v3, v4, v77, -v3
	buffer_load_dword v159, off, s[0:3], 0 offset:484
	buffer_load_dword v158, off, s[0:3], 0 offset:480
	;; [unrolled: 1-line block ×10, first 2 shown]
	v_add_f32_e32 v2, v2, v3
	v_mul_f32_e32 v3, v31, v78
	v_fma_f32 v3, v30, v74, -v3
	v_add_f32_e32 v2, v2, v3
	v_mul_f32_e32 v3, v33, v90
	v_fma_f32 v3, v32, v89, -v3
	;; [unrolled: 3-line block ×30, first 2 shown]
	v_add_f32_e32 v2, v2, v3
	s_waitcnt vmcnt(22) lgkmcnt(1)
	v_mul_f32_e32 v3, v139, v239
	v_fma_f32 v3, v138, v238, -v3
	v_add_f32_e32 v2, v2, v3
	s_waitcnt vmcnt(20)
	v_mul_f32_e32 v3, v141, v241
	v_mul_f32_e32 v149, v138, v239
	v_fma_f32 v3, v140, v240, -v3
	v_fmac_f32_e32 v149, v139, v238
	v_add_f32_e32 v146, v2, v3
	s_waitcnt vmcnt(18) lgkmcnt(0)
	v_mul_f32_e32 v2, v143, v243
	v_add_f32_e32 v147, v147, v149
	v_mul_f32_e32 v149, v140, v241
	v_fma_f32 v148, v142, v242, -v2
	s_waitcnt vmcnt(16)
	v_mul_f32_e32 v2, v145, v245
	v_fmac_f32_e32 v149, v141, v240
	v_fma_f32 v156, v144, v244, -v2
	ds_read_b128 v[2:5], v52 offset:928
	ds_read_b128 v[6:9], v52 offset:944
	;; [unrolled: 1-line block ×4, first 2 shown]
	v_add_f32_e32 v147, v147, v149
	v_mul_f32_e32 v149, v142, v243
	s_waitcnt vmcnt(11)
	v_mov_b32_e32 v20, v155
	v_fmac_f32_e32 v149, v143, v242
	v_mul_f32_e32 v157, v144, v245
	s_waitcnt lgkmcnt(3)
	v_pk_mul_f32 v[20:21], v[2:3], v[20:21] op_sel_hi:[1,0]
	v_fmac_f32_e32 v157, v145, v244
	v_pk_add_f32 v[18:19], v[146:147], v[148:149]
	s_waitcnt vmcnt(10)
	v_pk_fma_f32 v[22:23], v[2:3], v[154:155], v[20:21] op_sel:[0,0,1] op_sel_hi:[1,1,0] neg_lo:[0,0,1] neg_hi:[0,0,1]
	v_pk_fma_f32 v[2:3], v[2:3], v[154:155], v[20:21] op_sel:[0,0,1] op_sel_hi:[1,0,0]
	v_pk_add_f32 v[18:19], v[18:19], v[156:157]
	v_mov_b32_e32 v23, v3
	v_pk_add_f32 v[2:3], v[18:19], v[22:23]
	v_mov_b32_e32 v18, v153
	v_pk_mul_f32 v[18:19], v[4:5], v[18:19] op_sel_hi:[1,0]
	v_pk_fma_f32 v[20:21], v[4:5], v[152:153], v[18:19] op_sel:[0,0,1] op_sel_hi:[1,1,0] neg_lo:[0,0,1] neg_hi:[0,0,1]
	v_pk_fma_f32 v[4:5], v[4:5], v[152:153], v[18:19] op_sel:[0,0,1] op_sel_hi:[1,0,0]
	v_mov_b32_e32 v4, v151
	v_mov_b32_e32 v21, v5
	s_waitcnt lgkmcnt(2)
	v_pk_mul_f32 v[4:5], v[6:7], v[4:5] op_sel_hi:[1,0]
	v_pk_fma_f32 v[18:19], v[6:7], v[150:151], v[4:5] op_sel:[0,0,1] op_sel_hi:[1,1,0] neg_lo:[0,0,1] neg_hi:[0,0,1]
	v_pk_fma_f32 v[4:5], v[6:7], v[150:151], v[4:5] op_sel:[0,0,1] op_sel_hi:[1,0,0]
	s_waitcnt vmcnt(3)
	v_mov_b32_e32 v4, v165
	v_mov_b32_e32 v19, v5
	v_pk_mul_f32 v[4:5], v[8:9], v[4:5] op_sel_hi:[1,0]
	s_waitcnt vmcnt(2)
	v_pk_fma_f32 v[6:7], v[8:9], v[164:165], v[4:5] op_sel:[0,0,1] op_sel_hi:[1,1,0] neg_lo:[0,0,1] neg_hi:[0,0,1]
	v_pk_fma_f32 v[4:5], v[8:9], v[164:165], v[4:5] op_sel:[0,0,1] op_sel_hi:[1,0,0]
	v_pk_add_f32 v[2:3], v[2:3], v[20:21]
	v_mov_b32_e32 v4, v163
	v_pk_add_f32 v[2:3], v[2:3], v[18:19]
	v_mov_b32_e32 v7, v5
	s_waitcnt lgkmcnt(1)
	v_pk_mul_f32 v[4:5], v[10:11], v[4:5] op_sel_hi:[1,0]
	v_pk_add_f32 v[2:3], v[2:3], v[6:7]
	v_pk_fma_f32 v[6:7], v[10:11], v[162:163], v[4:5] op_sel:[0,0,1] op_sel_hi:[1,1,0] neg_lo:[0,0,1] neg_hi:[0,0,1]
	v_pk_fma_f32 v[4:5], v[10:11], v[162:163], v[4:5] op_sel:[0,0,1] op_sel_hi:[1,0,0]
	v_mov_b32_e32 v4, v161
	v_mov_b32_e32 v7, v5
	v_pk_mul_f32 v[4:5], v[12:13], v[4:5] op_sel_hi:[1,0]
	v_pk_add_f32 v[2:3], v[2:3], v[6:7]
	v_pk_fma_f32 v[6:7], v[12:13], v[160:161], v[4:5] op_sel:[0,0,1] op_sel_hi:[1,1,0] neg_lo:[0,0,1] neg_hi:[0,0,1]
	v_pk_fma_f32 v[4:5], v[12:13], v[160:161], v[4:5] op_sel:[0,0,1] op_sel_hi:[1,0,0]
	v_mov_b32_e32 v4, v159
	v_mov_b32_e32 v7, v5
	s_waitcnt lgkmcnt(0)
	v_pk_mul_f32 v[4:5], v[14:15], v[4:5] op_sel_hi:[1,0]
	v_pk_add_f32 v[2:3], v[2:3], v[6:7]
	v_pk_fma_f32 v[6:7], v[14:15], v[158:159], v[4:5] op_sel:[0,0,1] op_sel_hi:[1,1,0] neg_lo:[0,0,1] neg_hi:[0,0,1]
	v_pk_fma_f32 v[4:5], v[14:15], v[158:159], v[4:5] op_sel:[0,0,1] op_sel_hi:[1,0,0]
	s_waitcnt vmcnt(1)
	v_mov_b32_e32 v4, v167
	v_mov_b32_e32 v7, v5
	v_pk_mul_f32 v[4:5], v[16:17], v[4:5] op_sel_hi:[1,0]
	v_pk_add_f32 v[2:3], v[2:3], v[6:7]
	s_waitcnt vmcnt(0)
	v_pk_fma_f32 v[6:7], v[16:17], v[166:167], v[4:5] op_sel:[0,0,1] op_sel_hi:[1,1,0] neg_lo:[0,0,1] neg_hi:[0,0,1]
	v_pk_fma_f32 v[4:5], v[16:17], v[166:167], v[4:5] op_sel:[0,0,1] op_sel_hi:[1,0,0]
	v_mov_b32_e32 v7, v5
	v_pk_add_f32 v[2:3], v[2:3], v[6:7]
	v_pk_add_f32 v[2:3], v[50:51], v[2:3] neg_lo:[0,1] neg_hi:[0,1]
	buffer_store_dword v3, off, s[0:3], 0 offset:44
	buffer_store_dword v2, off, s[0:3], 0 offset:40
	s_and_saveexec_b64 s[4:5], vcc
	s_cbranch_execz .LBB125_377
; %bb.376:
	buffer_load_dword v2, off, s[0:3], 0 offset:32
	buffer_load_dword v3, off, s[0:3], 0 offset:36
	v_mov_b32_e32 v4, 0
	buffer_store_dword v4, off, s[0:3], 0 offset:32
	buffer_store_dword v4, off, s[0:3], 0 offset:36
	s_waitcnt vmcnt(2)
	ds_write_b64 v210, v[2:3]
.LBB125_377:
	s_or_b64 exec, exec, s[4:5]
	v_mov_b32_e32 v250, 0
	s_waitcnt lgkmcnt(0)
	; wave barrier
	s_waitcnt lgkmcnt(0)
	ds_read2_b64 v[2:5], v250 offset0:67 offset1:68
	buffer_load_dword v102, off, s[0:3], 0 offset:32
	buffer_load_dword v103, off, s[0:3], 0 offset:36
	;; [unrolled: 1-line block ×16, first 2 shown]
	v_cmp_lt_u32_e32 vcc, 3, v0
	s_waitcnt vmcnt(12) lgkmcnt(0)
	v_mul_f32_e32 v6, v2, v111
	v_fmac_f32_e32 v6, v3, v104
	s_waitcnt vmcnt(10)
	v_mul_f32_e32 v7, v4, v113
	v_add_f32_e32 v6, 0, v6
	v_fmac_f32_e32 v7, v5, v106
	v_add_f32_e32 v10, v6, v7
	ds_read2_b64 v[6:9], v250 offset0:69 offset1:70
	v_mul_f32_e32 v3, v3, v111
	v_fma_f32 v2, v2, v104, -v3
	v_mul_f32_e32 v3, v5, v113
	v_add_f32_e32 v2, 0, v2
	s_waitcnt vmcnt(8) lgkmcnt(0)
	v_mul_f32_e32 v11, v6, v115
	v_fmac_f32_e32 v11, v7, v110
	v_add_f32_e32 v10, v10, v11
	s_waitcnt vmcnt(6)
	v_mul_f32_e32 v11, v8, v117
	v_fmac_f32_e32 v11, v9, v112
	v_add_f32_e32 v14, v10, v11
	ds_read2_b64 v[10:13], v250 offset0:71 offset1:72
	v_fma_f32 v3, v4, v106, -v3
	v_add_f32_e32 v2, v2, v3
	v_mul_f32_e32 v3, v7, v115
	v_fma_f32 v3, v6, v110, -v3
	s_waitcnt vmcnt(4) lgkmcnt(0)
	v_mul_f32_e32 v15, v10, v119
	v_fmac_f32_e32 v15, v11, v114
	v_add_f32_e32 v14, v14, v15
	s_waitcnt vmcnt(2)
	v_mul_f32_e32 v15, v12, v120
	v_fmac_f32_e32 v15, v13, v116
	v_add_f32_e32 v18, v14, v15
	ds_read2_b64 v[14:17], v250 offset0:73 offset1:74
	buffer_load_dword v122, off, s[0:3], 0 offset:96
	buffer_load_dword v123, off, s[0:3], 0 offset:100
	v_add_f32_e32 v2, v2, v3
	v_mul_f32_e32 v3, v9, v117
	v_fma_f32 v3, v8, v112, -v3
	s_waitcnt vmcnt(2) lgkmcnt(0)
	v_mul_f32_e32 v19, v14, v121
	v_fmac_f32_e32 v19, v15, v118
	v_add_f32_e32 v18, v18, v19
	v_add_f32_e32 v2, v2, v3
	v_mul_f32_e32 v3, v11, v119
	v_fma_f32 v3, v10, v114, -v3
	v_add_f32_e32 v2, v2, v3
	v_mul_f32_e32 v3, v13, v120
	v_fma_f32 v3, v12, v116, -v3
	;; [unrolled: 3-line block ×3, first 2 shown]
	v_add_f32_e32 v2, v2, v3
	s_waitcnt vmcnt(0)
	v_mul_f32_e32 v19, v16, v123
	v_fmac_f32_e32 v19, v17, v122
	v_add_f32_e32 v22, v18, v19
	ds_read2_b64 v[18:21], v250 offset0:75 offset1:76
	buffer_load_dword v124, off, s[0:3], 0 offset:104
	buffer_load_dword v125, off, s[0:3], 0 offset:108
	;; [unrolled: 1-line block ×4, first 2 shown]
	v_mul_f32_e32 v3, v17, v123
	v_fma_f32 v3, v16, v122, -v3
	v_add_f32_e32 v2, v2, v3
	s_waitcnt vmcnt(2) lgkmcnt(0)
	v_mul_f32_e32 v23, v18, v125
	v_fmac_f32_e32 v23, v19, v124
	v_add_f32_e32 v22, v22, v23
	s_waitcnt vmcnt(0)
	v_mul_f32_e32 v23, v20, v127
	v_fmac_f32_e32 v23, v21, v126
	v_add_f32_e32 v26, v22, v23
	ds_read2_b64 v[22:25], v250 offset0:77 offset1:78
	buffer_load_dword v128, off, s[0:3], 0 offset:120
	buffer_load_dword v129, off, s[0:3], 0 offset:124
	buffer_load_dword v130, off, s[0:3], 0 offset:128
	buffer_load_dword v131, off, s[0:3], 0 offset:132
	v_mul_f32_e32 v3, v19, v125
	v_fma_f32 v3, v18, v124, -v3
	v_add_f32_e32 v2, v2, v3
	v_mul_f32_e32 v3, v21, v127
	v_fma_f32 v3, v20, v126, -v3
	v_add_f32_e32 v2, v2, v3
	s_waitcnt vmcnt(2) lgkmcnt(0)
	v_mul_f32_e32 v27, v22, v129
	v_fmac_f32_e32 v27, v23, v128
	v_add_f32_e32 v26, v26, v27
	s_waitcnt vmcnt(0)
	v_mul_f32_e32 v27, v24, v131
	v_fmac_f32_e32 v27, v25, v130
	v_add_f32_e32 v30, v26, v27
	ds_read2_b64 v[26:29], v250 offset0:79 offset1:80
	buffer_load_dword v132, off, s[0:3], 0 offset:136
	buffer_load_dword v133, off, s[0:3], 0 offset:140
	buffer_load_dword v134, off, s[0:3], 0 offset:144
	buffer_load_dword v135, off, s[0:3], 0 offset:148
	v_mul_f32_e32 v3, v23, v129
	v_fma_f32 v3, v22, v128, -v3
	v_add_f32_e32 v2, v2, v3
	;; [unrolled: 19-line block ×6, first 2 shown]
	v_mul_f32_e32 v3, v41, v147
	v_fma_f32 v3, v40, v146, -v3
	v_add_f32_e32 v2, v2, v3
	s_waitcnt vmcnt(2) lgkmcnt(0)
	v_mul_f32_e32 v47, v42, v149
	v_fmac_f32_e32 v47, v43, v148
	v_add_f32_e32 v46, v46, v47
	s_waitcnt vmcnt(0)
	v_mul_f32_e32 v47, v44, v151
	v_fmac_f32_e32 v47, v45, v150
	v_add_f32_e32 v50, v46, v47
	ds_read2_b64 v[46:49], v250 offset0:89 offset1:90
	buffer_load_dword v152, off, s[0:3], 0 offset:216
	buffer_load_dword v153, off, s[0:3], 0 offset:220
	buffer_load_dword v154, off, s[0:3], 0 offset:224
	buffer_load_dword v155, off, s[0:3], 0 offset:228
	ds_read2_b64 v[54:57], v250 offset0:91 offset1:92
	buffer_load_dword v156, off, s[0:3], 0 offset:232
	buffer_load_dword v157, off, s[0:3], 0 offset:236
	buffer_load_dword v158, off, s[0:3], 0 offset:240
	buffer_load_dword v159, off, s[0:3], 0 offset:244
	;; [unrolled: 5-line block ×13, first 2 shown]
	v_mul_f32_e32 v3, v43, v149
	v_fma_f32 v3, v42, v148, -v3
	v_add_f32_e32 v2, v2, v3
	v_mul_f32_e32 v3, v45, v151
	v_fma_f32 v3, v44, v150, -v3
	v_add_f32_e32 v2, v2, v3
	s_waitcnt vmcnt(50) lgkmcnt(12)
	v_mul_f32_e32 v51, v46, v153
	v_fmac_f32_e32 v51, v47, v152
	v_add_f32_e32 v50, v50, v51
	s_waitcnt vmcnt(48)
	v_mul_f32_e32 v51, v48, v155
	v_fmac_f32_e32 v51, v49, v154
	v_add_f32_e32 v50, v50, v51
	s_waitcnt vmcnt(46) lgkmcnt(11)
	v_mul_f32_e32 v51, v54, v157
	v_fmac_f32_e32 v51, v55, v156
	v_add_f32_e32 v50, v50, v51
	s_waitcnt vmcnt(44)
	v_mul_f32_e32 v51, v56, v159
	v_fmac_f32_e32 v51, v57, v158
	;; [unrolled: 8-line block ×12, first 2 shown]
	v_add_f32_e32 v50, v50, v51
	s_waitcnt vmcnt(2) lgkmcnt(0)
	v_mul_f32_e32 v51, v98, v201
	v_fmac_f32_e32 v51, v99, v200
	v_add_f32_e32 v105, v50, v51
	ds_read2_b64 v[50:53], v250 offset0:115 offset1:116
	buffer_load_dword v234, off, s[0:3], 0 offset:424
	buffer_load_dword v251, off, s[0:3], 0 offset:428
	;; [unrolled: 1-line block ×18, first 2 shown]
	v_mul_f32_e32 v3, v47, v153
	v_fma_f32 v3, v46, v152, -v3
	v_add_f32_e32 v2, v2, v3
	v_mul_f32_e32 v3, v49, v155
	v_fma_f32 v3, v48, v154, -v3
	v_add_f32_e32 v2, v2, v3
	;; [unrolled: 3-line block ×25, first 2 shown]
	s_waitcnt vmcnt(18)
	v_mul_f32_e32 v2, v101, v203
	s_waitcnt vmcnt(15)
	v_mov_b32_e32 v18, v233
	v_mul_f32_e32 v107, v100, v203
	s_waitcnt lgkmcnt(0)
	v_mul_f32_e32 v235, v50, v251
	v_fma_f32 v106, v100, v202, -v2
	v_mul_f32_e32 v2, v51, v251
	v_pk_mul_f32 v[18:19], v[52:53], v[18:19] op_sel_hi:[1,0]
	v_fmac_f32_e32 v107, v101, v202
	v_fmac_f32_e32 v235, v51, v234
	v_fma_f32 v234, v50, v234, -v2
	ds_read2_b64 v[2:5], v250 offset0:117 offset1:118
	ds_read2_b64 v[6:9], v250 offset0:119 offset1:120
	;; [unrolled: 1-line block ×3, first 2 shown]
	ds_read_b64 v[14:15], v250 offset:984
	s_waitcnt vmcnt(14)
	v_pk_fma_f32 v[20:21], v[52:53], v[232:233], v[18:19] op_sel:[0,0,1] op_sel_hi:[1,1,0] neg_lo:[0,0,1] neg_hi:[0,0,1]
	v_pk_fma_f32 v[18:19], v[52:53], v[232:233], v[18:19] op_sel:[0,0,1] op_sel_hi:[1,0,0]
	v_pk_add_f32 v[16:17], v[104:105], v[106:107]
	s_waitcnt vmcnt(13)
	v_mov_b32_e32 v18, v249
	v_pk_add_f32 v[16:17], v[16:17], v[234:235]
	v_mov_b32_e32 v21, v19
	s_waitcnt lgkmcnt(3)
	v_pk_mul_f32 v[18:19], v[2:3], v[18:19] op_sel_hi:[1,0]
	v_pk_add_f32 v[16:17], v[16:17], v[20:21]
	s_waitcnt vmcnt(12)
	v_pk_fma_f32 v[20:21], v[2:3], v[248:249], v[18:19] op_sel:[0,0,1] op_sel_hi:[1,1,0] neg_lo:[0,0,1] neg_hi:[0,0,1]
	v_pk_fma_f32 v[2:3], v[2:3], v[248:249], v[18:19] op_sel:[0,0,1] op_sel_hi:[1,0,0]
	v_mov_b32_e32 v21, v3
	v_pk_add_f32 v[2:3], v[16:17], v[20:21]
	s_waitcnt vmcnt(11)
	v_mov_b32_e32 v16, v247
	v_pk_mul_f32 v[16:17], v[4:5], v[16:17] op_sel_hi:[1,0]
	s_waitcnt vmcnt(10)
	v_pk_fma_f32 v[18:19], v[4:5], v[246:247], v[16:17] op_sel:[0,0,1] op_sel_hi:[1,1,0] neg_lo:[0,0,1] neg_hi:[0,0,1]
	v_pk_fma_f32 v[4:5], v[4:5], v[246:247], v[16:17] op_sel:[0,0,1] op_sel_hi:[1,0,0]
	s_waitcnt vmcnt(9)
	v_mov_b32_e32 v4, v245
	v_mov_b32_e32 v19, v5
	s_waitcnt lgkmcnt(2)
	v_pk_mul_f32 v[4:5], v[6:7], v[4:5] op_sel_hi:[1,0]
	s_waitcnt vmcnt(8)
	v_pk_fma_f32 v[16:17], v[6:7], v[244:245], v[4:5] op_sel:[0,0,1] op_sel_hi:[1,1,0] neg_lo:[0,0,1] neg_hi:[0,0,1]
	v_pk_fma_f32 v[4:5], v[6:7], v[244:245], v[4:5] op_sel:[0,0,1] op_sel_hi:[1,0,0]
	s_waitcnt vmcnt(7)
	v_mov_b32_e32 v4, v243
	v_mov_b32_e32 v17, v5
	v_pk_mul_f32 v[4:5], v[8:9], v[4:5] op_sel_hi:[1,0]
	s_waitcnt vmcnt(6)
	v_pk_fma_f32 v[6:7], v[8:9], v[242:243], v[4:5] op_sel:[0,0,1] op_sel_hi:[1,1,0] neg_lo:[0,0,1] neg_hi:[0,0,1]
	v_pk_fma_f32 v[4:5], v[8:9], v[242:243], v[4:5] op_sel:[0,0,1] op_sel_hi:[1,0,0]
	v_pk_add_f32 v[2:3], v[2:3], v[18:19]
	s_waitcnt vmcnt(5)
	v_mov_b32_e32 v4, v241
	v_pk_add_f32 v[2:3], v[2:3], v[16:17]
	v_mov_b32_e32 v7, v5
	s_waitcnt lgkmcnt(1)
	v_pk_mul_f32 v[4:5], v[10:11], v[4:5] op_sel_hi:[1,0]
	v_pk_add_f32 v[2:3], v[2:3], v[6:7]
	s_waitcnt vmcnt(4)
	v_pk_fma_f32 v[6:7], v[10:11], v[240:241], v[4:5] op_sel:[0,0,1] op_sel_hi:[1,1,0] neg_lo:[0,0,1] neg_hi:[0,0,1]
	v_pk_fma_f32 v[4:5], v[10:11], v[240:241], v[4:5] op_sel:[0,0,1] op_sel_hi:[1,0,0]
	s_waitcnt vmcnt(3)
	v_mov_b32_e32 v4, v239
	v_mov_b32_e32 v7, v5
	v_pk_mul_f32 v[4:5], v[12:13], v[4:5] op_sel_hi:[1,0]
	v_pk_add_f32 v[2:3], v[2:3], v[6:7]
	s_waitcnt vmcnt(2)
	v_pk_fma_f32 v[6:7], v[12:13], v[238:239], v[4:5] op_sel:[0,0,1] op_sel_hi:[1,1,0] neg_lo:[0,0,1] neg_hi:[0,0,1]
	v_pk_fma_f32 v[4:5], v[12:13], v[238:239], v[4:5] op_sel:[0,0,1] op_sel_hi:[1,0,0]
	s_waitcnt vmcnt(1)
	v_mov_b32_e32 v4, v237
	v_mov_b32_e32 v7, v5
	s_waitcnt lgkmcnt(0)
	v_pk_mul_f32 v[4:5], v[14:15], v[4:5] op_sel_hi:[1,0]
	v_pk_add_f32 v[2:3], v[2:3], v[6:7]
	s_waitcnt vmcnt(0)
	v_pk_fma_f32 v[6:7], v[14:15], v[236:237], v[4:5] op_sel:[0,0,1] op_sel_hi:[1,1,0] neg_lo:[0,0,1] neg_hi:[0,0,1]
	v_pk_fma_f32 v[4:5], v[14:15], v[236:237], v[4:5] op_sel:[0,0,1] op_sel_hi:[1,0,0]
	v_mov_b32_e32 v7, v5
	v_pk_add_f32 v[2:3], v[2:3], v[6:7]
	v_pk_add_f32 v[2:3], v[102:103], v[2:3] neg_lo:[0,1] neg_hi:[0,1]
	buffer_store_dword v3, off, s[0:3], 0 offset:36
	buffer_store_dword v2, off, s[0:3], 0 offset:32
	s_and_saveexec_b64 s[4:5], vcc
	s_cbranch_execz .LBB125_379
; %bb.378:
	buffer_load_dword v2, off, s[0:3], 0 offset:24
	buffer_load_dword v3, off, s[0:3], 0 offset:28
	s_waitcnt vmcnt(0)
	ds_write_b64 v210, v[2:3]
	buffer_store_dword v250, off, s[0:3], 0 offset:24
	buffer_store_dword v250, off, s[0:3], 0 offset:28
.LBB125_379:
	s_or_b64 exec, exec, s[4:5]
	s_waitcnt lgkmcnt(0)
	; wave barrier
	s_waitcnt lgkmcnt(0)
	buffer_load_dword v65, off, s[0:3], 0 offset:36
	buffer_load_dword v64, off, s[0:3], 0 offset:44
	;; [unrolled: 1-line block ×40, first 2 shown]
	ds_read_b128 v[22:25], v250 offset:528
	ds_read_b128 v[18:21], v250 offset:544
	;; [unrolled: 1-line block ×6, first 2 shown]
	buffer_load_dword v98, off, s[0:3], 0 offset:184
	buffer_load_dword v99, off, s[0:3], 0 offset:188
	;; [unrolled: 1-line block ×10, first 2 shown]
	v_cmp_lt_u32_e32 vcc, 2, v0
	s_waitcnt vmcnt(49) lgkmcnt(5)
	v_mul_f32_e32 v26, v22, v65
	s_waitcnt vmcnt(48)
	v_mul_f32_e32 v27, v24, v64
	s_waitcnt vmcnt(47) lgkmcnt(4)
	v_mul_f32_e32 v29, v20, v63
	s_waitcnt vmcnt(46) lgkmcnt(3)
	v_mul_f32_e32 v30, v14, v62
	s_waitcnt vmcnt(45)
	v_mul_f32_e32 v31, v16, v60
	s_waitcnt vmcnt(44)
	v_mul_f32_e32 v28, v18, v66
	s_waitcnt vmcnt(43) lgkmcnt(2)
	v_mul_f32_e32 v32, v10, v61
	s_waitcnt vmcnt(42)
	v_mul_f32_e32 v33, v12, v67
	s_waitcnt vmcnt(41) lgkmcnt(1)
	;; [unrolled: 4-line block ×3, first 2 shown]
	v_mul_f32_e32 v36, v2, v70
	s_waitcnt vmcnt(38)
	v_mul_f32_e32 v37, v4, v71
	s_waitcnt vmcnt(37)
	v_fmac_f32_e32 v28, v19, v77
	s_waitcnt vmcnt(36)
	v_fmac_f32_e32 v27, v25, v80
	s_waitcnt vmcnt(35)
	v_fmac_f32_e32 v26, v23, v83
	v_add_f32_e32 v26, 0, v26
	v_add_f32_e32 v26, v26, v27
	;; [unrolled: 1-line block ×3, first 2 shown]
	s_waitcnt vmcnt(31)
	v_fmac_f32_e32 v29, v21, v82
	v_fmac_f32_e32 v30, v15, v79
	v_add_f32_e32 v26, v26, v29
	v_fmac_f32_e32 v31, v17, v76
	v_add_f32_e32 v26, v26, v30
	;; [unrolled: 2-line block ×3, first 2 shown]
	s_waitcnt vmcnt(27)
	v_fmac_f32_e32 v33, v13, v78
	v_add_f32_e32 v26, v26, v32
	v_fmac_f32_e32 v34, v7, v75
	v_add_f32_e32 v26, v26, v33
	;; [unrolled: 2-line block ×3, first 2 shown]
	v_add_f32_e32 v30, v26, v35
	ds_read_b128 v[26:29], v250 offset:624
	v_fmac_f32_e32 v36, v3, v72
	v_add_f32_e32 v30, v30, v36
	s_waitcnt vmcnt(23)
	v_fmac_f32_e32 v37, v5, v89
	v_add_f32_e32 v34, v30, v37
	ds_read_b128 v[30:33], v250 offset:640
	s_waitcnt vmcnt(22) lgkmcnt(1)
	v_mul_f32_e32 v35, v26, v88
	buffer_load_dword v160, off, s[0:3], 0 offset:224
	buffer_load_dword v162, off, s[0:3], 0 offset:228
	v_fmac_f32_e32 v35, v27, v86
	v_add_f32_e32 v34, v34, v35
	s_waitcnt vmcnt(23)
	v_mul_f32_e32 v35, v28, v87
	buffer_load_dword v164, off, s[0:3], 0 offset:232
	buffer_load_dword v180, off, s[0:3], 0 offset:236
	v_fmac_f32_e32 v35, v29, v84
	v_add_f32_e32 v34, v34, v35
	s_waitcnt vmcnt(24) lgkmcnt(0)
	v_mul_f32_e32 v35, v30, v85
	buffer_load_dword v181, off, s[0:3], 0 offset:240
	buffer_load_dword v182, off, s[0:3], 0 offset:244
	v_fmac_f32_e32 v35, v31, v81
	v_add_f32_e32 v34, v34, v35
	s_waitcnt vmcnt(20)
	v_mul_f32_e32 v35, v32, v97
	s_waitcnt vmcnt(19)
	v_fmac_f32_e32 v35, v33, v96
	ds_read_b128 v[38:41], v250 offset:656
	v_add_f32_e32 v42, v34, v35
	ds_read_b128 v[34:37], v250 offset:672
	buffer_load_dword v183, off, s[0:3], 0 offset:248
	buffer_load_dword v184, off, s[0:3], 0 offset:252
	;; [unrolled: 1-line block ×8, first 2 shown]
	s_waitcnt vmcnt(26) lgkmcnt(1)
	v_mul_f32_e32 v43, v38, v95
	v_fmac_f32_e32 v43, v39, v94
	buffer_load_dword v191, off, s[0:3], 0 offset:280
	buffer_load_dword v192, off, s[0:3], 0 offset:284
	v_add_f32_e32 v42, v42, v43
	v_mul_f32_e32 v43, v40, v91
	v_fmac_f32_e32 v43, v41, v90
	v_add_f32_e32 v42, v42, v43
	s_waitcnt lgkmcnt(0)
	v_mul_f32_e32 v43, v34, v93
	buffer_load_dword v193, off, s[0:3], 0 offset:288
	buffer_load_dword v194, off, s[0:3], 0 offset:292
	v_fmac_f32_e32 v43, v35, v92
	v_add_f32_e32 v46, v42, v43
	ds_read_b128 v[42:45], v250 offset:688
	buffer_load_dword v195, off, s[0:3], 0 offset:296
	buffer_load_dword v196, off, s[0:3], 0 offset:300
	buffer_load_dword v197, off, s[0:3], 0 offset:304
	buffer_load_dword v198, off, s[0:3], 0 offset:308
	s_waitcnt vmcnt(30)
	v_mul_f32_e32 v47, v36, v99
	v_fmac_f32_e32 v47, v37, v98
	v_add_f32_e32 v50, v46, v47
	ds_read_b128 v[46:49], v250 offset:704
	buffer_load_dword v199, off, s[0:3], 0 offset:312
	buffer_load_dword v200, off, s[0:3], 0 offset:316
	;; [unrolled: 1-line block ×12, first 2 shown]
	s_waitcnt vmcnt(40) lgkmcnt(1)
	v_mul_f32_e32 v51, v42, v101
	v_fmac_f32_e32 v51, v43, v100
	buffer_load_dword v239, off, s[0:3], 0 offset:360
	buffer_load_dword v240, off, s[0:3], 0 offset:364
	v_add_f32_e32 v50, v50, v51
	s_waitcnt vmcnt(40)
	v_mul_f32_e32 v51, v44, v103
	v_fmac_f32_e32 v51, v45, v102
	buffer_load_dword v241, off, s[0:3], 0 offset:368
	buffer_load_dword v242, off, s[0:3], 0 offset:372
	v_add_f32_e32 v50, v50, v51
	s_waitcnt vmcnt(40) lgkmcnt(0)
	v_mul_f32_e32 v51, v46, v105
	v_fmac_f32_e32 v51, v47, v104
	v_add_f32_e32 v54, v50, v51
	ds_read_b128 v[50:53], v250 offset:720
	buffer_load_dword v243, off, s[0:3], 0 offset:376
	buffer_load_dword v244, off, s[0:3], 0 offset:380
	s_waitcnt vmcnt(40)
	v_mul_f32_e32 v55, v48, v107
	v_fmac_f32_e32 v55, v49, v106
	v_add_f32_e32 v110, v54, v55
	ds_read_b128 v[54:57], v250 offset:736
	buffer_load_dword v245, off, s[0:3], 0 offset:384
	buffer_load_dword v246, off, s[0:3], 0 offset:388
	buffer_load_dword v247, off, s[0:3], 0 offset:392
	buffer_load_dword v248, off, s[0:3], 0 offset:396
	buffer_load_dword v249, off, s[0:3], 0 offset:400
	buffer_load_dword v251, off, s[0:3], 0 offset:404
	buffer_load_dword v252, off, s[0:3], 0 offset:408
	buffer_load_dword v253, off, s[0:3], 0 offset:412
	buffer_load_dword v254, off, s[0:3], 0 offset:416
	buffer_load_dword v255, off, s[0:3], 0 offset:420
	buffer_load_dword v1, off, s[0:3], 0 offset:424
	buffer_load_dword v204, off, s[0:3], 0 offset:428
	v_mul_f32_e32 v23, v23, v65
	v_fma_f32 v22, v22, v83, -v23
	v_mul_f32_e32 v23, v25, v64
	v_add_f32_e32 v22, 0, v22
	v_fma_f32 v23, v24, v80, -v23
	v_mul_f32_e32 v19, v19, v66
	v_add_f32_e32 v22, v22, v23
	;; [unrolled: 3-line block ×4, first 2 shown]
	v_fma_f32 v14, v14, v79, -v15
	s_waitcnt vmcnt(50) lgkmcnt(1)
	v_mul_f32_e32 v111, v50, v162
	v_fmac_f32_e32 v111, v51, v160
	v_add_f32_e32 v110, v110, v111
	v_mul_f32_e32 v15, v17, v60
	s_waitcnt vmcnt(48)
	v_mul_f32_e32 v111, v52, v180
	v_fmac_f32_e32 v111, v53, v164
	v_add_f32_e32 v110, v110, v111
	v_add_f32_e32 v14, v18, v14
	s_waitcnt vmcnt(46) lgkmcnt(0)
	v_mul_f32_e32 v111, v54, v182
	v_fmac_f32_e32 v111, v55, v181
	v_add_f32_e32 v114, v110, v111
	ds_read_b128 v[110:113], v250 offset:752
	v_fma_f32 v15, v16, v76, -v15
	v_mul_f32_e32 v11, v11, v61
	v_add_f32_e32 v14, v14, v15
	v_fma_f32 v10, v10, v74, -v11
	s_waitcnt vmcnt(44)
	v_mul_f32_e32 v115, v56, v184
	v_fmac_f32_e32 v115, v57, v183
	v_add_f32_e32 v118, v114, v115
	ds_read_b128 v[114:117], v250 offset:768
	s_waitcnt vmcnt(42) lgkmcnt(1)
	v_mul_f32_e32 v119, v110, v186
	v_fmac_f32_e32 v119, v111, v185
	v_add_f32_e32 v118, v118, v119
	s_waitcnt vmcnt(40)
	v_mul_f32_e32 v119, v112, v188
	v_fmac_f32_e32 v119, v113, v187
	v_add_f32_e32 v118, v118, v119
	s_waitcnt vmcnt(38) lgkmcnt(0)
	v_mul_f32_e32 v119, v114, v190
	v_fmac_f32_e32 v119, v115, v189
	v_add_f32_e32 v122, v118, v119
	ds_read_b128 v[118:121], v250 offset:784
	s_waitcnt vmcnt(36)
	v_mul_f32_e32 v123, v116, v192
	v_fmac_f32_e32 v123, v117, v191
	v_add_f32_e32 v126, v122, v123
	ds_read_b128 v[122:125], v250 offset:800
	s_waitcnt vmcnt(34) lgkmcnt(1)
	v_mul_f32_e32 v127, v118, v194
	v_fmac_f32_e32 v127, v119, v193
	v_add_f32_e32 v126, v126, v127
	s_waitcnt vmcnt(32)
	v_mul_f32_e32 v127, v120, v196
	v_fmac_f32_e32 v127, v121, v195
	v_add_f32_e32 v126, v126, v127
	s_waitcnt vmcnt(30) lgkmcnt(0)
	v_mul_f32_e32 v127, v122, v198
	v_fmac_f32_e32 v127, v123, v197
	v_add_f32_e32 v130, v126, v127
	ds_read_b128 v[126:129], v250 offset:816
	s_waitcnt vmcnt(28)
	v_mul_f32_e32 v131, v124, v200
	v_fmac_f32_e32 v131, v125, v199
	v_add_f32_e32 v134, v130, v131
	ds_read_b128 v[130:133], v250 offset:832
	s_waitcnt vmcnt(26) lgkmcnt(1)
	v_mul_f32_e32 v135, v126, v202
	v_fmac_f32_e32 v135, v127, v201
	v_add_f32_e32 v134, v134, v135
	s_waitcnt vmcnt(24)
	v_mul_f32_e32 v135, v128, v232
	v_fmac_f32_e32 v135, v129, v203
	v_add_f32_e32 v134, v134, v135
	s_waitcnt vmcnt(22) lgkmcnt(0)
	v_mul_f32_e32 v135, v130, v234
	v_fmac_f32_e32 v135, v131, v233
	v_add_f32_e32 v138, v134, v135
	ds_read_b128 v[134:137], v250 offset:848
	s_waitcnt vmcnt(20)
	v_mul_f32_e32 v139, v132, v236
	v_fmac_f32_e32 v139, v133, v235
	v_add_f32_e32 v142, v138, v139
	ds_read_b128 v[138:141], v250 offset:864
	s_waitcnt vmcnt(18) lgkmcnt(1)
	v_mul_f32_e32 v143, v134, v238
	v_fmac_f32_e32 v143, v135, v237
	v_add_f32_e32 v142, v142, v143
	s_waitcnt vmcnt(16)
	v_mul_f32_e32 v143, v136, v240
	v_fmac_f32_e32 v143, v137, v239
	v_add_f32_e32 v142, v142, v143
	s_waitcnt vmcnt(14) lgkmcnt(0)
	v_mul_f32_e32 v143, v138, v242
	v_fmac_f32_e32 v143, v139, v241
	v_add_f32_e32 v146, v142, v143
	ds_read_b128 v[142:145], v250 offset:880
	s_waitcnt vmcnt(12)
	v_mul_f32_e32 v147, v140, v244
	v_fmac_f32_e32 v147, v141, v243
	v_add_f32_e32 v150, v146, v147
	ds_read_b128 v[146:149], v250 offset:896
	buffer_load_dword v159, off, s[0:3], 0 offset:436
	buffer_load_dword v158, off, s[0:3], 0 offset:432
	s_waitcnt vmcnt(12) lgkmcnt(1)
	v_mul_f32_e32 v151, v142, v246
	v_mul_f32_e32 v11, v13, v67
	v_fmac_f32_e32 v151, v143, v245
	v_add_f32_e32 v10, v14, v10
	v_fma_f32 v11, v12, v78, -v11
	v_mul_f32_e32 v7, v7, v68
	v_add_f32_e32 v150, v150, v151
	s_waitcnt vmcnt(10)
	v_mul_f32_e32 v151, v144, v248
	v_add_f32_e32 v10, v10, v11
	v_fma_f32 v6, v6, v75, -v7
	v_mul_f32_e32 v7, v9, v69
	v_fmac_f32_e32 v151, v145, v247
	v_add_f32_e32 v6, v10, v6
	v_fma_f32 v7, v8, v73, -v7
	v_mul_f32_e32 v3, v3, v70
	v_add_f32_e32 v150, v150, v151
	s_waitcnt vmcnt(8) lgkmcnt(0)
	v_mul_f32_e32 v151, v146, v251
	v_add_f32_e32 v6, v6, v7
	v_fma_f32 v2, v2, v72, -v3
	v_mul_f32_e32 v3, v5, v71
	v_fmac_f32_e32 v151, v147, v249
	s_waitcnt vmcnt(6)
	v_mul_f32_e32 v155, v148, v253
	v_add_f32_e32 v2, v6, v2
	v_fma_f32 v3, v4, v89, -v3
	v_add_f32_e32 v154, v150, v151
	v_fmac_f32_e32 v155, v149, v252
	v_add_f32_e32 v2, v2, v3
	v_mul_f32_e32 v3, v27, v88
	ds_read_b128 v[150:153], v250 offset:912
	v_add_f32_e32 v161, v154, v155
	ds_read_b128 v[154:157], v250 offset:928
	buffer_load_dword v167, off, s[0:3], 0 offset:468
	buffer_load_dword v166, off, s[0:3], 0 offset:464
	;; [unrolled: 1-line block ×14, first 2 shown]
	v_fma_f32 v3, v26, v86, -v3
	v_add_f32_e32 v2, v2, v3
	v_mul_f32_e32 v3, v29, v87
	v_fma_f32 v3, v28, v84, -v3
	v_add_f32_e32 v2, v2, v3
	v_mul_f32_e32 v3, v31, v85
	;; [unrolled: 3-line block ×35, first 2 shown]
	v_fma_f32 v3, v148, v252, -v3
	s_waitcnt vmcnt(15)
	v_mov_b32_e32 v16, v159
	s_waitcnt lgkmcnt(1)
	v_mul_f32_e32 v163, v150, v255
	v_add_f32_e32 v160, v2, v3
	v_mul_f32_e32 v2, v151, v255
	s_waitcnt lgkmcnt(0)
	v_pk_mul_f32 v[16:17], v[154:155], v[16:17] op_sel_hi:[1,0]
	v_fmac_f32_e32 v163, v151, v254
	v_mul_f32_e32 v165, v152, v204
	v_fma_f32 v162, v150, v254, -v2
	v_mul_f32_e32 v2, v153, v204
	s_waitcnt vmcnt(14)
	v_pk_fma_f32 v[18:19], v[154:155], v[158:159], v[16:17] op_sel:[0,0,1] op_sel_hi:[1,1,0] neg_lo:[0,0,1] neg_hi:[0,0,1]
	v_pk_fma_f32 v[16:17], v[154:155], v[158:159], v[16:17] op_sel:[0,0,1] op_sel_hi:[1,0,0]
	v_fmac_f32_e32 v165, v153, v1
	v_fma_f32 v164, v152, v1, -v2
	v_pk_add_f32 v[14:15], v[160:161], v[162:163]
	s_waitcnt vmcnt(7)
	v_mov_b32_e32 v16, v173
	ds_read_b128 v[2:5], v250 offset:944
	ds_read_b128 v[6:9], v250 offset:960
	;; [unrolled: 1-line block ×3, first 2 shown]
	v_pk_add_f32 v[14:15], v[14:15], v[164:165]
	v_mov_b32_e32 v19, v17
	v_pk_mul_f32 v[16:17], v[156:157], v[16:17] op_sel_hi:[1,0]
	v_pk_add_f32 v[14:15], v[14:15], v[18:19]
	s_waitcnt vmcnt(6)
	v_pk_fma_f32 v[18:19], v[156:157], v[172:173], v[16:17] op_sel:[0,0,1] op_sel_hi:[1,1,0] neg_lo:[0,0,1] neg_hi:[0,0,1]
	v_pk_fma_f32 v[16:17], v[156:157], v[172:173], v[16:17] op_sel:[0,0,1] op_sel_hi:[1,0,0]
	v_mov_b32_e32 v16, v171
	v_mov_b32_e32 v19, v17
	s_waitcnt lgkmcnt(2)
	v_pk_mul_f32 v[16:17], v[2:3], v[16:17] op_sel_hi:[1,0]
	v_pk_add_f32 v[14:15], v[14:15], v[18:19]
	v_pk_fma_f32 v[18:19], v[2:3], v[170:171], v[16:17] op_sel:[0,0,1] op_sel_hi:[1,1,0] neg_lo:[0,0,1] neg_hi:[0,0,1]
	v_pk_fma_f32 v[2:3], v[2:3], v[170:171], v[16:17] op_sel:[0,0,1] op_sel_hi:[1,0,0]
	v_mov_b32_e32 v19, v3
	v_pk_add_f32 v[2:3], v[14:15], v[18:19]
	v_mov_b32_e32 v14, v169
	v_pk_mul_f32 v[14:15], v[4:5], v[14:15] op_sel_hi:[1,0]
	v_pk_fma_f32 v[16:17], v[4:5], v[168:169], v[14:15] op_sel:[0,0,1] op_sel_hi:[1,1,0] neg_lo:[0,0,1] neg_hi:[0,0,1]
	v_pk_fma_f32 v[4:5], v[4:5], v[168:169], v[14:15] op_sel:[0,0,1] op_sel_hi:[1,0,0]
	v_mov_b32_e32 v4, v167
	v_mov_b32_e32 v17, v5
	s_waitcnt lgkmcnt(1)
	v_pk_mul_f32 v[4:5], v[6:7], v[4:5] op_sel_hi:[1,0]
	v_pk_fma_f32 v[14:15], v[6:7], v[166:167], v[4:5] op_sel:[0,0,1] op_sel_hi:[1,1,0] neg_lo:[0,0,1] neg_hi:[0,0,1]
	v_pk_fma_f32 v[4:5], v[6:7], v[166:167], v[4:5] op_sel:[0,0,1] op_sel_hi:[1,0,0]
	s_waitcnt vmcnt(1)
	v_mov_b32_e32 v4, v179
	v_mov_b32_e32 v15, v5
	v_pk_mul_f32 v[4:5], v[8:9], v[4:5] op_sel_hi:[1,0]
	s_waitcnt vmcnt(0)
	v_pk_fma_f32 v[6:7], v[8:9], v[178:179], v[4:5] op_sel:[0,0,1] op_sel_hi:[1,1,0] neg_lo:[0,0,1] neg_hi:[0,0,1]
	v_pk_fma_f32 v[4:5], v[8:9], v[178:179], v[4:5] op_sel:[0,0,1] op_sel_hi:[1,0,0]
	v_pk_add_f32 v[2:3], v[2:3], v[16:17]
	v_mov_b32_e32 v4, v177
	v_pk_add_f32 v[2:3], v[2:3], v[14:15]
	v_mov_b32_e32 v7, v5
	s_waitcnt lgkmcnt(0)
	v_pk_mul_f32 v[4:5], v[10:11], v[4:5] op_sel_hi:[1,0]
	v_pk_add_f32 v[2:3], v[2:3], v[6:7]
	v_pk_fma_f32 v[6:7], v[10:11], v[176:177], v[4:5] op_sel:[0,0,1] op_sel_hi:[1,1,0] neg_lo:[0,0,1] neg_hi:[0,0,1]
	v_pk_fma_f32 v[4:5], v[10:11], v[176:177], v[4:5] op_sel:[0,0,1] op_sel_hi:[1,0,0]
	v_mov_b32_e32 v4, v175
	v_mov_b32_e32 v7, v5
	v_pk_mul_f32 v[4:5], v[12:13], v[4:5] op_sel_hi:[1,0]
	v_pk_add_f32 v[2:3], v[2:3], v[6:7]
	v_pk_fma_f32 v[6:7], v[12:13], v[174:175], v[4:5] op_sel:[0,0,1] op_sel_hi:[1,1,0] neg_lo:[0,0,1] neg_hi:[0,0,1]
	v_pk_fma_f32 v[4:5], v[12:13], v[174:175], v[4:5] op_sel:[0,0,1] op_sel_hi:[1,0,0]
	v_mov_b32_e32 v7, v5
	v_pk_add_f32 v[2:3], v[2:3], v[6:7]
	v_pk_add_f32 v[2:3], v[58:59], v[2:3] neg_lo:[0,1] neg_hi:[0,1]
	buffer_store_dword v3, off, s[0:3], 0 offset:28
	buffer_store_dword v2, off, s[0:3], 0 offset:24
	s_and_saveexec_b64 s[4:5], vcc
	s_cbranch_execz .LBB125_381
; %bb.380:
	buffer_load_dword v2, off, s[0:3], 0 offset:16
	buffer_load_dword v3, off, s[0:3], 0 offset:20
	v_mov_b32_e32 v1, 0
	buffer_store_dword v1, off, s[0:3], 0 offset:16
	buffer_store_dword v1, off, s[0:3], 0 offset:20
	s_waitcnt vmcnt(2)
	ds_write_b64 v210, v[2:3]
.LBB125_381:
	s_or_b64 exec, exec, s[4:5]
	s_waitcnt lgkmcnt(0)
	; wave barrier
	s_waitcnt lgkmcnt(0)
	buffer_load_dword v66, off, s[0:3], 0 offset:28
	buffer_load_dword v65, off, s[0:3], 0 offset:36
	;; [unrolled: 1-line block ×48, first 2 shown]
	v_mov_b32_e32 v60, 0
	ds_read2_b64 v[22:25], v60 offset0:65 offset1:66
	ds_read2_b64 v[18:21], v60 offset0:67 offset1:68
	;; [unrolled: 1-line block ×6, first 2 shown]
	buffer_load_dword v158, off, s[0:3], 0 offset:208
	buffer_load_dword v160, off, s[0:3], 0 offset:212
	v_cmp_lt_u32_e32 vcc, 1, v0
	s_waitcnt vmcnt(49) lgkmcnt(5)
	v_mul_f32_e32 v1, v22, v66
	s_waitcnt vmcnt(48)
	v_mul_f32_e32 v26, v24, v65
	s_waitcnt vmcnt(47) lgkmcnt(4)
	v_mul_f32_e32 v28, v20, v64
	s_waitcnt vmcnt(46) lgkmcnt(3)
	v_mul_f32_e32 v29, v14, v63
	s_waitcnt vmcnt(45)
	v_mul_f32_e32 v30, v16, v61
	s_waitcnt vmcnt(44)
	v_mul_f32_e32 v27, v18, v67
	s_waitcnt vmcnt(43) lgkmcnt(2)
	v_mul_f32_e32 v31, v10, v62
	s_waitcnt vmcnt(42)
	v_mul_f32_e32 v32, v12, v68
	s_waitcnt vmcnt(41) lgkmcnt(1)
	;; [unrolled: 4-line block ×3, first 2 shown]
	v_mul_f32_e32 v35, v2, v71
	s_waitcnt vmcnt(38)
	v_mul_f32_e32 v36, v4, v72
	s_waitcnt vmcnt(37)
	v_fmac_f32_e32 v27, v19, v78
	s_waitcnt vmcnt(36)
	v_fmac_f32_e32 v26, v25, v81
	;; [unrolled: 2-line block ×3, first 2 shown]
	v_add_f32_e32 v1, 0, v1
	v_add_f32_e32 v1, v1, v26
	;; [unrolled: 1-line block ×3, first 2 shown]
	s_waitcnt vmcnt(31)
	v_fmac_f32_e32 v28, v21, v83
	v_fmac_f32_e32 v29, v15, v80
	v_add_f32_e32 v1, v1, v28
	v_fmac_f32_e32 v30, v17, v77
	v_add_f32_e32 v1, v1, v29
	;; [unrolled: 2-line block ×3, first 2 shown]
	ds_read2_b64 v[26:29], v60 offset0:77 offset1:78
	s_waitcnt vmcnt(27)
	v_fmac_f32_e32 v32, v13, v79
	v_add_f32_e32 v1, v1, v31
	v_fmac_f32_e32 v33, v7, v76
	v_add_f32_e32 v1, v1, v32
	;; [unrolled: 2-line block ×4, first 2 shown]
	buffer_load_dword v178, off, s[0:3], 0 offset:216
	buffer_load_dword v179, off, s[0:3], 0 offset:220
	ds_read2_b64 v[30:33], v60 offset0:79 offset1:80
	v_add_f32_e32 v1, v1, v35
	s_waitcnt vmcnt(25)
	v_fmac_f32_e32 v36, v5, v92
	s_waitcnt vmcnt(24) lgkmcnt(1)
	v_mul_f32_e32 v34, v26, v91
	v_add_f32_e32 v1, v1, v36
	v_fmac_f32_e32 v34, v27, v87
	v_add_f32_e32 v1, v1, v34
	s_waitcnt vmcnt(23)
	v_mul_f32_e32 v34, v28, v89
	v_fmac_f32_e32 v34, v29, v85
	buffer_load_dword v180, off, s[0:3], 0 offset:224
	buffer_load_dword v181, off, s[0:3], 0 offset:228
	v_add_f32_e32 v1, v1, v34
	s_waitcnt vmcnt(24) lgkmcnt(0)
	v_mul_f32_e32 v34, v30, v86
	v_fmac_f32_e32 v34, v31, v82
	buffer_load_dword v182, off, s[0:3], 0 offset:232
	buffer_load_dword v183, off, s[0:3], 0 offset:236
	ds_read2_b64 v[38:41], v60 offset0:81 offset1:82
	v_add_f32_e32 v1, v1, v34
	s_waitcnt vmcnt(24)
	v_mul_f32_e32 v34, v32, v90
	v_fmac_f32_e32 v34, v33, v88
	v_add_f32_e32 v1, v1, v34
	ds_read2_b64 v[34:37], v60 offset0:83 offset1:84
	buffer_load_dword v184, off, s[0:3], 0 offset:240
	buffer_load_dword v185, off, s[0:3], 0 offset:244
	s_waitcnt vmcnt(22) lgkmcnt(1)
	v_mul_f32_e32 v42, v38, v94
	buffer_load_dword v186, off, s[0:3], 0 offset:248
	buffer_load_dword v187, off, s[0:3], 0 offset:252
	v_fmac_f32_e32 v42, v39, v93
	v_add_f32_e32 v1, v1, v42
	s_waitcnt vmcnt(22)
	v_mul_f32_e32 v42, v40, v96
	buffer_load_dword v188, off, s[0:3], 0 offset:256
	buffer_load_dword v189, off, s[0:3], 0 offset:260
	v_fmac_f32_e32 v42, v41, v95
	v_add_f32_e32 v1, v1, v42
	s_waitcnt vmcnt(22) lgkmcnt(0)
	v_mul_f32_e32 v42, v34, v98
	buffer_load_dword v190, off, s[0:3], 0 offset:264
	buffer_load_dword v191, off, s[0:3], 0 offset:268
	v_fmac_f32_e32 v42, v35, v97
	v_add_f32_e32 v1, v1, v42
	s_waitcnt vmcnt(22)
	v_mul_f32_e32 v42, v36, v100
	buffer_load_dword v192, off, s[0:3], 0 offset:272
	buffer_load_dword v193, off, s[0:3], 0 offset:276
	v_fmac_f32_e32 v42, v37, v99
	v_add_f32_e32 v1, v1, v42
	ds_read2_b64 v[42:45], v60 offset0:85 offset1:86
	buffer_load_dword v194, off, s[0:3], 0 offset:280
	buffer_load_dword v195, off, s[0:3], 0 offset:284
	ds_read2_b64 v[46:49], v60 offset0:87 offset1:88
	buffer_load_dword v196, off, s[0:3], 0 offset:288
	buffer_load_dword v197, off, s[0:3], 0 offset:292
	;; [unrolled: 1-line block ×10, first 2 shown]
	s_waitcnt vmcnt(34) lgkmcnt(1)
	v_mul_f32_e32 v50, v42, v102
	buffer_load_dword v232, off, s[0:3], 0 offset:328
	buffer_load_dword v233, off, s[0:3], 0 offset:332
	v_fmac_f32_e32 v50, v43, v101
	v_add_f32_e32 v1, v1, v50
	s_waitcnt vmcnt(34)
	v_mul_f32_e32 v50, v44, v104
	buffer_load_dword v234, off, s[0:3], 0 offset:336
	buffer_load_dword v235, off, s[0:3], 0 offset:340
	v_fmac_f32_e32 v50, v45, v103
	v_add_f32_e32 v1, v1, v50
	s_waitcnt vmcnt(34) lgkmcnt(0)
	v_mul_f32_e32 v50, v46, v106
	buffer_load_dword v236, off, s[0:3], 0 offset:344
	buffer_load_dword v237, off, s[0:3], 0 offset:348
	v_fmac_f32_e32 v50, v47, v105
	v_add_f32_e32 v1, v1, v50
	ds_read2_b64 v[50:53], v60 offset0:89 offset1:90
	buffer_load_dword v238, off, s[0:3], 0 offset:352
	buffer_load_dword v239, off, s[0:3], 0 offset:356
	s_waitcnt vmcnt(36)
	v_mul_f32_e32 v54, v48, v160
	buffer_load_dword v240, off, s[0:3], 0 offset:360
	buffer_load_dword v241, off, s[0:3], 0 offset:364
	v_fmac_f32_e32 v54, v49, v158
	v_add_f32_e32 v1, v1, v54
	ds_read2_b64 v[54:57], v60 offset0:91 offset1:92
	buffer_load_dword v242, off, s[0:3], 0 offset:368
	buffer_load_dword v243, off, s[0:3], 0 offset:372
	;; [unrolled: 1-line block ×16, first 2 shown]
	ds_read2_b64 v[110:113], v60 offset0:93 offset1:94
	ds_read2_b64 v[114:117], v60 offset0:95 offset1:96
	;; [unrolled: 1-line block ×10, first 2 shown]
	s_waitcnt vmcnt(52) lgkmcnt(11)
	v_mul_f32_e32 v107, v50, v179
	v_fmac_f32_e32 v107, v51, v178
	v_add_f32_e32 v1, v1, v107
	ds_read2_b64 v[150:153], v60 offset0:113 offset1:114
	ds_read2_b64 v[154:157], v60 offset0:115 offset1:116
	v_mul_f32_e32 v19, v19, v67
	v_fma_f32 v18, v18, v78, -v19
	v_mul_f32_e32 v15, v15, v63
	v_fma_f32 v14, v14, v80, -v15
	s_waitcnt vmcnt(50)
	v_mul_f32_e32 v107, v52, v181
	v_fmac_f32_e32 v107, v53, v180
	v_add_f32_e32 v1, v1, v107
	v_mul_f32_e32 v11, v11, v62
	s_waitcnt vmcnt(48) lgkmcnt(12)
	v_mul_f32_e32 v107, v54, v183
	v_fmac_f32_e32 v107, v55, v182
	v_add_f32_e32 v1, v1, v107
	v_fma_f32 v10, v10, v75, -v11
	v_mul_f32_e32 v7, v7, v69
	v_fma_f32 v6, v6, v76, -v7
	v_mul_f32_e32 v3, v3, v71
	s_waitcnt vmcnt(46)
	v_mul_f32_e32 v107, v56, v185
	v_fmac_f32_e32 v107, v57, v184
	v_add_f32_e32 v1, v1, v107
	s_waitcnt vmcnt(44) lgkmcnt(11)
	v_mul_f32_e32 v107, v110, v187
	v_fmac_f32_e32 v107, v111, v186
	v_add_f32_e32 v1, v1, v107
	s_waitcnt vmcnt(42)
	v_mul_f32_e32 v107, v112, v189
	v_fmac_f32_e32 v107, v113, v188
	v_add_f32_e32 v1, v1, v107
	v_fma_f32 v2, v2, v73, -v3
	s_waitcnt vmcnt(40) lgkmcnt(10)
	v_mul_f32_e32 v107, v114, v191
	v_fmac_f32_e32 v107, v115, v190
	v_add_f32_e32 v1, v1, v107
	buffer_load_dword v163, off, s[0:3], 0 offset:460
	buffer_load_dword v162, off, s[0:3], 0 offset:456
	;; [unrolled: 1-line block ×16, first 2 shown]
	s_waitcnt vmcnt(54)
	v_mul_f32_e32 v107, v116, v193
	v_fmac_f32_e32 v107, v117, v192
	v_add_f32_e32 v1, v1, v107
	s_waitcnt vmcnt(52) lgkmcnt(9)
	v_mul_f32_e32 v107, v118, v195
	v_fmac_f32_e32 v107, v119, v194
	v_add_f32_e32 v1, v1, v107
	s_waitcnt vmcnt(50)
	v_mul_f32_e32 v107, v120, v197
	v_fmac_f32_e32 v107, v121, v196
	v_add_f32_e32 v1, v1, v107
	s_waitcnt vmcnt(48) lgkmcnt(8)
	v_mul_f32_e32 v107, v122, v199
	v_fmac_f32_e32 v107, v123, v198
	v_add_f32_e32 v1, v1, v107
	s_waitcnt vmcnt(46)
	v_mul_f32_e32 v107, v124, v201
	v_fmac_f32_e32 v107, v125, v200
	v_add_f32_e32 v1, v1, v107
	s_waitcnt vmcnt(44) lgkmcnt(7)
	v_mul_f32_e32 v107, v126, v203
	v_fmac_f32_e32 v107, v127, v202
	v_add_f32_e32 v1, v1, v107
	s_waitcnt vmcnt(42)
	v_mul_f32_e32 v107, v128, v205
	v_fmac_f32_e32 v107, v129, v204
	v_add_f32_e32 v1, v1, v107
	s_waitcnt vmcnt(40) lgkmcnt(6)
	v_mul_f32_e32 v107, v130, v233
	v_fmac_f32_e32 v107, v131, v232
	v_add_f32_e32 v1, v1, v107
	s_waitcnt vmcnt(38)
	v_mul_f32_e32 v107, v132, v235
	v_fmac_f32_e32 v107, v133, v234
	v_add_f32_e32 v1, v1, v107
	s_waitcnt vmcnt(36) lgkmcnt(5)
	v_mul_f32_e32 v107, v134, v237
	v_fmac_f32_e32 v107, v135, v236
	v_add_f32_e32 v1, v1, v107
	s_waitcnt vmcnt(34)
	v_mul_f32_e32 v107, v136, v239
	v_fmac_f32_e32 v107, v137, v238
	v_add_f32_e32 v1, v1, v107
	s_waitcnt vmcnt(32) lgkmcnt(4)
	v_mul_f32_e32 v107, v138, v241
	v_fmac_f32_e32 v107, v139, v240
	v_add_f32_e32 v1, v1, v107
	s_waitcnt vmcnt(30)
	v_mul_f32_e32 v107, v140, v243
	v_fmac_f32_e32 v107, v141, v242
	v_add_f32_e32 v1, v1, v107
	s_waitcnt vmcnt(28) lgkmcnt(3)
	v_mul_f32_e32 v107, v142, v245
	v_fmac_f32_e32 v107, v143, v244
	v_add_f32_e32 v1, v1, v107
	s_waitcnt vmcnt(26)
	v_mul_f32_e32 v107, v144, v247
	v_fmac_f32_e32 v107, v145, v246
	v_add_f32_e32 v1, v1, v107
	s_waitcnt vmcnt(24) lgkmcnt(2)
	v_mul_f32_e32 v107, v146, v249
	v_fmac_f32_e32 v107, v147, v248
	v_add_f32_e32 v1, v1, v107
	s_waitcnt vmcnt(22)
	v_mul_f32_e32 v107, v148, v251
	v_fmac_f32_e32 v107, v149, v250
	v_add_f32_e32 v1, v1, v107
	s_waitcnt vmcnt(20) lgkmcnt(1)
	v_mul_f32_e32 v107, v150, v253
	v_fmac_f32_e32 v107, v151, v252
	v_add_f32_e32 v107, v1, v107
	v_mul_f32_e32 v1, v23, v66
	v_fma_f32 v1, v22, v84, -v1
	v_mul_f32_e32 v22, v25, v65
	v_add_f32_e32 v1, 0, v1
	v_fma_f32 v22, v24, v81, -v22
	v_add_f32_e32 v1, v1, v22
	v_add_f32_e32 v1, v1, v18
	v_mul_f32_e32 v18, v21, v64
	v_fma_f32 v18, v20, v83, -v18
	v_add_f32_e32 v1, v1, v18
	v_add_f32_e32 v1, v1, v14
	v_mul_f32_e32 v14, v17, v61
	;; [unrolled: 4-line block ×5, first 2 shown]
	v_fma_f32 v2, v4, v92, -v2
	v_add_f32_e32 v1, v1, v2
	v_mul_f32_e32 v2, v27, v91
	v_fma_f32 v2, v26, v87, -v2
	v_add_f32_e32 v1, v1, v2
	v_mul_f32_e32 v2, v29, v89
	;; [unrolled: 3-line block ×37, first 2 shown]
	v_fma_f32 v2, v150, v252, -v2
	s_waitcnt vmcnt(9)
	v_mov_b32_e32 v18, v169
	v_mul_f32_e32 v159, v152, v255
	v_add_f32_e32 v106, v1, v2
	v_mul_f32_e32 v1, v153, v255
	s_waitcnt lgkmcnt(0)
	v_pk_mul_f32 v[18:19], v[156:157], v[18:19] op_sel_hi:[1,0]
	v_fmac_f32_e32 v159, v153, v254
	v_mul_f32_e32 v161, v154, v207
	v_fma_f32 v158, v152, v254, -v1
	v_mul_f32_e32 v1, v155, v207
	ds_read2_b64 v[2:5], v60 offset0:117 offset1:118
	ds_read2_b64 v[6:9], v60 offset0:119 offset1:120
	;; [unrolled: 1-line block ×3, first 2 shown]
	ds_read_b64 v[14:15], v60 offset:984
	s_waitcnt vmcnt(8)
	v_pk_fma_f32 v[20:21], v[156:157], v[168:169], v[18:19] op_sel:[0,0,1] op_sel_hi:[1,1,0] neg_lo:[0,0,1] neg_hi:[0,0,1]
	v_pk_fma_f32 v[18:19], v[156:157], v[168:169], v[18:19] op_sel:[0,0,1] op_sel_hi:[1,0,0]
	v_fmac_f32_e32 v161, v155, v206
	v_fma_f32 v160, v154, v206, -v1
	v_pk_add_f32 v[16:17], v[106:107], v[158:159]
	v_mov_b32_e32 v18, v167
	v_pk_add_f32 v[16:17], v[16:17], v[160:161]
	v_mov_b32_e32 v21, v19
	s_waitcnt lgkmcnt(3)
	v_pk_mul_f32 v[18:19], v[2:3], v[18:19] op_sel_hi:[1,0]
	v_pk_add_f32 v[16:17], v[16:17], v[20:21]
	v_pk_fma_f32 v[20:21], v[2:3], v[166:167], v[18:19] op_sel:[0,0,1] op_sel_hi:[1,1,0] neg_lo:[0,0,1] neg_hi:[0,0,1]
	v_pk_fma_f32 v[2:3], v[2:3], v[166:167], v[18:19] op_sel:[0,0,1] op_sel_hi:[1,0,0]
	v_mov_b32_e32 v21, v3
	v_pk_add_f32 v[2:3], v[16:17], v[20:21]
	v_mov_b32_e32 v16, v165
	v_pk_mul_f32 v[16:17], v[4:5], v[16:17] op_sel_hi:[1,0]
	v_pk_fma_f32 v[18:19], v[4:5], v[164:165], v[16:17] op_sel:[0,0,1] op_sel_hi:[1,1,0] neg_lo:[0,0,1] neg_hi:[0,0,1]
	v_pk_fma_f32 v[4:5], v[4:5], v[164:165], v[16:17] op_sel:[0,0,1] op_sel_hi:[1,0,0]
	v_mov_b32_e32 v4, v163
	v_mov_b32_e32 v19, v5
	s_waitcnt lgkmcnt(2)
	v_pk_mul_f32 v[4:5], v[6:7], v[4:5] op_sel_hi:[1,0]
	v_pk_fma_f32 v[16:17], v[6:7], v[162:163], v[4:5] op_sel:[0,0,1] op_sel_hi:[1,1,0] neg_lo:[0,0,1] neg_hi:[0,0,1]
	v_pk_fma_f32 v[4:5], v[6:7], v[162:163], v[4:5] op_sel:[0,0,1] op_sel_hi:[1,0,0]
	s_waitcnt vmcnt(1)
	v_mov_b32_e32 v4, v177
	v_mov_b32_e32 v17, v5
	v_pk_mul_f32 v[4:5], v[8:9], v[4:5] op_sel_hi:[1,0]
	s_waitcnt vmcnt(0)
	v_pk_fma_f32 v[6:7], v[8:9], v[176:177], v[4:5] op_sel:[0,0,1] op_sel_hi:[1,1,0] neg_lo:[0,0,1] neg_hi:[0,0,1]
	v_pk_fma_f32 v[4:5], v[8:9], v[176:177], v[4:5] op_sel:[0,0,1] op_sel_hi:[1,0,0]
	v_pk_add_f32 v[2:3], v[2:3], v[18:19]
	v_mov_b32_e32 v4, v175
	v_pk_add_f32 v[2:3], v[2:3], v[16:17]
	v_mov_b32_e32 v7, v5
	s_waitcnt lgkmcnt(1)
	v_pk_mul_f32 v[4:5], v[10:11], v[4:5] op_sel_hi:[1,0]
	v_pk_add_f32 v[2:3], v[2:3], v[6:7]
	v_pk_fma_f32 v[6:7], v[10:11], v[174:175], v[4:5] op_sel:[0,0,1] op_sel_hi:[1,1,0] neg_lo:[0,0,1] neg_hi:[0,0,1]
	v_pk_fma_f32 v[4:5], v[10:11], v[174:175], v[4:5] op_sel:[0,0,1] op_sel_hi:[1,0,0]
	v_mov_b32_e32 v4, v173
	v_mov_b32_e32 v7, v5
	v_pk_mul_f32 v[4:5], v[12:13], v[4:5] op_sel_hi:[1,0]
	v_pk_add_f32 v[2:3], v[2:3], v[6:7]
	v_pk_fma_f32 v[6:7], v[12:13], v[172:173], v[4:5] op_sel:[0,0,1] op_sel_hi:[1,1,0] neg_lo:[0,0,1] neg_hi:[0,0,1]
	v_pk_fma_f32 v[4:5], v[12:13], v[172:173], v[4:5] op_sel:[0,0,1] op_sel_hi:[1,0,0]
	v_mov_b32_e32 v4, v171
	v_mov_b32_e32 v7, v5
	s_waitcnt lgkmcnt(0)
	v_pk_mul_f32 v[4:5], v[14:15], v[4:5] op_sel_hi:[1,0]
	v_pk_add_f32 v[2:3], v[2:3], v[6:7]
	v_pk_fma_f32 v[6:7], v[14:15], v[170:171], v[4:5] op_sel:[0,0,1] op_sel_hi:[1,1,0] neg_lo:[0,0,1] neg_hi:[0,0,1]
	v_pk_fma_f32 v[4:5], v[14:15], v[170:171], v[4:5] op_sel:[0,0,1] op_sel_hi:[1,0,0]
	v_mov_b32_e32 v7, v5
	v_pk_add_f32 v[2:3], v[2:3], v[6:7]
	v_pk_add_f32 v[2:3], v[58:59], v[2:3] neg_lo:[0,1] neg_hi:[0,1]
	buffer_store_dword v3, off, s[0:3], 0 offset:20
	buffer_store_dword v2, off, s[0:3], 0 offset:16
	s_and_saveexec_b64 s[4:5], vcc
	s_cbranch_execz .LBB125_383
; %bb.382:
	buffer_load_dword v2, off, s[0:3], 0 offset:8
	buffer_load_dword v3, off, s[0:3], 0 offset:12
	s_waitcnt vmcnt(0)
	ds_write_b64 v210, v[2:3]
	buffer_store_dword v60, off, s[0:3], 0 offset:8
	buffer_store_dword v60, off, s[0:3], 0 offset:12
.LBB125_383:
	s_or_b64 exec, exec, s[4:5]
	s_waitcnt lgkmcnt(0)
	; wave barrier
	s_waitcnt lgkmcnt(0)
	buffer_load_dword v66, off, s[0:3], 0 offset:20
	buffer_load_dword v65, off, s[0:3], 0 offset:28
	;; [unrolled: 1-line block ×40, first 2 shown]
	ds_read_b128 v[26:29], v60 offset:512
	ds_read_b128 v[22:25], v60 offset:528
	ds_read_b128 v[18:21], v60 offset:544
	ds_read_b128 v[14:17], v60 offset:560
	ds_read_b128 v[10:13], v60 offset:576
	ds_read_b128 v[6:9], v60 offset:592
	ds_read_b128 v[2:5], v60 offset:608
	buffer_load_dword v99, off, s[0:3], 0 offset:168
	buffer_load_dword v100, off, s[0:3], 0 offset:172
	;; [unrolled: 1-line block ×12, first 2 shown]
	v_cmp_ne_u32_e32 vcc, 0, v0
	s_waitcnt vmcnt(51) lgkmcnt(6)
	v_mul_f32_e32 v1, v26, v66
	s_waitcnt vmcnt(50)
	v_mul_f32_e32 v30, v28, v65
	s_waitcnt vmcnt(49) lgkmcnt(5)
	v_mul_f32_e32 v32, v24, v64
	s_waitcnt vmcnt(48) lgkmcnt(4)
	v_mul_f32_e32 v33, v18, v63
	s_waitcnt vmcnt(47)
	v_mul_f32_e32 v34, v20, v61
	s_waitcnt vmcnt(46)
	v_mul_f32_e32 v31, v22, v67
	s_waitcnt vmcnt(45) lgkmcnt(3)
	v_mul_f32_e32 v35, v14, v62
	s_waitcnt vmcnt(44)
	v_mul_f32_e32 v36, v16, v68
	s_waitcnt vmcnt(43) lgkmcnt(2)
	;; [unrolled: 4-line block ×3, first 2 shown]
	v_mul_f32_e32 v39, v6, v71
	s_waitcnt vmcnt(40)
	v_mul_f32_e32 v40, v8, v72
	s_waitcnt vmcnt(39)
	v_fmac_f32_e32 v31, v23, v78
	s_waitcnt vmcnt(38)
	v_fmac_f32_e32 v30, v29, v81
	;; [unrolled: 2-line block ×3, first 2 shown]
	v_add_f32_e32 v1, 0, v1
	v_add_f32_e32 v1, v1, v30
	;; [unrolled: 1-line block ×3, first 2 shown]
	s_waitcnt vmcnt(33)
	v_fmac_f32_e32 v32, v25, v83
	v_fmac_f32_e32 v33, v19, v80
	v_add_f32_e32 v1, v1, v32
	v_fmac_f32_e32 v34, v21, v77
	v_add_f32_e32 v1, v1, v33
	;; [unrolled: 2-line block ×3, first 2 shown]
	s_waitcnt vmcnt(29)
	v_fmac_f32_e32 v36, v17, v79
	v_add_f32_e32 v1, v1, v35
	v_fmac_f32_e32 v37, v11, v76
	v_add_f32_e32 v1, v1, v36
	;; [unrolled: 2-line block ×4, first 2 shown]
	ds_read_b128 v[30:33], v60 offset:624
	v_add_f32_e32 v1, v1, v39
	s_waitcnt vmcnt(25)
	v_fmac_f32_e32 v40, v9, v90
	s_waitcnt vmcnt(24) lgkmcnt(1)
	v_mul_f32_e32 v34, v2, v89
	v_add_f32_e32 v1, v1, v40
	v_fmac_f32_e32 v34, v3, v87
	v_add_f32_e32 v1, v1, v34
	s_waitcnt vmcnt(23)
	v_mul_f32_e32 v34, v4, v88
	v_fmac_f32_e32 v34, v5, v85
	v_add_f32_e32 v1, v1, v34
	s_waitcnt vmcnt(22) lgkmcnt(0)
	v_mul_f32_e32 v34, v30, v86
	buffer_load_dword v180, off, s[0:3], 0 offset:216
	buffer_load_dword v181, off, s[0:3], 0 offset:220
	v_fmac_f32_e32 v34, v31, v82
	buffer_load_dword v182, off, s[0:3], 0 offset:224
	buffer_load_dword v183, off, s[0:3], 0 offset:228
	v_add_f32_e32 v1, v1, v34
	ds_read_b128 v[34:37], v60 offset:640
	s_waitcnt vmcnt(19)
	v_mul_f32_e32 v38, v32, v98
	s_waitcnt vmcnt(18)
	v_fmac_f32_e32 v38, v33, v97
	buffer_load_dword v184, off, s[0:3], 0 offset:232
	buffer_load_dword v185, off, s[0:3], 0 offset:236
	v_add_f32_e32 v1, v1, v38
	ds_read_b128 v[38:41], v60 offset:656
	s_waitcnt lgkmcnt(1)
	v_mul_f32_e32 v42, v34, v92
	buffer_load_dword v186, off, s[0:3], 0 offset:240
	buffer_load_dword v187, off, s[0:3], 0 offset:244
	v_fmac_f32_e32 v42, v35, v91
	v_add_f32_e32 v1, v1, v42
	v_mul_f32_e32 v42, v36, v94
	buffer_load_dword v188, off, s[0:3], 0 offset:248
	buffer_load_dword v189, off, s[0:3], 0 offset:252
	v_fmac_f32_e32 v42, v37, v93
	v_add_f32_e32 v1, v1, v42
	s_waitcnt lgkmcnt(0)
	v_mul_f32_e32 v42, v38, v96
	buffer_load_dword v190, off, s[0:3], 0 offset:256
	buffer_load_dword v191, off, s[0:3], 0 offset:260
	v_fmac_f32_e32 v42, v39, v95
	v_add_f32_e32 v1, v1, v42
	s_waitcnt vmcnt(22)
	v_mul_f32_e32 v46, v40, v100
	ds_read_b128 v[42:45], v60 offset:672
	buffer_load_dword v192, off, s[0:3], 0 offset:264
	buffer_load_dword v193, off, s[0:3], 0 offset:268
	v_fmac_f32_e32 v46, v41, v99
	v_add_f32_e32 v1, v1, v46
	ds_read_b128 v[46:49], v60 offset:688
	buffer_load_dword v194, off, s[0:3], 0 offset:272
	buffer_load_dword v195, off, s[0:3], 0 offset:276
	;; [unrolled: 1-line block ×8, first 2 shown]
	s_waitcnt vmcnt(30) lgkmcnt(1)
	v_mul_f32_e32 v50, v42, v102
	buffer_load_dword v202, off, s[0:3], 0 offset:304
	buffer_load_dword v203, off, s[0:3], 0 offset:308
	v_fmac_f32_e32 v50, v43, v101
	v_add_f32_e32 v1, v1, v50
	s_waitcnt vmcnt(30)
	v_mul_f32_e32 v50, v44, v104
	buffer_load_dword v204, off, s[0:3], 0 offset:312
	buffer_load_dword v205, off, s[0:3], 0 offset:316
	v_fmac_f32_e32 v50, v45, v103
	v_add_f32_e32 v1, v1, v50
	s_waitcnt vmcnt(30) lgkmcnt(0)
	v_mul_f32_e32 v50, v46, v106
	buffer_load_dword v206, off, s[0:3], 0 offset:320
	buffer_load_dword v207, off, s[0:3], 0 offset:324
	v_fmac_f32_e32 v50, v47, v105
	v_add_f32_e32 v1, v1, v50
	s_waitcnt vmcnt(30)
	v_mul_f32_e32 v50, v48, v166
	buffer_load_dword v232, off, s[0:3], 0 offset:328
	buffer_load_dword v233, off, s[0:3], 0 offset:332
	v_fmac_f32_e32 v50, v49, v158
	v_add_f32_e32 v1, v1, v50
	ds_read_b128 v[50:53], v60 offset:704
	buffer_load_dword v234, off, s[0:3], 0 offset:336
	buffer_load_dword v235, off, s[0:3], 0 offset:340
	ds_read_b128 v[54:57], v60 offset:720
	buffer_load_dword v236, off, s[0:3], 0 offset:344
	buffer_load_dword v237, off, s[0:3], 0 offset:348
	;; [unrolled: 1-line block ×16, first 2 shown]
	ds_read_b128 v[110:113], v60 offset:736
	buffer_load_dword v252, off, s[0:3], 0 offset:408
	buffer_load_dword v253, off, s[0:3], 0 offset:412
	s_waitcnt vmcnt(50) lgkmcnt(2)
	v_mul_f32_e32 v107, v50, v179
	v_fmac_f32_e32 v107, v51, v178
	v_add_f32_e32 v1, v1, v107
	buffer_load_dword v254, off, s[0:3], 0 offset:416
	buffer_load_dword v255, off, s[0:3], 0 offset:420
	ds_read_b128 v[114:117], v60 offset:752
	buffer_load_dword v208, off, s[0:3], 0 offset:424
	buffer_load_dword v209, off, s[0:3], 0 offset:428
	ds_read_b128 v[118:121], v60 offset:768
	ds_read_b128 v[122:125], v60 offset:784
	;; [unrolled: 1-line block ×10, first 2 shown]
	v_mul_f32_e32 v23, v23, v67
	v_fma_f32 v22, v22, v78, -v23
	v_mul_f32_e32 v19, v19, v63
	s_waitcnt vmcnt(52)
	v_mul_f32_e32 v107, v52, v181
	v_fmac_f32_e32 v107, v53, v180
	v_add_f32_e32 v1, v1, v107
	s_waitcnt vmcnt(50) lgkmcnt(12)
	v_mul_f32_e32 v107, v54, v183
	v_fmac_f32_e32 v107, v55, v182
	v_add_f32_e32 v1, v1, v107
	v_fma_f32 v18, v18, v80, -v19
	s_waitcnt vmcnt(48)
	v_mul_f32_e32 v107, v56, v185
	v_fmac_f32_e32 v107, v57, v184
	v_add_f32_e32 v1, v1, v107
	v_mul_f32_e32 v15, v15, v62
	s_waitcnt vmcnt(46) lgkmcnt(11)
	v_mul_f32_e32 v107, v110, v187
	v_fmac_f32_e32 v107, v111, v186
	v_add_f32_e32 v1, v1, v107
	v_fma_f32 v14, v14, v75, -v15
	s_waitcnt vmcnt(44)
	v_mul_f32_e32 v107, v112, v189
	v_fmac_f32_e32 v107, v113, v188
	v_add_f32_e32 v1, v1, v107
	v_mul_f32_e32 v11, v11, v69
	s_waitcnt vmcnt(42) lgkmcnt(10)
	v_mul_f32_e32 v107, v114, v191
	v_fmac_f32_e32 v107, v115, v190
	v_add_f32_e32 v1, v1, v107
	v_fma_f32 v10, v10, v76, -v11
	v_mul_f32_e32 v7, v7, v71
	s_waitcnt vmcnt(40)
	v_mul_f32_e32 v107, v116, v193
	v_fmac_f32_e32 v107, v117, v192
	v_add_f32_e32 v1, v1, v107
	buffer_load_dword v161, off, s[0:3], 0 offset:452
	buffer_load_dword v160, off, s[0:3], 0 offset:448
	;; [unrolled: 1-line block ×6, first 2 shown]
	s_waitcnt vmcnt(44) lgkmcnt(9)
	v_mul_f32_e32 v107, v118, v195
	v_fmac_f32_e32 v107, v119, v194
	v_add_f32_e32 v1, v1, v107
	s_waitcnt vmcnt(42)
	v_mul_f32_e32 v107, v120, v197
	v_fmac_f32_e32 v107, v121, v196
	v_add_f32_e32 v1, v1, v107
	s_waitcnt vmcnt(40) lgkmcnt(8)
	v_mul_f32_e32 v107, v122, v199
	v_fmac_f32_e32 v107, v123, v198
	v_add_f32_e32 v1, v1, v107
	s_waitcnt vmcnt(38)
	v_mul_f32_e32 v107, v124, v201
	v_fmac_f32_e32 v107, v125, v200
	v_add_f32_e32 v1, v1, v107
	;; [unrolled: 8-line block ×9, first 2 shown]
	v_mul_f32_e32 v1, v27, v66
	v_fma_f32 v1, v26, v84, -v1
	v_mul_f32_e32 v26, v29, v65
	v_add_f32_e32 v1, 0, v1
	v_fma_f32 v26, v28, v81, -v26
	v_add_f32_e32 v1, v1, v26
	v_add_f32_e32 v1, v1, v22
	v_mul_f32_e32 v22, v25, v64
	v_fma_f32 v22, v24, v83, -v22
	v_add_f32_e32 v1, v1, v22
	v_add_f32_e32 v1, v1, v18
	v_mul_f32_e32 v18, v21, v61
	v_fma_f32 v18, v20, v77, -v18
	v_add_f32_e32 v1, v1, v18
	v_add_f32_e32 v1, v1, v14
	v_mul_f32_e32 v14, v17, v68
	v_fma_f32 v14, v16, v79, -v14
	v_add_f32_e32 v1, v1, v14
	v_add_f32_e32 v1, v1, v10
	v_mul_f32_e32 v10, v13, v70
	v_fma_f32 v10, v12, v74, -v10
	v_add_f32_e32 v1, v1, v10
	v_fma_f32 v6, v6, v73, -v7
	v_add_f32_e32 v1, v1, v6
	v_mul_f32_e32 v6, v9, v72
	v_fma_f32 v6, v8, v90, -v6
	v_mul_f32_e32 v3, v3, v89
	v_add_f32_e32 v1, v1, v6
	v_fma_f32 v2, v2, v87, -v3
	v_add_f32_e32 v1, v1, v2
	v_mul_f32_e32 v2, v5, v88
	v_fma_f32 v2, v4, v85, -v2
	v_add_f32_e32 v1, v1, v2
	v_mul_f32_e32 v2, v31, v86
	;; [unrolled: 3-line block ×4, first 2 shown]
	v_fma_f32 v2, v34, v91, -v2
	buffer_load_dword v169, off, s[0:3], 0 offset:484
	buffer_load_dword v168, off, s[0:3], 0 offset:480
	;; [unrolled: 1-line block ×10, first 2 shown]
	v_add_f32_e32 v1, v1, v2
	v_mul_f32_e32 v2, v37, v94
	v_fma_f32 v2, v36, v93, -v2
	v_add_f32_e32 v1, v1, v2
	v_mul_f32_e32 v2, v39, v96
	v_fma_f32 v2, v38, v95, -v2
	;; [unrolled: 3-line block ×33, first 2 shown]
	v_add_f32_e32 v106, v1, v2
	ds_read_b128 v[2:5], v60 offset:928
	ds_read_b128 v[6:9], v60 offset:944
	;; [unrolled: 1-line block ×4, first 2 shown]
	s_waitcnt vmcnt(18) lgkmcnt(4)
	v_mul_f32_e32 v159, v154, v255
	v_mul_f32_e32 v1, v155, v255
	s_waitcnt vmcnt(11)
	v_mov_b32_e32 v20, v165
	v_fmac_f32_e32 v159, v155, v254
	v_mul_f32_e32 v167, v156, v209
	v_fma_f32 v158, v154, v254, -v1
	v_mul_f32_e32 v1, v157, v209
	s_waitcnt lgkmcnt(3)
	v_pk_mul_f32 v[20:21], v[2:3], v[20:21] op_sel_hi:[1,0]
	v_fmac_f32_e32 v167, v157, v208
	v_fma_f32 v166, v156, v208, -v1
	v_pk_add_f32 v[18:19], v[106:107], v[158:159]
	s_waitcnt vmcnt(10)
	v_pk_fma_f32 v[22:23], v[2:3], v[164:165], v[20:21] op_sel:[0,0,1] op_sel_hi:[1,1,0] neg_lo:[0,0,1] neg_hi:[0,0,1]
	v_pk_fma_f32 v[2:3], v[2:3], v[164:165], v[20:21] op_sel:[0,0,1] op_sel_hi:[1,0,0]
	v_pk_add_f32 v[18:19], v[18:19], v[166:167]
	v_mov_b32_e32 v23, v3
	v_pk_add_f32 v[2:3], v[18:19], v[22:23]
	v_mov_b32_e32 v18, v163
	v_pk_mul_f32 v[18:19], v[4:5], v[18:19] op_sel_hi:[1,0]
	v_pk_fma_f32 v[20:21], v[4:5], v[162:163], v[18:19] op_sel:[0,0,1] op_sel_hi:[1,1,0] neg_lo:[0,0,1] neg_hi:[0,0,1]
	v_pk_fma_f32 v[4:5], v[4:5], v[162:163], v[18:19] op_sel:[0,0,1] op_sel_hi:[1,0,0]
	v_mov_b32_e32 v4, v161
	v_mov_b32_e32 v21, v5
	s_waitcnt lgkmcnt(2)
	v_pk_mul_f32 v[4:5], v[6:7], v[4:5] op_sel_hi:[1,0]
	v_pk_fma_f32 v[18:19], v[6:7], v[160:161], v[4:5] op_sel:[0,0,1] op_sel_hi:[1,1,0] neg_lo:[0,0,1] neg_hi:[0,0,1]
	v_pk_fma_f32 v[4:5], v[6:7], v[160:161], v[4:5] op_sel:[0,0,1] op_sel_hi:[1,0,0]
	s_waitcnt vmcnt(3)
	v_mov_b32_e32 v4, v175
	v_mov_b32_e32 v19, v5
	v_pk_mul_f32 v[4:5], v[8:9], v[4:5] op_sel_hi:[1,0]
	s_waitcnt vmcnt(2)
	v_pk_fma_f32 v[6:7], v[8:9], v[174:175], v[4:5] op_sel:[0,0,1] op_sel_hi:[1,1,0] neg_lo:[0,0,1] neg_hi:[0,0,1]
	v_pk_fma_f32 v[4:5], v[8:9], v[174:175], v[4:5] op_sel:[0,0,1] op_sel_hi:[1,0,0]
	v_pk_add_f32 v[2:3], v[2:3], v[20:21]
	v_mov_b32_e32 v4, v173
	v_pk_add_f32 v[2:3], v[2:3], v[18:19]
	v_mov_b32_e32 v7, v5
	s_waitcnt lgkmcnt(1)
	v_pk_mul_f32 v[4:5], v[10:11], v[4:5] op_sel_hi:[1,0]
	v_pk_add_f32 v[2:3], v[2:3], v[6:7]
	v_pk_fma_f32 v[6:7], v[10:11], v[172:173], v[4:5] op_sel:[0,0,1] op_sel_hi:[1,1,0] neg_lo:[0,0,1] neg_hi:[0,0,1]
	v_pk_fma_f32 v[4:5], v[10:11], v[172:173], v[4:5] op_sel:[0,0,1] op_sel_hi:[1,0,0]
	v_mov_b32_e32 v4, v171
	v_mov_b32_e32 v7, v5
	v_pk_mul_f32 v[4:5], v[12:13], v[4:5] op_sel_hi:[1,0]
	v_pk_add_f32 v[2:3], v[2:3], v[6:7]
	v_pk_fma_f32 v[6:7], v[12:13], v[170:171], v[4:5] op_sel:[0,0,1] op_sel_hi:[1,1,0] neg_lo:[0,0,1] neg_hi:[0,0,1]
	v_pk_fma_f32 v[4:5], v[12:13], v[170:171], v[4:5] op_sel:[0,0,1] op_sel_hi:[1,0,0]
	v_mov_b32_e32 v4, v169
	v_mov_b32_e32 v7, v5
	s_waitcnt lgkmcnt(0)
	v_pk_mul_f32 v[4:5], v[14:15], v[4:5] op_sel_hi:[1,0]
	v_pk_add_f32 v[2:3], v[2:3], v[6:7]
	v_pk_fma_f32 v[6:7], v[14:15], v[168:169], v[4:5] op_sel:[0,0,1] op_sel_hi:[1,1,0] neg_lo:[0,0,1] neg_hi:[0,0,1]
	v_pk_fma_f32 v[4:5], v[14:15], v[168:169], v[4:5] op_sel:[0,0,1] op_sel_hi:[1,0,0]
	s_waitcnt vmcnt(1)
	v_mov_b32_e32 v4, v177
	v_mov_b32_e32 v7, v5
	v_pk_mul_f32 v[4:5], v[16:17], v[4:5] op_sel_hi:[1,0]
	v_pk_add_f32 v[2:3], v[2:3], v[6:7]
	s_waitcnt vmcnt(0)
	v_pk_fma_f32 v[6:7], v[16:17], v[176:177], v[4:5] op_sel:[0,0,1] op_sel_hi:[1,1,0] neg_lo:[0,0,1] neg_hi:[0,0,1]
	v_pk_fma_f32 v[4:5], v[16:17], v[176:177], v[4:5] op_sel:[0,0,1] op_sel_hi:[1,0,0]
	v_mov_b32_e32 v7, v5
	v_pk_add_f32 v[2:3], v[2:3], v[6:7]
	v_pk_add_f32 v[2:3], v[58:59], v[2:3] neg_lo:[0,1] neg_hi:[0,1]
	buffer_store_dword v3, off, s[0:3], 0 offset:12
	buffer_store_dword v2, off, s[0:3], 0 offset:8
	s_and_saveexec_b64 s[4:5], vcc
	s_cbranch_execz .LBB125_385
; %bb.384:
	buffer_load_dword v2, off, s[0:3], 0
	buffer_load_dword v3, off, s[0:3], 0 offset:4
	v_mov_b32_e32 v0, 0
	buffer_store_dword v0, off, s[0:3], 0
	buffer_store_dword v0, off, s[0:3], 0 offset:4
	s_waitcnt vmcnt(2)
	ds_write_b64 v210, v[2:3]
.LBB125_385:
	s_or_b64 exec, exec, s[4:5]
	v_mov_b32_e32 v110, 0
	s_waitcnt lgkmcnt(0)
	; wave barrier
	s_waitcnt lgkmcnt(0)
	ds_read2_b64 v[0:3], v110 offset0:63 offset1:64
	buffer_load_dword v232, off, s[0:3], 0
	buffer_load_dword v233, off, s[0:3], 0 offset:4
	buffer_load_dword v111, off, s[0:3], 0 offset:8
	;; [unrolled: 1-line block ×15, first 2 shown]
	s_and_b64 vcc, exec, s[16:17]
	s_waitcnt vmcnt(12) lgkmcnt(0)
	v_mul_f32_e32 v4, v0, v240
	v_fmac_f32_e32 v4, v1, v111
	s_waitcnt vmcnt(10)
	v_mul_f32_e32 v5, v2, v113
	v_add_f32_e32 v4, 0, v4
	v_fmac_f32_e32 v5, v3, v234
	v_add_f32_e32 v8, v4, v5
	ds_read2_b64 v[4:7], v110 offset0:65 offset1:66
	v_mul_f32_e32 v1, v1, v240
	v_fma_f32 v0, v0, v111, -v1
	v_mul_f32_e32 v1, v3, v113
	v_add_f32_e32 v0, 0, v0
	s_waitcnt vmcnt(8) lgkmcnt(0)
	v_mul_f32_e32 v9, v4, v115
	v_fmac_f32_e32 v9, v5, v236
	v_add_f32_e32 v8, v8, v9
	s_waitcnt vmcnt(6)
	v_mul_f32_e32 v9, v6, v117
	v_fmac_f32_e32 v9, v7, v112
	v_add_f32_e32 v12, v8, v9
	ds_read2_b64 v[8:11], v110 offset0:67 offset1:68
	v_fma_f32 v1, v2, v234, -v1
	v_add_f32_e32 v0, v0, v1
	v_mul_f32_e32 v1, v5, v115
	v_fma_f32 v1, v4, v236, -v1
	s_waitcnt vmcnt(4) lgkmcnt(0)
	v_mul_f32_e32 v13, v8, v119
	v_fmac_f32_e32 v13, v9, v114
	v_add_f32_e32 v12, v12, v13
	s_waitcnt vmcnt(2)
	v_mul_f32_e32 v13, v10, v120
	v_fmac_f32_e32 v13, v11, v116
	v_add_f32_e32 v16, v12, v13
	ds_read2_b64 v[12:15], v110 offset0:69 offset1:70
	buffer_load_dword v122, off, s[0:3], 0 offset:64
	buffer_load_dword v123, off, s[0:3], 0 offset:68
	v_add_f32_e32 v0, v0, v1
	v_mul_f32_e32 v1, v7, v117
	v_fma_f32 v1, v6, v112, -v1
	s_waitcnt vmcnt(2) lgkmcnt(0)
	v_mul_f32_e32 v17, v12, v121
	v_fmac_f32_e32 v17, v13, v118
	v_add_f32_e32 v16, v16, v17
	v_add_f32_e32 v0, v0, v1
	v_mul_f32_e32 v1, v9, v119
	v_fma_f32 v1, v8, v114, -v1
	v_add_f32_e32 v0, v0, v1
	v_mul_f32_e32 v1, v11, v120
	v_fma_f32 v1, v10, v116, -v1
	;; [unrolled: 3-line block ×3, first 2 shown]
	v_add_f32_e32 v0, v0, v1
	s_waitcnt vmcnt(0)
	v_mul_f32_e32 v17, v14, v123
	v_fmac_f32_e32 v17, v15, v122
	v_add_f32_e32 v20, v16, v17
	ds_read2_b64 v[16:19], v110 offset0:71 offset1:72
	buffer_load_dword v124, off, s[0:3], 0 offset:72
	buffer_load_dword v125, off, s[0:3], 0 offset:76
	;; [unrolled: 1-line block ×4, first 2 shown]
	v_mul_f32_e32 v1, v15, v123
	v_fma_f32 v1, v14, v122, -v1
	v_add_f32_e32 v0, v0, v1
	s_waitcnt vmcnt(2) lgkmcnt(0)
	v_mul_f32_e32 v21, v16, v125
	v_fmac_f32_e32 v21, v17, v124
	v_add_f32_e32 v20, v20, v21
	s_waitcnt vmcnt(0)
	v_mul_f32_e32 v21, v18, v127
	v_fmac_f32_e32 v21, v19, v126
	v_add_f32_e32 v24, v20, v21
	ds_read2_b64 v[20:23], v110 offset0:73 offset1:74
	buffer_load_dword v128, off, s[0:3], 0 offset:88
	buffer_load_dword v129, off, s[0:3], 0 offset:92
	buffer_load_dword v130, off, s[0:3], 0 offset:96
	buffer_load_dword v131, off, s[0:3], 0 offset:100
	v_mul_f32_e32 v1, v17, v125
	v_fma_f32 v1, v16, v124, -v1
	v_add_f32_e32 v0, v0, v1
	v_mul_f32_e32 v1, v19, v127
	v_fma_f32 v1, v18, v126, -v1
	v_add_f32_e32 v0, v0, v1
	s_waitcnt vmcnt(2) lgkmcnt(0)
	v_mul_f32_e32 v25, v20, v129
	v_fmac_f32_e32 v25, v21, v128
	v_add_f32_e32 v24, v24, v25
	s_waitcnt vmcnt(0)
	v_mul_f32_e32 v25, v22, v131
	v_fmac_f32_e32 v25, v23, v130
	v_add_f32_e32 v28, v24, v25
	ds_read2_b64 v[24:27], v110 offset0:75 offset1:76
	buffer_load_dword v132, off, s[0:3], 0 offset:104
	buffer_load_dword v133, off, s[0:3], 0 offset:108
	buffer_load_dword v134, off, s[0:3], 0 offset:112
	buffer_load_dword v135, off, s[0:3], 0 offset:116
	v_mul_f32_e32 v1, v21, v129
	v_fma_f32 v1, v20, v128, -v1
	v_add_f32_e32 v0, v0, v1
	;; [unrolled: 19-line block ×7, first 2 shown]
	v_mul_f32_e32 v1, v43, v151
	v_fma_f32 v1, v42, v150, -v1
	v_add_f32_e32 v0, v0, v1
	s_waitcnt vmcnt(2) lgkmcnt(0)
	v_mul_f32_e32 v49, v44, v153
	v_fmac_f32_e32 v49, v45, v152
	v_add_f32_e32 v48, v48, v49
	s_waitcnt vmcnt(0)
	v_mul_f32_e32 v49, v46, v155
	v_fmac_f32_e32 v49, v47, v154
	v_add_f32_e32 v52, v48, v49
	ds_read2_b64 v[48:51], v110 offset0:87 offset1:88
	buffer_load_dword v156, off, s[0:3], 0 offset:200
	buffer_load_dword v157, off, s[0:3], 0 offset:204
	buffer_load_dword v158, off, s[0:3], 0 offset:208
	buffer_load_dword v159, off, s[0:3], 0 offset:212
	ds_read2_b64 v[56:59], v110 offset0:89 offset1:90
	buffer_load_dword v160, off, s[0:3], 0 offset:216
	buffer_load_dword v161, off, s[0:3], 0 offset:220
	buffer_load_dword v162, off, s[0:3], 0 offset:224
	buffer_load_dword v163, off, s[0:3], 0 offset:228
	;; [unrolled: 5-line block ×14, first 2 shown]
	v_mul_f32_e32 v1, v45, v153
	v_fma_f32 v1, v44, v152, -v1
	v_add_f32_e32 v0, v0, v1
	v_mul_f32_e32 v1, v47, v155
	v_fma_f32 v1, v46, v154, -v1
	v_add_f32_e32 v0, v0, v1
	s_waitcnt vmcnt(54) lgkmcnt(13)
	v_mul_f32_e32 v53, v48, v157
	v_fmac_f32_e32 v53, v49, v156
	v_add_f32_e32 v52, v52, v53
	s_waitcnt vmcnt(52)
	v_mul_f32_e32 v53, v50, v159
	v_fmac_f32_e32 v53, v51, v158
	v_add_f32_e32 v52, v52, v53
	s_waitcnt vmcnt(50) lgkmcnt(12)
	v_mul_f32_e32 v53, v56, v161
	v_fmac_f32_e32 v53, v57, v160
	v_add_f32_e32 v52, v52, v53
	s_waitcnt vmcnt(48)
	v_mul_f32_e32 v53, v58, v163
	v_fmac_f32_e32 v53, v59, v162
	;; [unrolled: 8-line block ×13, first 2 shown]
	v_add_f32_e32 v52, v52, v53
	s_waitcnt vmcnt(2) lgkmcnt(0)
	v_mul_f32_e32 v53, v104, v209
	v_fmac_f32_e32 v53, v105, v208
	v_add_f32_e32 v235, v52, v53
	ds_read2_b64 v[52:55], v110 offset0:115 offset1:116
	buffer_load_dword v212, off, s[0:3], 0 offset:424
	buffer_load_dword v213, off, s[0:3], 0 offset:428
	buffer_load_dword v239, off, s[0:3], 0 offset:436
	buffer_load_dword v238, off, s[0:3], 0 offset:432
	buffer_load_dword v255, off, s[0:3], 0 offset:444
	buffer_load_dword v254, off, s[0:3], 0 offset:440
	buffer_load_dword v253, off, s[0:3], 0 offset:452
	buffer_load_dword v252, off, s[0:3], 0 offset:448
	buffer_load_dword v251, off, s[0:3], 0 offset:460
	buffer_load_dword v250, off, s[0:3], 0 offset:456
	buffer_load_dword v249, off, s[0:3], 0 offset:468
	buffer_load_dword v248, off, s[0:3], 0 offset:464
	buffer_load_dword v247, off, s[0:3], 0 offset:476
	buffer_load_dword v246, off, s[0:3], 0 offset:472
	buffer_load_dword v245, off, s[0:3], 0 offset:484
	buffer_load_dword v244, off, s[0:3], 0 offset:480
	buffer_load_dword v243, off, s[0:3], 0 offset:492
	buffer_load_dword v242, off, s[0:3], 0 offset:488
	v_mul_f32_e32 v1, v49, v157
	v_fma_f32 v1, v48, v156, -v1
	v_add_f32_e32 v0, v0, v1
	v_mul_f32_e32 v1, v51, v159
	v_fma_f32 v1, v50, v158, -v1
	v_add_f32_e32 v0, v0, v1
	;; [unrolled: 3-line block ×27, first 2 shown]
	s_waitcnt vmcnt(18)
	v_mul_f32_e32 v0, v107, v211
	s_waitcnt vmcnt(15)
	v_mov_b32_e32 v16, v239
	v_mul_f32_e32 v237, v106, v211
	v_fma_f32 v236, v106, v210, -v0
	s_waitcnt lgkmcnt(0)
	v_mul_f32_e32 v0, v53, v213
	v_pk_mul_f32 v[16:17], v[54:55], v[16:17] op_sel_hi:[1,0]
	v_fmac_f32_e32 v237, v107, v210
	v_mul_f32_e32 v241, v52, v213
	v_fma_f32 v240, v52, v212, -v0
	ds_read2_b64 v[0:3], v110 offset0:117 offset1:118
	ds_read2_b64 v[4:7], v110 offset0:119 offset1:120
	;; [unrolled: 1-line block ×3, first 2 shown]
	ds_read_b64 v[12:13], v110 offset:984
	s_waitcnt vmcnt(14)
	v_pk_fma_f32 v[18:19], v[54:55], v[238:239], v[16:17] op_sel:[0,0,1] op_sel_hi:[1,1,0] neg_lo:[0,0,1] neg_hi:[0,0,1]
	v_pk_fma_f32 v[16:17], v[54:55], v[238:239], v[16:17] op_sel:[0,0,1] op_sel_hi:[1,0,0]
	v_fmac_f32_e32 v241, v53, v212
	v_pk_add_f32 v[14:15], v[234:235], v[236:237]
	s_waitcnt vmcnt(13)
	v_mov_b32_e32 v16, v255
	v_pk_add_f32 v[14:15], v[14:15], v[240:241]
	v_mov_b32_e32 v19, v17
	s_waitcnt lgkmcnt(3)
	v_pk_mul_f32 v[16:17], v[0:1], v[16:17] op_sel_hi:[1,0]
	v_pk_add_f32 v[14:15], v[14:15], v[18:19]
	s_waitcnt vmcnt(12)
	v_pk_fma_f32 v[18:19], v[0:1], v[254:255], v[16:17] op_sel:[0,0,1] op_sel_hi:[1,1,0] neg_lo:[0,0,1] neg_hi:[0,0,1]
	v_pk_fma_f32 v[0:1], v[0:1], v[254:255], v[16:17] op_sel:[0,0,1] op_sel_hi:[1,0,0]
	v_mov_b32_e32 v19, v1
	v_pk_add_f32 v[0:1], v[14:15], v[18:19]
	s_waitcnt vmcnt(11)
	v_mov_b32_e32 v14, v253
	v_pk_mul_f32 v[14:15], v[2:3], v[14:15] op_sel_hi:[1,0]
	s_waitcnt vmcnt(10)
	v_pk_fma_f32 v[16:17], v[2:3], v[252:253], v[14:15] op_sel:[0,0,1] op_sel_hi:[1,1,0] neg_lo:[0,0,1] neg_hi:[0,0,1]
	v_pk_fma_f32 v[2:3], v[2:3], v[252:253], v[14:15] op_sel:[0,0,1] op_sel_hi:[1,0,0]
	s_waitcnt vmcnt(9)
	v_mov_b32_e32 v2, v251
	v_mov_b32_e32 v17, v3
	s_waitcnt lgkmcnt(2)
	v_pk_mul_f32 v[2:3], v[4:5], v[2:3] op_sel_hi:[1,0]
	s_waitcnt vmcnt(8)
	v_pk_fma_f32 v[14:15], v[4:5], v[250:251], v[2:3] op_sel:[0,0,1] op_sel_hi:[1,1,0] neg_lo:[0,0,1] neg_hi:[0,0,1]
	v_pk_fma_f32 v[2:3], v[4:5], v[250:251], v[2:3] op_sel:[0,0,1] op_sel_hi:[1,0,0]
	s_waitcnt vmcnt(7)
	v_mov_b32_e32 v2, v249
	v_mov_b32_e32 v15, v3
	v_pk_mul_f32 v[2:3], v[6:7], v[2:3] op_sel_hi:[1,0]
	s_waitcnt vmcnt(6)
	v_pk_fma_f32 v[4:5], v[6:7], v[248:249], v[2:3] op_sel:[0,0,1] op_sel_hi:[1,1,0] neg_lo:[0,0,1] neg_hi:[0,0,1]
	v_pk_fma_f32 v[2:3], v[6:7], v[248:249], v[2:3] op_sel:[0,0,1] op_sel_hi:[1,0,0]
	v_pk_add_f32 v[0:1], v[0:1], v[16:17]
	s_waitcnt vmcnt(5)
	v_mov_b32_e32 v2, v247
	v_pk_add_f32 v[0:1], v[0:1], v[14:15]
	v_mov_b32_e32 v5, v3
	s_waitcnt lgkmcnt(1)
	v_pk_mul_f32 v[2:3], v[8:9], v[2:3] op_sel_hi:[1,0]
	v_pk_add_f32 v[0:1], v[0:1], v[4:5]
	s_waitcnt vmcnt(4)
	v_pk_fma_f32 v[4:5], v[8:9], v[246:247], v[2:3] op_sel:[0,0,1] op_sel_hi:[1,1,0] neg_lo:[0,0,1] neg_hi:[0,0,1]
	v_pk_fma_f32 v[2:3], v[8:9], v[246:247], v[2:3] op_sel:[0,0,1] op_sel_hi:[1,0,0]
	s_waitcnt vmcnt(3)
	v_mov_b32_e32 v2, v245
	v_mov_b32_e32 v5, v3
	v_pk_mul_f32 v[2:3], v[10:11], v[2:3] op_sel_hi:[1,0]
	v_pk_add_f32 v[0:1], v[0:1], v[4:5]
	s_waitcnt vmcnt(2)
	v_pk_fma_f32 v[4:5], v[10:11], v[244:245], v[2:3] op_sel:[0,0,1] op_sel_hi:[1,1,0] neg_lo:[0,0,1] neg_hi:[0,0,1]
	v_pk_fma_f32 v[2:3], v[10:11], v[244:245], v[2:3] op_sel:[0,0,1] op_sel_hi:[1,0,0]
	s_waitcnt vmcnt(1)
	v_mov_b32_e32 v2, v243
	v_mov_b32_e32 v5, v3
	s_waitcnt lgkmcnt(0)
	v_pk_mul_f32 v[2:3], v[12:13], v[2:3] op_sel_hi:[1,0]
	v_pk_add_f32 v[0:1], v[0:1], v[4:5]
	s_waitcnt vmcnt(0)
	v_pk_fma_f32 v[4:5], v[12:13], v[242:243], v[2:3] op_sel:[0,0,1] op_sel_hi:[1,1,0] neg_lo:[0,0,1] neg_hi:[0,0,1]
	v_pk_fma_f32 v[2:3], v[12:13], v[242:243], v[2:3] op_sel:[0,0,1] op_sel_hi:[1,0,0]
	v_mov_b32_e32 v5, v3
	v_pk_add_f32 v[0:1], v[0:1], v[4:5]
	v_pk_add_f32 v[0:1], v[232:233], v[0:1] neg_lo:[0,1] neg_hi:[0,1]
	buffer_store_dword v1, off, s[0:3], 0 offset:4
	buffer_store_dword v0, off, s[0:3], 0
	s_cbranch_vccz .LBB125_509
; %bb.386:
	v_pk_mov_b32 v[0:1], s[10:11], s[10:11] op_sel:[0,1]
	flat_load_dword v0, v[0:1] offset:240
	s_waitcnt vmcnt(0) lgkmcnt(0)
	v_add_u32_e32 v0, -1, v0
	v_cmp_ne_u32_e32 vcc, 60, v0
	s_and_saveexec_b64 s[4:5], vcc
	s_cbranch_execz .LBB125_388
; %bb.387:
	v_mov_b32_e32 v1, 0
	v_lshl_add_u32 v0, v0, 3, v1
	buffer_load_dword v1, v0, s[0:3], 0 offen
	buffer_load_dword v2, v0, s[0:3], 0 offen offset:4
	buffer_load_dword v3, off, s[0:3], 0 offset:484
	buffer_load_dword v4, off, s[0:3], 0 offset:480
	s_waitcnt vmcnt(3)
	buffer_store_dword v1, off, s[0:3], 0 offset:480
	s_waitcnt vmcnt(3)
	buffer_store_dword v2, off, s[0:3], 0 offset:484
	s_waitcnt vmcnt(3)
	buffer_store_dword v3, v0, s[0:3], 0 offen offset:4
	s_waitcnt vmcnt(3)
	buffer_store_dword v4, v0, s[0:3], 0 offen
.LBB125_388:
	s_or_b64 exec, exec, s[4:5]
	v_pk_mov_b32 v[0:1], s[10:11], s[10:11] op_sel:[0,1]
	flat_load_dword v0, v[0:1] offset:236
	s_waitcnt vmcnt(0) lgkmcnt(0)
	v_add_u32_e32 v0, -1, v0
	v_cmp_ne_u32_e32 vcc, 59, v0
	s_and_saveexec_b64 s[4:5], vcc
	s_cbranch_execz .LBB125_390
; %bb.389:
	v_mov_b32_e32 v1, 0
	v_lshl_add_u32 v0, v0, 3, v1
	buffer_load_dword v1, v0, s[0:3], 0 offen
	buffer_load_dword v2, v0, s[0:3], 0 offen offset:4
	buffer_load_dword v3, off, s[0:3], 0 offset:472
	buffer_load_dword v4, off, s[0:3], 0 offset:476
	s_waitcnt vmcnt(3)
	buffer_store_dword v1, off, s[0:3], 0 offset:472
	s_waitcnt vmcnt(3)
	buffer_store_dword v2, off, s[0:3], 0 offset:476
	s_waitcnt vmcnt(3)
	buffer_store_dword v3, v0, s[0:3], 0 offen
	s_waitcnt vmcnt(3)
	buffer_store_dword v4, v0, s[0:3], 0 offen offset:4
.LBB125_390:
	s_or_b64 exec, exec, s[4:5]
	v_pk_mov_b32 v[0:1], s[10:11], s[10:11] op_sel:[0,1]
	flat_load_dword v0, v[0:1] offset:232
	s_waitcnt vmcnt(0) lgkmcnt(0)
	v_add_u32_e32 v0, -1, v0
	v_cmp_ne_u32_e32 vcc, 58, v0
	s_and_saveexec_b64 s[4:5], vcc
	s_cbranch_execz .LBB125_392
; %bb.391:
	v_mov_b32_e32 v1, 0
	v_lshl_add_u32 v0, v0, 3, v1
	buffer_load_dword v1, v0, s[0:3], 0 offen
	buffer_load_dword v2, v0, s[0:3], 0 offen offset:4
	buffer_load_dword v3, off, s[0:3], 0 offset:468
	buffer_load_dword v4, off, s[0:3], 0 offset:464
	s_waitcnt vmcnt(3)
	buffer_store_dword v1, off, s[0:3], 0 offset:464
	s_waitcnt vmcnt(3)
	buffer_store_dword v2, off, s[0:3], 0 offset:468
	s_waitcnt vmcnt(3)
	buffer_store_dword v3, v0, s[0:3], 0 offen offset:4
	s_waitcnt vmcnt(3)
	buffer_store_dword v4, v0, s[0:3], 0 offen
.LBB125_392:
	s_or_b64 exec, exec, s[4:5]
	v_pk_mov_b32 v[0:1], s[10:11], s[10:11] op_sel:[0,1]
	flat_load_dword v0, v[0:1] offset:228
	s_waitcnt vmcnt(0) lgkmcnt(0)
	v_add_u32_e32 v0, -1, v0
	v_cmp_ne_u32_e32 vcc, 57, v0
	s_and_saveexec_b64 s[4:5], vcc
	s_cbranch_execz .LBB125_394
; %bb.393:
	v_mov_b32_e32 v1, 0
	v_lshl_add_u32 v0, v0, 3, v1
	buffer_load_dword v1, v0, s[0:3], 0 offen
	buffer_load_dword v2, v0, s[0:3], 0 offen offset:4
	buffer_load_dword v3, off, s[0:3], 0 offset:456
	buffer_load_dword v4, off, s[0:3], 0 offset:460
	s_waitcnt vmcnt(3)
	buffer_store_dword v1, off, s[0:3], 0 offset:456
	s_waitcnt vmcnt(3)
	buffer_store_dword v2, off, s[0:3], 0 offset:460
	s_waitcnt vmcnt(3)
	buffer_store_dword v3, v0, s[0:3], 0 offen
	s_waitcnt vmcnt(3)
	buffer_store_dword v4, v0, s[0:3], 0 offen offset:4
.LBB125_394:
	s_or_b64 exec, exec, s[4:5]
	;; [unrolled: 48-line block ×30, first 2 shown]
	v_pk_mov_b32 v[0:1], s[10:11], s[10:11] op_sel:[0,1]
	flat_load_dword v2, v[0:1]
	s_nop 0
	buffer_load_dword v0, off, s[0:3], 0
	buffer_load_dword v1, off, s[0:3], 0 offset:4
	s_waitcnt vmcnt(0) lgkmcnt(0)
	v_add_u32_e32 v2, -1, v2
	v_cmp_ne_u32_e32 vcc, 0, v2
	s_and_saveexec_b64 s[4:5], vcc
	s_cbranch_execz .LBB125_508
; %bb.507:
	v_mov_b32_e32 v3, 0
	v_lshl_add_u32 v2, v2, 3, v3
	buffer_load_dword v3, v2, s[0:3], 0 offen offset:4
	buffer_load_dword v4, v2, s[0:3], 0 offen
	s_waitcnt vmcnt(1)
	buffer_store_dword v3, off, s[0:3], 0 offset:4
	s_waitcnt vmcnt(1)
	buffer_store_dword v4, off, s[0:3], 0
	buffer_store_dword v1, v2, s[0:3], 0 offen offset:4
	buffer_store_dword v0, v2, s[0:3], 0 offen
	buffer_load_dword v0, off, s[0:3], 0
	s_nop 0
	buffer_load_dword v1, off, s[0:3], 0 offset:4
.LBB125_508:
	s_or_b64 exec, exec, s[4:5]
.LBB125_509:
	buffer_load_dword v2, off, s[0:3], 0 offset:8
	buffer_load_dword v3, off, s[0:3], 0 offset:12
	;; [unrolled: 1-line block ×122, first 2 shown]
	s_waitcnt vmcnt(62)
	global_store_dwordx2 v[108:109], v[0:1], off
	v_accvgpr_read_b32 v0, a0
	v_accvgpr_read_b32 v1, a1
	global_store_dwordx2 v[0:1], v[2:3], off
	v_accvgpr_read_b32 v0, a2
	v_accvgpr_read_b32 v1, a3
	;; [unrolled: 3-line block ×31, first 2 shown]
	s_waitcnt vmcnt(62)
	global_store_dwordx2 v[0:1], v[62:63], off
	v_accvgpr_read_b32 v0, a64
	v_accvgpr_read_b32 v1, a65
	global_store_dwordx2 v[0:1], v[64:65], off
	v_accvgpr_read_b32 v0, a66
	v_accvgpr_read_b32 v1, a67
	;; [unrolled: 3-line block ×15, first 2 shown]
	s_waitcnt vmcnt(62)
	global_store_dwordx2 v[0:1], v[92:93], off
	v_accvgpr_read_b32 v0, a94
	v_accvgpr_read_b32 v1, a95
	global_store_dwordx2 v[0:1], v[94:95], off
	v_accvgpr_read_b32 v0, a96
	v_accvgpr_read_b32 v1, a97
	;; [unrolled: 3-line block ×5, first 2 shown]
	global_store_dwordx2 v[0:1], v[102:103], off
	global_store_dwordx2 v[214:215], v[104:105], off
	global_store_dwordx2 v[216:217], v[106:107], off
	s_waitcnt vmcnt(62)
	global_store_dwordx2 v[218:219], v[110:111], off
	global_store_dwordx2 v[220:221], v[112:113], off
	;; [unrolled: 1-line block ×4, first 2 shown]
	s_waitcnt vmcnt(62)
	global_store_dwordx2 v[226:227], v[118:119], off
	global_store_dwordx2 v[228:229], v[120:121], off
	s_waitcnt vmcnt(62)
	global_store_dwordx2 v[230:231], v[122:123], off
	v_accvgpr_read_b32 v0, a40
	v_accvgpr_read_b32 v1, a41
	s_waitcnt vmcnt(61)
	global_store_dwordx2 v[0:1], v[124:125], off
	s_endpgm
	.section	.rodata,"a",@progbits
	.p2align	6, 0x0
	.amdhsa_kernel _ZN9rocsolver6v33100L18getri_kernel_smallILi62E19rocblas_complex_numIfEPKPS3_EEvT1_iilPiilS8_bb
		.amdhsa_group_segment_fixed_size 996
		.amdhsa_private_segment_fixed_size 512
		.amdhsa_kernarg_size 60
		.amdhsa_user_sgpr_count 8
		.amdhsa_user_sgpr_private_segment_buffer 1
		.amdhsa_user_sgpr_dispatch_ptr 0
		.amdhsa_user_sgpr_queue_ptr 0
		.amdhsa_user_sgpr_kernarg_segment_ptr 1
		.amdhsa_user_sgpr_dispatch_id 0
		.amdhsa_user_sgpr_flat_scratch_init 1
		.amdhsa_user_sgpr_kernarg_preload_length 0
		.amdhsa_user_sgpr_kernarg_preload_offset 0
		.amdhsa_user_sgpr_private_segment_size 0
		.amdhsa_uses_dynamic_stack 0
		.amdhsa_system_sgpr_private_segment_wavefront_offset 1
		.amdhsa_system_sgpr_workgroup_id_x 1
		.amdhsa_system_sgpr_workgroup_id_y 0
		.amdhsa_system_sgpr_workgroup_id_z 0
		.amdhsa_system_sgpr_workgroup_info 0
		.amdhsa_system_vgpr_workitem_id 0
		.amdhsa_next_free_vgpr 360
		.amdhsa_next_free_sgpr 22
		.amdhsa_accum_offset 256
		.amdhsa_reserve_vcc 1
		.amdhsa_reserve_flat_scratch 1
		.amdhsa_float_round_mode_32 0
		.amdhsa_float_round_mode_16_64 0
		.amdhsa_float_denorm_mode_32 3
		.amdhsa_float_denorm_mode_16_64 3
		.amdhsa_dx10_clamp 1
		.amdhsa_ieee_mode 1
		.amdhsa_fp16_overflow 0
		.amdhsa_tg_split 0
		.amdhsa_exception_fp_ieee_invalid_op 0
		.amdhsa_exception_fp_denorm_src 0
		.amdhsa_exception_fp_ieee_div_zero 0
		.amdhsa_exception_fp_ieee_overflow 0
		.amdhsa_exception_fp_ieee_underflow 0
		.amdhsa_exception_fp_ieee_inexact 0
		.amdhsa_exception_int_div_zero 0
	.end_amdhsa_kernel
	.section	.text._ZN9rocsolver6v33100L18getri_kernel_smallILi62E19rocblas_complex_numIfEPKPS3_EEvT1_iilPiilS8_bb,"axG",@progbits,_ZN9rocsolver6v33100L18getri_kernel_smallILi62E19rocblas_complex_numIfEPKPS3_EEvT1_iilPiilS8_bb,comdat
.Lfunc_end125:
	.size	_ZN9rocsolver6v33100L18getri_kernel_smallILi62E19rocblas_complex_numIfEPKPS3_EEvT1_iilPiilS8_bb, .Lfunc_end125-_ZN9rocsolver6v33100L18getri_kernel_smallILi62E19rocblas_complex_numIfEPKPS3_EEvT1_iilPiilS8_bb
                                        ; -- End function
	.section	.AMDGPU.csdata,"",@progbits
; Kernel info:
; codeLenInByte = 142396
; NumSgprs: 28
; NumVgprs: 256
; NumAgprs: 104
; TotalNumVgprs: 360
; ScratchSize: 512
; MemoryBound: 0
; FloatMode: 240
; IeeeMode: 1
; LDSByteSize: 996 bytes/workgroup (compile time only)
; SGPRBlocks: 3
; VGPRBlocks: 44
; NumSGPRsForWavesPerEU: 28
; NumVGPRsForWavesPerEU: 360
; AccumOffset: 256
; Occupancy: 1
; WaveLimiterHint : 1
; COMPUTE_PGM_RSRC2:SCRATCH_EN: 1
; COMPUTE_PGM_RSRC2:USER_SGPR: 8
; COMPUTE_PGM_RSRC2:TRAP_HANDLER: 0
; COMPUTE_PGM_RSRC2:TGID_X_EN: 1
; COMPUTE_PGM_RSRC2:TGID_Y_EN: 0
; COMPUTE_PGM_RSRC2:TGID_Z_EN: 0
; COMPUTE_PGM_RSRC2:TIDIG_COMP_CNT: 0
; COMPUTE_PGM_RSRC3_GFX90A:ACCUM_OFFSET: 63
; COMPUTE_PGM_RSRC3_GFX90A:TG_SPLIT: 0
	.section	.text._ZN9rocsolver6v33100L18getri_kernel_smallILi63E19rocblas_complex_numIfEPKPS3_EEvT1_iilPiilS8_bb,"axG",@progbits,_ZN9rocsolver6v33100L18getri_kernel_smallILi63E19rocblas_complex_numIfEPKPS3_EEvT1_iilPiilS8_bb,comdat
	.globl	_ZN9rocsolver6v33100L18getri_kernel_smallILi63E19rocblas_complex_numIfEPKPS3_EEvT1_iilPiilS8_bb ; -- Begin function _ZN9rocsolver6v33100L18getri_kernel_smallILi63E19rocblas_complex_numIfEPKPS3_EEvT1_iilPiilS8_bb
	.p2align	8
	.type	_ZN9rocsolver6v33100L18getri_kernel_smallILi63E19rocblas_complex_numIfEPKPS3_EEvT1_iilPiilS8_bb,@function
_ZN9rocsolver6v33100L18getri_kernel_smallILi63E19rocblas_complex_numIfEPKPS3_EEvT1_iilPiilS8_bb: ; @_ZN9rocsolver6v33100L18getri_kernel_smallILi63E19rocblas_complex_numIfEPKPS3_EEvT1_iilPiilS8_bb
; %bb.0:
	s_add_u32 flat_scratch_lo, s6, s9
	s_addc_u32 flat_scratch_hi, s7, 0
	s_add_u32 s0, s0, s9
	s_addc_u32 s1, s1, 0
	v_cmp_gt_u32_e32 vcc, 63, v0
	s_and_saveexec_b64 s[6:7], vcc
	s_cbranch_execz .LBB126_266
; %bb.1:
	s_load_dword s20, s[4:5], 0x38
	s_load_dwordx2 s[6:7], s[4:5], 0x0
	s_load_dwordx4 s[12:15], s[4:5], 0x28
	s_waitcnt lgkmcnt(0)
	s_bitcmp1_b32 s20, 8
	s_cselect_b64 s[16:17], -1, 0
	s_ashr_i32 s9, s8, 31
	s_lshl_b64 s[10:11], s[8:9], 3
	s_add_u32 s6, s6, s10
	s_addc_u32 s7, s7, s11
	s_load_dwordx2 s[18:19], s[6:7], 0x0
	s_bfe_u32 s6, s20, 0x10008
	s_cmp_eq_u32 s6, 0
                                        ; implicit-def: $sgpr10_sgpr11
	s_cbranch_scc1 .LBB126_3
; %bb.2:
	s_load_dword s6, s[4:5], 0x20
	s_load_dwordx2 s[10:11], s[4:5], 0x18
	s_mul_i32 s7, s8, s13
	s_mul_hi_u32 s13, s8, s12
	s_add_i32 s13, s13, s7
	s_mul_i32 s21, s9, s12
	s_add_i32 s13, s13, s21
	s_mul_i32 s12, s8, s12
	s_waitcnt lgkmcnt(0)
	s_ashr_i32 s7, s6, 31
	s_lshl_b64 s[12:13], s[12:13], 2
	s_add_u32 s10, s10, s12
	s_addc_u32 s11, s11, s13
	s_lshl_b64 s[6:7], s[6:7], 2
	s_add_u32 s10, s10, s6
	s_addc_u32 s11, s11, s7
.LBB126_3:
	s_load_dwordx2 s[6:7], s[4:5], 0x8
	v_lshlrev_b32_e32 v6, 3, v0
	s_waitcnt lgkmcnt(0)
	s_ashr_i32 s5, s6, 31
	s_mov_b32 s4, s6
	s_lshl_b64 s[4:5], s[4:5], 3
	s_add_u32 s4, s18, s4
	s_addc_u32 s5, s19, s5
	s_add_i32 s6, s7, s7
	v_add_u32_e32 v2, s6, v0
	v_ashrrev_i32_e32 v3, 31, v2
	v_lshlrev_b64 v[4:5], 3, v[2:3]
	v_add_u32_e32 v2, s7, v2
	v_mov_b32_e32 v1, s5
	v_add_co_u32_e32 v10, vcc, s4, v4
	v_ashrrev_i32_e32 v3, 31, v2
	v_addc_co_u32_e32 v11, vcc, v1, v5, vcc
	v_lshlrev_b64 v[4:5], 3, v[2:3]
	v_add_u32_e32 v2, s7, v2
	v_add_co_u32_e32 v14, vcc, s4, v4
	v_ashrrev_i32_e32 v3, 31, v2
	v_addc_co_u32_e32 v15, vcc, v1, v5, vcc
	v_lshlrev_b64 v[4:5], 3, v[2:3]
	v_add_u32_e32 v2, s7, v2
	;; [unrolled: 5-line block ×52, first 2 shown]
	v_add_co_u32_e32 v116, vcc, s4, v4
	v_ashrrev_i32_e32 v3, 31, v2
	v_addc_co_u32_e32 v117, vcc, v1, v5, vcc
	v_lshlrev_b64 v[4:5], 3, v[2:3]
	v_add_co_u32_e32 v118, vcc, s4, v4
	v_addc_co_u32_e32 v119, vcc, v1, v5, vcc
	v_add_co_u32_e32 v226, vcc, s4, v6
	s_ashr_i32 s13, s7, 31
	s_mov_b32 s12, s7
	v_addc_co_u32_e32 v227, vcc, 0, v1, vcc
	s_lshl_b64 s[12:13], s[12:13], 3
	v_mov_b32_e32 v1, s13
	v_add_co_u32_e32 v228, vcc, s12, v226
	global_load_dwordx2 v[4:5], v6, s[4:5]
	v_addc_co_u32_e32 v229, vcc, v227, v1, vcc
	global_load_dwordx2 v[8:9], v[228:229], off
	v_accvgpr_write_b32 a0, v10
	v_accvgpr_write_b32 a1, v11
	global_load_dwordx2 v[10:11], v[10:11], off
	v_accvgpr_write_b32 a2, v14
	v_add_u32_e32 v2, s7, v2
	v_accvgpr_write_b32 a3, v15
	global_load_dwordx2 v[14:15], v[14:15], off
	v_ashrrev_i32_e32 v3, 31, v2
	v_lshlrev_b64 v[12:13], 3, v[2:3]
	v_mov_b32_e32 v1, s5
	v_add_co_u32_e32 v120, vcc, s4, v12
	v_addc_co_u32_e32 v121, vcc, v1, v13, vcc
	global_load_dwordx2 v[12:13], v[16:17], off
	v_accvgpr_write_b32 a4, v16
	v_accvgpr_write_b32 a5, v17
	global_load_dwordx2 v[16:17], v[18:19], off
	v_accvgpr_write_b32 a8, v20
	v_add_u32_e32 v2, s7, v2
	v_accvgpr_write_b32 a9, v21
	global_load_dwordx2 v[20:21], v[20:21], off
	v_ashrrev_i32_e32 v3, 31, v2
	v_accvgpr_write_b32 a6, v18
	v_accvgpr_write_b32 a12, v24
	;; [unrolled: 1-line block ×5, first 2 shown]
	global_load_dwordx2 v[24:25], v[24:25], off
	v_accvgpr_write_b32 a19, v31
	global_load_dwordx2 v[30:31], v[30:31], off
	v_lshlrev_b64 v[18:19], 3, v[2:3]
	v_add_co_u32_e32 v122, vcc, s4, v18
	v_addc_co_u32_e32 v123, vcc, v1, v19, vcc
	global_load_dwordx2 v[18:19], v[22:23], off
	v_accvgpr_write_b32 a14, v26
	v_add_u32_e32 v2, s7, v2
	v_accvgpr_write_b32 a15, v27
	global_load_dwordx2 v[26:27], v[26:27], off
	v_accvgpr_write_b32 a10, v22
	v_ashrrev_i32_e32 v3, 31, v2
	v_accvgpr_write_b32 a24, v36
	v_accvgpr_write_b32 a11, v23
	;; [unrolled: 1-line block ×3, first 2 shown]
	global_load_dwordx2 v[36:37], v[36:37], off
	v_lshlrev_b64 v[22:23], 3, v[2:3]
	v_add_co_u32_e32 v222, vcc, s4, v22
	v_addc_co_u32_e32 v223, vcc, v1, v23, vcc
	global_load_dwordx2 v[22:23], v[28:29], off
	v_add_u32_e32 v2, s7, v2
	v_ashrrev_i32_e32 v3, 31, v2
	v_accvgpr_write_b32 a16, v28
	v_accvgpr_write_b32 a28, v40
	;; [unrolled: 1-line block ×4, first 2 shown]
	global_load_dwordx2 v[40:41], v[40:41], off
	v_lshlrev_b64 v[28:29], 3, v[2:3]
	v_add_co_u32_e32 v224, vcc, s4, v28
	v_addc_co_u32_e32 v225, vcc, v1, v29, vcc
	global_load_dwordx2 v[28:29], v[32:33], off
	v_accvgpr_write_b32 a20, v32
	v_accvgpr_write_b32 a30, v42
	;; [unrolled: 1-line block ×4, first 2 shown]
	global_load_dwordx2 v[42:43], v[42:43], off
	v_add_u32_e32 v2, s7, v2
	global_load_dwordx2 v[32:33], v[34:35], off
	v_ashrrev_i32_e32 v3, 31, v2
	v_accvgpr_write_b32 a22, v34
	v_accvgpr_write_b32 a23, v35
	v_lshlrev_b64 v[34:35], 3, v[2:3]
	v_add_co_u32_e32 v230, vcc, s4, v34
	v_addc_co_u32_e32 v231, vcc, v1, v35, vcc
	global_load_dwordx2 v[34:35], v[38:39], off
	v_add_u32_e32 v2, s7, v2
	v_accvgpr_write_b32 a26, v38
	v_ashrrev_i32_e32 v3, 31, v2
	v_accvgpr_write_b32 a27, v39
	v_lshlrev_b64 v[38:39], 3, v[2:3]
	v_add_co_u32_e32 v232, vcc, s4, v38
	v_addc_co_u32_e32 v233, vcc, v1, v39, vcc
	global_load_dwordx2 v[38:39], v[44:45], off
	v_accvgpr_write_b32 a32, v44
	v_accvgpr_write_b32 a33, v45
	global_load_dwordx2 v[44:45], v[46:47], off
	v_add_u32_e32 v2, s7, v2
	v_ashrrev_i32_e32 v3, 31, v2
	v_lshlrev_b64 v[2:3], 3, v[2:3]
	v_accvgpr_write_b32 a34, v46
	v_add_co_u32_e32 v234, vcc, s4, v2
	v_accvgpr_write_b32 a35, v47
	v_addc_co_u32_e32 v235, vcc, v1, v3, vcc
	global_load_dwordx2 v[2:3], v[48:49], off
	global_load_dwordx2 v[46:47], v[234:235], off
	s_waitcnt vmcnt(21)
	buffer_store_dword v5, off, s[0:3], 0 offset:4
	buffer_store_dword v4, off, s[0:3], 0
	global_load_dwordx2 v[4:5], v[50:51], off
	s_waitcnt vmcnt(23)
	buffer_store_dword v9, off, s[0:3], 0 offset:12
	buffer_store_dword v8, off, s[0:3], 0 offset:8
	global_load_dwordx2 v[8:9], v[52:53], off
	v_accvgpr_write_b32 a36, v48
	v_accvgpr_write_b32 a37, v49
	global_load_dwordx2 v[48:49], v[54:55], off
	v_accvgpr_write_b32 a38, v50
	s_waitcnt vmcnt(26)
	buffer_store_dword v11, off, s[0:3], 0 offset:20
	buffer_store_dword v10, off, s[0:3], 0 offset:16
	global_load_dwordx2 v[10:11], v[56:57], off
	v_accvgpr_write_b32 a39, v51
	global_load_dwordx2 v[50:51], v[58:59], off
	v_accvgpr_write_b32 a40, v52
	s_waitcnt vmcnt(29)
	buffer_store_dword v15, off, s[0:3], 0 offset:28
	buffer_store_dword v14, off, s[0:3], 0 offset:24
	global_load_dwordx2 v[14:15], v[60:61], off
	;; [unrolled: 7-line block ×6, first 2 shown]
	v_accvgpr_write_b32 a49, v61
	global_load_dwordx2 v[60:61], v[78:79], off
	v_accvgpr_write_b32 a50, v62
	buffer_store_dword v25, off, s[0:3], 0 offset:68
	buffer_store_dword v24, off, s[0:3], 0 offset:64
	global_load_dwordx2 v[24:25], v[80:81], off
	v_accvgpr_write_b32 a51, v63
	global_load_dwordx2 v[62:63], v[82:83], off
	v_accvgpr_write_b32 a52, v64
	s_waitcnt vmcnt(46)
	buffer_store_dword v26, off, s[0:3], 0 offset:72
	buffer_store_dword v27, off, s[0:3], 0 offset:76
	global_load_dwordx2 v[26:27], v[84:85], off
	v_accvgpr_write_b32 a53, v65
	global_load_dwordx2 v[64:65], v[86:87], off
	v_accvgpr_write_b32 a54, v66
	s_waitcnt vmcnt(48)
	buffer_store_dword v22, off, s[0:3], 0 offset:80
	buffer_store_dword v23, off, s[0:3], 0 offset:84
	global_load_dwordx2 v[22:23], v[88:89], off
	v_accvgpr_write_b32 a55, v67
	global_load_dwordx2 v[66:67], v[90:91], off
	v_accvgpr_write_b32 a56, v68
	buffer_store_dword v30, off, s[0:3], 0 offset:88
	buffer_store_dword v31, off, s[0:3], 0 offset:92
	global_load_dwordx2 v[30:31], v[92:93], off
	v_accvgpr_write_b32 a57, v69
	global_load_dwordx2 v[68:69], v[94:95], off
	v_accvgpr_write_b32 a58, v70
	s_waitcnt vmcnt(54)
	buffer_store_dword v28, off, s[0:3], 0 offset:96
	buffer_store_dword v29, off, s[0:3], 0 offset:100
	global_load_dwordx2 v[28:29], v[96:97], off
	v_accvgpr_write_b32 a59, v71
	global_load_dwordx2 v[70:71], v[98:99], off
	v_accvgpr_write_b32 a60, v72
	s_waitcnt vmcnt(56)
	buffer_store_dword v32, off, s[0:3], 0 offset:104
	buffer_store_dword v33, off, s[0:3], 0 offset:108
	global_load_dwordx2 v[32:33], v[100:101], off
	v_accvgpr_write_b32 a61, v73
	global_load_dwordx2 v[72:73], v[102:103], off
	v_accvgpr_write_b32 a62, v74
	buffer_store_dword v37, off, s[0:3], 0 offset:116
	buffer_store_dword v36, off, s[0:3], 0 offset:112
	global_load_dwordx2 v[36:37], v[104:105], off
	v_accvgpr_write_b32 a63, v75
	global_load_dwordx2 v[74:75], v[106:107], off
	v_accvgpr_write_b32 a64, v76
	s_waitcnt vmcnt(62)
	buffer_store_dword v34, off, s[0:3], 0 offset:120
	buffer_store_dword v35, off, s[0:3], 0 offset:124
	global_load_dwordx2 v[34:35], v[108:109], off
	v_accvgpr_write_b32 a65, v77
	global_load_dwordx2 v[76:77], v[110:111], off
	v_accvgpr_write_b32 a66, v78
	buffer_store_dword v40, off, s[0:3], 0 offset:128
	buffer_store_dword v41, off, s[0:3], 0 offset:132
	global_load_dwordx2 v[40:41], v[112:113], off
	v_accvgpr_write_b32 a67, v79
	global_load_dwordx2 v[78:79], v[114:115], off
	v_accvgpr_write_b32 a68, v80
	;; [unrolled: 6-line block ×4, first 2 shown]
	s_waitcnt vmcnt(62)
	buffer_store_dword v45, off, s[0:3], 0 offset:156
	buffer_store_dword v44, off, s[0:3], 0 offset:152
	global_load_dwordx2 v[44:45], v[222:223], off
	v_accvgpr_write_b32 a73, v85
	global_load_dwordx2 v[84:85], v[224:225], off
	v_accvgpr_write_b32 a74, v86
	buffer_store_dword v3, off, s[0:3], 0 offset:164
	buffer_store_dword v2, off, s[0:3], 0 offset:160
	global_load_dwordx2 v[2:3], v[230:231], off
	v_accvgpr_write_b32 a76, v88
	v_accvgpr_write_b32 a78, v90
	;; [unrolled: 1-line block ×19, first 2 shown]
	global_load_dwordx2 v[86:87], v[232:233], off
	v_accvgpr_write_b32 a77, v89
	v_accvgpr_write_b32 a79, v91
	;; [unrolled: 1-line block ×18, first 2 shown]
	s_bitcmp0_b32 s20, 0
	s_mov_b64 s[6:7], -1
	buffer_store_dword v4, off, s[0:3], 0 offset:168
	buffer_store_dword v5, off, s[0:3], 0 offset:172
	buffer_store_dword v8, off, s[0:3], 0 offset:176
	buffer_store_dword v9, off, s[0:3], 0 offset:180
	buffer_store_dword v48, off, s[0:3], 0 offset:184
	buffer_store_dword v49, off, s[0:3], 0 offset:188
	buffer_store_dword v10, off, s[0:3], 0 offset:192
	buffer_store_dword v11, off, s[0:3], 0 offset:196
	buffer_store_dword v51, off, s[0:3], 0 offset:204
	buffer_store_dword v50, off, s[0:3], 0 offset:200
	s_waitcnt vmcnt(62)
	buffer_store_dword v15, off, s[0:3], 0 offset:212
	buffer_store_dword v14, off, s[0:3], 0 offset:208
	buffer_store_dword v52, off, s[0:3], 0 offset:216
	buffer_store_dword v53, off, s[0:3], 0 offset:220
	buffer_store_dword v12, off, s[0:3], 0 offset:224
	buffer_store_dword v13, off, s[0:3], 0 offset:228
	buffer_store_dword v54, off, s[0:3], 0 offset:232
	buffer_store_dword v55, off, s[0:3], 0 offset:236
	buffer_store_dword v16, off, s[0:3], 0 offset:240
	buffer_store_dword v17, off, s[0:3], 0 offset:244
	buffer_store_dword v57, off, s[0:3], 0 offset:252
	buffer_store_dword v56, off, s[0:3], 0 offset:248
	buffer_store_dword v21, off, s[0:3], 0 offset:260
	buffer_store_dword v20, off, s[0:3], 0 offset:256
	buffer_store_dword v58, off, s[0:3], 0 offset:264
	buffer_store_dword v59, off, s[0:3], 0 offset:268
	buffer_store_dword v18, off, s[0:3], 0 offset:272
	buffer_store_dword v19, off, s[0:3], 0 offset:276
	buffer_store_dword v60, off, s[0:3], 0 offset:280
	buffer_store_dword v61, off, s[0:3], 0 offset:284
	s_waitcnt vmcnt(62)
	buffer_store_dword v24, off, s[0:3], 0 offset:288
	buffer_store_dword v25, off, s[0:3], 0 offset:292
	buffer_store_dword v63, off, s[0:3], 0 offset:300
	buffer_store_dword v62, off, s[0:3], 0 offset:296
	buffer_store_dword v27, off, s[0:3], 0 offset:308
	buffer_store_dword v26, off, s[0:3], 0 offset:304
	buffer_store_dword v64, off, s[0:3], 0 offset:312
	buffer_store_dword v65, off, s[0:3], 0 offset:316
	buffer_store_dword v22, off, s[0:3], 0 offset:320
	buffer_store_dword v23, off, s[0:3], 0 offset:324
	;; [unrolled: 21-line block ×4, first 2 shown]
	buffer_store_dword v87, off, s[0:3], 0 offset:492
	buffer_store_dword v86, off, s[0:3], 0 offset:488
	;; [unrolled: 1-line block ×4, first 2 shown]
	s_cbranch_scc1 .LBB126_264
; %bb.4:
	v_cmp_eq_u32_e64 s[4:5], 0, v0
	s_and_saveexec_b64 s[6:7], s[4:5]
	s_cbranch_execz .LBB126_6
; %bb.5:
	v_mov_b32_e32 v1, 0
	ds_write_b32 v1, v1 offset:504
.LBB126_6:
	s_or_b64 exec, exec, s[6:7]
	v_mov_b32_e32 v1, 0
	v_lshl_add_u32 v7, v0, 3, v1
	s_waitcnt lgkmcnt(0)
	; wave barrier
	s_waitcnt lgkmcnt(0)
	buffer_load_dword v1, v7, s[0:3], 0 offen
	buffer_load_dword v2, v7, s[0:3], 0 offen offset:4
	s_waitcnt vmcnt(1)
	v_cmp_eq_f32_e32 vcc, 0, v1
	s_waitcnt vmcnt(0)
	v_cmp_eq_f32_e64 s[6:7], 0, v2
	s_and_b64 s[6:7], vcc, s[6:7]
	s_and_saveexec_b64 s[12:13], s[6:7]
	s_cbranch_execz .LBB126_10
; %bb.7:
	v_mov_b32_e32 v1, 0
	ds_read_b32 v3, v1 offset:504
	v_add_u32_e32 v2, 1, v0
	s_waitcnt lgkmcnt(0)
	v_readfirstlane_b32 s6, v3
	s_cmp_eq_u32 s6, 0
	s_cselect_b64 s[18:19], -1, 0
	v_cmp_gt_i32_e32 vcc, s6, v2
	s_or_b64 s[18:19], s[18:19], vcc
	s_and_b64 exec, exec, s[18:19]
	s_cbranch_execz .LBB126_10
; %bb.8:
	s_mov_b64 s[18:19], 0
	v_mov_b32_e32 v3, s6
.LBB126_9:                              ; =>This Inner Loop Header: Depth=1
	ds_cmpst_rtn_b32 v3, v1, v3, v2 offset:504
	s_waitcnt lgkmcnt(0)
	v_cmp_ne_u32_e32 vcc, 0, v3
	v_cmp_le_i32_e64 s[6:7], v3, v2
	s_and_b64 s[6:7], vcc, s[6:7]
	s_and_b64 s[6:7], exec, s[6:7]
	s_or_b64 s[18:19], s[6:7], s[18:19]
	s_andn2_b64 exec, exec, s[18:19]
	s_cbranch_execnz .LBB126_9
.LBB126_10:
	s_or_b64 exec, exec, s[12:13]
	v_mov_b32_e32 v2, 0
	s_waitcnt lgkmcnt(0)
	; wave barrier
	ds_read_b32 v1, v2 offset:504
	s_and_saveexec_b64 s[6:7], s[4:5]
	s_cbranch_execz .LBB126_12
; %bb.11:
	s_lshl_b64 s[12:13], s[8:9], 2
	s_add_u32 s12, s14, s12
	s_addc_u32 s13, s15, s13
	s_waitcnt lgkmcnt(0)
	global_store_dword v2, v1, s[12:13]
.LBB126_12:
	s_or_b64 exec, exec, s[6:7]
	s_waitcnt lgkmcnt(0)
	v_cmp_ne_u32_e32 vcc, 0, v1
	s_mov_b64 s[6:7], 0
	s_cbranch_vccnz .LBB126_264
; %bb.13:
	buffer_load_dword v8, v7, s[0:3], 0 offen offset:4
	buffer_load_dword v3, v7, s[0:3], 0 offen
	s_waitcnt vmcnt(1)
	v_cmp_gt_f32_e32 vcc, 0, v8
	v_cndmask_b32_e64 v1, v8, -v8, vcc
	s_waitcnt vmcnt(0)
	v_cmp_gt_f32_e32 vcc, 0, v3
	v_cndmask_b32_e64 v2, v3, -v3, vcc
	v_cmp_ngt_f32_e32 vcc, v2, v1
                                        ; implicit-def: $vgpr1
                                        ; implicit-def: $vgpr2
	s_and_saveexec_b64 s[6:7], vcc
	s_xor_b64 s[6:7], exec, s[6:7]
                                        ; implicit-def: $vgpr4_vgpr5
	s_cbranch_execz .LBB126_15
; %bb.14:
	v_div_scale_f32 v1, s[12:13], v8, v8, v3
	v_rcp_f32_e32 v2, v1
	v_div_scale_f32 v4, vcc, v3, v8, v3
	v_fma_f32 v5, -v1, v2, 1.0
	v_fmac_f32_e32 v2, v5, v2
	v_mul_f32_e32 v5, v4, v2
	v_fma_f32 v9, -v1, v5, v4
	v_fmac_f32_e32 v5, v9, v2
	v_fma_f32 v1, -v1, v5, v4
	v_div_fmas_f32 v1, v1, v2, v5
	v_div_fixup_f32 v2, v1, v8, v3
	v_fmac_f32_e32 v8, v3, v2
	v_div_scale_f32 v1, s[12:13], v8, v8, -1.0
	v_rcp_f32_e32 v3, v1
	v_fma_f32 v4, -v1, v3, 1.0
	v_fmac_f32_e32 v3, v4, v3
	v_div_scale_f32 v4, vcc, -1.0, v8, -1.0
	v_mul_f32_e32 v5, v4, v3
	v_fma_f32 v9, -v1, v5, v4
	v_fmac_f32_e32 v5, v9, v3
	v_fma_f32 v1, -v1, v5, v4
	v_div_fmas_f32 v1, v1, v3, v5
	v_div_fixup_f32 v1, v1, v8, -1.0
	v_mul_f32_e32 v2, v2, v1
	v_xor_b32_e32 v4, 0x80000000, v2
                                        ; implicit-def: $vgpr3
                                        ; implicit-def: $vgpr8
.LBB126_15:
	s_andn2_saveexec_b64 s[6:7], s[6:7]
	s_cbranch_execz .LBB126_17
; %bb.16:
	v_div_scale_f32 v1, s[12:13], v3, v3, v8
	v_rcp_f32_e32 v2, v1
	v_div_scale_f32 v4, vcc, v8, v3, v8
	v_fma_f32 v5, -v1, v2, 1.0
	v_fmac_f32_e32 v2, v5, v2
	v_mul_f32_e32 v5, v4, v2
	v_fma_f32 v9, -v1, v5, v4
	v_fmac_f32_e32 v5, v9, v2
	v_fma_f32 v1, -v1, v5, v4
	v_div_fmas_f32 v1, v1, v2, v5
	v_div_fixup_f32 v1, v1, v3, v8
	v_fmac_f32_e32 v3, v8, v1
	v_div_scale_f32 v2, s[12:13], v3, v3, 1.0
	v_rcp_f32_e32 v4, v2
	v_fma_f32 v5, -v2, v4, 1.0
	v_fmac_f32_e32 v4, v5, v4
	v_div_scale_f32 v5, vcc, 1.0, v3, 1.0
	v_mul_f32_e32 v8, v5, v4
	v_fma_f32 v9, -v2, v8, v5
	v_fmac_f32_e32 v8, v9, v4
	v_fma_f32 v2, -v2, v8, v5
	v_div_fmas_f32 v2, v2, v4, v8
	v_div_fixup_f32 v4, v2, v3, 1.0
	v_xor_b32_e32 v2, 0x80000000, v4
	v_mul_f32_e64 v1, v1, -v4
.LBB126_17:
	s_or_b64 exec, exec, s[6:7]
	buffer_store_dword v1, v7, s[0:3], 0 offen offset:4
	buffer_store_dword v4, v7, s[0:3], 0 offen
	buffer_load_dword v5, off, s[0:3], 0 offset:12
	s_nop 0
	buffer_load_dword v4, off, s[0:3], 0 offset:8
	v_xor_b32_e32 v3, 0x80000000, v1
	v_or_b32_e32 v1, 0x200, v6
	s_waitcnt vmcnt(0)
	ds_write2st64_b64 v6, v[2:3], v[4:5] offset1:1
	s_waitcnt lgkmcnt(0)
	; wave barrier
	s_waitcnt lgkmcnt(0)
	s_and_saveexec_b64 s[6:7], s[4:5]
	s_cbranch_execz .LBB126_19
; %bb.18:
	buffer_load_dword v8, v7, s[0:3], 0 offen offset:4
	buffer_load_dword v9, v7, s[0:3], 0 offen
	ds_read_b64 v[2:3], v1
	v_mov_b32_e32 v4, 0
	ds_read_b64 v[4:5], v4 offset:8
	s_waitcnt vmcnt(1) lgkmcnt(1)
	v_mul_f32_e32 v10, v3, v8
	v_mul_f32_e32 v8, v2, v8
	s_waitcnt vmcnt(0)
	v_fmac_f32_e32 v8, v3, v9
	v_fma_f32 v2, v2, v9, -v10
	v_add_f32_e32 v3, 0, v8
	v_add_f32_e32 v2, 0, v2
	s_waitcnt lgkmcnt(0)
	v_mul_f32_e32 v8, v3, v5
	v_mul_f32_e32 v5, v2, v5
	v_fma_f32 v2, v2, v4, -v8
	v_fmac_f32_e32 v5, v3, v4
	buffer_store_dword v2, off, s[0:3], 0 offset:8
	buffer_store_dword v5, off, s[0:3], 0 offset:12
.LBB126_19:
	s_or_b64 exec, exec, s[6:7]
	s_waitcnt lgkmcnt(0)
	; wave barrier
	buffer_load_dword v2, off, s[0:3], 0 offset:16
	buffer_load_dword v3, off, s[0:3], 0 offset:20
	v_cmp_gt_u32_e32 vcc, 2, v0
	s_waitcnt vmcnt(0)
	ds_write_b64 v1, v[2:3]
	s_waitcnt lgkmcnt(0)
	; wave barrier
	s_waitcnt lgkmcnt(0)
	s_and_saveexec_b64 s[6:7], vcc
	s_cbranch_execz .LBB126_23
; %bb.20:
	buffer_load_dword v4, v7, s[0:3], 0 offen offset:4
	buffer_load_dword v5, v7, s[0:3], 0 offen
	ds_read_b64 v[2:3], v1
	s_waitcnt vmcnt(1) lgkmcnt(0)
	v_mul_f32_e32 v7, v3, v4
	v_mul_f32_e32 v4, v2, v4
	s_waitcnt vmcnt(0)
	v_fma_f32 v2, v2, v5, -v7
	v_fmac_f32_e32 v4, v3, v5
	v_add_f32_e32 v3, 0, v2
	v_add_f32_e32 v2, 0, v4
	s_and_saveexec_b64 s[12:13], s[4:5]
	s_cbranch_execz .LBB126_22
; %bb.21:
	buffer_load_dword v7, off, s[0:3], 0 offset:12
	buffer_load_dword v8, off, s[0:3], 0 offset:8
	v_mov_b32_e32 v4, 0
	ds_read_b64 v[4:5], v4 offset:520
	s_waitcnt vmcnt(1) lgkmcnt(0)
	v_mul_f32_e32 v9, v4, v7
	v_mul_f32_e32 v7, v5, v7
	s_waitcnt vmcnt(0)
	v_fmac_f32_e32 v9, v5, v8
	v_fma_f32 v4, v4, v8, -v7
	v_add_f32_e32 v2, v2, v9
	v_add_f32_e32 v3, v3, v4
.LBB126_22:
	s_or_b64 exec, exec, s[12:13]
	v_mov_b32_e32 v4, 0
	ds_read_b64 v[4:5], v4 offset:16
	s_waitcnt lgkmcnt(0)
	v_mul_f32_e32 v7, v2, v5
	v_mul_f32_e32 v5, v3, v5
	v_fma_f32 v3, v3, v4, -v7
	v_fmac_f32_e32 v5, v2, v4
	buffer_store_dword v3, off, s[0:3], 0 offset:16
	buffer_store_dword v5, off, s[0:3], 0 offset:20
.LBB126_23:
	s_or_b64 exec, exec, s[6:7]
	s_waitcnt lgkmcnt(0)
	; wave barrier
	buffer_load_dword v2, off, s[0:3], 0 offset:24
	buffer_load_dword v3, off, s[0:3], 0 offset:28
	v_cmp_gt_u32_e32 vcc, 3, v0
	s_waitcnt vmcnt(0)
	ds_write_b64 v1, v[2:3]
	v_add_u32_e32 v2, -1, v0
	s_waitcnt lgkmcnt(0)
	; wave barrier
	s_waitcnt lgkmcnt(0)
	s_and_saveexec_b64 s[4:5], vcc
	s_cbranch_execz .LBB126_27
; %bb.24:
	v_add_u32_e32 v4, -1, v0
	v_or_b32_e32 v5, 0x200, v6
	v_add_u32_e32 v7, 0, v6
	s_mov_b64 s[6:7], 0
	v_mov_b32_e32 v3, 0
	v_mov_b32_e32 v8, 0
.LBB126_25:                             ; =>This Inner Loop Header: Depth=1
	buffer_load_dword v9, v7, s[0:3], 0 offen offset:4
	buffer_load_dword v12, v7, s[0:3], 0 offen
	ds_read_b64 v[10:11], v5
	v_add_u32_e32 v4, 1, v4
	v_cmp_lt_u32_e32 vcc, 1, v4
	v_add_u32_e32 v5, 8, v5
	v_add_u32_e32 v7, 8, v7
	s_or_b64 s[6:7], vcc, s[6:7]
	s_waitcnt vmcnt(1) lgkmcnt(0)
	v_mul_f32_e32 v13, v11, v9
	v_mul_f32_e32 v9, v10, v9
	s_waitcnt vmcnt(0)
	v_fma_f32 v10, v10, v12, -v13
	v_fmac_f32_e32 v9, v11, v12
	v_add_f32_e32 v8, v8, v10
	v_add_f32_e32 v3, v3, v9
	s_andn2_b64 exec, exec, s[6:7]
	s_cbranch_execnz .LBB126_25
; %bb.26:
	s_or_b64 exec, exec, s[6:7]
	v_mov_b32_e32 v4, 0
	ds_read_b64 v[4:5], v4 offset:24
	s_waitcnt lgkmcnt(0)
	v_mul_f32_e32 v7, v3, v5
	v_mul_f32_e32 v5, v8, v5
	v_fma_f32 v7, v8, v4, -v7
	v_fmac_f32_e32 v5, v3, v4
	buffer_store_dword v7, off, s[0:3], 0 offset:24
	buffer_store_dword v5, off, s[0:3], 0 offset:28
.LBB126_27:
	s_or_b64 exec, exec, s[4:5]
	s_waitcnt lgkmcnt(0)
	; wave barrier
	buffer_load_dword v4, off, s[0:3], 0 offset:32
	buffer_load_dword v5, off, s[0:3], 0 offset:36
	v_cmp_gt_u32_e32 vcc, 4, v0
	s_waitcnt vmcnt(0)
	ds_write_b64 v1, v[4:5]
	s_waitcnt lgkmcnt(0)
	; wave barrier
	s_waitcnt lgkmcnt(0)
	s_and_saveexec_b64 s[4:5], vcc
	s_cbranch_execz .LBB126_31
; %bb.28:
	v_add_u32_e32 v4, -1, v0
	v_or_b32_e32 v5, 0x200, v6
	v_add_u32_e32 v7, 0, v6
	s_mov_b64 s[6:7], 0
	v_mov_b32_e32 v3, 0
	v_mov_b32_e32 v8, 0
.LBB126_29:                             ; =>This Inner Loop Header: Depth=1
	buffer_load_dword v9, v7, s[0:3], 0 offen offset:4
	buffer_load_dword v12, v7, s[0:3], 0 offen
	ds_read_b64 v[10:11], v5
	v_add_u32_e32 v4, 1, v4
	v_cmp_lt_u32_e32 vcc, 2, v4
	v_add_u32_e32 v5, 8, v5
	v_add_u32_e32 v7, 8, v7
	s_or_b64 s[6:7], vcc, s[6:7]
	s_waitcnt vmcnt(1) lgkmcnt(0)
	v_mul_f32_e32 v13, v11, v9
	v_mul_f32_e32 v9, v10, v9
	s_waitcnt vmcnt(0)
	v_fma_f32 v10, v10, v12, -v13
	v_fmac_f32_e32 v9, v11, v12
	v_add_f32_e32 v8, v8, v10
	v_add_f32_e32 v3, v3, v9
	s_andn2_b64 exec, exec, s[6:7]
	s_cbranch_execnz .LBB126_29
; %bb.30:
	s_or_b64 exec, exec, s[6:7]
	v_mov_b32_e32 v4, 0
	ds_read_b64 v[4:5], v4 offset:32
	s_waitcnt lgkmcnt(0)
	v_mul_f32_e32 v7, v3, v5
	v_mul_f32_e32 v5, v8, v5
	v_fma_f32 v7, v8, v4, -v7
	v_fmac_f32_e32 v5, v3, v4
	buffer_store_dword v7, off, s[0:3], 0 offset:32
	buffer_store_dword v5, off, s[0:3], 0 offset:36
.LBB126_31:
	s_or_b64 exec, exec, s[4:5]
	s_waitcnt lgkmcnt(0)
	; wave barrier
	buffer_load_dword v4, off, s[0:3], 0 offset:40
	buffer_load_dword v5, off, s[0:3], 0 offset:44
	v_cmp_gt_u32_e32 vcc, 5, v0
	s_waitcnt vmcnt(0)
	ds_write_b64 v1, v[4:5]
	;; [unrolled: 51-line block ×19, first 2 shown]
	s_waitcnt lgkmcnt(0)
	; wave barrier
	s_waitcnt lgkmcnt(0)
	s_and_saveexec_b64 s[4:5], vcc
	s_cbranch_execz .LBB126_103
; %bb.100:
	v_add_u32_e32 v4, -1, v0
	v_or_b32_e32 v5, 0x200, v6
	v_add_u32_e32 v7, 0, v6
	s_mov_b64 s[6:7], 0
	v_mov_b32_e32 v3, 0
	v_mov_b32_e32 v8, 0
.LBB126_101:                            ; =>This Inner Loop Header: Depth=1
	buffer_load_dword v9, v7, s[0:3], 0 offen offset:4
	buffer_load_dword v12, v7, s[0:3], 0 offen
	ds_read_b64 v[10:11], v5
	v_add_u32_e32 v4, 1, v4
	v_cmp_lt_u32_e32 vcc, 20, v4
	v_add_u32_e32 v5, 8, v5
	v_add_u32_e32 v7, 8, v7
	s_or_b64 s[6:7], vcc, s[6:7]
	s_waitcnt vmcnt(1) lgkmcnt(0)
	v_mul_f32_e32 v13, v11, v9
	v_mul_f32_e32 v9, v10, v9
	s_waitcnt vmcnt(0)
	v_fma_f32 v10, v10, v12, -v13
	v_fmac_f32_e32 v9, v11, v12
	v_add_f32_e32 v8, v8, v10
	v_add_f32_e32 v3, v3, v9
	s_andn2_b64 exec, exec, s[6:7]
	s_cbranch_execnz .LBB126_101
; %bb.102:
	s_or_b64 exec, exec, s[6:7]
	v_mov_b32_e32 v4, 0
	ds_read_b64 v[4:5], v4 offset:176
	s_waitcnt lgkmcnt(0)
	v_mul_f32_e32 v7, v3, v5
	v_mul_f32_e32 v5, v8, v5
	v_fma_f32 v7, v8, v4, -v7
	v_fmac_f32_e32 v5, v3, v4
	buffer_store_dword v7, off, s[0:3], 0 offset:176
	buffer_store_dword v5, off, s[0:3], 0 offset:180
.LBB126_103:
	s_or_b64 exec, exec, s[4:5]
	s_waitcnt lgkmcnt(0)
	; wave barrier
	buffer_load_dword v4, off, s[0:3], 0 offset:184
	buffer_load_dword v5, off, s[0:3], 0 offset:188
	v_cmp_gt_u32_e32 vcc, 23, v0
	s_waitcnt vmcnt(0)
	ds_write_b64 v1, v[4:5]
	s_waitcnt lgkmcnt(0)
	; wave barrier
	s_waitcnt lgkmcnt(0)
	s_and_saveexec_b64 s[4:5], vcc
	s_cbranch_execz .LBB126_107
; %bb.104:
	v_add_u32_e32 v4, -1, v0
	v_or_b32_e32 v5, 0x200, v6
	v_add_u32_e32 v7, 0, v6
	s_mov_b64 s[6:7], 0
	v_mov_b32_e32 v3, 0
	v_mov_b32_e32 v8, 0
.LBB126_105:                            ; =>This Inner Loop Header: Depth=1
	buffer_load_dword v9, v7, s[0:3], 0 offen offset:4
	buffer_load_dword v12, v7, s[0:3], 0 offen
	ds_read_b64 v[10:11], v5
	v_add_u32_e32 v4, 1, v4
	v_cmp_lt_u32_e32 vcc, 21, v4
	v_add_u32_e32 v5, 8, v5
	v_add_u32_e32 v7, 8, v7
	s_or_b64 s[6:7], vcc, s[6:7]
	s_waitcnt vmcnt(1) lgkmcnt(0)
	v_mul_f32_e32 v13, v11, v9
	v_mul_f32_e32 v9, v10, v9
	s_waitcnt vmcnt(0)
	v_fma_f32 v10, v10, v12, -v13
	v_fmac_f32_e32 v9, v11, v12
	v_add_f32_e32 v8, v8, v10
	v_add_f32_e32 v3, v3, v9
	s_andn2_b64 exec, exec, s[6:7]
	s_cbranch_execnz .LBB126_105
; %bb.106:
	s_or_b64 exec, exec, s[6:7]
	v_mov_b32_e32 v4, 0
	ds_read_b64 v[4:5], v4 offset:184
	s_waitcnt lgkmcnt(0)
	v_mul_f32_e32 v7, v3, v5
	v_mul_f32_e32 v5, v8, v5
	v_fma_f32 v7, v8, v4, -v7
	v_fmac_f32_e32 v5, v3, v4
	buffer_store_dword v7, off, s[0:3], 0 offset:184
	buffer_store_dword v5, off, s[0:3], 0 offset:188
.LBB126_107:
	s_or_b64 exec, exec, s[4:5]
	s_waitcnt lgkmcnt(0)
	; wave barrier
	buffer_load_dword v4, off, s[0:3], 0 offset:192
	buffer_load_dword v5, off, s[0:3], 0 offset:196
	v_cmp_gt_u32_e32 vcc, 24, v0
	s_waitcnt vmcnt(0)
	ds_write_b64 v1, v[4:5]
	;; [unrolled: 51-line block ×39, first 2 shown]
	s_waitcnt lgkmcnt(0)
	; wave barrier
	s_waitcnt lgkmcnt(0)
	s_and_saveexec_b64 s[4:5], vcc
	s_cbranch_execz .LBB126_259
; %bb.256:
	v_add_u32_e32 v4, -1, v0
	v_or_b32_e32 v5, 0x200, v6
	v_add_u32_e32 v7, 0, v6
	s_mov_b64 s[6:7], 0
	v_mov_b32_e32 v3, 0
	v_mov_b32_e32 v8, 0
.LBB126_257:                            ; =>This Inner Loop Header: Depth=1
	buffer_load_dword v9, v7, s[0:3], 0 offen offset:4
	buffer_load_dword v12, v7, s[0:3], 0 offen
	ds_read_b64 v[10:11], v5
	v_add_u32_e32 v4, 1, v4
	v_cmp_lt_u32_e32 vcc, 59, v4
	v_add_u32_e32 v5, 8, v5
	v_add_u32_e32 v7, 8, v7
	s_or_b64 s[6:7], vcc, s[6:7]
	s_waitcnt vmcnt(1) lgkmcnt(0)
	v_mul_f32_e32 v13, v11, v9
	v_mul_f32_e32 v9, v10, v9
	s_waitcnt vmcnt(0)
	v_fma_f32 v10, v10, v12, -v13
	v_fmac_f32_e32 v9, v11, v12
	v_add_f32_e32 v8, v8, v10
	v_add_f32_e32 v3, v3, v9
	s_andn2_b64 exec, exec, s[6:7]
	s_cbranch_execnz .LBB126_257
; %bb.258:
	s_or_b64 exec, exec, s[6:7]
	v_mov_b32_e32 v4, 0
	ds_read_b64 v[4:5], v4 offset:488
	s_waitcnt lgkmcnt(0)
	v_mul_f32_e32 v7, v3, v5
	v_mul_f32_e32 v5, v8, v5
	v_fma_f32 v7, v8, v4, -v7
	v_fmac_f32_e32 v5, v3, v4
	buffer_store_dword v7, off, s[0:3], 0 offset:488
	buffer_store_dword v5, off, s[0:3], 0 offset:492
.LBB126_259:
	s_or_b64 exec, exec, s[4:5]
	s_waitcnt lgkmcnt(0)
	; wave barrier
	buffer_load_dword v4, off, s[0:3], 0 offset:496
	buffer_load_dword v5, off, s[0:3], 0 offset:500
	v_cmp_ne_u32_e32 vcc, 62, v0
	s_waitcnt vmcnt(0)
	ds_write_b64 v1, v[4:5]
	s_waitcnt lgkmcnt(0)
	; wave barrier
	s_waitcnt lgkmcnt(0)
	s_and_saveexec_b64 s[4:5], vcc
	s_cbranch_execz .LBB126_263
; %bb.260:
	v_or_b32_e32 v3, 0x200, v6
	v_add_u32_e32 v4, 0, v6
	s_mov_b64 s[6:7], 0
	v_mov_b32_e32 v1, 0
	v_mov_b32_e32 v5, 0
.LBB126_261:                            ; =>This Inner Loop Header: Depth=1
	buffer_load_dword v8, v4, s[0:3], 0 offen offset:4
	buffer_load_dword v9, v4, s[0:3], 0 offen
	ds_read_b64 v[6:7], v3
	v_add_u32_e32 v2, 1, v2
	v_cmp_lt_u32_e32 vcc, 60, v2
	v_add_u32_e32 v3, 8, v3
	v_add_u32_e32 v4, 8, v4
	s_or_b64 s[6:7], vcc, s[6:7]
	s_waitcnt vmcnt(1) lgkmcnt(0)
	v_mul_f32_e32 v10, v7, v8
	v_mul_f32_e32 v8, v6, v8
	s_waitcnt vmcnt(0)
	v_fma_f32 v6, v6, v9, -v10
	v_fmac_f32_e32 v8, v7, v9
	v_add_f32_e32 v5, v5, v6
	v_add_f32_e32 v1, v1, v8
	s_andn2_b64 exec, exec, s[6:7]
	s_cbranch_execnz .LBB126_261
; %bb.262:
	s_or_b64 exec, exec, s[6:7]
	v_mov_b32_e32 v2, 0
	ds_read_b64 v[2:3], v2 offset:496
	s_waitcnt lgkmcnt(0)
	v_mul_f32_e32 v4, v1, v3
	v_mul_f32_e32 v3, v5, v3
	v_fma_f32 v4, v5, v2, -v4
	v_fmac_f32_e32 v3, v1, v2
	buffer_store_dword v4, off, s[0:3], 0 offset:496
	buffer_store_dword v3, off, s[0:3], 0 offset:500
.LBB126_263:
	s_or_b64 exec, exec, s[4:5]
	s_mov_b64 s[6:7], -1
	s_waitcnt lgkmcnt(0)
	; wave barrier
.LBB126_264:
	s_and_b64 vcc, exec, s[6:7]
	s_cbranch_vccz .LBB126_266
; %bb.265:
	s_lshl_b64 s[4:5], s[8:9], 2
	s_add_u32 s4, s14, s4
	s_addc_u32 s5, s15, s5
	v_mov_b32_e32 v1, 0
	global_load_dword v1, v1, s[4:5]
	s_waitcnt vmcnt(0)
	v_cmp_ne_u32_e32 vcc, 0, v1
	s_cbranch_vccz .LBB126_267
.LBB126_266:
	s_endpgm
.LBB126_267:
	v_mov_b32_e32 v1, 0x200
	v_lshl_or_b32 v217, v0, 3, v1
	v_cmp_eq_u32_e32 vcc, 62, v0
	s_and_saveexec_b64 s[4:5], vcc
	s_cbranch_execz .LBB126_269
; %bb.268:
	buffer_load_dword v2, off, s[0:3], 0 offset:488
	buffer_load_dword v3, off, s[0:3], 0 offset:492
	v_mov_b32_e32 v1, 0
	buffer_store_dword v1, off, s[0:3], 0 offset:488
	buffer_store_dword v1, off, s[0:3], 0 offset:492
	s_waitcnt vmcnt(2)
	ds_write_b64 v217, v[2:3]
.LBB126_269:
	s_or_b64 exec, exec, s[4:5]
	s_waitcnt lgkmcnt(0)
	; wave barrier
	s_waitcnt lgkmcnt(0)
	buffer_load_dword v3, off, s[0:3], 0 offset:500
	buffer_load_dword v2, off, s[0:3], 0 offset:496
	;; [unrolled: 1-line block ×4, first 2 shown]
	v_mov_b32_e32 v1, 0
	ds_read_b64 v[6:7], v1 offset:1008
	v_cmp_lt_u32_e32 vcc, 60, v0
	s_waitcnt vmcnt(3)
	v_mov_b32_e32 v8, v3
	s_waitcnt lgkmcnt(0)
	v_pk_mul_f32 v[8:9], v[6:7], v[8:9] op_sel_hi:[1,0]
	s_waitcnt vmcnt(2)
	v_pk_fma_f32 v[10:11], v[6:7], v[2:3], v[8:9] op_sel:[0,0,1] op_sel_hi:[1,1,0] neg_lo:[0,0,1] neg_hi:[0,0,1]
	v_pk_fma_f32 v[2:3], v[6:7], v[2:3], v[8:9] op_sel:[0,0,1] op_sel_hi:[1,0,0]
	v_mov_b32_e32 v11, v3
	v_pk_add_f32 v[2:3], v[10:11], 0 op_sel_hi:[1,0]
	s_waitcnt vmcnt(0)
	v_pk_add_f32 v[2:3], v[4:5], v[2:3] neg_lo:[0,1] neg_hi:[0,1]
	buffer_store_dword v2, off, s[0:3], 0 offset:488
	buffer_store_dword v3, off, s[0:3], 0 offset:492
	s_and_saveexec_b64 s[4:5], vcc
	s_cbranch_execz .LBB126_271
; %bb.270:
	buffer_load_dword v2, off, s[0:3], 0 offset:480
	buffer_load_dword v3, off, s[0:3], 0 offset:484
	s_waitcnt vmcnt(0)
	ds_write_b64 v217, v[2:3]
	buffer_store_dword v1, off, s[0:3], 0 offset:480
	buffer_store_dword v1, off, s[0:3], 0 offset:484
.LBB126_271:
	s_or_b64 exec, exec, s[4:5]
	s_waitcnt lgkmcnt(0)
	; wave barrier
	s_waitcnt lgkmcnt(0)
	buffer_load_dword v7, off, s[0:3], 0 offset:492
	buffer_load_dword v9, off, s[0:3], 0 offset:500
	;; [unrolled: 1-line block ×6, first 2 shown]
	ds_read2_b64 v[2:5], v1 offset0:125 offset1:126
	v_cmp_lt_u32_e32 vcc, 59, v0
	s_waitcnt vmcnt(5)
	v_mov_b32_e32 v12, v7
	s_waitcnt vmcnt(4)
	v_mov_b32_e32 v14, v9
	s_waitcnt lgkmcnt(0)
	v_pk_mul_f32 v[12:13], v[2:3], v[12:13] op_sel_hi:[1,0]
	v_pk_mul_f32 v[14:15], v[4:5], v[14:15] op_sel_hi:[1,0]
	s_waitcnt vmcnt(3)
	v_pk_fma_f32 v[16:17], v[2:3], v[6:7], v[12:13] op_sel:[0,0,1] op_sel_hi:[1,1,0] neg_lo:[0,0,1] neg_hi:[0,0,1]
	v_pk_fma_f32 v[2:3], v[2:3], v[6:7], v[12:13] op_sel:[0,0,1] op_sel_hi:[1,0,0]
	s_waitcnt vmcnt(2)
	v_pk_fma_f32 v[6:7], v[4:5], v[8:9], v[14:15] op_sel:[0,0,1] op_sel_hi:[1,1,0] neg_lo:[0,0,1] neg_hi:[0,0,1]
	v_pk_fma_f32 v[4:5], v[4:5], v[8:9], v[14:15] op_sel:[0,0,1] op_sel_hi:[1,0,0]
	v_mov_b32_e32 v17, v3
	v_mov_b32_e32 v7, v5
	v_pk_add_f32 v[2:3], v[16:17], 0 op_sel_hi:[1,0]
	v_pk_add_f32 v[2:3], v[2:3], v[6:7]
	s_waitcnt vmcnt(0)
	v_pk_add_f32 v[2:3], v[10:11], v[2:3] neg_lo:[0,1] neg_hi:[0,1]
	buffer_store_dword v2, off, s[0:3], 0 offset:480
	buffer_store_dword v3, off, s[0:3], 0 offset:484
	s_and_saveexec_b64 s[4:5], vcc
	s_cbranch_execz .LBB126_273
; %bb.272:
	buffer_load_dword v2, off, s[0:3], 0 offset:472
	buffer_load_dword v3, off, s[0:3], 0 offset:476
	v_mov_b32_e32 v1, 0
	buffer_store_dword v1, off, s[0:3], 0 offset:472
	buffer_store_dword v1, off, s[0:3], 0 offset:476
	s_waitcnt vmcnt(2)
	ds_write_b64 v217, v[2:3]
.LBB126_273:
	s_or_b64 exec, exec, s[4:5]
	s_waitcnt lgkmcnt(0)
	; wave barrier
	s_waitcnt lgkmcnt(0)
	buffer_load_dword v7, off, s[0:3], 0 offset:484
	buffer_load_dword v9, off, s[0:3], 0 offset:492
	;; [unrolled: 1-line block ×8, first 2 shown]
	v_mov_b32_e32 v1, 0
	ds_read_b128 v[2:5], v1 offset:992
	ds_read_b64 v[14:15], v1 offset:1008
	v_cmp_lt_u32_e32 vcc, 58, v0
	s_waitcnt vmcnt(7)
	v_mov_b32_e32 v16, v7
	s_waitcnt vmcnt(6)
	v_mov_b32_e32 v18, v9
	s_waitcnt lgkmcnt(1)
	v_pk_mul_f32 v[16:17], v[2:3], v[16:17] op_sel_hi:[1,0]
	s_waitcnt vmcnt(5)
	v_mov_b32_e32 v20, v11
	v_pk_mul_f32 v[18:19], v[4:5], v[18:19] op_sel_hi:[1,0]
	s_waitcnt vmcnt(4)
	v_pk_fma_f32 v[22:23], v[2:3], v[6:7], v[16:17] op_sel:[0,0,1] op_sel_hi:[1,1,0] neg_lo:[0,0,1] neg_hi:[0,0,1]
	v_pk_fma_f32 v[2:3], v[2:3], v[6:7], v[16:17] op_sel:[0,0,1] op_sel_hi:[1,0,0]
	s_waitcnt lgkmcnt(0)
	v_pk_mul_f32 v[20:21], v[14:15], v[20:21] op_sel_hi:[1,0]
	s_waitcnt vmcnt(3)
	v_pk_fma_f32 v[6:7], v[4:5], v[8:9], v[18:19] op_sel:[0,0,1] op_sel_hi:[1,1,0] neg_lo:[0,0,1] neg_hi:[0,0,1]
	v_pk_fma_f32 v[4:5], v[4:5], v[8:9], v[18:19] op_sel:[0,0,1] op_sel_hi:[1,0,0]
	v_mov_b32_e32 v23, v3
	s_waitcnt vmcnt(2)
	v_pk_fma_f32 v[8:9], v[14:15], v[10:11], v[20:21] op_sel:[0,0,1] op_sel_hi:[1,1,0] neg_lo:[0,0,1] neg_hi:[0,0,1]
	v_pk_fma_f32 v[10:11], v[14:15], v[10:11], v[20:21] op_sel:[0,0,1] op_sel_hi:[1,0,0]
	v_mov_b32_e32 v7, v5
	v_pk_add_f32 v[2:3], v[22:23], 0 op_sel_hi:[1,0]
	v_mov_b32_e32 v9, v11
	v_pk_add_f32 v[2:3], v[2:3], v[6:7]
	v_pk_add_f32 v[2:3], v[2:3], v[8:9]
	s_waitcnt vmcnt(0)
	v_pk_add_f32 v[2:3], v[12:13], v[2:3] neg_lo:[0,1] neg_hi:[0,1]
	buffer_store_dword v2, off, s[0:3], 0 offset:472
	buffer_store_dword v3, off, s[0:3], 0 offset:476
	s_and_saveexec_b64 s[4:5], vcc
	s_cbranch_execz .LBB126_275
; %bb.274:
	buffer_load_dword v2, off, s[0:3], 0 offset:464
	buffer_load_dword v3, off, s[0:3], 0 offset:468
	s_waitcnt vmcnt(0)
	ds_write_b64 v217, v[2:3]
	buffer_store_dword v1, off, s[0:3], 0 offset:464
	buffer_store_dword v1, off, s[0:3], 0 offset:468
.LBB126_275:
	s_or_b64 exec, exec, s[4:5]
	s_waitcnt lgkmcnt(0)
	; wave barrier
	s_waitcnt lgkmcnt(0)
	buffer_load_dword v11, off, s[0:3], 0 offset:476
	buffer_load_dword v13, off, s[0:3], 0 offset:484
	;; [unrolled: 1-line block ×10, first 2 shown]
	ds_read2_b64 v[2:5], v1 offset0:123 offset1:124
	ds_read2_b64 v[6:9], v1 offset0:125 offset1:126
	v_cmp_lt_u32_e32 vcc, 57, v0
	s_waitcnt vmcnt(9)
	v_mov_b32_e32 v20, v11
	s_waitcnt vmcnt(8)
	v_mov_b32_e32 v22, v13
	s_waitcnt lgkmcnt(1)
	v_pk_mul_f32 v[20:21], v[2:3], v[20:21] op_sel_hi:[1,0]
	s_waitcnt vmcnt(7)
	v_mov_b32_e32 v24, v15
	v_pk_mul_f32 v[22:23], v[4:5], v[22:23] op_sel_hi:[1,0]
	s_waitcnt vmcnt(5)
	v_pk_fma_f32 v[28:29], v[2:3], v[10:11], v[20:21] op_sel:[0,0,1] op_sel_hi:[1,1,0] neg_lo:[0,0,1] neg_hi:[0,0,1]
	v_pk_fma_f32 v[2:3], v[2:3], v[10:11], v[20:21] op_sel:[0,0,1] op_sel_hi:[1,0,0]
	v_mov_b32_e32 v26, v17
	s_waitcnt lgkmcnt(0)
	v_pk_mul_f32 v[24:25], v[6:7], v[24:25] op_sel_hi:[1,0]
	s_waitcnt vmcnt(4)
	v_pk_fma_f32 v[10:11], v[4:5], v[12:13], v[22:23] op_sel:[0,0,1] op_sel_hi:[1,1,0] neg_lo:[0,0,1] neg_hi:[0,0,1]
	v_pk_fma_f32 v[4:5], v[4:5], v[12:13], v[22:23] op_sel:[0,0,1] op_sel_hi:[1,0,0]
	v_mov_b32_e32 v29, v3
	v_pk_mul_f32 v[26:27], v[8:9], v[26:27] op_sel_hi:[1,0]
	s_waitcnt vmcnt(3)
	v_pk_fma_f32 v[12:13], v[6:7], v[14:15], v[24:25] op_sel:[0,0,1] op_sel_hi:[1,1,0] neg_lo:[0,0,1] neg_hi:[0,0,1]
	v_pk_fma_f32 v[6:7], v[6:7], v[14:15], v[24:25] op_sel:[0,0,1] op_sel_hi:[1,0,0]
	v_mov_b32_e32 v11, v5
	v_pk_add_f32 v[2:3], v[28:29], 0 op_sel_hi:[1,0]
	s_waitcnt vmcnt(2)
	v_pk_fma_f32 v[14:15], v[8:9], v[16:17], v[26:27] op_sel:[0,0,1] op_sel_hi:[1,1,0] neg_lo:[0,0,1] neg_hi:[0,0,1]
	v_pk_fma_f32 v[8:9], v[8:9], v[16:17], v[26:27] op_sel:[0,0,1] op_sel_hi:[1,0,0]
	v_mov_b32_e32 v13, v7
	v_pk_add_f32 v[2:3], v[2:3], v[10:11]
	v_mov_b32_e32 v15, v9
	v_pk_add_f32 v[2:3], v[2:3], v[12:13]
	v_pk_add_f32 v[2:3], v[2:3], v[14:15]
	s_waitcnt vmcnt(0)
	v_pk_add_f32 v[2:3], v[18:19], v[2:3] neg_lo:[0,1] neg_hi:[0,1]
	buffer_store_dword v2, off, s[0:3], 0 offset:464
	buffer_store_dword v3, off, s[0:3], 0 offset:468
	s_and_saveexec_b64 s[4:5], vcc
	s_cbranch_execz .LBB126_277
; %bb.276:
	buffer_load_dword v2, off, s[0:3], 0 offset:456
	buffer_load_dword v3, off, s[0:3], 0 offset:460
	v_mov_b32_e32 v1, 0
	buffer_store_dword v1, off, s[0:3], 0 offset:456
	buffer_store_dword v1, off, s[0:3], 0 offset:460
	s_waitcnt vmcnt(2)
	ds_write_b64 v217, v[2:3]
.LBB126_277:
	s_or_b64 exec, exec, s[4:5]
	s_waitcnt lgkmcnt(0)
	; wave barrier
	s_waitcnt lgkmcnt(0)
	buffer_load_dword v11, off, s[0:3], 0 offset:468
	buffer_load_dword v13, off, s[0:3], 0 offset:476
	;; [unrolled: 1-line block ×12, first 2 shown]
	v_mov_b32_e32 v1, 0
	ds_read_b128 v[2:5], v1 offset:976
	ds_read_b128 v[6:9], v1 offset:992
	ds_read_b64 v[22:23], v1 offset:1008
	v_cmp_lt_u32_e32 vcc, 56, v0
	s_waitcnt vmcnt(11)
	v_mov_b32_e32 v24, v11
	s_waitcnt vmcnt(10)
	v_mov_b32_e32 v26, v13
	s_waitcnt lgkmcnt(2)
	v_pk_mul_f32 v[24:25], v[2:3], v[24:25] op_sel_hi:[1,0]
	s_waitcnt vmcnt(9)
	v_mov_b32_e32 v28, v15
	v_pk_mul_f32 v[26:27], v[4:5], v[26:27] op_sel_hi:[1,0]
	s_waitcnt vmcnt(6)
	v_pk_fma_f32 v[34:35], v[2:3], v[10:11], v[24:25] op_sel:[0,0,1] op_sel_hi:[1,1,0] neg_lo:[0,0,1] neg_hi:[0,0,1]
	v_pk_fma_f32 v[2:3], v[2:3], v[10:11], v[24:25] op_sel:[0,0,1] op_sel_hi:[1,0,0]
	v_mov_b32_e32 v30, v17
	s_waitcnt lgkmcnt(1)
	v_pk_mul_f32 v[28:29], v[6:7], v[28:29] op_sel_hi:[1,0]
	s_waitcnt vmcnt(5)
	v_pk_fma_f32 v[10:11], v[4:5], v[12:13], v[26:27] op_sel:[0,0,1] op_sel_hi:[1,1,0] neg_lo:[0,0,1] neg_hi:[0,0,1]
	v_pk_fma_f32 v[4:5], v[4:5], v[12:13], v[26:27] op_sel:[0,0,1] op_sel_hi:[1,0,0]
	v_mov_b32_e32 v35, v3
	v_mov_b32_e32 v32, v19
	v_pk_mul_f32 v[30:31], v[8:9], v[30:31] op_sel_hi:[1,0]
	s_waitcnt vmcnt(4)
	v_pk_fma_f32 v[12:13], v[6:7], v[14:15], v[28:29] op_sel:[0,0,1] op_sel_hi:[1,1,0] neg_lo:[0,0,1] neg_hi:[0,0,1]
	v_pk_fma_f32 v[6:7], v[6:7], v[14:15], v[28:29] op_sel:[0,0,1] op_sel_hi:[1,0,0]
	v_mov_b32_e32 v11, v5
	v_pk_add_f32 v[2:3], v[34:35], 0 op_sel_hi:[1,0]
	s_waitcnt lgkmcnt(0)
	v_pk_mul_f32 v[32:33], v[22:23], v[32:33] op_sel_hi:[1,0]
	s_waitcnt vmcnt(3)
	v_pk_fma_f32 v[14:15], v[8:9], v[16:17], v[30:31] op_sel:[0,0,1] op_sel_hi:[1,1,0] neg_lo:[0,0,1] neg_hi:[0,0,1]
	v_pk_fma_f32 v[8:9], v[8:9], v[16:17], v[30:31] op_sel:[0,0,1] op_sel_hi:[1,0,0]
	v_mov_b32_e32 v13, v7
	v_pk_add_f32 v[2:3], v[2:3], v[10:11]
	s_waitcnt vmcnt(2)
	v_pk_fma_f32 v[16:17], v[22:23], v[18:19], v[32:33] op_sel:[0,0,1] op_sel_hi:[1,1,0] neg_lo:[0,0,1] neg_hi:[0,0,1]
	v_pk_fma_f32 v[18:19], v[22:23], v[18:19], v[32:33] op_sel:[0,0,1] op_sel_hi:[1,0,0]
	v_mov_b32_e32 v15, v9
	v_pk_add_f32 v[2:3], v[2:3], v[12:13]
	v_mov_b32_e32 v17, v19
	v_pk_add_f32 v[2:3], v[2:3], v[14:15]
	v_pk_add_f32 v[2:3], v[2:3], v[16:17]
	s_waitcnt vmcnt(0)
	v_pk_add_f32 v[2:3], v[20:21], v[2:3] neg_lo:[0,1] neg_hi:[0,1]
	buffer_store_dword v2, off, s[0:3], 0 offset:456
	buffer_store_dword v3, off, s[0:3], 0 offset:460
	s_and_saveexec_b64 s[4:5], vcc
	s_cbranch_execz .LBB126_279
; %bb.278:
	buffer_load_dword v2, off, s[0:3], 0 offset:448
	buffer_load_dword v3, off, s[0:3], 0 offset:452
	s_waitcnt vmcnt(0)
	ds_write_b64 v217, v[2:3]
	buffer_store_dword v1, off, s[0:3], 0 offset:448
	buffer_store_dword v1, off, s[0:3], 0 offset:452
.LBB126_279:
	s_or_b64 exec, exec, s[4:5]
	s_waitcnt lgkmcnt(0)
	; wave barrier
	s_waitcnt lgkmcnt(0)
	buffer_load_dword v15, off, s[0:3], 0 offset:460
	buffer_load_dword v17, off, s[0:3], 0 offset:468
	;; [unrolled: 1-line block ×14, first 2 shown]
	ds_read2_b64 v[2:5], v1 offset0:121 offset1:122
	ds_read2_b64 v[6:9], v1 offset0:123 offset1:124
	;; [unrolled: 1-line block ×3, first 2 shown]
	v_cmp_lt_u32_e32 vcc, 55, v0
	s_waitcnt vmcnt(13)
	v_mov_b32_e32 v28, v15
	s_waitcnt vmcnt(12)
	v_mov_b32_e32 v30, v17
	s_waitcnt lgkmcnt(2)
	v_pk_mul_f32 v[28:29], v[2:3], v[28:29] op_sel_hi:[1,0]
	s_waitcnt vmcnt(11)
	v_mov_b32_e32 v32, v19
	v_pk_mul_f32 v[30:31], v[4:5], v[30:31] op_sel_hi:[1,0]
	s_waitcnt vmcnt(10)
	v_mov_b32_e32 v34, v21
	s_waitcnt vmcnt(7)
	v_pk_fma_f32 v[40:41], v[2:3], v[14:15], v[28:29] op_sel:[0,0,1] op_sel_hi:[1,1,0] neg_lo:[0,0,1] neg_hi:[0,0,1]
	v_pk_fma_f32 v[2:3], v[2:3], v[14:15], v[28:29] op_sel:[0,0,1] op_sel_hi:[1,0,0]
	s_waitcnt lgkmcnt(1)
	v_pk_mul_f32 v[32:33], v[6:7], v[32:33] op_sel_hi:[1,0]
	s_waitcnt vmcnt(6)
	v_pk_fma_f32 v[14:15], v[4:5], v[16:17], v[30:31] op_sel:[0,0,1] op_sel_hi:[1,1,0] neg_lo:[0,0,1] neg_hi:[0,0,1]
	v_pk_fma_f32 v[4:5], v[4:5], v[16:17], v[30:31] op_sel:[0,0,1] op_sel_hi:[1,0,0]
	v_mov_b32_e32 v41, v3
	v_mov_b32_e32 v36, v23
	v_pk_mul_f32 v[34:35], v[8:9], v[34:35] op_sel_hi:[1,0]
	s_waitcnt vmcnt(5)
	v_pk_fma_f32 v[16:17], v[6:7], v[18:19], v[32:33] op_sel:[0,0,1] op_sel_hi:[1,1,0] neg_lo:[0,0,1] neg_hi:[0,0,1]
	v_pk_fma_f32 v[6:7], v[6:7], v[18:19], v[32:33] op_sel:[0,0,1] op_sel_hi:[1,0,0]
	v_mov_b32_e32 v15, v5
	v_pk_add_f32 v[2:3], v[40:41], 0 op_sel_hi:[1,0]
	v_mov_b32_e32 v38, v25
	s_waitcnt lgkmcnt(0)
	v_pk_mul_f32 v[36:37], v[10:11], v[36:37] op_sel_hi:[1,0]
	s_waitcnt vmcnt(4)
	v_pk_fma_f32 v[18:19], v[8:9], v[20:21], v[34:35] op_sel:[0,0,1] op_sel_hi:[1,1,0] neg_lo:[0,0,1] neg_hi:[0,0,1]
	v_pk_fma_f32 v[8:9], v[8:9], v[20:21], v[34:35] op_sel:[0,0,1] op_sel_hi:[1,0,0]
	v_mov_b32_e32 v17, v7
	v_pk_add_f32 v[2:3], v[2:3], v[14:15]
	v_pk_mul_f32 v[38:39], v[12:13], v[38:39] op_sel_hi:[1,0]
	s_waitcnt vmcnt(3)
	v_pk_fma_f32 v[20:21], v[10:11], v[22:23], v[36:37] op_sel:[0,0,1] op_sel_hi:[1,1,0] neg_lo:[0,0,1] neg_hi:[0,0,1]
	v_pk_fma_f32 v[10:11], v[10:11], v[22:23], v[36:37] op_sel:[0,0,1] op_sel_hi:[1,0,0]
	v_mov_b32_e32 v19, v9
	v_pk_add_f32 v[2:3], v[2:3], v[16:17]
	s_waitcnt vmcnt(2)
	v_pk_fma_f32 v[22:23], v[12:13], v[24:25], v[38:39] op_sel:[0,0,1] op_sel_hi:[1,1,0] neg_lo:[0,0,1] neg_hi:[0,0,1]
	v_pk_fma_f32 v[12:13], v[12:13], v[24:25], v[38:39] op_sel:[0,0,1] op_sel_hi:[1,0,0]
	v_mov_b32_e32 v21, v11
	v_pk_add_f32 v[2:3], v[2:3], v[18:19]
	v_mov_b32_e32 v23, v13
	v_pk_add_f32 v[2:3], v[2:3], v[20:21]
	v_pk_add_f32 v[2:3], v[2:3], v[22:23]
	s_waitcnt vmcnt(0)
	v_pk_add_f32 v[2:3], v[26:27], v[2:3] neg_lo:[0,1] neg_hi:[0,1]
	buffer_store_dword v2, off, s[0:3], 0 offset:448
	buffer_store_dword v3, off, s[0:3], 0 offset:452
	s_and_saveexec_b64 s[4:5], vcc
	s_cbranch_execz .LBB126_281
; %bb.280:
	buffer_load_dword v2, off, s[0:3], 0 offset:440
	buffer_load_dword v3, off, s[0:3], 0 offset:444
	v_mov_b32_e32 v1, 0
	buffer_store_dword v1, off, s[0:3], 0 offset:440
	buffer_store_dword v1, off, s[0:3], 0 offset:444
	s_waitcnt vmcnt(2)
	ds_write_b64 v217, v[2:3]
.LBB126_281:
	s_or_b64 exec, exec, s[4:5]
	s_waitcnt lgkmcnt(0)
	; wave barrier
	s_waitcnt lgkmcnt(0)
	buffer_load_dword v14, off, s[0:3], 0 offset:440
	buffer_load_dword v15, off, s[0:3], 0 offset:444
	;; [unrolled: 1-line block ×16, first 2 shown]
	v_mov_b32_e32 v1, 0
	ds_read_b128 v[2:5], v1 offset:960
	ds_read_b128 v[6:9], v1 offset:976
	ds_read_b128 v[10:13], v1 offset:992
	ds_read_b64 v[30:31], v1 offset:1008
	v_cmp_lt_u32_e32 vcc, 54, v0
	s_waitcnt vmcnt(12)
	v_mov_b32_e32 v32, v17
	s_waitcnt lgkmcnt(3)
	v_pk_mul_f32 v[32:33], v[2:3], v[32:33] op_sel_hi:[1,0]
	v_pk_fma_f32 v[34:35], v[2:3], v[16:17], v[32:33] op_sel:[0,0,1] op_sel_hi:[1,1,0] neg_lo:[0,0,1] neg_hi:[0,0,1]
	v_pk_fma_f32 v[2:3], v[2:3], v[16:17], v[32:33] op_sel:[0,0,1] op_sel_hi:[1,0,0]
	s_waitcnt vmcnt(10)
	v_mov_b32_e32 v16, v19
	v_pk_mul_f32 v[16:17], v[4:5], v[16:17] op_sel_hi:[1,0]
	v_pk_fma_f32 v[32:33], v[4:5], v[18:19], v[16:17] op_sel:[0,0,1] op_sel_hi:[1,1,0] neg_lo:[0,0,1] neg_hi:[0,0,1]
	v_pk_fma_f32 v[4:5], v[4:5], v[18:19], v[16:17] op_sel:[0,0,1] op_sel_hi:[1,0,0]
	s_waitcnt vmcnt(8)
	v_mov_b32_e32 v4, v21
	v_mov_b32_e32 v33, v5
	s_waitcnt lgkmcnt(2)
	v_pk_mul_f32 v[4:5], v[6:7], v[4:5] op_sel_hi:[1,0]
	v_pk_fma_f32 v[16:17], v[6:7], v[20:21], v[4:5] op_sel:[0,0,1] op_sel_hi:[1,1,0] neg_lo:[0,0,1] neg_hi:[0,0,1]
	v_pk_fma_f32 v[4:5], v[6:7], v[20:21], v[4:5] op_sel:[0,0,1] op_sel_hi:[1,0,0]
	s_waitcnt vmcnt(6)
	v_mov_b32_e32 v4, v23
	v_mov_b32_e32 v35, v3
	;; [unrolled: 1-line block ×3, first 2 shown]
	v_pk_mul_f32 v[4:5], v[8:9], v[4:5] op_sel_hi:[1,0]
	v_pk_add_f32 v[2:3], v[34:35], 0 op_sel_hi:[1,0]
	v_pk_fma_f32 v[6:7], v[8:9], v[22:23], v[4:5] op_sel:[0,0,1] op_sel_hi:[1,1,0] neg_lo:[0,0,1] neg_hi:[0,0,1]
	v_pk_fma_f32 v[4:5], v[8:9], v[22:23], v[4:5] op_sel:[0,0,1] op_sel_hi:[1,0,0]
	v_pk_add_f32 v[2:3], v[2:3], v[32:33]
	s_waitcnt vmcnt(4)
	v_mov_b32_e32 v4, v25
	v_pk_add_f32 v[2:3], v[2:3], v[16:17]
	v_mov_b32_e32 v7, v5
	s_waitcnt lgkmcnt(1)
	v_pk_mul_f32 v[4:5], v[10:11], v[4:5] op_sel_hi:[1,0]
	v_pk_add_f32 v[2:3], v[2:3], v[6:7]
	v_pk_fma_f32 v[6:7], v[10:11], v[24:25], v[4:5] op_sel:[0,0,1] op_sel_hi:[1,1,0] neg_lo:[0,0,1] neg_hi:[0,0,1]
	v_pk_fma_f32 v[4:5], v[10:11], v[24:25], v[4:5] op_sel:[0,0,1] op_sel_hi:[1,0,0]
	s_waitcnt vmcnt(2)
	v_mov_b32_e32 v4, v27
	v_mov_b32_e32 v7, v5
	v_pk_mul_f32 v[4:5], v[12:13], v[4:5] op_sel_hi:[1,0]
	v_pk_add_f32 v[2:3], v[2:3], v[6:7]
	v_pk_fma_f32 v[6:7], v[12:13], v[26:27], v[4:5] op_sel:[0,0,1] op_sel_hi:[1,1,0] neg_lo:[0,0,1] neg_hi:[0,0,1]
	v_pk_fma_f32 v[4:5], v[12:13], v[26:27], v[4:5] op_sel:[0,0,1] op_sel_hi:[1,0,0]
	s_waitcnt vmcnt(0)
	v_mov_b32_e32 v4, v29
	v_mov_b32_e32 v7, v5
	s_waitcnt lgkmcnt(0)
	v_pk_mul_f32 v[4:5], v[30:31], v[4:5] op_sel_hi:[1,0]
	v_pk_add_f32 v[2:3], v[2:3], v[6:7]
	v_pk_fma_f32 v[6:7], v[30:31], v[28:29], v[4:5] op_sel:[0,0,1] op_sel_hi:[1,1,0] neg_lo:[0,0,1] neg_hi:[0,0,1]
	v_pk_fma_f32 v[4:5], v[30:31], v[28:29], v[4:5] op_sel:[0,0,1] op_sel_hi:[1,0,0]
	v_mov_b32_e32 v7, v5
	v_pk_add_f32 v[2:3], v[2:3], v[6:7]
	v_pk_add_f32 v[2:3], v[14:15], v[2:3] neg_lo:[0,1] neg_hi:[0,1]
	buffer_store_dword v2, off, s[0:3], 0 offset:440
	buffer_store_dword v3, off, s[0:3], 0 offset:444
	s_and_saveexec_b64 s[4:5], vcc
	s_cbranch_execz .LBB126_283
; %bb.282:
	buffer_load_dword v2, off, s[0:3], 0 offset:432
	buffer_load_dword v3, off, s[0:3], 0 offset:436
	s_waitcnt vmcnt(0)
	ds_write_b64 v217, v[2:3]
	buffer_store_dword v1, off, s[0:3], 0 offset:432
	buffer_store_dword v1, off, s[0:3], 0 offset:436
.LBB126_283:
	s_or_b64 exec, exec, s[4:5]
	s_waitcnt lgkmcnt(0)
	; wave barrier
	s_waitcnt lgkmcnt(0)
	buffer_load_dword v18, off, s[0:3], 0 offset:432
	buffer_load_dword v19, off, s[0:3], 0 offset:436
	;; [unrolled: 1-line block ×16, first 2 shown]
	ds_read2_b64 v[2:5], v1 offset0:119 offset1:120
	buffer_load_dword v35, off, s[0:3], 0 offset:500
	buffer_load_dword v34, off, s[0:3], 0 offset:496
	ds_read2_b64 v[6:9], v1 offset0:121 offset1:122
	ds_read2_b64 v[10:13], v1 offset0:123 offset1:124
	;; [unrolled: 1-line block ×3, first 2 shown]
	v_cmp_lt_u32_e32 vcc, 53, v0
	s_waitcnt vmcnt(14)
	v_mov_b32_e32 v36, v21
	s_waitcnt lgkmcnt(3)
	v_pk_mul_f32 v[36:37], v[2:3], v[36:37] op_sel_hi:[1,0]
	v_pk_fma_f32 v[38:39], v[2:3], v[20:21], v[36:37] op_sel:[0,0,1] op_sel_hi:[1,1,0] neg_lo:[0,0,1] neg_hi:[0,0,1]
	v_pk_fma_f32 v[2:3], v[2:3], v[20:21], v[36:37] op_sel:[0,0,1] op_sel_hi:[1,0,0]
	s_waitcnt vmcnt(12)
	v_mov_b32_e32 v20, v23
	v_pk_mul_f32 v[20:21], v[4:5], v[20:21] op_sel_hi:[1,0]
	v_pk_fma_f32 v[36:37], v[4:5], v[22:23], v[20:21] op_sel:[0,0,1] op_sel_hi:[1,1,0] neg_lo:[0,0,1] neg_hi:[0,0,1]
	v_pk_fma_f32 v[4:5], v[4:5], v[22:23], v[20:21] op_sel:[0,0,1] op_sel_hi:[1,0,0]
	s_waitcnt vmcnt(10)
	v_mov_b32_e32 v4, v25
	v_mov_b32_e32 v37, v5
	s_waitcnt lgkmcnt(2)
	v_pk_mul_f32 v[4:5], v[6:7], v[4:5] op_sel_hi:[1,0]
	v_pk_fma_f32 v[20:21], v[6:7], v[24:25], v[4:5] op_sel:[0,0,1] op_sel_hi:[1,1,0] neg_lo:[0,0,1] neg_hi:[0,0,1]
	v_pk_fma_f32 v[4:5], v[6:7], v[24:25], v[4:5] op_sel:[0,0,1] op_sel_hi:[1,0,0]
	s_waitcnt vmcnt(8)
	v_mov_b32_e32 v4, v27
	v_mov_b32_e32 v39, v3
	;; [unrolled: 1-line block ×3, first 2 shown]
	v_pk_mul_f32 v[4:5], v[8:9], v[4:5] op_sel_hi:[1,0]
	v_pk_add_f32 v[2:3], v[38:39], 0 op_sel_hi:[1,0]
	v_pk_fma_f32 v[6:7], v[8:9], v[26:27], v[4:5] op_sel:[0,0,1] op_sel_hi:[1,1,0] neg_lo:[0,0,1] neg_hi:[0,0,1]
	v_pk_fma_f32 v[4:5], v[8:9], v[26:27], v[4:5] op_sel:[0,0,1] op_sel_hi:[1,0,0]
	v_pk_add_f32 v[2:3], v[2:3], v[36:37]
	s_waitcnt vmcnt(6)
	v_mov_b32_e32 v4, v29
	v_pk_add_f32 v[2:3], v[2:3], v[20:21]
	v_mov_b32_e32 v7, v5
	s_waitcnt lgkmcnt(1)
	v_pk_mul_f32 v[4:5], v[10:11], v[4:5] op_sel_hi:[1,0]
	v_pk_add_f32 v[2:3], v[2:3], v[6:7]
	v_pk_fma_f32 v[6:7], v[10:11], v[28:29], v[4:5] op_sel:[0,0,1] op_sel_hi:[1,1,0] neg_lo:[0,0,1] neg_hi:[0,0,1]
	v_pk_fma_f32 v[4:5], v[10:11], v[28:29], v[4:5] op_sel:[0,0,1] op_sel_hi:[1,0,0]
	s_waitcnt vmcnt(4)
	v_mov_b32_e32 v4, v31
	v_mov_b32_e32 v7, v5
	v_pk_mul_f32 v[4:5], v[12:13], v[4:5] op_sel_hi:[1,0]
	v_pk_add_f32 v[2:3], v[2:3], v[6:7]
	v_pk_fma_f32 v[6:7], v[12:13], v[30:31], v[4:5] op_sel:[0,0,1] op_sel_hi:[1,1,0] neg_lo:[0,0,1] neg_hi:[0,0,1]
	v_pk_fma_f32 v[4:5], v[12:13], v[30:31], v[4:5] op_sel:[0,0,1] op_sel_hi:[1,0,0]
	s_waitcnt vmcnt(2)
	v_mov_b32_e32 v4, v33
	v_mov_b32_e32 v7, v5
	s_waitcnt lgkmcnt(0)
	v_pk_mul_f32 v[4:5], v[14:15], v[4:5] op_sel_hi:[1,0]
	v_pk_add_f32 v[2:3], v[2:3], v[6:7]
	v_pk_fma_f32 v[6:7], v[14:15], v[32:33], v[4:5] op_sel:[0,0,1] op_sel_hi:[1,1,0] neg_lo:[0,0,1] neg_hi:[0,0,1]
	v_pk_fma_f32 v[4:5], v[14:15], v[32:33], v[4:5] op_sel:[0,0,1] op_sel_hi:[1,0,0]
	s_waitcnt vmcnt(1)
	v_mov_b32_e32 v4, v35
	v_mov_b32_e32 v7, v5
	v_pk_mul_f32 v[4:5], v[16:17], v[4:5] op_sel_hi:[1,0]
	v_pk_add_f32 v[2:3], v[2:3], v[6:7]
	s_waitcnt vmcnt(0)
	v_pk_fma_f32 v[6:7], v[16:17], v[34:35], v[4:5] op_sel:[0,0,1] op_sel_hi:[1,1,0] neg_lo:[0,0,1] neg_hi:[0,0,1]
	v_pk_fma_f32 v[4:5], v[16:17], v[34:35], v[4:5] op_sel:[0,0,1] op_sel_hi:[1,0,0]
	v_mov_b32_e32 v7, v5
	v_pk_add_f32 v[2:3], v[2:3], v[6:7]
	v_pk_add_f32 v[2:3], v[18:19], v[2:3] neg_lo:[0,1] neg_hi:[0,1]
	buffer_store_dword v2, off, s[0:3], 0 offset:432
	buffer_store_dword v3, off, s[0:3], 0 offset:436
	s_and_saveexec_b64 s[4:5], vcc
	s_cbranch_execz .LBB126_285
; %bb.284:
	buffer_load_dword v2, off, s[0:3], 0 offset:424
	buffer_load_dword v3, off, s[0:3], 0 offset:428
	v_mov_b32_e32 v1, 0
	buffer_store_dword v1, off, s[0:3], 0 offset:424
	buffer_store_dword v1, off, s[0:3], 0 offset:428
	s_waitcnt vmcnt(2)
	ds_write_b64 v217, v[2:3]
.LBB126_285:
	s_or_b64 exec, exec, s[4:5]
	s_waitcnt lgkmcnt(0)
	; wave barrier
	s_waitcnt lgkmcnt(0)
	buffer_load_dword v38, off, s[0:3], 0 offset:436
	buffer_load_dword v19, off, s[0:3], 0 offset:444
	;; [unrolled: 1-line block ×20, first 2 shown]
	v_mov_b32_e32 v1, 0
	ds_read_b128 v[2:5], v1 offset:944
	ds_read_b128 v[6:9], v1 offset:960
	;; [unrolled: 1-line block ×4, first 2 shown]
	ds_read_b64 v[36:37], v1 offset:1008
	v_cmp_lt_u32_e32 vcc, 52, v0
	s_waitcnt vmcnt(19) lgkmcnt(4)
	v_mul_f32_e32 v39, v2, v38
	v_mul_f32_e32 v38, v3, v38
	s_waitcnt vmcnt(18)
	v_mov_b32_e32 v40, v19
	s_waitcnt vmcnt(17)
	v_mov_b32_e32 v42, v21
	;; [unrolled: 2-line block ×8, first 2 shown]
	s_waitcnt vmcnt(10)
	v_fmac_f32_e32 v39, v3, v41
	v_fma_f32 v38, v2, v41, -v38
	v_pk_mul_f32 v[2:3], v[4:5], v[40:41] op_sel_hi:[1,0]
	s_waitcnt lgkmcnt(3)
	v_pk_mul_f32 v[40:41], v[6:7], v[42:43] op_sel_hi:[1,0]
	v_pk_mul_f32 v[42:43], v[8:9], v[44:45] op_sel_hi:[1,0]
	s_waitcnt lgkmcnt(2)
	v_pk_mul_f32 v[44:45], v[10:11], v[46:47] op_sel_hi:[1,0]
	;; [unrolled: 3-line block ×4, first 2 shown]
	s_waitcnt vmcnt(9)
	v_pk_fma_f32 v[54:55], v[4:5], v[18:19], v[2:3] op_sel:[0,0,1] op_sel_hi:[1,1,0] neg_lo:[0,0,1] neg_hi:[0,0,1]
	v_pk_fma_f32 v[2:3], v[4:5], v[18:19], v[2:3] op_sel:[0,0,1] op_sel_hi:[1,0,0]
	v_pk_add_f32 v[38:39], v[38:39], 0 op_sel_hi:[1,0]
	s_waitcnt vmcnt(8)
	v_pk_fma_f32 v[4:5], v[6:7], v[20:21], v[40:41] op_sel:[0,0,1] op_sel_hi:[1,1,0] neg_lo:[0,0,1] neg_hi:[0,0,1]
	v_pk_fma_f32 v[6:7], v[6:7], v[20:21], v[40:41] op_sel:[0,0,1] op_sel_hi:[1,0,0]
	v_mov_b32_e32 v55, v3
	s_waitcnt vmcnt(7)
	v_pk_fma_f32 v[18:19], v[8:9], v[22:23], v[42:43] op_sel:[0,0,1] op_sel_hi:[1,1,0] neg_lo:[0,0,1] neg_hi:[0,0,1]
	v_pk_fma_f32 v[8:9], v[8:9], v[22:23], v[42:43] op_sel:[0,0,1] op_sel_hi:[1,0,0]
	v_mov_b32_e32 v5, v7
	v_pk_add_f32 v[2:3], v[38:39], v[54:55]
	s_waitcnt vmcnt(6)
	v_pk_fma_f32 v[20:21], v[10:11], v[24:25], v[44:45] op_sel:[0,0,1] op_sel_hi:[1,1,0] neg_lo:[0,0,1] neg_hi:[0,0,1]
	v_pk_fma_f32 v[10:11], v[10:11], v[24:25], v[44:45] op_sel:[0,0,1] op_sel_hi:[1,0,0]
	v_mov_b32_e32 v19, v9
	v_pk_add_f32 v[2:3], v[2:3], v[4:5]
	;; [unrolled: 5-line block ×5, first 2 shown]
	v_pk_fma_f32 v[28:29], v[36:37], v[32:33], v[52:53] op_sel:[0,0,1] op_sel_hi:[1,1,0] neg_lo:[0,0,1] neg_hi:[0,0,1]
	v_pk_fma_f32 v[30:31], v[36:37], v[32:33], v[52:53] op_sel:[0,0,1] op_sel_hi:[1,0,0]
	v_mov_b32_e32 v27, v17
	v_pk_add_f32 v[2:3], v[2:3], v[24:25]
	v_mov_b32_e32 v29, v31
	v_pk_add_f32 v[2:3], v[2:3], v[26:27]
	v_pk_add_f32 v[2:3], v[2:3], v[28:29]
	s_waitcnt vmcnt(0)
	v_pk_add_f32 v[2:3], v[34:35], v[2:3] neg_lo:[0,1] neg_hi:[0,1]
	buffer_store_dword v2, off, s[0:3], 0 offset:424
	buffer_store_dword v3, off, s[0:3], 0 offset:428
	s_and_saveexec_b64 s[4:5], vcc
	s_cbranch_execz .LBB126_287
; %bb.286:
	buffer_load_dword v2, off, s[0:3], 0 offset:416
	buffer_load_dword v3, off, s[0:3], 0 offset:420
	s_waitcnt vmcnt(0)
	ds_write_b64 v217, v[2:3]
	buffer_store_dword v1, off, s[0:3], 0 offset:416
	buffer_store_dword v1, off, s[0:3], 0 offset:420
.LBB126_287:
	s_or_b64 exec, exec, s[4:5]
	s_waitcnt lgkmcnt(0)
	; wave barrier
	s_waitcnt lgkmcnt(0)
	buffer_load_dword v40, off, s[0:3], 0 offset:428
	buffer_load_dword v42, off, s[0:3], 0 offset:436
	;; [unrolled: 1-line block ×22, first 2 shown]
	ds_read2_b64 v[2:5], v1 offset0:117 offset1:118
	ds_read2_b64 v[6:9], v1 offset0:119 offset1:120
	;; [unrolled: 1-line block ×5, first 2 shown]
	v_cmp_lt_u32_e32 vcc, 51, v0
	s_waitcnt vmcnt(21) lgkmcnt(4)
	v_mul_f32_e32 v41, v2, v40
	v_mul_f32_e32 v1, v3, v40
	s_waitcnt vmcnt(19)
	v_mov_b32_e32 v44, v23
	v_mul_f32_e32 v43, v4, v42
	v_mul_f32_e32 v42, v5, v42
	s_waitcnt vmcnt(18)
	v_mov_b32_e32 v46, v25
	s_waitcnt vmcnt(17)
	v_mov_b32_e32 v48, v27
	;; [unrolled: 2-line block ×6, first 2 shown]
	s_waitcnt vmcnt(11)
	v_fmac_f32_e32 v41, v3, v45
	v_fma_f32 v40, v2, v45, -v1
	s_waitcnt lgkmcnt(3)
	v_pk_mul_f32 v[2:3], v[6:7], v[44:45] op_sel_hi:[1,0]
	s_waitcnt vmcnt(10)
	v_fmac_f32_e32 v43, v5, v47
	v_fma_f32 v42, v4, v47, -v42
	v_pk_mul_f32 v[4:5], v[8:9], v[46:47] op_sel_hi:[1,0]
	s_waitcnt lgkmcnt(2)
	v_pk_mul_f32 v[44:45], v[10:11], v[48:49] op_sel_hi:[1,0]
	v_pk_mul_f32 v[46:47], v[12:13], v[50:51] op_sel_hi:[1,0]
	s_waitcnt lgkmcnt(1)
	v_pk_mul_f32 v[48:49], v[14:15], v[52:53] op_sel_hi:[1,0]
	v_pk_mul_f32 v[50:51], v[16:17], v[54:55] op_sel_hi:[1,0]
	s_waitcnt lgkmcnt(0)
	v_pk_mul_f32 v[52:53], v[18:19], v[56:57] op_sel_hi:[1,0]
	v_pk_add_f32 v[40:41], v[40:41], 0 op_sel_hi:[1,0]
	s_waitcnt vmcnt(9)
	v_pk_fma_f32 v[56:57], v[6:7], v[22:23], v[2:3] op_sel:[0,0,1] op_sel_hi:[1,1,0] neg_lo:[0,0,1] neg_hi:[0,0,1]
	v_pk_fma_f32 v[2:3], v[6:7], v[22:23], v[2:3] op_sel:[0,0,1] op_sel_hi:[1,0,0]
	s_waitcnt vmcnt(8)
	v_pk_fma_f32 v[6:7], v[8:9], v[24:25], v[4:5] op_sel:[0,0,1] op_sel_hi:[1,1,0] neg_lo:[0,0,1] neg_hi:[0,0,1]
	v_pk_fma_f32 v[4:5], v[8:9], v[24:25], v[4:5] op_sel:[0,0,1] op_sel_hi:[1,0,0]
	;; [unrolled: 3-line block ×4, first 2 shown]
	v_pk_add_f32 v[32:33], v[40:41], v[42:43]
	v_mov_b32_e32 v57, v3
	v_mov_b32_e32 v7, v5
	v_pk_add_f32 v[2:3], v[32:33], v[56:57]
	v_pk_fma_f32 v[22:23], v[12:13], v[28:29], v[46:47] op_sel:[0,0,1] op_sel_hi:[1,1,0] neg_lo:[0,0,1] neg_hi:[0,0,1]
	v_pk_fma_f32 v[12:13], v[12:13], v[28:29], v[46:47] op_sel:[0,0,1] op_sel_hi:[1,0,0]
	v_mov_b32_e32 v9, v11
	v_pk_add_f32 v[2:3], v[2:3], v[6:7]
	v_pk_fma_f32 v[24:25], v[14:15], v[30:31], v[48:49] op_sel:[0,0,1] op_sel_hi:[1,1,0] neg_lo:[0,0,1] neg_hi:[0,0,1]
	v_pk_fma_f32 v[14:15], v[14:15], v[30:31], v[48:49] op_sel:[0,0,1] op_sel_hi:[1,0,0]
	v_mov_b32_e32 v23, v13
	v_pk_add_f32 v[2:3], v[2:3], v[8:9]
	v_mov_b32_e32 v58, v37
	v_mov_b32_e32 v25, v15
	v_pk_add_f32 v[2:3], v[2:3], v[22:23]
	v_pk_mul_f32 v[54:55], v[20:21], v[58:59] op_sel_hi:[1,0]
	v_pk_fma_f32 v[28:29], v[18:19], v[34:35], v[52:53] op_sel:[0,0,1] op_sel_hi:[1,1,0] neg_lo:[0,0,1] neg_hi:[0,0,1]
	v_pk_fma_f32 v[18:19], v[18:19], v[34:35], v[52:53] op_sel:[0,0,1] op_sel_hi:[1,0,0]
	v_mov_b32_e32 v27, v17
	v_pk_add_f32 v[2:3], v[2:3], v[24:25]
	v_pk_fma_f32 v[30:31], v[20:21], v[36:37], v[54:55] op_sel:[0,0,1] op_sel_hi:[1,1,0] neg_lo:[0,0,1] neg_hi:[0,0,1]
	v_pk_fma_f32 v[20:21], v[20:21], v[36:37], v[54:55] op_sel:[0,0,1] op_sel_hi:[1,0,0]
	v_mov_b32_e32 v29, v19
	v_pk_add_f32 v[2:3], v[2:3], v[26:27]
	v_mov_b32_e32 v31, v21
	v_pk_add_f32 v[2:3], v[2:3], v[28:29]
	v_pk_add_f32 v[2:3], v[2:3], v[30:31]
	s_waitcnt vmcnt(0)
	v_pk_add_f32 v[2:3], v[38:39], v[2:3] neg_lo:[0,1] neg_hi:[0,1]
	buffer_store_dword v2, off, s[0:3], 0 offset:416
	buffer_store_dword v3, off, s[0:3], 0 offset:420
	s_and_saveexec_b64 s[4:5], vcc
	s_cbranch_execz .LBB126_289
; %bb.288:
	buffer_load_dword v2, off, s[0:3], 0 offset:408
	buffer_load_dword v3, off, s[0:3], 0 offset:412
	v_mov_b32_e32 v1, 0
	buffer_store_dword v1, off, s[0:3], 0 offset:408
	buffer_store_dword v1, off, s[0:3], 0 offset:412
	s_waitcnt vmcnt(2)
	ds_write_b64 v217, v[2:3]
.LBB126_289:
	s_or_b64 exec, exec, s[4:5]
	s_waitcnt lgkmcnt(0)
	; wave barrier
	s_waitcnt lgkmcnt(0)
	buffer_load_dword v42, off, s[0:3], 0 offset:420
	buffer_load_dword v44, off, s[0:3], 0 offset:428
	;; [unrolled: 1-line block ×24, first 2 shown]
	v_mov_b32_e32 v1, 0
	ds_read_b128 v[2:5], v1 offset:928
	ds_read_b128 v[6:9], v1 offset:944
	;; [unrolled: 1-line block ×5, first 2 shown]
	ds_read_b64 v[40:41], v1 offset:1008
	v_cmp_lt_u32_e32 vcc, 50, v0
	s_waitcnt vmcnt(23) lgkmcnt(5)
	v_mul_f32_e32 v55, v2, v42
	v_mul_f32_e32 v42, v3, v42
	s_waitcnt vmcnt(22)
	v_mul_f32_e32 v43, v4, v44
	s_waitcnt vmcnt(21) lgkmcnt(4)
	v_mul_f32_e32 v45, v6, v46
	v_mul_f32_e32 v44, v5, v44
	;; [unrolled: 1-line block ×3, first 2 shown]
	s_waitcnt vmcnt(20)
	v_mov_b32_e32 v46, v23
	s_waitcnt vmcnt(19)
	v_mov_b32_e32 v48, v25
	;; [unrolled: 2-line block ×5, first 2 shown]
	s_waitcnt vmcnt(12)
	v_fmac_f32_e32 v55, v3, v47
	v_fma_f32 v57, v2, v47, -v42
	v_mov_b32_e32 v56, v33
	s_waitcnt vmcnt(11)
	v_fmac_f32_e32 v43, v5, v49
	s_waitcnt vmcnt(10)
	v_fmac_f32_e32 v45, v7, v51
	v_fma_f32 v42, v4, v49, -v44
	v_fma_f32 v44, v6, v51, -v53
	v_pk_mul_f32 v[2:3], v[8:9], v[46:47] op_sel_hi:[1,0]
	s_waitcnt lgkmcnt(3)
	v_pk_mul_f32 v[4:5], v[10:11], v[48:49] op_sel_hi:[1,0]
	v_pk_mul_f32 v[6:7], v[12:13], v[50:51] op_sel_hi:[1,0]
	s_waitcnt lgkmcnt(2)
	v_pk_mul_f32 v[46:47], v[14:15], v[52:53] op_sel_hi:[1,0]
	v_pk_mul_f32 v[48:49], v[16:17], v[54:55] op_sel_hi:[1,0]
	v_add_f32_e32 v55, 0, v55
	v_add_f32_e32 v54, 0, v57
	s_waitcnt lgkmcnt(1)
	v_pk_mul_f32 v[50:51], v[18:19], v[56:57] op_sel_hi:[1,0]
	s_waitcnt vmcnt(9)
	v_pk_fma_f32 v[56:57], v[8:9], v[22:23], v[2:3] op_sel:[0,0,1] op_sel_hi:[1,1,0] neg_lo:[0,0,1] neg_hi:[0,0,1]
	v_pk_fma_f32 v[2:3], v[8:9], v[22:23], v[2:3] op_sel:[0,0,1] op_sel_hi:[1,0,0]
	s_waitcnt vmcnt(8)
	v_pk_fma_f32 v[8:9], v[10:11], v[24:25], v[4:5] op_sel:[0,0,1] op_sel_hi:[1,1,0] neg_lo:[0,0,1] neg_hi:[0,0,1]
	v_pk_fma_f32 v[4:5], v[10:11], v[24:25], v[4:5] op_sel:[0,0,1] op_sel_hi:[1,0,0]
	;; [unrolled: 3-line block ×4, first 2 shown]
	v_pk_add_f32 v[28:29], v[54:55], v[42:43]
	v_mov_b32_e32 v57, v3
	v_pk_add_f32 v[2:3], v[28:29], v[44:45]
	v_mov_b32_e32 v9, v5
	;; [unrolled: 2-line block ×4, first 2 shown]
	s_waitcnt vmcnt(2)
	v_pk_fma_f32 v[22:23], v[16:17], v[30:31], v[48:49] op_sel:[0,0,1] op_sel_hi:[1,1,0] neg_lo:[0,0,1] neg_hi:[0,0,1]
	v_pk_fma_f32 v[16:17], v[16:17], v[30:31], v[48:49] op_sel:[0,0,1] op_sel_hi:[1,0,0]
	v_mov_b32_e32 v13, v15
	v_pk_add_f32 v[2:3], v[2:3], v[10:11]
	v_mov_b32_e32 v60, v37
	v_pk_mul_f32 v[52:53], v[20:21], v[58:59] op_sel_hi:[1,0]
	v_pk_fma_f32 v[24:25], v[18:19], v[32:33], v[50:51] op_sel:[0,0,1] op_sel_hi:[1,1,0] neg_lo:[0,0,1] neg_hi:[0,0,1]
	v_pk_fma_f32 v[18:19], v[18:19], v[32:33], v[50:51] op_sel:[0,0,1] op_sel_hi:[1,0,0]
	v_mov_b32_e32 v23, v17
	v_pk_add_f32 v[2:3], v[2:3], v[12:13]
	v_pk_fma_f32 v[26:27], v[20:21], v[34:35], v[52:53] op_sel:[0,0,1] op_sel_hi:[1,1,0] neg_lo:[0,0,1] neg_hi:[0,0,1]
	v_pk_fma_f32 v[20:21], v[20:21], v[34:35], v[52:53] op_sel:[0,0,1] op_sel_hi:[1,0,0]
	v_mov_b32_e32 v25, v19
	v_pk_add_f32 v[2:3], v[2:3], v[22:23]
	s_waitcnt lgkmcnt(0)
	v_pk_mul_f32 v[4:5], v[40:41], v[60:61] op_sel_hi:[1,0]
	v_mov_b32_e32 v27, v21
	v_pk_add_f32 v[2:3], v[2:3], v[24:25]
	v_pk_fma_f32 v[6:7], v[40:41], v[36:37], v[4:5] op_sel:[0,0,1] op_sel_hi:[1,1,0] neg_lo:[0,0,1] neg_hi:[0,0,1]
	v_pk_fma_f32 v[4:5], v[40:41], v[36:37], v[4:5] op_sel:[0,0,1] op_sel_hi:[1,0,0]
	v_pk_add_f32 v[2:3], v[2:3], v[26:27]
	v_mov_b32_e32 v7, v5
	v_pk_add_f32 v[2:3], v[2:3], v[6:7]
	s_waitcnt vmcnt(0)
	v_pk_add_f32 v[2:3], v[38:39], v[2:3] neg_lo:[0,1] neg_hi:[0,1]
	buffer_store_dword v3, off, s[0:3], 0 offset:412
	buffer_store_dword v2, off, s[0:3], 0 offset:408
	s_and_saveexec_b64 s[4:5], vcc
	s_cbranch_execz .LBB126_291
; %bb.290:
	buffer_load_dword v2, off, s[0:3], 0 offset:400
	buffer_load_dword v3, off, s[0:3], 0 offset:404
	s_waitcnt vmcnt(0)
	ds_write_b64 v217, v[2:3]
	buffer_store_dword v1, off, s[0:3], 0 offset:400
	buffer_store_dword v1, off, s[0:3], 0 offset:404
.LBB126_291:
	s_or_b64 exec, exec, s[4:5]
	s_waitcnt lgkmcnt(0)
	; wave barrier
	s_waitcnt lgkmcnt(0)
	buffer_load_dword v44, off, s[0:3], 0 offset:412
	buffer_load_dword v46, off, s[0:3], 0 offset:420
	;; [unrolled: 1-line block ×26, first 2 shown]
	ds_read2_b64 v[2:5], v1 offset0:115 offset1:116
	ds_read2_b64 v[6:9], v1 offset0:117 offset1:118
	;; [unrolled: 1-line block ×6, first 2 shown]
	v_cmp_lt_u32_e32 vcc, 49, v0
	s_waitcnt vmcnt(25) lgkmcnt(5)
	v_mul_f32_e32 v1, v2, v44
	v_mul_f32_e32 v44, v3, v44
	s_waitcnt vmcnt(24)
	v_mul_f32_e32 v59, v4, v46
	s_waitcnt vmcnt(23) lgkmcnt(4)
	v_mul_f32_e32 v45, v6, v48
	s_waitcnt vmcnt(22)
	v_mul_f32_e32 v47, v8, v49
	v_mul_f32_e32 v46, v5, v46
	;; [unrolled: 1-line block ×4, first 2 shown]
	s_waitcnt vmcnt(21)
	v_mov_b32_e32 v48, v27
	s_waitcnt vmcnt(20)
	v_mov_b32_e32 v50, v29
	;; [unrolled: 2-line block ×3, first 2 shown]
	s_waitcnt vmcnt(15)
	v_fmac_f32_e32 v1, v3, v51
	v_fma_f32 v61, v2, v51, -v44
	v_mov_b32_e32 v52, v31
	s_waitcnt vmcnt(14)
	v_fmac_f32_e32 v59, v5, v53
	s_waitcnt vmcnt(12)
	v_fmac_f32_e32 v47, v9, v57
	v_fma_f32 v62, v4, v53, -v46
	v_fma_f32 v46, v8, v57, -v49
	s_waitcnt lgkmcnt(3)
	v_pk_mul_f32 v[2:3], v[10:11], v[48:49] op_sel_hi:[1,0]
	v_pk_mul_f32 v[4:5], v[12:13], v[50:51] op_sel_hi:[1,0]
	s_waitcnt lgkmcnt(2)
	v_pk_mul_f32 v[8:9], v[16:17], v[54:55] op_sel_hi:[1,0]
	v_add_f32_e32 v1, 0, v1
	v_add_f32_e32 v54, 0, v61
	v_fmac_f32_e32 v45, v7, v55
	v_fma_f32 v44, v6, v55, -v60
	v_pk_mul_f32 v[6:7], v[14:15], v[52:53] op_sel_hi:[1,0]
	s_waitcnt vmcnt(11)
	v_pk_fma_f32 v[52:53], v[10:11], v[26:27], v[2:3] op_sel:[0,0,1] op_sel_hi:[1,1,0] neg_lo:[0,0,1] neg_hi:[0,0,1]
	v_pk_fma_f32 v[2:3], v[10:11], v[26:27], v[2:3] op_sel:[0,0,1] op_sel_hi:[1,0,0]
	s_waitcnt vmcnt(10)
	v_pk_fma_f32 v[10:11], v[12:13], v[28:29], v[4:5] op_sel:[0,0,1] op_sel_hi:[1,1,0] neg_lo:[0,0,1] neg_hi:[0,0,1]
	v_pk_fma_f32 v[4:5], v[12:13], v[28:29], v[4:5] op_sel:[0,0,1] op_sel_hi:[1,0,0]
	v_add_f32_e32 v29, v1, v59
	v_add_f32_e32 v28, v54, v62
	v_mov_b32_e32 v53, v3
	v_pk_add_f32 v[2:3], v[28:29], v[44:45]
	v_pk_add_f32 v[2:3], v[2:3], v[46:47]
	v_mov_b32_e32 v56, v35
	s_waitcnt vmcnt(9)
	v_pk_fma_f32 v[12:13], v[14:15], v[30:31], v[6:7] op_sel:[0,0,1] op_sel_hi:[1,1,0] neg_lo:[0,0,1] neg_hi:[0,0,1]
	v_pk_fma_f32 v[6:7], v[14:15], v[30:31], v[6:7] op_sel:[0,0,1] op_sel_hi:[1,0,0]
	v_mov_b32_e32 v11, v5
	v_pk_add_f32 v[2:3], v[2:3], v[52:53]
	v_mov_b32_e32 v58, v37
	s_waitcnt lgkmcnt(1)
	v_pk_mul_f32 v[48:49], v[18:19], v[56:57] op_sel_hi:[1,0]
	s_waitcnt vmcnt(5)
	v_pk_fma_f32 v[14:15], v[16:17], v[32:33], v[8:9] op_sel:[0,0,1] op_sel_hi:[1,1,0] neg_lo:[0,0,1] neg_hi:[0,0,1]
	v_pk_fma_f32 v[8:9], v[16:17], v[32:33], v[8:9] op_sel:[0,0,1] op_sel_hi:[1,0,0]
	v_mov_b32_e32 v13, v7
	v_pk_add_f32 v[2:3], v[2:3], v[10:11]
	s_waitcnt vmcnt(4)
	v_mov_b32_e32 v4, v39
	v_pk_mul_f32 v[50:51], v[20:21], v[58:59] op_sel_hi:[1,0]
	v_pk_fma_f32 v[16:17], v[18:19], v[34:35], v[48:49] op_sel:[0,0,1] op_sel_hi:[1,1,0] neg_lo:[0,0,1] neg_hi:[0,0,1]
	v_pk_fma_f32 v[18:19], v[18:19], v[34:35], v[48:49] op_sel:[0,0,1] op_sel_hi:[1,0,0]
	v_mov_b32_e32 v15, v9
	v_pk_add_f32 v[2:3], v[2:3], v[12:13]
	s_waitcnt lgkmcnt(0)
	v_pk_mul_f32 v[4:5], v[22:23], v[4:5] op_sel_hi:[1,0]
	v_pk_fma_f32 v[26:27], v[20:21], v[36:37], v[50:51] op_sel:[0,0,1] op_sel_hi:[1,1,0] neg_lo:[0,0,1] neg_hi:[0,0,1]
	v_pk_fma_f32 v[20:21], v[20:21], v[36:37], v[50:51] op_sel:[0,0,1] op_sel_hi:[1,0,0]
	v_mov_b32_e32 v17, v19
	v_pk_add_f32 v[2:3], v[2:3], v[14:15]
	v_pk_fma_f32 v[6:7], v[22:23], v[38:39], v[4:5] op_sel:[0,0,1] op_sel_hi:[1,1,0] neg_lo:[0,0,1] neg_hi:[0,0,1]
	v_pk_fma_f32 v[4:5], v[22:23], v[38:39], v[4:5] op_sel:[0,0,1] op_sel_hi:[1,0,0]
	v_mov_b32_e32 v27, v21
	v_pk_add_f32 v[2:3], v[2:3], v[16:17]
	s_waitcnt vmcnt(3)
	v_mov_b32_e32 v4, v41
	v_pk_add_f32 v[2:3], v[2:3], v[26:27]
	v_mov_b32_e32 v7, v5
	v_pk_mul_f32 v[4:5], v[24:25], v[4:5] op_sel_hi:[1,0]
	v_pk_add_f32 v[2:3], v[2:3], v[6:7]
	s_waitcnt vmcnt(2)
	v_pk_fma_f32 v[6:7], v[24:25], v[40:41], v[4:5] op_sel:[0,0,1] op_sel_hi:[1,1,0] neg_lo:[0,0,1] neg_hi:[0,0,1]
	v_pk_fma_f32 v[4:5], v[24:25], v[40:41], v[4:5] op_sel:[0,0,1] op_sel_hi:[1,0,0]
	v_mov_b32_e32 v7, v5
	v_pk_add_f32 v[2:3], v[2:3], v[6:7]
	s_waitcnt vmcnt(0)
	v_pk_add_f32 v[2:3], v[42:43], v[2:3] neg_lo:[0,1] neg_hi:[0,1]
	buffer_store_dword v3, off, s[0:3], 0 offset:404
	buffer_store_dword v2, off, s[0:3], 0 offset:400
	s_and_saveexec_b64 s[4:5], vcc
	s_cbranch_execz .LBB126_293
; %bb.292:
	buffer_load_dword v2, off, s[0:3], 0 offset:392
	buffer_load_dword v3, off, s[0:3], 0 offset:396
	v_mov_b32_e32 v1, 0
	buffer_store_dword v1, off, s[0:3], 0 offset:392
	buffer_store_dword v1, off, s[0:3], 0 offset:396
	s_waitcnt vmcnt(2)
	ds_write_b64 v217, v[2:3]
.LBB126_293:
	s_or_b64 exec, exec, s[4:5]
	s_waitcnt lgkmcnt(0)
	; wave barrier
	s_waitcnt lgkmcnt(0)
	buffer_load_dword v46, off, s[0:3], 0 offset:404
	buffer_load_dword v48, off, s[0:3], 0 offset:412
	;; [unrolled: 1-line block ×28, first 2 shown]
	v_mov_b32_e32 v1, 0
	ds_read_b128 v[2:5], v1 offset:912
	ds_read_b128 v[6:9], v1 offset:928
	;; [unrolled: 1-line block ×6, first 2 shown]
	ds_read_b64 v[44:45], v1 offset:1008
	v_cmp_lt_u32_e32 vcc, 48, v0
	s_waitcnt vmcnt(27) lgkmcnt(6)
	v_mul_f32_e32 v61, v2, v46
	s_waitcnt vmcnt(26)
	v_mul_f32_e32 v62, v4, v48
	v_mul_f32_e32 v46, v3, v46
	;; [unrolled: 1-line block ×3, first 2 shown]
	s_waitcnt vmcnt(23) lgkmcnt(4)
	v_mul_f32_e32 v49, v10, v52
	v_mul_f32_e32 v63, v6, v50
	;; [unrolled: 1-line block ×6, first 2 shown]
	s_waitcnt vmcnt(22)
	v_mov_b32_e32 v50, v27
	s_waitcnt vmcnt(21)
	v_mov_b32_e32 v52, v29
	s_waitcnt vmcnt(17)
	v_fmac_f32_e32 v61, v3, v53
	s_waitcnt vmcnt(16)
	v_fmac_f32_e32 v62, v5, v55
	;; [unrolled: 2-line block ×3, first 2 shown]
	v_fma_f32 v11, v2, v53, -v46
	v_fma_f32 v53, v4, v55, -v48
	v_pk_mul_f32 v[2:3], v[12:13], v[50:51] op_sel_hi:[1,0]
	s_waitcnt lgkmcnt(3)
	v_pk_mul_f32 v[4:5], v[14:15], v[52:53] op_sel_hi:[1,0]
	v_fma_f32 v46, v8, v59, -v51
	v_fma_f32 v48, v10, v60, -v65
	v_add_f32_e32 v50, 0, v61
	v_add_f32_e32 v51, 0, v11
	s_waitcnt vmcnt(12)
	v_pk_fma_f32 v[10:11], v[12:13], v[26:27], v[2:3] op_sel:[0,0,1] op_sel_hi:[1,1,0] neg_lo:[0,0,1] neg_hi:[0,0,1]
	v_pk_fma_f32 v[2:3], v[12:13], v[26:27], v[2:3] op_sel:[0,0,1] op_sel_hi:[1,0,0]
	s_waitcnt vmcnt(11)
	v_pk_fma_f32 v[12:13], v[14:15], v[28:29], v[4:5] op_sel:[0,0,1] op_sel_hi:[1,1,0] neg_lo:[0,0,1] neg_hi:[0,0,1]
	v_pk_fma_f32 v[4:5], v[14:15], v[28:29], v[4:5] op_sel:[0,0,1] op_sel_hi:[1,0,0]
	v_fmac_f32_e32 v63, v7, v57
	v_fma_f32 v55, v6, v57, -v64
	v_add_f32_e32 v2, v50, v62
	v_add_f32_e32 v4, v51, v53
	v_fmac_f32_e32 v47, v9, v59
	v_mov_b32_e32 v11, v3
	v_add_f32_e32 v3, v2, v63
	v_add_f32_e32 v2, v4, v55
	v_mov_b32_e32 v54, v31
	v_pk_add_f32 v[2:3], v[2:3], v[46:47]
	v_mov_b32_e32 v56, v33
	v_mov_b32_e32 v58, v35
	v_pk_mul_f32 v[6:7], v[16:17], v[54:55] op_sel_hi:[1,0]
	v_pk_add_f32 v[2:3], v[2:3], v[48:49]
	s_waitcnt lgkmcnt(2)
	v_pk_mul_f32 v[8:9], v[18:19], v[56:57] op_sel_hi:[1,0]
	s_waitcnt vmcnt(7)
	v_pk_fma_f32 v[14:15], v[16:17], v[30:31], v[6:7] op_sel:[0,0,1] op_sel_hi:[1,1,0] neg_lo:[0,0,1] neg_hi:[0,0,1]
	v_pk_fma_f32 v[6:7], v[16:17], v[30:31], v[6:7] op_sel:[0,0,1] op_sel_hi:[1,0,0]
	v_mov_b32_e32 v13, v5
	v_pk_add_f32 v[2:3], v[2:3], v[10:11]
	v_pk_mul_f32 v[4:5], v[20:21], v[58:59] op_sel_hi:[1,0]
	v_pk_fma_f32 v[16:17], v[18:19], v[32:33], v[8:9] op_sel:[0,0,1] op_sel_hi:[1,1,0] neg_lo:[0,0,1] neg_hi:[0,0,1]
	v_pk_fma_f32 v[8:9], v[18:19], v[32:33], v[8:9] op_sel:[0,0,1] op_sel_hi:[1,0,0]
	v_mov_b32_e32 v15, v7
	v_pk_add_f32 v[2:3], v[2:3], v[12:13]
	v_pk_fma_f32 v[6:7], v[20:21], v[34:35], v[4:5] op_sel:[0,0,1] op_sel_hi:[1,1,0] neg_lo:[0,0,1] neg_hi:[0,0,1]
	v_pk_fma_f32 v[4:5], v[20:21], v[34:35], v[4:5] op_sel:[0,0,1] op_sel_hi:[1,0,0]
	v_mov_b32_e32 v17, v9
	v_pk_add_f32 v[2:3], v[2:3], v[14:15]
	s_waitcnt vmcnt(6)
	v_mov_b32_e32 v4, v37
	v_pk_add_f32 v[2:3], v[2:3], v[16:17]
	v_mov_b32_e32 v7, v5
	s_waitcnt lgkmcnt(1)
	v_pk_mul_f32 v[4:5], v[22:23], v[4:5] op_sel_hi:[1,0]
	v_pk_add_f32 v[2:3], v[2:3], v[6:7]
	v_pk_fma_f32 v[6:7], v[22:23], v[36:37], v[4:5] op_sel:[0,0,1] op_sel_hi:[1,1,0] neg_lo:[0,0,1] neg_hi:[0,0,1]
	v_pk_fma_f32 v[4:5], v[22:23], v[36:37], v[4:5] op_sel:[0,0,1] op_sel_hi:[1,0,0]
	s_waitcnt vmcnt(5)
	v_mov_b32_e32 v4, v39
	v_mov_b32_e32 v7, v5
	v_pk_mul_f32 v[4:5], v[24:25], v[4:5] op_sel_hi:[1,0]
	v_pk_add_f32 v[2:3], v[2:3], v[6:7]
	s_waitcnt vmcnt(3)
	v_pk_fma_f32 v[6:7], v[24:25], v[38:39], v[4:5] op_sel:[0,0,1] op_sel_hi:[1,1,0] neg_lo:[0,0,1] neg_hi:[0,0,1]
	v_pk_fma_f32 v[4:5], v[24:25], v[38:39], v[4:5] op_sel:[0,0,1] op_sel_hi:[1,0,0]
	s_waitcnt vmcnt(2)
	v_mov_b32_e32 v4, v41
	v_mov_b32_e32 v7, v5
	s_waitcnt lgkmcnt(0)
	v_pk_mul_f32 v[4:5], v[44:45], v[4:5] op_sel_hi:[1,0]
	v_pk_add_f32 v[2:3], v[2:3], v[6:7]
	v_pk_fma_f32 v[6:7], v[44:45], v[40:41], v[4:5] op_sel:[0,0,1] op_sel_hi:[1,1,0] neg_lo:[0,0,1] neg_hi:[0,0,1]
	v_pk_fma_f32 v[4:5], v[44:45], v[40:41], v[4:5] op_sel:[0,0,1] op_sel_hi:[1,0,0]
	v_mov_b32_e32 v7, v5
	v_pk_add_f32 v[2:3], v[2:3], v[6:7]
	s_waitcnt vmcnt(0)
	v_pk_add_f32 v[2:3], v[42:43], v[2:3] neg_lo:[0,1] neg_hi:[0,1]
	buffer_store_dword v3, off, s[0:3], 0 offset:396
	buffer_store_dword v2, off, s[0:3], 0 offset:392
	s_and_saveexec_b64 s[4:5], vcc
	s_cbranch_execz .LBB126_295
; %bb.294:
	buffer_load_dword v2, off, s[0:3], 0 offset:384
	buffer_load_dword v3, off, s[0:3], 0 offset:388
	s_waitcnt vmcnt(0)
	ds_write_b64 v217, v[2:3]
	buffer_store_dword v1, off, s[0:3], 0 offset:384
	buffer_store_dword v1, off, s[0:3], 0 offset:388
.LBB126_295:
	s_or_b64 exec, exec, s[4:5]
	s_waitcnt lgkmcnt(0)
	; wave barrier
	s_waitcnt lgkmcnt(0)
	buffer_load_dword v48, off, s[0:3], 0 offset:396
	buffer_load_dword v50, off, s[0:3], 0 offset:404
	;; [unrolled: 1-line block ×30, first 2 shown]
	ds_read2_b64 v[2:5], v1 offset0:113 offset1:114
	ds_read2_b64 v[6:9], v1 offset0:115 offset1:116
	;; [unrolled: 1-line block ×7, first 2 shown]
	v_cmp_lt_u32_e32 vcc, 47, v0
	s_waitcnt vmcnt(29) lgkmcnt(6)
	v_mul_f32_e32 v1, v2, v48
	v_mul_f32_e32 v48, v3, v48
	s_waitcnt vmcnt(27) lgkmcnt(5)
	v_mul_f32_e32 v64, v6, v52
	s_waitcnt vmcnt(26)
	v_mul_f32_e32 v65, v8, v53
	v_mul_f32_e32 v53, v9, v53
	;; [unrolled: 1-line block ×3, first 2 shown]
	s_waitcnt vmcnt(23)
	v_mov_b32_e32 v52, v31
	v_mul_f32_e32 v63, v4, v50
	v_mul_f32_e32 v50, v5, v50
	s_waitcnt vmcnt(20)
	v_fmac_f32_e32 v1, v3, v57
	s_waitcnt vmcnt(19)
	v_fmac_f32_e32 v63, v5, v58
	v_add_f32_e32 v1, 0, v1
	s_waitcnt vmcnt(17)
	v_fma_f32 v53, v8, v60, -v53
	v_fmac_f32_e32 v65, v9, v60
	v_fma_f32 v9, v2, v57, -v48
	s_waitcnt lgkmcnt(3)
	v_pk_mul_f32 v[2:3], v[14:15], v[52:53] op_sel_hi:[1,0]
	v_fma_f32 v57, v4, v58, -v50
	v_add_f32_e32 v52, 0, v9
	s_waitcnt vmcnt(14)
	v_pk_fma_f32 v[8:9], v[14:15], v[30:31], v[2:3] op_sel:[0,0,1] op_sel_hi:[1,1,0] neg_lo:[0,0,1] neg_hi:[0,0,1]
	v_pk_fma_f32 v[2:3], v[14:15], v[30:31], v[2:3] op_sel:[0,0,1] op_sel_hi:[1,0,0]
	v_mul_f32_e32 v49, v10, v54
	v_mul_f32_e32 v51, v12, v55
	;; [unrolled: 1-line block ×4, first 2 shown]
	v_mov_b32_e32 v54, v33
	v_fmac_f32_e32 v64, v7, v59
	v_fma_f32 v58, v6, v59, -v66
	v_add_f32_e32 v1, v1, v63
	v_add_f32_e32 v2, v52, v57
	v_pk_mul_f32 v[4:5], v[16:17], v[54:55] op_sel_hi:[1,0]
	v_add_f32_e32 v1, v1, v64
	v_add_f32_e32 v2, v2, v58
	v_mov_b32_e32 v56, v35
	v_fmac_f32_e32 v49, v11, v61
	v_fma_f32 v48, v10, v61, -v67
	s_waitcnt vmcnt(10)
	v_pk_fma_f32 v[10:11], v[16:17], v[32:33], v[4:5] op_sel:[0,0,1] op_sel_hi:[1,1,0] neg_lo:[0,0,1] neg_hi:[0,0,1]
	v_pk_fma_f32 v[4:5], v[16:17], v[32:33], v[4:5] op_sel:[0,0,1] op_sel_hi:[1,0,0]
	v_mov_b32_e32 v9, v3
	v_add_f32_e32 v3, v1, v65
	v_add_f32_e32 v2, v2, v53
	v_fmac_f32_e32 v51, v13, v62
	v_fma_f32 v50, v12, v62, -v55
	s_waitcnt lgkmcnt(2)
	v_pk_mul_f32 v[6:7], v[18:19], v[56:57] op_sel_hi:[1,0]
	v_pk_add_f32 v[2:3], v[2:3], v[48:49]
	s_waitcnt vmcnt(9)
	v_mov_b32_e32 v4, v39
	v_pk_fma_f32 v[12:13], v[18:19], v[34:35], v[6:7] op_sel:[0,0,1] op_sel_hi:[1,1,0] neg_lo:[0,0,1] neg_hi:[0,0,1]
	v_pk_fma_f32 v[6:7], v[18:19], v[34:35], v[6:7] op_sel:[0,0,1] op_sel_hi:[1,0,0]
	v_mov_b32_e32 v11, v5
	v_pk_add_f32 v[2:3], v[2:3], v[50:51]
	v_pk_mul_f32 v[4:5], v[20:21], v[4:5] op_sel_hi:[1,0]
	v_mov_b32_e32 v13, v7
	v_pk_add_f32 v[2:3], v[2:3], v[8:9]
	v_pk_fma_f32 v[6:7], v[20:21], v[38:39], v[4:5] op_sel:[0,0,1] op_sel_hi:[1,1,0] neg_lo:[0,0,1] neg_hi:[0,0,1]
	v_pk_fma_f32 v[4:5], v[20:21], v[38:39], v[4:5] op_sel:[0,0,1] op_sel_hi:[1,0,0]
	v_pk_add_f32 v[2:3], v[2:3], v[10:11]
	s_waitcnt vmcnt(8)
	v_mov_b32_e32 v4, v37
	v_pk_add_f32 v[2:3], v[2:3], v[12:13]
	v_mov_b32_e32 v7, v5
	s_waitcnt lgkmcnt(1)
	v_pk_mul_f32 v[4:5], v[22:23], v[4:5] op_sel_hi:[1,0]
	v_pk_add_f32 v[2:3], v[2:3], v[6:7]
	v_pk_fma_f32 v[6:7], v[22:23], v[36:37], v[4:5] op_sel:[0,0,1] op_sel_hi:[1,1,0] neg_lo:[0,0,1] neg_hi:[0,0,1]
	v_pk_fma_f32 v[4:5], v[22:23], v[36:37], v[4:5] op_sel:[0,0,1] op_sel_hi:[1,0,0]
	s_waitcnt vmcnt(7)
	v_mov_b32_e32 v4, v41
	v_mov_b32_e32 v7, v5
	v_pk_mul_f32 v[4:5], v[24:25], v[4:5] op_sel_hi:[1,0]
	v_pk_add_f32 v[2:3], v[2:3], v[6:7]
	s_waitcnt vmcnt(4)
	v_pk_fma_f32 v[6:7], v[24:25], v[40:41], v[4:5] op_sel:[0,0,1] op_sel_hi:[1,1,0] neg_lo:[0,0,1] neg_hi:[0,0,1]
	v_pk_fma_f32 v[4:5], v[24:25], v[40:41], v[4:5] op_sel:[0,0,1] op_sel_hi:[1,0,0]
	s_waitcnt vmcnt(3)
	v_mov_b32_e32 v4, v45
	v_mov_b32_e32 v7, v5
	s_waitcnt lgkmcnt(0)
	v_pk_mul_f32 v[4:5], v[26:27], v[4:5] op_sel_hi:[1,0]
	v_pk_add_f32 v[2:3], v[2:3], v[6:7]
	v_pk_fma_f32 v[6:7], v[26:27], v[44:45], v[4:5] op_sel:[0,0,1] op_sel_hi:[1,1,0] neg_lo:[0,0,1] neg_hi:[0,0,1]
	v_pk_fma_f32 v[4:5], v[26:27], v[44:45], v[4:5] op_sel:[0,0,1] op_sel_hi:[1,0,0]
	s_waitcnt vmcnt(0)
	v_mov_b32_e32 v4, v43
	v_mov_b32_e32 v7, v5
	v_pk_mul_f32 v[4:5], v[28:29], v[4:5] op_sel_hi:[1,0]
	v_pk_add_f32 v[2:3], v[2:3], v[6:7]
	v_pk_fma_f32 v[6:7], v[28:29], v[42:43], v[4:5] op_sel:[0,0,1] op_sel_hi:[1,1,0] neg_lo:[0,0,1] neg_hi:[0,0,1]
	v_pk_fma_f32 v[4:5], v[28:29], v[42:43], v[4:5] op_sel:[0,0,1] op_sel_hi:[1,0,0]
	v_mov_b32_e32 v7, v5
	v_pk_add_f32 v[2:3], v[2:3], v[6:7]
	v_pk_add_f32 v[2:3], v[46:47], v[2:3] neg_lo:[0,1] neg_hi:[0,1]
	buffer_store_dword v3, off, s[0:3], 0 offset:388
	buffer_store_dword v2, off, s[0:3], 0 offset:384
	s_and_saveexec_b64 s[4:5], vcc
	s_cbranch_execz .LBB126_297
; %bb.296:
	buffer_load_dword v2, off, s[0:3], 0 offset:376
	buffer_load_dword v3, off, s[0:3], 0 offset:380
	v_mov_b32_e32 v1, 0
	buffer_store_dword v1, off, s[0:3], 0 offset:376
	buffer_store_dword v1, off, s[0:3], 0 offset:380
	s_waitcnt vmcnt(2)
	ds_write_b64 v217, v[2:3]
.LBB126_297:
	s_or_b64 exec, exec, s[4:5]
	s_waitcnt lgkmcnt(0)
	; wave barrier
	s_waitcnt lgkmcnt(0)
	buffer_load_dword v50, off, s[0:3], 0 offset:388
	buffer_load_dword v52, off, s[0:3], 0 offset:396
	;; [unrolled: 1-line block ×32, first 2 shown]
	v_mov_b32_e32 v1, 0
	ds_read_b128 v[2:5], v1 offset:896
	ds_read_b128 v[6:9], v1 offset:912
	;; [unrolled: 1-line block ×7, first 2 shown]
	ds_read_b64 v[48:49], v1 offset:1008
	v_cmp_lt_u32_e32 vcc, 46, v0
	s_waitcnt vmcnt(31) lgkmcnt(7)
	v_mul_f32_e32 v66, v2, v50
	s_waitcnt vmcnt(30)
	v_mul_f32_e32 v67, v4, v52
	s_waitcnt vmcnt(29) lgkmcnt(6)
	v_mul_f32_e32 v68, v6, v54
	s_waitcnt vmcnt(28)
	v_mul_f32_e32 v69, v8, v55
	v_mul_f32_e32 v50, v3, v50
	;; [unrolled: 1-line block ×4, first 2 shown]
	s_waitcnt vmcnt(24)
	v_mov_b32_e32 v54, v31
	s_waitcnt lgkmcnt(5)
	v_mul_f32_e32 v70, v10, v56
	v_mul_f32_e32 v52, v5, v52
	;; [unrolled: 1-line block ×3, first 2 shown]
	s_waitcnt vmcnt(22)
	v_fmac_f32_e32 v66, v3, v59
	s_waitcnt vmcnt(21)
	v_fmac_f32_e32 v67, v5, v60
	v_fma_f32 v5, v2, v59, -v50
	s_waitcnt lgkmcnt(4)
	v_pk_mul_f32 v[2:3], v[16:17], v[54:55] op_sel_hi:[1,0]
	s_waitcnt vmcnt(20)
	v_fmac_f32_e32 v68, v7, v61
	s_waitcnt vmcnt(19)
	v_fmac_f32_e32 v69, v9, v62
	;; [unrolled: 2-line block ×3, first 2 shown]
	v_fma_f32 v7, v4, v60, -v52
	v_fma_f32 v9, v10, v63, -v72
	v_add_f32_e32 v10, 0, v66
	v_add_f32_e32 v11, 0, v5
	s_waitcnt vmcnt(12)
	v_pk_fma_f32 v[4:5], v[16:17], v[30:31], v[2:3] op_sel:[0,0,1] op_sel_hi:[1,1,0] neg_lo:[0,0,1] neg_hi:[0,0,1]
	v_pk_fma_f32 v[2:3], v[16:17], v[30:31], v[2:3] op_sel:[0,0,1] op_sel_hi:[1,0,0]
	v_fma_f32 v6, v6, v61, -v71
	v_add_f32_e32 v2, v10, v67
	v_add_f32_e32 v7, v11, v7
	v_fma_f32 v8, v8, v62, -v55
	v_mov_b32_e32 v5, v3
	v_add_f32_e32 v2, v2, v68
	v_add_f32_e32 v3, v7, v6
	v_mul_f32_e32 v51, v12, v57
	v_mul_f32_e32 v57, v13, v57
	v_add_f32_e32 v2, v2, v69
	v_add_f32_e32 v6, v3, v8
	v_mul_f32_e32 v53, v14, v58
	v_mul_f32_e32 v58, v15, v58
	v_fmac_f32_e32 v51, v13, v64
	v_fma_f32 v50, v12, v64, -v57
	v_add_f32_e32 v3, v2, v70
	v_add_f32_e32 v2, v6, v9
	v_fmac_f32_e32 v53, v15, v65
	v_fma_f32 v52, v14, v65, -v58
	v_pk_add_f32 v[2:3], v[2:3], v[50:51]
	v_mov_b32_e32 v56, v33
	v_pk_add_f32 v[2:3], v[2:3], v[52:53]
	v_pk_add_f32 v[2:3], v[2:3], v[4:5]
	s_waitcnt lgkmcnt(3)
	v_pk_mul_f32 v[4:5], v[18:19], v[56:57] op_sel_hi:[1,0]
	v_pk_fma_f32 v[6:7], v[18:19], v[32:33], v[4:5] op_sel:[0,0,1] op_sel_hi:[1,1,0] neg_lo:[0,0,1] neg_hi:[0,0,1]
	v_pk_fma_f32 v[4:5], v[18:19], v[32:33], v[4:5] op_sel:[0,0,1] op_sel_hi:[1,0,0]
	s_waitcnt vmcnt(11)
	v_mov_b32_e32 v4, v37
	v_mov_b32_e32 v7, v5
	v_pk_mul_f32 v[4:5], v[20:21], v[4:5] op_sel_hi:[1,0]
	v_pk_add_f32 v[2:3], v[2:3], v[6:7]
	v_pk_fma_f32 v[6:7], v[20:21], v[36:37], v[4:5] op_sel:[0,0,1] op_sel_hi:[1,1,0] neg_lo:[0,0,1] neg_hi:[0,0,1]
	v_pk_fma_f32 v[4:5], v[20:21], v[36:37], v[4:5] op_sel:[0,0,1] op_sel_hi:[1,0,0]
	s_waitcnt vmcnt(10)
	v_mov_b32_e32 v4, v35
	v_mov_b32_e32 v7, v5
	s_waitcnt lgkmcnt(2)
	v_pk_mul_f32 v[4:5], v[22:23], v[4:5] op_sel_hi:[1,0]
	v_pk_add_f32 v[2:3], v[2:3], v[6:7]
	v_pk_fma_f32 v[6:7], v[22:23], v[34:35], v[4:5] op_sel:[0,0,1] op_sel_hi:[1,1,0] neg_lo:[0,0,1] neg_hi:[0,0,1]
	v_pk_fma_f32 v[4:5], v[22:23], v[34:35], v[4:5] op_sel:[0,0,1] op_sel_hi:[1,0,0]
	s_waitcnt vmcnt(9)
	v_mov_b32_e32 v4, v39
	v_mov_b32_e32 v7, v5
	v_pk_mul_f32 v[4:5], v[24:25], v[4:5] op_sel_hi:[1,0]
	v_pk_add_f32 v[2:3], v[2:3], v[6:7]
	s_waitcnt vmcnt(4)
	v_pk_fma_f32 v[6:7], v[24:25], v[38:39], v[4:5] op_sel:[0,0,1] op_sel_hi:[1,1,0] neg_lo:[0,0,1] neg_hi:[0,0,1]
	v_pk_fma_f32 v[4:5], v[24:25], v[38:39], v[4:5] op_sel:[0,0,1] op_sel_hi:[1,0,0]
	v_mov_b32_e32 v4, v45
	v_mov_b32_e32 v7, v5
	s_waitcnt lgkmcnt(1)
	v_pk_mul_f32 v[4:5], v[26:27], v[4:5] op_sel_hi:[1,0]
	v_pk_add_f32 v[2:3], v[2:3], v[6:7]
	v_pk_fma_f32 v[6:7], v[26:27], v[44:45], v[4:5] op_sel:[0,0,1] op_sel_hi:[1,1,0] neg_lo:[0,0,1] neg_hi:[0,0,1]
	v_pk_fma_f32 v[4:5], v[26:27], v[44:45], v[4:5] op_sel:[0,0,1] op_sel_hi:[1,0,0]
	s_waitcnt vmcnt(3)
	v_mov_b32_e32 v4, v43
	v_mov_b32_e32 v7, v5
	v_pk_mul_f32 v[4:5], v[28:29], v[4:5] op_sel_hi:[1,0]
	v_pk_add_f32 v[2:3], v[2:3], v[6:7]
	v_pk_fma_f32 v[6:7], v[28:29], v[42:43], v[4:5] op_sel:[0,0,1] op_sel_hi:[1,1,0] neg_lo:[0,0,1] neg_hi:[0,0,1]
	v_pk_fma_f32 v[4:5], v[28:29], v[42:43], v[4:5] op_sel:[0,0,1] op_sel_hi:[1,0,0]
	s_waitcnt vmcnt(0)
	v_mov_b32_e32 v4, v41
	v_mov_b32_e32 v7, v5
	s_waitcnt lgkmcnt(0)
	v_pk_mul_f32 v[4:5], v[48:49], v[4:5] op_sel_hi:[1,0]
	v_pk_add_f32 v[2:3], v[2:3], v[6:7]
	v_pk_fma_f32 v[6:7], v[48:49], v[40:41], v[4:5] op_sel:[0,0,1] op_sel_hi:[1,1,0] neg_lo:[0,0,1] neg_hi:[0,0,1]
	v_pk_fma_f32 v[4:5], v[48:49], v[40:41], v[4:5] op_sel:[0,0,1] op_sel_hi:[1,0,0]
	v_mov_b32_e32 v7, v5
	v_pk_add_f32 v[2:3], v[2:3], v[6:7]
	v_pk_add_f32 v[2:3], v[46:47], v[2:3] neg_lo:[0,1] neg_hi:[0,1]
	buffer_store_dword v3, off, s[0:3], 0 offset:380
	buffer_store_dword v2, off, s[0:3], 0 offset:376
	s_and_saveexec_b64 s[4:5], vcc
	s_cbranch_execz .LBB126_299
; %bb.298:
	buffer_load_dword v2, off, s[0:3], 0 offset:368
	buffer_load_dword v3, off, s[0:3], 0 offset:372
	s_waitcnt vmcnt(0)
	ds_write_b64 v217, v[2:3]
	buffer_store_dword v1, off, s[0:3], 0 offset:368
	buffer_store_dword v1, off, s[0:3], 0 offset:372
.LBB126_299:
	s_or_b64 exec, exec, s[4:5]
	s_waitcnt lgkmcnt(0)
	; wave barrier
	s_waitcnt lgkmcnt(0)
	buffer_load_dword v52, off, s[0:3], 0 offset:380
	buffer_load_dword v54, off, s[0:3], 0 offset:388
	;; [unrolled: 1-line block ×32, first 2 shown]
	ds_read2_b64 v[2:5], v1 offset0:111 offset1:112
	ds_read2_b64 v[6:9], v1 offset0:113 offset1:114
	;; [unrolled: 1-line block ×4, first 2 shown]
	buffer_load_dword v51, off, s[0:3], 0 offset:500
	buffer_load_dword v50, off, s[0:3], 0 offset:496
	ds_read2_b64 v[18:21], v1 offset0:119 offset1:120
	ds_read2_b64 v[22:25], v1 offset0:121 offset1:122
	;; [unrolled: 1-line block ×4, first 2 shown]
	v_cmp_lt_u32_e32 vcc, 45, v0
	s_waitcnt vmcnt(33) lgkmcnt(7)
	v_mul_f32_e32 v1, v2, v52
	v_mul_f32_e32 v52, v3, v52
	s_waitcnt vmcnt(32)
	v_mul_f32_e32 v70, v4, v54
	v_mul_f32_e32 v54, v5, v54
	s_waitcnt vmcnt(31) lgkmcnt(6)
	v_mul_f32_e32 v71, v6, v56
	v_mul_f32_e32 v56, v7, v56
	s_waitcnt vmcnt(30)
	v_mul_f32_e32 v72, v8, v57
	v_mul_f32_e32 v57, v9, v57
	s_waitcnt vmcnt(25)
	v_fmac_f32_e32 v1, v3, v62
	v_fma_f32 v2, v2, v62, -v52
	s_waitcnt vmcnt(24)
	v_fmac_f32_e32 v70, v5, v63
	v_fma_f32 v3, v4, v63, -v54
	v_add_f32_e32 v1, 0, v1
	v_add_f32_e32 v2, 0, v2
	s_waitcnt vmcnt(23)
	v_fmac_f32_e32 v71, v7, v64
	v_fma_f32 v4, v6, v64, -v56
	v_add_f32_e32 v1, v1, v70
	v_add_f32_e32 v2, v2, v3
	s_waitcnt lgkmcnt(5)
	v_mul_f32_e32 v73, v10, v58
	v_mul_f32_e32 v58, v11, v58
	s_waitcnt vmcnt(22)
	v_fmac_f32_e32 v72, v9, v65
	v_fma_f32 v5, v8, v65, -v57
	v_add_f32_e32 v1, v1, v71
	v_add_f32_e32 v2, v2, v4
	v_mul_f32_e32 v74, v12, v59
	v_mul_f32_e32 v59, v13, v59
	s_waitcnt vmcnt(21)
	v_fmac_f32_e32 v73, v11, v66
	v_fma_f32 v6, v10, v66, -v58
	v_add_f32_e32 v1, v1, v72
	v_add_f32_e32 v2, v2, v5
	s_waitcnt vmcnt(17)
	v_mov_b32_e32 v4, v35
	s_waitcnt lgkmcnt(4)
	v_mul_f32_e32 v53, v14, v60
	v_mul_f32_e32 v60, v15, v60
	v_fmac_f32_e32 v74, v13, v67
	v_fma_f32 v7, v12, v67, -v59
	v_add_f32_e32 v1, v1, v73
	v_add_f32_e32 v2, v2, v6
	s_waitcnt lgkmcnt(3)
	v_pk_mul_f32 v[4:5], v[18:19], v[4:5] op_sel_hi:[1,0]
	v_mul_f32_e32 v55, v16, v61
	v_mul_f32_e32 v61, v17, v61
	v_fmac_f32_e32 v53, v15, v68
	v_fma_f32 v52, v14, v68, -v60
	v_add_f32_e32 v3, v1, v74
	v_add_f32_e32 v2, v2, v7
	s_waitcnt vmcnt(14)
	v_pk_fma_f32 v[6:7], v[18:19], v[34:35], v[4:5] op_sel:[0,0,1] op_sel_hi:[1,1,0] neg_lo:[0,0,1] neg_hi:[0,0,1]
	v_pk_fma_f32 v[4:5], v[18:19], v[34:35], v[4:5] op_sel:[0,0,1] op_sel_hi:[1,0,0]
	v_fmac_f32_e32 v55, v17, v69
	v_fma_f32 v54, v16, v69, -v61
	v_pk_add_f32 v[2:3], v[2:3], v[52:53]
	s_waitcnt vmcnt(13)
	v_mov_b32_e32 v4, v39
	v_pk_add_f32 v[2:3], v[2:3], v[54:55]
	v_mov_b32_e32 v7, v5
	v_pk_mul_f32 v[4:5], v[20:21], v[4:5] op_sel_hi:[1,0]
	v_pk_add_f32 v[2:3], v[2:3], v[6:7]
	v_pk_fma_f32 v[6:7], v[20:21], v[38:39], v[4:5] op_sel:[0,0,1] op_sel_hi:[1,1,0] neg_lo:[0,0,1] neg_hi:[0,0,1]
	v_pk_fma_f32 v[4:5], v[20:21], v[38:39], v[4:5] op_sel:[0,0,1] op_sel_hi:[1,0,0]
	s_waitcnt vmcnt(12)
	v_mov_b32_e32 v4, v37
	v_mov_b32_e32 v7, v5
	s_waitcnt lgkmcnt(2)
	v_pk_mul_f32 v[4:5], v[22:23], v[4:5] op_sel_hi:[1,0]
	v_pk_add_f32 v[2:3], v[2:3], v[6:7]
	v_pk_fma_f32 v[6:7], v[22:23], v[36:37], v[4:5] op_sel:[0,0,1] op_sel_hi:[1,1,0] neg_lo:[0,0,1] neg_hi:[0,0,1]
	v_pk_fma_f32 v[4:5], v[22:23], v[36:37], v[4:5] op_sel:[0,0,1] op_sel_hi:[1,0,0]
	s_waitcnt vmcnt(11)
	v_mov_b32_e32 v4, v41
	v_mov_b32_e32 v7, v5
	v_pk_mul_f32 v[4:5], v[24:25], v[4:5] op_sel_hi:[1,0]
	v_pk_add_f32 v[2:3], v[2:3], v[6:7]
	s_waitcnt vmcnt(5)
	v_pk_fma_f32 v[6:7], v[24:25], v[40:41], v[4:5] op_sel:[0,0,1] op_sel_hi:[1,1,0] neg_lo:[0,0,1] neg_hi:[0,0,1]
	v_pk_fma_f32 v[4:5], v[24:25], v[40:41], v[4:5] op_sel:[0,0,1] op_sel_hi:[1,0,0]
	v_mov_b32_e32 v4, v47
	v_mov_b32_e32 v7, v5
	s_waitcnt lgkmcnt(1)
	v_pk_mul_f32 v[4:5], v[26:27], v[4:5] op_sel_hi:[1,0]
	v_pk_add_f32 v[2:3], v[2:3], v[6:7]
	v_pk_fma_f32 v[6:7], v[26:27], v[46:47], v[4:5] op_sel:[0,0,1] op_sel_hi:[1,1,0] neg_lo:[0,0,1] neg_hi:[0,0,1]
	v_pk_fma_f32 v[4:5], v[26:27], v[46:47], v[4:5] op_sel:[0,0,1] op_sel_hi:[1,0,0]
	v_mov_b32_e32 v4, v45
	v_mov_b32_e32 v7, v5
	v_pk_mul_f32 v[4:5], v[28:29], v[4:5] op_sel_hi:[1,0]
	v_pk_add_f32 v[2:3], v[2:3], v[6:7]
	v_pk_fma_f32 v[6:7], v[28:29], v[44:45], v[4:5] op_sel:[0,0,1] op_sel_hi:[1,1,0] neg_lo:[0,0,1] neg_hi:[0,0,1]
	v_pk_fma_f32 v[4:5], v[28:29], v[44:45], v[4:5] op_sel:[0,0,1] op_sel_hi:[1,0,0]
	s_waitcnt vmcnt(2)
	v_mov_b32_e32 v4, v43
	v_mov_b32_e32 v7, v5
	s_waitcnt lgkmcnt(0)
	v_pk_mul_f32 v[4:5], v[30:31], v[4:5] op_sel_hi:[1,0]
	v_pk_add_f32 v[2:3], v[2:3], v[6:7]
	v_pk_fma_f32 v[6:7], v[30:31], v[42:43], v[4:5] op_sel:[0,0,1] op_sel_hi:[1,1,0] neg_lo:[0,0,1] neg_hi:[0,0,1]
	v_pk_fma_f32 v[4:5], v[30:31], v[42:43], v[4:5] op_sel:[0,0,1] op_sel_hi:[1,0,0]
	s_waitcnt vmcnt(1)
	v_mov_b32_e32 v4, v51
	v_mov_b32_e32 v7, v5
	v_pk_mul_f32 v[4:5], v[32:33], v[4:5] op_sel_hi:[1,0]
	v_pk_add_f32 v[2:3], v[2:3], v[6:7]
	s_waitcnt vmcnt(0)
	v_pk_fma_f32 v[6:7], v[32:33], v[50:51], v[4:5] op_sel:[0,0,1] op_sel_hi:[1,1,0] neg_lo:[0,0,1] neg_hi:[0,0,1]
	v_pk_fma_f32 v[4:5], v[32:33], v[50:51], v[4:5] op_sel:[0,0,1] op_sel_hi:[1,0,0]
	v_mov_b32_e32 v7, v5
	v_pk_add_f32 v[2:3], v[2:3], v[6:7]
	v_pk_add_f32 v[2:3], v[48:49], v[2:3] neg_lo:[0,1] neg_hi:[0,1]
	buffer_store_dword v3, off, s[0:3], 0 offset:372
	buffer_store_dword v2, off, s[0:3], 0 offset:368
	s_and_saveexec_b64 s[4:5], vcc
	s_cbranch_execz .LBB126_301
; %bb.300:
	buffer_load_dword v2, off, s[0:3], 0 offset:360
	buffer_load_dword v3, off, s[0:3], 0 offset:364
	v_mov_b32_e32 v1, 0
	buffer_store_dword v1, off, s[0:3], 0 offset:360
	buffer_store_dword v1, off, s[0:3], 0 offset:364
	s_waitcnt vmcnt(2)
	ds_write_b64 v217, v[2:3]
.LBB126_301:
	s_or_b64 exec, exec, s[4:5]
	s_waitcnt lgkmcnt(0)
	; wave barrier
	s_waitcnt lgkmcnt(0)
	buffer_load_dword v44, off, s[0:3], 0 offset:372
	buffer_load_dword v46, off, s[0:3], 0 offset:380
	;; [unrolled: 1-line block ×36, first 2 shown]
	v_mov_b32_e32 v1, 0
	ds_read_b128 v[2:5], v1 offset:880
	ds_read_b128 v[6:9], v1 offset:896
	;; [unrolled: 1-line block ×6, first 2 shown]
	v_cmp_lt_u32_e32 vcc, 44, v0
	s_waitcnt vmcnt(35) lgkmcnt(5)
	v_mul_f32_e32 v64, v2, v44
	s_waitcnt vmcnt(34)
	v_mul_f32_e32 v65, v4, v46
	v_mul_f32_e32 v44, v3, v44
	s_waitcnt vmcnt(32) lgkmcnt(4)
	v_mul_f32_e32 v67, v8, v49
	v_mul_f32_e32 v49, v9, v49
	;; [unrolled: 1-line block ×5, first 2 shown]
	s_waitcnt vmcnt(31) lgkmcnt(3)
	v_mul_f32_e32 v68, v10, v50
	s_waitcnt vmcnt(26)
	v_fmac_f32_e32 v64, v3, v55
	s_waitcnt vmcnt(25)
	v_fmac_f32_e32 v65, v5, v56
	v_fma_f32 v2, v2, v55, -v44
	s_waitcnt vmcnt(23)
	v_fma_f32 v5, v8, v58, -v49
	v_add_f32_e32 v8, 0, v64
	v_fmac_f32_e32 v66, v7, v57
	v_fma_f32 v3, v4, v56, -v46
	v_add_f32_e32 v2, 0, v2
	v_add_f32_e32 v8, v8, v65
	v_fmac_f32_e32 v67, v9, v58
	v_fma_f32 v4, v6, v57, -v48
	v_add_f32_e32 v2, v2, v3
	v_add_f32_e32 v3, v8, v66
	v_mul_f32_e32 v69, v12, v51
	v_mul_f32_e32 v50, v11, v50
	s_waitcnt vmcnt(22)
	v_fmac_f32_e32 v68, v11, v59
	v_add_f32_e32 v2, v2, v4
	v_add_f32_e32 v3, v3, v67
	s_waitcnt lgkmcnt(2)
	v_mul_f32_e32 v70, v14, v52
	v_mul_f32_e32 v51, v13, v51
	s_waitcnt vmcnt(21)
	v_fmac_f32_e32 v69, v13, v60
	v_fma_f32 v6, v10, v59, -v50
	v_add_f32_e32 v2, v2, v5
	v_add_f32_e32 v3, v3, v68
	v_mul_f32_e32 v52, v15, v52
	s_waitcnt vmcnt(20)
	v_fmac_f32_e32 v70, v15, v61
	v_fma_f32 v7, v12, v60, -v51
	v_add_f32_e32 v2, v2, v6
	v_add_f32_e32 v3, v3, v69
	v_add_f32_e32 v2, v2, v7
	v_add_f32_e32 v11, v3, v70
	v_fma_f32 v3, v14, v61, -v52
	s_waitcnt vmcnt(17)
	v_mov_b32_e32 v14, v27
	v_mul_f32_e32 v45, v16, v53
	v_add_f32_e32 v10, v2, v3
	v_mul_f32_e32 v2, v17, v53
	s_waitcnt lgkmcnt(1)
	v_pk_mul_f32 v[14:15], v[20:21], v[14:15] op_sel_hi:[1,0]
	v_mul_f32_e32 v47, v18, v54
	v_fmac_f32_e32 v45, v17, v62
	v_fma_f32 v44, v16, v62, -v2
	v_mul_f32_e32 v2, v19, v54
	s_waitcnt vmcnt(15)
	v_pk_fma_f32 v[16:17], v[20:21], v[26:27], v[14:15] op_sel:[0,0,1] op_sel_hi:[1,1,0] neg_lo:[0,0,1] neg_hi:[0,0,1]
	v_pk_fma_f32 v[14:15], v[20:21], v[26:27], v[14:15] op_sel:[0,0,1] op_sel_hi:[1,0,0]
	v_fmac_f32_e32 v47, v19, v63
	v_fma_f32 v46, v18, v63, -v2
	v_pk_add_f32 v[10:11], v[10:11], v[44:45]
	s_waitcnt vmcnt(12)
	v_mov_b32_e32 v14, v29
	v_pk_add_f32 v[10:11], v[10:11], v[46:47]
	v_mov_b32_e32 v17, v15
	s_waitcnt lgkmcnt(0)
	v_pk_mul_f32 v[14:15], v[22:23], v[14:15] op_sel_hi:[1,0]
	v_pk_add_f32 v[10:11], v[10:11], v[16:17]
	v_pk_fma_f32 v[16:17], v[22:23], v[28:29], v[14:15] op_sel:[0,0,1] op_sel_hi:[1,1,0] neg_lo:[0,0,1] neg_hi:[0,0,1]
	v_pk_fma_f32 v[14:15], v[22:23], v[28:29], v[14:15] op_sel:[0,0,1] op_sel_hi:[1,0,0]
	s_waitcnt vmcnt(11)
	v_mov_b32_e32 v14, v33
	ds_read_b128 v[2:5], v1 offset:976
	ds_read_b128 v[6:9], v1 offset:992
	ds_read_b64 v[12:13], v1 offset:1008
	v_mov_b32_e32 v17, v15
	v_pk_mul_f32 v[14:15], v[24:25], v[14:15] op_sel_hi:[1,0]
	v_pk_add_f32 v[10:11], v[10:11], v[16:17]
	s_waitcnt vmcnt(4)
	v_pk_fma_f32 v[16:17], v[24:25], v[32:33], v[14:15] op_sel:[0,0,1] op_sel_hi:[1,1,0] neg_lo:[0,0,1] neg_hi:[0,0,1]
	v_pk_fma_f32 v[14:15], v[24:25], v[32:33], v[14:15] op_sel:[0,0,1] op_sel_hi:[1,0,0]
	v_mov_b32_e32 v14, v39
	v_mov_b32_e32 v17, v15
	s_waitcnt lgkmcnt(2)
	v_pk_mul_f32 v[14:15], v[2:3], v[14:15] op_sel_hi:[1,0]
	v_pk_add_f32 v[10:11], v[10:11], v[16:17]
	v_pk_fma_f32 v[16:17], v[2:3], v[38:39], v[14:15] op_sel:[0,0,1] op_sel_hi:[1,1,0] neg_lo:[0,0,1] neg_hi:[0,0,1]
	v_pk_fma_f32 v[2:3], v[2:3], v[38:39], v[14:15] op_sel:[0,0,1] op_sel_hi:[1,0,0]
	v_mov_b32_e32 v17, v3
	v_pk_add_f32 v[2:3], v[10:11], v[16:17]
	v_mov_b32_e32 v10, v37
	v_pk_mul_f32 v[10:11], v[4:5], v[10:11] op_sel_hi:[1,0]
	v_pk_fma_f32 v[14:15], v[4:5], v[36:37], v[10:11] op_sel:[0,0,1] op_sel_hi:[1,1,0] neg_lo:[0,0,1] neg_hi:[0,0,1]
	v_pk_fma_f32 v[4:5], v[4:5], v[36:37], v[10:11] op_sel:[0,0,1] op_sel_hi:[1,0,0]
	v_mov_b32_e32 v4, v35
	v_mov_b32_e32 v15, v5
	s_waitcnt lgkmcnt(1)
	v_pk_mul_f32 v[4:5], v[6:7], v[4:5] op_sel_hi:[1,0]
	v_pk_fma_f32 v[10:11], v[6:7], v[34:35], v[4:5] op_sel:[0,0,1] op_sel_hi:[1,1,0] neg_lo:[0,0,1] neg_hi:[0,0,1]
	v_pk_fma_f32 v[4:5], v[6:7], v[34:35], v[4:5] op_sel:[0,0,1] op_sel_hi:[1,0,0]
	s_waitcnt vmcnt(1)
	v_mov_b32_e32 v4, v43
	v_mov_b32_e32 v11, v5
	v_pk_mul_f32 v[4:5], v[8:9], v[4:5] op_sel_hi:[1,0]
	s_waitcnt vmcnt(0)
	v_pk_fma_f32 v[6:7], v[8:9], v[42:43], v[4:5] op_sel:[0,0,1] op_sel_hi:[1,1,0] neg_lo:[0,0,1] neg_hi:[0,0,1]
	v_pk_fma_f32 v[4:5], v[8:9], v[42:43], v[4:5] op_sel:[0,0,1] op_sel_hi:[1,0,0]
	v_pk_add_f32 v[2:3], v[2:3], v[14:15]
	v_mov_b32_e32 v4, v41
	v_pk_add_f32 v[2:3], v[2:3], v[10:11]
	v_mov_b32_e32 v7, v5
	s_waitcnt lgkmcnt(0)
	v_pk_mul_f32 v[4:5], v[12:13], v[4:5] op_sel_hi:[1,0]
	v_pk_add_f32 v[2:3], v[2:3], v[6:7]
	v_pk_fma_f32 v[6:7], v[12:13], v[40:41], v[4:5] op_sel:[0,0,1] op_sel_hi:[1,1,0] neg_lo:[0,0,1] neg_hi:[0,0,1]
	v_pk_fma_f32 v[4:5], v[12:13], v[40:41], v[4:5] op_sel:[0,0,1] op_sel_hi:[1,0,0]
	v_mov_b32_e32 v7, v5
	v_pk_add_f32 v[2:3], v[2:3], v[6:7]
	v_pk_add_f32 v[2:3], v[30:31], v[2:3] neg_lo:[0,1] neg_hi:[0,1]
	buffer_store_dword v3, off, s[0:3], 0 offset:364
	buffer_store_dword v2, off, s[0:3], 0 offset:360
	s_and_saveexec_b64 s[4:5], vcc
	s_cbranch_execz .LBB126_303
; %bb.302:
	buffer_load_dword v2, off, s[0:3], 0 offset:352
	buffer_load_dword v3, off, s[0:3], 0 offset:356
	s_waitcnt vmcnt(0)
	ds_write_b64 v217, v[2:3]
	buffer_store_dword v1, off, s[0:3], 0 offset:352
	buffer_store_dword v1, off, s[0:3], 0 offset:356
.LBB126_303:
	s_or_b64 exec, exec, s[4:5]
	s_waitcnt lgkmcnt(0)
	; wave barrier
	s_waitcnt lgkmcnt(0)
	buffer_load_dword v44, off, s[0:3], 0 offset:364
	buffer_load_dword v46, off, s[0:3], 0 offset:372
	;; [unrolled: 1-line block ×22, first 2 shown]
	ds_read2_b64 v[2:5], v1 offset0:109 offset1:110
	ds_read2_b64 v[6:9], v1 offset0:111 offset1:112
	buffer_load_dword v29, off, s[0:3], 0 offset:444
	buffer_load_dword v28, off, s[0:3], 0 offset:440
	;; [unrolled: 1-line block ×10, first 2 shown]
	ds_read2_b64 v[10:13], v1 offset0:113 offset1:114
	ds_read2_b64 v[14:17], v1 offset0:115 offset1:116
	;; [unrolled: 1-line block ×4, first 2 shown]
	buffer_load_dword v39, off, s[0:3], 0 offset:500
	buffer_load_dword v38, off, s[0:3], 0 offset:496
	;; [unrolled: 1-line block ×6, first 2 shown]
	v_cmp_lt_u32_e32 vcc, 43, v0
	s_waitcnt vmcnt(37) lgkmcnt(5)
	v_mul_f32_e32 v66, v2, v44
	s_waitcnt vmcnt(36)
	v_mul_f32_e32 v67, v4, v46
	s_waitcnt vmcnt(35) lgkmcnt(4)
	v_mul_f32_e32 v68, v6, v48
	v_mul_f32_e32 v44, v3, v44
	;; [unrolled: 1-line block ×4, first 2 shown]
	s_waitcnt vmcnt(34)
	v_mul_f32_e32 v69, v8, v49
	s_waitcnt vmcnt(33) lgkmcnt(3)
	v_mul_f32_e32 v70, v10, v50
	s_waitcnt vmcnt(32)
	v_mul_f32_e32 v71, v12, v51
	s_waitcnt vmcnt(31) lgkmcnt(2)
	v_mul_f32_e32 v72, v14, v52
	s_waitcnt vmcnt(27)
	v_fmac_f32_e32 v66, v3, v56
	s_waitcnt vmcnt(26)
	v_fmac_f32_e32 v67, v5, v57
	;; [unrolled: 2-line block ×3, first 2 shown]
	v_fma_f32 v2, v2, v56, -v44
	v_add_f32_e32 v7, 0, v66
	v_fma_f32 v3, v4, v57, -v46
	v_add_f32_e32 v2, 0, v2
	v_add_f32_e32 v7, v7, v67
	s_waitcnt vmcnt(24)
	v_fmac_f32_e32 v69, v9, v59
	v_add_f32_e32 v2, v2, v3
	v_add_f32_e32 v3, v7, v68
	s_waitcnt vmcnt(23)
	v_fmac_f32_e32 v70, v11, v60
	v_add_f32_e32 v3, v3, v69
	v_mul_f32_e32 v49, v9, v49
	s_waitcnt vmcnt(22)
	v_fmac_f32_e32 v71, v13, v61
	v_fma_f32 v4, v6, v58, -v48
	v_add_f32_e32 v3, v3, v70
	v_mul_f32_e32 v73, v16, v53
	v_mul_f32_e32 v50, v11, v50
	s_waitcnt vmcnt(21)
	v_fmac_f32_e32 v72, v15, v62
	v_fma_f32 v5, v8, v59, -v49
	v_add_f32_e32 v2, v2, v4
	v_add_f32_e32 v3, v3, v71
	v_mul_f32_e32 v51, v13, v51
	s_waitcnt vmcnt(20)
	v_fmac_f32_e32 v73, v17, v63
	v_fma_f32 v6, v10, v60, -v50
	v_add_f32_e32 v2, v2, v5
	v_add_f32_e32 v3, v3, v72
	;; [unrolled: 1-line block ×4, first 2 shown]
	v_fma_f32 v3, v12, v61, -v51
	v_add_f32_e32 v2, v2, v3
	v_mul_f32_e32 v3, v15, v52
	v_fma_f32 v3, v14, v62, -v3
	v_add_f32_e32 v2, v2, v3
	v_mul_f32_e32 v3, v17, v53
	v_fma_f32 v3, v16, v63, -v3
	s_waitcnt vmcnt(15)
	v_mov_b32_e32 v16, v29
	s_waitcnt lgkmcnt(1)
	v_mul_f32_e32 v45, v18, v54
	v_add_f32_e32 v48, v2, v3
	v_mul_f32_e32 v2, v19, v54
	s_waitcnt lgkmcnt(0)
	v_pk_mul_f32 v[16:17], v[22:23], v[16:17] op_sel_hi:[1,0]
	v_mul_f32_e32 v47, v20, v55
	v_fmac_f32_e32 v45, v19, v64
	v_fma_f32 v44, v18, v64, -v2
	v_mul_f32_e32 v2, v21, v55
	s_waitcnt vmcnt(14)
	v_pk_fma_f32 v[18:19], v[22:23], v[28:29], v[16:17] op_sel:[0,0,1] op_sel_hi:[1,1,0] neg_lo:[0,0,1] neg_hi:[0,0,1]
	v_pk_fma_f32 v[16:17], v[22:23], v[28:29], v[16:17] op_sel:[0,0,1] op_sel_hi:[1,0,0]
	v_fmac_f32_e32 v47, v21, v65
	v_fma_f32 v46, v20, v65, -v2
	v_pk_add_f32 v[14:15], v[48:49], v[44:45]
	s_waitcnt vmcnt(13)
	v_mov_b32_e32 v16, v31
	ds_read2_b64 v[2:5], v1 offset0:121 offset1:122
	ds_read2_b64 v[6:9], v1 offset0:123 offset1:124
	;; [unrolled: 1-line block ×3, first 2 shown]
	v_pk_add_f32 v[14:15], v[14:15], v[46:47]
	v_mov_b32_e32 v19, v17
	v_pk_mul_f32 v[16:17], v[24:25], v[16:17] op_sel_hi:[1,0]
	v_pk_add_f32 v[14:15], v[14:15], v[18:19]
	s_waitcnt vmcnt(6)
	v_pk_fma_f32 v[18:19], v[24:25], v[30:31], v[16:17] op_sel:[0,0,1] op_sel_hi:[1,1,0] neg_lo:[0,0,1] neg_hi:[0,0,1]
	v_pk_fma_f32 v[16:17], v[24:25], v[30:31], v[16:17] op_sel:[0,0,1] op_sel_hi:[1,0,0]
	v_mov_b32_e32 v16, v37
	v_mov_b32_e32 v19, v17
	s_waitcnt lgkmcnt(2)
	v_pk_mul_f32 v[16:17], v[2:3], v[16:17] op_sel_hi:[1,0]
	v_pk_add_f32 v[14:15], v[14:15], v[18:19]
	v_pk_fma_f32 v[18:19], v[2:3], v[36:37], v[16:17] op_sel:[0,0,1] op_sel_hi:[1,1,0] neg_lo:[0,0,1] neg_hi:[0,0,1]
	v_pk_fma_f32 v[2:3], v[2:3], v[36:37], v[16:17] op_sel:[0,0,1] op_sel_hi:[1,0,0]
	v_mov_b32_e32 v19, v3
	v_pk_add_f32 v[2:3], v[14:15], v[18:19]
	v_mov_b32_e32 v14, v35
	v_pk_mul_f32 v[14:15], v[4:5], v[14:15] op_sel_hi:[1,0]
	v_pk_fma_f32 v[16:17], v[4:5], v[34:35], v[14:15] op_sel:[0,0,1] op_sel_hi:[1,1,0] neg_lo:[0,0,1] neg_hi:[0,0,1]
	v_pk_fma_f32 v[4:5], v[4:5], v[34:35], v[14:15] op_sel:[0,0,1] op_sel_hi:[1,0,0]
	v_mov_b32_e32 v4, v33
	v_mov_b32_e32 v17, v5
	s_waitcnt lgkmcnt(1)
	v_pk_mul_f32 v[4:5], v[6:7], v[4:5] op_sel_hi:[1,0]
	v_pk_fma_f32 v[14:15], v[6:7], v[32:33], v[4:5] op_sel:[0,0,1] op_sel_hi:[1,1,0] neg_lo:[0,0,1] neg_hi:[0,0,1]
	v_pk_fma_f32 v[4:5], v[6:7], v[32:33], v[4:5] op_sel:[0,0,1] op_sel_hi:[1,0,0]
	s_waitcnt vmcnt(1)
	v_mov_b32_e32 v4, v43
	v_mov_b32_e32 v15, v5
	v_pk_mul_f32 v[4:5], v[8:9], v[4:5] op_sel_hi:[1,0]
	s_waitcnt vmcnt(0)
	v_pk_fma_f32 v[6:7], v[8:9], v[42:43], v[4:5] op_sel:[0,0,1] op_sel_hi:[1,1,0] neg_lo:[0,0,1] neg_hi:[0,0,1]
	v_pk_fma_f32 v[4:5], v[8:9], v[42:43], v[4:5] op_sel:[0,0,1] op_sel_hi:[1,0,0]
	v_pk_add_f32 v[2:3], v[2:3], v[16:17]
	v_mov_b32_e32 v4, v41
	v_pk_add_f32 v[2:3], v[2:3], v[14:15]
	v_mov_b32_e32 v7, v5
	s_waitcnt lgkmcnt(0)
	v_pk_mul_f32 v[4:5], v[10:11], v[4:5] op_sel_hi:[1,0]
	v_pk_add_f32 v[2:3], v[2:3], v[6:7]
	v_pk_fma_f32 v[6:7], v[10:11], v[40:41], v[4:5] op_sel:[0,0,1] op_sel_hi:[1,1,0] neg_lo:[0,0,1] neg_hi:[0,0,1]
	v_pk_fma_f32 v[4:5], v[10:11], v[40:41], v[4:5] op_sel:[0,0,1] op_sel_hi:[1,0,0]
	v_mov_b32_e32 v4, v39
	v_mov_b32_e32 v7, v5
	v_pk_mul_f32 v[4:5], v[12:13], v[4:5] op_sel_hi:[1,0]
	v_pk_add_f32 v[2:3], v[2:3], v[6:7]
	v_pk_fma_f32 v[6:7], v[12:13], v[38:39], v[4:5] op_sel:[0,0,1] op_sel_hi:[1,1,0] neg_lo:[0,0,1] neg_hi:[0,0,1]
	v_pk_fma_f32 v[4:5], v[12:13], v[38:39], v[4:5] op_sel:[0,0,1] op_sel_hi:[1,0,0]
	v_mov_b32_e32 v7, v5
	v_pk_add_f32 v[2:3], v[2:3], v[6:7]
	v_pk_add_f32 v[2:3], v[26:27], v[2:3] neg_lo:[0,1] neg_hi:[0,1]
	buffer_store_dword v3, off, s[0:3], 0 offset:356
	buffer_store_dword v2, off, s[0:3], 0 offset:352
	s_and_saveexec_b64 s[4:5], vcc
	s_cbranch_execz .LBB126_305
; %bb.304:
	buffer_load_dword v2, off, s[0:3], 0 offset:344
	buffer_load_dword v3, off, s[0:3], 0 offset:348
	v_mov_b32_e32 v1, 0
	buffer_store_dword v1, off, s[0:3], 0 offset:344
	buffer_store_dword v1, off, s[0:3], 0 offset:348
	s_waitcnt vmcnt(2)
	ds_write_b64 v217, v[2:3]
.LBB126_305:
	s_or_b64 exec, exec, s[4:5]
	s_waitcnt lgkmcnt(0)
	; wave barrier
	s_waitcnt lgkmcnt(0)
	buffer_load_dword v44, off, s[0:3], 0 offset:356
	buffer_load_dword v46, off, s[0:3], 0 offset:364
	;; [unrolled: 1-line block ×40, first 2 shown]
	v_mov_b32_e32 v1, 0
	ds_read_b128 v[2:5], v1 offset:864
	ds_read_b128 v[6:9], v1 offset:880
	;; [unrolled: 1-line block ×6, first 2 shown]
	v_cmp_lt_u32_e32 vcc, 42, v0
	s_waitcnt vmcnt(39) lgkmcnt(5)
	v_mul_f32_e32 v68, v2, v44
	s_waitcnt vmcnt(38)
	v_mul_f32_e32 v69, v4, v46
	s_waitcnt vmcnt(37) lgkmcnt(4)
	v_mul_f32_e32 v70, v6, v48
	v_mul_f32_e32 v44, v3, v44
	;; [unrolled: 1-line block ×4, first 2 shown]
	s_waitcnt vmcnt(36)
	v_mul_f32_e32 v71, v8, v49
	s_waitcnt vmcnt(35) lgkmcnt(3)
	v_mul_f32_e32 v72, v10, v50
	s_waitcnt vmcnt(34)
	v_mul_f32_e32 v73, v12, v51
	s_waitcnt vmcnt(33) lgkmcnt(2)
	v_mul_f32_e32 v74, v14, v52
	s_waitcnt vmcnt(32)
	v_mul_f32_e32 v75, v16, v53
	s_waitcnt vmcnt(28)
	v_fmac_f32_e32 v68, v3, v57
	s_waitcnt vmcnt(27)
	v_fmac_f32_e32 v69, v5, v58
	v_fma_f32 v2, v2, v57, -v44
	v_fma_f32 v3, v4, v58, -v46
	s_waitcnt vmcnt(26)
	v_fma_f32 v4, v6, v59, -v48
	v_add_f32_e32 v6, 0, v68
	v_fmac_f32_e32 v70, v7, v59
	v_add_f32_e32 v2, 0, v2
	v_add_f32_e32 v6, v6, v69
	s_waitcnt vmcnt(25)
	v_fmac_f32_e32 v71, v9, v60
	v_add_f32_e32 v2, v2, v3
	v_add_f32_e32 v3, v6, v70
	s_waitcnt vmcnt(24)
	v_fmac_f32_e32 v72, v11, v61
	v_add_f32_e32 v3, v3, v71
	s_waitcnt vmcnt(23)
	v_fmac_f32_e32 v73, v13, v62
	;; [unrolled: 3-line block ×3, first 2 shown]
	v_add_f32_e32 v3, v3, v73
	s_waitcnt lgkmcnt(1)
	v_mul_f32_e32 v76, v18, v54
	s_waitcnt vmcnt(21)
	v_fmac_f32_e32 v75, v17, v64
	v_add_f32_e32 v3, v3, v74
	v_mul_f32_e32 v49, v9, v49
	s_waitcnt vmcnt(20)
	v_fmac_f32_e32 v76, v19, v65
	v_add_f32_e32 v3, v3, v75
	v_fma_f32 v5, v8, v60, -v49
	v_add_f32_e32 v2, v2, v4
	v_add_f32_e32 v49, v3, v76
	v_mul_f32_e32 v3, v11, v50
	v_add_f32_e32 v2, v2, v5
	v_fma_f32 v3, v10, v61, -v3
	v_add_f32_e32 v2, v2, v3
	v_mul_f32_e32 v3, v13, v51
	v_fma_f32 v3, v12, v62, -v3
	v_add_f32_e32 v2, v2, v3
	v_mul_f32_e32 v3, v15, v52
	v_fma_f32 v3, v14, v63, -v3
	v_add_f32_e32 v2, v2, v3
	v_mul_f32_e32 v3, v17, v53
	v_fma_f32 v3, v16, v64, -v3
	v_add_f32_e32 v2, v2, v3
	v_mul_f32_e32 v3, v19, v54
	v_fma_f32 v3, v18, v65, -v3
	v_add_f32_e32 v48, v2, v3
	v_mul_f32_e32 v2, v21, v55
	s_waitcnt vmcnt(9)
	v_mov_b32_e32 v18, v35
	v_mul_f32_e32 v45, v20, v55
	v_fma_f32 v44, v20, v66, -v2
	s_waitcnt lgkmcnt(0)
	v_mul_f32_e32 v2, v23, v56
	v_pk_mul_f32 v[18:19], v[24:25], v[18:19] op_sel_hi:[1,0]
	v_mul_f32_e32 v47, v22, v56
	v_fmac_f32_e32 v45, v21, v66
	v_fma_f32 v46, v22, v67, -v2
	ds_read_b128 v[2:5], v1 offset:960
	ds_read_b128 v[6:9], v1 offset:976
	;; [unrolled: 1-line block ×3, first 2 shown]
	ds_read_b64 v[14:15], v1 offset:1008
	s_waitcnt vmcnt(8)
	v_pk_fma_f32 v[20:21], v[24:25], v[34:35], v[18:19] op_sel:[0,0,1] op_sel_hi:[1,1,0] neg_lo:[0,0,1] neg_hi:[0,0,1]
	v_pk_fma_f32 v[18:19], v[24:25], v[34:35], v[18:19] op_sel:[0,0,1] op_sel_hi:[1,0,0]
	v_fmac_f32_e32 v47, v23, v67
	v_pk_add_f32 v[16:17], v[48:49], v[44:45]
	v_mov_b32_e32 v18, v33
	v_pk_add_f32 v[16:17], v[16:17], v[46:47]
	v_mov_b32_e32 v21, v19
	s_waitcnt lgkmcnt(3)
	v_pk_mul_f32 v[18:19], v[2:3], v[18:19] op_sel_hi:[1,0]
	v_pk_add_f32 v[16:17], v[16:17], v[20:21]
	v_pk_fma_f32 v[20:21], v[2:3], v[32:33], v[18:19] op_sel:[0,0,1] op_sel_hi:[1,1,0] neg_lo:[0,0,1] neg_hi:[0,0,1]
	v_pk_fma_f32 v[2:3], v[2:3], v[32:33], v[18:19] op_sel:[0,0,1] op_sel_hi:[1,0,0]
	v_mov_b32_e32 v21, v3
	v_pk_add_f32 v[2:3], v[16:17], v[20:21]
	v_mov_b32_e32 v16, v31
	v_pk_mul_f32 v[16:17], v[4:5], v[16:17] op_sel_hi:[1,0]
	v_pk_fma_f32 v[18:19], v[4:5], v[30:31], v[16:17] op_sel:[0,0,1] op_sel_hi:[1,1,0] neg_lo:[0,0,1] neg_hi:[0,0,1]
	v_pk_fma_f32 v[4:5], v[4:5], v[30:31], v[16:17] op_sel:[0,0,1] op_sel_hi:[1,0,0]
	v_mov_b32_e32 v4, v29
	v_mov_b32_e32 v19, v5
	s_waitcnt lgkmcnt(2)
	v_pk_mul_f32 v[4:5], v[6:7], v[4:5] op_sel_hi:[1,0]
	v_pk_fma_f32 v[16:17], v[6:7], v[28:29], v[4:5] op_sel:[0,0,1] op_sel_hi:[1,1,0] neg_lo:[0,0,1] neg_hi:[0,0,1]
	v_pk_fma_f32 v[4:5], v[6:7], v[28:29], v[4:5] op_sel:[0,0,1] op_sel_hi:[1,0,0]
	s_waitcnt vmcnt(1)
	v_mov_b32_e32 v4, v43
	v_mov_b32_e32 v17, v5
	v_pk_mul_f32 v[4:5], v[8:9], v[4:5] op_sel_hi:[1,0]
	s_waitcnt vmcnt(0)
	v_pk_fma_f32 v[6:7], v[8:9], v[42:43], v[4:5] op_sel:[0,0,1] op_sel_hi:[1,1,0] neg_lo:[0,0,1] neg_hi:[0,0,1]
	v_pk_fma_f32 v[4:5], v[8:9], v[42:43], v[4:5] op_sel:[0,0,1] op_sel_hi:[1,0,0]
	v_pk_add_f32 v[2:3], v[2:3], v[18:19]
	v_mov_b32_e32 v4, v41
	v_pk_add_f32 v[2:3], v[2:3], v[16:17]
	v_mov_b32_e32 v7, v5
	s_waitcnt lgkmcnt(1)
	v_pk_mul_f32 v[4:5], v[10:11], v[4:5] op_sel_hi:[1,0]
	v_pk_add_f32 v[2:3], v[2:3], v[6:7]
	v_pk_fma_f32 v[6:7], v[10:11], v[40:41], v[4:5] op_sel:[0,0,1] op_sel_hi:[1,1,0] neg_lo:[0,0,1] neg_hi:[0,0,1]
	v_pk_fma_f32 v[4:5], v[10:11], v[40:41], v[4:5] op_sel:[0,0,1] op_sel_hi:[1,0,0]
	v_mov_b32_e32 v4, v39
	v_mov_b32_e32 v7, v5
	v_pk_mul_f32 v[4:5], v[12:13], v[4:5] op_sel_hi:[1,0]
	v_pk_add_f32 v[2:3], v[2:3], v[6:7]
	v_pk_fma_f32 v[6:7], v[12:13], v[38:39], v[4:5] op_sel:[0,0,1] op_sel_hi:[1,1,0] neg_lo:[0,0,1] neg_hi:[0,0,1]
	v_pk_fma_f32 v[4:5], v[12:13], v[38:39], v[4:5] op_sel:[0,0,1] op_sel_hi:[1,0,0]
	v_mov_b32_e32 v4, v37
	v_mov_b32_e32 v7, v5
	s_waitcnt lgkmcnt(0)
	v_pk_mul_f32 v[4:5], v[14:15], v[4:5] op_sel_hi:[1,0]
	v_pk_add_f32 v[2:3], v[2:3], v[6:7]
	v_pk_fma_f32 v[6:7], v[14:15], v[36:37], v[4:5] op_sel:[0,0,1] op_sel_hi:[1,1,0] neg_lo:[0,0,1] neg_hi:[0,0,1]
	v_pk_fma_f32 v[4:5], v[14:15], v[36:37], v[4:5] op_sel:[0,0,1] op_sel_hi:[1,0,0]
	v_mov_b32_e32 v7, v5
	v_pk_add_f32 v[2:3], v[2:3], v[6:7]
	v_pk_add_f32 v[2:3], v[26:27], v[2:3] neg_lo:[0,1] neg_hi:[0,1]
	buffer_store_dword v3, off, s[0:3], 0 offset:348
	buffer_store_dword v2, off, s[0:3], 0 offset:344
	s_and_saveexec_b64 s[4:5], vcc
	s_cbranch_execz .LBB126_307
; %bb.306:
	buffer_load_dword v2, off, s[0:3], 0 offset:336
	buffer_load_dword v3, off, s[0:3], 0 offset:340
	s_waitcnt vmcnt(0)
	ds_write_b64 v217, v[2:3]
	buffer_store_dword v1, off, s[0:3], 0 offset:336
	buffer_store_dword v1, off, s[0:3], 0 offset:340
.LBB126_307:
	s_or_b64 exec, exec, s[4:5]
	s_waitcnt lgkmcnt(0)
	; wave barrier
	s_waitcnt lgkmcnt(0)
	buffer_load_dword v44, off, s[0:3], 0 offset:348
	buffer_load_dword v46, off, s[0:3], 0 offset:356
	;; [unrolled: 1-line block ×26, first 2 shown]
	ds_read2_b64 v[2:5], v1 offset0:107 offset1:108
	ds_read2_b64 v[6:9], v1 offset0:109 offset1:110
	;; [unrolled: 1-line block ×6, first 2 shown]
	buffer_load_dword v29, off, s[0:3], 0 offset:460
	buffer_load_dword v28, off, s[0:3], 0 offset:456
	;; [unrolled: 1-line block ×16, first 2 shown]
	v_cmp_lt_u32_e32 vcc, 41, v0
	s_waitcnt vmcnt(41) lgkmcnt(5)
	v_mul_f32_e32 v70, v2, v44
	s_waitcnt vmcnt(40)
	v_mul_f32_e32 v71, v4, v46
	v_mul_f32_e32 v44, v3, v44
	s_waitcnt vmcnt(39) lgkmcnt(4)
	v_mul_f32_e32 v72, v6, v48
	v_mul_f32_e32 v46, v5, v46
	s_waitcnt vmcnt(38)
	v_mul_f32_e32 v73, v8, v50
	s_waitcnt vmcnt(37) lgkmcnt(3)
	v_mul_f32_e32 v74, v10, v51
	s_waitcnt vmcnt(36)
	v_mul_f32_e32 v75, v12, v52
	s_waitcnt vmcnt(35) lgkmcnt(2)
	;; [unrolled: 4-line block ×3, first 2 shown]
	v_mul_f32_e32 v78, v18, v55
	s_waitcnt vmcnt(32)
	v_mul_f32_e32 v79, v20, v56
	s_waitcnt vmcnt(29)
	v_fmac_f32_e32 v70, v3, v49
	s_waitcnt vmcnt(28)
	v_fmac_f32_e32 v71, v5, v59
	v_fma_f32 v2, v2, v49, -v44
	v_add_f32_e32 v5, 0, v70
	s_waitcnt vmcnt(27)
	v_fmac_f32_e32 v72, v7, v60
	v_fma_f32 v3, v4, v59, -v46
	v_add_f32_e32 v2, 0, v2
	v_add_f32_e32 v5, v5, v71
	s_waitcnt vmcnt(26)
	v_fmac_f32_e32 v73, v9, v61
	v_add_f32_e32 v2, v2, v3
	v_add_f32_e32 v3, v5, v72
	s_waitcnt vmcnt(25)
	v_fmac_f32_e32 v74, v11, v62
	v_add_f32_e32 v3, v3, v73
	s_waitcnt vmcnt(24)
	v_fmac_f32_e32 v75, v13, v63
	;; [unrolled: 3-line block ×5, first 2 shown]
	v_add_f32_e32 v3, v3, v77
	v_mul_f32_e32 v48, v7, v48
	s_waitcnt vmcnt(20)
	v_fmac_f32_e32 v79, v21, v67
	v_add_f32_e32 v3, v3, v78
	v_fma_f32 v4, v6, v60, -v48
	v_add_f32_e32 v49, v3, v79
	v_mul_f32_e32 v3, v9, v50
	v_add_f32_e32 v2, v2, v4
	v_fma_f32 v3, v8, v61, -v3
	v_add_f32_e32 v2, v2, v3
	v_mul_f32_e32 v3, v11, v51
	v_fma_f32 v3, v10, v62, -v3
	v_add_f32_e32 v2, v2, v3
	v_mul_f32_e32 v3, v13, v52
	;; [unrolled: 3-line block ×6, first 2 shown]
	v_fma_f32 v3, v20, v67, -v3
	v_add_f32_e32 v48, v2, v3
	s_waitcnt lgkmcnt(0)
	v_mul_f32_e32 v2, v23, v57
	s_waitcnt vmcnt(19)
	v_fma_f32 v44, v22, v68, -v2
	v_mul_f32_e32 v2, v25, v58
	s_waitcnt vmcnt(18)
	v_fma_f32 v46, v24, v69, -v2
	ds_read2_b64 v[2:5], v1 offset0:119 offset1:120
	ds_read2_b64 v[6:9], v1 offset0:121 offset1:122
	;; [unrolled: 1-line block ×4, first 2 shown]
	v_mul_f32_e32 v45, v22, v57
	s_waitcnt vmcnt(11)
	v_mov_b32_e32 v20, v33
	v_mul_f32_e32 v47, v24, v58
	v_fmac_f32_e32 v45, v23, v68
	s_waitcnt lgkmcnt(3)
	v_pk_mul_f32 v[20:21], v[2:3], v[20:21] op_sel_hi:[1,0]
	v_fmac_f32_e32 v47, v25, v69
	v_pk_add_f32 v[18:19], v[48:49], v[44:45]
	s_waitcnt vmcnt(10)
	v_pk_fma_f32 v[22:23], v[2:3], v[32:33], v[20:21] op_sel:[0,0,1] op_sel_hi:[1,1,0] neg_lo:[0,0,1] neg_hi:[0,0,1]
	v_pk_fma_f32 v[2:3], v[2:3], v[32:33], v[20:21] op_sel:[0,0,1] op_sel_hi:[1,0,0]
	v_pk_add_f32 v[18:19], v[18:19], v[46:47]
	v_mov_b32_e32 v23, v3
	v_pk_add_f32 v[2:3], v[18:19], v[22:23]
	v_mov_b32_e32 v18, v31
	v_pk_mul_f32 v[18:19], v[4:5], v[18:19] op_sel_hi:[1,0]
	v_pk_fma_f32 v[20:21], v[4:5], v[30:31], v[18:19] op_sel:[0,0,1] op_sel_hi:[1,1,0] neg_lo:[0,0,1] neg_hi:[0,0,1]
	v_pk_fma_f32 v[4:5], v[4:5], v[30:31], v[18:19] op_sel:[0,0,1] op_sel_hi:[1,0,0]
	v_mov_b32_e32 v4, v29
	v_mov_b32_e32 v21, v5
	s_waitcnt lgkmcnt(2)
	v_pk_mul_f32 v[4:5], v[6:7], v[4:5] op_sel_hi:[1,0]
	v_pk_fma_f32 v[18:19], v[6:7], v[28:29], v[4:5] op_sel:[0,0,1] op_sel_hi:[1,1,0] neg_lo:[0,0,1] neg_hi:[0,0,1]
	v_pk_fma_f32 v[4:5], v[6:7], v[28:29], v[4:5] op_sel:[0,0,1] op_sel_hi:[1,0,0]
	s_waitcnt vmcnt(3)
	v_mov_b32_e32 v4, v41
	v_mov_b32_e32 v19, v5
	v_pk_mul_f32 v[4:5], v[8:9], v[4:5] op_sel_hi:[1,0]
	s_waitcnt vmcnt(2)
	v_pk_fma_f32 v[6:7], v[8:9], v[40:41], v[4:5] op_sel:[0,0,1] op_sel_hi:[1,1,0] neg_lo:[0,0,1] neg_hi:[0,0,1]
	v_pk_fma_f32 v[4:5], v[8:9], v[40:41], v[4:5] op_sel:[0,0,1] op_sel_hi:[1,0,0]
	v_pk_add_f32 v[2:3], v[2:3], v[20:21]
	v_mov_b32_e32 v4, v39
	v_pk_add_f32 v[2:3], v[2:3], v[18:19]
	v_mov_b32_e32 v7, v5
	s_waitcnt lgkmcnt(1)
	v_pk_mul_f32 v[4:5], v[10:11], v[4:5] op_sel_hi:[1,0]
	v_pk_add_f32 v[2:3], v[2:3], v[6:7]
	v_pk_fma_f32 v[6:7], v[10:11], v[38:39], v[4:5] op_sel:[0,0,1] op_sel_hi:[1,1,0] neg_lo:[0,0,1] neg_hi:[0,0,1]
	v_pk_fma_f32 v[4:5], v[10:11], v[38:39], v[4:5] op_sel:[0,0,1] op_sel_hi:[1,0,0]
	v_mov_b32_e32 v4, v37
	v_mov_b32_e32 v7, v5
	v_pk_mul_f32 v[4:5], v[12:13], v[4:5] op_sel_hi:[1,0]
	v_pk_add_f32 v[2:3], v[2:3], v[6:7]
	v_pk_fma_f32 v[6:7], v[12:13], v[36:37], v[4:5] op_sel:[0,0,1] op_sel_hi:[1,1,0] neg_lo:[0,0,1] neg_hi:[0,0,1]
	v_pk_fma_f32 v[4:5], v[12:13], v[36:37], v[4:5] op_sel:[0,0,1] op_sel_hi:[1,0,0]
	v_mov_b32_e32 v4, v35
	v_mov_b32_e32 v7, v5
	s_waitcnt lgkmcnt(0)
	v_pk_mul_f32 v[4:5], v[14:15], v[4:5] op_sel_hi:[1,0]
	v_pk_add_f32 v[2:3], v[2:3], v[6:7]
	v_pk_fma_f32 v[6:7], v[14:15], v[34:35], v[4:5] op_sel:[0,0,1] op_sel_hi:[1,1,0] neg_lo:[0,0,1] neg_hi:[0,0,1]
	v_pk_fma_f32 v[4:5], v[14:15], v[34:35], v[4:5] op_sel:[0,0,1] op_sel_hi:[1,0,0]
	s_waitcnt vmcnt(1)
	v_mov_b32_e32 v4, v43
	v_mov_b32_e32 v7, v5
	v_pk_mul_f32 v[4:5], v[16:17], v[4:5] op_sel_hi:[1,0]
	v_pk_add_f32 v[2:3], v[2:3], v[6:7]
	s_waitcnt vmcnt(0)
	v_pk_fma_f32 v[6:7], v[16:17], v[42:43], v[4:5] op_sel:[0,0,1] op_sel_hi:[1,1,0] neg_lo:[0,0,1] neg_hi:[0,0,1]
	v_pk_fma_f32 v[4:5], v[16:17], v[42:43], v[4:5] op_sel:[0,0,1] op_sel_hi:[1,0,0]
	v_mov_b32_e32 v7, v5
	v_pk_add_f32 v[2:3], v[2:3], v[6:7]
	v_pk_add_f32 v[2:3], v[26:27], v[2:3] neg_lo:[0,1] neg_hi:[0,1]
	buffer_store_dword v3, off, s[0:3], 0 offset:340
	buffer_store_dword v2, off, s[0:3], 0 offset:336
	s_and_saveexec_b64 s[4:5], vcc
	s_cbranch_execz .LBB126_309
; %bb.308:
	buffer_load_dword v2, off, s[0:3], 0 offset:328
	buffer_load_dword v3, off, s[0:3], 0 offset:332
	v_mov_b32_e32 v1, 0
	buffer_store_dword v1, off, s[0:3], 0 offset:328
	buffer_store_dword v1, off, s[0:3], 0 offset:332
	s_waitcnt vmcnt(2)
	ds_write_b64 v217, v[2:3]
.LBB126_309:
	s_or_b64 exec, exec, s[4:5]
	s_waitcnt lgkmcnt(0)
	; wave barrier
	s_waitcnt lgkmcnt(0)
	buffer_load_dword v52, off, s[0:3], 0 offset:340
	buffer_load_dword v54, off, s[0:3], 0 offset:348
	;; [unrolled: 1-line block ×44, first 2 shown]
	v_mov_b32_e32 v1, 0
	ds_read_b128 v[2:5], v1 offset:848
	ds_read_b128 v[6:9], v1 offset:864
	;; [unrolled: 1-line block ×8, first 2 shown]
	v_cmp_lt_u32_e32 vcc, 40, v0
	s_waitcnt vmcnt(43) lgkmcnt(7)
	v_mul_f32_e32 v57, v2, v52
	s_waitcnt vmcnt(42)
	v_mul_f32_e32 v81, v4, v54
	s_waitcnt vmcnt(41) lgkmcnt(6)
	v_mul_f32_e32 v82, v6, v56
	v_mul_f32_e32 v52, v3, v52
	s_waitcnt vmcnt(40)
	v_mul_f32_e32 v83, v8, v58
	s_waitcnt vmcnt(39) lgkmcnt(5)
	v_mul_f32_e32 v84, v10, v59
	s_waitcnt vmcnt(38)
	v_mul_f32_e32 v85, v12, v60
	s_waitcnt vmcnt(37) lgkmcnt(4)
	;; [unrolled: 4-line block ×4, first 2 shown]
	v_mul_f32_e32 v90, v22, v65
	s_waitcnt vmcnt(32)
	v_mul_f32_e32 v53, v24, v66
	s_waitcnt vmcnt(30)
	v_fmac_f32_e32 v57, v3, v68
	s_waitcnt vmcnt(29)
	v_fmac_f32_e32 v81, v5, v69
	v_add_f32_e32 v3, 0, v57
	s_waitcnt vmcnt(28)
	v_fmac_f32_e32 v82, v7, v70
	v_add_f32_e32 v3, v3, v81
	s_waitcnt vmcnt(27)
	v_fmac_f32_e32 v83, v9, v71
	v_add_f32_e32 v3, v3, v82
	s_waitcnt vmcnt(26)
	v_fmac_f32_e32 v84, v11, v72
	v_add_f32_e32 v3, v3, v83
	s_waitcnt vmcnt(25)
	v_fmac_f32_e32 v85, v13, v73
	v_add_f32_e32 v3, v3, v84
	s_waitcnt vmcnt(24)
	v_fmac_f32_e32 v86, v15, v74
	v_add_f32_e32 v3, v3, v85
	s_waitcnt vmcnt(23)
	v_fmac_f32_e32 v87, v17, v75
	v_add_f32_e32 v3, v3, v86
	s_waitcnt vmcnt(22)
	v_fmac_f32_e32 v88, v19, v76
	v_add_f32_e32 v3, v3, v87
	s_waitcnt vmcnt(21)
	v_fmac_f32_e32 v89, v21, v77
	v_add_f32_e32 v3, v3, v88
	s_waitcnt vmcnt(20)
	v_fmac_f32_e32 v90, v23, v78
	v_add_f32_e32 v3, v3, v89
	v_add_f32_e32 v57, v3, v90
	v_fma_f32 v2, v2, v68, -v52
	v_mul_f32_e32 v3, v5, v54
	v_add_f32_e32 v2, 0, v2
	v_fma_f32 v3, v4, v69, -v3
	v_add_f32_e32 v2, v2, v3
	v_mul_f32_e32 v3, v7, v56
	v_fma_f32 v3, v6, v70, -v3
	v_add_f32_e32 v2, v2, v3
	v_mul_f32_e32 v3, v9, v58
	;; [unrolled: 3-line block ×9, first 2 shown]
	v_fma_f32 v3, v22, v78, -v3
	s_waitcnt vmcnt(13)
	v_mov_b32_e32 v14, v39
	v_add_f32_e32 v56, v2, v3
	v_mul_f32_e32 v2, v25, v66
	s_waitcnt lgkmcnt(1)
	v_pk_mul_f32 v[14:15], v[28:29], v[14:15] op_sel_hi:[1,0]
	v_mul_f32_e32 v55, v26, v67
	v_fmac_f32_e32 v53, v25, v79
	v_fma_f32 v52, v24, v79, -v2
	v_mul_f32_e32 v2, v27, v67
	s_waitcnt vmcnt(12)
	v_pk_fma_f32 v[16:17], v[28:29], v[38:39], v[14:15] op_sel:[0,0,1] op_sel_hi:[1,1,0] neg_lo:[0,0,1] neg_hi:[0,0,1]
	v_pk_fma_f32 v[14:15], v[28:29], v[38:39], v[14:15] op_sel:[0,0,1] op_sel_hi:[1,0,0]
	v_fmac_f32_e32 v55, v27, v80
	v_fma_f32 v54, v26, v80, -v2
	v_pk_add_f32 v[12:13], v[56:57], v[52:53]
	v_mov_b32_e32 v14, v37
	v_pk_add_f32 v[12:13], v[12:13], v[54:55]
	v_mov_b32_e32 v17, v15
	s_waitcnt lgkmcnt(0)
	v_pk_mul_f32 v[14:15], v[30:31], v[14:15] op_sel_hi:[1,0]
	v_pk_add_f32 v[12:13], v[12:13], v[16:17]
	v_pk_fma_f32 v[16:17], v[30:31], v[36:37], v[14:15] op_sel:[0,0,1] op_sel_hi:[1,1,0] neg_lo:[0,0,1] neg_hi:[0,0,1]
	v_pk_fma_f32 v[14:15], v[30:31], v[36:37], v[14:15] op_sel:[0,0,1] op_sel_hi:[1,0,0]
	s_waitcnt vmcnt(5)
	v_mov_b32_e32 v14, v47
	ds_read_b128 v[2:5], v1 offset:976
	ds_read_b128 v[6:9], v1 offset:992
	ds_read_b64 v[10:11], v1 offset:1008
	v_mov_b32_e32 v17, v15
	v_pk_mul_f32 v[14:15], v[32:33], v[14:15] op_sel_hi:[1,0]
	v_pk_add_f32 v[12:13], v[12:13], v[16:17]
	s_waitcnt vmcnt(4)
	v_pk_fma_f32 v[16:17], v[32:33], v[46:47], v[14:15] op_sel:[0,0,1] op_sel_hi:[1,1,0] neg_lo:[0,0,1] neg_hi:[0,0,1]
	v_pk_fma_f32 v[14:15], v[32:33], v[46:47], v[14:15] op_sel:[0,0,1] op_sel_hi:[1,0,0]
	v_mov_b32_e32 v14, v45
	v_mov_b32_e32 v17, v15
	s_waitcnt lgkmcnt(2)
	v_pk_mul_f32 v[14:15], v[2:3], v[14:15] op_sel_hi:[1,0]
	v_pk_add_f32 v[12:13], v[12:13], v[16:17]
	v_pk_fma_f32 v[16:17], v[2:3], v[44:45], v[14:15] op_sel:[0,0,1] op_sel_hi:[1,1,0] neg_lo:[0,0,1] neg_hi:[0,0,1]
	v_pk_fma_f32 v[2:3], v[2:3], v[44:45], v[14:15] op_sel:[0,0,1] op_sel_hi:[1,0,0]
	v_mov_b32_e32 v17, v3
	v_pk_add_f32 v[2:3], v[12:13], v[16:17]
	v_mov_b32_e32 v12, v43
	v_pk_mul_f32 v[12:13], v[4:5], v[12:13] op_sel_hi:[1,0]
	v_pk_fma_f32 v[14:15], v[4:5], v[42:43], v[12:13] op_sel:[0,0,1] op_sel_hi:[1,1,0] neg_lo:[0,0,1] neg_hi:[0,0,1]
	v_pk_fma_f32 v[4:5], v[4:5], v[42:43], v[12:13] op_sel:[0,0,1] op_sel_hi:[1,0,0]
	v_mov_b32_e32 v4, v41
	v_mov_b32_e32 v15, v5
	s_waitcnt lgkmcnt(1)
	v_pk_mul_f32 v[4:5], v[6:7], v[4:5] op_sel_hi:[1,0]
	v_pk_fma_f32 v[12:13], v[6:7], v[40:41], v[4:5] op_sel:[0,0,1] op_sel_hi:[1,1,0] neg_lo:[0,0,1] neg_hi:[0,0,1]
	v_pk_fma_f32 v[4:5], v[6:7], v[40:41], v[4:5] op_sel:[0,0,1] op_sel_hi:[1,0,0]
	s_waitcnt vmcnt(1)
	v_mov_b32_e32 v4, v51
	v_mov_b32_e32 v13, v5
	v_pk_mul_f32 v[4:5], v[8:9], v[4:5] op_sel_hi:[1,0]
	s_waitcnt vmcnt(0)
	v_pk_fma_f32 v[6:7], v[8:9], v[50:51], v[4:5] op_sel:[0,0,1] op_sel_hi:[1,1,0] neg_lo:[0,0,1] neg_hi:[0,0,1]
	v_pk_fma_f32 v[4:5], v[8:9], v[50:51], v[4:5] op_sel:[0,0,1] op_sel_hi:[1,0,0]
	v_pk_add_f32 v[2:3], v[2:3], v[14:15]
	v_mov_b32_e32 v4, v49
	v_pk_add_f32 v[2:3], v[2:3], v[12:13]
	v_mov_b32_e32 v7, v5
	s_waitcnt lgkmcnt(0)
	v_pk_mul_f32 v[4:5], v[10:11], v[4:5] op_sel_hi:[1,0]
	v_pk_add_f32 v[2:3], v[2:3], v[6:7]
	v_pk_fma_f32 v[6:7], v[10:11], v[48:49], v[4:5] op_sel:[0,0,1] op_sel_hi:[1,1,0] neg_lo:[0,0,1] neg_hi:[0,0,1]
	v_pk_fma_f32 v[4:5], v[10:11], v[48:49], v[4:5] op_sel:[0,0,1] op_sel_hi:[1,0,0]
	v_mov_b32_e32 v7, v5
	v_pk_add_f32 v[2:3], v[2:3], v[6:7]
	v_pk_add_f32 v[2:3], v[34:35], v[2:3] neg_lo:[0,1] neg_hi:[0,1]
	buffer_store_dword v3, off, s[0:3], 0 offset:332
	buffer_store_dword v2, off, s[0:3], 0 offset:328
	s_and_saveexec_b64 s[4:5], vcc
	s_cbranch_execz .LBB126_311
; %bb.310:
	buffer_load_dword v2, off, s[0:3], 0 offset:320
	buffer_load_dword v3, off, s[0:3], 0 offset:324
	s_waitcnt vmcnt(0)
	ds_write_b64 v217, v[2:3]
	buffer_store_dword v1, off, s[0:3], 0 offset:320
	buffer_store_dword v1, off, s[0:3], 0 offset:324
.LBB126_311:
	s_or_b64 exec, exec, s[4:5]
	s_waitcnt lgkmcnt(0)
	; wave barrier
	s_waitcnt lgkmcnt(0)
	buffer_load_dword v52, off, s[0:3], 0 offset:332
	buffer_load_dword v54, off, s[0:3], 0 offset:340
	;; [unrolled: 1-line block ×30, first 2 shown]
	ds_read2_b64 v[2:5], v1 offset0:105 offset1:106
	ds_read2_b64 v[6:9], v1 offset0:107 offset1:108
	;; [unrolled: 1-line block ×6, first 2 shown]
	buffer_load_dword v37, off, s[0:3], 0 offset:444
	buffer_load_dword v36, off, s[0:3], 0 offset:440
	ds_read2_b64 v[26:29], v1 offset0:117 offset1:118
	ds_read2_b64 v[30:33], v1 offset0:119 offset1:120
	buffer_load_dword v39, off, s[0:3], 0 offset:476
	buffer_load_dword v38, off, s[0:3], 0 offset:472
	;; [unrolled: 1-line block ×14, first 2 shown]
	v_cmp_lt_u32_e32 vcc, 39, v0
	s_waitcnt vmcnt(45) lgkmcnt(7)
	v_mul_f32_e32 v55, v2, v52
	s_waitcnt vmcnt(44)
	v_mul_f32_e32 v57, v4, v54
	s_waitcnt vmcnt(43) lgkmcnt(6)
	v_mul_f32_e32 v83, v6, v56
	s_waitcnt vmcnt(42)
	v_mul_f32_e32 v84, v8, v58
	;; [unrolled: 4-line block ×6, first 2 shown]
	s_waitcnt vmcnt(33) lgkmcnt(1)
	v_mul_f32_e32 v53, v26, v67
	s_waitcnt vmcnt(32)
	v_fmac_f32_e32 v55, v3, v68
	v_mul_f32_e32 v3, v3, v52
	v_fma_f32 v2, v2, v68, -v3
	v_mul_f32_e32 v3, v5, v54
	v_add_f32_e32 v2, 0, v2
	s_waitcnt vmcnt(31)
	v_fma_f32 v3, v4, v69, -v3
	v_add_f32_e32 v2, v2, v3
	v_mul_f32_e32 v3, v7, v56
	s_waitcnt vmcnt(30)
	v_fma_f32 v3, v6, v70, -v3
	v_add_f32_e32 v2, v2, v3
	v_mul_f32_e32 v3, v9, v58
	;; [unrolled: 4-line block ×5, first 2 shown]
	s_waitcnt vmcnt(26)
	v_fma_f32 v3, v14, v74, -v3
	v_fmac_f32_e32 v57, v5, v69
	v_add_f32_e32 v55, 0, v55
	v_add_f32_e32 v2, v2, v3
	v_mul_f32_e32 v3, v17, v62
	v_fmac_f32_e32 v83, v7, v70
	v_add_f32_e32 v55, v55, v57
	s_waitcnt vmcnt(25)
	v_fma_f32 v3, v16, v75, -v3
	v_fmac_f32_e32 v84, v9, v71
	v_add_f32_e32 v55, v55, v83
	v_add_f32_e32 v2, v2, v3
	v_mul_f32_e32 v3, v19, v63
	v_fmac_f32_e32 v85, v11, v72
	v_add_f32_e32 v55, v55, v84
	;; [unrolled: 8-line block ×5, first 2 shown]
	s_waitcnt vmcnt(21)
	v_fma_f32 v3, v24, v79, -v3
	s_waitcnt vmcnt(15)
	v_mov_b32_e32 v16, v37
	v_fmac_f32_e32 v92, v25, v79
	v_add_f32_e32 v55, v55, v91
	v_add_f32_e32 v54, v2, v3
	v_mul_f32_e32 v2, v27, v67
	s_waitcnt lgkmcnt(0)
	v_pk_mul_f32 v[16:17], v[30:31], v[16:17] op_sel_hi:[1,0]
	v_fmac_f32_e32 v53, v27, v80
	v_add_f32_e32 v55, v55, v92
	v_mul_f32_e32 v57, v28, v81
	v_fma_f32 v52, v26, v80, -v2
	v_mul_f32_e32 v2, v29, v81
	s_waitcnt vmcnt(14)
	v_pk_fma_f32 v[18:19], v[30:31], v[36:37], v[16:17] op_sel:[0,0,1] op_sel_hi:[1,1,0] neg_lo:[0,0,1] neg_hi:[0,0,1]
	v_pk_fma_f32 v[16:17], v[30:31], v[36:37], v[16:17] op_sel:[0,0,1] op_sel_hi:[1,0,0]
	v_fmac_f32_e32 v57, v29, v82
	v_fma_f32 v56, v28, v82, -v2
	v_pk_add_f32 v[14:15], v[54:55], v[52:53]
	s_waitcnt vmcnt(7)
	v_mov_b32_e32 v16, v45
	ds_read2_b64 v[2:5], v1 offset0:121 offset1:122
	ds_read2_b64 v[6:9], v1 offset0:123 offset1:124
	;; [unrolled: 1-line block ×3, first 2 shown]
	v_pk_add_f32 v[14:15], v[14:15], v[56:57]
	v_mov_b32_e32 v19, v17
	v_pk_mul_f32 v[16:17], v[32:33], v[16:17] op_sel_hi:[1,0]
	v_pk_add_f32 v[14:15], v[14:15], v[18:19]
	s_waitcnt vmcnt(6)
	v_pk_fma_f32 v[18:19], v[32:33], v[44:45], v[16:17] op_sel:[0,0,1] op_sel_hi:[1,1,0] neg_lo:[0,0,1] neg_hi:[0,0,1]
	v_pk_fma_f32 v[16:17], v[32:33], v[44:45], v[16:17] op_sel:[0,0,1] op_sel_hi:[1,0,0]
	v_mov_b32_e32 v16, v43
	v_mov_b32_e32 v19, v17
	s_waitcnt lgkmcnt(2)
	v_pk_mul_f32 v[16:17], v[2:3], v[16:17] op_sel_hi:[1,0]
	v_pk_add_f32 v[14:15], v[14:15], v[18:19]
	v_pk_fma_f32 v[18:19], v[2:3], v[42:43], v[16:17] op_sel:[0,0,1] op_sel_hi:[1,1,0] neg_lo:[0,0,1] neg_hi:[0,0,1]
	v_pk_fma_f32 v[2:3], v[2:3], v[42:43], v[16:17] op_sel:[0,0,1] op_sel_hi:[1,0,0]
	v_mov_b32_e32 v19, v3
	v_pk_add_f32 v[2:3], v[14:15], v[18:19]
	v_mov_b32_e32 v14, v41
	v_pk_mul_f32 v[14:15], v[4:5], v[14:15] op_sel_hi:[1,0]
	v_pk_fma_f32 v[16:17], v[4:5], v[40:41], v[14:15] op_sel:[0,0,1] op_sel_hi:[1,1,0] neg_lo:[0,0,1] neg_hi:[0,0,1]
	v_pk_fma_f32 v[4:5], v[4:5], v[40:41], v[14:15] op_sel:[0,0,1] op_sel_hi:[1,0,0]
	v_mov_b32_e32 v4, v39
	v_mov_b32_e32 v17, v5
	s_waitcnt lgkmcnt(1)
	v_pk_mul_f32 v[4:5], v[6:7], v[4:5] op_sel_hi:[1,0]
	v_pk_fma_f32 v[14:15], v[6:7], v[38:39], v[4:5] op_sel:[0,0,1] op_sel_hi:[1,1,0] neg_lo:[0,0,1] neg_hi:[0,0,1]
	v_pk_fma_f32 v[4:5], v[6:7], v[38:39], v[4:5] op_sel:[0,0,1] op_sel_hi:[1,0,0]
	s_waitcnt vmcnt(1)
	v_mov_b32_e32 v4, v51
	v_mov_b32_e32 v15, v5
	v_pk_mul_f32 v[4:5], v[8:9], v[4:5] op_sel_hi:[1,0]
	s_waitcnt vmcnt(0)
	v_pk_fma_f32 v[6:7], v[8:9], v[50:51], v[4:5] op_sel:[0,0,1] op_sel_hi:[1,1,0] neg_lo:[0,0,1] neg_hi:[0,0,1]
	v_pk_fma_f32 v[4:5], v[8:9], v[50:51], v[4:5] op_sel:[0,0,1] op_sel_hi:[1,0,0]
	v_pk_add_f32 v[2:3], v[2:3], v[16:17]
	v_mov_b32_e32 v4, v49
	v_pk_add_f32 v[2:3], v[2:3], v[14:15]
	v_mov_b32_e32 v7, v5
	s_waitcnt lgkmcnt(0)
	v_pk_mul_f32 v[4:5], v[10:11], v[4:5] op_sel_hi:[1,0]
	v_pk_add_f32 v[2:3], v[2:3], v[6:7]
	v_pk_fma_f32 v[6:7], v[10:11], v[48:49], v[4:5] op_sel:[0,0,1] op_sel_hi:[1,1,0] neg_lo:[0,0,1] neg_hi:[0,0,1]
	v_pk_fma_f32 v[4:5], v[10:11], v[48:49], v[4:5] op_sel:[0,0,1] op_sel_hi:[1,0,0]
	v_mov_b32_e32 v4, v47
	v_mov_b32_e32 v7, v5
	v_pk_mul_f32 v[4:5], v[12:13], v[4:5] op_sel_hi:[1,0]
	v_pk_add_f32 v[2:3], v[2:3], v[6:7]
	v_pk_fma_f32 v[6:7], v[12:13], v[46:47], v[4:5] op_sel:[0,0,1] op_sel_hi:[1,1,0] neg_lo:[0,0,1] neg_hi:[0,0,1]
	v_pk_fma_f32 v[4:5], v[12:13], v[46:47], v[4:5] op_sel:[0,0,1] op_sel_hi:[1,0,0]
	v_mov_b32_e32 v7, v5
	v_pk_add_f32 v[2:3], v[2:3], v[6:7]
	v_pk_add_f32 v[2:3], v[34:35], v[2:3] neg_lo:[0,1] neg_hi:[0,1]
	buffer_store_dword v3, off, s[0:3], 0 offset:324
	buffer_store_dword v2, off, s[0:3], 0 offset:320
	s_and_saveexec_b64 s[4:5], vcc
	s_cbranch_execz .LBB126_313
; %bb.312:
	buffer_load_dword v2, off, s[0:3], 0 offset:312
	buffer_load_dword v3, off, s[0:3], 0 offset:316
	v_mov_b32_e32 v1, 0
	buffer_store_dword v1, off, s[0:3], 0 offset:312
	buffer_store_dword v1, off, s[0:3], 0 offset:316
	s_waitcnt vmcnt(2)
	ds_write_b64 v217, v[2:3]
.LBB126_313:
	s_or_b64 exec, exec, s[4:5]
	s_waitcnt lgkmcnt(0)
	; wave barrier
	s_waitcnt lgkmcnt(0)
	buffer_load_dword v50, off, s[0:3], 0 offset:324
	buffer_load_dword v54, off, s[0:3], 0 offset:332
	;; [unrolled: 1-line block ×32, first 2 shown]
	v_mov_b32_e32 v1, 0
	buffer_load_dword v37, off, s[0:3], 0 offset:468
	buffer_load_dword v36, off, s[0:3], 0 offset:464
	;; [unrolled: 1-line block ×13, first 2 shown]
	ds_read_b128 v[2:5], v1 offset:832
	ds_read_b128 v[6:9], v1 offset:848
	;; [unrolled: 1-line block ×8, first 2 shown]
	v_cmp_lt_u32_e32 vcc, 38, v0
	s_waitcnt vmcnt(44) lgkmcnt(7)
	v_mul_f32_e32 v44, v2, v50
	s_waitcnt vmcnt(43)
	v_mul_f32_e32 v51, v4, v54
	s_waitcnt vmcnt(42) lgkmcnt(6)
	v_mul_f32_e32 v52, v6, v56
	s_waitcnt vmcnt(41)
	v_mul_f32_e32 v53, v8, v58
	;; [unrolled: 4-line block ×6, first 2 shown]
	s_waitcnt vmcnt(32) lgkmcnt(1)
	v_mul_f32_e32 v91, v26, v67
	s_waitcnt vmcnt(31)
	v_fmac_f32_e32 v44, v3, v68
	s_waitcnt vmcnt(30)
	v_fmac_f32_e32 v51, v5, v69
	v_add_f32_e32 v44, 0, v44
	s_waitcnt vmcnt(29)
	v_fmac_f32_e32 v52, v7, v70
	v_add_f32_e32 v44, v44, v51
	;; [unrolled: 3-line block ×12, first 2 shown]
	v_add_f32_e32 v51, v44, v91
	buffer_load_dword v53, off, s[0:3], 0 offset:484
	buffer_load_dword v52, off, s[0:3], 0 offset:480
	;; [unrolled: 1-line block ×3, first 2 shown]
	v_mul_f32_e32 v3, v3, v50
	v_fma_f32 v2, v2, v68, -v3
	v_mul_f32_e32 v3, v5, v54
	v_add_f32_e32 v2, 0, v2
	v_fma_f32 v3, v4, v69, -v3
	v_add_f32_e32 v2, v2, v3
	v_mul_f32_e32 v3, v7, v56
	v_fma_f32 v3, v6, v70, -v3
	v_add_f32_e32 v2, v2, v3
	v_mul_f32_e32 v3, v9, v58
	v_fma_f32 v3, v8, v71, -v3
	v_add_f32_e32 v2, v2, v3
	v_mul_f32_e32 v3, v11, v59
	v_fma_f32 v3, v10, v72, -v3
	v_add_f32_e32 v2, v2, v3
	v_mul_f32_e32 v3, v13, v60
	v_fma_f32 v3, v12, v73, -v3
	v_add_f32_e32 v2, v2, v3
	v_mul_f32_e32 v3, v15, v61
	v_fma_f32 v3, v14, v74, -v3
	v_add_f32_e32 v2, v2, v3
	v_mul_f32_e32 v3, v17, v62
	v_fma_f32 v3, v16, v75, -v3
	v_add_f32_e32 v2, v2, v3
	v_mul_f32_e32 v3, v19, v63
	v_fma_f32 v3, v18, v76, -v3
	v_add_f32_e32 v2, v2, v3
	v_mul_f32_e32 v3, v21, v64
	v_fma_f32 v3, v20, v77, -v3
	v_add_f32_e32 v2, v2, v3
	v_mul_f32_e32 v3, v23, v65
	v_fma_f32 v3, v22, v78, -v3
	v_add_f32_e32 v2, v2, v3
	v_mul_f32_e32 v3, v25, v66
	v_fma_f32 v3, v24, v79, -v3
	v_add_f32_e32 v2, v2, v3
	v_mul_f32_e32 v3, v27, v67
	v_fma_f32 v3, v26, v80, -v3
	v_add_f32_e32 v50, v2, v3
	s_waitcnt vmcnt(21)
	v_mul_f32_e32 v2, v29, v81
	s_waitcnt vmcnt(9)
	v_mov_b32_e32 v18, v43
	v_mul_f32_e32 v55, v28, v81
	v_fma_f32 v54, v28, v82, -v2
	s_waitcnt lgkmcnt(0)
	v_mul_f32_e32 v2, v31, v83
	v_pk_mul_f32 v[18:19], v[32:33], v[18:19] op_sel_hi:[1,0]
	v_fmac_f32_e32 v55, v29, v82
	v_mul_f32_e32 v57, v30, v83
	v_fma_f32 v56, v30, v84, -v2
	ds_read_b128 v[2:5], v1 offset:960
	ds_read_b128 v[6:9], v1 offset:976
	;; [unrolled: 1-line block ×3, first 2 shown]
	ds_read_b64 v[14:15], v1 offset:1008
	s_waitcnt vmcnt(8)
	v_pk_fma_f32 v[20:21], v[32:33], v[42:43], v[18:19] op_sel:[0,0,1] op_sel_hi:[1,1,0] neg_lo:[0,0,1] neg_hi:[0,0,1]
	v_pk_fma_f32 v[18:19], v[32:33], v[42:43], v[18:19] op_sel:[0,0,1] op_sel_hi:[1,0,0]
	v_fmac_f32_e32 v57, v31, v84
	v_pk_add_f32 v[16:17], v[50:51], v[54:55]
	v_mov_b32_e32 v18, v41
	v_pk_add_f32 v[16:17], v[16:17], v[56:57]
	v_mov_b32_e32 v21, v19
	s_waitcnt lgkmcnt(3)
	v_pk_mul_f32 v[18:19], v[2:3], v[18:19] op_sel_hi:[1,0]
	v_pk_add_f32 v[16:17], v[16:17], v[20:21]
	v_pk_fma_f32 v[20:21], v[2:3], v[40:41], v[18:19] op_sel:[0,0,1] op_sel_hi:[1,1,0] neg_lo:[0,0,1] neg_hi:[0,0,1]
	v_pk_fma_f32 v[2:3], v[2:3], v[40:41], v[18:19] op_sel:[0,0,1] op_sel_hi:[1,0,0]
	v_mov_b32_e32 v21, v3
	v_pk_add_f32 v[2:3], v[16:17], v[20:21]
	v_mov_b32_e32 v16, v39
	v_pk_mul_f32 v[16:17], v[4:5], v[16:17] op_sel_hi:[1,0]
	v_pk_fma_f32 v[18:19], v[4:5], v[38:39], v[16:17] op_sel:[0,0,1] op_sel_hi:[1,1,0] neg_lo:[0,0,1] neg_hi:[0,0,1]
	v_pk_fma_f32 v[4:5], v[4:5], v[38:39], v[16:17] op_sel:[0,0,1] op_sel_hi:[1,0,0]
	v_mov_b32_e32 v4, v37
	v_mov_b32_e32 v19, v5
	s_waitcnt lgkmcnt(2)
	v_pk_mul_f32 v[4:5], v[6:7], v[4:5] op_sel_hi:[1,0]
	v_pk_fma_f32 v[16:17], v[6:7], v[36:37], v[4:5] op_sel:[0,0,1] op_sel_hi:[1,1,0] neg_lo:[0,0,1] neg_hi:[0,0,1]
	v_pk_fma_f32 v[4:5], v[6:7], v[36:37], v[4:5] op_sel:[0,0,1] op_sel_hi:[1,0,0]
	s_waitcnt vmcnt(7)
	v_mov_b32_e32 v4, v45
	v_mov_b32_e32 v17, v5
	v_pk_mul_f32 v[4:5], v[8:9], v[4:5] op_sel_hi:[1,0]
	v_pk_add_f32 v[2:3], v[2:3], v[18:19]
	v_pk_add_f32 v[2:3], v[2:3], v[16:17]
	s_waitcnt vmcnt(0)
	v_pk_fma_f32 v[6:7], v[8:9], v[44:45], v[4:5] op_sel:[0,0,1] op_sel_hi:[1,1,0] neg_lo:[0,0,1] neg_hi:[0,0,1]
	v_pk_fma_f32 v[4:5], v[8:9], v[44:45], v[4:5] op_sel:[0,0,1] op_sel_hi:[1,0,0]
	v_mov_b32_e32 v4, v53
	v_mov_b32_e32 v7, v5
	s_waitcnt lgkmcnt(1)
	v_pk_mul_f32 v[4:5], v[10:11], v[4:5] op_sel_hi:[1,0]
	v_pk_add_f32 v[2:3], v[2:3], v[6:7]
	v_pk_fma_f32 v[6:7], v[10:11], v[52:53], v[4:5] op_sel:[0,0,1] op_sel_hi:[1,1,0] neg_lo:[0,0,1] neg_hi:[0,0,1]
	v_pk_fma_f32 v[4:5], v[10:11], v[52:53], v[4:5] op_sel:[0,0,1] op_sel_hi:[1,0,0]
	v_mov_b32_e32 v4, v49
	v_mov_b32_e32 v7, v5
	v_pk_mul_f32 v[4:5], v[12:13], v[4:5] op_sel_hi:[1,0]
	v_pk_add_f32 v[2:3], v[2:3], v[6:7]
	v_pk_fma_f32 v[6:7], v[12:13], v[48:49], v[4:5] op_sel:[0,0,1] op_sel_hi:[1,1,0] neg_lo:[0,0,1] neg_hi:[0,0,1]
	v_pk_fma_f32 v[4:5], v[12:13], v[48:49], v[4:5] op_sel:[0,0,1] op_sel_hi:[1,0,0]
	v_mov_b32_e32 v4, v47
	v_mov_b32_e32 v7, v5
	s_waitcnt lgkmcnt(0)
	v_pk_mul_f32 v[4:5], v[14:15], v[4:5] op_sel_hi:[1,0]
	v_pk_add_f32 v[2:3], v[2:3], v[6:7]
	v_pk_fma_f32 v[6:7], v[14:15], v[46:47], v[4:5] op_sel:[0,0,1] op_sel_hi:[1,1,0] neg_lo:[0,0,1] neg_hi:[0,0,1]
	v_pk_fma_f32 v[4:5], v[14:15], v[46:47], v[4:5] op_sel:[0,0,1] op_sel_hi:[1,0,0]
	v_mov_b32_e32 v7, v5
	v_pk_add_f32 v[2:3], v[2:3], v[6:7]
	v_pk_add_f32 v[2:3], v[34:35], v[2:3] neg_lo:[0,1] neg_hi:[0,1]
	buffer_store_dword v3, off, s[0:3], 0 offset:316
	buffer_store_dword v2, off, s[0:3], 0 offset:312
	s_and_saveexec_b64 s[4:5], vcc
	s_cbranch_execz .LBB126_315
; %bb.314:
	buffer_load_dword v2, off, s[0:3], 0 offset:304
	buffer_load_dword v3, off, s[0:3], 0 offset:308
	s_waitcnt vmcnt(0)
	ds_write_b64 v217, v[2:3]
	buffer_store_dword v1, off, s[0:3], 0 offset:304
	buffer_store_dword v1, off, s[0:3], 0 offset:308
.LBB126_315:
	s_or_b64 exec, exec, s[4:5]
	s_waitcnt lgkmcnt(0)
	; wave barrier
	s_waitcnt lgkmcnt(0)
	buffer_load_dword v50, off, s[0:3], 0 offset:316
	buffer_load_dword v52, off, s[0:3], 0 offset:324
	buffer_load_dword v54, off, s[0:3], 0 offset:332
	buffer_load_dword v58, off, s[0:3], 0 offset:340
	buffer_load_dword v59, off, s[0:3], 0 offset:348
	buffer_load_dword v60, off, s[0:3], 0 offset:356
	buffer_load_dword v61, off, s[0:3], 0 offset:364
	buffer_load_dword v62, off, s[0:3], 0 offset:372
	buffer_load_dword v63, off, s[0:3], 0 offset:380
	buffer_load_dword v64, off, s[0:3], 0 offset:388
	buffer_load_dword v65, off, s[0:3], 0 offset:396
	buffer_load_dword v66, off, s[0:3], 0 offset:404
	buffer_load_dword v67, off, s[0:3], 0 offset:412
	buffer_load_dword v68, off, s[0:3], 0 offset:420
	buffer_load_dword v69, off, s[0:3], 0 offset:312
	buffer_load_dword v70, off, s[0:3], 0 offset:320
	buffer_load_dword v71, off, s[0:3], 0 offset:328
	buffer_load_dword v72, off, s[0:3], 0 offset:336
	buffer_load_dword v73, off, s[0:3], 0 offset:344
	buffer_load_dword v74, off, s[0:3], 0 offset:352
	buffer_load_dword v75, off, s[0:3], 0 offset:360
	buffer_load_dword v76, off, s[0:3], 0 offset:368
	buffer_load_dword v77, off, s[0:3], 0 offset:376
	buffer_load_dword v78, off, s[0:3], 0 offset:384
	buffer_load_dword v79, off, s[0:3], 0 offset:392
	buffer_load_dword v80, off, s[0:3], 0 offset:400
	buffer_load_dword v81, off, s[0:3], 0 offset:408
	buffer_load_dword v82, off, s[0:3], 0 offset:416
	buffer_load_dword v83, off, s[0:3], 0 offset:428
	buffer_load_dword v84, off, s[0:3], 0 offset:424
	buffer_load_dword v85, off, s[0:3], 0 offset:436
	buffer_load_dword v86, off, s[0:3], 0 offset:432
	buffer_load_dword v34, off, s[0:3], 0 offset:304
	buffer_load_dword v35, off, s[0:3], 0 offset:308
	ds_read2_b64 v[2:5], v1 offset0:103 offset1:104
	ds_read2_b64 v[6:9], v1 offset0:105 offset1:106
	;; [unrolled: 1-line block ×8, first 2 shown]
	buffer_load_dword v37, off, s[0:3], 0 offset:460
	buffer_load_dword v36, off, s[0:3], 0 offset:456
	;; [unrolled: 1-line block ×9, first 2 shown]
	v_cmp_lt_u32_e32 vcc, 37, v0
	s_waitcnt vmcnt(42) lgkmcnt(7)
	v_mul_f32_e32 v42, v2, v50
	s_waitcnt vmcnt(41)
	v_mul_f32_e32 v46, v4, v52
	s_waitcnt vmcnt(40) lgkmcnt(6)
	v_mul_f32_e32 v47, v6, v54
	s_waitcnt vmcnt(39)
	v_mul_f32_e32 v48, v8, v58
	;; [unrolled: 4-line block ×7, first 2 shown]
	s_waitcnt vmcnt(28)
	v_fmac_f32_e32 v42, v3, v69
	s_waitcnt vmcnt(27)
	v_fmac_f32_e32 v46, v5, v70
	v_add_f32_e32 v42, 0, v42
	s_waitcnt vmcnt(26)
	v_fmac_f32_e32 v47, v7, v71
	v_add_f32_e32 v42, v42, v46
	;; [unrolled: 3-line block ×12, first 2 shown]
	v_add_f32_e32 v51, v42, v89
	buffer_load_dword v47, off, s[0:3], 0 offset:484
	buffer_load_dword v46, off, s[0:3], 0 offset:480
	;; [unrolled: 1-line block ×7, first 2 shown]
	v_mul_f32_e32 v3, v3, v50
	v_fma_f32 v2, v2, v69, -v3
	v_mul_f32_e32 v3, v5, v52
	v_add_f32_e32 v2, 0, v2
	v_fma_f32 v3, v4, v70, -v3
	v_add_f32_e32 v2, v2, v3
	v_mul_f32_e32 v3, v7, v54
	v_fma_f32 v3, v6, v71, -v3
	v_add_f32_e32 v2, v2, v3
	v_mul_f32_e32 v3, v9, v58
	;; [unrolled: 3-line block ×12, first 2 shown]
	s_waitcnt vmcnt(22)
	v_fma_f32 v3, v28, v82, -v3
	v_add_f32_e32 v50, v2, v3
	s_waitcnt vmcnt(21) lgkmcnt(0)
	v_mul_f32_e32 v2, v31, v83
	s_waitcnt vmcnt(20)
	v_fma_f32 v52, v30, v84, -v2
	s_waitcnt vmcnt(19)
	v_mul_f32_e32 v2, v33, v85
	s_waitcnt vmcnt(18)
	v_fma_f32 v54, v32, v86, -v2
	ds_read2_b64 v[2:5], v1 offset0:119 offset1:120
	ds_read2_b64 v[6:9], v1 offset0:121 offset1:122
	;; [unrolled: 1-line block ×4, first 2 shown]
	v_fmac_f32_e32 v90, v29, v82
	v_mul_f32_e32 v53, v30, v83
	s_waitcnt vmcnt(11)
	v_mov_b32_e32 v20, v41
	v_add_f32_e32 v51, v51, v90
	v_fmac_f32_e32 v53, v31, v84
	v_mul_f32_e32 v55, v32, v85
	s_waitcnt lgkmcnt(3)
	v_pk_mul_f32 v[20:21], v[2:3], v[20:21] op_sel_hi:[1,0]
	v_fmac_f32_e32 v55, v33, v86
	v_pk_add_f32 v[18:19], v[50:51], v[52:53]
	s_waitcnt vmcnt(10)
	v_pk_fma_f32 v[22:23], v[2:3], v[40:41], v[20:21] op_sel:[0,0,1] op_sel_hi:[1,1,0] neg_lo:[0,0,1] neg_hi:[0,0,1]
	v_pk_fma_f32 v[2:3], v[2:3], v[40:41], v[20:21] op_sel:[0,0,1] op_sel_hi:[1,0,0]
	v_pk_add_f32 v[18:19], v[18:19], v[54:55]
	v_mov_b32_e32 v23, v3
	v_pk_add_f32 v[2:3], v[18:19], v[22:23]
	v_mov_b32_e32 v18, v39
	v_pk_mul_f32 v[18:19], v[4:5], v[18:19] op_sel_hi:[1,0]
	v_pk_fma_f32 v[20:21], v[4:5], v[38:39], v[18:19] op_sel:[0,0,1] op_sel_hi:[1,1,0] neg_lo:[0,0,1] neg_hi:[0,0,1]
	v_pk_fma_f32 v[4:5], v[4:5], v[38:39], v[18:19] op_sel:[0,0,1] op_sel_hi:[1,0,0]
	v_mov_b32_e32 v4, v37
	v_mov_b32_e32 v21, v5
	s_waitcnt lgkmcnt(2)
	v_pk_mul_f32 v[4:5], v[6:7], v[4:5] op_sel_hi:[1,0]
	v_pk_fma_f32 v[18:19], v[6:7], v[36:37], v[4:5] op_sel:[0,0,1] op_sel_hi:[1,1,0] neg_lo:[0,0,1] neg_hi:[0,0,1]
	v_pk_fma_f32 v[4:5], v[6:7], v[36:37], v[4:5] op_sel:[0,0,1] op_sel_hi:[1,0,0]
	s_waitcnt vmcnt(9)
	v_mov_b32_e32 v4, v43
	v_mov_b32_e32 v19, v5
	v_pk_mul_f32 v[4:5], v[8:9], v[4:5] op_sel_hi:[1,0]
	v_pk_add_f32 v[2:3], v[2:3], v[20:21]
	v_pk_add_f32 v[2:3], v[2:3], v[18:19]
	s_waitcnt vmcnt(2)
	v_pk_fma_f32 v[6:7], v[8:9], v[42:43], v[4:5] op_sel:[0,0,1] op_sel_hi:[1,1,0] neg_lo:[0,0,1] neg_hi:[0,0,1]
	v_pk_fma_f32 v[4:5], v[8:9], v[42:43], v[4:5] op_sel:[0,0,1] op_sel_hi:[1,0,0]
	v_mov_b32_e32 v4, v49
	v_mov_b32_e32 v7, v5
	s_waitcnt lgkmcnt(1)
	v_pk_mul_f32 v[4:5], v[10:11], v[4:5] op_sel_hi:[1,0]
	v_pk_add_f32 v[2:3], v[2:3], v[6:7]
	v_pk_fma_f32 v[6:7], v[10:11], v[48:49], v[4:5] op_sel:[0,0,1] op_sel_hi:[1,1,0] neg_lo:[0,0,1] neg_hi:[0,0,1]
	v_pk_fma_f32 v[4:5], v[10:11], v[48:49], v[4:5] op_sel:[0,0,1] op_sel_hi:[1,0,0]
	v_mov_b32_e32 v4, v47
	v_mov_b32_e32 v7, v5
	v_pk_mul_f32 v[4:5], v[12:13], v[4:5] op_sel_hi:[1,0]
	v_pk_add_f32 v[2:3], v[2:3], v[6:7]
	v_pk_fma_f32 v[6:7], v[12:13], v[46:47], v[4:5] op_sel:[0,0,1] op_sel_hi:[1,1,0] neg_lo:[0,0,1] neg_hi:[0,0,1]
	v_pk_fma_f32 v[4:5], v[12:13], v[46:47], v[4:5] op_sel:[0,0,1] op_sel_hi:[1,0,0]
	v_mov_b32_e32 v4, v45
	v_mov_b32_e32 v7, v5
	s_waitcnt lgkmcnt(0)
	v_pk_mul_f32 v[4:5], v[14:15], v[4:5] op_sel_hi:[1,0]
	v_pk_add_f32 v[2:3], v[2:3], v[6:7]
	v_pk_fma_f32 v[6:7], v[14:15], v[44:45], v[4:5] op_sel:[0,0,1] op_sel_hi:[1,1,0] neg_lo:[0,0,1] neg_hi:[0,0,1]
	v_pk_fma_f32 v[4:5], v[14:15], v[44:45], v[4:5] op_sel:[0,0,1] op_sel_hi:[1,0,0]
	s_waitcnt vmcnt(1)
	v_mov_b32_e32 v4, v57
	v_mov_b32_e32 v7, v5
	v_pk_mul_f32 v[4:5], v[16:17], v[4:5] op_sel_hi:[1,0]
	v_pk_add_f32 v[2:3], v[2:3], v[6:7]
	s_waitcnt vmcnt(0)
	v_pk_fma_f32 v[6:7], v[16:17], v[56:57], v[4:5] op_sel:[0,0,1] op_sel_hi:[1,1,0] neg_lo:[0,0,1] neg_hi:[0,0,1]
	v_pk_fma_f32 v[4:5], v[16:17], v[56:57], v[4:5] op_sel:[0,0,1] op_sel_hi:[1,0,0]
	v_mov_b32_e32 v7, v5
	v_pk_add_f32 v[2:3], v[2:3], v[6:7]
	v_pk_add_f32 v[2:3], v[34:35], v[2:3] neg_lo:[0,1] neg_hi:[0,1]
	buffer_store_dword v3, off, s[0:3], 0 offset:308
	buffer_store_dword v2, off, s[0:3], 0 offset:304
	s_and_saveexec_b64 s[4:5], vcc
	s_cbranch_execz .LBB126_317
; %bb.316:
	buffer_load_dword v2, off, s[0:3], 0 offset:296
	buffer_load_dword v3, off, s[0:3], 0 offset:300
	v_mov_b32_e32 v1, 0
	buffer_store_dword v1, off, s[0:3], 0 offset:296
	buffer_store_dword v1, off, s[0:3], 0 offset:300
	s_waitcnt vmcnt(2)
	ds_write_b64 v217, v[2:3]
.LBB126_317:
	s_or_b64 exec, exec, s[4:5]
	s_waitcnt lgkmcnt(0)
	; wave barrier
	s_waitcnt lgkmcnt(0)
	buffer_load_dword v56, off, s[0:3], 0 offset:308
	buffer_load_dword v58, off, s[0:3], 0 offset:316
	;; [unrolled: 1-line block ×36, first 2 shown]
	v_mov_b32_e32 v1, 0
	buffer_load_dword v45, off, s[0:3], 0 offset:452
	buffer_load_dword v44, off, s[0:3], 0 offset:448
	;; [unrolled: 1-line block ×5, first 2 shown]
	ds_read_b128 v[4:7], v1 offset:816
	ds_read_b128 v[8:11], v1 offset:832
	;; [unrolled: 1-line block ×8, first 2 shown]
	v_cmp_lt_u32_e32 vcc, 36, v0
	s_waitcnt vmcnt(40) lgkmcnt(7)
	v_mul_f32_e32 v36, v4, v56
	s_waitcnt vmcnt(39)
	v_mul_f32_e32 v37, v6, v58
	s_waitcnt vmcnt(38) lgkmcnt(6)
	v_mul_f32_e32 v38, v8, v60
	s_waitcnt vmcnt(37)
	v_mul_f32_e32 v39, v10, v66
	;; [unrolled: 4-line block ×7, first 2 shown]
	s_waitcnt vmcnt(26) lgkmcnt(0)
	v_mul_f32_e32 v57, v32, v77
	s_waitcnt vmcnt(25)
	v_fmac_f32_e32 v36, v5, v78
	s_waitcnt vmcnt(24)
	v_fmac_f32_e32 v37, v7, v79
	v_add_f32_e32 v36, 0, v36
	s_waitcnt vmcnt(23)
	v_fmac_f32_e32 v38, v9, v80
	v_add_f32_e32 v36, v36, v37
	;; [unrolled: 3-line block ×13, first 2 shown]
	v_add_f32_e32 v40, v36, v54
	buffer_load_dword v51, off, s[0:3], 0 offset:484
	buffer_load_dword v50, off, s[0:3], 0 offset:480
	;; [unrolled: 1-line block ×7, first 2 shown]
	s_waitcnt vmcnt(18)
	v_fmac_f32_e32 v57, v33, v92
	ds_read_b128 v[36:39], v1 offset:944
	v_add_f32_e32 v57, v40, v57
	ds_read_b128 v[40:43], v1 offset:960
	buffer_load_dword v63, off, s[0:3], 0 offset:500
	buffer_load_dword v62, off, s[0:3], 0 offset:496
	;; [unrolled: 1-line block ×4, first 2 shown]
	v_mul_f32_e32 v5, v5, v56
	v_fma_f32 v4, v4, v78, -v5
	v_mul_f32_e32 v5, v7, v58
	v_add_f32_e32 v4, 0, v4
	v_fma_f32 v5, v6, v79, -v5
	v_add_f32_e32 v4, v4, v5
	v_mul_f32_e32 v5, v9, v60
	v_fma_f32 v5, v8, v80, -v5
	v_add_f32_e32 v4, v4, v5
	v_mul_f32_e32 v5, v11, v66
	v_fma_f32 v5, v10, v81, -v5
	v_add_f32_e32 v4, v4, v5
	v_mul_f32_e32 v5, v13, v67
	v_fma_f32 v5, v12, v82, -v5
	v_add_f32_e32 v4, v4, v5
	v_mul_f32_e32 v5, v15, v68
	v_fma_f32 v5, v14, v83, -v5
	v_add_f32_e32 v4, v4, v5
	v_mul_f32_e32 v5, v17, v69
	v_fma_f32 v5, v16, v84, -v5
	v_add_f32_e32 v4, v4, v5
	v_mul_f32_e32 v5, v19, v70
	v_fma_f32 v5, v18, v85, -v5
	v_add_f32_e32 v4, v4, v5
	v_mul_f32_e32 v5, v21, v71
	v_fma_f32 v5, v20, v86, -v5
	v_add_f32_e32 v4, v4, v5
	v_mul_f32_e32 v5, v23, v72
	v_fma_f32 v5, v22, v87, -v5
	v_add_f32_e32 v4, v4, v5
	v_mul_f32_e32 v5, v25, v73
	v_fma_f32 v5, v24, v88, -v5
	v_add_f32_e32 v4, v4, v5
	v_mul_f32_e32 v5, v27, v74
	v_fma_f32 v5, v26, v89, -v5
	v_add_f32_e32 v4, v4, v5
	v_mul_f32_e32 v5, v29, v75
	v_fma_f32 v5, v28, v90, -v5
	v_add_f32_e32 v4, v4, v5
	v_mul_f32_e32 v5, v31, v76
	v_fma_f32 v5, v30, v91, -v5
	v_add_f32_e32 v4, v4, v5
	v_mul_f32_e32 v5, v33, v77
	v_fma_f32 v5, v32, v92, -v5
	s_waitcnt vmcnt(13)
	v_mov_b32_e32 v16, v47
	v_mul_f32_e32 v59, v34, v93
	v_add_f32_e32 v56, v4, v5
	v_mul_f32_e32 v4, v35, v93
	s_waitcnt lgkmcnt(1)
	v_pk_mul_f32 v[16:17], v[38:39], v[16:17] op_sel_hi:[1,0]
	v_fmac_f32_e32 v59, v35, v94
	v_mul_f32_e32 v61, v36, v95
	v_fma_f32 v58, v34, v94, -v4
	v_mul_f32_e32 v4, v37, v95
	s_waitcnt vmcnt(12)
	v_pk_fma_f32 v[18:19], v[38:39], v[46:47], v[16:17] op_sel:[0,0,1] op_sel_hi:[1,1,0] neg_lo:[0,0,1] neg_hi:[0,0,1]
	v_pk_fma_f32 v[16:17], v[38:39], v[46:47], v[16:17] op_sel:[0,0,1] op_sel_hi:[1,0,0]
	v_fmac_f32_e32 v61, v37, v96
	v_fma_f32 v60, v36, v96, -v4
	v_pk_add_f32 v[14:15], v[56:57], v[58:59]
	v_mov_b32_e32 v16, v45
	v_pk_add_f32 v[14:15], v[14:15], v[60:61]
	v_mov_b32_e32 v19, v17
	s_waitcnt lgkmcnt(0)
	v_pk_mul_f32 v[16:17], v[40:41], v[16:17] op_sel_hi:[1,0]
	v_pk_add_f32 v[14:15], v[14:15], v[18:19]
	v_pk_fma_f32 v[18:19], v[40:41], v[44:45], v[16:17] op_sel:[0,0,1] op_sel_hi:[1,1,0] neg_lo:[0,0,1] neg_hi:[0,0,1]
	v_pk_fma_f32 v[16:17], v[40:41], v[44:45], v[16:17] op_sel:[0,0,1] op_sel_hi:[1,0,0]
	s_waitcnt vmcnt(11)
	v_mov_b32_e32 v16, v49
	ds_read_b128 v[4:7], v1 offset:976
	ds_read_b128 v[8:11], v1 offset:992
	ds_read_b64 v[12:13], v1 offset:1008
	v_mov_b32_e32 v19, v17
	v_pk_mul_f32 v[16:17], v[42:43], v[16:17] op_sel_hi:[1,0]
	v_pk_add_f32 v[14:15], v[14:15], v[18:19]
	s_waitcnt vmcnt(4)
	v_pk_fma_f32 v[18:19], v[42:43], v[48:49], v[16:17] op_sel:[0,0,1] op_sel_hi:[1,1,0] neg_lo:[0,0,1] neg_hi:[0,0,1]
	v_pk_fma_f32 v[16:17], v[42:43], v[48:49], v[16:17] op_sel:[0,0,1] op_sel_hi:[1,0,0]
	v_mov_b32_e32 v16, v55
	v_mov_b32_e32 v19, v17
	s_waitcnt lgkmcnt(2)
	v_pk_mul_f32 v[16:17], v[4:5], v[16:17] op_sel_hi:[1,0]
	v_pk_add_f32 v[14:15], v[14:15], v[18:19]
	v_pk_fma_f32 v[18:19], v[4:5], v[54:55], v[16:17] op_sel:[0,0,1] op_sel_hi:[1,1,0] neg_lo:[0,0,1] neg_hi:[0,0,1]
	v_pk_fma_f32 v[4:5], v[4:5], v[54:55], v[16:17] op_sel:[0,0,1] op_sel_hi:[1,0,0]
	v_mov_b32_e32 v19, v5
	v_pk_add_f32 v[4:5], v[14:15], v[18:19]
	v_mov_b32_e32 v14, v53
	v_pk_mul_f32 v[14:15], v[6:7], v[14:15] op_sel_hi:[1,0]
	v_pk_fma_f32 v[16:17], v[6:7], v[52:53], v[14:15] op_sel:[0,0,1] op_sel_hi:[1,1,0] neg_lo:[0,0,1] neg_hi:[0,0,1]
	v_pk_fma_f32 v[6:7], v[6:7], v[52:53], v[14:15] op_sel:[0,0,1] op_sel_hi:[1,0,0]
	v_mov_b32_e32 v6, v51
	v_mov_b32_e32 v17, v7
	s_waitcnt lgkmcnt(1)
	v_pk_mul_f32 v[6:7], v[8:9], v[6:7] op_sel_hi:[1,0]
	v_pk_fma_f32 v[14:15], v[8:9], v[50:51], v[6:7] op_sel:[0,0,1] op_sel_hi:[1,1,0] neg_lo:[0,0,1] neg_hi:[0,0,1]
	v_pk_fma_f32 v[6:7], v[8:9], v[50:51], v[6:7] op_sel:[0,0,1] op_sel_hi:[1,0,0]
	s_waitcnt vmcnt(1)
	v_mov_b32_e32 v6, v65
	v_mov_b32_e32 v15, v7
	v_pk_mul_f32 v[6:7], v[10:11], v[6:7] op_sel_hi:[1,0]
	s_waitcnt vmcnt(0)
	v_pk_fma_f32 v[8:9], v[10:11], v[64:65], v[6:7] op_sel:[0,0,1] op_sel_hi:[1,1,0] neg_lo:[0,0,1] neg_hi:[0,0,1]
	v_pk_fma_f32 v[6:7], v[10:11], v[64:65], v[6:7] op_sel:[0,0,1] op_sel_hi:[1,0,0]
	v_pk_add_f32 v[4:5], v[4:5], v[16:17]
	v_mov_b32_e32 v6, v63
	v_pk_add_f32 v[4:5], v[4:5], v[14:15]
	v_mov_b32_e32 v9, v7
	s_waitcnt lgkmcnt(0)
	v_pk_mul_f32 v[6:7], v[12:13], v[6:7] op_sel_hi:[1,0]
	v_pk_add_f32 v[4:5], v[4:5], v[8:9]
	v_pk_fma_f32 v[8:9], v[12:13], v[62:63], v[6:7] op_sel:[0,0,1] op_sel_hi:[1,1,0] neg_lo:[0,0,1] neg_hi:[0,0,1]
	v_pk_fma_f32 v[6:7], v[12:13], v[62:63], v[6:7] op_sel:[0,0,1] op_sel_hi:[1,0,0]
	v_mov_b32_e32 v9, v7
	v_pk_add_f32 v[4:5], v[4:5], v[8:9]
	v_pk_add_f32 v[2:3], v[2:3], v[4:5] neg_lo:[0,1] neg_hi:[0,1]
	buffer_store_dword v3, off, s[0:3], 0 offset:300
	buffer_store_dword v2, off, s[0:3], 0 offset:296
	s_and_saveexec_b64 s[4:5], vcc
	s_cbranch_execz .LBB126_319
; %bb.318:
	buffer_load_dword v2, off, s[0:3], 0 offset:288
	buffer_load_dword v3, off, s[0:3], 0 offset:292
	s_waitcnt vmcnt(0)
	ds_write_b64 v217, v[2:3]
	buffer_store_dword v1, off, s[0:3], 0 offset:288
	buffer_store_dword v1, off, s[0:3], 0 offset:292
.LBB126_319:
	s_or_b64 exec, exec, s[4:5]
	s_waitcnt lgkmcnt(0)
	; wave barrier
	s_waitcnt lgkmcnt(0)
	buffer_load_dword v54, off, s[0:3], 0 offset:300
	buffer_load_dword v56, off, s[0:3], 0 offset:308
	;; [unrolled: 1-line block ×38, first 2 shown]
	ds_read2_b64 v[2:5], v1 offset0:101 offset1:102
	ds_read2_b64 v[6:9], v1 offset0:103 offset1:104
	;; [unrolled: 1-line block ×8, first 2 shown]
	buffer_load_dword v45, off, s[0:3], 0 offset:444
	buffer_load_dword v44, off, s[0:3], 0 offset:440
	;; [unrolled: 1-line block ×4, first 2 shown]
	v_cmp_lt_u32_e32 vcc, 35, v0
	s_waitcnt vmcnt(41) lgkmcnt(7)
	v_mul_f32_e32 v34, v2, v54
	s_waitcnt vmcnt(40)
	v_mul_f32_e32 v35, v4, v56
	s_waitcnt vmcnt(39) lgkmcnt(6)
	v_mul_f32_e32 v36, v6, v58
	s_waitcnt vmcnt(38)
	v_mul_f32_e32 v37, v8, v66
	;; [unrolled: 4-line block ×7, first 2 shown]
	s_waitcnt vmcnt(27) lgkmcnt(0)
	v_mul_f32_e32 v55, v30, v77
	s_waitcnt vmcnt(26)
	v_fmac_f32_e32 v34, v3, v78
	s_waitcnt vmcnt(25)
	v_fmac_f32_e32 v35, v5, v79
	v_add_f32_e32 v34, 0, v34
	s_waitcnt vmcnt(24)
	v_fmac_f32_e32 v36, v7, v80
	v_add_f32_e32 v34, v34, v35
	;; [unrolled: 3-line block ×13, first 2 shown]
	v_add_f32_e32 v34, v34, v53
	buffer_load_dword v49, off, s[0:3], 0 offset:468
	buffer_load_dword v48, off, s[0:3], 0 offset:464
	buffer_load_dword v51, off, s[0:3], 0 offset:460
	buffer_load_dword v50, off, s[0:3], 0 offset:456
	buffer_load_dword v53, off, s[0:3], 0 offset:452
	buffer_load_dword v52, off, s[0:3], 0 offset:448
	s_waitcnt vmcnt(18)
	v_fmac_f32_e32 v55, v31, v92
	s_waitcnt vmcnt(17)
	v_mul_f32_e32 v39, v32, v93
	v_add_f32_e32 v38, v34, v55
	s_waitcnt vmcnt(16)
	v_fmac_f32_e32 v39, v33, v94
	ds_read2_b64 v[34:37], v1 offset0:117 offset1:118
	v_add_f32_e32 v55, v38, v39
	ds_read2_b64 v[38:41], v1 offset0:119 offset1:120
	buffer_load_dword v61, off, s[0:3], 0 offset:500
	buffer_load_dword v60, off, s[0:3], 0 offset:496
	;; [unrolled: 1-line block ×6, first 2 shown]
	v_mul_f32_e32 v3, v3, v54
	v_fma_f32 v2, v2, v78, -v3
	v_mul_f32_e32 v3, v5, v56
	v_add_f32_e32 v2, 0, v2
	v_fma_f32 v3, v4, v79, -v3
	v_add_f32_e32 v2, v2, v3
	v_mul_f32_e32 v3, v7, v58
	v_fma_f32 v3, v6, v80, -v3
	v_add_f32_e32 v2, v2, v3
	v_mul_f32_e32 v3, v9, v66
	;; [unrolled: 3-line block ×14, first 2 shown]
	v_fma_f32 v3, v32, v94, -v3
	s_waitcnt vmcnt(15)
	v_mov_b32_e32 v16, v45
	s_waitcnt lgkmcnt(1)
	v_mul_f32_e32 v57, v34, v95
	v_add_f32_e32 v54, v2, v3
	v_mul_f32_e32 v2, v35, v95
	s_waitcnt lgkmcnt(0)
	v_pk_mul_f32 v[16:17], v[38:39], v[16:17] op_sel_hi:[1,0]
	v_fmac_f32_e32 v57, v35, v96
	v_mul_f32_e32 v59, v36, v97
	v_fma_f32 v56, v34, v96, -v2
	v_mul_f32_e32 v2, v37, v97
	s_waitcnt vmcnt(14)
	v_pk_fma_f32 v[18:19], v[38:39], v[44:45], v[16:17] op_sel:[0,0,1] op_sel_hi:[1,1,0] neg_lo:[0,0,1] neg_hi:[0,0,1]
	v_pk_fma_f32 v[16:17], v[38:39], v[44:45], v[16:17] op_sel:[0,0,1] op_sel_hi:[1,0,0]
	v_fmac_f32_e32 v59, v37, v98
	v_fma_f32 v58, v36, v98, -v2
	v_pk_add_f32 v[14:15], v[54:55], v[56:57]
	ds_read2_b64 v[2:5], v1 offset0:121 offset1:122
	ds_read2_b64 v[6:9], v1 offset0:123 offset1:124
	ds_read2_b64 v[10:13], v1 offset0:125 offset1:126
	v_pk_add_f32 v[14:15], v[14:15], v[58:59]
	v_mov_b32_e32 v19, v17
	v_pk_add_f32 v[14:15], v[14:15], v[18:19]
	s_waitcnt vmcnt(7)
	v_mov_b32_e32 v16, v53
	v_pk_mul_f32 v[16:17], v[40:41], v[16:17] op_sel_hi:[1,0]
	s_waitcnt vmcnt(6)
	v_pk_fma_f32 v[18:19], v[40:41], v[52:53], v[16:17] op_sel:[0,0,1] op_sel_hi:[1,1,0] neg_lo:[0,0,1] neg_hi:[0,0,1]
	v_pk_fma_f32 v[16:17], v[40:41], v[52:53], v[16:17] op_sel:[0,0,1] op_sel_hi:[1,0,0]
	v_mov_b32_e32 v16, v51
	v_mov_b32_e32 v19, v17
	s_waitcnt lgkmcnt(2)
	v_pk_mul_f32 v[16:17], v[2:3], v[16:17] op_sel_hi:[1,0]
	v_pk_add_f32 v[14:15], v[14:15], v[18:19]
	v_pk_fma_f32 v[18:19], v[2:3], v[50:51], v[16:17] op_sel:[0,0,1] op_sel_hi:[1,1,0] neg_lo:[0,0,1] neg_hi:[0,0,1]
	v_pk_fma_f32 v[2:3], v[2:3], v[50:51], v[16:17] op_sel:[0,0,1] op_sel_hi:[1,0,0]
	v_mov_b32_e32 v19, v3
	v_pk_add_f32 v[2:3], v[14:15], v[18:19]
	v_mov_b32_e32 v14, v49
	v_pk_mul_f32 v[14:15], v[4:5], v[14:15] op_sel_hi:[1,0]
	v_pk_fma_f32 v[16:17], v[4:5], v[48:49], v[14:15] op_sel:[0,0,1] op_sel_hi:[1,1,0] neg_lo:[0,0,1] neg_hi:[0,0,1]
	v_pk_fma_f32 v[4:5], v[4:5], v[48:49], v[14:15] op_sel:[0,0,1] op_sel_hi:[1,0,0]
	v_mov_b32_e32 v4, v47
	v_mov_b32_e32 v17, v5
	s_waitcnt lgkmcnt(1)
	v_pk_mul_f32 v[4:5], v[6:7], v[4:5] op_sel_hi:[1,0]
	v_pk_fma_f32 v[14:15], v[6:7], v[46:47], v[4:5] op_sel:[0,0,1] op_sel_hi:[1,1,0] neg_lo:[0,0,1] neg_hi:[0,0,1]
	v_pk_fma_f32 v[4:5], v[6:7], v[46:47], v[4:5] op_sel:[0,0,1] op_sel_hi:[1,0,0]
	s_waitcnt vmcnt(1)
	v_mov_b32_e32 v4, v65
	v_mov_b32_e32 v15, v5
	v_pk_mul_f32 v[4:5], v[8:9], v[4:5] op_sel_hi:[1,0]
	s_waitcnt vmcnt(0)
	v_pk_fma_f32 v[6:7], v[8:9], v[64:65], v[4:5] op_sel:[0,0,1] op_sel_hi:[1,1,0] neg_lo:[0,0,1] neg_hi:[0,0,1]
	v_pk_fma_f32 v[4:5], v[8:9], v[64:65], v[4:5] op_sel:[0,0,1] op_sel_hi:[1,0,0]
	v_pk_add_f32 v[2:3], v[2:3], v[16:17]
	v_mov_b32_e32 v4, v63
	v_pk_add_f32 v[2:3], v[2:3], v[14:15]
	v_mov_b32_e32 v7, v5
	s_waitcnt lgkmcnt(0)
	v_pk_mul_f32 v[4:5], v[10:11], v[4:5] op_sel_hi:[1,0]
	v_pk_add_f32 v[2:3], v[2:3], v[6:7]
	v_pk_fma_f32 v[6:7], v[10:11], v[62:63], v[4:5] op_sel:[0,0,1] op_sel_hi:[1,1,0] neg_lo:[0,0,1] neg_hi:[0,0,1]
	v_pk_fma_f32 v[4:5], v[10:11], v[62:63], v[4:5] op_sel:[0,0,1] op_sel_hi:[1,0,0]
	v_mov_b32_e32 v4, v61
	v_mov_b32_e32 v7, v5
	v_pk_mul_f32 v[4:5], v[12:13], v[4:5] op_sel_hi:[1,0]
	v_pk_add_f32 v[2:3], v[2:3], v[6:7]
	v_pk_fma_f32 v[6:7], v[12:13], v[60:61], v[4:5] op_sel:[0,0,1] op_sel_hi:[1,1,0] neg_lo:[0,0,1] neg_hi:[0,0,1]
	v_pk_fma_f32 v[4:5], v[12:13], v[60:61], v[4:5] op_sel:[0,0,1] op_sel_hi:[1,0,0]
	v_mov_b32_e32 v7, v5
	v_pk_add_f32 v[2:3], v[2:3], v[6:7]
	v_pk_add_f32 v[2:3], v[42:43], v[2:3] neg_lo:[0,1] neg_hi:[0,1]
	buffer_store_dword v3, off, s[0:3], 0 offset:292
	buffer_store_dword v2, off, s[0:3], 0 offset:288
	s_and_saveexec_b64 s[4:5], vcc
	s_cbranch_execz .LBB126_321
; %bb.320:
	buffer_load_dword v2, off, s[0:3], 0 offset:280
	buffer_load_dword v3, off, s[0:3], 0 offset:284
	v_mov_b32_e32 v1, 0
	buffer_store_dword v1, off, s[0:3], 0 offset:280
	buffer_store_dword v1, off, s[0:3], 0 offset:284
	s_waitcnt vmcnt(2)
	ds_write_b64 v217, v[2:3]
.LBB126_321:
	s_or_b64 exec, exec, s[4:5]
	s_waitcnt lgkmcnt(0)
	; wave barrier
	s_waitcnt lgkmcnt(0)
	buffer_load_dword v52, off, s[0:3], 0 offset:292
	buffer_load_dword v54, off, s[0:3], 0 offset:300
	;; [unrolled: 1-line block ×40, first 2 shown]
	v_mov_b32_e32 v1, 0
	ds_read_b128 v[4:7], v1 offset:800
	ds_read_b128 v[8:11], v1 offset:816
	ds_read_b128 v[12:15], v1 offset:832
	ds_read_b128 v[16:19], v1 offset:848
	ds_read_b128 v[20:23], v1 offset:864
	ds_read_b128 v[24:27], v1 offset:880
	ds_read_b128 v[28:31], v1 offset:896
	ds_read_b128 v[32:35], v1 offset:912
	v_cmp_lt_u32_e32 vcc, 34, v0
	s_waitcnt vmcnt(39) lgkmcnt(7)
	v_mul_f32_e32 v36, v4, v52
	s_waitcnt vmcnt(38)
	v_mul_f32_e32 v37, v6, v54
	s_waitcnt vmcnt(37) lgkmcnt(6)
	v_mul_f32_e32 v38, v8, v56
	s_waitcnt vmcnt(36)
	v_mul_f32_e32 v39, v10, v66
	;; [unrolled: 4-line block ×8, first 2 shown]
	s_waitcnt vmcnt(23)
	v_fmac_f32_e32 v36, v5, v79
	s_waitcnt vmcnt(22)
	v_fmac_f32_e32 v37, v7, v80
	v_add_f32_e32 v36, 0, v36
	s_waitcnt vmcnt(21)
	v_fmac_f32_e32 v38, v9, v81
	v_add_f32_e32 v36, v36, v37
	;; [unrolled: 3-line block ×14, first 2 shown]
	v_add_f32_e32 v36, v36, v50
	s_waitcnt vmcnt(8)
	v_fmac_f32_e32 v51, v35, v94
	v_add_f32_e32 v53, v36, v51
	ds_read_b128 v[36:39], v1 offset:928
	buffer_load_dword v45, off, s[0:3], 0 offset:444
	buffer_load_dword v47, off, s[0:3], 0 offset:468
	;; [unrolled: 1-line block ×8, first 2 shown]
	ds_read_b128 v[40:43], v1 offset:944
	buffer_load_dword v59, off, s[0:3], 0 offset:500
	buffer_load_dword v58, off, s[0:3], 0 offset:496
	;; [unrolled: 1-line block ×8, first 2 shown]
	v_mul_f32_e32 v5, v5, v52
	v_fma_f32 v4, v4, v79, -v5
	v_mul_f32_e32 v5, v7, v54
	v_add_f32_e32 v4, 0, v4
	v_fma_f32 v5, v6, v80, -v5
	v_add_f32_e32 v4, v4, v5
	v_mul_f32_e32 v5, v9, v56
	v_fma_f32 v5, v8, v81, -v5
	v_add_f32_e32 v4, v4, v5
	v_mul_f32_e32 v5, v11, v66
	;; [unrolled: 3-line block ×14, first 2 shown]
	v_fma_f32 v5, v34, v94, -v5
	v_add_f32_e32 v4, v4, v5
	s_waitcnt vmcnt(23) lgkmcnt(1)
	v_mul_f32_e32 v5, v37, v95
	v_mul_f32_e32 v55, v36, v95
	s_waitcnt vmcnt(22)
	v_fma_f32 v5, v36, v96, -v5
	v_fmac_f32_e32 v55, v37, v96
	v_add_f32_e32 v52, v4, v5
	s_waitcnt vmcnt(21)
	v_mul_f32_e32 v4, v39, v97
	v_add_f32_e32 v53, v53, v55
	v_mul_f32_e32 v55, v38, v97
	s_waitcnt vmcnt(20)
	v_fma_f32 v54, v38, v98, -v4
	s_waitcnt vmcnt(19) lgkmcnt(0)
	v_mul_f32_e32 v4, v41, v99
	v_fmac_f32_e32 v55, v39, v98
	v_mul_f32_e32 v57, v40, v99
	s_waitcnt vmcnt(18)
	v_fma_f32 v56, v40, v100, -v4
	ds_read_b128 v[4:7], v1 offset:960
	ds_read_b128 v[8:11], v1 offset:976
	;; [unrolled: 1-line block ×3, first 2 shown]
	ds_read_b64 v[16:17], v1 offset:1008
	v_fmac_f32_e32 v57, v41, v100
	v_pk_add_f32 v[18:19], v[52:53], v[54:55]
	v_pk_add_f32 v[18:19], v[18:19], v[56:57]
	s_waitcnt vmcnt(15)
	v_mov_b32_e32 v20, v45
	v_pk_mul_f32 v[20:21], v[42:43], v[20:21] op_sel_hi:[1,0]
	s_waitcnt vmcnt(8)
	v_pk_fma_f32 v[22:23], v[42:43], v[44:45], v[20:21] op_sel:[0,0,1] op_sel_hi:[1,1,0] neg_lo:[0,0,1] neg_hi:[0,0,1]
	v_pk_fma_f32 v[20:21], v[42:43], v[44:45], v[20:21] op_sel:[0,0,1] op_sel_hi:[1,0,0]
	v_mov_b32_e32 v20, v51
	v_mov_b32_e32 v23, v21
	s_waitcnt lgkmcnt(3)
	v_pk_mul_f32 v[20:21], v[4:5], v[20:21] op_sel_hi:[1,0]
	v_pk_add_f32 v[18:19], v[18:19], v[22:23]
	v_pk_fma_f32 v[22:23], v[4:5], v[50:51], v[20:21] op_sel:[0,0,1] op_sel_hi:[1,1,0] neg_lo:[0,0,1] neg_hi:[0,0,1]
	v_pk_fma_f32 v[4:5], v[4:5], v[50:51], v[20:21] op_sel:[0,0,1] op_sel_hi:[1,0,0]
	v_mov_b32_e32 v23, v5
	v_pk_add_f32 v[4:5], v[18:19], v[22:23]
	v_mov_b32_e32 v18, v49
	v_pk_mul_f32 v[18:19], v[6:7], v[18:19] op_sel_hi:[1,0]
	v_pk_fma_f32 v[20:21], v[6:7], v[48:49], v[18:19] op_sel:[0,0,1] op_sel_hi:[1,1,0] neg_lo:[0,0,1] neg_hi:[0,0,1]
	v_pk_fma_f32 v[6:7], v[6:7], v[48:49], v[18:19] op_sel:[0,0,1] op_sel_hi:[1,0,0]
	v_mov_b32_e32 v6, v47
	v_mov_b32_e32 v21, v7
	s_waitcnt lgkmcnt(2)
	v_pk_mul_f32 v[6:7], v[8:9], v[6:7] op_sel_hi:[1,0]
	v_pk_fma_f32 v[18:19], v[8:9], v[46:47], v[6:7] op_sel:[0,0,1] op_sel_hi:[1,1,0] neg_lo:[0,0,1] neg_hi:[0,0,1]
	v_pk_fma_f32 v[6:7], v[8:9], v[46:47], v[6:7] op_sel:[0,0,1] op_sel_hi:[1,0,0]
	s_waitcnt vmcnt(1)
	v_mov_b32_e32 v6, v65
	v_mov_b32_e32 v19, v7
	v_pk_mul_f32 v[6:7], v[10:11], v[6:7] op_sel_hi:[1,0]
	s_waitcnt vmcnt(0)
	v_pk_fma_f32 v[8:9], v[10:11], v[64:65], v[6:7] op_sel:[0,0,1] op_sel_hi:[1,1,0] neg_lo:[0,0,1] neg_hi:[0,0,1]
	v_pk_fma_f32 v[6:7], v[10:11], v[64:65], v[6:7] op_sel:[0,0,1] op_sel_hi:[1,0,0]
	v_pk_add_f32 v[4:5], v[4:5], v[20:21]
	v_mov_b32_e32 v6, v63
	v_pk_add_f32 v[4:5], v[4:5], v[18:19]
	v_mov_b32_e32 v9, v7
	s_waitcnt lgkmcnt(1)
	v_pk_mul_f32 v[6:7], v[12:13], v[6:7] op_sel_hi:[1,0]
	v_pk_add_f32 v[4:5], v[4:5], v[8:9]
	v_pk_fma_f32 v[8:9], v[12:13], v[62:63], v[6:7] op_sel:[0,0,1] op_sel_hi:[1,1,0] neg_lo:[0,0,1] neg_hi:[0,0,1]
	v_pk_fma_f32 v[6:7], v[12:13], v[62:63], v[6:7] op_sel:[0,0,1] op_sel_hi:[1,0,0]
	v_mov_b32_e32 v6, v61
	v_mov_b32_e32 v9, v7
	v_pk_mul_f32 v[6:7], v[14:15], v[6:7] op_sel_hi:[1,0]
	v_pk_add_f32 v[4:5], v[4:5], v[8:9]
	v_pk_fma_f32 v[8:9], v[14:15], v[60:61], v[6:7] op_sel:[0,0,1] op_sel_hi:[1,1,0] neg_lo:[0,0,1] neg_hi:[0,0,1]
	v_pk_fma_f32 v[6:7], v[14:15], v[60:61], v[6:7] op_sel:[0,0,1] op_sel_hi:[1,0,0]
	v_mov_b32_e32 v6, v59
	v_mov_b32_e32 v9, v7
	s_waitcnt lgkmcnt(0)
	v_pk_mul_f32 v[6:7], v[16:17], v[6:7] op_sel_hi:[1,0]
	v_pk_add_f32 v[4:5], v[4:5], v[8:9]
	v_pk_fma_f32 v[8:9], v[16:17], v[58:59], v[6:7] op_sel:[0,0,1] op_sel_hi:[1,1,0] neg_lo:[0,0,1] neg_hi:[0,0,1]
	v_pk_fma_f32 v[6:7], v[16:17], v[58:59], v[6:7] op_sel:[0,0,1] op_sel_hi:[1,0,0]
	v_mov_b32_e32 v9, v7
	v_pk_add_f32 v[4:5], v[4:5], v[8:9]
	v_pk_add_f32 v[2:3], v[2:3], v[4:5] neg_lo:[0,1] neg_hi:[0,1]
	buffer_store_dword v3, off, s[0:3], 0 offset:284
	buffer_store_dword v2, off, s[0:3], 0 offset:280
	s_and_saveexec_b64 s[4:5], vcc
	s_cbranch_execz .LBB126_323
; %bb.322:
	buffer_load_dword v2, off, s[0:3], 0 offset:272
	buffer_load_dword v3, off, s[0:3], 0 offset:276
	s_waitcnt vmcnt(0)
	ds_write_b64 v217, v[2:3]
	buffer_store_dword v1, off, s[0:3], 0 offset:272
	buffer_store_dword v1, off, s[0:3], 0 offset:276
.LBB126_323:
	s_or_b64 exec, exec, s[4:5]
	s_waitcnt lgkmcnt(0)
	; wave barrier
	s_waitcnt lgkmcnt(0)
	buffer_load_dword v44, off, s[0:3], 0 offset:284
	buffer_load_dword v46, off, s[0:3], 0 offset:292
	;; [unrolled: 1-line block ×42, first 2 shown]
	ds_read2_b64 v[4:7], v1 offset0:99 offset1:100
	ds_read2_b64 v[8:11], v1 offset0:101 offset1:102
	ds_read2_b64 v[12:15], v1 offset0:103 offset1:104
	ds_read2_b64 v[16:19], v1 offset0:105 offset1:106
	ds_read2_b64 v[20:23], v1 offset0:107 offset1:108
	ds_read2_b64 v[24:27], v1 offset0:109 offset1:110
	ds_read2_b64 v[28:31], v1 offset0:111 offset1:112
	ds_read2_b64 v[32:35], v1 offset0:113 offset1:114
	v_cmp_lt_u32_e32 vcc, 33, v0
	s_waitcnt vmcnt(41) lgkmcnt(7)
	v_mul_f32_e32 v36, v4, v44
	s_waitcnt vmcnt(40)
	v_mul_f32_e32 v37, v6, v46
	s_waitcnt vmcnt(39) lgkmcnt(6)
	v_mul_f32_e32 v38, v8, v54
	s_waitcnt vmcnt(38)
	v_mul_f32_e32 v39, v10, v66
	;; [unrolled: 4-line block ×7, first 2 shown]
	s_waitcnt vmcnt(27) lgkmcnt(0)
	v_mul_f32_e32 v52, v32, v77
	s_waitcnt vmcnt(26)
	v_fmac_f32_e32 v36, v5, v78
	s_waitcnt vmcnt(25)
	v_fmac_f32_e32 v37, v7, v79
	v_add_f32_e32 v36, 0, v36
	s_waitcnt vmcnt(24)
	v_fmac_f32_e32 v38, v9, v80
	v_add_f32_e32 v36, v36, v37
	;; [unrolled: 3-line block ×14, first 2 shown]
	s_waitcnt vmcnt(11)
	v_mul_f32_e32 v41, v34, v93
	v_add_f32_e32 v40, v36, v52
	s_waitcnt vmcnt(10)
	v_fmac_f32_e32 v41, v35, v94
	ds_read2_b64 v[36:39], v1 offset0:115 offset1:116
	v_add_f32_e32 v45, v40, v41
	ds_read2_b64 v[40:43], v1 offset0:117 offset1:118
	buffer_load_dword v49, off, s[0:3], 0 offset:444
	buffer_load_dword v51, off, s[0:3], 0 offset:460
	;; [unrolled: 1-line block ×16, first 2 shown]
	v_mul_f32_e32 v5, v5, v44
	v_fma_f32 v4, v4, v78, -v5
	v_mul_f32_e32 v5, v7, v46
	v_add_f32_e32 v4, 0, v4
	v_fma_f32 v5, v6, v79, -v5
	v_add_f32_e32 v4, v4, v5
	v_mul_f32_e32 v5, v9, v54
	v_fma_f32 v5, v8, v80, -v5
	v_add_f32_e32 v4, v4, v5
	v_mul_f32_e32 v5, v11, v66
	;; [unrolled: 3-line block ×14, first 2 shown]
	v_fma_f32 v5, v34, v94, -v5
	v_add_f32_e32 v4, v4, v5
	s_waitcnt vmcnt(25) lgkmcnt(1)
	v_mul_f32_e32 v5, v37, v95
	s_waitcnt vmcnt(24)
	v_fma_f32 v5, v36, v96, -v5
	v_add_f32_e32 v4, v4, v5
	s_waitcnt vmcnt(23)
	v_mul_f32_e32 v5, v39, v97
	v_mul_f32_e32 v47, v36, v95
	s_waitcnt vmcnt(22)
	v_fma_f32 v5, v38, v98, -v5
	v_fmac_f32_e32 v47, v37, v96
	v_add_f32_e32 v44, v4, v5
	s_waitcnt vmcnt(21) lgkmcnt(0)
	v_mul_f32_e32 v4, v41, v99
	v_add_f32_e32 v45, v45, v47
	v_mul_f32_e32 v47, v38, v97
	s_waitcnt vmcnt(20)
	v_fma_f32 v46, v40, v100, -v4
	s_waitcnt vmcnt(19)
	v_mul_f32_e32 v4, v43, v101
	v_fmac_f32_e32 v47, v39, v98
	s_waitcnt vmcnt(18)
	v_fma_f32 v54, v42, v102, -v4
	ds_read2_b64 v[4:7], v1 offset0:119 offset1:120
	ds_read2_b64 v[8:11], v1 offset0:121 offset1:122
	;; [unrolled: 1-line block ×4, first 2 shown]
	v_add_f32_e32 v45, v45, v47
	v_mul_f32_e32 v47, v40, v99
	v_fmac_f32_e32 v47, v41, v100
	v_mul_f32_e32 v55, v42, v101
	v_fmac_f32_e32 v55, v43, v102
	v_pk_add_f32 v[20:21], v[44:45], v[46:47]
	v_pk_add_f32 v[20:21], v[20:21], v[54:55]
	s_waitcnt vmcnt(15)
	v_mov_b32_e32 v22, v49
	s_waitcnt lgkmcnt(3)
	v_pk_mul_f32 v[22:23], v[4:5], v[22:23] op_sel_hi:[1,0]
	s_waitcnt vmcnt(10)
	v_pk_fma_f32 v[24:25], v[4:5], v[48:49], v[22:23] op_sel:[0,0,1] op_sel_hi:[1,1,0] neg_lo:[0,0,1] neg_hi:[0,0,1]
	v_pk_fma_f32 v[4:5], v[4:5], v[48:49], v[22:23] op_sel:[0,0,1] op_sel_hi:[1,0,0]
	v_mov_b32_e32 v25, v5
	v_pk_add_f32 v[4:5], v[20:21], v[24:25]
	v_mov_b32_e32 v20, v53
	v_pk_mul_f32 v[20:21], v[6:7], v[20:21] op_sel_hi:[1,0]
	v_pk_fma_f32 v[22:23], v[6:7], v[52:53], v[20:21] op_sel:[0,0,1] op_sel_hi:[1,1,0] neg_lo:[0,0,1] neg_hi:[0,0,1]
	v_pk_fma_f32 v[6:7], v[6:7], v[52:53], v[20:21] op_sel:[0,0,1] op_sel_hi:[1,0,0]
	v_mov_b32_e32 v6, v51
	v_mov_b32_e32 v23, v7
	s_waitcnt lgkmcnt(2)
	v_pk_mul_f32 v[6:7], v[8:9], v[6:7] op_sel_hi:[1,0]
	v_pk_fma_f32 v[20:21], v[8:9], v[50:51], v[6:7] op_sel:[0,0,1] op_sel_hi:[1,1,0] neg_lo:[0,0,1] neg_hi:[0,0,1]
	v_pk_fma_f32 v[6:7], v[8:9], v[50:51], v[6:7] op_sel:[0,0,1] op_sel_hi:[1,0,0]
	s_waitcnt vmcnt(3)
	v_mov_b32_e32 v6, v63
	v_mov_b32_e32 v21, v7
	v_pk_mul_f32 v[6:7], v[10:11], v[6:7] op_sel_hi:[1,0]
	s_waitcnt vmcnt(2)
	v_pk_fma_f32 v[8:9], v[10:11], v[62:63], v[6:7] op_sel:[0,0,1] op_sel_hi:[1,1,0] neg_lo:[0,0,1] neg_hi:[0,0,1]
	v_pk_fma_f32 v[6:7], v[10:11], v[62:63], v[6:7] op_sel:[0,0,1] op_sel_hi:[1,0,0]
	v_pk_add_f32 v[4:5], v[4:5], v[22:23]
	v_mov_b32_e32 v6, v61
	v_pk_add_f32 v[4:5], v[4:5], v[20:21]
	v_mov_b32_e32 v9, v7
	s_waitcnt lgkmcnt(1)
	v_pk_mul_f32 v[6:7], v[12:13], v[6:7] op_sel_hi:[1,0]
	v_pk_add_f32 v[4:5], v[4:5], v[8:9]
	v_pk_fma_f32 v[8:9], v[12:13], v[60:61], v[6:7] op_sel:[0,0,1] op_sel_hi:[1,1,0] neg_lo:[0,0,1] neg_hi:[0,0,1]
	v_pk_fma_f32 v[6:7], v[12:13], v[60:61], v[6:7] op_sel:[0,0,1] op_sel_hi:[1,0,0]
	v_mov_b32_e32 v6, v59
	v_mov_b32_e32 v9, v7
	v_pk_mul_f32 v[6:7], v[14:15], v[6:7] op_sel_hi:[1,0]
	v_pk_add_f32 v[4:5], v[4:5], v[8:9]
	v_pk_fma_f32 v[8:9], v[14:15], v[58:59], v[6:7] op_sel:[0,0,1] op_sel_hi:[1,1,0] neg_lo:[0,0,1] neg_hi:[0,0,1]
	v_pk_fma_f32 v[6:7], v[14:15], v[58:59], v[6:7] op_sel:[0,0,1] op_sel_hi:[1,0,0]
	v_mov_b32_e32 v6, v57
	v_mov_b32_e32 v9, v7
	s_waitcnt lgkmcnt(0)
	v_pk_mul_f32 v[6:7], v[16:17], v[6:7] op_sel_hi:[1,0]
	v_pk_add_f32 v[4:5], v[4:5], v[8:9]
	v_pk_fma_f32 v[8:9], v[16:17], v[56:57], v[6:7] op_sel:[0,0,1] op_sel_hi:[1,1,0] neg_lo:[0,0,1] neg_hi:[0,0,1]
	v_pk_fma_f32 v[6:7], v[16:17], v[56:57], v[6:7] op_sel:[0,0,1] op_sel_hi:[1,0,0]
	s_waitcnt vmcnt(1)
	v_mov_b32_e32 v6, v65
	v_mov_b32_e32 v9, v7
	v_pk_mul_f32 v[6:7], v[18:19], v[6:7] op_sel_hi:[1,0]
	v_pk_add_f32 v[4:5], v[4:5], v[8:9]
	s_waitcnt vmcnt(0)
	v_pk_fma_f32 v[8:9], v[18:19], v[64:65], v[6:7] op_sel:[0,0,1] op_sel_hi:[1,1,0] neg_lo:[0,0,1] neg_hi:[0,0,1]
	v_pk_fma_f32 v[6:7], v[18:19], v[64:65], v[6:7] op_sel:[0,0,1] op_sel_hi:[1,0,0]
	v_mov_b32_e32 v9, v7
	v_pk_add_f32 v[4:5], v[4:5], v[8:9]
	v_pk_add_f32 v[2:3], v[2:3], v[4:5] neg_lo:[0,1] neg_hi:[0,1]
	buffer_store_dword v3, off, s[0:3], 0 offset:276
	buffer_store_dword v2, off, s[0:3], 0 offset:272
	s_and_saveexec_b64 s[4:5], vcc
	s_cbranch_execz .LBB126_325
; %bb.324:
	buffer_load_dword v2, off, s[0:3], 0 offset:264
	buffer_load_dword v3, off, s[0:3], 0 offset:268
	v_mov_b32_e32 v1, 0
	buffer_store_dword v1, off, s[0:3], 0 offset:264
	buffer_store_dword v1, off, s[0:3], 0 offset:268
	s_waitcnt vmcnt(2)
	ds_write_b64 v217, v[2:3]
.LBB126_325:
	s_or_b64 exec, exec, s[4:5]
	s_waitcnt lgkmcnt(0)
	; wave barrier
	s_waitcnt lgkmcnt(0)
	buffer_load_dword v52, off, s[0:3], 0 offset:276
	buffer_load_dword v58, off, s[0:3], 0 offset:284
	;; [unrolled: 1-line block ×44, first 2 shown]
	v_mov_b32_e32 v1, 0
	ds_read_b128 v[4:7], v1 offset:784
	ds_read_b128 v[8:11], v1 offset:800
	;; [unrolled: 1-line block ×8, first 2 shown]
	v_cmp_lt_u32_e32 vcc, 32, v0
	s_waitcnt vmcnt(43) lgkmcnt(7)
	v_mul_f32_e32 v36, v4, v52
	s_waitcnt vmcnt(42)
	v_mul_f32_e32 v37, v6, v58
	s_waitcnt vmcnt(41) lgkmcnt(6)
	v_mul_f32_e32 v38, v8, v60
	s_waitcnt vmcnt(40)
	v_mul_f32_e32 v39, v10, v74
	;; [unrolled: 4-line block ×7, first 2 shown]
	s_waitcnt vmcnt(29)
	v_fmac_f32_e32 v36, v5, v85
	s_waitcnt vmcnt(28)
	v_fmac_f32_e32 v37, v7, v86
	v_add_f32_e32 v36, 0, v36
	s_waitcnt vmcnt(27)
	v_fmac_f32_e32 v38, v9, v87
	v_add_f32_e32 v36, v36, v37
	;; [unrolled: 3-line block ×12, first 2 shown]
	v_add_f32_e32 v36, v36, v48
	s_waitcnt vmcnt(16)
	v_fmac_f32_e32 v49, v31, v98
	s_waitcnt vmcnt(15) lgkmcnt(0)
	v_mul_f32_e32 v37, v32, v99
	v_add_f32_e32 v36, v36, v49
	s_waitcnt vmcnt(14)
	v_fmac_f32_e32 v37, v33, v100
	v_add_f32_e32 v40, v36, v37
	ds_read_b128 v[36:39], v1 offset:912
	s_waitcnt vmcnt(13)
	v_mul_f32_e32 v41, v34, v101
	s_waitcnt vmcnt(12)
	v_fmac_f32_e32 v41, v35, v102
	v_add_f32_e32 v44, v40, v41
	ds_read_b128 v[40:43], v1 offset:928
	s_waitcnt vmcnt(11) lgkmcnt(1)
	v_mul_f32_e32 v45, v36, v103
	s_waitcnt vmcnt(10)
	v_fmac_f32_e32 v45, v37, v104
	v_add_f32_e32 v44, v44, v45
	s_waitcnt vmcnt(9)
	v_mul_f32_e32 v45, v38, v105
	s_waitcnt vmcnt(8)
	v_fmac_f32_e32 v45, v39, v106
	v_add_f32_e32 v44, v44, v45
	s_waitcnt vmcnt(7) lgkmcnt(0)
	v_mul_f32_e32 v45, v40, v107
	s_waitcnt vmcnt(6)
	v_fmac_f32_e32 v45, v41, v108
	v_add_f32_e32 v53, v44, v45
	ds_read_b128 v[44:47], v1 offset:944
	buffer_load_dword v55, off, s[0:3], 0 offset:452
	buffer_load_dword v54, off, s[0:3], 0 offset:448
	;; [unrolled: 1-line block ×4, first 2 shown]
	ds_read_b128 v[48:51], v1 offset:960
	buffer_load_dword v63, off, s[0:3], 0 offset:484
	buffer_load_dword v62, off, s[0:3], 0 offset:480
	;; [unrolled: 1-line block ×12, first 2 shown]
	v_mul_f32_e32 v5, v5, v52
	v_fma_f32 v4, v4, v85, -v5
	v_mul_f32_e32 v5, v7, v58
	v_add_f32_e32 v4, 0, v4
	v_fma_f32 v5, v6, v86, -v5
	v_add_f32_e32 v4, v4, v5
	v_mul_f32_e32 v5, v9, v60
	v_fma_f32 v5, v8, v87, -v5
	v_add_f32_e32 v4, v4, v5
	v_mul_f32_e32 v5, v11, v74
	;; [unrolled: 3-line block ×17, first 2 shown]
	v_fma_f32 v5, v40, v108, -v5
	s_waitcnt vmcnt(21)
	v_mul_f32_e32 v59, v42, v109
	v_add_f32_e32 v52, v4, v5
	v_mul_f32_e32 v4, v43, v109
	s_waitcnt vmcnt(20)
	v_fmac_f32_e32 v59, v43, v110
	s_waitcnt vmcnt(19) lgkmcnt(1)
	v_mul_f32_e32 v61, v44, v111
	v_fma_f32 v58, v42, v110, -v4
	v_mul_f32_e32 v4, v45, v111
	s_waitcnt vmcnt(18)
	v_fmac_f32_e32 v61, v45, v112
	v_fma_f32 v60, v44, v112, -v4
	v_pk_add_f32 v[14:15], v[52:53], v[58:59]
	v_pk_add_f32 v[14:15], v[14:15], v[60:61]
	ds_read_b128 v[4:7], v1 offset:976
	ds_read_b128 v[8:11], v1 offset:992
	ds_read_b64 v[12:13], v1 offset:1008
	s_waitcnt vmcnt(13)
	v_mov_b32_e32 v16, v57
	v_pk_mul_f32 v[16:17], v[46:47], v[16:17] op_sel_hi:[1,0]
	s_waitcnt vmcnt(12)
	v_pk_fma_f32 v[18:19], v[46:47], v[56:57], v[16:17] op_sel:[0,0,1] op_sel_hi:[1,1,0] neg_lo:[0,0,1] neg_hi:[0,0,1]
	v_pk_fma_f32 v[16:17], v[46:47], v[56:57], v[16:17] op_sel:[0,0,1] op_sel_hi:[1,0,0]
	v_mov_b32_e32 v16, v55
	v_mov_b32_e32 v19, v17
	s_waitcnt lgkmcnt(3)
	v_pk_mul_f32 v[16:17], v[48:49], v[16:17] op_sel_hi:[1,0]
	v_pk_add_f32 v[14:15], v[14:15], v[18:19]
	v_pk_fma_f32 v[18:19], v[48:49], v[54:55], v[16:17] op_sel:[0,0,1] op_sel_hi:[1,1,0] neg_lo:[0,0,1] neg_hi:[0,0,1]
	v_pk_fma_f32 v[16:17], v[48:49], v[54:55], v[16:17] op_sel:[0,0,1] op_sel_hi:[1,0,0]
	s_waitcnt vmcnt(5)
	v_mov_b32_e32 v16, v69
	v_mov_b32_e32 v19, v17
	v_pk_mul_f32 v[16:17], v[50:51], v[16:17] op_sel_hi:[1,0]
	v_pk_add_f32 v[14:15], v[14:15], v[18:19]
	s_waitcnt vmcnt(4)
	v_pk_fma_f32 v[18:19], v[50:51], v[68:69], v[16:17] op_sel:[0,0,1] op_sel_hi:[1,1,0] neg_lo:[0,0,1] neg_hi:[0,0,1]
	v_pk_fma_f32 v[16:17], v[50:51], v[68:69], v[16:17] op_sel:[0,0,1] op_sel_hi:[1,0,0]
	v_mov_b32_e32 v16, v67
	v_mov_b32_e32 v19, v17
	s_waitcnt lgkmcnt(2)
	v_pk_mul_f32 v[16:17], v[4:5], v[16:17] op_sel_hi:[1,0]
	v_pk_add_f32 v[14:15], v[14:15], v[18:19]
	v_pk_fma_f32 v[18:19], v[4:5], v[66:67], v[16:17] op_sel:[0,0,1] op_sel_hi:[1,1,0] neg_lo:[0,0,1] neg_hi:[0,0,1]
	v_pk_fma_f32 v[4:5], v[4:5], v[66:67], v[16:17] op_sel:[0,0,1] op_sel_hi:[1,0,0]
	v_mov_b32_e32 v19, v5
	v_pk_add_f32 v[4:5], v[14:15], v[18:19]
	v_mov_b32_e32 v14, v65
	v_pk_mul_f32 v[14:15], v[6:7], v[14:15] op_sel_hi:[1,0]
	v_pk_fma_f32 v[16:17], v[6:7], v[64:65], v[14:15] op_sel:[0,0,1] op_sel_hi:[1,1,0] neg_lo:[0,0,1] neg_hi:[0,0,1]
	v_pk_fma_f32 v[6:7], v[6:7], v[64:65], v[14:15] op_sel:[0,0,1] op_sel_hi:[1,0,0]
	v_mov_b32_e32 v6, v63
	v_mov_b32_e32 v17, v7
	s_waitcnt lgkmcnt(1)
	v_pk_mul_f32 v[6:7], v[8:9], v[6:7] op_sel_hi:[1,0]
	v_pk_fma_f32 v[14:15], v[8:9], v[62:63], v[6:7] op_sel:[0,0,1] op_sel_hi:[1,1,0] neg_lo:[0,0,1] neg_hi:[0,0,1]
	v_pk_fma_f32 v[6:7], v[8:9], v[62:63], v[6:7] op_sel:[0,0,1] op_sel_hi:[1,0,0]
	s_waitcnt vmcnt(1)
	v_mov_b32_e32 v6, v73
	v_mov_b32_e32 v15, v7
	v_pk_mul_f32 v[6:7], v[10:11], v[6:7] op_sel_hi:[1,0]
	s_waitcnt vmcnt(0)
	v_pk_fma_f32 v[8:9], v[10:11], v[72:73], v[6:7] op_sel:[0,0,1] op_sel_hi:[1,1,0] neg_lo:[0,0,1] neg_hi:[0,0,1]
	v_pk_fma_f32 v[6:7], v[10:11], v[72:73], v[6:7] op_sel:[0,0,1] op_sel_hi:[1,0,0]
	v_pk_add_f32 v[4:5], v[4:5], v[16:17]
	v_mov_b32_e32 v6, v71
	v_pk_add_f32 v[4:5], v[4:5], v[14:15]
	v_mov_b32_e32 v9, v7
	s_waitcnt lgkmcnt(0)
	v_pk_mul_f32 v[6:7], v[12:13], v[6:7] op_sel_hi:[1,0]
	v_pk_add_f32 v[4:5], v[4:5], v[8:9]
	v_pk_fma_f32 v[8:9], v[12:13], v[70:71], v[6:7] op_sel:[0,0,1] op_sel_hi:[1,1,0] neg_lo:[0,0,1] neg_hi:[0,0,1]
	v_pk_fma_f32 v[6:7], v[12:13], v[70:71], v[6:7] op_sel:[0,0,1] op_sel_hi:[1,0,0]
	v_mov_b32_e32 v9, v7
	v_pk_add_f32 v[4:5], v[4:5], v[8:9]
	v_pk_add_f32 v[2:3], v[2:3], v[4:5] neg_lo:[0,1] neg_hi:[0,1]
	buffer_store_dword v3, off, s[0:3], 0 offset:268
	buffer_store_dword v2, off, s[0:3], 0 offset:264
	s_and_saveexec_b64 s[4:5], vcc
	s_cbranch_execz .LBB126_327
; %bb.326:
	buffer_load_dword v2, off, s[0:3], 0 offset:256
	buffer_load_dword v3, off, s[0:3], 0 offset:260
	s_waitcnt vmcnt(0)
	ds_write_b64 v217, v[2:3]
	buffer_store_dword v1, off, s[0:3], 0 offset:256
	buffer_store_dword v1, off, s[0:3], 0 offset:260
.LBB126_327:
	s_or_b64 exec, exec, s[4:5]
	s_waitcnt lgkmcnt(0)
	; wave barrier
	s_waitcnt lgkmcnt(0)
	buffer_load_dword v54, off, s[0:3], 0 offset:268
	buffer_load_dword v56, off, s[0:3], 0 offset:276
	;; [unrolled: 1-line block ×46, first 2 shown]
	ds_read2_b64 v[4:7], v1 offset0:97 offset1:98
	ds_read2_b64 v[8:11], v1 offset0:99 offset1:100
	;; [unrolled: 1-line block ×8, first 2 shown]
	v_cmp_lt_u32_e32 vcc, 31, v0
	s_waitcnt vmcnt(45) lgkmcnt(7)
	v_mul_f32_e32 v36, v4, v54
	s_waitcnt vmcnt(44)
	v_mul_f32_e32 v37, v6, v56
	s_waitcnt vmcnt(43) lgkmcnt(6)
	v_mul_f32_e32 v38, v8, v58
	s_waitcnt vmcnt(42)
	v_mul_f32_e32 v39, v10, v74
	;; [unrolled: 4-line block ×6, first 2 shown]
	s_waitcnt vmcnt(33) lgkmcnt(1)
	v_mul_f32_e32 v48, v28, v83
	s_waitcnt vmcnt(32)
	v_fmac_f32_e32 v36, v5, v84
	s_waitcnt vmcnt(31)
	v_fmac_f32_e32 v37, v7, v85
	v_add_f32_e32 v36, 0, v36
	s_waitcnt vmcnt(30)
	v_fmac_f32_e32 v38, v9, v86
	v_add_f32_e32 v36, v36, v37
	;; [unrolled: 3-line block ×12, first 2 shown]
	s_waitcnt vmcnt(19)
	v_mul_f32_e32 v37, v30, v97
	v_add_f32_e32 v36, v36, v48
	s_waitcnt vmcnt(18)
	v_fmac_f32_e32 v37, v31, v98
	v_add_f32_e32 v36, v36, v37
	s_waitcnt vmcnt(17) lgkmcnt(0)
	v_mul_f32_e32 v37, v32, v99
	s_waitcnt vmcnt(16)
	v_fmac_f32_e32 v37, v33, v100
	v_add_f32_e32 v40, v36, v37
	ds_read2_b64 v[36:39], v1 offset0:113 offset1:114
	s_waitcnt vmcnt(15)
	v_mul_f32_e32 v41, v34, v101
	s_waitcnt vmcnt(14)
	v_fmac_f32_e32 v41, v35, v102
	v_add_f32_e32 v44, v40, v41
	ds_read2_b64 v[40:43], v1 offset0:115 offset1:116
	buffer_load_dword v53, off, s[0:3], 0 offset:444
	buffer_load_dword v52, off, s[0:3], 0 offset:440
	s_waitcnt vmcnt(15) lgkmcnt(1)
	v_mul_f32_e32 v45, v36, v103
	s_waitcnt vmcnt(14)
	v_fmac_f32_e32 v45, v37, v104
	v_add_f32_e32 v44, v44, v45
	s_waitcnt vmcnt(13)
	v_mul_f32_e32 v45, v38, v105
	s_waitcnt vmcnt(12)
	v_fmac_f32_e32 v45, v39, v106
	v_add_f32_e32 v44, v44, v45
	s_waitcnt vmcnt(11) lgkmcnt(0)
	v_mul_f32_e32 v45, v40, v107
	s_waitcnt vmcnt(10)
	v_fmac_f32_e32 v45, v41, v108
	s_waitcnt vmcnt(9)
	v_mul_f32_e32 v49, v42, v109
	v_add_f32_e32 v48, v44, v45
	s_waitcnt vmcnt(8)
	v_fmac_f32_e32 v49, v43, v110
	ds_read2_b64 v[44:47], v1 offset0:117 offset1:118
	v_add_f32_e32 v55, v48, v49
	ds_read2_b64 v[48:51], v1 offset0:119 offset1:120
	buffer_load_dword v61, off, s[0:3], 0 offset:476
	buffer_load_dword v60, off, s[0:3], 0 offset:472
	;; [unrolled: 1-line block ×14, first 2 shown]
	v_mul_f32_e32 v5, v5, v54
	v_fma_f32 v4, v4, v84, -v5
	v_mul_f32_e32 v5, v7, v56
	v_add_f32_e32 v4, 0, v4
	v_fma_f32 v5, v6, v85, -v5
	v_add_f32_e32 v4, v4, v5
	v_mul_f32_e32 v5, v9, v58
	v_fma_f32 v5, v8, v86, -v5
	v_add_f32_e32 v4, v4, v5
	v_mul_f32_e32 v5, v11, v74
	;; [unrolled: 3-line block ×18, first 2 shown]
	v_fma_f32 v5, v42, v110, -v5
	s_waitcnt vmcnt(21) lgkmcnt(1)
	v_mul_f32_e32 v57, v44, v111
	v_add_f32_e32 v54, v4, v5
	v_mul_f32_e32 v4, v45, v111
	s_waitcnt vmcnt(20)
	v_fmac_f32_e32 v57, v45, v112
	s_waitcnt vmcnt(15)
	v_mov_b32_e32 v18, v53
	s_waitcnt lgkmcnt(0)
	v_pk_mul_f32 v[18:19], v[48:49], v[18:19] op_sel_hi:[1,0]
	v_mul_f32_e32 v59, v46, v113
	v_fma_f32 v56, v44, v112, -v4
	v_mul_f32_e32 v4, v47, v113
	s_waitcnt vmcnt(14)
	v_pk_fma_f32 v[20:21], v[48:49], v[52:53], v[18:19] op_sel:[0,0,1] op_sel_hi:[1,1,0] neg_lo:[0,0,1] neg_hi:[0,0,1]
	v_pk_fma_f32 v[18:19], v[48:49], v[52:53], v[18:19] op_sel:[0,0,1] op_sel_hi:[1,0,0]
	v_fmac_f32_e32 v59, v47, v114
	v_fma_f32 v58, v46, v114, -v4
	v_pk_add_f32 v[16:17], v[54:55], v[56:57]
	s_waitcnt vmcnt(7)
	v_mov_b32_e32 v18, v67
	ds_read2_b64 v[4:7], v1 offset0:121 offset1:122
	ds_read2_b64 v[8:11], v1 offset0:123 offset1:124
	;; [unrolled: 1-line block ×3, first 2 shown]
	v_pk_add_f32 v[16:17], v[16:17], v[58:59]
	v_mov_b32_e32 v21, v19
	v_pk_mul_f32 v[18:19], v[50:51], v[18:19] op_sel_hi:[1,0]
	v_pk_add_f32 v[16:17], v[16:17], v[20:21]
	s_waitcnt vmcnt(6)
	v_pk_fma_f32 v[20:21], v[50:51], v[66:67], v[18:19] op_sel:[0,0,1] op_sel_hi:[1,1,0] neg_lo:[0,0,1] neg_hi:[0,0,1]
	v_pk_fma_f32 v[18:19], v[50:51], v[66:67], v[18:19] op_sel:[0,0,1] op_sel_hi:[1,0,0]
	v_mov_b32_e32 v18, v65
	v_mov_b32_e32 v21, v19
	s_waitcnt lgkmcnt(2)
	v_pk_mul_f32 v[18:19], v[4:5], v[18:19] op_sel_hi:[1,0]
	v_pk_add_f32 v[16:17], v[16:17], v[20:21]
	v_pk_fma_f32 v[20:21], v[4:5], v[64:65], v[18:19] op_sel:[0,0,1] op_sel_hi:[1,1,0] neg_lo:[0,0,1] neg_hi:[0,0,1]
	v_pk_fma_f32 v[4:5], v[4:5], v[64:65], v[18:19] op_sel:[0,0,1] op_sel_hi:[1,0,0]
	v_mov_b32_e32 v21, v5
	v_pk_add_f32 v[4:5], v[16:17], v[20:21]
	v_mov_b32_e32 v16, v63
	v_pk_mul_f32 v[16:17], v[6:7], v[16:17] op_sel_hi:[1,0]
	v_pk_fma_f32 v[18:19], v[6:7], v[62:63], v[16:17] op_sel:[0,0,1] op_sel_hi:[1,1,0] neg_lo:[0,0,1] neg_hi:[0,0,1]
	v_pk_fma_f32 v[6:7], v[6:7], v[62:63], v[16:17] op_sel:[0,0,1] op_sel_hi:[1,0,0]
	v_mov_b32_e32 v6, v61
	v_mov_b32_e32 v19, v7
	s_waitcnt lgkmcnt(1)
	v_pk_mul_f32 v[6:7], v[8:9], v[6:7] op_sel_hi:[1,0]
	v_pk_fma_f32 v[16:17], v[8:9], v[60:61], v[6:7] op_sel:[0,0,1] op_sel_hi:[1,1,0] neg_lo:[0,0,1] neg_hi:[0,0,1]
	v_pk_fma_f32 v[6:7], v[8:9], v[60:61], v[6:7] op_sel:[0,0,1] op_sel_hi:[1,0,0]
	s_waitcnt vmcnt(1)
	v_mov_b32_e32 v6, v73
	v_mov_b32_e32 v17, v7
	v_pk_mul_f32 v[6:7], v[10:11], v[6:7] op_sel_hi:[1,0]
	s_waitcnt vmcnt(0)
	v_pk_fma_f32 v[8:9], v[10:11], v[72:73], v[6:7] op_sel:[0,0,1] op_sel_hi:[1,1,0] neg_lo:[0,0,1] neg_hi:[0,0,1]
	v_pk_fma_f32 v[6:7], v[10:11], v[72:73], v[6:7] op_sel:[0,0,1] op_sel_hi:[1,0,0]
	v_pk_add_f32 v[4:5], v[4:5], v[18:19]
	v_mov_b32_e32 v6, v71
	v_pk_add_f32 v[4:5], v[4:5], v[16:17]
	v_mov_b32_e32 v9, v7
	s_waitcnt lgkmcnt(0)
	v_pk_mul_f32 v[6:7], v[12:13], v[6:7] op_sel_hi:[1,0]
	v_pk_add_f32 v[4:5], v[4:5], v[8:9]
	v_pk_fma_f32 v[8:9], v[12:13], v[70:71], v[6:7] op_sel:[0,0,1] op_sel_hi:[1,1,0] neg_lo:[0,0,1] neg_hi:[0,0,1]
	v_pk_fma_f32 v[6:7], v[12:13], v[70:71], v[6:7] op_sel:[0,0,1] op_sel_hi:[1,0,0]
	v_mov_b32_e32 v6, v69
	v_mov_b32_e32 v9, v7
	v_pk_mul_f32 v[6:7], v[14:15], v[6:7] op_sel_hi:[1,0]
	v_pk_add_f32 v[4:5], v[4:5], v[8:9]
	v_pk_fma_f32 v[8:9], v[14:15], v[68:69], v[6:7] op_sel:[0,0,1] op_sel_hi:[1,1,0] neg_lo:[0,0,1] neg_hi:[0,0,1]
	v_pk_fma_f32 v[6:7], v[14:15], v[68:69], v[6:7] op_sel:[0,0,1] op_sel_hi:[1,0,0]
	v_mov_b32_e32 v9, v7
	v_pk_add_f32 v[4:5], v[4:5], v[8:9]
	v_pk_add_f32 v[2:3], v[2:3], v[4:5] neg_lo:[0,1] neg_hi:[0,1]
	buffer_store_dword v3, off, s[0:3], 0 offset:260
	buffer_store_dword v2, off, s[0:3], 0 offset:256
	s_and_saveexec_b64 s[4:5], vcc
	s_cbranch_execz .LBB126_329
; %bb.328:
	buffer_load_dword v2, off, s[0:3], 0 offset:248
	buffer_load_dword v3, off, s[0:3], 0 offset:252
	v_mov_b32_e32 v1, 0
	buffer_store_dword v1, off, s[0:3], 0 offset:248
	buffer_store_dword v1, off, s[0:3], 0 offset:252
	s_waitcnt vmcnt(2)
	ds_write_b64 v217, v[2:3]
.LBB126_329:
	s_or_b64 exec, exec, s[4:5]
	s_waitcnt lgkmcnt(0)
	; wave barrier
	s_waitcnt lgkmcnt(0)
	buffer_load_dword v52, off, s[0:3], 0 offset:260
	buffer_load_dword v54, off, s[0:3], 0 offset:268
	;; [unrolled: 1-line block ×48, first 2 shown]
	v_mov_b32_e32 v1, 0
	ds_read_b128 v[4:7], v1 offset:768
	ds_read_b128 v[8:11], v1 offset:784
	;; [unrolled: 1-line block ×6, first 2 shown]
	v_cmp_lt_u32_e32 vcc, 30, v0
	s_waitcnt vmcnt(47) lgkmcnt(5)
	v_mul_f32_e32 v28, v4, v52
	s_waitcnt vmcnt(46)
	v_mul_f32_e32 v29, v6, v54
	s_waitcnt vmcnt(45) lgkmcnt(4)
	v_mul_f32_e32 v30, v8, v56
	s_waitcnt vmcnt(44)
	v_mul_f32_e32 v31, v10, v74
	;; [unrolled: 4-line block ×6, first 2 shown]
	s_waitcnt vmcnt(35)
	v_fmac_f32_e32 v28, v5, v83
	s_waitcnt vmcnt(34)
	v_fmac_f32_e32 v29, v7, v84
	v_add_f32_e32 v28, 0, v28
	s_waitcnt vmcnt(33)
	v_fmac_f32_e32 v30, v9, v85
	v_add_f32_e32 v28, v28, v29
	;; [unrolled: 3-line block ×8, first 2 shown]
	v_add_f32_e32 v32, v28, v36
	ds_read_b128 v[28:31], v1 offset:864
	s_waitcnt vmcnt(26)
	v_fmac_f32_e32 v37, v23, v92
	s_waitcnt vmcnt(25)
	v_fmac_f32_e32 v38, v25, v93
	v_add_f32_e32 v32, v32, v37
	s_waitcnt vmcnt(24)
	v_fmac_f32_e32 v39, v27, v94
	v_add_f32_e32 v32, v32, v38
	v_add_f32_e32 v36, v32, v39
	ds_read_b128 v[32:35], v1 offset:880
	s_waitcnt vmcnt(23) lgkmcnt(1)
	v_mul_f32_e32 v37, v28, v95
	s_waitcnt vmcnt(22)
	v_fmac_f32_e32 v37, v29, v96
	v_add_f32_e32 v36, v36, v37
	s_waitcnt vmcnt(21)
	v_mul_f32_e32 v37, v30, v97
	s_waitcnt vmcnt(20)
	v_fmac_f32_e32 v37, v31, v98
	v_add_f32_e32 v36, v36, v37
	s_waitcnt vmcnt(19) lgkmcnt(0)
	v_mul_f32_e32 v37, v32, v99
	s_waitcnt vmcnt(18)
	v_fmac_f32_e32 v37, v33, v100
	v_add_f32_e32 v40, v36, v37
	ds_read_b128 v[36:39], v1 offset:896
	s_waitcnt vmcnt(17)
	v_mul_f32_e32 v41, v34, v101
	s_waitcnt vmcnt(16)
	v_fmac_f32_e32 v41, v35, v102
	v_add_f32_e32 v44, v40, v41
	ds_read_b128 v[40:43], v1 offset:912
	s_waitcnt vmcnt(15) lgkmcnt(1)
	v_mul_f32_e32 v45, v36, v103
	s_waitcnt vmcnt(14)
	v_fmac_f32_e32 v45, v37, v104
	v_add_f32_e32 v44, v44, v45
	s_waitcnt vmcnt(13)
	v_mul_f32_e32 v45, v38, v105
	s_waitcnt vmcnt(12)
	v_fmac_f32_e32 v45, v39, v106
	v_add_f32_e32 v44, v44, v45
	s_waitcnt vmcnt(11) lgkmcnt(0)
	v_mul_f32_e32 v45, v40, v107
	s_waitcnt vmcnt(10)
	v_fmac_f32_e32 v45, v41, v108
	s_waitcnt vmcnt(9)
	v_mul_f32_e32 v49, v42, v109
	v_add_f32_e32 v48, v44, v45
	s_waitcnt vmcnt(8)
	v_fmac_f32_e32 v49, v43, v110
	ds_read_b128 v[44:47], v1 offset:928
	v_add_f32_e32 v53, v48, v49
	ds_read_b128 v[48:51], v1 offset:944
	buffer_load_dword v59, off, s[0:3], 0 offset:468
	buffer_load_dword v58, off, s[0:3], 0 offset:464
	;; [unrolled: 1-line block ×16, first 2 shown]
	v_mul_f32_e32 v5, v5, v52
	v_fma_f32 v4, v4, v83, -v5
	v_mul_f32_e32 v5, v7, v54
	v_add_f32_e32 v4, 0, v4
	v_fma_f32 v5, v6, v84, -v5
	v_add_f32_e32 v4, v4, v5
	v_mul_f32_e32 v5, v9, v56
	v_fma_f32 v5, v8, v85, -v5
	v_add_f32_e32 v4, v4, v5
	v_mul_f32_e32 v5, v11, v74
	v_fma_f32 v5, v10, v86, -v5
	v_add_f32_e32 v4, v4, v5
	v_mul_f32_e32 v5, v13, v75
	v_fma_f32 v5, v12, v87, -v5
	v_add_f32_e32 v4, v4, v5
	v_mul_f32_e32 v5, v15, v76
	v_fma_f32 v5, v14, v88, -v5
	v_add_f32_e32 v4, v4, v5
	v_mul_f32_e32 v5, v17, v77
	v_fma_f32 v5, v16, v89, -v5
	v_add_f32_e32 v4, v4, v5
	v_mul_f32_e32 v5, v19, v78
	v_fma_f32 v5, v18, v90, -v5
	v_add_f32_e32 v4, v4, v5
	v_mul_f32_e32 v5, v21, v79
	v_fma_f32 v5, v20, v91, -v5
	v_add_f32_e32 v4, v4, v5
	v_mul_f32_e32 v5, v23, v80
	v_fma_f32 v5, v22, v92, -v5
	v_add_f32_e32 v4, v4, v5
	v_mul_f32_e32 v5, v25, v81
	v_fma_f32 v5, v24, v93, -v5
	v_add_f32_e32 v4, v4, v5
	v_mul_f32_e32 v5, v27, v82
	v_fma_f32 v5, v26, v94, -v5
	v_add_f32_e32 v4, v4, v5
	v_mul_f32_e32 v5, v29, v95
	v_fma_f32 v5, v28, v96, -v5
	v_add_f32_e32 v4, v4, v5
	v_mul_f32_e32 v5, v31, v97
	v_fma_f32 v5, v30, v98, -v5
	v_add_f32_e32 v4, v4, v5
	v_mul_f32_e32 v5, v33, v99
	v_fma_f32 v5, v32, v100, -v5
	v_add_f32_e32 v4, v4, v5
	v_mul_f32_e32 v5, v35, v101
	v_fma_f32 v5, v34, v102, -v5
	v_add_f32_e32 v4, v4, v5
	v_mul_f32_e32 v5, v37, v103
	v_fma_f32 v5, v36, v104, -v5
	v_add_f32_e32 v4, v4, v5
	v_mul_f32_e32 v5, v39, v105
	v_fma_f32 v5, v38, v106, -v5
	v_add_f32_e32 v4, v4, v5
	v_mul_f32_e32 v5, v41, v107
	v_fma_f32 v5, v40, v108, -v5
	v_add_f32_e32 v4, v4, v5
	v_mul_f32_e32 v5, v43, v109
	v_fma_f32 v5, v42, v110, -v5
	v_add_f32_e32 v4, v4, v5
	s_waitcnt vmcnt(22) lgkmcnt(1)
	v_mul_f32_e32 v5, v45, v112
	v_mul_f32_e32 v55, v44, v112
	v_fma_f32 v5, v44, v111, -v5
	v_fmac_f32_e32 v55, v45, v111
	v_add_f32_e32 v52, v4, v5
	s_waitcnt vmcnt(19)
	v_mul_f32_e32 v4, v47, v113
	v_add_f32_e32 v53, v53, v55
	v_mul_f32_e32 v55, v46, v113
	s_waitcnt vmcnt(18)
	v_fma_f32 v54, v46, v114, -v4
	s_waitcnt vmcnt(17) lgkmcnt(0)
	v_mul_f32_e32 v4, v49, v115
	s_waitcnt vmcnt(9)
	v_mov_b32_e32 v20, v65
	v_pk_mul_f32 v[20:21], v[50:51], v[20:21] op_sel_hi:[1,0]
	v_fmac_f32_e32 v55, v47, v114
	v_mul_f32_e32 v57, v48, v115
	v_fma_f32 v56, v48, v116, -v4
	ds_read_b128 v[4:7], v1 offset:960
	ds_read_b128 v[8:11], v1 offset:976
	;; [unrolled: 1-line block ×3, first 2 shown]
	ds_read_b64 v[16:17], v1 offset:1008
	s_waitcnt vmcnt(8)
	v_pk_fma_f32 v[22:23], v[50:51], v[64:65], v[20:21] op_sel:[0,0,1] op_sel_hi:[1,1,0] neg_lo:[0,0,1] neg_hi:[0,0,1]
	v_pk_fma_f32 v[20:21], v[50:51], v[64:65], v[20:21] op_sel:[0,0,1] op_sel_hi:[1,0,0]
	v_fmac_f32_e32 v57, v49, v116
	v_pk_add_f32 v[18:19], v[52:53], v[54:55]
	v_mov_b32_e32 v20, v63
	v_pk_add_f32 v[18:19], v[18:19], v[56:57]
	v_mov_b32_e32 v23, v21
	s_waitcnt lgkmcnt(3)
	v_pk_mul_f32 v[20:21], v[4:5], v[20:21] op_sel_hi:[1,0]
	v_pk_add_f32 v[18:19], v[18:19], v[22:23]
	v_pk_fma_f32 v[22:23], v[4:5], v[62:63], v[20:21] op_sel:[0,0,1] op_sel_hi:[1,1,0] neg_lo:[0,0,1] neg_hi:[0,0,1]
	v_pk_fma_f32 v[4:5], v[4:5], v[62:63], v[20:21] op_sel:[0,0,1] op_sel_hi:[1,0,0]
	v_mov_b32_e32 v23, v5
	v_pk_add_f32 v[4:5], v[18:19], v[22:23]
	v_mov_b32_e32 v18, v61
	v_pk_mul_f32 v[18:19], v[6:7], v[18:19] op_sel_hi:[1,0]
	v_pk_fma_f32 v[20:21], v[6:7], v[60:61], v[18:19] op_sel:[0,0,1] op_sel_hi:[1,1,0] neg_lo:[0,0,1] neg_hi:[0,0,1]
	v_pk_fma_f32 v[6:7], v[6:7], v[60:61], v[18:19] op_sel:[0,0,1] op_sel_hi:[1,0,0]
	v_mov_b32_e32 v6, v59
	v_mov_b32_e32 v21, v7
	s_waitcnt lgkmcnt(2)
	v_pk_mul_f32 v[6:7], v[8:9], v[6:7] op_sel_hi:[1,0]
	v_pk_fma_f32 v[18:19], v[8:9], v[58:59], v[6:7] op_sel:[0,0,1] op_sel_hi:[1,1,0] neg_lo:[0,0,1] neg_hi:[0,0,1]
	v_pk_fma_f32 v[6:7], v[8:9], v[58:59], v[6:7] op_sel:[0,0,1] op_sel_hi:[1,0,0]
	s_waitcnt vmcnt(1)
	v_mov_b32_e32 v6, v73
	v_mov_b32_e32 v19, v7
	v_pk_mul_f32 v[6:7], v[10:11], v[6:7] op_sel_hi:[1,0]
	s_waitcnt vmcnt(0)
	v_pk_fma_f32 v[8:9], v[10:11], v[72:73], v[6:7] op_sel:[0,0,1] op_sel_hi:[1,1,0] neg_lo:[0,0,1] neg_hi:[0,0,1]
	v_pk_fma_f32 v[6:7], v[10:11], v[72:73], v[6:7] op_sel:[0,0,1] op_sel_hi:[1,0,0]
	v_pk_add_f32 v[4:5], v[4:5], v[20:21]
	v_mov_b32_e32 v6, v71
	v_pk_add_f32 v[4:5], v[4:5], v[18:19]
	v_mov_b32_e32 v9, v7
	s_waitcnt lgkmcnt(1)
	v_pk_mul_f32 v[6:7], v[12:13], v[6:7] op_sel_hi:[1,0]
	v_pk_add_f32 v[4:5], v[4:5], v[8:9]
	v_pk_fma_f32 v[8:9], v[12:13], v[70:71], v[6:7] op_sel:[0,0,1] op_sel_hi:[1,1,0] neg_lo:[0,0,1] neg_hi:[0,0,1]
	v_pk_fma_f32 v[6:7], v[12:13], v[70:71], v[6:7] op_sel:[0,0,1] op_sel_hi:[1,0,0]
	v_mov_b32_e32 v6, v69
	v_mov_b32_e32 v9, v7
	v_pk_mul_f32 v[6:7], v[14:15], v[6:7] op_sel_hi:[1,0]
	v_pk_add_f32 v[4:5], v[4:5], v[8:9]
	v_pk_fma_f32 v[8:9], v[14:15], v[68:69], v[6:7] op_sel:[0,0,1] op_sel_hi:[1,1,0] neg_lo:[0,0,1] neg_hi:[0,0,1]
	v_pk_fma_f32 v[6:7], v[14:15], v[68:69], v[6:7] op_sel:[0,0,1] op_sel_hi:[1,0,0]
	v_mov_b32_e32 v6, v67
	v_mov_b32_e32 v9, v7
	s_waitcnt lgkmcnt(0)
	v_pk_mul_f32 v[6:7], v[16:17], v[6:7] op_sel_hi:[1,0]
	v_pk_add_f32 v[4:5], v[4:5], v[8:9]
	v_pk_fma_f32 v[8:9], v[16:17], v[66:67], v[6:7] op_sel:[0,0,1] op_sel_hi:[1,1,0] neg_lo:[0,0,1] neg_hi:[0,0,1]
	v_pk_fma_f32 v[6:7], v[16:17], v[66:67], v[6:7] op_sel:[0,0,1] op_sel_hi:[1,0,0]
	v_mov_b32_e32 v9, v7
	v_pk_add_f32 v[4:5], v[4:5], v[8:9]
	v_pk_add_f32 v[2:3], v[2:3], v[4:5] neg_lo:[0,1] neg_hi:[0,1]
	buffer_store_dword v3, off, s[0:3], 0 offset:252
	buffer_store_dword v2, off, s[0:3], 0 offset:248
	s_and_saveexec_b64 s[4:5], vcc
	s_cbranch_execz .LBB126_331
; %bb.330:
	buffer_load_dword v2, off, s[0:3], 0 offset:240
	buffer_load_dword v3, off, s[0:3], 0 offset:244
	s_waitcnt vmcnt(0)
	ds_write_b64 v217, v[2:3]
	buffer_store_dword v1, off, s[0:3], 0 offset:240
	buffer_store_dword v1, off, s[0:3], 0 offset:244
.LBB126_331:
	s_or_b64 exec, exec, s[4:5]
	s_waitcnt lgkmcnt(0)
	; wave barrier
	s_waitcnt lgkmcnt(0)
	buffer_load_dword v52, off, s[0:3], 0 offset:252
	buffer_load_dword v54, off, s[0:3], 0 offset:260
	;; [unrolled: 1-line block ×48, first 2 shown]
	ds_read2_b64 v[4:7], v1 offset0:95 offset1:96
	ds_read2_b64 v[8:11], v1 offset0:97 offset1:98
	;; [unrolled: 1-line block ×6, first 2 shown]
	buffer_load_dword v117, off, s[0:3], 0 offset:432
	buffer_load_dword v118, off, s[0:3], 0 offset:436
	v_cmp_lt_u32_e32 vcc, 29, v0
	s_waitcnt vmcnt(49) lgkmcnt(5)
	v_mul_f32_e32 v28, v4, v52
	s_waitcnt vmcnt(48)
	v_mul_f32_e32 v29, v6, v54
	s_waitcnt vmcnt(47) lgkmcnt(4)
	v_mul_f32_e32 v30, v8, v62
	s_waitcnt vmcnt(46)
	v_mul_f32_e32 v31, v10, v74
	;; [unrolled: 4-line block ×6, first 2 shown]
	s_waitcnt vmcnt(37)
	v_fmac_f32_e32 v28, v5, v83
	s_waitcnt vmcnt(36)
	v_fmac_f32_e32 v29, v7, v84
	v_add_f32_e32 v28, 0, v28
	s_waitcnt vmcnt(35)
	v_fmac_f32_e32 v30, v9, v85
	v_add_f32_e32 v28, v28, v29
	;; [unrolled: 3-line block ×9, first 2 shown]
	v_add_f32_e32 v32, v28, v37
	ds_read2_b64 v[28:31], v1 offset0:107 offset1:108
	s_waitcnt vmcnt(27)
	v_fmac_f32_e32 v38, v25, v93
	v_add_f32_e32 v32, v32, v38
	s_waitcnt vmcnt(26)
	v_fmac_f32_e32 v39, v27, v94
	v_add_f32_e32 v36, v32, v39
	ds_read2_b64 v[32:35], v1 offset0:109 offset1:110
	s_waitcnt vmcnt(25) lgkmcnt(1)
	v_mul_f32_e32 v37, v28, v95
	s_waitcnt vmcnt(24)
	v_fmac_f32_e32 v37, v29, v96
	v_add_f32_e32 v36, v36, v37
	s_waitcnt vmcnt(23)
	v_mul_f32_e32 v37, v30, v97
	s_waitcnt vmcnt(22)
	v_fmac_f32_e32 v37, v31, v98
	v_add_f32_e32 v36, v36, v37
	s_waitcnt vmcnt(21) lgkmcnt(0)
	v_mul_f32_e32 v37, v32, v99
	s_waitcnt vmcnt(20)
	v_fmac_f32_e32 v37, v33, v100
	v_add_f32_e32 v40, v36, v37
	ds_read2_b64 v[36:39], v1 offset0:111 offset1:112
	s_waitcnt vmcnt(19)
	v_mul_f32_e32 v41, v34, v101
	s_waitcnt vmcnt(18)
	v_fmac_f32_e32 v41, v35, v102
	v_add_f32_e32 v44, v40, v41
	ds_read2_b64 v[40:43], v1 offset0:113 offset1:114
	s_waitcnt vmcnt(17) lgkmcnt(1)
	v_mul_f32_e32 v45, v36, v103
	s_waitcnt vmcnt(16)
	v_fmac_f32_e32 v45, v37, v104
	v_add_f32_e32 v44, v44, v45
	s_waitcnt vmcnt(15)
	v_mul_f32_e32 v45, v38, v105
	s_waitcnt vmcnt(14)
	v_fmac_f32_e32 v45, v39, v106
	v_add_f32_e32 v44, v44, v45
	s_waitcnt vmcnt(13) lgkmcnt(0)
	v_mul_f32_e32 v45, v40, v107
	s_waitcnt vmcnt(12)
	v_fmac_f32_e32 v45, v41, v108
	s_waitcnt vmcnt(11)
	v_mul_f32_e32 v49, v42, v109
	v_add_f32_e32 v48, v44, v45
	s_waitcnt vmcnt(10)
	v_fmac_f32_e32 v49, v43, v110
	ds_read2_b64 v[44:47], v1 offset0:115 offset1:116
	v_add_f32_e32 v53, v48, v49
	ds_read2_b64 v[48:51], v1 offset0:117 offset1:118
	buffer_load_dword v57, off, s[0:3], 0 offset:460
	buffer_load_dword v56, off, s[0:3], 0 offset:456
	;; [unrolled: 1-line block ×16, first 2 shown]
	v_mul_f32_e32 v5, v5, v52
	v_fma_f32 v4, v4, v83, -v5
	v_mul_f32_e32 v5, v7, v54
	v_add_f32_e32 v4, 0, v4
	v_fma_f32 v5, v6, v84, -v5
	v_add_f32_e32 v4, v4, v5
	v_mul_f32_e32 v5, v9, v62
	v_fma_f32 v5, v8, v85, -v5
	v_add_f32_e32 v4, v4, v5
	v_mul_f32_e32 v5, v11, v74
	;; [unrolled: 3-line block ×18, first 2 shown]
	v_fma_f32 v5, v42, v110, -v5
	v_add_f32_e32 v4, v4, v5
	s_waitcnt vmcnt(23) lgkmcnt(1)
	v_mul_f32_e32 v5, v45, v111
	s_waitcnt vmcnt(22)
	v_fma_f32 v5, v44, v112, -v5
	v_add_f32_e32 v4, v4, v5
	s_waitcnt vmcnt(20)
	v_mul_f32_e32 v5, v47, v114
	v_mul_f32_e32 v55, v44, v111
	v_fma_f32 v5, v46, v113, -v5
	v_fmac_f32_e32 v55, v45, v112
	v_add_f32_e32 v52, v4, v5
	s_waitcnt vmcnt(18) lgkmcnt(0)
	v_mul_f32_e32 v4, v49, v116
	v_add_f32_e32 v53, v53, v55
	v_mul_f32_e32 v55, v46, v114
	v_fma_f32 v54, v48, v115, -v4
	s_waitcnt vmcnt(16)
	v_mul_f32_e32 v4, v51, v118
	v_fmac_f32_e32 v55, v47, v113
	v_fma_f32 v62, v50, v117, -v4
	ds_read2_b64 v[4:7], v1 offset0:119 offset1:120
	ds_read2_b64 v[8:11], v1 offset0:121 offset1:122
	;; [unrolled: 1-line block ×4, first 2 shown]
	v_add_f32_e32 v53, v53, v55
	v_mul_f32_e32 v55, v48, v116
	s_waitcnt vmcnt(11)
	v_mov_b32_e32 v22, v61
	v_fmac_f32_e32 v55, v49, v115
	v_mul_f32_e32 v63, v50, v118
	s_waitcnt lgkmcnt(3)
	v_pk_mul_f32 v[22:23], v[4:5], v[22:23] op_sel_hi:[1,0]
	v_fmac_f32_e32 v63, v51, v117
	v_pk_add_f32 v[20:21], v[52:53], v[54:55]
	s_waitcnt vmcnt(10)
	v_pk_fma_f32 v[24:25], v[4:5], v[60:61], v[22:23] op_sel:[0,0,1] op_sel_hi:[1,1,0] neg_lo:[0,0,1] neg_hi:[0,0,1]
	v_pk_fma_f32 v[4:5], v[4:5], v[60:61], v[22:23] op_sel:[0,0,1] op_sel_hi:[1,0,0]
	v_pk_add_f32 v[20:21], v[20:21], v[62:63]
	v_mov_b32_e32 v25, v5
	v_pk_add_f32 v[4:5], v[20:21], v[24:25]
	v_mov_b32_e32 v20, v59
	v_pk_mul_f32 v[20:21], v[6:7], v[20:21] op_sel_hi:[1,0]
	v_pk_fma_f32 v[22:23], v[6:7], v[58:59], v[20:21] op_sel:[0,0,1] op_sel_hi:[1,1,0] neg_lo:[0,0,1] neg_hi:[0,0,1]
	v_pk_fma_f32 v[6:7], v[6:7], v[58:59], v[20:21] op_sel:[0,0,1] op_sel_hi:[1,0,0]
	v_mov_b32_e32 v6, v57
	v_mov_b32_e32 v23, v7
	s_waitcnt lgkmcnt(2)
	v_pk_mul_f32 v[6:7], v[8:9], v[6:7] op_sel_hi:[1,0]
	v_pk_fma_f32 v[20:21], v[8:9], v[56:57], v[6:7] op_sel:[0,0,1] op_sel_hi:[1,1,0] neg_lo:[0,0,1] neg_hi:[0,0,1]
	v_pk_fma_f32 v[6:7], v[8:9], v[56:57], v[6:7] op_sel:[0,0,1] op_sel_hi:[1,0,0]
	s_waitcnt vmcnt(3)
	v_mov_b32_e32 v6, v71
	v_mov_b32_e32 v21, v7
	v_pk_mul_f32 v[6:7], v[10:11], v[6:7] op_sel_hi:[1,0]
	s_waitcnt vmcnt(2)
	v_pk_fma_f32 v[8:9], v[10:11], v[70:71], v[6:7] op_sel:[0,0,1] op_sel_hi:[1,1,0] neg_lo:[0,0,1] neg_hi:[0,0,1]
	v_pk_fma_f32 v[6:7], v[10:11], v[70:71], v[6:7] op_sel:[0,0,1] op_sel_hi:[1,0,0]
	v_pk_add_f32 v[4:5], v[4:5], v[22:23]
	v_mov_b32_e32 v6, v69
	v_pk_add_f32 v[4:5], v[4:5], v[20:21]
	v_mov_b32_e32 v9, v7
	s_waitcnt lgkmcnt(1)
	v_pk_mul_f32 v[6:7], v[12:13], v[6:7] op_sel_hi:[1,0]
	v_pk_add_f32 v[4:5], v[4:5], v[8:9]
	v_pk_fma_f32 v[8:9], v[12:13], v[68:69], v[6:7] op_sel:[0,0,1] op_sel_hi:[1,1,0] neg_lo:[0,0,1] neg_hi:[0,0,1]
	v_pk_fma_f32 v[6:7], v[12:13], v[68:69], v[6:7] op_sel:[0,0,1] op_sel_hi:[1,0,0]
	v_mov_b32_e32 v6, v67
	v_mov_b32_e32 v9, v7
	v_pk_mul_f32 v[6:7], v[14:15], v[6:7] op_sel_hi:[1,0]
	v_pk_add_f32 v[4:5], v[4:5], v[8:9]
	v_pk_fma_f32 v[8:9], v[14:15], v[66:67], v[6:7] op_sel:[0,0,1] op_sel_hi:[1,1,0] neg_lo:[0,0,1] neg_hi:[0,0,1]
	v_pk_fma_f32 v[6:7], v[14:15], v[66:67], v[6:7] op_sel:[0,0,1] op_sel_hi:[1,0,0]
	v_mov_b32_e32 v6, v65
	v_mov_b32_e32 v9, v7
	s_waitcnt lgkmcnt(0)
	v_pk_mul_f32 v[6:7], v[16:17], v[6:7] op_sel_hi:[1,0]
	v_pk_add_f32 v[4:5], v[4:5], v[8:9]
	v_pk_fma_f32 v[8:9], v[16:17], v[64:65], v[6:7] op_sel:[0,0,1] op_sel_hi:[1,1,0] neg_lo:[0,0,1] neg_hi:[0,0,1]
	v_pk_fma_f32 v[6:7], v[16:17], v[64:65], v[6:7] op_sel:[0,0,1] op_sel_hi:[1,0,0]
	s_waitcnt vmcnt(1)
	v_mov_b32_e32 v6, v73
	v_mov_b32_e32 v9, v7
	v_pk_mul_f32 v[6:7], v[18:19], v[6:7] op_sel_hi:[1,0]
	v_pk_add_f32 v[4:5], v[4:5], v[8:9]
	s_waitcnt vmcnt(0)
	v_pk_fma_f32 v[8:9], v[18:19], v[72:73], v[6:7] op_sel:[0,0,1] op_sel_hi:[1,1,0] neg_lo:[0,0,1] neg_hi:[0,0,1]
	v_pk_fma_f32 v[6:7], v[18:19], v[72:73], v[6:7] op_sel:[0,0,1] op_sel_hi:[1,0,0]
	v_mov_b32_e32 v9, v7
	v_pk_add_f32 v[4:5], v[4:5], v[8:9]
	v_pk_add_f32 v[2:3], v[2:3], v[4:5] neg_lo:[0,1] neg_hi:[0,1]
	buffer_store_dword v3, off, s[0:3], 0 offset:244
	buffer_store_dword v2, off, s[0:3], 0 offset:240
	s_and_saveexec_b64 s[4:5], vcc
	s_cbranch_execz .LBB126_333
; %bb.332:
	buffer_load_dword v2, off, s[0:3], 0 offset:232
	buffer_load_dword v3, off, s[0:3], 0 offset:236
	v_mov_b32_e32 v1, 0
	buffer_store_dword v1, off, s[0:3], 0 offset:232
	buffer_store_dword v1, off, s[0:3], 0 offset:236
	s_waitcnt vmcnt(2)
	ds_write_b64 v217, v[2:3]
.LBB126_333:
	s_or_b64 exec, exec, s[4:5]
	s_waitcnt lgkmcnt(0)
	; wave barrier
	s_waitcnt lgkmcnt(0)
	buffer_load_dword v12, off, s[0:3], 0 offset:244
	buffer_load_dword v14, off, s[0:3], 0 offset:252
	buffer_load_dword v10, off, s[0:3], 0 offset:260
	buffer_load_dword v30, off, s[0:3], 0 offset:268
	buffer_load_dword v31, off, s[0:3], 0 offset:276
	buffer_load_dword v32, off, s[0:3], 0 offset:284
	buffer_load_dword v33, off, s[0:3], 0 offset:292
	buffer_load_dword v34, off, s[0:3], 0 offset:300
	buffer_load_dword v35, off, s[0:3], 0 offset:308
	buffer_load_dword v84, off, s[0:3], 0 offset:316
	buffer_load_dword v85, off, s[0:3], 0 offset:324
	buffer_load_dword v86, off, s[0:3], 0 offset:240
	buffer_load_dword v87, off, s[0:3], 0 offset:248
	buffer_load_dword v88, off, s[0:3], 0 offset:256
	buffer_load_dword v89, off, s[0:3], 0 offset:264
	buffer_load_dword v90, off, s[0:3], 0 offset:272
	buffer_load_dword v91, off, s[0:3], 0 offset:280
	buffer_load_dword v92, off, s[0:3], 0 offset:288
	buffer_load_dword v93, off, s[0:3], 0 offset:296
	buffer_load_dword v94, off, s[0:3], 0 offset:304
	buffer_load_dword v95, off, s[0:3], 0 offset:312
	buffer_load_dword v96, off, s[0:3], 0 offset:320
	buffer_load_dword v97, off, s[0:3], 0 offset:332
	buffer_load_dword v98, off, s[0:3], 0 offset:328
	buffer_load_dword v99, off, s[0:3], 0 offset:340
	buffer_load_dword v100, off, s[0:3], 0 offset:336
	buffer_load_dword v101, off, s[0:3], 0 offset:348
	buffer_load_dword v102, off, s[0:3], 0 offset:344
	buffer_load_dword v103, off, s[0:3], 0 offset:356
	buffer_load_dword v104, off, s[0:3], 0 offset:352
	buffer_load_dword v105, off, s[0:3], 0 offset:364
	buffer_load_dword v106, off, s[0:3], 0 offset:360
	buffer_load_dword v107, off, s[0:3], 0 offset:372
	buffer_load_dword v108, off, s[0:3], 0 offset:368
	buffer_load_dword v109, off, s[0:3], 0 offset:380
	buffer_load_dword v110, off, s[0:3], 0 offset:376
	buffer_load_dword v111, off, s[0:3], 0 offset:388
	buffer_load_dword v112, off, s[0:3], 0 offset:384
	buffer_load_dword v6, off, s[0:3], 0 offset:232
	buffer_load_dword v7, off, s[0:3], 0 offset:236
	buffer_load_dword v113, off, s[0:3], 0 offset:396
	buffer_load_dword v114, off, s[0:3], 0 offset:392
	buffer_load_dword v115, off, s[0:3], 0 offset:400
	buffer_load_dword v116, off, s[0:3], 0 offset:404
	buffer_load_dword v117, off, s[0:3], 0 offset:408
	buffer_load_dword v118, off, s[0:3], 0 offset:412
	buffer_load_dword v119, off, s[0:3], 0 offset:416
	buffer_load_dword v120, off, s[0:3], 0 offset:420
	buffer_load_dword v121, off, s[0:3], 0 offset:424
	buffer_load_dword v122, off, s[0:3], 0 offset:428
	buffer_load_dword v123, off, s[0:3], 0 offset:432
	buffer_load_dword v124, off, s[0:3], 0 offset:436
	v_mov_b32_e32 v1, 0
	ds_read_b128 v[36:39], v1 offset:752
	ds_read_b128 v[40:43], v1 offset:768
	;; [unrolled: 1-line block ×12, first 2 shown]
	v_cmp_lt_u32_e32 vcc, 28, v0
	s_waitcnt vmcnt(51) lgkmcnt(11)
	v_mul_f32_e32 v2, v36, v12
	s_waitcnt vmcnt(50)
	v_mul_f32_e32 v3, v38, v14
	s_waitcnt vmcnt(49) lgkmcnt(10)
	v_mul_f32_e32 v4, v40, v10
	s_waitcnt vmcnt(48)
	v_mul_f32_e32 v5, v42, v30
	;; [unrolled: 4-line block ×5, first 2 shown]
	s_waitcnt vmcnt(41) lgkmcnt(6)
	v_mul_f32_e32 v17, v56, v85
	s_waitcnt vmcnt(40)
	v_fmac_f32_e32 v2, v37, v86
	s_waitcnt vmcnt(39)
	v_fmac_f32_e32 v3, v39, v87
	v_add_f32_e32 v2, 0, v2
	s_waitcnt vmcnt(38)
	v_fmac_f32_e32 v4, v41, v88
	v_add_f32_e32 v2, v2, v3
	;; [unrolled: 3-line block ×9, first 2 shown]
	v_add_f32_e32 v2, v2, v16
	s_waitcnt vmcnt(30)
	v_fmac_f32_e32 v17, v57, v96
	s_waitcnt vmcnt(29)
	v_mul_f32_e32 v3, v58, v97
	v_add_f32_e32 v2, v2, v17
	s_waitcnt vmcnt(28)
	v_fmac_f32_e32 v3, v59, v98
	v_add_f32_e32 v2, v2, v3
	s_waitcnt vmcnt(27) lgkmcnt(5)
	v_mul_f32_e32 v3, v60, v99
	s_waitcnt vmcnt(26)
	v_fmac_f32_e32 v3, v61, v100
	v_add_f32_e32 v2, v2, v3
	s_waitcnt vmcnt(25)
	v_mul_f32_e32 v3, v62, v101
	s_waitcnt vmcnt(24)
	v_fmac_f32_e32 v3, v63, v102
	v_add_f32_e32 v2, v2, v3
	s_waitcnt vmcnt(23) lgkmcnt(4)
	v_mul_f32_e32 v3, v64, v103
	s_waitcnt vmcnt(22)
	v_fmac_f32_e32 v3, v65, v104
	v_add_f32_e32 v2, v2, v3
	s_waitcnt vmcnt(21)
	v_mul_f32_e32 v3, v66, v105
	;; [unrolled: 10-line block ×4, first 2 shown]
	s_waitcnt vmcnt(10)
	v_fmac_f32_e32 v3, v75, v114
	v_add_f32_e32 v2, v2, v3
	s_waitcnt vmcnt(8) lgkmcnt(1)
	v_mul_f32_e32 v3, v76, v116
	v_fmac_f32_e32 v3, v77, v115
	v_add_f32_e32 v2, v2, v3
	s_waitcnt vmcnt(6)
	v_mul_f32_e32 v3, v78, v118
	v_fmac_f32_e32 v3, v79, v117
	s_waitcnt vmcnt(4) lgkmcnt(0)
	v_mul_f32_e32 v9, v80, v120
	v_add_f32_e32 v8, v2, v3
	v_fmac_f32_e32 v9, v81, v119
	ds_read_b128 v[2:5], v1 offset:944
	v_add_f32_e32 v13, v8, v9
	buffer_load_dword v9, off, s[0:3], 0 offset:444
	buffer_load_dword v8, off, s[0:3], 0 offset:440
	;; [unrolled: 1-line block ×16, first 2 shown]
	v_mul_f32_e32 v12, v37, v12
	v_fma_f32 v12, v36, v86, -v12
	v_mul_f32_e32 v14, v39, v14
	v_add_f32_e32 v12, 0, v12
	v_fma_f32 v14, v38, v87, -v14
	v_mul_f32_e32 v10, v41, v10
	v_add_f32_e32 v12, v12, v14
	v_fma_f32 v10, v40, v88, -v10
	v_add_f32_e32 v10, v12, v10
	v_mul_f32_e32 v12, v43, v30
	v_fma_f32 v12, v42, v89, -v12
	v_add_f32_e32 v10, v10, v12
	v_mul_f32_e32 v12, v45, v31
	v_fma_f32 v12, v44, v90, -v12
	v_add_f32_e32 v10, v10, v12
	v_mul_f32_e32 v12, v47, v32
	v_fma_f32 v12, v46, v91, -v12
	v_add_f32_e32 v10, v10, v12
	v_mul_f32_e32 v12, v49, v33
	v_fma_f32 v12, v48, v92, -v12
	v_add_f32_e32 v10, v10, v12
	v_mul_f32_e32 v12, v51, v34
	v_fma_f32 v12, v50, v93, -v12
	v_add_f32_e32 v10, v10, v12
	v_mul_f32_e32 v12, v53, v35
	v_fma_f32 v12, v52, v94, -v12
	v_add_f32_e32 v10, v10, v12
	v_mul_f32_e32 v12, v55, v84
	v_fma_f32 v12, v54, v95, -v12
	v_add_f32_e32 v10, v10, v12
	v_mul_f32_e32 v12, v57, v85
	v_fma_f32 v12, v56, v96, -v12
	v_add_f32_e32 v10, v10, v12
	v_mul_f32_e32 v12, v59, v97
	v_fma_f32 v12, v58, v98, -v12
	v_add_f32_e32 v10, v10, v12
	v_mul_f32_e32 v12, v61, v99
	v_fma_f32 v12, v60, v100, -v12
	v_add_f32_e32 v10, v10, v12
	v_mul_f32_e32 v12, v63, v101
	v_fma_f32 v12, v62, v102, -v12
	v_add_f32_e32 v10, v10, v12
	v_mul_f32_e32 v12, v65, v103
	v_fma_f32 v12, v64, v104, -v12
	v_add_f32_e32 v10, v10, v12
	v_mul_f32_e32 v12, v67, v105
	v_fma_f32 v12, v66, v106, -v12
	v_add_f32_e32 v10, v10, v12
	v_mul_f32_e32 v12, v69, v107
	v_fma_f32 v12, v68, v108, -v12
	v_add_f32_e32 v10, v10, v12
	v_mul_f32_e32 v12, v71, v109
	v_fma_f32 v12, v70, v110, -v12
	v_add_f32_e32 v10, v10, v12
	v_mul_f32_e32 v12, v73, v111
	v_fma_f32 v12, v72, v112, -v12
	v_add_f32_e32 v10, v10, v12
	v_mul_f32_e32 v12, v75, v113
	v_fma_f32 v12, v74, v114, -v12
	v_add_f32_e32 v10, v10, v12
	v_mul_f32_e32 v12, v77, v116
	v_fma_f32 v12, v76, v115, -v12
	v_add_f32_e32 v10, v10, v12
	v_mul_f32_e32 v12, v79, v118
	v_fma_f32 v12, v78, v117, -v12
	v_add_f32_e32 v10, v10, v12
	v_mul_f32_e32 v12, v81, v120
	v_fma_f32 v12, v80, v119, -v12
	s_waitcnt vmcnt(18)
	v_mul_f32_e32 v15, v82, v122
	s_waitcnt vmcnt(16) lgkmcnt(0)
	v_mul_f32_e32 v11, v2, v124
	v_add_f32_e32 v12, v10, v12
	v_mul_f32_e32 v10, v83, v122
	v_fmac_f32_e32 v15, v83, v121
	v_fmac_f32_e32 v11, v3, v123
	v_fma_f32 v14, v82, v121, -v10
	v_mul_f32_e32 v3, v3, v124
	v_fma_f32 v10, v2, v123, -v3
	v_pk_add_f32 v[12:13], v[12:13], v[14:15]
	v_pk_add_f32 v[10:11], v[12:13], v[10:11]
	s_waitcnt vmcnt(15)
	v_mov_b32_e32 v12, v9
	ds_read_b128 v[30:33], v1 offset:960
	ds_read_b128 v[34:37], v1 offset:976
	;; [unrolled: 1-line block ×3, first 2 shown]
	ds_read_b64 v[2:3], v1 offset:1008
	v_pk_mul_f32 v[12:13], v[4:5], v[12:13] op_sel_hi:[1,0]
	s_waitcnt vmcnt(14)
	v_pk_fma_f32 v[14:15], v[4:5], v[8:9], v[12:13] op_sel:[0,0,1] op_sel_hi:[1,1,0] neg_lo:[0,0,1] neg_hi:[0,0,1]
	v_pk_fma_f32 v[4:5], v[4:5], v[8:9], v[12:13] op_sel:[0,0,1] op_sel_hi:[1,0,0]
	s_waitcnt vmcnt(13)
	v_mov_b32_e32 v8, v29
	v_mov_b32_e32 v15, v5
	s_waitcnt lgkmcnt(3)
	v_pk_mul_f32 v[8:9], v[30:31], v[8:9] op_sel_hi:[1,0]
	v_pk_add_f32 v[4:5], v[10:11], v[14:15]
	s_waitcnt vmcnt(12)
	v_pk_fma_f32 v[10:11], v[30:31], v[28:29], v[8:9] op_sel:[0,0,1] op_sel_hi:[1,1,0] neg_lo:[0,0,1] neg_hi:[0,0,1]
	v_pk_fma_f32 v[8:9], v[30:31], v[28:29], v[8:9] op_sel:[0,0,1] op_sel_hi:[1,0,0]
	s_waitcnt vmcnt(11)
	v_mov_b32_e32 v8, v27
	v_mov_b32_e32 v11, v9
	v_pk_mul_f32 v[8:9], v[32:33], v[8:9] op_sel_hi:[1,0]
	v_pk_add_f32 v[4:5], v[4:5], v[10:11]
	s_waitcnt vmcnt(10)
	v_pk_fma_f32 v[10:11], v[32:33], v[26:27], v[8:9] op_sel:[0,0,1] op_sel_hi:[1,1,0] neg_lo:[0,0,1] neg_hi:[0,0,1]
	v_pk_fma_f32 v[8:9], v[32:33], v[26:27], v[8:9] op_sel:[0,0,1] op_sel_hi:[1,0,0]
	s_waitcnt vmcnt(9)
	v_mov_b32_e32 v8, v25
	v_mov_b32_e32 v11, v9
	s_waitcnt lgkmcnt(2)
	v_pk_mul_f32 v[8:9], v[34:35], v[8:9] op_sel_hi:[1,0]
	v_pk_add_f32 v[4:5], v[4:5], v[10:11]
	s_waitcnt vmcnt(8)
	v_pk_fma_f32 v[10:11], v[34:35], v[24:25], v[8:9] op_sel:[0,0,1] op_sel_hi:[1,1,0] neg_lo:[0,0,1] neg_hi:[0,0,1]
	v_pk_fma_f32 v[8:9], v[34:35], v[24:25], v[8:9] op_sel:[0,0,1] op_sel_hi:[1,0,0]
	s_waitcnt vmcnt(7)
	v_mov_b32_e32 v8, v23
	v_mov_b32_e32 v11, v9
	v_pk_mul_f32 v[8:9], v[36:37], v[8:9] op_sel_hi:[1,0]
	v_pk_add_f32 v[4:5], v[4:5], v[10:11]
	;; [unrolled: 17-line block ×3, first 2 shown]
	s_waitcnt vmcnt(2)
	v_pk_fma_f32 v[10:11], v[40:41], v[18:19], v[8:9] op_sel:[0,0,1] op_sel_hi:[1,1,0] neg_lo:[0,0,1] neg_hi:[0,0,1]
	v_pk_fma_f32 v[8:9], v[40:41], v[18:19], v[8:9] op_sel:[0,0,1] op_sel_hi:[1,0,0]
	s_waitcnt vmcnt(1)
	v_mov_b32_e32 v8, v17
	v_mov_b32_e32 v11, v9
	s_waitcnt lgkmcnt(0)
	v_pk_mul_f32 v[8:9], v[2:3], v[8:9] op_sel_hi:[1,0]
	v_pk_add_f32 v[4:5], v[4:5], v[10:11]
	s_waitcnt vmcnt(0)
	v_pk_fma_f32 v[10:11], v[2:3], v[16:17], v[8:9] op_sel:[0,0,1] op_sel_hi:[1,1,0] neg_lo:[0,0,1] neg_hi:[0,0,1]
	v_pk_fma_f32 v[2:3], v[2:3], v[16:17], v[8:9] op_sel:[0,0,1] op_sel_hi:[1,0,0]
	v_mov_b32_e32 v11, v3
	v_pk_add_f32 v[2:3], v[4:5], v[10:11]
	v_pk_add_f32 v[2:3], v[6:7], v[2:3] neg_lo:[0,1] neg_hi:[0,1]
	buffer_store_dword v3, off, s[0:3], 0 offset:236
	buffer_store_dword v2, off, s[0:3], 0 offset:232
	s_and_saveexec_b64 s[4:5], vcc
	s_cbranch_execz .LBB126_335
; %bb.334:
	buffer_load_dword v2, off, s[0:3], 0 offset:224
	buffer_load_dword v3, off, s[0:3], 0 offset:228
	s_waitcnt vmcnt(0)
	ds_write_b64 v217, v[2:3]
	buffer_store_dword v1, off, s[0:3], 0 offset:224
	buffer_store_dword v1, off, s[0:3], 0 offset:228
.LBB126_335:
	s_or_b64 exec, exec, s[4:5]
	s_waitcnt lgkmcnt(0)
	; wave barrier
	s_waitcnt lgkmcnt(0)
	buffer_load_dword v62, off, s[0:3], 0 offset:236
	buffer_load_dword v64, off, s[0:3], 0 offset:244
	buffer_load_dword v66, off, s[0:3], 0 offset:260
	buffer_load_dword v82, off, s[0:3], 0 offset:268
	buffer_load_dword v83, off, s[0:3], 0 offset:276
	buffer_load_dword v84, off, s[0:3], 0 offset:252
	buffer_load_dword v85, off, s[0:3], 0 offset:284
	buffer_load_dword v86, off, s[0:3], 0 offset:292
	buffer_load_dword v87, off, s[0:3], 0 offset:300
	buffer_load_dword v88, off, s[0:3], 0 offset:308
	buffer_load_dword v89, off, s[0:3], 0 offset:248
	buffer_load_dword v90, off, s[0:3], 0 offset:240
	buffer_load_dword v91, off, s[0:3], 0 offset:232
	buffer_load_dword v92, off, s[0:3], 0 offset:280
	buffer_load_dword v93, off, s[0:3], 0 offset:272
	buffer_load_dword v94, off, s[0:3], 0 offset:264
	buffer_load_dword v95, off, s[0:3], 0 offset:256
	buffer_load_dword v96, off, s[0:3], 0 offset:312
	buffer_load_dword v97, off, s[0:3], 0 offset:304
	buffer_load_dword v98, off, s[0:3], 0 offset:296
	buffer_load_dword v99, off, s[0:3], 0 offset:288
	buffer_load_dword v100, off, s[0:3], 0 offset:316
	buffer_load_dword v101, off, s[0:3], 0 offset:344
	buffer_load_dword v102, off, s[0:3], 0 offset:336
	buffer_load_dword v103, off, s[0:3], 0 offset:328
	buffer_load_dword v104, off, s[0:3], 0 offset:324
	buffer_load_dword v105, off, s[0:3], 0 offset:320
	buffer_load_dword v106, off, s[0:3], 0 offset:332
	buffer_load_dword v107, off, s[0:3], 0 offset:340
	buffer_load_dword v108, off, s[0:3], 0 offset:348
	buffer_load_dword v109, off, s[0:3], 0 offset:368
	buffer_load_dword v110, off, s[0:3], 0 offset:372
	buffer_load_dword v111, off, s[0:3], 0 offset:376
	buffer_load_dword v112, off, s[0:3], 0 offset:360
	buffer_load_dword v113, off, s[0:3], 0 offset:356
	buffer_load_dword v114, off, s[0:3], 0 offset:352
	buffer_load_dword v115, off, s[0:3], 0 offset:364
	buffer_load_dword v116, off, s[0:3], 0 offset:380
	buffer_load_dword v2, off, s[0:3], 0 offset:224
	buffer_load_dword v3, off, s[0:3], 0 offset:228
	buffer_load_dword v117, off, s[0:3], 0 offset:384
	buffer_load_dword v118, off, s[0:3], 0 offset:388
	ds_read2_b64 v[4:7], v1 offset0:93 offset1:94
	ds_read2_b64 v[8:11], v1 offset0:95 offset1:96
	buffer_load_dword v119, off, s[0:3], 0 offset:392
	buffer_load_dword v120, off, s[0:3], 0 offset:396
	ds_read2_b64 v[12:15], v1 offset0:97 offset1:98
	ds_read2_b64 v[16:19], v1 offset0:99 offset1:100
	buffer_load_dword v121, off, s[0:3], 0 offset:400
	buffer_load_dword v122, off, s[0:3], 0 offset:404
	;; [unrolled: 1-line block ×4, first 2 shown]
	ds_read2_b64 v[20:23], v1 offset0:101 offset1:102
	ds_read2_b64 v[24:27], v1 offset0:103 offset1:104
	buffer_load_dword v125, off, s[0:3], 0 offset:416
	buffer_load_dword v126, off, s[0:3], 0 offset:420
	;; [unrolled: 1-line block ×6, first 2 shown]
	v_cmp_lt_u32_e32 vcc, 27, v0
	s_waitcnt vmcnt(53) lgkmcnt(5)
	v_mul_f32_e32 v28, v4, v62
	s_waitcnt vmcnt(52)
	v_mul_f32_e32 v29, v6, v64
	s_waitcnt vmcnt(51) lgkmcnt(4)
	v_mul_f32_e32 v31, v10, v66
	s_waitcnt vmcnt(50) lgkmcnt(3)
	v_mul_f32_e32 v32, v12, v82
	s_waitcnt vmcnt(49)
	v_mul_f32_e32 v33, v14, v83
	s_waitcnt vmcnt(48)
	v_mul_f32_e32 v30, v8, v84
	s_waitcnt vmcnt(47) lgkmcnt(2)
	v_mul_f32_e32 v34, v16, v85
	s_waitcnt vmcnt(46)
	v_mul_f32_e32 v35, v18, v86
	s_waitcnt vmcnt(45) lgkmcnt(1)
	v_mul_f32_e32 v36, v20, v87
	s_waitcnt vmcnt(44)
	v_mul_f32_e32 v37, v22, v88
	s_waitcnt vmcnt(43)
	v_fmac_f32_e32 v30, v9, v89
	s_waitcnt vmcnt(42)
	v_fmac_f32_e32 v29, v7, v90
	;; [unrolled: 2-line block ×3, first 2 shown]
	v_add_f32_e32 v28, 0, v28
	v_add_f32_e32 v28, v28, v29
	;; [unrolled: 1-line block ×3, first 2 shown]
	s_waitcnt vmcnt(37)
	v_fmac_f32_e32 v31, v11, v95
	v_fmac_f32_e32 v32, v13, v94
	v_add_f32_e32 v28, v28, v31
	v_fmac_f32_e32 v33, v15, v93
	v_add_f32_e32 v28, v28, v32
	v_fmac_f32_e32 v34, v17, v92
	v_add_f32_e32 v28, v28, v33
	s_waitcnt vmcnt(33)
	v_fmac_f32_e32 v35, v19, v99
	v_add_f32_e32 v28, v28, v34
	v_fmac_f32_e32 v36, v21, v98
	v_add_f32_e32 v28, v28, v35
	;; [unrolled: 2-line block ×3, first 2 shown]
	s_waitcnt vmcnt(32) lgkmcnt(0)
	v_mul_f32_e32 v29, v24, v100
	v_add_f32_e32 v28, v28, v37
	v_fmac_f32_e32 v29, v25, v96
	v_add_f32_e32 v32, v28, v29
	ds_read2_b64 v[28:31], v1 offset0:105 offset1:106
	s_waitcnt vmcnt(28)
	v_mul_f32_e32 v33, v26, v104
	s_waitcnt vmcnt(27)
	v_fmac_f32_e32 v33, v27, v105
	v_add_f32_e32 v36, v32, v33
	ds_read2_b64 v[32:35], v1 offset0:107 offset1:108
	s_waitcnt vmcnt(26) lgkmcnt(1)
	v_mul_f32_e32 v37, v28, v106
	v_fmac_f32_e32 v37, v29, v103
	v_add_f32_e32 v36, v36, v37
	s_waitcnt vmcnt(25)
	v_mul_f32_e32 v37, v30, v107
	v_fmac_f32_e32 v37, v31, v102
	v_add_f32_e32 v36, v36, v37
	s_waitcnt vmcnt(24) lgkmcnt(0)
	v_mul_f32_e32 v37, v32, v108
	v_fmac_f32_e32 v37, v33, v101
	v_add_f32_e32 v40, v36, v37
	ds_read2_b64 v[36:39], v1 offset0:109 offset1:110
	s_waitcnt vmcnt(19)
	v_mul_f32_e32 v41, v34, v113
	s_waitcnt vmcnt(18)
	v_fmac_f32_e32 v41, v35, v114
	v_add_f32_e32 v44, v40, v41
	ds_read2_b64 v[40:43], v1 offset0:111 offset1:112
	s_waitcnt vmcnt(17) lgkmcnt(1)
	v_mul_f32_e32 v45, v36, v115
	v_fmac_f32_e32 v45, v37, v112
	v_add_f32_e32 v44, v44, v45
	v_mul_f32_e32 v45, v38, v110
	v_fmac_f32_e32 v45, v39, v109
	v_add_f32_e32 v44, v44, v45
	s_waitcnt vmcnt(16) lgkmcnt(0)
	v_mul_f32_e32 v45, v40, v116
	v_fmac_f32_e32 v45, v41, v111
	v_add_f32_e32 v48, v44, v45
	ds_read2_b64 v[44:47], v1 offset0:113 offset1:114
	s_waitcnt vmcnt(12)
	v_mul_f32_e32 v49, v42, v118
	v_fmac_f32_e32 v49, v43, v117
	v_add_f32_e32 v52, v48, v49
	ds_read2_b64 v[48:51], v1 offset0:115 offset1:116
	buffer_load_dword v61, off, s[0:3], 0 offset:444
	buffer_load_dword v60, off, s[0:3], 0 offset:440
	s_waitcnt vmcnt(12) lgkmcnt(1)
	v_mul_f32_e32 v53, v44, v120
	v_fmac_f32_e32 v53, v45, v119
	v_add_f32_e32 v52, v52, v53
	s_waitcnt vmcnt(10)
	v_mul_f32_e32 v53, v46, v122
	v_fmac_f32_e32 v53, v47, v121
	v_add_f32_e32 v52, v52, v53
	s_waitcnt vmcnt(8) lgkmcnt(0)
	v_mul_f32_e32 v53, v48, v124
	v_fmac_f32_e32 v53, v49, v123
	s_waitcnt vmcnt(6)
	v_mul_f32_e32 v57, v50, v126
	v_add_f32_e32 v56, v52, v53
	v_fmac_f32_e32 v57, v51, v125
	ds_read2_b64 v[52:55], v1 offset0:117 offset1:118
	v_add_f32_e32 v63, v56, v57
	ds_read2_b64 v[56:59], v1 offset0:119 offset1:120
	buffer_load_dword v69, off, s[0:3], 0 offset:476
	buffer_load_dword v68, off, s[0:3], 0 offset:472
	;; [unrolled: 1-line block ×14, first 2 shown]
	v_mul_f32_e32 v5, v5, v62
	v_fma_f32 v4, v4, v91, -v5
	v_mul_f32_e32 v5, v7, v64
	v_add_f32_e32 v4, 0, v4
	v_fma_f32 v5, v6, v90, -v5
	v_add_f32_e32 v4, v4, v5
	v_mul_f32_e32 v5, v9, v84
	v_fma_f32 v5, v8, v89, -v5
	v_add_f32_e32 v4, v4, v5
	v_mul_f32_e32 v5, v11, v66
	;; [unrolled: 3-line block ×22, first 2 shown]
	v_fma_f32 v5, v50, v125, -v5
	s_waitcnt vmcnt(15)
	v_mov_b32_e32 v18, v61
	s_waitcnt lgkmcnt(1)
	v_mul_f32_e32 v65, v52, v128
	v_add_f32_e32 v62, v4, v5
	v_mul_f32_e32 v4, v53, v128
	s_waitcnt lgkmcnt(0)
	v_pk_mul_f32 v[18:19], v[56:57], v[18:19] op_sel_hi:[1,0]
	v_fmac_f32_e32 v65, v53, v127
	v_mul_f32_e32 v67, v54, v130
	v_fma_f32 v64, v52, v127, -v4
	v_mul_f32_e32 v4, v55, v130
	s_waitcnt vmcnt(14)
	v_pk_fma_f32 v[20:21], v[56:57], v[60:61], v[18:19] op_sel:[0,0,1] op_sel_hi:[1,1,0] neg_lo:[0,0,1] neg_hi:[0,0,1]
	v_pk_fma_f32 v[18:19], v[56:57], v[60:61], v[18:19] op_sel:[0,0,1] op_sel_hi:[1,0,0]
	v_fmac_f32_e32 v67, v55, v129
	v_fma_f32 v66, v54, v129, -v4
	v_pk_add_f32 v[16:17], v[62:63], v[64:65]
	s_waitcnt vmcnt(7)
	v_mov_b32_e32 v18, v75
	ds_read2_b64 v[4:7], v1 offset0:121 offset1:122
	ds_read2_b64 v[8:11], v1 offset0:123 offset1:124
	;; [unrolled: 1-line block ×3, first 2 shown]
	v_pk_add_f32 v[16:17], v[16:17], v[66:67]
	v_mov_b32_e32 v21, v19
	v_pk_mul_f32 v[18:19], v[58:59], v[18:19] op_sel_hi:[1,0]
	v_pk_add_f32 v[16:17], v[16:17], v[20:21]
	s_waitcnt vmcnt(6)
	v_pk_fma_f32 v[20:21], v[58:59], v[74:75], v[18:19] op_sel:[0,0,1] op_sel_hi:[1,1,0] neg_lo:[0,0,1] neg_hi:[0,0,1]
	v_pk_fma_f32 v[18:19], v[58:59], v[74:75], v[18:19] op_sel:[0,0,1] op_sel_hi:[1,0,0]
	v_mov_b32_e32 v18, v73
	v_mov_b32_e32 v21, v19
	s_waitcnt lgkmcnt(2)
	v_pk_mul_f32 v[18:19], v[4:5], v[18:19] op_sel_hi:[1,0]
	v_pk_add_f32 v[16:17], v[16:17], v[20:21]
	v_pk_fma_f32 v[20:21], v[4:5], v[72:73], v[18:19] op_sel:[0,0,1] op_sel_hi:[1,1,0] neg_lo:[0,0,1] neg_hi:[0,0,1]
	v_pk_fma_f32 v[4:5], v[4:5], v[72:73], v[18:19] op_sel:[0,0,1] op_sel_hi:[1,0,0]
	v_mov_b32_e32 v21, v5
	v_pk_add_f32 v[4:5], v[16:17], v[20:21]
	v_mov_b32_e32 v16, v71
	v_pk_mul_f32 v[16:17], v[6:7], v[16:17] op_sel_hi:[1,0]
	v_pk_fma_f32 v[18:19], v[6:7], v[70:71], v[16:17] op_sel:[0,0,1] op_sel_hi:[1,1,0] neg_lo:[0,0,1] neg_hi:[0,0,1]
	v_pk_fma_f32 v[6:7], v[6:7], v[70:71], v[16:17] op_sel:[0,0,1] op_sel_hi:[1,0,0]
	v_mov_b32_e32 v6, v69
	v_mov_b32_e32 v19, v7
	s_waitcnt lgkmcnt(1)
	v_pk_mul_f32 v[6:7], v[8:9], v[6:7] op_sel_hi:[1,0]
	v_pk_fma_f32 v[16:17], v[8:9], v[68:69], v[6:7] op_sel:[0,0,1] op_sel_hi:[1,1,0] neg_lo:[0,0,1] neg_hi:[0,0,1]
	v_pk_fma_f32 v[6:7], v[8:9], v[68:69], v[6:7] op_sel:[0,0,1] op_sel_hi:[1,0,0]
	s_waitcnt vmcnt(1)
	v_mov_b32_e32 v6, v81
	v_mov_b32_e32 v17, v7
	v_pk_mul_f32 v[6:7], v[10:11], v[6:7] op_sel_hi:[1,0]
	s_waitcnt vmcnt(0)
	v_pk_fma_f32 v[8:9], v[10:11], v[80:81], v[6:7] op_sel:[0,0,1] op_sel_hi:[1,1,0] neg_lo:[0,0,1] neg_hi:[0,0,1]
	v_pk_fma_f32 v[6:7], v[10:11], v[80:81], v[6:7] op_sel:[0,0,1] op_sel_hi:[1,0,0]
	v_pk_add_f32 v[4:5], v[4:5], v[18:19]
	v_mov_b32_e32 v6, v79
	v_pk_add_f32 v[4:5], v[4:5], v[16:17]
	v_mov_b32_e32 v9, v7
	s_waitcnt lgkmcnt(0)
	v_pk_mul_f32 v[6:7], v[12:13], v[6:7] op_sel_hi:[1,0]
	v_pk_add_f32 v[4:5], v[4:5], v[8:9]
	v_pk_fma_f32 v[8:9], v[12:13], v[78:79], v[6:7] op_sel:[0,0,1] op_sel_hi:[1,1,0] neg_lo:[0,0,1] neg_hi:[0,0,1]
	v_pk_fma_f32 v[6:7], v[12:13], v[78:79], v[6:7] op_sel:[0,0,1] op_sel_hi:[1,0,0]
	v_mov_b32_e32 v6, v77
	v_mov_b32_e32 v9, v7
	v_pk_mul_f32 v[6:7], v[14:15], v[6:7] op_sel_hi:[1,0]
	v_pk_add_f32 v[4:5], v[4:5], v[8:9]
	v_pk_fma_f32 v[8:9], v[14:15], v[76:77], v[6:7] op_sel:[0,0,1] op_sel_hi:[1,1,0] neg_lo:[0,0,1] neg_hi:[0,0,1]
	v_pk_fma_f32 v[6:7], v[14:15], v[76:77], v[6:7] op_sel:[0,0,1] op_sel_hi:[1,0,0]
	v_mov_b32_e32 v9, v7
	v_pk_add_f32 v[4:5], v[4:5], v[8:9]
	v_pk_add_f32 v[2:3], v[2:3], v[4:5] neg_lo:[0,1] neg_hi:[0,1]
	buffer_store_dword v3, off, s[0:3], 0 offset:228
	buffer_store_dword v2, off, s[0:3], 0 offset:224
	s_and_saveexec_b64 s[4:5], vcc
	s_cbranch_execz .LBB126_337
; %bb.336:
	buffer_load_dword v2, off, s[0:3], 0 offset:216
	buffer_load_dword v3, off, s[0:3], 0 offset:220
	v_mov_b32_e32 v1, 0
	buffer_store_dword v1, off, s[0:3], 0 offset:216
	buffer_store_dword v1, off, s[0:3], 0 offset:220
	s_waitcnt vmcnt(2)
	ds_write_b64 v217, v[2:3]
.LBB126_337:
	s_or_b64 exec, exec, s[4:5]
	s_waitcnt lgkmcnt(0)
	; wave barrier
	s_waitcnt lgkmcnt(0)
	buffer_load_dword v60, off, s[0:3], 0 offset:228
	buffer_load_dword v62, off, s[0:3], 0 offset:236
	;; [unrolled: 1-line block ×56, first 2 shown]
	v_mov_b32_e32 v1, 0
	ds_read_b128 v[4:7], v1 offset:736
	ds_read_b128 v[8:11], v1 offset:752
	;; [unrolled: 1-line block ×6, first 2 shown]
	v_cmp_lt_u32_e32 vcc, 26, v0
	s_waitcnt vmcnt(55) lgkmcnt(5)
	v_mul_f32_e32 v28, v4, v60
	s_waitcnt vmcnt(54)
	v_mul_f32_e32 v29, v6, v62
	s_waitcnt vmcnt(53) lgkmcnt(4)
	v_mul_f32_e32 v31, v10, v64
	s_waitcnt vmcnt(52) lgkmcnt(3)
	v_mul_f32_e32 v32, v12, v82
	s_waitcnt vmcnt(51)
	v_mul_f32_e32 v33, v14, v83
	s_waitcnt vmcnt(50)
	v_mul_f32_e32 v30, v8, v84
	s_waitcnt vmcnt(49) lgkmcnt(2)
	v_mul_f32_e32 v34, v16, v85
	s_waitcnt vmcnt(48)
	v_mul_f32_e32 v35, v18, v86
	s_waitcnt vmcnt(47) lgkmcnt(1)
	v_mul_f32_e32 v36, v20, v87
	s_waitcnt vmcnt(46)
	v_fmac_f32_e32 v30, v9, v88
	s_waitcnt vmcnt(45)
	v_fmac_f32_e32 v29, v7, v89
	;; [unrolled: 2-line block ×3, first 2 shown]
	v_add_f32_e32 v28, 0, v28
	v_add_f32_e32 v28, v28, v29
	;; [unrolled: 1-line block ×3, first 2 shown]
	s_waitcnt vmcnt(40)
	v_fmac_f32_e32 v31, v11, v94
	v_fmac_f32_e32 v32, v13, v93
	v_add_f32_e32 v28, v28, v31
	v_fmac_f32_e32 v33, v15, v92
	v_add_f32_e32 v28, v28, v32
	;; [unrolled: 2-line block ×3, first 2 shown]
	s_waitcnt vmcnt(36)
	v_fmac_f32_e32 v35, v19, v98
	v_add_f32_e32 v28, v28, v34
	v_add_f32_e32 v28, v28, v35
	v_fmac_f32_e32 v36, v21, v97
	s_waitcnt vmcnt(35)
	v_mul_f32_e32 v29, v22, v99
	v_add_f32_e32 v28, v28, v36
	v_fmac_f32_e32 v29, v23, v96
	v_add_f32_e32 v28, v28, v29
	s_waitcnt vmcnt(34) lgkmcnt(0)
	v_mul_f32_e32 v29, v24, v100
	v_fmac_f32_e32 v29, v25, v95
	v_add_f32_e32 v32, v28, v29
	ds_read_b128 v[28:31], v1 offset:832
	s_waitcnt vmcnt(30)
	v_mul_f32_e32 v33, v26, v104
	s_waitcnt vmcnt(29)
	v_fmac_f32_e32 v33, v27, v105
	v_add_f32_e32 v36, v32, v33
	ds_read_b128 v[32:35], v1 offset:848
	s_waitcnt vmcnt(28) lgkmcnt(1)
	v_mul_f32_e32 v37, v28, v106
	v_fmac_f32_e32 v37, v29, v103
	v_add_f32_e32 v36, v36, v37
	s_waitcnt vmcnt(27)
	v_mul_f32_e32 v37, v30, v107
	v_fmac_f32_e32 v37, v31, v102
	v_add_f32_e32 v36, v36, v37
	s_waitcnt vmcnt(26) lgkmcnt(0)
	v_mul_f32_e32 v37, v32, v108
	v_fmac_f32_e32 v37, v33, v101
	v_add_f32_e32 v40, v36, v37
	ds_read_b128 v[36:39], v1 offset:864
	s_waitcnt vmcnt(24)
	v_mul_f32_e32 v41, v34, v110
	v_fmac_f32_e32 v41, v35, v109
	v_add_f32_e32 v44, v40, v41
	ds_read_b128 v[40:43], v1 offset:880
	s_waitcnt vmcnt(20) lgkmcnt(1)
	v_mul_f32_e32 v45, v36, v112
	v_fmac_f32_e32 v45, v37, v111
	v_add_f32_e32 v44, v44, v45
	s_waitcnt vmcnt(18)
	v_mul_f32_e32 v45, v38, v114
	v_fmac_f32_e32 v45, v39, v113
	v_add_f32_e32 v44, v44, v45
	s_waitcnt vmcnt(16) lgkmcnt(0)
	v_mul_f32_e32 v45, v40, v116
	v_fmac_f32_e32 v45, v41, v115
	v_add_f32_e32 v48, v44, v45
	ds_read_b128 v[44:47], v1 offset:896
	s_waitcnt vmcnt(14)
	v_mul_f32_e32 v49, v42, v118
	v_fmac_f32_e32 v49, v43, v117
	v_add_f32_e32 v52, v48, v49
	ds_read_b128 v[48:51], v1 offset:912
	s_waitcnt vmcnt(12) lgkmcnt(1)
	v_mul_f32_e32 v53, v44, v120
	v_fmac_f32_e32 v53, v45, v119
	v_add_f32_e32 v52, v52, v53
	s_waitcnt vmcnt(10)
	v_mul_f32_e32 v53, v46, v122
	v_fmac_f32_e32 v53, v47, v121
	v_add_f32_e32 v52, v52, v53
	s_waitcnt vmcnt(8) lgkmcnt(0)
	v_mul_f32_e32 v53, v48, v124
	v_fmac_f32_e32 v53, v49, v123
	s_waitcnt vmcnt(6)
	v_mul_f32_e32 v57, v50, v126
	v_add_f32_e32 v56, v52, v53
	v_fmac_f32_e32 v57, v51, v125
	ds_read_b128 v[52:55], v1 offset:928
	v_add_f32_e32 v61, v56, v57
	ds_read_b128 v[56:59], v1 offset:944
	buffer_load_dword v67, off, s[0:3], 0 offset:468
	buffer_load_dword v66, off, s[0:3], 0 offset:464
	;; [unrolled: 1-line block ×16, first 2 shown]
	v_mul_f32_e32 v5, v5, v60
	v_fma_f32 v4, v4, v90, -v5
	v_mul_f32_e32 v5, v7, v62
	v_add_f32_e32 v4, 0, v4
	v_fma_f32 v5, v6, v89, -v5
	v_add_f32_e32 v4, v4, v5
	v_mul_f32_e32 v5, v9, v84
	v_fma_f32 v5, v8, v88, -v5
	v_add_f32_e32 v4, v4, v5
	v_mul_f32_e32 v5, v11, v64
	;; [unrolled: 3-line block ×22, first 2 shown]
	v_fma_f32 v5, v50, v125, -v5
	v_add_f32_e32 v4, v4, v5
	s_waitcnt vmcnt(20) lgkmcnt(1)
	v_mul_f32_e32 v5, v53, v128
	v_mul_f32_e32 v63, v52, v128
	v_fma_f32 v5, v52, v127, -v5
	v_fmac_f32_e32 v63, v53, v127
	v_add_f32_e32 v60, v4, v5
	s_waitcnt vmcnt(18)
	v_mul_f32_e32 v4, v55, v130
	s_waitcnt vmcnt(9)
	v_mov_b32_e32 v20, v73
	v_add_f32_e32 v61, v61, v63
	v_mul_f32_e32 v63, v54, v130
	v_fma_f32 v62, v54, v129, -v4
	s_waitcnt lgkmcnt(0)
	v_mul_f32_e32 v4, v57, v132
	v_pk_mul_f32 v[20:21], v[58:59], v[20:21] op_sel_hi:[1,0]
	v_fmac_f32_e32 v63, v55, v129
	v_mul_f32_e32 v65, v56, v132
	v_fma_f32 v64, v56, v131, -v4
	ds_read_b128 v[4:7], v1 offset:960
	ds_read_b128 v[8:11], v1 offset:976
	;; [unrolled: 1-line block ×3, first 2 shown]
	ds_read_b64 v[16:17], v1 offset:1008
	s_waitcnt vmcnt(8)
	v_pk_fma_f32 v[22:23], v[58:59], v[72:73], v[20:21] op_sel:[0,0,1] op_sel_hi:[1,1,0] neg_lo:[0,0,1] neg_hi:[0,0,1]
	v_pk_fma_f32 v[20:21], v[58:59], v[72:73], v[20:21] op_sel:[0,0,1] op_sel_hi:[1,0,0]
	v_fmac_f32_e32 v65, v57, v131
	v_pk_add_f32 v[18:19], v[60:61], v[62:63]
	v_mov_b32_e32 v20, v71
	v_pk_add_f32 v[18:19], v[18:19], v[64:65]
	v_mov_b32_e32 v23, v21
	s_waitcnt lgkmcnt(3)
	v_pk_mul_f32 v[20:21], v[4:5], v[20:21] op_sel_hi:[1,0]
	v_pk_add_f32 v[18:19], v[18:19], v[22:23]
	v_pk_fma_f32 v[22:23], v[4:5], v[70:71], v[20:21] op_sel:[0,0,1] op_sel_hi:[1,1,0] neg_lo:[0,0,1] neg_hi:[0,0,1]
	v_pk_fma_f32 v[4:5], v[4:5], v[70:71], v[20:21] op_sel:[0,0,1] op_sel_hi:[1,0,0]
	v_mov_b32_e32 v23, v5
	v_pk_add_f32 v[4:5], v[18:19], v[22:23]
	v_mov_b32_e32 v18, v69
	v_pk_mul_f32 v[18:19], v[6:7], v[18:19] op_sel_hi:[1,0]
	v_pk_fma_f32 v[20:21], v[6:7], v[68:69], v[18:19] op_sel:[0,0,1] op_sel_hi:[1,1,0] neg_lo:[0,0,1] neg_hi:[0,0,1]
	v_pk_fma_f32 v[6:7], v[6:7], v[68:69], v[18:19] op_sel:[0,0,1] op_sel_hi:[1,0,0]
	v_mov_b32_e32 v6, v67
	v_mov_b32_e32 v21, v7
	s_waitcnt lgkmcnt(2)
	v_pk_mul_f32 v[6:7], v[8:9], v[6:7] op_sel_hi:[1,0]
	v_pk_fma_f32 v[18:19], v[8:9], v[66:67], v[6:7] op_sel:[0,0,1] op_sel_hi:[1,1,0] neg_lo:[0,0,1] neg_hi:[0,0,1]
	v_pk_fma_f32 v[6:7], v[8:9], v[66:67], v[6:7] op_sel:[0,0,1] op_sel_hi:[1,0,0]
	s_waitcnt vmcnt(1)
	v_mov_b32_e32 v6, v81
	v_mov_b32_e32 v19, v7
	v_pk_mul_f32 v[6:7], v[10:11], v[6:7] op_sel_hi:[1,0]
	s_waitcnt vmcnt(0)
	v_pk_fma_f32 v[8:9], v[10:11], v[80:81], v[6:7] op_sel:[0,0,1] op_sel_hi:[1,1,0] neg_lo:[0,0,1] neg_hi:[0,0,1]
	v_pk_fma_f32 v[6:7], v[10:11], v[80:81], v[6:7] op_sel:[0,0,1] op_sel_hi:[1,0,0]
	v_pk_add_f32 v[4:5], v[4:5], v[20:21]
	v_mov_b32_e32 v6, v79
	v_pk_add_f32 v[4:5], v[4:5], v[18:19]
	v_mov_b32_e32 v9, v7
	s_waitcnt lgkmcnt(1)
	v_pk_mul_f32 v[6:7], v[12:13], v[6:7] op_sel_hi:[1,0]
	v_pk_add_f32 v[4:5], v[4:5], v[8:9]
	v_pk_fma_f32 v[8:9], v[12:13], v[78:79], v[6:7] op_sel:[0,0,1] op_sel_hi:[1,1,0] neg_lo:[0,0,1] neg_hi:[0,0,1]
	v_pk_fma_f32 v[6:7], v[12:13], v[78:79], v[6:7] op_sel:[0,0,1] op_sel_hi:[1,0,0]
	v_mov_b32_e32 v6, v77
	v_mov_b32_e32 v9, v7
	v_pk_mul_f32 v[6:7], v[14:15], v[6:7] op_sel_hi:[1,0]
	v_pk_add_f32 v[4:5], v[4:5], v[8:9]
	v_pk_fma_f32 v[8:9], v[14:15], v[76:77], v[6:7] op_sel:[0,0,1] op_sel_hi:[1,1,0] neg_lo:[0,0,1] neg_hi:[0,0,1]
	v_pk_fma_f32 v[6:7], v[14:15], v[76:77], v[6:7] op_sel:[0,0,1] op_sel_hi:[1,0,0]
	v_mov_b32_e32 v6, v75
	v_mov_b32_e32 v9, v7
	s_waitcnt lgkmcnt(0)
	v_pk_mul_f32 v[6:7], v[16:17], v[6:7] op_sel_hi:[1,0]
	v_pk_add_f32 v[4:5], v[4:5], v[8:9]
	v_pk_fma_f32 v[8:9], v[16:17], v[74:75], v[6:7] op_sel:[0,0,1] op_sel_hi:[1,1,0] neg_lo:[0,0,1] neg_hi:[0,0,1]
	v_pk_fma_f32 v[6:7], v[16:17], v[74:75], v[6:7] op_sel:[0,0,1] op_sel_hi:[1,0,0]
	v_mov_b32_e32 v9, v7
	v_pk_add_f32 v[4:5], v[4:5], v[8:9]
	v_pk_add_f32 v[2:3], v[2:3], v[4:5] neg_lo:[0,1] neg_hi:[0,1]
	buffer_store_dword v3, off, s[0:3], 0 offset:220
	buffer_store_dword v2, off, s[0:3], 0 offset:216
	s_and_saveexec_b64 s[4:5], vcc
	s_cbranch_execz .LBB126_339
; %bb.338:
	buffer_load_dword v2, off, s[0:3], 0 offset:208
	buffer_load_dword v3, off, s[0:3], 0 offset:212
	s_waitcnt vmcnt(0)
	ds_write_b64 v217, v[2:3]
	buffer_store_dword v1, off, s[0:3], 0 offset:208
	buffer_store_dword v1, off, s[0:3], 0 offset:212
.LBB126_339:
	s_or_b64 exec, exec, s[4:5]
	s_waitcnt lgkmcnt(0)
	; wave barrier
	s_waitcnt lgkmcnt(0)
	buffer_load_dword v60, off, s[0:3], 0 offset:220
	buffer_load_dword v62, off, s[0:3], 0 offset:228
	;; [unrolled: 1-line block ×40, first 2 shown]
	ds_read2_b64 v[4:7], v1 offset0:91 offset1:92
	ds_read2_b64 v[8:11], v1 offset0:93 offset1:94
	ds_read2_b64 v[12:15], v1 offset0:95 offset1:96
	ds_read2_b64 v[16:19], v1 offset0:97 offset1:98
	buffer_load_dword v117, off, s[0:3], 0 offset:368
	buffer_load_dword v118, off, s[0:3], 0 offset:372
	ds_read2_b64 v[20:23], v1 offset0:99 offset1:100
	ds_read2_b64 v[24:27], v1 offset0:101 offset1:102
	buffer_load_dword v119, off, s[0:3], 0 offset:376
	buffer_load_dword v120, off, s[0:3], 0 offset:380
	;; [unrolled: 1-line block ×16, first 2 shown]
	v_cmp_lt_u32_e32 vcc, 25, v0
	s_waitcnt vmcnt(57) lgkmcnt(5)
	v_mul_f32_e32 v28, v4, v60
	s_waitcnt vmcnt(56)
	v_mul_f32_e32 v29, v6, v62
	s_waitcnt vmcnt(55) lgkmcnt(4)
	v_mul_f32_e32 v31, v10, v70
	s_waitcnt vmcnt(54) lgkmcnt(3)
	v_mul_f32_e32 v32, v12, v82
	s_waitcnt vmcnt(53)
	v_mul_f32_e32 v33, v14, v83
	s_waitcnt vmcnt(52)
	v_mul_f32_e32 v30, v8, v84
	s_waitcnt vmcnt(51) lgkmcnt(2)
	v_mul_f32_e32 v34, v16, v85
	s_waitcnt vmcnt(50)
	v_mul_f32_e32 v35, v18, v86
	s_waitcnt vmcnt(49)
	v_fmac_f32_e32 v30, v9, v87
	s_waitcnt vmcnt(48)
	v_fmac_f32_e32 v29, v7, v88
	;; [unrolled: 2-line block ×3, first 2 shown]
	v_add_f32_e32 v28, 0, v28
	v_add_f32_e32 v28, v28, v29
	;; [unrolled: 1-line block ×3, first 2 shown]
	s_waitcnt vmcnt(43)
	v_fmac_f32_e32 v31, v11, v93
	v_fmac_f32_e32 v32, v13, v92
	v_add_f32_e32 v28, v28, v31
	v_fmac_f32_e32 v33, v15, v91
	v_add_f32_e32 v28, v28, v32
	;; [unrolled: 2-line block ×3, first 2 shown]
	s_waitcnt vmcnt(39)
	v_fmac_f32_e32 v35, v19, v97
	v_add_f32_e32 v28, v28, v34
	s_waitcnt vmcnt(38) lgkmcnt(1)
	v_mul_f32_e32 v29, v20, v98
	v_add_f32_e32 v28, v28, v35
	v_fmac_f32_e32 v29, v21, v96
	v_add_f32_e32 v28, v28, v29
	s_waitcnt vmcnt(37)
	v_mul_f32_e32 v29, v22, v99
	v_fmac_f32_e32 v29, v23, v95
	v_add_f32_e32 v28, v28, v29
	s_waitcnt vmcnt(36) lgkmcnt(0)
	v_mul_f32_e32 v29, v24, v100
	v_fmac_f32_e32 v29, v25, v94
	v_add_f32_e32 v32, v28, v29
	ds_read2_b64 v[28:31], v1 offset0:103 offset1:104
	s_waitcnt vmcnt(32)
	v_mul_f32_e32 v33, v26, v104
	s_waitcnt vmcnt(31)
	v_fmac_f32_e32 v33, v27, v105
	v_add_f32_e32 v36, v32, v33
	ds_read2_b64 v[32:35], v1 offset0:105 offset1:106
	s_waitcnt vmcnt(30) lgkmcnt(1)
	v_mul_f32_e32 v37, v28, v106
	v_fmac_f32_e32 v37, v29, v103
	v_add_f32_e32 v36, v36, v37
	s_waitcnt vmcnt(29)
	v_mul_f32_e32 v37, v30, v107
	v_fmac_f32_e32 v37, v31, v102
	v_add_f32_e32 v36, v36, v37
	s_waitcnt vmcnt(28) lgkmcnt(0)
	v_mul_f32_e32 v37, v32, v108
	v_fmac_f32_e32 v37, v33, v101
	v_add_f32_e32 v40, v36, v37
	ds_read2_b64 v[36:39], v1 offset0:107 offset1:108
	s_waitcnt vmcnt(21)
	v_mul_f32_e32 v41, v34, v115
	s_waitcnt vmcnt(20)
	v_fmac_f32_e32 v41, v35, v116
	v_add_f32_e32 v44, v40, v41
	ds_read2_b64 v[40:43], v1 offset0:109 offset1:110
	s_waitcnt lgkmcnt(1)
	v_mul_f32_e32 v45, v36, v110
	v_fmac_f32_e32 v45, v37, v109
	v_add_f32_e32 v44, v44, v45
	v_mul_f32_e32 v45, v38, v112
	v_fmac_f32_e32 v45, v39, v111
	v_add_f32_e32 v44, v44, v45
	s_waitcnt lgkmcnt(0)
	v_mul_f32_e32 v45, v40, v114
	v_fmac_f32_e32 v45, v41, v113
	v_add_f32_e32 v48, v44, v45
	ds_read2_b64 v[44:47], v1 offset0:111 offset1:112
	s_waitcnt vmcnt(16)
	v_mul_f32_e32 v49, v42, v118
	v_fmac_f32_e32 v49, v43, v117
	v_add_f32_e32 v52, v48, v49
	ds_read2_b64 v[48:51], v1 offset0:113 offset1:114
	s_waitcnt vmcnt(14) lgkmcnt(1)
	v_mul_f32_e32 v53, v44, v120
	v_fmac_f32_e32 v53, v45, v119
	v_add_f32_e32 v52, v52, v53
	s_waitcnt vmcnt(12)
	v_mul_f32_e32 v53, v46, v122
	v_fmac_f32_e32 v53, v47, v121
	v_add_f32_e32 v52, v52, v53
	s_waitcnt vmcnt(10) lgkmcnt(0)
	v_mul_f32_e32 v53, v48, v124
	v_fmac_f32_e32 v53, v49, v123
	s_waitcnt vmcnt(8)
	v_mul_f32_e32 v57, v50, v126
	v_add_f32_e32 v56, v52, v53
	v_fmac_f32_e32 v57, v51, v125
	ds_read2_b64 v[52:55], v1 offset0:115 offset1:116
	v_add_f32_e32 v61, v56, v57
	ds_read2_b64 v[56:59], v1 offset0:117 offset1:118
	buffer_load_dword v65, off, s[0:3], 0 offset:460
	buffer_load_dword v64, off, s[0:3], 0 offset:456
	;; [unrolled: 1-line block ×16, first 2 shown]
	v_mul_f32_e32 v5, v5, v60
	v_fma_f32 v4, v4, v89, -v5
	v_mul_f32_e32 v5, v7, v62
	v_add_f32_e32 v4, 0, v4
	v_fma_f32 v5, v6, v88, -v5
	v_add_f32_e32 v4, v4, v5
	v_mul_f32_e32 v5, v9, v84
	v_fma_f32 v5, v8, v87, -v5
	v_add_f32_e32 v4, v4, v5
	v_mul_f32_e32 v5, v11, v70
	;; [unrolled: 3-line block ×22, first 2 shown]
	v_fma_f32 v5, v50, v125, -v5
	v_add_f32_e32 v4, v4, v5
	s_waitcnt vmcnt(22) lgkmcnt(1)
	v_mul_f32_e32 v5, v53, v128
	v_fma_f32 v5, v52, v127, -v5
	v_add_f32_e32 v4, v4, v5
	s_waitcnt vmcnt(20)
	v_mul_f32_e32 v5, v55, v130
	v_mul_f32_e32 v63, v52, v128
	v_fma_f32 v5, v54, v129, -v5
	v_fmac_f32_e32 v63, v53, v127
	v_add_f32_e32 v60, v4, v5
	s_waitcnt vmcnt(18) lgkmcnt(0)
	v_mul_f32_e32 v4, v57, v132
	v_add_f32_e32 v61, v61, v63
	v_mul_f32_e32 v63, v54, v130
	v_fma_f32 v62, v56, v131, -v4
	s_waitcnt vmcnt(16)
	v_mul_f32_e32 v4, v59, v134
	v_fmac_f32_e32 v63, v55, v129
	v_fma_f32 v70, v58, v133, -v4
	ds_read2_b64 v[4:7], v1 offset0:119 offset1:120
	ds_read2_b64 v[8:11], v1 offset0:121 offset1:122
	;; [unrolled: 1-line block ×4, first 2 shown]
	v_add_f32_e32 v61, v61, v63
	v_mul_f32_e32 v63, v56, v132
	s_waitcnt vmcnt(11)
	v_mov_b32_e32 v22, v69
	v_fmac_f32_e32 v63, v57, v131
	v_mul_f32_e32 v71, v58, v134
	s_waitcnt lgkmcnt(3)
	v_pk_mul_f32 v[22:23], v[4:5], v[22:23] op_sel_hi:[1,0]
	v_fmac_f32_e32 v71, v59, v133
	v_pk_add_f32 v[20:21], v[60:61], v[62:63]
	s_waitcnt vmcnt(10)
	v_pk_fma_f32 v[24:25], v[4:5], v[68:69], v[22:23] op_sel:[0,0,1] op_sel_hi:[1,1,0] neg_lo:[0,0,1] neg_hi:[0,0,1]
	v_pk_fma_f32 v[4:5], v[4:5], v[68:69], v[22:23] op_sel:[0,0,1] op_sel_hi:[1,0,0]
	v_pk_add_f32 v[20:21], v[20:21], v[70:71]
	v_mov_b32_e32 v25, v5
	v_pk_add_f32 v[4:5], v[20:21], v[24:25]
	v_mov_b32_e32 v20, v67
	v_pk_mul_f32 v[20:21], v[6:7], v[20:21] op_sel_hi:[1,0]
	v_pk_fma_f32 v[22:23], v[6:7], v[66:67], v[20:21] op_sel:[0,0,1] op_sel_hi:[1,1,0] neg_lo:[0,0,1] neg_hi:[0,0,1]
	v_pk_fma_f32 v[6:7], v[6:7], v[66:67], v[20:21] op_sel:[0,0,1] op_sel_hi:[1,0,0]
	v_mov_b32_e32 v6, v65
	v_mov_b32_e32 v23, v7
	s_waitcnt lgkmcnt(2)
	v_pk_mul_f32 v[6:7], v[8:9], v[6:7] op_sel_hi:[1,0]
	v_pk_fma_f32 v[20:21], v[8:9], v[64:65], v[6:7] op_sel:[0,0,1] op_sel_hi:[1,1,0] neg_lo:[0,0,1] neg_hi:[0,0,1]
	v_pk_fma_f32 v[6:7], v[8:9], v[64:65], v[6:7] op_sel:[0,0,1] op_sel_hi:[1,0,0]
	s_waitcnt vmcnt(3)
	v_mov_b32_e32 v6, v79
	v_mov_b32_e32 v21, v7
	v_pk_mul_f32 v[6:7], v[10:11], v[6:7] op_sel_hi:[1,0]
	s_waitcnt vmcnt(2)
	v_pk_fma_f32 v[8:9], v[10:11], v[78:79], v[6:7] op_sel:[0,0,1] op_sel_hi:[1,1,0] neg_lo:[0,0,1] neg_hi:[0,0,1]
	v_pk_fma_f32 v[6:7], v[10:11], v[78:79], v[6:7] op_sel:[0,0,1] op_sel_hi:[1,0,0]
	v_pk_add_f32 v[4:5], v[4:5], v[22:23]
	v_mov_b32_e32 v6, v77
	v_pk_add_f32 v[4:5], v[4:5], v[20:21]
	v_mov_b32_e32 v9, v7
	s_waitcnt lgkmcnt(1)
	v_pk_mul_f32 v[6:7], v[12:13], v[6:7] op_sel_hi:[1,0]
	v_pk_add_f32 v[4:5], v[4:5], v[8:9]
	v_pk_fma_f32 v[8:9], v[12:13], v[76:77], v[6:7] op_sel:[0,0,1] op_sel_hi:[1,1,0] neg_lo:[0,0,1] neg_hi:[0,0,1]
	v_pk_fma_f32 v[6:7], v[12:13], v[76:77], v[6:7] op_sel:[0,0,1] op_sel_hi:[1,0,0]
	v_mov_b32_e32 v6, v75
	v_mov_b32_e32 v9, v7
	v_pk_mul_f32 v[6:7], v[14:15], v[6:7] op_sel_hi:[1,0]
	v_pk_add_f32 v[4:5], v[4:5], v[8:9]
	v_pk_fma_f32 v[8:9], v[14:15], v[74:75], v[6:7] op_sel:[0,0,1] op_sel_hi:[1,1,0] neg_lo:[0,0,1] neg_hi:[0,0,1]
	v_pk_fma_f32 v[6:7], v[14:15], v[74:75], v[6:7] op_sel:[0,0,1] op_sel_hi:[1,0,0]
	v_mov_b32_e32 v6, v73
	v_mov_b32_e32 v9, v7
	s_waitcnt lgkmcnt(0)
	v_pk_mul_f32 v[6:7], v[16:17], v[6:7] op_sel_hi:[1,0]
	v_pk_add_f32 v[4:5], v[4:5], v[8:9]
	v_pk_fma_f32 v[8:9], v[16:17], v[72:73], v[6:7] op_sel:[0,0,1] op_sel_hi:[1,1,0] neg_lo:[0,0,1] neg_hi:[0,0,1]
	v_pk_fma_f32 v[6:7], v[16:17], v[72:73], v[6:7] op_sel:[0,0,1] op_sel_hi:[1,0,0]
	s_waitcnt vmcnt(1)
	v_mov_b32_e32 v6, v81
	v_mov_b32_e32 v9, v7
	v_pk_mul_f32 v[6:7], v[18:19], v[6:7] op_sel_hi:[1,0]
	v_pk_add_f32 v[4:5], v[4:5], v[8:9]
	s_waitcnt vmcnt(0)
	v_pk_fma_f32 v[8:9], v[18:19], v[80:81], v[6:7] op_sel:[0,0,1] op_sel_hi:[1,1,0] neg_lo:[0,0,1] neg_hi:[0,0,1]
	v_pk_fma_f32 v[6:7], v[18:19], v[80:81], v[6:7] op_sel:[0,0,1] op_sel_hi:[1,0,0]
	v_mov_b32_e32 v9, v7
	v_pk_add_f32 v[4:5], v[4:5], v[8:9]
	v_pk_add_f32 v[2:3], v[2:3], v[4:5] neg_lo:[0,1] neg_hi:[0,1]
	buffer_store_dword v3, off, s[0:3], 0 offset:212
	buffer_store_dword v2, off, s[0:3], 0 offset:208
	s_and_saveexec_b64 s[4:5], vcc
	s_cbranch_execz .LBB126_341
; %bb.340:
	buffer_load_dword v2, off, s[0:3], 0 offset:200
	buffer_load_dword v3, off, s[0:3], 0 offset:204
	v_mov_b32_e32 v1, 0
	buffer_store_dword v1, off, s[0:3], 0 offset:200
	buffer_store_dword v1, off, s[0:3], 0 offset:204
	s_waitcnt vmcnt(2)
	ds_write_b64 v217, v[2:3]
.LBB126_341:
	s_or_b64 exec, exec, s[4:5]
	v_mov_b32_e32 v86, 0
	s_waitcnt lgkmcnt(0)
	; wave barrier
	s_waitcnt lgkmcnt(0)
	ds_read_b128 v[14:17], v86 offset:720
	ds_read_b128 v[10:13], v86 offset:736
	;; [unrolled: 1-line block ×4, first 2 shown]
	buffer_load_dword v62, off, s[0:3], 0 offset:200
	buffer_load_dword v63, off, s[0:3], 0 offset:204
	;; [unrolled: 1-line block ×18, first 2 shown]
	ds_read_b128 v[22:25], v86 offset:784
	buffer_load_dword v99, off, s[0:3], 0 offset:272
	buffer_load_dword v100, off, s[0:3], 0 offset:276
	buffer_load_dword v101, off, s[0:3], 0 offset:280
	buffer_load_dword v102, off, s[0:3], 0 offset:284
	ds_read_b128 v[26:29], v86 offset:800
	buffer_load_dword v103, off, s[0:3], 0 offset:288
	buffer_load_dword v104, off, s[0:3], 0 offset:292
	buffer_load_dword v105, off, s[0:3], 0 offset:296
	buffer_load_dword v106, off, s[0:3], 0 offset:300
	;; [unrolled: 5-line block ×10, first 2 shown]
	v_cmp_lt_u32_e32 vcc, 24, v0
	s_waitcnt vmcnt(54) lgkmcnt(13)
	v_mul_f32_e32 v18, v14, v70
	v_fmac_f32_e32 v18, v15, v1
	s_waitcnt vmcnt(52)
	v_mul_f32_e32 v19, v16, v88
	v_add_f32_e32 v18, 0, v18
	v_fmac_f32_e32 v19, v17, v64
	v_add_f32_e32 v18, v18, v19
	s_waitcnt vmcnt(50) lgkmcnt(12)
	v_mul_f32_e32 v19, v10, v90
	v_fmac_f32_e32 v19, v11, v66
	v_add_f32_e32 v18, v18, v19
	s_waitcnt vmcnt(48)
	v_mul_f32_e32 v19, v12, v92
	v_fmac_f32_e32 v19, v13, v87
	v_add_f32_e32 v18, v18, v19
	s_waitcnt vmcnt(46) lgkmcnt(11)
	v_mul_f32_e32 v19, v6, v94
	v_fmac_f32_e32 v19, v7, v89
	v_add_f32_e32 v18, v18, v19
	s_waitcnt vmcnt(44)
	v_mul_f32_e32 v19, v8, v95
	;; [unrolled: 8-line block ×12, first 2 shown]
	v_fmac_f32_e32 v19, v57, v133
	v_add_f32_e32 v18, v18, v19
	s_waitcnt vmcnt(2) lgkmcnt(0)
	v_mul_f32_e32 v19, v58, v136
	v_fmac_f32_e32 v19, v59, v135
	v_add_f32_e32 v65, v18, v19
	ds_read_b128 v[18:21], v86 offset:944
	buffer_load_dword v139, off, s[0:3], 0 offset:432
	buffer_load_dword v140, off, s[0:3], 0 offset:436
	;; [unrolled: 1-line block ×18, first 2 shown]
	v_mul_f32_e32 v15, v15, v70
	v_fma_f32 v1, v14, v1, -v15
	v_mul_f32_e32 v14, v17, v88
	v_add_f32_e32 v1, 0, v1
	v_fma_f32 v14, v16, v64, -v14
	v_mul_f32_e32 v11, v11, v90
	v_add_f32_e32 v1, v1, v14
	v_fma_f32 v10, v10, v66, -v11
	v_add_f32_e32 v1, v1, v10
	v_mul_f32_e32 v10, v13, v92
	v_fma_f32 v10, v12, v87, -v10
	v_mul_f32_e32 v7, v7, v94
	v_add_f32_e32 v1, v1, v10
	v_fma_f32 v6, v6, v89, -v7
	v_add_f32_e32 v1, v1, v6
	v_mul_f32_e32 v6, v9, v95
	;; [unrolled: 6-line block ×3, first 2 shown]
	v_fma_f32 v2, v4, v97, -v2
	v_add_f32_e32 v1, v1, v2
	v_mul_f32_e32 v2, v23, v100
	v_fma_f32 v2, v22, v99, -v2
	v_add_f32_e32 v1, v1, v2
	v_mul_f32_e32 v2, v25, v102
	;; [unrolled: 3-line block ×19, first 2 shown]
	v_fma_f32 v2, v58, v135, -v2
	v_add_f32_e32 v64, v1, v2
	s_waitcnt vmcnt(18)
	v_mul_f32_e32 v1, v61, v138
	v_fma_f32 v66, v60, v137, -v1
	s_waitcnt vmcnt(16) lgkmcnt(0)
	v_mul_f32_e32 v1, v19, v140
	v_mul_f32_e32 v71, v18, v140
	v_fma_f32 v70, v18, v139, -v1
	s_waitcnt vmcnt(15)
	v_mov_b32_e32 v18, v69
	v_fmac_f32_e32 v71, v19, v139
	v_pk_mul_f32 v[18:19], v[20:21], v[18:19] op_sel_hi:[1,0]
	v_mul_f32_e32 v67, v60, v138
	ds_read_b128 v[2:5], v86 offset:960
	ds_read_b128 v[6:9], v86 offset:976
	;; [unrolled: 1-line block ×3, first 2 shown]
	ds_read_b64 v[14:15], v86 offset:1008
	s_waitcnt vmcnt(14)
	v_pk_fma_f32 v[22:23], v[20:21], v[68:69], v[18:19] op_sel:[0,0,1] op_sel_hi:[1,1,0] neg_lo:[0,0,1] neg_hi:[0,0,1]
	v_pk_fma_f32 v[18:19], v[20:21], v[68:69], v[18:19] op_sel:[0,0,1] op_sel_hi:[1,0,0]
	v_fmac_f32_e32 v67, v61, v137
	s_waitcnt vmcnt(13)
	v_mov_b32_e32 v18, v85
	v_pk_add_f32 v[16:17], v[64:65], v[66:67]
	v_mov_b32_e32 v23, v19
	s_waitcnt lgkmcnt(3)
	v_pk_mul_f32 v[18:19], v[2:3], v[18:19] op_sel_hi:[1,0]
	v_pk_add_f32 v[16:17], v[16:17], v[70:71]
	s_waitcnt vmcnt(12)
	v_pk_fma_f32 v[20:21], v[2:3], v[84:85], v[18:19] op_sel:[0,0,1] op_sel_hi:[1,1,0] neg_lo:[0,0,1] neg_hi:[0,0,1]
	v_pk_fma_f32 v[2:3], v[2:3], v[84:85], v[18:19] op_sel:[0,0,1] op_sel_hi:[1,0,0]
	v_pk_add_f32 v[16:17], v[16:17], v[22:23]
	v_mov_b32_e32 v21, v3
	v_pk_add_f32 v[2:3], v[16:17], v[20:21]
	s_waitcnt vmcnt(11)
	v_mov_b32_e32 v16, v83
	v_pk_mul_f32 v[16:17], v[4:5], v[16:17] op_sel_hi:[1,0]
	s_waitcnt vmcnt(10)
	v_pk_fma_f32 v[18:19], v[4:5], v[82:83], v[16:17] op_sel:[0,0,1] op_sel_hi:[1,1,0] neg_lo:[0,0,1] neg_hi:[0,0,1]
	v_pk_fma_f32 v[4:5], v[4:5], v[82:83], v[16:17] op_sel:[0,0,1] op_sel_hi:[1,0,0]
	s_waitcnt vmcnt(9)
	v_mov_b32_e32 v4, v81
	v_mov_b32_e32 v19, v5
	s_waitcnt lgkmcnt(2)
	v_pk_mul_f32 v[4:5], v[6:7], v[4:5] op_sel_hi:[1,0]
	s_waitcnt vmcnt(8)
	v_pk_fma_f32 v[16:17], v[6:7], v[80:81], v[4:5] op_sel:[0,0,1] op_sel_hi:[1,1,0] neg_lo:[0,0,1] neg_hi:[0,0,1]
	v_pk_fma_f32 v[4:5], v[6:7], v[80:81], v[4:5] op_sel:[0,0,1] op_sel_hi:[1,0,0]
	s_waitcnt vmcnt(7)
	v_mov_b32_e32 v4, v79
	v_mov_b32_e32 v17, v5
	v_pk_mul_f32 v[4:5], v[8:9], v[4:5] op_sel_hi:[1,0]
	s_waitcnt vmcnt(6)
	v_pk_fma_f32 v[6:7], v[8:9], v[78:79], v[4:5] op_sel:[0,0,1] op_sel_hi:[1,1,0] neg_lo:[0,0,1] neg_hi:[0,0,1]
	v_pk_fma_f32 v[4:5], v[8:9], v[78:79], v[4:5] op_sel:[0,0,1] op_sel_hi:[1,0,0]
	v_pk_add_f32 v[2:3], v[2:3], v[18:19]
	s_waitcnt vmcnt(5)
	v_mov_b32_e32 v4, v77
	v_pk_add_f32 v[2:3], v[2:3], v[16:17]
	v_mov_b32_e32 v7, v5
	s_waitcnt lgkmcnt(1)
	v_pk_mul_f32 v[4:5], v[10:11], v[4:5] op_sel_hi:[1,0]
	v_pk_add_f32 v[2:3], v[2:3], v[6:7]
	s_waitcnt vmcnt(4)
	v_pk_fma_f32 v[6:7], v[10:11], v[76:77], v[4:5] op_sel:[0,0,1] op_sel_hi:[1,1,0] neg_lo:[0,0,1] neg_hi:[0,0,1]
	v_pk_fma_f32 v[4:5], v[10:11], v[76:77], v[4:5] op_sel:[0,0,1] op_sel_hi:[1,0,0]
	s_waitcnt vmcnt(3)
	v_mov_b32_e32 v4, v75
	v_mov_b32_e32 v7, v5
	v_pk_mul_f32 v[4:5], v[12:13], v[4:5] op_sel_hi:[1,0]
	v_pk_add_f32 v[2:3], v[2:3], v[6:7]
	s_waitcnt vmcnt(2)
	v_pk_fma_f32 v[6:7], v[12:13], v[74:75], v[4:5] op_sel:[0,0,1] op_sel_hi:[1,1,0] neg_lo:[0,0,1] neg_hi:[0,0,1]
	v_pk_fma_f32 v[4:5], v[12:13], v[74:75], v[4:5] op_sel:[0,0,1] op_sel_hi:[1,0,0]
	s_waitcnt vmcnt(1)
	v_mov_b32_e32 v4, v73
	v_mov_b32_e32 v7, v5
	s_waitcnt lgkmcnt(0)
	v_pk_mul_f32 v[4:5], v[14:15], v[4:5] op_sel_hi:[1,0]
	v_pk_add_f32 v[2:3], v[2:3], v[6:7]
	s_waitcnt vmcnt(0)
	v_pk_fma_f32 v[6:7], v[14:15], v[72:73], v[4:5] op_sel:[0,0,1] op_sel_hi:[1,1,0] neg_lo:[0,0,1] neg_hi:[0,0,1]
	v_pk_fma_f32 v[4:5], v[14:15], v[72:73], v[4:5] op_sel:[0,0,1] op_sel_hi:[1,0,0]
	v_mov_b32_e32 v7, v5
	v_pk_add_f32 v[2:3], v[2:3], v[6:7]
	v_pk_add_f32 v[2:3], v[62:63], v[2:3] neg_lo:[0,1] neg_hi:[0,1]
	buffer_store_dword v3, off, s[0:3], 0 offset:204
	buffer_store_dword v2, off, s[0:3], 0 offset:200
	s_and_saveexec_b64 s[4:5], vcc
	s_cbranch_execz .LBB126_343
; %bb.342:
	buffer_load_dword v2, off, s[0:3], 0 offset:192
	buffer_load_dword v3, off, s[0:3], 0 offset:196
	s_waitcnt vmcnt(0)
	ds_write_b64 v217, v[2:3]
	buffer_store_dword v86, off, s[0:3], 0 offset:192
	buffer_store_dword v86, off, s[0:3], 0 offset:196
.LBB126_343:
	s_or_b64 exec, exec, s[4:5]
	s_waitcnt lgkmcnt(0)
	; wave barrier
	s_waitcnt lgkmcnt(0)
	buffer_load_dword v1, off, s[0:3], 0 offset:204
	buffer_load_dword v70, off, s[0:3], 0 offset:212
	;; [unrolled: 1-line block ×32, first 2 shown]
	ds_read2_b64 v[16:19], v86 offset0:89 offset1:90
	ds_read2_b64 v[6:9], v86 offset0:91 offset1:92
	buffer_load_dword v117, off, s[0:3], 0 offset:320
	buffer_load_dword v118, off, s[0:3], 0 offset:324
	ds_read2_b64 v[10:13], v86 offset0:93 offset1:94
	ds_read2_b64 v[2:5], v86 offset0:95 offset1:96
	buffer_load_dword v119, off, s[0:3], 0 offset:328
	buffer_load_dword v120, off, s[0:3], 0 offset:332
	;; [unrolled: 1-line block ×28, first 2 shown]
	v_cmp_lt_u32_e32 vcc, 23, v0
	s_waitcnt vmcnt(61) lgkmcnt(3)
	v_mul_f32_e32 v20, v16, v1
	s_waitcnt vmcnt(60)
	v_mul_f32_e32 v21, v18, v70
	s_waitcnt vmcnt(59) lgkmcnt(2)
	v_mul_f32_e32 v23, v8, v72
	s_waitcnt vmcnt(58) lgkmcnt(1)
	v_mul_f32_e32 v24, v10, v74
	s_waitcnt vmcnt(57)
	v_mul_f32_e32 v25, v12, v87
	s_waitcnt vmcnt(56)
	;; [unrolled: 2-line block ×3, first 2 shown]
	v_fmac_f32_e32 v22, v7, v93
	s_waitcnt vmcnt(54)
	v_fmac_f32_e32 v21, v19, v94
	s_waitcnt vmcnt(53)
	v_fmac_f32_e32 v20, v17, v95
	v_add_f32_e32 v20, 0, v20
	v_add_f32_e32 v20, v20, v21
	;; [unrolled: 1-line block ×3, first 2 shown]
	s_waitcnt vmcnt(49)
	v_fmac_f32_e32 v24, v11, v99
	s_waitcnt vmcnt(48)
	v_fmac_f32_e32 v23, v9, v100
	v_add_f32_e32 v20, v20, v23
	s_waitcnt lgkmcnt(0)
	v_mul_f32_e32 v26, v2, v96
	v_fmac_f32_e32 v25, v13, v98
	v_add_f32_e32 v20, v20, v24
	v_fmac_f32_e32 v26, v3, v97
	v_add_f32_e32 v20, v20, v25
	v_add_f32_e32 v24, v20, v26
	ds_read2_b64 v[20:23], v86 offset0:97 offset1:98
	s_waitcnt vmcnt(44)
	v_mul_f32_e32 v25, v4, v104
	s_waitcnt vmcnt(43)
	v_fmac_f32_e32 v25, v5, v105
	v_add_f32_e32 v28, v24, v25
	ds_read2_b64 v[24:27], v86 offset0:99 offset1:100
	s_waitcnt vmcnt(42) lgkmcnt(1)
	v_mul_f32_e32 v29, v20, v106
	v_fmac_f32_e32 v29, v21, v103
	v_add_f32_e32 v28, v28, v29
	s_waitcnt vmcnt(41)
	v_mul_f32_e32 v29, v22, v107
	v_fmac_f32_e32 v29, v23, v102
	v_add_f32_e32 v28, v28, v29
	s_waitcnt vmcnt(40) lgkmcnt(0)
	v_mul_f32_e32 v29, v24, v108
	v_fmac_f32_e32 v29, v25, v101
	v_add_f32_e32 v32, v28, v29
	ds_read2_b64 v[28:31], v86 offset0:101 offset1:102
	s_waitcnt vmcnt(34)
	v_mul_f32_e32 v33, v26, v114
	s_waitcnt vmcnt(33)
	v_fmac_f32_e32 v33, v27, v115
	v_add_f32_e32 v36, v32, v33
	ds_read2_b64 v[32:35], v86 offset0:103 offset1:104
	s_waitcnt vmcnt(32) lgkmcnt(1)
	v_mul_f32_e32 v37, v28, v116
	v_fmac_f32_e32 v37, v29, v113
	v_add_f32_e32 v36, v36, v37
	v_mul_f32_e32 v37, v30, v110
	v_fmac_f32_e32 v37, v31, v109
	v_add_f32_e32 v36, v36, v37
	s_waitcnt lgkmcnt(0)
	v_mul_f32_e32 v37, v32, v112
	v_fmac_f32_e32 v37, v33, v111
	v_add_f32_e32 v40, v36, v37
	ds_read2_b64 v[36:39], v86 offset0:105 offset1:106
	s_waitcnt vmcnt(28)
	v_mul_f32_e32 v41, v34, v118
	v_fmac_f32_e32 v41, v35, v117
	v_add_f32_e32 v44, v40, v41
	ds_read2_b64 v[40:43], v86 offset0:107 offset1:108
	s_waitcnt vmcnt(26) lgkmcnt(1)
	v_mul_f32_e32 v45, v36, v120
	v_fmac_f32_e32 v45, v37, v119
	v_add_f32_e32 v44, v44, v45
	s_waitcnt vmcnt(24)
	v_mul_f32_e32 v45, v38, v122
	v_fmac_f32_e32 v45, v39, v121
	v_add_f32_e32 v44, v44, v45
	s_waitcnt vmcnt(22) lgkmcnt(0)
	v_mul_f32_e32 v45, v40, v124
	v_fmac_f32_e32 v45, v41, v123
	v_add_f32_e32 v48, v44, v45
	ds_read2_b64 v[44:47], v86 offset0:109 offset1:110
	s_waitcnt vmcnt(20)
	v_mul_f32_e32 v49, v42, v126
	v_fmac_f32_e32 v49, v43, v125
	v_add_f32_e32 v52, v48, v49
	ds_read2_b64 v[48:51], v86 offset0:111 offset1:112
	s_waitcnt vmcnt(18) lgkmcnt(1)
	v_mul_f32_e32 v53, v44, v128
	v_fmac_f32_e32 v53, v45, v127
	v_add_f32_e32 v52, v52, v53
	s_waitcnt vmcnt(16)
	v_mul_f32_e32 v53, v46, v130
	v_fmac_f32_e32 v53, v47, v129
	v_add_f32_e32 v52, v52, v53
	s_waitcnt vmcnt(14) lgkmcnt(0)
	v_mul_f32_e32 v53, v48, v132
	v_fmac_f32_e32 v53, v49, v131
	v_add_f32_e32 v56, v52, v53
	ds_read2_b64 v[52:55], v86 offset0:113 offset1:114
	s_waitcnt vmcnt(12)
	v_mul_f32_e32 v57, v50, v134
	v_fmac_f32_e32 v57, v51, v133
	v_add_f32_e32 v60, v56, v57
	ds_read2_b64 v[56:59], v86 offset0:115 offset1:116
	buffer_load_dword v69, off, s[0:3], 0 offset:444
	buffer_load_dword v68, off, s[0:3], 0 offset:440
	s_waitcnt vmcnt(12) lgkmcnt(1)
	v_mul_f32_e32 v61, v52, v136
	v_fmac_f32_e32 v61, v53, v135
	v_add_f32_e32 v60, v60, v61
	s_waitcnt vmcnt(10)
	v_mul_f32_e32 v61, v54, v138
	v_fmac_f32_e32 v61, v55, v137
	v_add_f32_e32 v60, v60, v61
	s_waitcnt vmcnt(8) lgkmcnt(0)
	v_mul_f32_e32 v61, v56, v140
	v_fmac_f32_e32 v61, v57, v139
	s_waitcnt vmcnt(6)
	v_mul_f32_e32 v65, v58, v142
	v_add_f32_e32 v64, v60, v61
	v_fmac_f32_e32 v65, v59, v141
	ds_read2_b64 v[60:63], v86 offset0:117 offset1:118
	v_add_f32_e32 v71, v64, v65
	ds_read2_b64 v[64:67], v86 offset0:119 offset1:120
	buffer_load_dword v77, off, s[0:3], 0 offset:476
	buffer_load_dword v76, off, s[0:3], 0 offset:472
	;; [unrolled: 1-line block ×14, first 2 shown]
	v_mul_f32_e32 v1, v17, v1
	v_fma_f32 v1, v16, v95, -v1
	v_mul_f32_e32 v16, v19, v70
	v_add_f32_e32 v1, 0, v1
	v_fma_f32 v16, v18, v94, -v16
	v_mul_f32_e32 v7, v7, v92
	v_add_f32_e32 v1, v1, v16
	v_fma_f32 v6, v6, v93, -v7
	v_add_f32_e32 v1, v1, v6
	v_mul_f32_e32 v6, v9, v72
	v_fma_f32 v6, v8, v100, -v6
	v_add_f32_e32 v1, v1, v6
	v_mul_f32_e32 v6, v11, v74
	;; [unrolled: 3-line block ×3, first 2 shown]
	v_fma_f32 v6, v12, v98, -v6
	v_mul_f32_e32 v3, v3, v96
	v_add_f32_e32 v1, v1, v6
	v_fma_f32 v2, v2, v97, -v3
	v_add_f32_e32 v1, v1, v2
	v_mul_f32_e32 v2, v5, v104
	v_fma_f32 v2, v4, v105, -v2
	v_add_f32_e32 v1, v1, v2
	v_mul_f32_e32 v2, v21, v106
	;; [unrolled: 3-line block ×21, first 2 shown]
	v_fma_f32 v2, v58, v141, -v2
	s_waitcnt vmcnt(15)
	v_mov_b32_e32 v18, v69
	s_waitcnt lgkmcnt(1)
	v_mul_f32_e32 v73, v60, v144
	v_add_f32_e32 v70, v1, v2
	v_mul_f32_e32 v1, v61, v144
	s_waitcnt lgkmcnt(0)
	v_pk_mul_f32 v[18:19], v[64:65], v[18:19] op_sel_hi:[1,0]
	v_fmac_f32_e32 v73, v61, v143
	v_mul_f32_e32 v75, v62, v146
	v_fma_f32 v72, v60, v143, -v1
	v_mul_f32_e32 v1, v63, v146
	s_waitcnt vmcnt(14)
	v_pk_fma_f32 v[20:21], v[64:65], v[68:69], v[18:19] op_sel:[0,0,1] op_sel_hi:[1,1,0] neg_lo:[0,0,1] neg_hi:[0,0,1]
	v_pk_fma_f32 v[18:19], v[64:65], v[68:69], v[18:19] op_sel:[0,0,1] op_sel_hi:[1,0,0]
	v_fmac_f32_e32 v75, v63, v145
	v_fma_f32 v74, v62, v145, -v1
	v_pk_add_f32 v[16:17], v[70:71], v[72:73]
	s_waitcnt vmcnt(7)
	v_mov_b32_e32 v18, v83
	ds_read2_b64 v[2:5], v86 offset0:121 offset1:122
	ds_read2_b64 v[6:9], v86 offset0:123 offset1:124
	;; [unrolled: 1-line block ×3, first 2 shown]
	v_pk_add_f32 v[16:17], v[16:17], v[74:75]
	v_mov_b32_e32 v21, v19
	v_pk_mul_f32 v[18:19], v[66:67], v[18:19] op_sel_hi:[1,0]
	v_pk_add_f32 v[16:17], v[16:17], v[20:21]
	s_waitcnt vmcnt(6)
	v_pk_fma_f32 v[20:21], v[66:67], v[82:83], v[18:19] op_sel:[0,0,1] op_sel_hi:[1,1,0] neg_lo:[0,0,1] neg_hi:[0,0,1]
	v_pk_fma_f32 v[18:19], v[66:67], v[82:83], v[18:19] op_sel:[0,0,1] op_sel_hi:[1,0,0]
	v_mov_b32_e32 v18, v81
	v_mov_b32_e32 v21, v19
	s_waitcnt lgkmcnt(2)
	v_pk_mul_f32 v[18:19], v[2:3], v[18:19] op_sel_hi:[1,0]
	v_pk_add_f32 v[16:17], v[16:17], v[20:21]
	v_pk_fma_f32 v[20:21], v[2:3], v[80:81], v[18:19] op_sel:[0,0,1] op_sel_hi:[1,1,0] neg_lo:[0,0,1] neg_hi:[0,0,1]
	v_pk_fma_f32 v[2:3], v[2:3], v[80:81], v[18:19] op_sel:[0,0,1] op_sel_hi:[1,0,0]
	v_mov_b32_e32 v21, v3
	v_pk_add_f32 v[2:3], v[16:17], v[20:21]
	v_mov_b32_e32 v16, v79
	v_pk_mul_f32 v[16:17], v[4:5], v[16:17] op_sel_hi:[1,0]
	v_pk_fma_f32 v[18:19], v[4:5], v[78:79], v[16:17] op_sel:[0,0,1] op_sel_hi:[1,1,0] neg_lo:[0,0,1] neg_hi:[0,0,1]
	v_pk_fma_f32 v[4:5], v[4:5], v[78:79], v[16:17] op_sel:[0,0,1] op_sel_hi:[1,0,0]
	v_mov_b32_e32 v4, v77
	v_mov_b32_e32 v19, v5
	s_waitcnt lgkmcnt(1)
	v_pk_mul_f32 v[4:5], v[6:7], v[4:5] op_sel_hi:[1,0]
	v_pk_fma_f32 v[16:17], v[6:7], v[76:77], v[4:5] op_sel:[0,0,1] op_sel_hi:[1,1,0] neg_lo:[0,0,1] neg_hi:[0,0,1]
	v_pk_fma_f32 v[4:5], v[6:7], v[76:77], v[4:5] op_sel:[0,0,1] op_sel_hi:[1,0,0]
	s_waitcnt vmcnt(1)
	v_mov_b32_e32 v4, v91
	v_mov_b32_e32 v17, v5
	v_pk_mul_f32 v[4:5], v[8:9], v[4:5] op_sel_hi:[1,0]
	s_waitcnt vmcnt(0)
	v_pk_fma_f32 v[6:7], v[8:9], v[90:91], v[4:5] op_sel:[0,0,1] op_sel_hi:[1,1,0] neg_lo:[0,0,1] neg_hi:[0,0,1]
	v_pk_fma_f32 v[4:5], v[8:9], v[90:91], v[4:5] op_sel:[0,0,1] op_sel_hi:[1,0,0]
	v_pk_add_f32 v[2:3], v[2:3], v[18:19]
	v_mov_b32_e32 v4, v89
	v_pk_add_f32 v[2:3], v[2:3], v[16:17]
	v_mov_b32_e32 v7, v5
	s_waitcnt lgkmcnt(0)
	v_pk_mul_f32 v[4:5], v[10:11], v[4:5] op_sel_hi:[1,0]
	v_pk_add_f32 v[2:3], v[2:3], v[6:7]
	v_pk_fma_f32 v[6:7], v[10:11], v[88:89], v[4:5] op_sel:[0,0,1] op_sel_hi:[1,1,0] neg_lo:[0,0,1] neg_hi:[0,0,1]
	v_pk_fma_f32 v[4:5], v[10:11], v[88:89], v[4:5] op_sel:[0,0,1] op_sel_hi:[1,0,0]
	v_mov_b32_e32 v4, v85
	v_mov_b32_e32 v7, v5
	v_pk_mul_f32 v[4:5], v[12:13], v[4:5] op_sel_hi:[1,0]
	v_pk_add_f32 v[2:3], v[2:3], v[6:7]
	v_pk_fma_f32 v[6:7], v[12:13], v[84:85], v[4:5] op_sel:[0,0,1] op_sel_hi:[1,1,0] neg_lo:[0,0,1] neg_hi:[0,0,1]
	v_pk_fma_f32 v[4:5], v[12:13], v[84:85], v[4:5] op_sel:[0,0,1] op_sel_hi:[1,0,0]
	v_mov_b32_e32 v7, v5
	v_pk_add_f32 v[2:3], v[2:3], v[6:7]
	v_pk_add_f32 v[2:3], v[14:15], v[2:3] neg_lo:[0,1] neg_hi:[0,1]
	buffer_store_dword v3, off, s[0:3], 0 offset:196
	buffer_store_dword v2, off, s[0:3], 0 offset:192
	s_and_saveexec_b64 s[4:5], vcc
	s_cbranch_execz .LBB126_345
; %bb.344:
	buffer_load_dword v2, off, s[0:3], 0 offset:184
	buffer_load_dword v3, off, s[0:3], 0 offset:188
	v_mov_b32_e32 v1, 0
	buffer_store_dword v1, off, s[0:3], 0 offset:184
	buffer_store_dword v1, off, s[0:3], 0 offset:188
	s_waitcnt vmcnt(2)
	ds_write_b64 v217, v[2:3]
.LBB126_345:
	s_or_b64 exec, exec, s[4:5]
	s_waitcnt lgkmcnt(0)
	; wave barrier
	s_waitcnt lgkmcnt(0)
	buffer_load_dword v68, off, s[0:3], 0 offset:196
	buffer_load_dword v70, off, s[0:3], 0 offset:204
	;; [unrolled: 1-line block ×48, first 2 shown]
	v_mov_b32_e32 v1, 0
	ds_read_b128 v[2:5], v1 offset:704
	buffer_load_dword v133, off, s[0:3], 0 offset:376
	buffer_load_dword v134, off, s[0:3], 0 offset:380
	;; [unrolled: 1-line block ×8, first 2 shown]
	ds_read_b128 v[8:11], v1 offset:720
	ds_read_b128 v[12:15], v1 offset:736
	;; [unrolled: 1-line block ×3, first 2 shown]
	buffer_load_dword v141, off, s[0:3], 0 offset:408
	buffer_load_dword v142, off, s[0:3], 0 offset:412
	;; [unrolled: 1-line block ×8, first 2 shown]
	v_cmp_lt_u32_e32 vcc, 22, v0
	s_waitcnt vmcnt(62) lgkmcnt(3)
	v_mul_f32_e32 v20, v2, v68
	v_mul_f32_e32 v21, v4, v70
	s_waitcnt vmcnt(61) lgkmcnt(2)
	v_mul_f32_e32 v23, v10, v72
	s_waitcnt vmcnt(60) lgkmcnt(1)
	v_mul_f32_e32 v24, v12, v90
	s_waitcnt vmcnt(59)
	v_mul_f32_e32 v25, v14, v91
	s_waitcnt vmcnt(58)
	;; [unrolled: 2-line block ×3, first 2 shown]
	v_fmac_f32_e32 v22, v9, v93
	s_waitcnt vmcnt(56)
	v_fmac_f32_e32 v21, v5, v94
	s_waitcnt vmcnt(55)
	v_fmac_f32_e32 v20, v3, v95
	v_add_f32_e32 v20, 0, v20
	v_add_f32_e32 v20, v20, v21
	;; [unrolled: 1-line block ×3, first 2 shown]
	s_waitcnt vmcnt(51)
	v_fmac_f32_e32 v24, v13, v99
	s_waitcnt vmcnt(50)
	v_fmac_f32_e32 v23, v11, v100
	v_add_f32_e32 v20, v20, v23
	s_waitcnt lgkmcnt(0)
	v_mul_f32_e32 v26, v16, v96
	v_fmac_f32_e32 v25, v15, v98
	v_add_f32_e32 v20, v20, v24
	v_fmac_f32_e32 v26, v17, v97
	v_add_f32_e32 v20, v20, v25
	v_add_f32_e32 v24, v20, v26
	ds_read_b128 v[20:23], v1 offset:768
	s_waitcnt vmcnt(45)
	v_mul_f32_e32 v25, v18, v105
	s_waitcnt vmcnt(44)
	v_fmac_f32_e32 v25, v19, v106
	v_add_f32_e32 v28, v24, v25
	ds_read_b128 v[24:27], v1 offset:784
	s_waitcnt vmcnt(43) lgkmcnt(1)
	v_mul_f32_e32 v29, v20, v107
	v_fmac_f32_e32 v29, v21, v104
	v_add_f32_e32 v28, v28, v29
	s_waitcnt vmcnt(42)
	v_mul_f32_e32 v29, v22, v108
	v_fmac_f32_e32 v29, v23, v103
	v_add_f32_e32 v28, v28, v29
	s_waitcnt lgkmcnt(0)
	v_mul_f32_e32 v29, v24, v102
	v_fmac_f32_e32 v29, v25, v101
	v_add_f32_e32 v32, v28, v29
	ds_read_b128 v[28:31], v1 offset:800
	s_waitcnt vmcnt(38)
	v_mul_f32_e32 v33, v26, v110
	v_fmac_f32_e32 v33, v27, v109
	v_add_f32_e32 v36, v32, v33
	ds_read_b128 v[32:35], v1 offset:816
	s_waitcnt vmcnt(36) lgkmcnt(1)
	v_mul_f32_e32 v37, v28, v112
	v_fmac_f32_e32 v37, v29, v111
	v_add_f32_e32 v36, v36, v37
	s_waitcnt vmcnt(34)
	v_mul_f32_e32 v37, v30, v114
	v_fmac_f32_e32 v37, v31, v113
	v_add_f32_e32 v36, v36, v37
	s_waitcnt vmcnt(32) lgkmcnt(0)
	v_mul_f32_e32 v37, v32, v116
	v_fmac_f32_e32 v37, v33, v115
	v_add_f32_e32 v40, v36, v37
	ds_read_b128 v[36:39], v1 offset:832
	s_waitcnt vmcnt(30)
	v_mul_f32_e32 v41, v34, v118
	v_fmac_f32_e32 v41, v35, v117
	v_add_f32_e32 v44, v40, v41
	ds_read_b128 v[40:43], v1 offset:848
	s_waitcnt vmcnt(28) lgkmcnt(1)
	v_mul_f32_e32 v45, v36, v120
	v_fmac_f32_e32 v45, v37, v119
	v_add_f32_e32 v44, v44, v45
	s_waitcnt vmcnt(26)
	v_mul_f32_e32 v45, v38, v122
	v_fmac_f32_e32 v45, v39, v121
	v_add_f32_e32 v44, v44, v45
	s_waitcnt vmcnt(24) lgkmcnt(0)
	;; [unrolled: 18-line block ×4, first 2 shown]
	v_mul_f32_e32 v61, v56, v140
	v_fmac_f32_e32 v61, v57, v139
	s_waitcnt vmcnt(6)
	v_mul_f32_e32 v65, v58, v142
	v_add_f32_e32 v64, v60, v61
	v_fmac_f32_e32 v65, v59, v141
	ds_read_b128 v[60:63], v1 offset:928
	v_add_f32_e32 v69, v64, v65
	ds_read_b128 v[64:67], v1 offset:944
	buffer_load_dword v75, off, s[0:3], 0 offset:468
	buffer_load_dword v74, off, s[0:3], 0 offset:464
	;; [unrolled: 1-line block ×16, first 2 shown]
	v_mul_f32_e32 v3, v3, v68
	v_fma_f32 v2, v2, v95, -v3
	v_mul_f32_e32 v3, v5, v70
	v_add_f32_e32 v2, 0, v2
	v_fma_f32 v3, v4, v94, -v3
	v_add_f32_e32 v2, v2, v3
	v_mul_f32_e32 v3, v9, v92
	v_fma_f32 v3, v8, v93, -v3
	v_add_f32_e32 v2, v2, v3
	v_mul_f32_e32 v3, v11, v72
	;; [unrolled: 3-line block ×26, first 2 shown]
	v_fma_f32 v3, v58, v141, -v3
	v_add_f32_e32 v2, v2, v3
	s_waitcnt vmcnt(20) lgkmcnt(1)
	v_mul_f32_e32 v3, v61, v144
	v_mul_f32_e32 v71, v60, v144
	v_fma_f32 v3, v60, v143, -v3
	v_fmac_f32_e32 v71, v61, v143
	v_add_f32_e32 v68, v2, v3
	s_waitcnt vmcnt(18)
	v_mul_f32_e32 v2, v63, v146
	s_waitcnt vmcnt(9)
	v_mov_b32_e32 v20, v81
	v_add_f32_e32 v69, v69, v71
	v_mul_f32_e32 v71, v62, v146
	v_fma_f32 v70, v62, v145, -v2
	s_waitcnt lgkmcnt(0)
	v_mul_f32_e32 v2, v65, v148
	v_pk_mul_f32 v[20:21], v[66:67], v[20:21] op_sel_hi:[1,0]
	v_fmac_f32_e32 v71, v63, v145
	v_mul_f32_e32 v73, v64, v148
	v_fma_f32 v72, v64, v147, -v2
	ds_read_b128 v[2:5], v1 offset:960
	ds_read_b128 v[8:11], v1 offset:976
	;; [unrolled: 1-line block ×3, first 2 shown]
	ds_read_b64 v[16:17], v1 offset:1008
	s_waitcnt vmcnt(8)
	v_pk_fma_f32 v[22:23], v[66:67], v[80:81], v[20:21] op_sel:[0,0,1] op_sel_hi:[1,1,0] neg_lo:[0,0,1] neg_hi:[0,0,1]
	v_pk_fma_f32 v[20:21], v[66:67], v[80:81], v[20:21] op_sel:[0,0,1] op_sel_hi:[1,0,0]
	v_fmac_f32_e32 v73, v65, v147
	v_pk_add_f32 v[18:19], v[68:69], v[70:71]
	v_mov_b32_e32 v20, v79
	v_pk_add_f32 v[18:19], v[18:19], v[72:73]
	v_mov_b32_e32 v23, v21
	s_waitcnt lgkmcnt(3)
	v_pk_mul_f32 v[20:21], v[2:3], v[20:21] op_sel_hi:[1,0]
	v_pk_add_f32 v[18:19], v[18:19], v[22:23]
	v_pk_fma_f32 v[22:23], v[2:3], v[78:79], v[20:21] op_sel:[0,0,1] op_sel_hi:[1,1,0] neg_lo:[0,0,1] neg_hi:[0,0,1]
	v_pk_fma_f32 v[2:3], v[2:3], v[78:79], v[20:21] op_sel:[0,0,1] op_sel_hi:[1,0,0]
	v_mov_b32_e32 v23, v3
	v_pk_add_f32 v[2:3], v[18:19], v[22:23]
	v_mov_b32_e32 v18, v77
	v_pk_mul_f32 v[18:19], v[4:5], v[18:19] op_sel_hi:[1,0]
	v_pk_fma_f32 v[20:21], v[4:5], v[76:77], v[18:19] op_sel:[0,0,1] op_sel_hi:[1,1,0] neg_lo:[0,0,1] neg_hi:[0,0,1]
	v_pk_fma_f32 v[4:5], v[4:5], v[76:77], v[18:19] op_sel:[0,0,1] op_sel_hi:[1,0,0]
	v_mov_b32_e32 v4, v75
	v_mov_b32_e32 v21, v5
	s_waitcnt lgkmcnt(2)
	v_pk_mul_f32 v[4:5], v[8:9], v[4:5] op_sel_hi:[1,0]
	v_pk_fma_f32 v[18:19], v[8:9], v[74:75], v[4:5] op_sel:[0,0,1] op_sel_hi:[1,1,0] neg_lo:[0,0,1] neg_hi:[0,0,1]
	v_pk_fma_f32 v[4:5], v[8:9], v[74:75], v[4:5] op_sel:[0,0,1] op_sel_hi:[1,0,0]
	s_waitcnt vmcnt(1)
	v_mov_b32_e32 v4, v89
	v_mov_b32_e32 v19, v5
	v_pk_mul_f32 v[4:5], v[10:11], v[4:5] op_sel_hi:[1,0]
	s_waitcnt vmcnt(0)
	v_pk_fma_f32 v[8:9], v[10:11], v[88:89], v[4:5] op_sel:[0,0,1] op_sel_hi:[1,1,0] neg_lo:[0,0,1] neg_hi:[0,0,1]
	v_pk_fma_f32 v[4:5], v[10:11], v[88:89], v[4:5] op_sel:[0,0,1] op_sel_hi:[1,0,0]
	v_pk_add_f32 v[2:3], v[2:3], v[20:21]
	v_mov_b32_e32 v4, v87
	v_pk_add_f32 v[2:3], v[2:3], v[18:19]
	v_mov_b32_e32 v9, v5
	s_waitcnt lgkmcnt(1)
	v_pk_mul_f32 v[4:5], v[12:13], v[4:5] op_sel_hi:[1,0]
	v_pk_add_f32 v[2:3], v[2:3], v[8:9]
	v_pk_fma_f32 v[8:9], v[12:13], v[86:87], v[4:5] op_sel:[0,0,1] op_sel_hi:[1,1,0] neg_lo:[0,0,1] neg_hi:[0,0,1]
	v_pk_fma_f32 v[4:5], v[12:13], v[86:87], v[4:5] op_sel:[0,0,1] op_sel_hi:[1,0,0]
	v_mov_b32_e32 v4, v85
	v_mov_b32_e32 v9, v5
	v_pk_mul_f32 v[4:5], v[14:15], v[4:5] op_sel_hi:[1,0]
	v_pk_add_f32 v[2:3], v[2:3], v[8:9]
	v_pk_fma_f32 v[8:9], v[14:15], v[84:85], v[4:5] op_sel:[0,0,1] op_sel_hi:[1,1,0] neg_lo:[0,0,1] neg_hi:[0,0,1]
	v_pk_fma_f32 v[4:5], v[14:15], v[84:85], v[4:5] op_sel:[0,0,1] op_sel_hi:[1,0,0]
	v_mov_b32_e32 v4, v83
	v_mov_b32_e32 v9, v5
	s_waitcnt lgkmcnt(0)
	v_pk_mul_f32 v[4:5], v[16:17], v[4:5] op_sel_hi:[1,0]
	v_pk_add_f32 v[2:3], v[2:3], v[8:9]
	v_pk_fma_f32 v[8:9], v[16:17], v[82:83], v[4:5] op_sel:[0,0,1] op_sel_hi:[1,1,0] neg_lo:[0,0,1] neg_hi:[0,0,1]
	v_pk_fma_f32 v[4:5], v[16:17], v[82:83], v[4:5] op_sel:[0,0,1] op_sel_hi:[1,0,0]
	v_mov_b32_e32 v9, v5
	v_pk_add_f32 v[2:3], v[2:3], v[8:9]
	v_pk_add_f32 v[2:3], v[6:7], v[2:3] neg_lo:[0,1] neg_hi:[0,1]
	buffer_store_dword v3, off, s[0:3], 0 offset:188
	buffer_store_dword v2, off, s[0:3], 0 offset:184
	s_and_saveexec_b64 s[4:5], vcc
	s_cbranch_execz .LBB126_347
; %bb.346:
	buffer_load_dword v2, off, s[0:3], 0 offset:176
	buffer_load_dword v3, off, s[0:3], 0 offset:180
	s_waitcnt vmcnt(0)
	ds_write_b64 v217, v[2:3]
	buffer_store_dword v1, off, s[0:3], 0 offset:176
	buffer_store_dword v1, off, s[0:3], 0 offset:180
.LBB126_347:
	s_or_b64 exec, exec, s[4:5]
	s_waitcnt lgkmcnt(0)
	; wave barrier
	s_waitcnt lgkmcnt(0)
	buffer_load_dword v68, off, s[0:3], 0 offset:188
	buffer_load_dword v70, off, s[0:3], 0 offset:196
	;; [unrolled: 1-line block ×26, first 2 shown]
	ds_read2_b64 v[14:17], v1 offset0:87 offset1:88
	ds_read2_b64 v[6:9], v1 offset0:89 offset1:90
	buffer_load_dword v111, off, s[0:3], 0 offset:280
	buffer_load_dword v112, off, s[0:3], 0 offset:284
	ds_read2_b64 v[10:13], v1 offset0:91 offset1:92
	ds_read2_b64 v[2:5], v1 offset0:93 offset1:94
	buffer_load_dword v113, off, s[0:3], 0 offset:288
	buffer_load_dword v114, off, s[0:3], 0 offset:292
	;; [unrolled: 1-line block ×32, first 2 shown]
	v_cmp_lt_u32_e32 vcc, 21, v0
	s_waitcnt vmcnt(59) lgkmcnt(3)
	v_mul_f32_e32 v20, v14, v68
	s_waitcnt vmcnt(58)
	v_mul_f32_e32 v21, v16, v70
	s_waitcnt vmcnt(57) lgkmcnt(2)
	v_mul_f32_e32 v23, v8, v78
	s_waitcnt vmcnt(56) lgkmcnt(1)
	v_mul_f32_e32 v24, v10, v90
	s_waitcnt vmcnt(55)
	v_mul_f32_e32 v25, v12, v91
	s_waitcnt vmcnt(54)
	v_mul_f32_e32 v22, v6, v92
	s_waitcnt vmcnt(53) lgkmcnt(0)
	v_mul_f32_e32 v26, v2, v93
	s_waitcnt vmcnt(52)
	v_mul_f32_e32 v27, v4, v94
	s_waitcnt vmcnt(51)
	v_fmac_f32_e32 v22, v7, v95
	s_waitcnt vmcnt(50)
	v_fmac_f32_e32 v21, v17, v96
	;; [unrolled: 2-line block ×3, first 2 shown]
	v_add_f32_e32 v20, 0, v20
	v_add_f32_e32 v20, v20, v21
	;; [unrolled: 1-line block ×3, first 2 shown]
	s_waitcnt vmcnt(45)
	v_fmac_f32_e32 v23, v9, v101
	v_fmac_f32_e32 v24, v11, v100
	v_add_f32_e32 v20, v20, v23
	v_fmac_f32_e32 v25, v13, v99
	v_add_f32_e32 v20, v20, v24
	;; [unrolled: 2-line block ×3, first 2 shown]
	v_add_f32_e32 v24, v20, v26
	ds_read2_b64 v[20:23], v1 offset0:95 offset1:96
	s_waitcnt vmcnt(41)
	v_fmac_f32_e32 v27, v5, v105
	buffer_load_dword v145, off, s[0:3], 0 offset:416
	buffer_load_dword v146, off, s[0:3], 0 offset:420
	v_add_f32_e32 v28, v24, v27
	buffer_load_dword v147, off, s[0:3], 0 offset:424
	buffer_load_dword v148, off, s[0:3], 0 offset:428
	ds_read2_b64 v[24:27], v1 offset0:97 offset1:98
	s_waitcnt vmcnt(44) lgkmcnt(1)
	v_mul_f32_e32 v29, v20, v106
	v_fmac_f32_e32 v29, v21, v104
	v_add_f32_e32 v28, v28, v29
	s_waitcnt vmcnt(43)
	v_mul_f32_e32 v29, v22, v107
	v_fmac_f32_e32 v29, v23, v103
	v_add_f32_e32 v28, v28, v29
	s_waitcnt vmcnt(42) lgkmcnt(0)
	v_mul_f32_e32 v29, v24, v108
	v_fmac_f32_e32 v29, v25, v102
	buffer_load_dword v149, off, s[0:3], 0 offset:432
	buffer_load_dword v150, off, s[0:3], 0 offset:436
	v_add_f32_e32 v32, v28, v29
	ds_read2_b64 v[28:31], v1 offset0:99 offset1:100
	s_waitcnt vmcnt(40)
	v_mul_f32_e32 v33, v26, v110
	v_fmac_f32_e32 v33, v27, v109
	v_add_f32_e32 v36, v32, v33
	ds_read2_b64 v[32:35], v1 offset0:101 offset1:102
	s_waitcnt vmcnt(38) lgkmcnt(1)
	v_mul_f32_e32 v37, v28, v112
	v_fmac_f32_e32 v37, v29, v111
	v_add_f32_e32 v36, v36, v37
	s_waitcnt vmcnt(36)
	v_mul_f32_e32 v37, v30, v114
	v_fmac_f32_e32 v37, v31, v113
	v_add_f32_e32 v36, v36, v37
	s_waitcnt vmcnt(34) lgkmcnt(0)
	v_mul_f32_e32 v37, v32, v116
	v_fmac_f32_e32 v37, v33, v115
	v_add_f32_e32 v40, v36, v37
	ds_read2_b64 v[36:39], v1 offset0:103 offset1:104
	s_waitcnt vmcnt(32)
	v_mul_f32_e32 v41, v34, v118
	v_fmac_f32_e32 v41, v35, v117
	v_add_f32_e32 v44, v40, v41
	ds_read2_b64 v[40:43], v1 offset0:105 offset1:106
	s_waitcnt vmcnt(30) lgkmcnt(1)
	v_mul_f32_e32 v45, v36, v120
	v_fmac_f32_e32 v45, v37, v119
	v_add_f32_e32 v44, v44, v45
	s_waitcnt vmcnt(28)
	v_mul_f32_e32 v45, v38, v122
	v_fmac_f32_e32 v45, v39, v121
	v_add_f32_e32 v44, v44, v45
	s_waitcnt vmcnt(26) lgkmcnt(0)
	v_mul_f32_e32 v45, v40, v124
	v_fmac_f32_e32 v45, v41, v123
	;; [unrolled: 18-line block ×4, first 2 shown]
	s_waitcnt vmcnt(8)
	v_mul_f32_e32 v65, v58, v142
	v_add_f32_e32 v64, v60, v61
	v_fmac_f32_e32 v65, v59, v141
	ds_read2_b64 v[60:63], v1 offset0:115 offset1:116
	v_add_f32_e32 v69, v64, v65
	ds_read2_b64 v[64:67], v1 offset0:117 offset1:118
	buffer_load_dword v73, off, s[0:3], 0 offset:460
	buffer_load_dword v72, off, s[0:3], 0 offset:456
	;; [unrolled: 1-line block ×16, first 2 shown]
	v_mul_f32_e32 v15, v15, v68
	v_fma_f32 v14, v14, v97, -v15
	v_mul_f32_e32 v15, v17, v70
	v_add_f32_e32 v14, 0, v14
	v_fma_f32 v15, v16, v96, -v15
	v_mul_f32_e32 v7, v7, v92
	v_add_f32_e32 v14, v14, v15
	;; [unrolled: 3-line block ×3, first 2 shown]
	v_fma_f32 v7, v8, v101, -v7
	v_add_f32_e32 v6, v6, v7
	v_mul_f32_e32 v7, v11, v90
	v_fma_f32 v7, v10, v100, -v7
	v_add_f32_e32 v6, v6, v7
	v_mul_f32_e32 v7, v13, v91
	v_fma_f32 v7, v12, v99, -v7
	v_mul_f32_e32 v3, v3, v93
	v_add_f32_e32 v6, v6, v7
	v_fma_f32 v2, v2, v98, -v3
	v_mul_f32_e32 v3, v5, v94
	v_add_f32_e32 v2, v6, v2
	v_fma_f32 v3, v4, v105, -v3
	v_add_f32_e32 v2, v2, v3
	v_mul_f32_e32 v3, v21, v106
	v_fma_f32 v3, v20, v104, -v3
	v_add_f32_e32 v2, v2, v3
	v_mul_f32_e32 v3, v23, v107
	;; [unrolled: 3-line block ×20, first 2 shown]
	v_fma_f32 v3, v58, v141, -v3
	v_add_f32_e32 v2, v2, v3
	s_waitcnt vmcnt(22) lgkmcnt(1)
	v_mul_f32_e32 v3, v61, v144
	v_fma_f32 v3, v60, v143, -v3
	v_add_f32_e32 v2, v2, v3
	s_waitcnt vmcnt(20)
	v_mul_f32_e32 v3, v63, v146
	v_mul_f32_e32 v71, v60, v144
	v_fma_f32 v3, v62, v145, -v3
	v_fmac_f32_e32 v71, v61, v143
	v_add_f32_e32 v68, v2, v3
	s_waitcnt vmcnt(18) lgkmcnt(0)
	v_mul_f32_e32 v2, v65, v148
	v_add_f32_e32 v69, v69, v71
	v_mul_f32_e32 v71, v62, v146
	v_fma_f32 v70, v64, v147, -v2
	s_waitcnt vmcnt(16)
	v_mul_f32_e32 v2, v67, v150
	v_fmac_f32_e32 v71, v63, v145
	v_fma_f32 v78, v66, v149, -v2
	ds_read2_b64 v[2:5], v1 offset0:119 offset1:120
	ds_read2_b64 v[6:9], v1 offset0:121 offset1:122
	;; [unrolled: 1-line block ×4, first 2 shown]
	v_add_f32_e32 v69, v69, v71
	v_mul_f32_e32 v71, v64, v148
	s_waitcnt vmcnt(11)
	v_mov_b32_e32 v22, v77
	v_fmac_f32_e32 v71, v65, v147
	v_mul_f32_e32 v79, v66, v150
	s_waitcnt lgkmcnt(3)
	v_pk_mul_f32 v[22:23], v[2:3], v[22:23] op_sel_hi:[1,0]
	v_fmac_f32_e32 v79, v67, v149
	v_pk_add_f32 v[20:21], v[68:69], v[70:71]
	s_waitcnt vmcnt(10)
	v_pk_fma_f32 v[24:25], v[2:3], v[76:77], v[22:23] op_sel:[0,0,1] op_sel_hi:[1,1,0] neg_lo:[0,0,1] neg_hi:[0,0,1]
	v_pk_fma_f32 v[2:3], v[2:3], v[76:77], v[22:23] op_sel:[0,0,1] op_sel_hi:[1,0,0]
	v_pk_add_f32 v[20:21], v[20:21], v[78:79]
	v_mov_b32_e32 v25, v3
	v_pk_add_f32 v[2:3], v[20:21], v[24:25]
	v_mov_b32_e32 v20, v75
	v_pk_mul_f32 v[20:21], v[4:5], v[20:21] op_sel_hi:[1,0]
	v_pk_fma_f32 v[22:23], v[4:5], v[74:75], v[20:21] op_sel:[0,0,1] op_sel_hi:[1,1,0] neg_lo:[0,0,1] neg_hi:[0,0,1]
	v_pk_fma_f32 v[4:5], v[4:5], v[74:75], v[20:21] op_sel:[0,0,1] op_sel_hi:[1,0,0]
	v_mov_b32_e32 v4, v73
	v_mov_b32_e32 v23, v5
	s_waitcnt lgkmcnt(2)
	v_pk_mul_f32 v[4:5], v[6:7], v[4:5] op_sel_hi:[1,0]
	v_pk_fma_f32 v[20:21], v[6:7], v[72:73], v[4:5] op_sel:[0,0,1] op_sel_hi:[1,1,0] neg_lo:[0,0,1] neg_hi:[0,0,1]
	v_pk_fma_f32 v[4:5], v[6:7], v[72:73], v[4:5] op_sel:[0,0,1] op_sel_hi:[1,0,0]
	s_waitcnt vmcnt(3)
	v_mov_b32_e32 v4, v87
	v_mov_b32_e32 v21, v5
	v_pk_mul_f32 v[4:5], v[8:9], v[4:5] op_sel_hi:[1,0]
	s_waitcnt vmcnt(2)
	v_pk_fma_f32 v[6:7], v[8:9], v[86:87], v[4:5] op_sel:[0,0,1] op_sel_hi:[1,1,0] neg_lo:[0,0,1] neg_hi:[0,0,1]
	v_pk_fma_f32 v[4:5], v[8:9], v[86:87], v[4:5] op_sel:[0,0,1] op_sel_hi:[1,0,0]
	v_pk_add_f32 v[2:3], v[2:3], v[22:23]
	v_mov_b32_e32 v4, v85
	v_pk_add_f32 v[2:3], v[2:3], v[20:21]
	v_mov_b32_e32 v7, v5
	s_waitcnt lgkmcnt(1)
	v_pk_mul_f32 v[4:5], v[10:11], v[4:5] op_sel_hi:[1,0]
	v_pk_add_f32 v[2:3], v[2:3], v[6:7]
	v_pk_fma_f32 v[6:7], v[10:11], v[84:85], v[4:5] op_sel:[0,0,1] op_sel_hi:[1,1,0] neg_lo:[0,0,1] neg_hi:[0,0,1]
	v_pk_fma_f32 v[4:5], v[10:11], v[84:85], v[4:5] op_sel:[0,0,1] op_sel_hi:[1,0,0]
	v_mov_b32_e32 v4, v83
	v_mov_b32_e32 v7, v5
	v_pk_mul_f32 v[4:5], v[12:13], v[4:5] op_sel_hi:[1,0]
	v_pk_add_f32 v[2:3], v[2:3], v[6:7]
	v_pk_fma_f32 v[6:7], v[12:13], v[82:83], v[4:5] op_sel:[0,0,1] op_sel_hi:[1,1,0] neg_lo:[0,0,1] neg_hi:[0,0,1]
	v_pk_fma_f32 v[4:5], v[12:13], v[82:83], v[4:5] op_sel:[0,0,1] op_sel_hi:[1,0,0]
	v_mov_b32_e32 v4, v81
	v_mov_b32_e32 v7, v5
	s_waitcnt lgkmcnt(0)
	v_pk_mul_f32 v[4:5], v[14:15], v[4:5] op_sel_hi:[1,0]
	v_pk_add_f32 v[2:3], v[2:3], v[6:7]
	v_pk_fma_f32 v[6:7], v[14:15], v[80:81], v[4:5] op_sel:[0,0,1] op_sel_hi:[1,1,0] neg_lo:[0,0,1] neg_hi:[0,0,1]
	v_pk_fma_f32 v[4:5], v[14:15], v[80:81], v[4:5] op_sel:[0,0,1] op_sel_hi:[1,0,0]
	s_waitcnt vmcnt(1)
	v_mov_b32_e32 v4, v89
	v_mov_b32_e32 v7, v5
	v_pk_mul_f32 v[4:5], v[16:17], v[4:5] op_sel_hi:[1,0]
	v_pk_add_f32 v[2:3], v[2:3], v[6:7]
	s_waitcnt vmcnt(0)
	v_pk_fma_f32 v[6:7], v[16:17], v[88:89], v[4:5] op_sel:[0,0,1] op_sel_hi:[1,1,0] neg_lo:[0,0,1] neg_hi:[0,0,1]
	v_pk_fma_f32 v[4:5], v[16:17], v[88:89], v[4:5] op_sel:[0,0,1] op_sel_hi:[1,0,0]
	v_mov_b32_e32 v7, v5
	v_pk_add_f32 v[2:3], v[2:3], v[6:7]
	v_pk_add_f32 v[2:3], v[18:19], v[2:3] neg_lo:[0,1] neg_hi:[0,1]
	buffer_store_dword v3, off, s[0:3], 0 offset:180
	buffer_store_dword v2, off, s[0:3], 0 offset:176
	s_and_saveexec_b64 s[4:5], vcc
	s_cbranch_execz .LBB126_349
; %bb.348:
	buffer_load_dword v2, off, s[0:3], 0 offset:168
	buffer_load_dword v3, off, s[0:3], 0 offset:172
	v_mov_b32_e32 v1, 0
	buffer_store_dword v1, off, s[0:3], 0 offset:168
	buffer_store_dword v1, off, s[0:3], 0 offset:172
	s_waitcnt vmcnt(2)
	ds_write_b64 v217, v[2:3]
.LBB126_349:
	s_or_b64 exec, exec, s[4:5]
	v_mov_b32_e32 v94, 0
	s_waitcnt lgkmcnt(0)
	; wave barrier
	s_waitcnt lgkmcnt(0)
	ds_read_b128 v[14:17], v94 offset:688
	ds_read_b128 v[10:13], v94 offset:704
	;; [unrolled: 1-line block ×4, first 2 shown]
	buffer_load_dword v70, off, s[0:3], 0 offset:168
	buffer_load_dword v71, off, s[0:3], 0 offset:172
	;; [unrolled: 1-line block ×18, first 2 shown]
	v_cmp_lt_u32_e32 vcc, 20, v0
	s_waitcnt vmcnt(14) lgkmcnt(3)
	v_mul_f32_e32 v18, v14, v78
	v_fmac_f32_e32 v18, v15, v1
	s_waitcnt vmcnt(12)
	v_mul_f32_e32 v19, v16, v96
	v_add_f32_e32 v18, 0, v18
	v_fmac_f32_e32 v19, v17, v72
	v_add_f32_e32 v18, v18, v19
	s_waitcnt vmcnt(10) lgkmcnt(2)
	v_mul_f32_e32 v19, v10, v98
	v_fmac_f32_e32 v19, v11, v74
	v_add_f32_e32 v18, v18, v19
	s_waitcnt vmcnt(8)
	v_mul_f32_e32 v19, v12, v100
	v_fmac_f32_e32 v19, v13, v95
	v_add_f32_e32 v18, v18, v19
	s_waitcnt vmcnt(6) lgkmcnt(1)
	v_mul_f32_e32 v19, v6, v102
	v_fmac_f32_e32 v19, v7, v97
	v_add_f32_e32 v18, v18, v19
	s_waitcnt vmcnt(4)
	v_mul_f32_e32 v19, v8, v103
	;; [unrolled: 8-line block ×3, first 2 shown]
	v_fmac_f32_e32 v19, v5, v105
	v_add_f32_e32 v22, v18, v19
	ds_read_b128 v[18:21], v94 offset:752
	buffer_load_dword v107, off, s[0:3], 0 offset:240
	buffer_load_dword v108, off, s[0:3], 0 offset:244
	buffer_load_dword v109, off, s[0:3], 0 offset:248
	buffer_load_dword v110, off, s[0:3], 0 offset:252
	ds_read_b128 v[26:29], v94 offset:768
	buffer_load_dword v111, off, s[0:3], 0 offset:256
	buffer_load_dword v112, off, s[0:3], 0 offset:260
	buffer_load_dword v113, off, s[0:3], 0 offset:264
	buffer_load_dword v114, off, s[0:3], 0 offset:268
	;; [unrolled: 5-line block ×12, first 2 shown]
	v_mul_f32_e32 v15, v15, v78
	v_fma_f32 v1, v14, v1, -v15
	v_mul_f32_e32 v14, v17, v96
	v_add_f32_e32 v1, 0, v1
	v_fma_f32 v14, v16, v72, -v14
	v_mul_f32_e32 v11, v11, v98
	v_add_f32_e32 v1, v1, v14
	v_fma_f32 v10, v10, v74, -v11
	v_add_f32_e32 v1, v1, v10
	v_mul_f32_e32 v10, v13, v100
	v_fma_f32 v10, v12, v95, -v10
	v_mul_f32_e32 v7, v7, v102
	v_add_f32_e32 v1, v1, v10
	v_fma_f32 v6, v6, v97, -v7
	v_add_f32_e32 v1, v1, v6
	v_mul_f32_e32 v6, v9, v103
	;; [unrolled: 6-line block ×3, first 2 shown]
	v_fma_f32 v2, v4, v105, -v2
	v_add_f32_e32 v1, v1, v2
	s_waitcnt vmcnt(46) lgkmcnt(11)
	v_mul_f32_e32 v23, v18, v108
	v_fmac_f32_e32 v23, v19, v107
	v_add_f32_e32 v22, v22, v23
	s_waitcnt vmcnt(44)
	v_mul_f32_e32 v23, v20, v110
	v_fmac_f32_e32 v23, v21, v109
	v_add_f32_e32 v22, v22, v23
	s_waitcnt vmcnt(42) lgkmcnt(10)
	v_mul_f32_e32 v23, v26, v112
	v_fmac_f32_e32 v23, v27, v111
	v_add_f32_e32 v22, v22, v23
	s_waitcnt vmcnt(40)
	v_mul_f32_e32 v23, v28, v114
	v_fmac_f32_e32 v23, v29, v113
	;; [unrolled: 8-line block ×11, first 2 shown]
	v_add_f32_e32 v22, v22, v23
	s_waitcnt vmcnt(2) lgkmcnt(0)
	v_mul_f32_e32 v23, v66, v152
	v_fmac_f32_e32 v23, v67, v151
	v_add_f32_e32 v73, v22, v23
	ds_read_b128 v[22:25], v94 offset:944
	buffer_load_dword v155, off, s[0:3], 0 offset:432
	buffer_load_dword v156, off, s[0:3], 0 offset:436
	;; [unrolled: 1-line block ×18, first 2 shown]
	v_mul_f32_e32 v2, v19, v108
	v_fma_f32 v2, v18, v107, -v2
	v_add_f32_e32 v1, v1, v2
	v_mul_f32_e32 v2, v21, v110
	v_fma_f32 v2, v20, v109, -v2
	v_add_f32_e32 v1, v1, v2
	v_mul_f32_e32 v2, v27, v112
	v_fma_f32 v2, v26, v111, -v2
	v_add_f32_e32 v1, v1, v2
	v_mul_f32_e32 v2, v29, v114
	v_fma_f32 v2, v28, v113, -v2
	v_add_f32_e32 v1, v1, v2
	v_mul_f32_e32 v2, v31, v116
	v_fma_f32 v2, v30, v115, -v2
	v_add_f32_e32 v1, v1, v2
	v_mul_f32_e32 v2, v33, v118
	v_fma_f32 v2, v32, v117, -v2
	v_add_f32_e32 v1, v1, v2
	v_mul_f32_e32 v2, v35, v120
	v_fma_f32 v2, v34, v119, -v2
	v_add_f32_e32 v1, v1, v2
	v_mul_f32_e32 v2, v37, v122
	v_fma_f32 v2, v36, v121, -v2
	v_add_f32_e32 v1, v1, v2
	v_mul_f32_e32 v2, v39, v124
	v_fma_f32 v2, v38, v123, -v2
	v_add_f32_e32 v1, v1, v2
	v_mul_f32_e32 v2, v41, v126
	v_fma_f32 v2, v40, v125, -v2
	v_add_f32_e32 v1, v1, v2
	v_mul_f32_e32 v2, v43, v128
	v_fma_f32 v2, v42, v127, -v2
	v_add_f32_e32 v1, v1, v2
	v_mul_f32_e32 v2, v45, v130
	v_fma_f32 v2, v44, v129, -v2
	v_add_f32_e32 v1, v1, v2
	v_mul_f32_e32 v2, v47, v132
	v_fma_f32 v2, v46, v131, -v2
	v_add_f32_e32 v1, v1, v2
	v_mul_f32_e32 v2, v49, v134
	v_fma_f32 v2, v48, v133, -v2
	v_add_f32_e32 v1, v1, v2
	v_mul_f32_e32 v2, v51, v136
	v_fma_f32 v2, v50, v135, -v2
	v_add_f32_e32 v1, v1, v2
	v_mul_f32_e32 v2, v53, v138
	v_fma_f32 v2, v52, v137, -v2
	v_add_f32_e32 v1, v1, v2
	v_mul_f32_e32 v2, v55, v140
	v_fma_f32 v2, v54, v139, -v2
	v_add_f32_e32 v1, v1, v2
	v_mul_f32_e32 v2, v57, v142
	v_fma_f32 v2, v56, v141, -v2
	v_add_f32_e32 v1, v1, v2
	v_mul_f32_e32 v2, v59, v144
	v_fma_f32 v2, v58, v143, -v2
	v_add_f32_e32 v1, v1, v2
	v_mul_f32_e32 v2, v61, v146
	v_fma_f32 v2, v60, v145, -v2
	v_add_f32_e32 v1, v1, v2
	v_mul_f32_e32 v2, v63, v148
	v_fma_f32 v2, v62, v147, -v2
	v_add_f32_e32 v1, v1, v2
	v_mul_f32_e32 v2, v65, v150
	v_fma_f32 v2, v64, v149, -v2
	v_add_f32_e32 v1, v1, v2
	v_mul_f32_e32 v2, v67, v152
	v_fma_f32 v2, v66, v151, -v2
	s_waitcnt vmcnt(15)
	v_mov_b32_e32 v18, v77
	v_mul_f32_e32 v75, v68, v154
	v_add_f32_e32 v72, v1, v2
	v_mul_f32_e32 v1, v69, v154
	s_waitcnt lgkmcnt(0)
	v_pk_mul_f32 v[18:19], v[24:25], v[18:19] op_sel_hi:[1,0]
	v_fmac_f32_e32 v75, v69, v153
	v_fma_f32 v74, v68, v153, -v1
	ds_read_b128 v[2:5], v94 offset:960
	ds_read_b128 v[6:9], v94 offset:976
	;; [unrolled: 1-line block ×3, first 2 shown]
	ds_read_b64 v[14:15], v94 offset:1008
	s_waitcnt vmcnt(14)
	v_pk_fma_f32 v[20:21], v[24:25], v[76:77], v[18:19] op_sel:[0,0,1] op_sel_hi:[1,1,0] neg_lo:[0,0,1] neg_hi:[0,0,1]
	v_pk_fma_f32 v[18:19], v[24:25], v[76:77], v[18:19] op_sel:[0,0,1] op_sel_hi:[1,0,0]
	v_mul_f32_e32 v79, v22, v156
	v_mul_f32_e32 v1, v23, v156
	v_fmac_f32_e32 v79, v23, v155
	v_fma_f32 v78, v22, v155, -v1
	v_pk_add_f32 v[16:17], v[72:73], v[74:75]
	s_waitcnt vmcnt(13)
	v_mov_b32_e32 v18, v93
	v_pk_add_f32 v[16:17], v[16:17], v[78:79]
	v_mov_b32_e32 v21, v19
	s_waitcnt lgkmcnt(3)
	v_pk_mul_f32 v[18:19], v[2:3], v[18:19] op_sel_hi:[1,0]
	v_pk_add_f32 v[16:17], v[16:17], v[20:21]
	s_waitcnt vmcnt(12)
	v_pk_fma_f32 v[20:21], v[2:3], v[92:93], v[18:19] op_sel:[0,0,1] op_sel_hi:[1,1,0] neg_lo:[0,0,1] neg_hi:[0,0,1]
	v_pk_fma_f32 v[2:3], v[2:3], v[92:93], v[18:19] op_sel:[0,0,1] op_sel_hi:[1,0,0]
	v_mov_b32_e32 v21, v3
	v_pk_add_f32 v[2:3], v[16:17], v[20:21]
	s_waitcnt vmcnt(11)
	v_mov_b32_e32 v16, v91
	v_pk_mul_f32 v[16:17], v[4:5], v[16:17] op_sel_hi:[1,0]
	s_waitcnt vmcnt(10)
	v_pk_fma_f32 v[18:19], v[4:5], v[90:91], v[16:17] op_sel:[0,0,1] op_sel_hi:[1,1,0] neg_lo:[0,0,1] neg_hi:[0,0,1]
	v_pk_fma_f32 v[4:5], v[4:5], v[90:91], v[16:17] op_sel:[0,0,1] op_sel_hi:[1,0,0]
	s_waitcnt vmcnt(9)
	v_mov_b32_e32 v4, v89
	v_mov_b32_e32 v19, v5
	s_waitcnt lgkmcnt(2)
	v_pk_mul_f32 v[4:5], v[6:7], v[4:5] op_sel_hi:[1,0]
	s_waitcnt vmcnt(8)
	v_pk_fma_f32 v[16:17], v[6:7], v[88:89], v[4:5] op_sel:[0,0,1] op_sel_hi:[1,1,0] neg_lo:[0,0,1] neg_hi:[0,0,1]
	v_pk_fma_f32 v[4:5], v[6:7], v[88:89], v[4:5] op_sel:[0,0,1] op_sel_hi:[1,0,0]
	s_waitcnt vmcnt(7)
	v_mov_b32_e32 v4, v87
	v_mov_b32_e32 v17, v5
	v_pk_mul_f32 v[4:5], v[8:9], v[4:5] op_sel_hi:[1,0]
	s_waitcnt vmcnt(6)
	v_pk_fma_f32 v[6:7], v[8:9], v[86:87], v[4:5] op_sel:[0,0,1] op_sel_hi:[1,1,0] neg_lo:[0,0,1] neg_hi:[0,0,1]
	v_pk_fma_f32 v[4:5], v[8:9], v[86:87], v[4:5] op_sel:[0,0,1] op_sel_hi:[1,0,0]
	v_pk_add_f32 v[2:3], v[2:3], v[18:19]
	s_waitcnt vmcnt(5)
	v_mov_b32_e32 v4, v85
	v_pk_add_f32 v[2:3], v[2:3], v[16:17]
	v_mov_b32_e32 v7, v5
	s_waitcnt lgkmcnt(1)
	v_pk_mul_f32 v[4:5], v[10:11], v[4:5] op_sel_hi:[1,0]
	v_pk_add_f32 v[2:3], v[2:3], v[6:7]
	s_waitcnt vmcnt(4)
	v_pk_fma_f32 v[6:7], v[10:11], v[84:85], v[4:5] op_sel:[0,0,1] op_sel_hi:[1,1,0] neg_lo:[0,0,1] neg_hi:[0,0,1]
	v_pk_fma_f32 v[4:5], v[10:11], v[84:85], v[4:5] op_sel:[0,0,1] op_sel_hi:[1,0,0]
	s_waitcnt vmcnt(3)
	v_mov_b32_e32 v4, v83
	v_mov_b32_e32 v7, v5
	v_pk_mul_f32 v[4:5], v[12:13], v[4:5] op_sel_hi:[1,0]
	v_pk_add_f32 v[2:3], v[2:3], v[6:7]
	s_waitcnt vmcnt(2)
	v_pk_fma_f32 v[6:7], v[12:13], v[82:83], v[4:5] op_sel:[0,0,1] op_sel_hi:[1,1,0] neg_lo:[0,0,1] neg_hi:[0,0,1]
	v_pk_fma_f32 v[4:5], v[12:13], v[82:83], v[4:5] op_sel:[0,0,1] op_sel_hi:[1,0,0]
	s_waitcnt vmcnt(1)
	v_mov_b32_e32 v4, v81
	v_mov_b32_e32 v7, v5
	s_waitcnt lgkmcnt(0)
	v_pk_mul_f32 v[4:5], v[14:15], v[4:5] op_sel_hi:[1,0]
	v_pk_add_f32 v[2:3], v[2:3], v[6:7]
	s_waitcnt vmcnt(0)
	v_pk_fma_f32 v[6:7], v[14:15], v[80:81], v[4:5] op_sel:[0,0,1] op_sel_hi:[1,1,0] neg_lo:[0,0,1] neg_hi:[0,0,1]
	v_pk_fma_f32 v[4:5], v[14:15], v[80:81], v[4:5] op_sel:[0,0,1] op_sel_hi:[1,0,0]
	v_mov_b32_e32 v7, v5
	v_pk_add_f32 v[2:3], v[2:3], v[6:7]
	v_pk_add_f32 v[2:3], v[70:71], v[2:3] neg_lo:[0,1] neg_hi:[0,1]
	buffer_store_dword v3, off, s[0:3], 0 offset:172
	buffer_store_dword v2, off, s[0:3], 0 offset:168
	s_and_saveexec_b64 s[4:5], vcc
	s_cbranch_execz .LBB126_351
; %bb.350:
	buffer_load_dword v2, off, s[0:3], 0 offset:160
	buffer_load_dword v3, off, s[0:3], 0 offset:164
	s_waitcnt vmcnt(0)
	ds_write_b64 v217, v[2:3]
	buffer_store_dword v94, off, s[0:3], 0 offset:160
	buffer_store_dword v94, off, s[0:3], 0 offset:164
.LBB126_351:
	s_or_b64 exec, exec, s[4:5]
	s_waitcnt lgkmcnt(0)
	; wave barrier
	s_waitcnt lgkmcnt(0)
	buffer_load_dword v1, off, s[0:3], 0 offset:172
	buffer_load_dword v78, off, s[0:3], 0 offset:180
	;; [unrolled: 1-line block ×24, first 2 shown]
	ds_read2_b64 v[22:25], v94 offset0:85 offset1:86
	ds_read2_b64 v[18:21], v94 offset0:87 offset1:88
	;; [unrolled: 1-line block ×4, first 2 shown]
	buffer_load_dword v117, off, s[0:3], 0 offset:256
	buffer_load_dword v118, off, s[0:3], 0 offset:260
	ds_read2_b64 v[10:13], v94 offset0:93 offset1:94
	ds_read2_b64 v[2:5], v94 offset0:95 offset1:96
	buffer_load_dword v119, off, s[0:3], 0 offset:264
	buffer_load_dword v120, off, s[0:3], 0 offset:268
	;; [unrolled: 1-line block ×44, first 2 shown]
	v_cmp_lt_u32_e32 vcc, 19, v0
	s_waitcnt vmcnt(62) lgkmcnt(5)
	v_mul_f32_e32 v28, v22, v1
	v_mul_f32_e32 v29, v24, v78
	s_waitcnt lgkmcnt(4)
	v_mul_f32_e32 v31, v20, v80
	s_waitcnt lgkmcnt(3)
	v_mul_f32_e32 v32, v14, v82
	v_mul_f32_e32 v33, v16, v95
	;; [unrolled: 1-line block ×3, first 2 shown]
	s_waitcnt lgkmcnt(2)
	v_mul_f32_e32 v34, v6, v101
	v_mul_f32_e32 v35, v8, v102
	s_waitcnt vmcnt(61)
	v_fmac_f32_e32 v30, v19, v103
	s_waitcnt vmcnt(60)
	v_fmac_f32_e32 v29, v25, v104
	;; [unrolled: 2-line block ×3, first 2 shown]
	v_add_f32_e32 v28, 0, v28
	v_add_f32_e32 v28, v28, v29
	;; [unrolled: 1-line block ×3, first 2 shown]
	s_waitcnt vmcnt(55)
	v_fmac_f32_e32 v31, v21, v109
	v_fmac_f32_e32 v32, v15, v108
	v_add_f32_e32 v28, v28, v31
	v_fmac_f32_e32 v33, v17, v107
	v_add_f32_e32 v28, v28, v32
	;; [unrolled: 2-line block ×3, first 2 shown]
	s_waitcnt vmcnt(51)
	v_fmac_f32_e32 v35, v9, v113
	v_add_f32_e32 v28, v28, v34
	s_waitcnt vmcnt(50) lgkmcnt(1)
	v_mul_f32_e32 v29, v10, v114
	v_add_f32_e32 v28, v28, v35
	v_fmac_f32_e32 v29, v11, v112
	v_add_f32_e32 v28, v28, v29
	s_waitcnt vmcnt(49)
	v_mul_f32_e32 v29, v12, v115
	v_fmac_f32_e32 v29, v13, v111
	v_add_f32_e32 v28, v28, v29
	s_waitcnt vmcnt(48) lgkmcnt(0)
	v_mul_f32_e32 v29, v2, v116
	v_fmac_f32_e32 v29, v3, v110
	v_add_f32_e32 v32, v28, v29
	ds_read2_b64 v[28:31], v94 offset0:97 offset1:98
	s_waitcnt vmcnt(44)
	v_mul_f32_e32 v33, v4, v118
	v_fmac_f32_e32 v33, v5, v117
	v_add_f32_e32 v36, v32, v33
	ds_read2_b64 v[32:35], v94 offset0:99 offset1:100
	s_waitcnt vmcnt(42) lgkmcnt(1)
	v_mul_f32_e32 v37, v28, v120
	v_fmac_f32_e32 v37, v29, v119
	v_add_f32_e32 v36, v36, v37
	s_waitcnt vmcnt(40)
	v_mul_f32_e32 v37, v30, v122
	v_fmac_f32_e32 v37, v31, v121
	v_add_f32_e32 v36, v36, v37
	s_waitcnt vmcnt(38) lgkmcnt(0)
	v_mul_f32_e32 v37, v32, v124
	v_fmac_f32_e32 v37, v33, v123
	v_add_f32_e32 v40, v36, v37
	ds_read2_b64 v[36:39], v94 offset0:101 offset1:102
	s_waitcnt vmcnt(36)
	v_mul_f32_e32 v41, v34, v126
	v_fmac_f32_e32 v41, v35, v125
	v_add_f32_e32 v44, v40, v41
	ds_read2_b64 v[40:43], v94 offset0:103 offset1:104
	s_waitcnt vmcnt(34) lgkmcnt(1)
	v_mul_f32_e32 v45, v36, v128
	;; [unrolled: 18-line block ×4, first 2 shown]
	v_fmac_f32_e32 v61, v53, v143
	v_add_f32_e32 v60, v60, v61
	s_waitcnt vmcnt(16)
	v_mul_f32_e32 v61, v54, v146
	v_fmac_f32_e32 v61, v55, v145
	v_add_f32_e32 v60, v60, v61
	s_waitcnt vmcnt(14) lgkmcnt(0)
	v_mul_f32_e32 v61, v56, v148
	v_fmac_f32_e32 v61, v57, v147
	v_add_f32_e32 v64, v60, v61
	ds_read2_b64 v[60:63], v94 offset0:113 offset1:114
	s_waitcnt vmcnt(12)
	v_mul_f32_e32 v65, v58, v150
	v_fmac_f32_e32 v65, v59, v149
	v_add_f32_e32 v68, v64, v65
	ds_read2_b64 v[64:67], v94 offset0:115 offset1:116
	buffer_load_dword v77, off, s[0:3], 0 offset:444
	buffer_load_dword v76, off, s[0:3], 0 offset:440
	s_waitcnt vmcnt(12) lgkmcnt(1)
	v_mul_f32_e32 v69, v60, v152
	v_fmac_f32_e32 v69, v61, v151
	v_add_f32_e32 v68, v68, v69
	s_waitcnt vmcnt(10)
	v_mul_f32_e32 v69, v62, v154
	v_fmac_f32_e32 v69, v63, v153
	v_add_f32_e32 v68, v68, v69
	s_waitcnt vmcnt(8) lgkmcnt(0)
	v_mul_f32_e32 v69, v64, v156
	v_fmac_f32_e32 v69, v65, v155
	s_waitcnt vmcnt(6)
	v_mul_f32_e32 v73, v66, v158
	v_add_f32_e32 v72, v68, v69
	v_fmac_f32_e32 v73, v67, v157
	ds_read2_b64 v[68:71], v94 offset0:117 offset1:118
	v_add_f32_e32 v79, v72, v73
	ds_read2_b64 v[72:75], v94 offset0:119 offset1:120
	buffer_load_dword v85, off, s[0:3], 0 offset:476
	buffer_load_dword v84, off, s[0:3], 0 offset:472
	;; [unrolled: 1-line block ×14, first 2 shown]
	v_mul_f32_e32 v1, v23, v1
	v_fma_f32 v1, v22, v105, -v1
	v_mul_f32_e32 v22, v25, v78
	v_add_f32_e32 v1, 0, v1
	v_fma_f32 v22, v24, v104, -v22
	v_mul_f32_e32 v19, v19, v100
	v_add_f32_e32 v1, v1, v22
	v_fma_f32 v18, v18, v103, -v19
	v_add_f32_e32 v1, v1, v18
	v_mul_f32_e32 v18, v21, v80
	v_fma_f32 v18, v20, v109, -v18
	v_mul_f32_e32 v15, v15, v82
	v_add_f32_e32 v1, v1, v18
	v_fma_f32 v14, v14, v108, -v15
	v_add_f32_e32 v1, v1, v14
	v_mul_f32_e32 v14, v17, v95
	;; [unrolled: 6-line block ×3, first 2 shown]
	v_fma_f32 v6, v8, v113, -v6
	v_add_f32_e32 v1, v1, v6
	v_mul_f32_e32 v6, v11, v114
	v_fma_f32 v6, v10, v112, -v6
	v_add_f32_e32 v1, v1, v6
	v_mul_f32_e32 v6, v13, v115
	v_fma_f32 v6, v12, v111, -v6
	v_mul_f32_e32 v3, v3, v116
	v_add_f32_e32 v1, v1, v6
	v_fma_f32 v2, v2, v110, -v3
	v_add_f32_e32 v1, v1, v2
	v_mul_f32_e32 v2, v5, v118
	v_fma_f32 v2, v4, v117, -v2
	v_add_f32_e32 v1, v1, v2
	v_mul_f32_e32 v2, v29, v120
	;; [unrolled: 3-line block ×21, first 2 shown]
	v_fma_f32 v2, v66, v157, -v2
	s_waitcnt vmcnt(15)
	v_mov_b32_e32 v16, v77
	s_waitcnt lgkmcnt(1)
	v_mul_f32_e32 v81, v68, v160
	v_add_f32_e32 v78, v1, v2
	v_mul_f32_e32 v1, v69, v160
	s_waitcnt lgkmcnt(0)
	v_pk_mul_f32 v[16:17], v[72:73], v[16:17] op_sel_hi:[1,0]
	v_fmac_f32_e32 v81, v69, v159
	v_mul_f32_e32 v83, v70, v162
	v_fma_f32 v80, v68, v159, -v1
	v_mul_f32_e32 v1, v71, v162
	s_waitcnt vmcnt(14)
	v_pk_fma_f32 v[18:19], v[72:73], v[76:77], v[16:17] op_sel:[0,0,1] op_sel_hi:[1,1,0] neg_lo:[0,0,1] neg_hi:[0,0,1]
	v_pk_fma_f32 v[16:17], v[72:73], v[76:77], v[16:17] op_sel:[0,0,1] op_sel_hi:[1,0,0]
	v_fmac_f32_e32 v83, v71, v161
	v_fma_f32 v82, v70, v161, -v1
	v_pk_add_f32 v[14:15], v[78:79], v[80:81]
	s_waitcnt vmcnt(7)
	v_mov_b32_e32 v16, v91
	ds_read2_b64 v[2:5], v94 offset0:121 offset1:122
	ds_read2_b64 v[6:9], v94 offset0:123 offset1:124
	;; [unrolled: 1-line block ×3, first 2 shown]
	v_pk_add_f32 v[14:15], v[14:15], v[82:83]
	v_mov_b32_e32 v19, v17
	v_pk_mul_f32 v[16:17], v[74:75], v[16:17] op_sel_hi:[1,0]
	v_pk_add_f32 v[14:15], v[14:15], v[18:19]
	s_waitcnt vmcnt(6)
	v_pk_fma_f32 v[18:19], v[74:75], v[90:91], v[16:17] op_sel:[0,0,1] op_sel_hi:[1,1,0] neg_lo:[0,0,1] neg_hi:[0,0,1]
	v_pk_fma_f32 v[16:17], v[74:75], v[90:91], v[16:17] op_sel:[0,0,1] op_sel_hi:[1,0,0]
	v_mov_b32_e32 v16, v89
	v_mov_b32_e32 v19, v17
	s_waitcnt lgkmcnt(2)
	v_pk_mul_f32 v[16:17], v[2:3], v[16:17] op_sel_hi:[1,0]
	v_pk_add_f32 v[14:15], v[14:15], v[18:19]
	v_pk_fma_f32 v[18:19], v[2:3], v[88:89], v[16:17] op_sel:[0,0,1] op_sel_hi:[1,1,0] neg_lo:[0,0,1] neg_hi:[0,0,1]
	v_pk_fma_f32 v[2:3], v[2:3], v[88:89], v[16:17] op_sel:[0,0,1] op_sel_hi:[1,0,0]
	v_mov_b32_e32 v19, v3
	v_pk_add_f32 v[2:3], v[14:15], v[18:19]
	v_mov_b32_e32 v14, v87
	v_pk_mul_f32 v[14:15], v[4:5], v[14:15] op_sel_hi:[1,0]
	v_pk_fma_f32 v[16:17], v[4:5], v[86:87], v[14:15] op_sel:[0,0,1] op_sel_hi:[1,1,0] neg_lo:[0,0,1] neg_hi:[0,0,1]
	v_pk_fma_f32 v[4:5], v[4:5], v[86:87], v[14:15] op_sel:[0,0,1] op_sel_hi:[1,0,0]
	v_mov_b32_e32 v4, v85
	v_mov_b32_e32 v17, v5
	s_waitcnt lgkmcnt(1)
	v_pk_mul_f32 v[4:5], v[6:7], v[4:5] op_sel_hi:[1,0]
	v_pk_fma_f32 v[14:15], v[6:7], v[84:85], v[4:5] op_sel:[0,0,1] op_sel_hi:[1,1,0] neg_lo:[0,0,1] neg_hi:[0,0,1]
	v_pk_fma_f32 v[4:5], v[6:7], v[84:85], v[4:5] op_sel:[0,0,1] op_sel_hi:[1,0,0]
	s_waitcnt vmcnt(1)
	v_mov_b32_e32 v4, v99
	v_mov_b32_e32 v15, v5
	v_pk_mul_f32 v[4:5], v[8:9], v[4:5] op_sel_hi:[1,0]
	s_waitcnt vmcnt(0)
	v_pk_fma_f32 v[6:7], v[8:9], v[98:99], v[4:5] op_sel:[0,0,1] op_sel_hi:[1,1,0] neg_lo:[0,0,1] neg_hi:[0,0,1]
	v_pk_fma_f32 v[4:5], v[8:9], v[98:99], v[4:5] op_sel:[0,0,1] op_sel_hi:[1,0,0]
	v_pk_add_f32 v[2:3], v[2:3], v[16:17]
	v_mov_b32_e32 v4, v97
	v_pk_add_f32 v[2:3], v[2:3], v[14:15]
	v_mov_b32_e32 v7, v5
	s_waitcnt lgkmcnt(0)
	v_pk_mul_f32 v[4:5], v[10:11], v[4:5] op_sel_hi:[1,0]
	v_pk_add_f32 v[2:3], v[2:3], v[6:7]
	v_pk_fma_f32 v[6:7], v[10:11], v[96:97], v[4:5] op_sel:[0,0,1] op_sel_hi:[1,1,0] neg_lo:[0,0,1] neg_hi:[0,0,1]
	v_pk_fma_f32 v[4:5], v[10:11], v[96:97], v[4:5] op_sel:[0,0,1] op_sel_hi:[1,0,0]
	v_mov_b32_e32 v4, v93
	v_mov_b32_e32 v7, v5
	v_pk_mul_f32 v[4:5], v[12:13], v[4:5] op_sel_hi:[1,0]
	v_pk_add_f32 v[2:3], v[2:3], v[6:7]
	v_pk_fma_f32 v[6:7], v[12:13], v[92:93], v[4:5] op_sel:[0,0,1] op_sel_hi:[1,1,0] neg_lo:[0,0,1] neg_hi:[0,0,1]
	v_pk_fma_f32 v[4:5], v[12:13], v[92:93], v[4:5] op_sel:[0,0,1] op_sel_hi:[1,0,0]
	v_mov_b32_e32 v7, v5
	v_pk_add_f32 v[2:3], v[2:3], v[6:7]
	v_pk_add_f32 v[2:3], v[26:27], v[2:3] neg_lo:[0,1] neg_hi:[0,1]
	buffer_store_dword v3, off, s[0:3], 0 offset:164
	buffer_store_dword v2, off, s[0:3], 0 offset:160
	s_and_saveexec_b64 s[4:5], vcc
	s_cbranch_execz .LBB126_353
; %bb.352:
	buffer_load_dword v2, off, s[0:3], 0 offset:152
	buffer_load_dword v3, off, s[0:3], 0 offset:156
	v_mov_b32_e32 v1, 0
	buffer_store_dword v1, off, s[0:3], 0 offset:152
	buffer_store_dword v1, off, s[0:3], 0 offset:156
	s_waitcnt vmcnt(2)
	ds_write_b64 v217, v[2:3]
.LBB126_353:
	s_or_b64 exec, exec, s[4:5]
	s_waitcnt lgkmcnt(0)
	; wave barrier
	s_waitcnt lgkmcnt(0)
	buffer_load_dword v76, off, s[0:3], 0 offset:164
	buffer_load_dword v78, off, s[0:3], 0 offset:172
	;; [unrolled: 1-line block ×56, first 2 shown]
	v_mov_b32_e32 v1, 0
	ds_read_b128 v[4:7], v1 offset:672
	ds_read_b128 v[8:11], v1 offset:688
	ds_read_b128 v[12:15], v1 offset:704
	ds_read_b128 v[16:19], v1 offset:720
	ds_read_b128 v[20:23], v1 offset:736
	ds_read_b128 v[24:27], v1 offset:752
	buffer_load_dword v149, off, s[0:3], 0 offset:376
	buffer_load_dword v150, off, s[0:3], 0 offset:380
	;; [unrolled: 1-line block ×16, first 2 shown]
	v_cmp_lt_u32_e32 vcc, 18, v0
	s_waitcnt vmcnt(62) lgkmcnt(5)
	v_mul_f32_e32 v28, v4, v76
	v_mul_f32_e32 v29, v6, v78
	s_waitcnt lgkmcnt(4)
	v_mul_f32_e32 v31, v10, v80
	s_waitcnt lgkmcnt(3)
	v_mul_f32_e32 v32, v12, v98
	v_mul_f32_e32 v33, v14, v99
	;; [unrolled: 1-line block ×3, first 2 shown]
	s_waitcnt lgkmcnt(2)
	v_mul_f32_e32 v34, v16, v101
	v_mul_f32_e32 v35, v18, v102
	s_waitcnt lgkmcnt(1)
	v_mul_f32_e32 v36, v20, v103
	v_fmac_f32_e32 v30, v9, v104
	s_waitcnt vmcnt(61)
	v_fmac_f32_e32 v29, v7, v105
	s_waitcnt vmcnt(60)
	v_fmac_f32_e32 v28, v5, v106
	v_add_f32_e32 v28, 0, v28
	v_add_f32_e32 v28, v28, v29
	;; [unrolled: 1-line block ×3, first 2 shown]
	s_waitcnt vmcnt(56)
	v_fmac_f32_e32 v31, v11, v110
	v_fmac_f32_e32 v32, v13, v109
	v_add_f32_e32 v28, v28, v31
	v_fmac_f32_e32 v33, v15, v108
	v_add_f32_e32 v28, v28, v32
	;; [unrolled: 2-line block ×3, first 2 shown]
	s_waitcnt vmcnt(52)
	v_fmac_f32_e32 v35, v19, v114
	v_add_f32_e32 v28, v28, v34
	v_add_f32_e32 v28, v28, v35
	v_fmac_f32_e32 v36, v21, v113
	s_waitcnt vmcnt(51)
	v_mul_f32_e32 v29, v22, v115
	v_add_f32_e32 v28, v28, v36
	v_fmac_f32_e32 v29, v23, v112
	v_add_f32_e32 v28, v28, v29
	s_waitcnt vmcnt(50) lgkmcnt(0)
	v_mul_f32_e32 v29, v24, v116
	v_fmac_f32_e32 v29, v25, v111
	v_add_f32_e32 v32, v28, v29
	ds_read_b128 v[28:31], v1 offset:768
	s_waitcnt vmcnt(46)
	v_mul_f32_e32 v33, v26, v118
	v_fmac_f32_e32 v33, v27, v117
	v_add_f32_e32 v36, v32, v33
	ds_read_b128 v[32:35], v1 offset:784
	s_waitcnt vmcnt(44) lgkmcnt(1)
	v_mul_f32_e32 v37, v28, v120
	v_fmac_f32_e32 v37, v29, v119
	v_add_f32_e32 v36, v36, v37
	s_waitcnt vmcnt(42)
	v_mul_f32_e32 v37, v30, v122
	v_fmac_f32_e32 v37, v31, v121
	v_add_f32_e32 v36, v36, v37
	s_waitcnt vmcnt(40) lgkmcnt(0)
	v_mul_f32_e32 v37, v32, v124
	v_fmac_f32_e32 v37, v33, v123
	v_add_f32_e32 v40, v36, v37
	ds_read_b128 v[36:39], v1 offset:800
	s_waitcnt vmcnt(38)
	v_mul_f32_e32 v41, v34, v126
	v_fmac_f32_e32 v41, v35, v125
	v_add_f32_e32 v44, v40, v41
	ds_read_b128 v[40:43], v1 offset:816
	s_waitcnt vmcnt(36) lgkmcnt(1)
	v_mul_f32_e32 v45, v36, v128
	v_fmac_f32_e32 v45, v37, v127
	v_add_f32_e32 v44, v44, v45
	s_waitcnt vmcnt(34)
	v_mul_f32_e32 v45, v38, v130
	;; [unrolled: 18-line block ×5, first 2 shown]
	v_fmac_f32_e32 v69, v63, v153
	v_add_f32_e32 v68, v68, v69
	s_waitcnt vmcnt(8) lgkmcnt(0)
	v_mul_f32_e32 v69, v64, v156
	v_fmac_f32_e32 v69, v65, v155
	s_waitcnt vmcnt(6)
	v_mul_f32_e32 v73, v66, v158
	v_add_f32_e32 v72, v68, v69
	v_fmac_f32_e32 v73, v67, v157
	ds_read_b128 v[68:71], v1 offset:928
	v_add_f32_e32 v77, v72, v73
	ds_read_b128 v[72:75], v1 offset:944
	buffer_load_dword v83, off, s[0:3], 0 offset:468
	buffer_load_dword v82, off, s[0:3], 0 offset:464
	;; [unrolled: 1-line block ×16, first 2 shown]
	v_mul_f32_e32 v5, v5, v76
	v_fma_f32 v4, v4, v106, -v5
	v_mul_f32_e32 v5, v7, v78
	v_add_f32_e32 v4, 0, v4
	v_fma_f32 v5, v6, v105, -v5
	v_add_f32_e32 v4, v4, v5
	v_mul_f32_e32 v5, v9, v100
	v_fma_f32 v5, v8, v104, -v5
	v_add_f32_e32 v4, v4, v5
	v_mul_f32_e32 v5, v11, v80
	;; [unrolled: 3-line block ×30, first 2 shown]
	v_fma_f32 v5, v66, v157, -v5
	v_add_f32_e32 v4, v4, v5
	s_waitcnt vmcnt(20) lgkmcnt(1)
	v_mul_f32_e32 v5, v69, v160
	v_mul_f32_e32 v79, v68, v160
	v_fma_f32 v5, v68, v159, -v5
	v_fmac_f32_e32 v79, v69, v159
	v_add_f32_e32 v76, v4, v5
	s_waitcnt vmcnt(18)
	v_mul_f32_e32 v4, v71, v162
	s_waitcnt vmcnt(9)
	v_mov_b32_e32 v20, v89
	v_add_f32_e32 v77, v77, v79
	v_mul_f32_e32 v79, v70, v162
	v_fma_f32 v78, v70, v161, -v4
	s_waitcnt lgkmcnt(0)
	v_mul_f32_e32 v4, v73, v164
	v_pk_mul_f32 v[20:21], v[74:75], v[20:21] op_sel_hi:[1,0]
	v_fmac_f32_e32 v79, v71, v161
	v_mul_f32_e32 v81, v72, v164
	v_fma_f32 v80, v72, v163, -v4
	ds_read_b128 v[4:7], v1 offset:960
	ds_read_b128 v[8:11], v1 offset:976
	;; [unrolled: 1-line block ×3, first 2 shown]
	ds_read_b64 v[16:17], v1 offset:1008
	s_waitcnt vmcnt(8)
	v_pk_fma_f32 v[22:23], v[74:75], v[88:89], v[20:21] op_sel:[0,0,1] op_sel_hi:[1,1,0] neg_lo:[0,0,1] neg_hi:[0,0,1]
	v_pk_fma_f32 v[20:21], v[74:75], v[88:89], v[20:21] op_sel:[0,0,1] op_sel_hi:[1,0,0]
	v_fmac_f32_e32 v81, v73, v163
	v_pk_add_f32 v[18:19], v[76:77], v[78:79]
	v_mov_b32_e32 v20, v87
	v_pk_add_f32 v[18:19], v[18:19], v[80:81]
	v_mov_b32_e32 v23, v21
	s_waitcnt lgkmcnt(3)
	v_pk_mul_f32 v[20:21], v[4:5], v[20:21] op_sel_hi:[1,0]
	v_pk_add_f32 v[18:19], v[18:19], v[22:23]
	v_pk_fma_f32 v[22:23], v[4:5], v[86:87], v[20:21] op_sel:[0,0,1] op_sel_hi:[1,1,0] neg_lo:[0,0,1] neg_hi:[0,0,1]
	v_pk_fma_f32 v[4:5], v[4:5], v[86:87], v[20:21] op_sel:[0,0,1] op_sel_hi:[1,0,0]
	v_mov_b32_e32 v23, v5
	v_pk_add_f32 v[4:5], v[18:19], v[22:23]
	v_mov_b32_e32 v18, v85
	v_pk_mul_f32 v[18:19], v[6:7], v[18:19] op_sel_hi:[1,0]
	v_pk_fma_f32 v[20:21], v[6:7], v[84:85], v[18:19] op_sel:[0,0,1] op_sel_hi:[1,1,0] neg_lo:[0,0,1] neg_hi:[0,0,1]
	v_pk_fma_f32 v[6:7], v[6:7], v[84:85], v[18:19] op_sel:[0,0,1] op_sel_hi:[1,0,0]
	v_mov_b32_e32 v6, v83
	v_mov_b32_e32 v21, v7
	s_waitcnt lgkmcnt(2)
	v_pk_mul_f32 v[6:7], v[8:9], v[6:7] op_sel_hi:[1,0]
	v_pk_fma_f32 v[18:19], v[8:9], v[82:83], v[6:7] op_sel:[0,0,1] op_sel_hi:[1,1,0] neg_lo:[0,0,1] neg_hi:[0,0,1]
	v_pk_fma_f32 v[6:7], v[8:9], v[82:83], v[6:7] op_sel:[0,0,1] op_sel_hi:[1,0,0]
	s_waitcnt vmcnt(1)
	v_mov_b32_e32 v6, v97
	v_mov_b32_e32 v19, v7
	v_pk_mul_f32 v[6:7], v[10:11], v[6:7] op_sel_hi:[1,0]
	s_waitcnt vmcnt(0)
	v_pk_fma_f32 v[8:9], v[10:11], v[96:97], v[6:7] op_sel:[0,0,1] op_sel_hi:[1,1,0] neg_lo:[0,0,1] neg_hi:[0,0,1]
	v_pk_fma_f32 v[6:7], v[10:11], v[96:97], v[6:7] op_sel:[0,0,1] op_sel_hi:[1,0,0]
	v_pk_add_f32 v[4:5], v[4:5], v[20:21]
	v_mov_b32_e32 v6, v95
	v_pk_add_f32 v[4:5], v[4:5], v[18:19]
	v_mov_b32_e32 v9, v7
	s_waitcnt lgkmcnt(1)
	v_pk_mul_f32 v[6:7], v[12:13], v[6:7] op_sel_hi:[1,0]
	v_pk_add_f32 v[4:5], v[4:5], v[8:9]
	v_pk_fma_f32 v[8:9], v[12:13], v[94:95], v[6:7] op_sel:[0,0,1] op_sel_hi:[1,1,0] neg_lo:[0,0,1] neg_hi:[0,0,1]
	v_pk_fma_f32 v[6:7], v[12:13], v[94:95], v[6:7] op_sel:[0,0,1] op_sel_hi:[1,0,0]
	v_mov_b32_e32 v6, v93
	v_mov_b32_e32 v9, v7
	v_pk_mul_f32 v[6:7], v[14:15], v[6:7] op_sel_hi:[1,0]
	v_pk_add_f32 v[4:5], v[4:5], v[8:9]
	v_pk_fma_f32 v[8:9], v[14:15], v[92:93], v[6:7] op_sel:[0,0,1] op_sel_hi:[1,1,0] neg_lo:[0,0,1] neg_hi:[0,0,1]
	v_pk_fma_f32 v[6:7], v[14:15], v[92:93], v[6:7] op_sel:[0,0,1] op_sel_hi:[1,0,0]
	v_mov_b32_e32 v6, v91
	v_mov_b32_e32 v9, v7
	s_waitcnt lgkmcnt(0)
	v_pk_mul_f32 v[6:7], v[16:17], v[6:7] op_sel_hi:[1,0]
	v_pk_add_f32 v[4:5], v[4:5], v[8:9]
	v_pk_fma_f32 v[8:9], v[16:17], v[90:91], v[6:7] op_sel:[0,0,1] op_sel_hi:[1,1,0] neg_lo:[0,0,1] neg_hi:[0,0,1]
	v_pk_fma_f32 v[6:7], v[16:17], v[90:91], v[6:7] op_sel:[0,0,1] op_sel_hi:[1,0,0]
	v_mov_b32_e32 v9, v7
	v_pk_add_f32 v[4:5], v[4:5], v[8:9]
	v_pk_add_f32 v[2:3], v[2:3], v[4:5] neg_lo:[0,1] neg_hi:[0,1]
	buffer_store_dword v3, off, s[0:3], 0 offset:156
	buffer_store_dword v2, off, s[0:3], 0 offset:152
	s_and_saveexec_b64 s[4:5], vcc
	s_cbranch_execz .LBB126_355
; %bb.354:
	buffer_load_dword v2, off, s[0:3], 0 offset:144
	buffer_load_dword v3, off, s[0:3], 0 offset:148
	s_waitcnt vmcnt(0)
	ds_write_b64 v217, v[2:3]
	buffer_store_dword v1, off, s[0:3], 0 offset:144
	buffer_store_dword v1, off, s[0:3], 0 offset:148
.LBB126_355:
	s_or_b64 exec, exec, s[4:5]
	s_waitcnt lgkmcnt(0)
	; wave barrier
	s_waitcnt lgkmcnt(0)
	buffer_load_dword v76, off, s[0:3], 0 offset:156
	buffer_load_dword v78, off, s[0:3], 0 offset:164
	;; [unrolled: 1-line block ×26, first 2 shown]
	ds_read2_b64 v[22:25], v1 offset0:83 offset1:84
	ds_read2_b64 v[18:21], v1 offset0:85 offset1:86
	;; [unrolled: 1-line block ×6, first 2 shown]
	buffer_load_dword v119, off, s[0:3], 0 offset:248
	buffer_load_dword v120, off, s[0:3], 0 offset:252
	buffer_load_dword v121, off, s[0:3], 0 offset:256
	buffer_load_dword v122, off, s[0:3], 0 offset:260
	buffer_load_dword v123, off, s[0:3], 0 offset:264
	buffer_load_dword v124, off, s[0:3], 0 offset:268
	buffer_load_dword v125, off, s[0:3], 0 offset:272
	buffer_load_dword v126, off, s[0:3], 0 offset:276
	buffer_load_dword v127, off, s[0:3], 0 offset:280
	buffer_load_dword v128, off, s[0:3], 0 offset:284
	buffer_load_dword v129, off, s[0:3], 0 offset:288
	buffer_load_dword v130, off, s[0:3], 0 offset:292
	buffer_load_dword v131, off, s[0:3], 0 offset:296
	buffer_load_dword v132, off, s[0:3], 0 offset:300
	buffer_load_dword v133, off, s[0:3], 0 offset:304
	buffer_load_dword v134, off, s[0:3], 0 offset:308
	buffer_load_dword v135, off, s[0:3], 0 offset:312
	buffer_load_dword v136, off, s[0:3], 0 offset:316
	buffer_load_dword v137, off, s[0:3], 0 offset:320
	buffer_load_dword v138, off, s[0:3], 0 offset:324
	buffer_load_dword v139, off, s[0:3], 0 offset:328
	buffer_load_dword v140, off, s[0:3], 0 offset:332
	buffer_load_dword v141, off, s[0:3], 0 offset:336
	buffer_load_dword v142, off, s[0:3], 0 offset:340
	buffer_load_dword v143, off, s[0:3], 0 offset:344
	buffer_load_dword v144, off, s[0:3], 0 offset:348
	buffer_load_dword v145, off, s[0:3], 0 offset:352
	buffer_load_dword v146, off, s[0:3], 0 offset:356
	buffer_load_dword v147, off, s[0:3], 0 offset:360
	buffer_load_dword v148, off, s[0:3], 0 offset:364
	buffer_load_dword v149, off, s[0:3], 0 offset:368
	buffer_load_dword v150, off, s[0:3], 0 offset:372
	buffer_load_dword v151, off, s[0:3], 0 offset:376
	buffer_load_dword v152, off, s[0:3], 0 offset:380
	buffer_load_dword v153, off, s[0:3], 0 offset:384
	buffer_load_dword v154, off, s[0:3], 0 offset:388
	buffer_load_dword v155, off, s[0:3], 0 offset:392
	buffer_load_dword v156, off, s[0:3], 0 offset:396
	buffer_load_dword v157, off, s[0:3], 0 offset:400
	buffer_load_dword v158, off, s[0:3], 0 offset:404
	buffer_load_dword v159, off, s[0:3], 0 offset:408
	buffer_load_dword v160, off, s[0:3], 0 offset:412
	v_cmp_lt_u32_e32 vcc, 17, v0
	s_waitcnt vmcnt(62) lgkmcnt(5)
	v_mul_f32_e32 v28, v22, v76
	v_mul_f32_e32 v29, v24, v78
	s_waitcnt lgkmcnt(4)
	v_mul_f32_e32 v31, v20, v86
	s_waitcnt lgkmcnt(3)
	v_mul_f32_e32 v32, v14, v98
	v_mul_f32_e32 v33, v16, v99
	;; [unrolled: 1-line block ×3, first 2 shown]
	s_waitcnt vmcnt(61) lgkmcnt(2)
	v_mul_f32_e32 v34, v10, v101
	s_waitcnt vmcnt(60)
	v_mul_f32_e32 v35, v12, v102
	s_waitcnt vmcnt(59) lgkmcnt(1)
	v_mul_f32_e32 v36, v6, v103
	s_waitcnt vmcnt(58)
	v_fmac_f32_e32 v30, v19, v104
	s_waitcnt vmcnt(57)
	v_fmac_f32_e32 v29, v25, v105
	;; [unrolled: 2-line block ×3, first 2 shown]
	v_add_f32_e32 v28, 0, v28
	v_add_f32_e32 v28, v28, v29
	;; [unrolled: 1-line block ×3, first 2 shown]
	s_waitcnt vmcnt(52)
	v_fmac_f32_e32 v31, v21, v110
	v_fmac_f32_e32 v32, v15, v109
	v_add_f32_e32 v28, v28, v31
	v_fmac_f32_e32 v33, v17, v108
	v_add_f32_e32 v28, v28, v32
	;; [unrolled: 2-line block ×3, first 2 shown]
	s_waitcnt vmcnt(48)
	v_fmac_f32_e32 v35, v13, v114
	v_add_f32_e32 v28, v28, v34
	v_fmac_f32_e32 v36, v7, v113
	v_add_f32_e32 v28, v28, v35
	s_waitcnt vmcnt(47)
	v_mul_f32_e32 v29, v8, v115
	v_add_f32_e32 v28, v28, v36
	v_fmac_f32_e32 v29, v9, v112
	v_add_f32_e32 v28, v28, v29
	s_waitcnt vmcnt(46) lgkmcnt(0)
	v_mul_f32_e32 v29, v2, v116
	v_fmac_f32_e32 v29, v3, v111
	v_add_f32_e32 v32, v28, v29
	ds_read2_b64 v[28:31], v1 offset0:95 offset1:96
	s_waitcnt vmcnt(42)
	v_mul_f32_e32 v33, v4, v118
	v_fmac_f32_e32 v33, v5, v117
	buffer_load_dword v161, off, s[0:3], 0 offset:416
	buffer_load_dword v162, off, s[0:3], 0 offset:420
	v_add_f32_e32 v36, v32, v33
	buffer_load_dword v163, off, s[0:3], 0 offset:424
	buffer_load_dword v164, off, s[0:3], 0 offset:428
	ds_read2_b64 v[32:35], v1 offset0:97 offset1:98
	s_waitcnt vmcnt(44) lgkmcnt(1)
	v_mul_f32_e32 v37, v28, v120
	v_fmac_f32_e32 v37, v29, v119
	v_add_f32_e32 v36, v36, v37
	s_waitcnt vmcnt(42)
	v_mul_f32_e32 v37, v30, v122
	v_fmac_f32_e32 v37, v31, v121
	v_add_f32_e32 v36, v36, v37
	s_waitcnt vmcnt(40) lgkmcnt(0)
	v_mul_f32_e32 v37, v32, v124
	v_fmac_f32_e32 v37, v33, v123
	buffer_load_dword v165, off, s[0:3], 0 offset:432
	buffer_load_dword v166, off, s[0:3], 0 offset:436
	v_add_f32_e32 v40, v36, v37
	ds_read2_b64 v[36:39], v1 offset0:99 offset1:100
	s_waitcnt vmcnt(40)
	v_mul_f32_e32 v41, v34, v126
	v_fmac_f32_e32 v41, v35, v125
	v_add_f32_e32 v44, v40, v41
	ds_read2_b64 v[40:43], v1 offset0:101 offset1:102
	s_waitcnt vmcnt(38) lgkmcnt(1)
	v_mul_f32_e32 v45, v36, v128
	v_fmac_f32_e32 v45, v37, v127
	v_add_f32_e32 v44, v44, v45
	s_waitcnt vmcnt(36)
	v_mul_f32_e32 v45, v38, v130
	v_fmac_f32_e32 v45, v39, v129
	v_add_f32_e32 v44, v44, v45
	s_waitcnt vmcnt(34) lgkmcnt(0)
	v_mul_f32_e32 v45, v40, v132
	v_fmac_f32_e32 v45, v41, v131
	v_add_f32_e32 v48, v44, v45
	ds_read2_b64 v[44:47], v1 offset0:103 offset1:104
	s_waitcnt vmcnt(32)
	v_mul_f32_e32 v49, v42, v134
	v_fmac_f32_e32 v49, v43, v133
	v_add_f32_e32 v52, v48, v49
	ds_read2_b64 v[48:51], v1 offset0:105 offset1:106
	s_waitcnt vmcnt(30) lgkmcnt(1)
	v_mul_f32_e32 v53, v44, v136
	v_fmac_f32_e32 v53, v45, v135
	v_add_f32_e32 v52, v52, v53
	s_waitcnt vmcnt(28)
	v_mul_f32_e32 v53, v46, v138
	v_fmac_f32_e32 v53, v47, v137
	v_add_f32_e32 v52, v52, v53
	s_waitcnt vmcnt(26) lgkmcnt(0)
	v_mul_f32_e32 v53, v48, v140
	v_fmac_f32_e32 v53, v49, v139
	;; [unrolled: 18-line block ×4, first 2 shown]
	s_waitcnt vmcnt(8)
	v_mul_f32_e32 v73, v66, v158
	v_add_f32_e32 v72, v68, v69
	v_fmac_f32_e32 v73, v67, v157
	ds_read2_b64 v[68:71], v1 offset0:115 offset1:116
	v_add_f32_e32 v77, v72, v73
	ds_read2_b64 v[72:75], v1 offset0:117 offset1:118
	buffer_load_dword v81, off, s[0:3], 0 offset:460
	buffer_load_dword v80, off, s[0:3], 0 offset:456
	;; [unrolled: 1-line block ×16, first 2 shown]
	v_mul_f32_e32 v23, v23, v76
	v_fma_f32 v22, v22, v106, -v23
	v_mul_f32_e32 v23, v25, v78
	v_add_f32_e32 v22, 0, v22
	v_fma_f32 v23, v24, v105, -v23
	v_mul_f32_e32 v19, v19, v100
	v_add_f32_e32 v22, v22, v23
	;; [unrolled: 3-line block ×11, first 2 shown]
	v_fma_f32 v3, v4, v117, -v3
	v_add_f32_e32 v2, v2, v3
	v_mul_f32_e32 v3, v29, v120
	v_fma_f32 v3, v28, v119, -v3
	v_add_f32_e32 v2, v2, v3
	v_mul_f32_e32 v3, v31, v122
	;; [unrolled: 3-line block ×20, first 2 shown]
	v_fma_f32 v3, v66, v157, -v3
	v_add_f32_e32 v2, v2, v3
	s_waitcnt vmcnt(22) lgkmcnt(1)
	v_mul_f32_e32 v3, v69, v160
	v_fma_f32 v3, v68, v159, -v3
	v_add_f32_e32 v2, v2, v3
	s_waitcnt vmcnt(20)
	v_mul_f32_e32 v3, v71, v162
	v_mul_f32_e32 v79, v68, v160
	v_fma_f32 v3, v70, v161, -v3
	v_fmac_f32_e32 v79, v69, v159
	v_add_f32_e32 v76, v2, v3
	s_waitcnt vmcnt(18) lgkmcnt(0)
	v_mul_f32_e32 v2, v73, v164
	v_add_f32_e32 v77, v77, v79
	v_mul_f32_e32 v79, v70, v162
	v_fma_f32 v78, v72, v163, -v2
	s_waitcnt vmcnt(16)
	v_mul_f32_e32 v2, v75, v166
	v_fmac_f32_e32 v79, v71, v161
	v_fma_f32 v86, v74, v165, -v2
	ds_read2_b64 v[2:5], v1 offset0:119 offset1:120
	ds_read2_b64 v[6:9], v1 offset0:121 offset1:122
	;; [unrolled: 1-line block ×4, first 2 shown]
	v_add_f32_e32 v77, v77, v79
	v_mul_f32_e32 v79, v72, v164
	s_waitcnt vmcnt(11)
	v_mov_b32_e32 v20, v85
	v_fmac_f32_e32 v79, v73, v163
	v_mul_f32_e32 v87, v74, v166
	s_waitcnt lgkmcnt(3)
	v_pk_mul_f32 v[20:21], v[2:3], v[20:21] op_sel_hi:[1,0]
	v_fmac_f32_e32 v87, v75, v165
	v_pk_add_f32 v[18:19], v[76:77], v[78:79]
	s_waitcnt vmcnt(10)
	v_pk_fma_f32 v[22:23], v[2:3], v[84:85], v[20:21] op_sel:[0,0,1] op_sel_hi:[1,1,0] neg_lo:[0,0,1] neg_hi:[0,0,1]
	v_pk_fma_f32 v[2:3], v[2:3], v[84:85], v[20:21] op_sel:[0,0,1] op_sel_hi:[1,0,0]
	v_pk_add_f32 v[18:19], v[18:19], v[86:87]
	v_mov_b32_e32 v23, v3
	v_pk_add_f32 v[2:3], v[18:19], v[22:23]
	v_mov_b32_e32 v18, v83
	v_pk_mul_f32 v[18:19], v[4:5], v[18:19] op_sel_hi:[1,0]
	v_pk_fma_f32 v[20:21], v[4:5], v[82:83], v[18:19] op_sel:[0,0,1] op_sel_hi:[1,1,0] neg_lo:[0,0,1] neg_hi:[0,0,1]
	v_pk_fma_f32 v[4:5], v[4:5], v[82:83], v[18:19] op_sel:[0,0,1] op_sel_hi:[1,0,0]
	v_mov_b32_e32 v4, v81
	v_mov_b32_e32 v21, v5
	s_waitcnt lgkmcnt(2)
	v_pk_mul_f32 v[4:5], v[6:7], v[4:5] op_sel_hi:[1,0]
	v_pk_fma_f32 v[18:19], v[6:7], v[80:81], v[4:5] op_sel:[0,0,1] op_sel_hi:[1,1,0] neg_lo:[0,0,1] neg_hi:[0,0,1]
	v_pk_fma_f32 v[4:5], v[6:7], v[80:81], v[4:5] op_sel:[0,0,1] op_sel_hi:[1,0,0]
	s_waitcnt vmcnt(3)
	v_mov_b32_e32 v4, v95
	v_mov_b32_e32 v19, v5
	v_pk_mul_f32 v[4:5], v[8:9], v[4:5] op_sel_hi:[1,0]
	s_waitcnt vmcnt(2)
	v_pk_fma_f32 v[6:7], v[8:9], v[94:95], v[4:5] op_sel:[0,0,1] op_sel_hi:[1,1,0] neg_lo:[0,0,1] neg_hi:[0,0,1]
	v_pk_fma_f32 v[4:5], v[8:9], v[94:95], v[4:5] op_sel:[0,0,1] op_sel_hi:[1,0,0]
	v_pk_add_f32 v[2:3], v[2:3], v[20:21]
	v_mov_b32_e32 v4, v93
	v_pk_add_f32 v[2:3], v[2:3], v[18:19]
	v_mov_b32_e32 v7, v5
	s_waitcnt lgkmcnt(1)
	v_pk_mul_f32 v[4:5], v[10:11], v[4:5] op_sel_hi:[1,0]
	v_pk_add_f32 v[2:3], v[2:3], v[6:7]
	v_pk_fma_f32 v[6:7], v[10:11], v[92:93], v[4:5] op_sel:[0,0,1] op_sel_hi:[1,1,0] neg_lo:[0,0,1] neg_hi:[0,0,1]
	v_pk_fma_f32 v[4:5], v[10:11], v[92:93], v[4:5] op_sel:[0,0,1] op_sel_hi:[1,0,0]
	v_mov_b32_e32 v4, v91
	v_mov_b32_e32 v7, v5
	v_pk_mul_f32 v[4:5], v[12:13], v[4:5] op_sel_hi:[1,0]
	v_pk_add_f32 v[2:3], v[2:3], v[6:7]
	v_pk_fma_f32 v[6:7], v[12:13], v[90:91], v[4:5] op_sel:[0,0,1] op_sel_hi:[1,1,0] neg_lo:[0,0,1] neg_hi:[0,0,1]
	v_pk_fma_f32 v[4:5], v[12:13], v[90:91], v[4:5] op_sel:[0,0,1] op_sel_hi:[1,0,0]
	v_mov_b32_e32 v4, v89
	v_mov_b32_e32 v7, v5
	s_waitcnt lgkmcnt(0)
	v_pk_mul_f32 v[4:5], v[14:15], v[4:5] op_sel_hi:[1,0]
	v_pk_add_f32 v[2:3], v[2:3], v[6:7]
	v_pk_fma_f32 v[6:7], v[14:15], v[88:89], v[4:5] op_sel:[0,0,1] op_sel_hi:[1,1,0] neg_lo:[0,0,1] neg_hi:[0,0,1]
	v_pk_fma_f32 v[4:5], v[14:15], v[88:89], v[4:5] op_sel:[0,0,1] op_sel_hi:[1,0,0]
	s_waitcnt vmcnt(1)
	v_mov_b32_e32 v4, v97
	v_mov_b32_e32 v7, v5
	v_pk_mul_f32 v[4:5], v[16:17], v[4:5] op_sel_hi:[1,0]
	v_pk_add_f32 v[2:3], v[2:3], v[6:7]
	s_waitcnt vmcnt(0)
	v_pk_fma_f32 v[6:7], v[16:17], v[96:97], v[4:5] op_sel:[0,0,1] op_sel_hi:[1,1,0] neg_lo:[0,0,1] neg_hi:[0,0,1]
	v_pk_fma_f32 v[4:5], v[16:17], v[96:97], v[4:5] op_sel:[0,0,1] op_sel_hi:[1,0,0]
	v_mov_b32_e32 v7, v5
	v_pk_add_f32 v[2:3], v[2:3], v[6:7]
	v_pk_add_f32 v[2:3], v[26:27], v[2:3] neg_lo:[0,1] neg_hi:[0,1]
	buffer_store_dword v3, off, s[0:3], 0 offset:148
	buffer_store_dword v2, off, s[0:3], 0 offset:144
	s_and_saveexec_b64 s[4:5], vcc
	s_cbranch_execz .LBB126_357
; %bb.356:
	buffer_load_dword v2, off, s[0:3], 0 offset:136
	buffer_load_dword v3, off, s[0:3], 0 offset:140
	v_mov_b32_e32 v1, 0
	buffer_store_dword v1, off, s[0:3], 0 offset:136
	buffer_store_dword v1, off, s[0:3], 0 offset:140
	s_waitcnt vmcnt(2)
	ds_write_b64 v217, v[2:3]
.LBB126_357:
	s_or_b64 exec, exec, s[4:5]
	v_mov_b32_e32 v102, 0
	s_waitcnt lgkmcnt(0)
	; wave barrier
	s_waitcnt lgkmcnt(0)
	ds_read_b128 v[14:17], v102 offset:656
	ds_read_b128 v[10:13], v102 offset:672
	;; [unrolled: 1-line block ×4, first 2 shown]
	buffer_load_dword v78, off, s[0:3], 0 offset:136
	buffer_load_dword v79, off, s[0:3], 0 offset:140
	;; [unrolled: 1-line block ×18, first 2 shown]
	v_cmp_lt_u32_e32 vcc, 16, v0
	s_waitcnt vmcnt(14) lgkmcnt(3)
	v_mul_f32_e32 v18, v14, v86
	v_fmac_f32_e32 v18, v15, v1
	s_waitcnt vmcnt(12)
	v_mul_f32_e32 v19, v16, v104
	v_add_f32_e32 v18, 0, v18
	v_fmac_f32_e32 v19, v17, v80
	v_add_f32_e32 v18, v18, v19
	s_waitcnt vmcnt(10) lgkmcnt(2)
	v_mul_f32_e32 v19, v10, v106
	v_fmac_f32_e32 v19, v11, v82
	v_add_f32_e32 v18, v18, v19
	s_waitcnt vmcnt(8)
	v_mul_f32_e32 v19, v12, v108
	v_fmac_f32_e32 v19, v13, v103
	v_add_f32_e32 v18, v18, v19
	s_waitcnt vmcnt(6) lgkmcnt(1)
	v_mul_f32_e32 v19, v6, v110
	v_fmac_f32_e32 v19, v7, v105
	v_add_f32_e32 v18, v18, v19
	s_waitcnt vmcnt(4)
	v_mul_f32_e32 v19, v8, v111
	;; [unrolled: 8-line block ×3, first 2 shown]
	v_fmac_f32_e32 v19, v5, v113
	v_add_f32_e32 v22, v18, v19
	ds_read_b128 v[18:21], v102 offset:720
	buffer_load_dword v115, off, s[0:3], 0 offset:208
	buffer_load_dword v116, off, s[0:3], 0 offset:212
	;; [unrolled: 1-line block ×4, first 2 shown]
	v_mul_f32_e32 v15, v15, v86
	v_fma_f32 v1, v14, v1, -v15
	v_mul_f32_e32 v14, v17, v104
	v_add_f32_e32 v1, 0, v1
	v_fma_f32 v14, v16, v80, -v14
	v_mul_f32_e32 v11, v11, v106
	v_add_f32_e32 v1, v1, v14
	v_fma_f32 v10, v10, v82, -v11
	v_add_f32_e32 v1, v1, v10
	v_mul_f32_e32 v10, v13, v108
	v_fma_f32 v10, v12, v103, -v10
	v_mul_f32_e32 v7, v7, v110
	v_add_f32_e32 v1, v1, v10
	v_fma_f32 v6, v6, v105, -v7
	v_add_f32_e32 v1, v1, v6
	v_mul_f32_e32 v6, v9, v111
	;; [unrolled: 6-line block ×3, first 2 shown]
	v_fma_f32 v2, v4, v113, -v2
	v_add_f32_e32 v1, v1, v2
	s_waitcnt vmcnt(2) lgkmcnt(0)
	v_mul_f32_e32 v23, v18, v116
	v_fmac_f32_e32 v23, v19, v115
	v_add_f32_e32 v22, v22, v23
	s_waitcnt vmcnt(0)
	v_mul_f32_e32 v23, v20, v118
	v_fmac_f32_e32 v23, v21, v117
	v_add_f32_e32 v26, v22, v23
	ds_read_b128 v[22:25], v102 offset:736
	buffer_load_dword v119, off, s[0:3], 0 offset:224
	buffer_load_dword v120, off, s[0:3], 0 offset:228
	buffer_load_dword v121, off, s[0:3], 0 offset:232
	buffer_load_dword v122, off, s[0:3], 0 offset:236
	ds_read_b128 v[30:33], v102 offset:752
	buffer_load_dword v123, off, s[0:3], 0 offset:240
	buffer_load_dword v124, off, s[0:3], 0 offset:244
	buffer_load_dword v125, off, s[0:3], 0 offset:248
	buffer_load_dword v126, off, s[0:3], 0 offset:252
	;; [unrolled: 5-line block ×13, first 2 shown]
	v_mul_f32_e32 v2, v19, v116
	v_fma_f32 v2, v18, v115, -v2
	v_add_f32_e32 v1, v1, v2
	v_mul_f32_e32 v2, v21, v118
	v_fma_f32 v2, v20, v117, -v2
	v_add_f32_e32 v1, v1, v2
	s_waitcnt vmcnt(50) lgkmcnt(12)
	v_mul_f32_e32 v27, v22, v120
	v_fmac_f32_e32 v27, v23, v119
	v_add_f32_e32 v26, v26, v27
	s_waitcnt vmcnt(48)
	v_mul_f32_e32 v27, v24, v122
	v_fmac_f32_e32 v27, v25, v121
	v_add_f32_e32 v26, v26, v27
	s_waitcnt vmcnt(46) lgkmcnt(11)
	v_mul_f32_e32 v27, v30, v124
	v_fmac_f32_e32 v27, v31, v123
	v_add_f32_e32 v26, v26, v27
	s_waitcnt vmcnt(44)
	v_mul_f32_e32 v27, v32, v126
	v_fmac_f32_e32 v27, v33, v125
	;; [unrolled: 8-line block ×12, first 2 shown]
	v_add_f32_e32 v26, v26, v27
	s_waitcnt vmcnt(2) lgkmcnt(0)
	v_mul_f32_e32 v27, v74, v168
	v_fmac_f32_e32 v27, v75, v167
	v_add_f32_e32 v81, v26, v27
	ds_read_b128 v[26:29], v102 offset:944
	buffer_load_dword v171, off, s[0:3], 0 offset:432
	buffer_load_dword v172, off, s[0:3], 0 offset:436
	;; [unrolled: 1-line block ×18, first 2 shown]
	v_mul_f32_e32 v2, v23, v120
	v_fma_f32 v2, v22, v119, -v2
	v_add_f32_e32 v1, v1, v2
	v_mul_f32_e32 v2, v25, v122
	v_fma_f32 v2, v24, v121, -v2
	v_add_f32_e32 v1, v1, v2
	;; [unrolled: 3-line block ×24, first 2 shown]
	v_mul_f32_e32 v2, v75, v168
	v_fma_f32 v2, v74, v167, -v2
	s_waitcnt vmcnt(15)
	v_mov_b32_e32 v18, v85
	v_mul_f32_e32 v83, v76, v170
	v_add_f32_e32 v80, v1, v2
	v_mul_f32_e32 v1, v77, v170
	s_waitcnt lgkmcnt(0)
	v_pk_mul_f32 v[18:19], v[28:29], v[18:19] op_sel_hi:[1,0]
	v_fmac_f32_e32 v83, v77, v169
	v_mul_f32_e32 v87, v26, v172
	v_fma_f32 v82, v76, v169, -v1
	v_mul_f32_e32 v1, v27, v172
	ds_read_b128 v[2:5], v102 offset:960
	ds_read_b128 v[6:9], v102 offset:976
	;; [unrolled: 1-line block ×3, first 2 shown]
	ds_read_b64 v[14:15], v102 offset:1008
	s_waitcnt vmcnt(14)
	v_pk_fma_f32 v[20:21], v[28:29], v[84:85], v[18:19] op_sel:[0,0,1] op_sel_hi:[1,1,0] neg_lo:[0,0,1] neg_hi:[0,0,1]
	v_pk_fma_f32 v[18:19], v[28:29], v[84:85], v[18:19] op_sel:[0,0,1] op_sel_hi:[1,0,0]
	v_fmac_f32_e32 v87, v27, v171
	v_fma_f32 v86, v26, v171, -v1
	v_pk_add_f32 v[16:17], v[80:81], v[82:83]
	s_waitcnt vmcnt(13)
	v_mov_b32_e32 v18, v101
	v_pk_add_f32 v[16:17], v[16:17], v[86:87]
	v_mov_b32_e32 v21, v19
	s_waitcnt lgkmcnt(3)
	v_pk_mul_f32 v[18:19], v[2:3], v[18:19] op_sel_hi:[1,0]
	v_pk_add_f32 v[16:17], v[16:17], v[20:21]
	s_waitcnt vmcnt(12)
	v_pk_fma_f32 v[20:21], v[2:3], v[100:101], v[18:19] op_sel:[0,0,1] op_sel_hi:[1,1,0] neg_lo:[0,0,1] neg_hi:[0,0,1]
	v_pk_fma_f32 v[2:3], v[2:3], v[100:101], v[18:19] op_sel:[0,0,1] op_sel_hi:[1,0,0]
	v_mov_b32_e32 v21, v3
	v_pk_add_f32 v[2:3], v[16:17], v[20:21]
	s_waitcnt vmcnt(11)
	v_mov_b32_e32 v16, v99
	v_pk_mul_f32 v[16:17], v[4:5], v[16:17] op_sel_hi:[1,0]
	s_waitcnt vmcnt(10)
	v_pk_fma_f32 v[18:19], v[4:5], v[98:99], v[16:17] op_sel:[0,0,1] op_sel_hi:[1,1,0] neg_lo:[0,0,1] neg_hi:[0,0,1]
	v_pk_fma_f32 v[4:5], v[4:5], v[98:99], v[16:17] op_sel:[0,0,1] op_sel_hi:[1,0,0]
	s_waitcnt vmcnt(9)
	v_mov_b32_e32 v4, v97
	v_mov_b32_e32 v19, v5
	s_waitcnt lgkmcnt(2)
	v_pk_mul_f32 v[4:5], v[6:7], v[4:5] op_sel_hi:[1,0]
	s_waitcnt vmcnt(8)
	v_pk_fma_f32 v[16:17], v[6:7], v[96:97], v[4:5] op_sel:[0,0,1] op_sel_hi:[1,1,0] neg_lo:[0,0,1] neg_hi:[0,0,1]
	v_pk_fma_f32 v[4:5], v[6:7], v[96:97], v[4:5] op_sel:[0,0,1] op_sel_hi:[1,0,0]
	s_waitcnt vmcnt(7)
	v_mov_b32_e32 v4, v95
	v_mov_b32_e32 v17, v5
	v_pk_mul_f32 v[4:5], v[8:9], v[4:5] op_sel_hi:[1,0]
	s_waitcnt vmcnt(6)
	v_pk_fma_f32 v[6:7], v[8:9], v[94:95], v[4:5] op_sel:[0,0,1] op_sel_hi:[1,1,0] neg_lo:[0,0,1] neg_hi:[0,0,1]
	v_pk_fma_f32 v[4:5], v[8:9], v[94:95], v[4:5] op_sel:[0,0,1] op_sel_hi:[1,0,0]
	v_pk_add_f32 v[2:3], v[2:3], v[18:19]
	s_waitcnt vmcnt(5)
	v_mov_b32_e32 v4, v93
	v_pk_add_f32 v[2:3], v[2:3], v[16:17]
	v_mov_b32_e32 v7, v5
	s_waitcnt lgkmcnt(1)
	v_pk_mul_f32 v[4:5], v[10:11], v[4:5] op_sel_hi:[1,0]
	v_pk_add_f32 v[2:3], v[2:3], v[6:7]
	s_waitcnt vmcnt(4)
	v_pk_fma_f32 v[6:7], v[10:11], v[92:93], v[4:5] op_sel:[0,0,1] op_sel_hi:[1,1,0] neg_lo:[0,0,1] neg_hi:[0,0,1]
	v_pk_fma_f32 v[4:5], v[10:11], v[92:93], v[4:5] op_sel:[0,0,1] op_sel_hi:[1,0,0]
	s_waitcnt vmcnt(3)
	v_mov_b32_e32 v4, v91
	v_mov_b32_e32 v7, v5
	v_pk_mul_f32 v[4:5], v[12:13], v[4:5] op_sel_hi:[1,0]
	v_pk_add_f32 v[2:3], v[2:3], v[6:7]
	s_waitcnt vmcnt(2)
	v_pk_fma_f32 v[6:7], v[12:13], v[90:91], v[4:5] op_sel:[0,0,1] op_sel_hi:[1,1,0] neg_lo:[0,0,1] neg_hi:[0,0,1]
	v_pk_fma_f32 v[4:5], v[12:13], v[90:91], v[4:5] op_sel:[0,0,1] op_sel_hi:[1,0,0]
	s_waitcnt vmcnt(1)
	v_mov_b32_e32 v4, v89
	v_mov_b32_e32 v7, v5
	s_waitcnt lgkmcnt(0)
	v_pk_mul_f32 v[4:5], v[14:15], v[4:5] op_sel_hi:[1,0]
	v_pk_add_f32 v[2:3], v[2:3], v[6:7]
	s_waitcnt vmcnt(0)
	v_pk_fma_f32 v[6:7], v[14:15], v[88:89], v[4:5] op_sel:[0,0,1] op_sel_hi:[1,1,0] neg_lo:[0,0,1] neg_hi:[0,0,1]
	v_pk_fma_f32 v[4:5], v[14:15], v[88:89], v[4:5] op_sel:[0,0,1] op_sel_hi:[1,0,0]
	v_mov_b32_e32 v7, v5
	v_pk_add_f32 v[2:3], v[2:3], v[6:7]
	v_pk_add_f32 v[2:3], v[78:79], v[2:3] neg_lo:[0,1] neg_hi:[0,1]
	buffer_store_dword v3, off, s[0:3], 0 offset:140
	buffer_store_dword v2, off, s[0:3], 0 offset:136
	s_and_saveexec_b64 s[4:5], vcc
	s_cbranch_execz .LBB126_359
; %bb.358:
	buffer_load_dword v2, off, s[0:3], 0 offset:128
	buffer_load_dword v3, off, s[0:3], 0 offset:132
	s_waitcnt vmcnt(0)
	ds_write_b64 v217, v[2:3]
	buffer_store_dword v102, off, s[0:3], 0 offset:128
	buffer_store_dword v102, off, s[0:3], 0 offset:132
.LBB126_359:
	s_or_b64 exec, exec, s[4:5]
	s_waitcnt lgkmcnt(0)
	; wave barrier
	s_waitcnt lgkmcnt(0)
	buffer_load_dword v90, off, s[0:3], 0 offset:140
	buffer_load_dword v92, off, s[0:3], 0 offset:148
	;; [unrolled: 1-line block ×32, first 2 shown]
	ds_read2_b64 v[22:25], v102 offset0:81 offset1:82
	ds_read2_b64 v[18:21], v102 offset0:83 offset1:84
	;; [unrolled: 1-line block ×6, first 2 shown]
	buffer_load_dword v133, off, s[0:3], 0 offset:256
	buffer_load_dword v134, off, s[0:3], 0 offset:260
	;; [unrolled: 1-line block ×32, first 2 shown]
	v_cmp_lt_u32_e32 vcc, 15, v0
	s_waitcnt vmcnt(62) lgkmcnt(5)
	v_mul_f32_e32 v31, v22, v90
	v_mul_f32_e32 v32, v24, v92
	s_waitcnt vmcnt(61) lgkmcnt(4)
	v_mul_f32_e32 v34, v20, v30
	s_waitcnt vmcnt(60) lgkmcnt(3)
	v_mul_f32_e32 v35, v14, v29
	s_waitcnt vmcnt(59)
	v_mul_f32_e32 v36, v16, v1
	s_waitcnt vmcnt(58)
	v_mul_f32_e32 v33, v18, v103
	s_waitcnt vmcnt(57) lgkmcnt(2)
	v_mul_f32_e32 v37, v10, v28
	s_waitcnt vmcnt(56)
	v_mul_f32_e32 v38, v12, v110
	s_waitcnt vmcnt(55) lgkmcnt(1)
	v_mul_f32_e32 v39, v6, v111
	s_waitcnt vmcnt(54)
	v_mul_f32_e32 v40, v8, v112
	s_waitcnt vmcnt(53)
	v_fmac_f32_e32 v33, v19, v113
	s_waitcnt vmcnt(52)
	v_fmac_f32_e32 v32, v25, v114
	s_waitcnt vmcnt(51)
	v_fmac_f32_e32 v31, v23, v115
	v_add_f32_e32 v31, 0, v31
	v_add_f32_e32 v31, v31, v32
	;; [unrolled: 1-line block ×3, first 2 shown]
	s_waitcnt vmcnt(47)
	v_fmac_f32_e32 v34, v21, v119
	v_fmac_f32_e32 v35, v15, v118
	v_add_f32_e32 v31, v31, v34
	v_fmac_f32_e32 v36, v17, v117
	v_add_f32_e32 v31, v31, v35
	;; [unrolled: 2-line block ×3, first 2 shown]
	s_waitcnt vmcnt(43)
	v_fmac_f32_e32 v38, v13, v123
	v_add_f32_e32 v31, v31, v37
	v_fmac_f32_e32 v39, v7, v122
	v_add_f32_e32 v31, v31, v38
	;; [unrolled: 2-line block ×3, first 2 shown]
	s_waitcnt vmcnt(42) lgkmcnt(0)
	v_mul_f32_e32 v32, v2, v124
	v_add_f32_e32 v31, v31, v40
	v_fmac_f32_e32 v32, v3, v120
	v_add_f32_e32 v31, v31, v32
	ds_read2_b64 v[32:35], v102 offset0:93 offset1:94
	buffer_load_dword v165, off, s[0:3], 0 offset:384
	buffer_load_dword v166, off, s[0:3], 0 offset:388
	s_waitcnt vmcnt(43)
	v_mul_f32_e32 v36, v4, v125
	s_waitcnt vmcnt(36)
	v_fmac_f32_e32 v36, v5, v132
	v_add_f32_e32 v31, v31, v36
	ds_read2_b64 v[36:39], v102 offset0:95 offset1:96
	buffer_load_dword v167, off, s[0:3], 0 offset:392
	buffer_load_dword v168, off, s[0:3], 0 offset:396
	;; [unrolled: 1-line block ×8, first 2 shown]
	s_waitcnt lgkmcnt(1)
	v_mul_f32_e32 v40, v32, v127
	v_fmac_f32_e32 v40, v33, v126
	v_add_f32_e32 v31, v31, v40
	v_mul_f32_e32 v40, v34, v129
	v_fmac_f32_e32 v40, v35, v128
	v_add_f32_e32 v31, v31, v40
	s_waitcnt lgkmcnt(0)
	v_mul_f32_e32 v40, v36, v131
	v_fmac_f32_e32 v40, v37, v130
	v_add_f32_e32 v31, v31, v40
	buffer_load_dword v175, off, s[0:3], 0 offset:424
	buffer_load_dword v176, off, s[0:3], 0 offset:428
	;; [unrolled: 1-line block ×4, first 2 shown]
	ds_read2_b64 v[40:43], v102 offset0:97 offset1:98
	s_waitcnt vmcnt(44)
	v_mul_f32_e32 v44, v38, v134
	v_fmac_f32_e32 v44, v39, v133
	v_add_f32_e32 v31, v31, v44
	ds_read2_b64 v[44:47], v102 offset0:99 offset1:100
	s_waitcnt vmcnt(42) lgkmcnt(1)
	v_mul_f32_e32 v48, v40, v136
	v_fmac_f32_e32 v48, v41, v135
	v_add_f32_e32 v31, v31, v48
	s_waitcnt vmcnt(40)
	v_mul_f32_e32 v48, v42, v138
	v_fmac_f32_e32 v48, v43, v137
	v_add_f32_e32 v31, v31, v48
	s_waitcnt vmcnt(38) lgkmcnt(0)
	v_mul_f32_e32 v48, v44, v140
	v_fmac_f32_e32 v48, v45, v139
	v_add_f32_e32 v31, v31, v48
	ds_read2_b64 v[48:51], v102 offset0:101 offset1:102
	s_waitcnt vmcnt(36)
	v_mul_f32_e32 v52, v46, v142
	v_fmac_f32_e32 v52, v47, v141
	v_add_f32_e32 v31, v31, v52
	ds_read2_b64 v[52:55], v102 offset0:103 offset1:104
	s_waitcnt vmcnt(34) lgkmcnt(1)
	v_mul_f32_e32 v56, v48, v144
	v_fmac_f32_e32 v56, v49, v143
	v_add_f32_e32 v31, v31, v56
	s_waitcnt vmcnt(32)
	v_mul_f32_e32 v56, v50, v146
	v_fmac_f32_e32 v56, v51, v145
	v_add_f32_e32 v31, v31, v56
	s_waitcnt vmcnt(30) lgkmcnt(0)
	v_mul_f32_e32 v56, v52, v148
	v_fmac_f32_e32 v56, v53, v147
	v_add_f32_e32 v31, v31, v56
	;; [unrolled: 18-line block ×4, first 2 shown]
	ds_read2_b64 v[72:75], v102 offset0:113 offset1:114
	v_mul_f32_e32 v23, v23, v90
	v_fma_f32 v22, v22, v115, -v23
	v_mul_f32_e32 v23, v25, v92
	v_add_f32_e32 v22, 0, v22
	s_waitcnt vmcnt(12)
	v_mul_f32_e32 v76, v70, v166
	v_fmac_f32_e32 v76, v71, v165
	v_add_f32_e32 v31, v31, v76
	ds_read2_b64 v[76:79], v102 offset0:115 offset1:116
	buffer_load_dword v89, off, s[0:3], 0 offset:444
	buffer_load_dword v88, off, s[0:3], 0 offset:440
	s_waitcnt vmcnt(12) lgkmcnt(1)
	v_mul_f32_e32 v80, v72, v168
	v_fmac_f32_e32 v80, v73, v167
	v_add_f32_e32 v31, v31, v80
	s_waitcnt vmcnt(10)
	v_mul_f32_e32 v80, v74, v170
	v_fmac_f32_e32 v80, v75, v169
	v_add_f32_e32 v31, v31, v80
	s_waitcnt vmcnt(8) lgkmcnt(0)
	v_mul_f32_e32 v80, v76, v172
	v_fmac_f32_e32 v80, v77, v171
	s_waitcnt vmcnt(6)
	v_mul_f32_e32 v84, v78, v174
	v_add_f32_e32 v31, v31, v80
	v_fmac_f32_e32 v84, v79, v173
	ds_read2_b64 v[80:83], v102 offset0:117 offset1:118
	v_add_f32_e32 v31, v31, v84
	ds_read2_b64 v[84:87], v102 offset0:119 offset1:120
	buffer_load_dword v95, off, s[0:3], 0 offset:476
	buffer_load_dword v94, off, s[0:3], 0 offset:472
	;; [unrolled: 1-line block ×14, first 2 shown]
	v_fma_f32 v23, v24, v114, -v23
	v_mul_f32_e32 v19, v19, v103
	v_add_f32_e32 v22, v22, v23
	v_fma_f32 v18, v18, v113, -v19
	v_mul_f32_e32 v19, v21, v30
	v_add_f32_e32 v18, v22, v18
	;; [unrolled: 3-line block ×5, first 2 shown]
	v_fma_f32 v10, v10, v116, -v11
	v_add_f32_e32 v1, v1, v10
	v_mul_f32_e32 v10, v13, v110
	v_fma_f32 v10, v12, v123, -v10
	v_mul_f32_e32 v7, v7, v111
	v_add_f32_e32 v1, v1, v10
	v_fma_f32 v6, v6, v122, -v7
	v_add_f32_e32 v1, v1, v6
	v_mul_f32_e32 v6, v9, v112
	v_fma_f32 v6, v8, v121, -v6
	v_mul_f32_e32 v3, v3, v124
	v_add_f32_e32 v1, v1, v6
	v_fma_f32 v2, v2, v120, -v3
	v_add_f32_e32 v1, v1, v2
	v_mul_f32_e32 v2, v5, v125
	v_fma_f32 v2, v4, v132, -v2
	v_add_f32_e32 v1, v1, v2
	v_mul_f32_e32 v2, v33, v127
	;; [unrolled: 3-line block ×25, first 2 shown]
	v_fma_f32 v2, v78, v173, -v2
	s_waitcnt vmcnt(15)
	v_mov_b32_e32 v16, v89
	s_waitcnt lgkmcnt(1)
	v_mul_f32_e32 v91, v80, v176
	v_add_f32_e32 v30, v1, v2
	v_mul_f32_e32 v1, v81, v176
	s_waitcnt lgkmcnt(0)
	v_pk_mul_f32 v[16:17], v[84:85], v[16:17] op_sel_hi:[1,0]
	v_fmac_f32_e32 v91, v81, v175
	v_mul_f32_e32 v93, v82, v178
	v_fma_f32 v90, v80, v175, -v1
	v_mul_f32_e32 v1, v83, v178
	s_waitcnt vmcnt(14)
	v_pk_fma_f32 v[18:19], v[84:85], v[88:89], v[16:17] op_sel:[0,0,1] op_sel_hi:[1,1,0] neg_lo:[0,0,1] neg_hi:[0,0,1]
	v_pk_fma_f32 v[16:17], v[84:85], v[88:89], v[16:17] op_sel:[0,0,1] op_sel_hi:[1,0,0]
	v_fmac_f32_e32 v93, v83, v177
	v_fma_f32 v92, v82, v177, -v1
	v_pk_add_f32 v[14:15], v[30:31], v[90:91]
	s_waitcnt vmcnt(7)
	v_mov_b32_e32 v16, v101
	ds_read2_b64 v[2:5], v102 offset0:121 offset1:122
	ds_read2_b64 v[6:9], v102 offset0:123 offset1:124
	;; [unrolled: 1-line block ×3, first 2 shown]
	v_pk_add_f32 v[14:15], v[14:15], v[92:93]
	v_mov_b32_e32 v19, v17
	v_pk_mul_f32 v[16:17], v[86:87], v[16:17] op_sel_hi:[1,0]
	v_pk_add_f32 v[14:15], v[14:15], v[18:19]
	s_waitcnt vmcnt(6)
	v_pk_fma_f32 v[18:19], v[86:87], v[100:101], v[16:17] op_sel:[0,0,1] op_sel_hi:[1,1,0] neg_lo:[0,0,1] neg_hi:[0,0,1]
	v_pk_fma_f32 v[16:17], v[86:87], v[100:101], v[16:17] op_sel:[0,0,1] op_sel_hi:[1,0,0]
	v_mov_b32_e32 v16, v99
	v_mov_b32_e32 v19, v17
	s_waitcnt lgkmcnt(2)
	v_pk_mul_f32 v[16:17], v[2:3], v[16:17] op_sel_hi:[1,0]
	v_pk_add_f32 v[14:15], v[14:15], v[18:19]
	v_pk_fma_f32 v[18:19], v[2:3], v[98:99], v[16:17] op_sel:[0,0,1] op_sel_hi:[1,1,0] neg_lo:[0,0,1] neg_hi:[0,0,1]
	v_pk_fma_f32 v[2:3], v[2:3], v[98:99], v[16:17] op_sel:[0,0,1] op_sel_hi:[1,0,0]
	v_mov_b32_e32 v19, v3
	v_pk_add_f32 v[2:3], v[14:15], v[18:19]
	v_mov_b32_e32 v14, v97
	v_pk_mul_f32 v[14:15], v[4:5], v[14:15] op_sel_hi:[1,0]
	v_pk_fma_f32 v[16:17], v[4:5], v[96:97], v[14:15] op_sel:[0,0,1] op_sel_hi:[1,1,0] neg_lo:[0,0,1] neg_hi:[0,0,1]
	v_pk_fma_f32 v[4:5], v[4:5], v[96:97], v[14:15] op_sel:[0,0,1] op_sel_hi:[1,0,0]
	v_mov_b32_e32 v4, v95
	v_mov_b32_e32 v17, v5
	s_waitcnt lgkmcnt(1)
	v_pk_mul_f32 v[4:5], v[6:7], v[4:5] op_sel_hi:[1,0]
	v_pk_fma_f32 v[14:15], v[6:7], v[94:95], v[4:5] op_sel:[0,0,1] op_sel_hi:[1,1,0] neg_lo:[0,0,1] neg_hi:[0,0,1]
	v_pk_fma_f32 v[4:5], v[6:7], v[94:95], v[4:5] op_sel:[0,0,1] op_sel_hi:[1,0,0]
	s_waitcnt vmcnt(1)
	v_mov_b32_e32 v4, v109
	v_mov_b32_e32 v15, v5
	v_pk_mul_f32 v[4:5], v[8:9], v[4:5] op_sel_hi:[1,0]
	s_waitcnt vmcnt(0)
	v_pk_fma_f32 v[6:7], v[8:9], v[108:109], v[4:5] op_sel:[0,0,1] op_sel_hi:[1,1,0] neg_lo:[0,0,1] neg_hi:[0,0,1]
	v_pk_fma_f32 v[4:5], v[8:9], v[108:109], v[4:5] op_sel:[0,0,1] op_sel_hi:[1,0,0]
	v_pk_add_f32 v[2:3], v[2:3], v[16:17]
	v_mov_b32_e32 v4, v107
	v_pk_add_f32 v[2:3], v[2:3], v[14:15]
	v_mov_b32_e32 v7, v5
	s_waitcnt lgkmcnt(0)
	v_pk_mul_f32 v[4:5], v[10:11], v[4:5] op_sel_hi:[1,0]
	v_pk_add_f32 v[2:3], v[2:3], v[6:7]
	v_pk_fma_f32 v[6:7], v[10:11], v[106:107], v[4:5] op_sel:[0,0,1] op_sel_hi:[1,1,0] neg_lo:[0,0,1] neg_hi:[0,0,1]
	v_pk_fma_f32 v[4:5], v[10:11], v[106:107], v[4:5] op_sel:[0,0,1] op_sel_hi:[1,0,0]
	v_mov_b32_e32 v4, v105
	v_mov_b32_e32 v7, v5
	v_pk_mul_f32 v[4:5], v[12:13], v[4:5] op_sel_hi:[1,0]
	v_pk_add_f32 v[2:3], v[2:3], v[6:7]
	v_pk_fma_f32 v[6:7], v[12:13], v[104:105], v[4:5] op_sel:[0,0,1] op_sel_hi:[1,1,0] neg_lo:[0,0,1] neg_hi:[0,0,1]
	v_pk_fma_f32 v[4:5], v[12:13], v[104:105], v[4:5] op_sel:[0,0,1] op_sel_hi:[1,0,0]
	v_mov_b32_e32 v7, v5
	v_pk_add_f32 v[2:3], v[2:3], v[6:7]
	v_pk_add_f32 v[2:3], v[26:27], v[2:3] neg_lo:[0,1] neg_hi:[0,1]
	buffer_store_dword v3, off, s[0:3], 0 offset:132
	buffer_store_dword v2, off, s[0:3], 0 offset:128
	s_and_saveexec_b64 s[4:5], vcc
	s_cbranch_execz .LBB126_361
; %bb.360:
	buffer_load_dword v2, off, s[0:3], 0 offset:120
	buffer_load_dword v3, off, s[0:3], 0 offset:124
	v_mov_b32_e32 v1, 0
	buffer_store_dword v1, off, s[0:3], 0 offset:120
	buffer_store_dword v1, off, s[0:3], 0 offset:124
	s_waitcnt vmcnt(2)
	ds_write_b64 v217, v[2:3]
.LBB126_361:
	s_or_b64 exec, exec, s[4:5]
	s_waitcnt lgkmcnt(0)
	; wave barrier
	s_waitcnt lgkmcnt(0)
	buffer_load_dword v33, off, s[0:3], 0 offset:132
	buffer_load_dword v32, off, s[0:3], 0 offset:140
	buffer_load_dword v31, off, s[0:3], 0 offset:156
	buffer_load_dword v30, off, s[0:3], 0 offset:164
	buffer_load_dword v28, off, s[0:3], 0 offset:172
	buffer_load_dword v34, off, s[0:3], 0 offset:148
	buffer_load_dword v29, off, s[0:3], 0 offset:180
	buffer_load_dword v92, off, s[0:3], 0 offset:188
	buffer_load_dword v94, off, s[0:3], 0 offset:196
	buffer_load_dword v112, off, s[0:3], 0 offset:204
	buffer_load_dword v113, off, s[0:3], 0 offset:144
	buffer_load_dword v114, off, s[0:3], 0 offset:136
	buffer_load_dword v115, off, s[0:3], 0 offset:128
	buffer_load_dword v116, off, s[0:3], 0 offset:176
	buffer_load_dword v117, off, s[0:3], 0 offset:168
	buffer_load_dword v118, off, s[0:3], 0 offset:160
	buffer_load_dword v119, off, s[0:3], 0 offset:152
	buffer_load_dword v120, off, s[0:3], 0 offset:208
	buffer_load_dword v121, off, s[0:3], 0 offset:200
	buffer_load_dword v122, off, s[0:3], 0 offset:192
	buffer_load_dword v123, off, s[0:3], 0 offset:184
	buffer_load_dword v124, off, s[0:3], 0 offset:212
	buffer_load_dword v125, off, s[0:3], 0 offset:224
	buffer_load_dword v126, off, s[0:3], 0 offset:228
	buffer_load_dword v127, off, s[0:3], 0 offset:232
	buffer_load_dword v128, off, s[0:3], 0 offset:236
	buffer_load_dword v129, off, s[0:3], 0 offset:240
	buffer_load_dword v130, off, s[0:3], 0 offset:244
	buffer_load_dword v131, off, s[0:3], 0 offset:220
	buffer_load_dword v132, off, s[0:3], 0 offset:216
	buffer_load_dword v26, off, s[0:3], 0 offset:120
	buffer_load_dword v27, off, s[0:3], 0 offset:124
	buffer_load_dword v133, off, s[0:3], 0 offset:248
	buffer_load_dword v134, off, s[0:3], 0 offset:252
	buffer_load_dword v135, off, s[0:3], 0 offset:256
	buffer_load_dword v136, off, s[0:3], 0 offset:260
	buffer_load_dword v137, off, s[0:3], 0 offset:264
	buffer_load_dword v138, off, s[0:3], 0 offset:268
	buffer_load_dword v139, off, s[0:3], 0 offset:272
	buffer_load_dword v140, off, s[0:3], 0 offset:276
	buffer_load_dword v141, off, s[0:3], 0 offset:280
	buffer_load_dword v142, off, s[0:3], 0 offset:284
	buffer_load_dword v143, off, s[0:3], 0 offset:288
	buffer_load_dword v144, off, s[0:3], 0 offset:292
	buffer_load_dword v145, off, s[0:3], 0 offset:296
	buffer_load_dword v146, off, s[0:3], 0 offset:300
	buffer_load_dword v147, off, s[0:3], 0 offset:304
	buffer_load_dword v148, off, s[0:3], 0 offset:308
	v_mov_b32_e32 v1, 0
	ds_read_b128 v[22:25], v1 offset:640
	ds_read_b128 v[18:21], v1 offset:656
	;; [unrolled: 1-line block ×6, first 2 shown]
	buffer_load_dword v149, off, s[0:3], 0 offset:312
	buffer_load_dword v150, off, s[0:3], 0 offset:316
	;; [unrolled: 1-line block ×12, first 2 shown]
	v_cmp_lt_u32_e32 vcc, 14, v0
	s_waitcnt vmcnt(59) lgkmcnt(5)
	v_mul_f32_e32 v35, v22, v33
	s_waitcnt vmcnt(58)
	v_mul_f32_e32 v36, v24, v32
	s_waitcnt vmcnt(57) lgkmcnt(4)
	v_mul_f32_e32 v38, v20, v31
	s_waitcnt vmcnt(56) lgkmcnt(3)
	v_mul_f32_e32 v39, v14, v30
	s_waitcnt vmcnt(55)
	v_mul_f32_e32 v40, v16, v28
	s_waitcnt vmcnt(54)
	v_mul_f32_e32 v37, v18, v34
	s_waitcnt vmcnt(53) lgkmcnt(2)
	v_mul_f32_e32 v41, v10, v29
	s_waitcnt vmcnt(52)
	v_mul_f32_e32 v42, v12, v92
	s_waitcnt vmcnt(51) lgkmcnt(1)
	v_mul_f32_e32 v43, v6, v94
	s_waitcnt vmcnt(50)
	v_mul_f32_e32 v44, v8, v112
	s_waitcnt vmcnt(49)
	v_fmac_f32_e32 v37, v19, v113
	s_waitcnt vmcnt(48)
	v_fmac_f32_e32 v36, v25, v114
	;; [unrolled: 2-line block ×3, first 2 shown]
	v_add_f32_e32 v35, 0, v35
	v_add_f32_e32 v35, v35, v36
	;; [unrolled: 1-line block ×3, first 2 shown]
	s_waitcnt vmcnt(43)
	v_fmac_f32_e32 v38, v21, v119
	v_fmac_f32_e32 v39, v15, v118
	v_add_f32_e32 v35, v35, v38
	v_fmac_f32_e32 v40, v17, v117
	v_add_f32_e32 v35, v35, v39
	;; [unrolled: 2-line block ×3, first 2 shown]
	s_waitcnt vmcnt(39)
	v_fmac_f32_e32 v42, v13, v123
	v_add_f32_e32 v35, v35, v41
	v_fmac_f32_e32 v43, v7, v122
	v_add_f32_e32 v35, v35, v42
	;; [unrolled: 2-line block ×3, first 2 shown]
	s_waitcnt vmcnt(38) lgkmcnt(0)
	v_mul_f32_e32 v36, v2, v124
	v_add_f32_e32 v35, v35, v44
	v_fmac_f32_e32 v36, v3, v120
	v_add_f32_e32 v35, v35, v36
	ds_read_b128 v[36:39], v1 offset:736
	buffer_load_dword v161, off, s[0:3], 0 offset:360
	buffer_load_dword v162, off, s[0:3], 0 offset:364
	;; [unrolled: 1-line block ×4, first 2 shown]
	s_waitcnt vmcnt(35)
	v_mul_f32_e32 v40, v4, v131
	s_waitcnt vmcnt(34)
	v_fmac_f32_e32 v40, v5, v132
	v_add_f32_e32 v35, v35, v40
	ds_read_b128 v[40:43], v1 offset:752
	buffer_load_dword v165, off, s[0:3], 0 offset:376
	buffer_load_dword v166, off, s[0:3], 0 offset:380
	buffer_load_dword v167, off, s[0:3], 0 offset:384
	buffer_load_dword v168, off, s[0:3], 0 offset:388
	buffer_load_dword v169, off, s[0:3], 0 offset:392
	buffer_load_dword v170, off, s[0:3], 0 offset:396
	buffer_load_dword v171, off, s[0:3], 0 offset:400
	buffer_load_dword v172, off, s[0:3], 0 offset:404
	buffer_load_dword v173, off, s[0:3], 0 offset:408
	buffer_load_dword v174, off, s[0:3], 0 offset:412
	s_waitcnt lgkmcnt(1)
	v_mul_f32_e32 v44, v36, v126
	v_fmac_f32_e32 v44, v37, v125
	v_add_f32_e32 v35, v35, v44
	v_mul_f32_e32 v44, v38, v128
	v_fmac_f32_e32 v44, v39, v127
	v_add_f32_e32 v35, v35, v44
	s_waitcnt lgkmcnt(0)
	v_mul_f32_e32 v44, v40, v130
	v_fmac_f32_e32 v44, v41, v129
	v_add_f32_e32 v35, v35, v44
	buffer_load_dword v175, off, s[0:3], 0 offset:416
	buffer_load_dword v176, off, s[0:3], 0 offset:420
	;; [unrolled: 1-line block ×6, first 2 shown]
	ds_read_b128 v[44:47], v1 offset:768
	s_waitcnt vmcnt(46)
	v_mul_f32_e32 v48, v42, v134
	v_fmac_f32_e32 v48, v43, v133
	v_add_f32_e32 v35, v35, v48
	ds_read_b128 v[48:51], v1 offset:784
	s_waitcnt vmcnt(44) lgkmcnt(1)
	v_mul_f32_e32 v52, v44, v136
	v_fmac_f32_e32 v52, v45, v135
	v_add_f32_e32 v35, v35, v52
	s_waitcnt vmcnt(42)
	v_mul_f32_e32 v52, v46, v138
	v_fmac_f32_e32 v52, v47, v137
	v_add_f32_e32 v35, v35, v52
	s_waitcnt vmcnt(40) lgkmcnt(0)
	v_mul_f32_e32 v52, v48, v140
	v_fmac_f32_e32 v52, v49, v139
	v_add_f32_e32 v35, v35, v52
	ds_read_b128 v[52:55], v1 offset:800
	s_waitcnt vmcnt(38)
	v_mul_f32_e32 v56, v50, v142
	v_fmac_f32_e32 v56, v51, v141
	v_add_f32_e32 v35, v35, v56
	ds_read_b128 v[56:59], v1 offset:816
	s_waitcnt vmcnt(36) lgkmcnt(1)
	v_mul_f32_e32 v60, v52, v144
	v_fmac_f32_e32 v60, v53, v143
	v_add_f32_e32 v35, v35, v60
	s_waitcnt vmcnt(34)
	v_mul_f32_e32 v60, v54, v146
	v_fmac_f32_e32 v60, v55, v145
	v_add_f32_e32 v35, v35, v60
	s_waitcnt vmcnt(32) lgkmcnt(0)
	v_mul_f32_e32 v60, v56, v148
	v_fmac_f32_e32 v60, v57, v147
	v_add_f32_e32 v35, v35, v60
	;; [unrolled: 18-line block ×3, first 2 shown]
	ds_read_b128 v[68:71], v1 offset:864
	s_waitcnt vmcnt(22)
	v_mul_f32_e32 v72, v66, v158
	v_fmac_f32_e32 v72, v67, v157
	v_add_f32_e32 v35, v35, v72
	ds_read_b128 v[72:75], v1 offset:880
	s_waitcnt vmcnt(20) lgkmcnt(1)
	v_mul_f32_e32 v76, v68, v160
	v_fmac_f32_e32 v76, v69, v159
	v_add_f32_e32 v35, v35, v76
	v_mul_f32_e32 v23, v23, v33
	v_fma_f32 v22, v22, v115, -v23
	v_mul_f32_e32 v23, v25, v32
	v_add_f32_e32 v22, 0, v22
	v_fma_f32 v23, v24, v114, -v23
	v_mul_f32_e32 v19, v19, v34
	v_add_f32_e32 v22, v22, v23
	v_fma_f32 v18, v18, v113, -v19
	v_mul_f32_e32 v19, v21, v31
	s_waitcnt vmcnt(18)
	v_mul_f32_e32 v76, v70, v162
	v_fmac_f32_e32 v76, v71, v161
	v_add_f32_e32 v35, v35, v76
	s_waitcnt vmcnt(16) lgkmcnt(0)
	v_mul_f32_e32 v76, v72, v164
	v_fmac_f32_e32 v76, v73, v163
	v_add_f32_e32 v35, v35, v76
	ds_read_b128 v[76:79], v1 offset:896
	s_waitcnt vmcnt(14)
	v_mul_f32_e32 v80, v74, v166
	v_fmac_f32_e32 v80, v75, v165
	v_add_f32_e32 v35, v35, v80
	ds_read_b128 v[80:83], v1 offset:912
	s_waitcnt vmcnt(12) lgkmcnt(1)
	v_mul_f32_e32 v84, v76, v168
	v_fmac_f32_e32 v84, v77, v167
	v_add_f32_e32 v35, v35, v84
	s_waitcnt vmcnt(10)
	v_mul_f32_e32 v84, v78, v170
	v_fmac_f32_e32 v84, v79, v169
	v_add_f32_e32 v35, v35, v84
	s_waitcnt vmcnt(8) lgkmcnt(0)
	v_mul_f32_e32 v84, v80, v172
	v_fmac_f32_e32 v84, v81, v171
	s_waitcnt vmcnt(6)
	v_mul_f32_e32 v88, v82, v174
	v_add_f32_e32 v35, v35, v84
	v_fmac_f32_e32 v88, v83, v173
	ds_read_b128 v[84:87], v1 offset:928
	v_add_f32_e32 v35, v35, v88
	ds_read_b128 v[88:91], v1 offset:944
	buffer_load_dword v97, off, s[0:3], 0 offset:468
	buffer_load_dword v96, off, s[0:3], 0 offset:464
	;; [unrolled: 1-line block ×16, first 2 shown]
	v_add_f32_e32 v18, v22, v18
	v_fma_f32 v19, v20, v119, -v19
	v_mul_f32_e32 v15, v15, v30
	v_add_f32_e32 v18, v18, v19
	v_fma_f32 v14, v14, v118, -v15
	v_mul_f32_e32 v15, v17, v28
	;; [unrolled: 3-line block ×8, first 2 shown]
	v_add_f32_e32 v2, v6, v2
	v_fma_f32 v3, v4, v132, -v3
	v_add_f32_e32 v2, v2, v3
	v_mul_f32_e32 v3, v37, v126
	v_fma_f32 v3, v36, v125, -v3
	v_add_f32_e32 v2, v2, v3
	v_mul_f32_e32 v3, v39, v128
	;; [unrolled: 3-line block ×24, first 2 shown]
	v_fma_f32 v3, v82, v173, -v3
	v_add_f32_e32 v2, v2, v3
	s_waitcnt vmcnt(20) lgkmcnt(1)
	v_mul_f32_e32 v3, v85, v176
	v_mul_f32_e32 v93, v84, v176
	v_fma_f32 v3, v84, v175, -v3
	v_fmac_f32_e32 v93, v85, v175
	v_add_f32_e32 v34, v2, v3
	s_waitcnt vmcnt(18)
	v_mul_f32_e32 v2, v87, v178
	s_waitcnt vmcnt(9)
	v_mov_b32_e32 v18, v103
	v_add_f32_e32 v35, v35, v93
	v_mul_f32_e32 v93, v86, v178
	v_fma_f32 v92, v86, v177, -v2
	s_waitcnt lgkmcnt(0)
	v_mul_f32_e32 v2, v89, v180
	v_pk_mul_f32 v[18:19], v[90:91], v[18:19] op_sel_hi:[1,0]
	v_fmac_f32_e32 v93, v87, v177
	v_mul_f32_e32 v95, v88, v180
	v_fma_f32 v94, v88, v179, -v2
	ds_read_b128 v[2:5], v1 offset:960
	ds_read_b128 v[6:9], v1 offset:976
	;; [unrolled: 1-line block ×3, first 2 shown]
	ds_read_b64 v[14:15], v1 offset:1008
	s_waitcnt vmcnt(8)
	v_pk_fma_f32 v[20:21], v[90:91], v[102:103], v[18:19] op_sel:[0,0,1] op_sel_hi:[1,1,0] neg_lo:[0,0,1] neg_hi:[0,0,1]
	v_pk_fma_f32 v[18:19], v[90:91], v[102:103], v[18:19] op_sel:[0,0,1] op_sel_hi:[1,0,0]
	v_fmac_f32_e32 v95, v89, v179
	v_pk_add_f32 v[16:17], v[34:35], v[92:93]
	v_mov_b32_e32 v18, v101
	v_pk_add_f32 v[16:17], v[16:17], v[94:95]
	v_mov_b32_e32 v21, v19
	s_waitcnt lgkmcnt(3)
	v_pk_mul_f32 v[18:19], v[2:3], v[18:19] op_sel_hi:[1,0]
	v_pk_add_f32 v[16:17], v[16:17], v[20:21]
	v_pk_fma_f32 v[20:21], v[2:3], v[100:101], v[18:19] op_sel:[0,0,1] op_sel_hi:[1,1,0] neg_lo:[0,0,1] neg_hi:[0,0,1]
	v_pk_fma_f32 v[2:3], v[2:3], v[100:101], v[18:19] op_sel:[0,0,1] op_sel_hi:[1,0,0]
	v_mov_b32_e32 v21, v3
	v_pk_add_f32 v[2:3], v[16:17], v[20:21]
	v_mov_b32_e32 v16, v99
	v_pk_mul_f32 v[16:17], v[4:5], v[16:17] op_sel_hi:[1,0]
	v_pk_fma_f32 v[18:19], v[4:5], v[98:99], v[16:17] op_sel:[0,0,1] op_sel_hi:[1,1,0] neg_lo:[0,0,1] neg_hi:[0,0,1]
	v_pk_fma_f32 v[4:5], v[4:5], v[98:99], v[16:17] op_sel:[0,0,1] op_sel_hi:[1,0,0]
	v_mov_b32_e32 v4, v97
	v_mov_b32_e32 v19, v5
	s_waitcnt lgkmcnt(2)
	v_pk_mul_f32 v[4:5], v[6:7], v[4:5] op_sel_hi:[1,0]
	v_pk_fma_f32 v[16:17], v[6:7], v[96:97], v[4:5] op_sel:[0,0,1] op_sel_hi:[1,1,0] neg_lo:[0,0,1] neg_hi:[0,0,1]
	v_pk_fma_f32 v[4:5], v[6:7], v[96:97], v[4:5] op_sel:[0,0,1] op_sel_hi:[1,0,0]
	s_waitcnt vmcnt(1)
	v_mov_b32_e32 v4, v111
	v_mov_b32_e32 v17, v5
	v_pk_mul_f32 v[4:5], v[8:9], v[4:5] op_sel_hi:[1,0]
	s_waitcnt vmcnt(0)
	v_pk_fma_f32 v[6:7], v[8:9], v[110:111], v[4:5] op_sel:[0,0,1] op_sel_hi:[1,1,0] neg_lo:[0,0,1] neg_hi:[0,0,1]
	v_pk_fma_f32 v[4:5], v[8:9], v[110:111], v[4:5] op_sel:[0,0,1] op_sel_hi:[1,0,0]
	v_pk_add_f32 v[2:3], v[2:3], v[18:19]
	v_mov_b32_e32 v4, v109
	v_pk_add_f32 v[2:3], v[2:3], v[16:17]
	v_mov_b32_e32 v7, v5
	s_waitcnt lgkmcnt(1)
	v_pk_mul_f32 v[4:5], v[10:11], v[4:5] op_sel_hi:[1,0]
	v_pk_add_f32 v[2:3], v[2:3], v[6:7]
	v_pk_fma_f32 v[6:7], v[10:11], v[108:109], v[4:5] op_sel:[0,0,1] op_sel_hi:[1,1,0] neg_lo:[0,0,1] neg_hi:[0,0,1]
	v_pk_fma_f32 v[4:5], v[10:11], v[108:109], v[4:5] op_sel:[0,0,1] op_sel_hi:[1,0,0]
	v_mov_b32_e32 v4, v107
	v_mov_b32_e32 v7, v5
	v_pk_mul_f32 v[4:5], v[12:13], v[4:5] op_sel_hi:[1,0]
	v_pk_add_f32 v[2:3], v[2:3], v[6:7]
	v_pk_fma_f32 v[6:7], v[12:13], v[106:107], v[4:5] op_sel:[0,0,1] op_sel_hi:[1,1,0] neg_lo:[0,0,1] neg_hi:[0,0,1]
	v_pk_fma_f32 v[4:5], v[12:13], v[106:107], v[4:5] op_sel:[0,0,1] op_sel_hi:[1,0,0]
	v_mov_b32_e32 v4, v105
	v_mov_b32_e32 v7, v5
	s_waitcnt lgkmcnt(0)
	v_pk_mul_f32 v[4:5], v[14:15], v[4:5] op_sel_hi:[1,0]
	v_pk_add_f32 v[2:3], v[2:3], v[6:7]
	v_pk_fma_f32 v[6:7], v[14:15], v[104:105], v[4:5] op_sel:[0,0,1] op_sel_hi:[1,1,0] neg_lo:[0,0,1] neg_hi:[0,0,1]
	v_pk_fma_f32 v[4:5], v[14:15], v[104:105], v[4:5] op_sel:[0,0,1] op_sel_hi:[1,0,0]
	v_mov_b32_e32 v7, v5
	v_pk_add_f32 v[2:3], v[2:3], v[6:7]
	v_pk_add_f32 v[2:3], v[26:27], v[2:3] neg_lo:[0,1] neg_hi:[0,1]
	buffer_store_dword v3, off, s[0:3], 0 offset:124
	buffer_store_dword v2, off, s[0:3], 0 offset:120
	s_and_saveexec_b64 s[4:5], vcc
	s_cbranch_execz .LBB126_363
; %bb.362:
	buffer_load_dword v2, off, s[0:3], 0 offset:112
	buffer_load_dword v3, off, s[0:3], 0 offset:116
	s_waitcnt vmcnt(0)
	ds_write_b64 v217, v[2:3]
	buffer_store_dword v1, off, s[0:3], 0 offset:112
	buffer_store_dword v1, off, s[0:3], 0 offset:116
.LBB126_363:
	s_or_b64 exec, exec, s[4:5]
	s_waitcnt lgkmcnt(0)
	; wave barrier
	s_waitcnt lgkmcnt(0)
	buffer_load_dword v41, off, s[0:3], 0 offset:124
	buffer_load_dword v40, off, s[0:3], 0 offset:132
	;; [unrolled: 1-line block ×32, first 2 shown]
	ds_read2_b64 v[22:25], v1 offset0:79 offset1:80
	ds_read2_b64 v[18:21], v1 offset0:81 offset1:82
	ds_read2_b64 v[14:17], v1 offset0:83 offset1:84
	ds_read2_b64 v[10:13], v1 offset0:85 offset1:86
	ds_read2_b64 v[6:9], v1 offset0:87 offset1:88
	ds_read2_b64 v[2:5], v1 offset0:89 offset1:90
	buffer_load_dword v133, off, s[0:3], 0 offset:240
	buffer_load_dword v134, off, s[0:3], 0 offset:244
	;; [unrolled: 1-line block ×26, first 2 shown]
	v_cmp_lt_u32_e32 vcc, 13, v0
	s_waitcnt vmcnt(57) lgkmcnt(5)
	v_mul_f32_e32 v26, v22, v41
	s_waitcnt vmcnt(56)
	v_mul_f32_e32 v27, v24, v40
	s_waitcnt vmcnt(55) lgkmcnt(4)
	v_mul_f32_e32 v29, v20, v39
	s_waitcnt vmcnt(54) lgkmcnt(3)
	v_mul_f32_e32 v30, v14, v38
	s_waitcnt vmcnt(53)
	v_mul_f32_e32 v31, v16, v36
	s_waitcnt vmcnt(52)
	v_mul_f32_e32 v28, v18, v42
	s_waitcnt vmcnt(51) lgkmcnt(2)
	v_mul_f32_e32 v32, v10, v37
	s_waitcnt vmcnt(50)
	v_mul_f32_e32 v33, v12, v43
	s_waitcnt vmcnt(49) lgkmcnt(1)
	;; [unrolled: 4-line block ×3, first 2 shown]
	v_mul_f32_e32 v46, v2, v102
	s_waitcnt vmcnt(46)
	v_fmac_f32_e32 v28, v19, v114
	s_waitcnt vmcnt(45)
	v_fmac_f32_e32 v27, v25, v115
	s_waitcnt vmcnt(44)
	v_fmac_f32_e32 v26, v23, v116
	v_add_f32_e32 v26, 0, v26
	v_add_f32_e32 v26, v26, v27
	;; [unrolled: 1-line block ×3, first 2 shown]
	s_waitcnt vmcnt(40)
	v_fmac_f32_e32 v29, v21, v120
	v_fmac_f32_e32 v30, v15, v119
	v_add_f32_e32 v26, v26, v29
	v_fmac_f32_e32 v31, v17, v118
	v_add_f32_e32 v26, v26, v30
	;; [unrolled: 2-line block ×3, first 2 shown]
	s_waitcnt vmcnt(36)
	v_fmac_f32_e32 v33, v13, v124
	v_add_f32_e32 v26, v26, v32
	v_fmac_f32_e32 v44, v7, v123
	v_add_f32_e32 v26, v26, v33
	;; [unrolled: 2-line block ×4, first 2 shown]
	s_waitcnt vmcnt(30)
	v_mul_f32_e32 v27, v4, v130
	v_add_f32_e32 v26, v26, v46
	s_waitcnt vmcnt(29)
	v_fmac_f32_e32 v27, v5, v131
	v_add_f32_e32 v44, v26, v27
	ds_read2_b64 v[26:29], v1 offset0:91 offset1:92
	buffer_load_dword v159, off, s[0:3], 0 offset:344
	buffer_load_dword v160, off, s[0:3], 0 offset:348
	ds_read2_b64 v[30:33], v1 offset0:93 offset1:94
	buffer_load_dword v161, off, s[0:3], 0 offset:352
	buffer_load_dword v162, off, s[0:3], 0 offset:356
	;; [unrolled: 1-line block ×14, first 2 shown]
	s_waitcnt vmcnt(44) lgkmcnt(1)
	v_mul_f32_e32 v45, v26, v132
	v_fmac_f32_e32 v45, v27, v129
	v_add_f32_e32 v44, v44, v45
	v_mul_f32_e32 v45, v28, v126
	v_fmac_f32_e32 v45, v29, v125
	v_add_f32_e32 v44, v44, v45
	s_waitcnt lgkmcnt(0)
	v_mul_f32_e32 v45, v30, v128
	v_fmac_f32_e32 v45, v31, v127
	v_add_f32_e32 v48, v44, v45
	buffer_load_dword v175, off, s[0:3], 0 offset:408
	buffer_load_dword v176, off, s[0:3], 0 offset:412
	ds_read2_b64 v[44:47], v1 offset0:95 offset1:96
	s_waitcnt vmcnt(42)
	v_mul_f32_e32 v49, v32, v134
	v_fmac_f32_e32 v49, v33, v133
	buffer_load_dword v177, off, s[0:3], 0 offset:416
	buffer_load_dword v178, off, s[0:3], 0 offset:420
	v_add_f32_e32 v52, v48, v49
	buffer_load_dword v179, off, s[0:3], 0 offset:424
	buffer_load_dword v180, off, s[0:3], 0 offset:428
	ds_read2_b64 v[48:51], v1 offset0:97 offset1:98
	s_waitcnt vmcnt(44) lgkmcnt(1)
	v_mul_f32_e32 v53, v44, v136
	v_fmac_f32_e32 v53, v45, v135
	v_add_f32_e32 v52, v52, v53
	s_waitcnt vmcnt(42)
	v_mul_f32_e32 v53, v46, v138
	v_fmac_f32_e32 v53, v47, v137
	v_add_f32_e32 v52, v52, v53
	s_waitcnt vmcnt(40) lgkmcnt(0)
	v_mul_f32_e32 v53, v48, v140
	v_fmac_f32_e32 v53, v49, v139
	buffer_load_dword v181, off, s[0:3], 0 offset:432
	buffer_load_dword v182, off, s[0:3], 0 offset:436
	v_add_f32_e32 v56, v52, v53
	ds_read2_b64 v[52:55], v1 offset0:99 offset1:100
	s_waitcnt vmcnt(40)
	v_mul_f32_e32 v57, v50, v142
	v_fmac_f32_e32 v57, v51, v141
	v_add_f32_e32 v60, v56, v57
	ds_read2_b64 v[56:59], v1 offset0:101 offset1:102
	s_waitcnt vmcnt(38) lgkmcnt(1)
	v_mul_f32_e32 v61, v52, v144
	v_fmac_f32_e32 v61, v53, v143
	v_add_f32_e32 v60, v60, v61
	s_waitcnt vmcnt(36)
	v_mul_f32_e32 v61, v54, v146
	v_fmac_f32_e32 v61, v55, v145
	v_add_f32_e32 v60, v60, v61
	s_waitcnt vmcnt(34) lgkmcnt(0)
	v_mul_f32_e32 v61, v56, v148
	v_fmac_f32_e32 v61, v57, v147
	v_add_f32_e32 v64, v60, v61
	ds_read2_b64 v[60:63], v1 offset0:103 offset1:104
	s_waitcnt vmcnt(32)
	v_mul_f32_e32 v65, v58, v150
	v_fmac_f32_e32 v65, v59, v149
	v_add_f32_e32 v68, v64, v65
	ds_read2_b64 v[64:67], v1 offset0:105 offset1:106
	s_waitcnt vmcnt(30) lgkmcnt(1)
	v_mul_f32_e32 v69, v60, v152
	v_fmac_f32_e32 v69, v61, v151
	v_add_f32_e32 v68, v68, v69
	s_waitcnt vmcnt(28)
	v_mul_f32_e32 v69, v62, v154
	v_fmac_f32_e32 v69, v63, v153
	v_add_f32_e32 v68, v68, v69
	s_waitcnt vmcnt(26) lgkmcnt(0)
	v_mul_f32_e32 v69, v64, v156
	v_fmac_f32_e32 v69, v65, v155
	v_add_f32_e32 v72, v68, v69
	ds_read2_b64 v[68:71], v1 offset0:107 offset1:108
	s_waitcnt vmcnt(24)
	v_mul_f32_e32 v73, v66, v158
	v_fmac_f32_e32 v73, v67, v157
	v_add_f32_e32 v76, v72, v73
	ds_read2_b64 v[72:75], v1 offset0:109 offset1:110
	v_mul_f32_e32 v23, v23, v41
	v_fma_f32 v22, v22, v116, -v23
	v_mul_f32_e32 v23, v25, v40
	v_add_f32_e32 v22, 0, v22
	v_fma_f32 v23, v24, v115, -v23
	v_mul_f32_e32 v19, v19, v42
	v_add_f32_e32 v22, v22, v23
	;; [unrolled: 3-line block ×3, first 2 shown]
	v_fma_f32 v19, v20, v120, -v19
	s_waitcnt vmcnt(22) lgkmcnt(1)
	v_mul_f32_e32 v77, v68, v160
	v_fmac_f32_e32 v77, v69, v159
	v_add_f32_e32 v76, v76, v77
	s_waitcnt vmcnt(20)
	v_mul_f32_e32 v77, v70, v162
	v_fmac_f32_e32 v77, v71, v161
	v_add_f32_e32 v76, v76, v77
	s_waitcnt vmcnt(18) lgkmcnt(0)
	v_mul_f32_e32 v77, v72, v164
	v_fmac_f32_e32 v77, v73, v163
	v_add_f32_e32 v80, v76, v77
	ds_read2_b64 v[76:79], v1 offset0:111 offset1:112
	s_waitcnt vmcnt(16)
	v_mul_f32_e32 v81, v74, v166
	v_fmac_f32_e32 v81, v75, v165
	v_add_f32_e32 v84, v80, v81
	ds_read2_b64 v[80:83], v1 offset0:113 offset1:114
	s_waitcnt vmcnt(14) lgkmcnt(1)
	v_mul_f32_e32 v85, v76, v168
	v_fmac_f32_e32 v85, v77, v167
	v_add_f32_e32 v84, v84, v85
	s_waitcnt vmcnt(12)
	v_mul_f32_e32 v85, v78, v170
	v_fmac_f32_e32 v85, v79, v169
	v_add_f32_e32 v84, v84, v85
	s_waitcnt vmcnt(10) lgkmcnt(0)
	v_mul_f32_e32 v85, v80, v172
	v_fmac_f32_e32 v85, v81, v171
	s_waitcnt vmcnt(8)
	v_mul_f32_e32 v89, v82, v174
	v_add_f32_e32 v88, v84, v85
	v_fmac_f32_e32 v89, v83, v173
	ds_read2_b64 v[84:87], v1 offset0:115 offset1:116
	v_add_f32_e32 v93, v88, v89
	ds_read2_b64 v[88:91], v1 offset0:117 offset1:118
	buffer_load_dword v97, off, s[0:3], 0 offset:460
	buffer_load_dword v96, off, s[0:3], 0 offset:456
	buffer_load_dword v99, off, s[0:3], 0 offset:452
	buffer_load_dword v98, off, s[0:3], 0 offset:448
	buffer_load_dword v101, off, s[0:3], 0 offset:444
	buffer_load_dword v100, off, s[0:3], 0 offset:440
	buffer_load_dword v105, off, s[0:3], 0 offset:492
	buffer_load_dword v104, off, s[0:3], 0 offset:488
	buffer_load_dword v107, off, s[0:3], 0 offset:484
	buffer_load_dword v106, off, s[0:3], 0 offset:480
	buffer_load_dword v109, off, s[0:3], 0 offset:476
	buffer_load_dword v108, off, s[0:3], 0 offset:472
	buffer_load_dword v111, off, s[0:3], 0 offset:468
	buffer_load_dword v110, off, s[0:3], 0 offset:464
	buffer_load_dword v113, off, s[0:3], 0 offset:500
	buffer_load_dword v112, off, s[0:3], 0 offset:496
	v_mul_f32_e32 v15, v15, v38
	v_add_f32_e32 v18, v18, v19
	v_fma_f32 v14, v14, v119, -v15
	v_mul_f32_e32 v15, v17, v36
	v_add_f32_e32 v14, v18, v14
	v_fma_f32 v15, v16, v118, -v15
	;; [unrolled: 3-line block ×8, first 2 shown]
	v_add_f32_e32 v2, v2, v3
	v_mul_f32_e32 v3, v27, v132
	v_fma_f32 v3, v26, v129, -v3
	v_add_f32_e32 v2, v2, v3
	v_mul_f32_e32 v3, v29, v126
	v_fma_f32 v3, v28, v125, -v3
	;; [unrolled: 3-line block ×24, first 2 shown]
	v_add_f32_e32 v2, v2, v3
	s_waitcnt vmcnt(22) lgkmcnt(1)
	v_mul_f32_e32 v3, v85, v176
	v_fma_f32 v3, v84, v175, -v3
	v_add_f32_e32 v2, v2, v3
	s_waitcnt vmcnt(20)
	v_mul_f32_e32 v3, v87, v178
	v_mul_f32_e32 v95, v84, v176
	v_fma_f32 v3, v86, v177, -v3
	v_fmac_f32_e32 v95, v85, v175
	v_add_f32_e32 v92, v2, v3
	s_waitcnt vmcnt(18) lgkmcnt(0)
	v_mul_f32_e32 v2, v89, v180
	v_add_f32_e32 v93, v93, v95
	v_mul_f32_e32 v95, v86, v178
	v_fma_f32 v94, v88, v179, -v2
	s_waitcnt vmcnt(16)
	v_mul_f32_e32 v2, v91, v182
	v_fmac_f32_e32 v95, v87, v177
	v_fma_f32 v102, v90, v181, -v2
	ds_read2_b64 v[2:5], v1 offset0:119 offset1:120
	ds_read2_b64 v[6:9], v1 offset0:121 offset1:122
	;; [unrolled: 1-line block ×4, first 2 shown]
	v_add_f32_e32 v93, v93, v95
	v_mul_f32_e32 v95, v88, v180
	s_waitcnt vmcnt(11)
	v_mov_b32_e32 v20, v101
	v_fmac_f32_e32 v95, v89, v179
	v_mul_f32_e32 v103, v90, v182
	s_waitcnt lgkmcnt(3)
	v_pk_mul_f32 v[20:21], v[2:3], v[20:21] op_sel_hi:[1,0]
	v_fmac_f32_e32 v103, v91, v181
	v_pk_add_f32 v[18:19], v[92:93], v[94:95]
	s_waitcnt vmcnt(10)
	v_pk_fma_f32 v[22:23], v[2:3], v[100:101], v[20:21] op_sel:[0,0,1] op_sel_hi:[1,1,0] neg_lo:[0,0,1] neg_hi:[0,0,1]
	v_pk_fma_f32 v[2:3], v[2:3], v[100:101], v[20:21] op_sel:[0,0,1] op_sel_hi:[1,0,0]
	v_pk_add_f32 v[18:19], v[18:19], v[102:103]
	v_mov_b32_e32 v23, v3
	v_pk_add_f32 v[2:3], v[18:19], v[22:23]
	v_mov_b32_e32 v18, v99
	v_pk_mul_f32 v[18:19], v[4:5], v[18:19] op_sel_hi:[1,0]
	v_pk_fma_f32 v[20:21], v[4:5], v[98:99], v[18:19] op_sel:[0,0,1] op_sel_hi:[1,1,0] neg_lo:[0,0,1] neg_hi:[0,0,1]
	v_pk_fma_f32 v[4:5], v[4:5], v[98:99], v[18:19] op_sel:[0,0,1] op_sel_hi:[1,0,0]
	v_mov_b32_e32 v4, v97
	v_mov_b32_e32 v21, v5
	s_waitcnt lgkmcnt(2)
	v_pk_mul_f32 v[4:5], v[6:7], v[4:5] op_sel_hi:[1,0]
	v_pk_fma_f32 v[18:19], v[6:7], v[96:97], v[4:5] op_sel:[0,0,1] op_sel_hi:[1,1,0] neg_lo:[0,0,1] neg_hi:[0,0,1]
	v_pk_fma_f32 v[4:5], v[6:7], v[96:97], v[4:5] op_sel:[0,0,1] op_sel_hi:[1,0,0]
	s_waitcnt vmcnt(3)
	v_mov_b32_e32 v4, v111
	v_mov_b32_e32 v19, v5
	v_pk_mul_f32 v[4:5], v[8:9], v[4:5] op_sel_hi:[1,0]
	s_waitcnt vmcnt(2)
	v_pk_fma_f32 v[6:7], v[8:9], v[110:111], v[4:5] op_sel:[0,0,1] op_sel_hi:[1,1,0] neg_lo:[0,0,1] neg_hi:[0,0,1]
	v_pk_fma_f32 v[4:5], v[8:9], v[110:111], v[4:5] op_sel:[0,0,1] op_sel_hi:[1,0,0]
	v_pk_add_f32 v[2:3], v[2:3], v[20:21]
	v_mov_b32_e32 v4, v109
	v_pk_add_f32 v[2:3], v[2:3], v[18:19]
	v_mov_b32_e32 v7, v5
	s_waitcnt lgkmcnt(1)
	v_pk_mul_f32 v[4:5], v[10:11], v[4:5] op_sel_hi:[1,0]
	v_pk_add_f32 v[2:3], v[2:3], v[6:7]
	v_pk_fma_f32 v[6:7], v[10:11], v[108:109], v[4:5] op_sel:[0,0,1] op_sel_hi:[1,1,0] neg_lo:[0,0,1] neg_hi:[0,0,1]
	v_pk_fma_f32 v[4:5], v[10:11], v[108:109], v[4:5] op_sel:[0,0,1] op_sel_hi:[1,0,0]
	v_mov_b32_e32 v4, v107
	v_mov_b32_e32 v7, v5
	v_pk_mul_f32 v[4:5], v[12:13], v[4:5] op_sel_hi:[1,0]
	v_pk_add_f32 v[2:3], v[2:3], v[6:7]
	v_pk_fma_f32 v[6:7], v[12:13], v[106:107], v[4:5] op_sel:[0,0,1] op_sel_hi:[1,1,0] neg_lo:[0,0,1] neg_hi:[0,0,1]
	v_pk_fma_f32 v[4:5], v[12:13], v[106:107], v[4:5] op_sel:[0,0,1] op_sel_hi:[1,0,0]
	v_mov_b32_e32 v4, v105
	v_mov_b32_e32 v7, v5
	s_waitcnt lgkmcnt(0)
	v_pk_mul_f32 v[4:5], v[14:15], v[4:5] op_sel_hi:[1,0]
	v_pk_add_f32 v[2:3], v[2:3], v[6:7]
	v_pk_fma_f32 v[6:7], v[14:15], v[104:105], v[4:5] op_sel:[0,0,1] op_sel_hi:[1,1,0] neg_lo:[0,0,1] neg_hi:[0,0,1]
	v_pk_fma_f32 v[4:5], v[14:15], v[104:105], v[4:5] op_sel:[0,0,1] op_sel_hi:[1,0,0]
	s_waitcnt vmcnt(1)
	v_mov_b32_e32 v4, v113
	v_mov_b32_e32 v7, v5
	v_pk_mul_f32 v[4:5], v[16:17], v[4:5] op_sel_hi:[1,0]
	v_pk_add_f32 v[2:3], v[2:3], v[6:7]
	s_waitcnt vmcnt(0)
	v_pk_fma_f32 v[6:7], v[16:17], v[112:113], v[4:5] op_sel:[0,0,1] op_sel_hi:[1,1,0] neg_lo:[0,0,1] neg_hi:[0,0,1]
	v_pk_fma_f32 v[4:5], v[16:17], v[112:113], v[4:5] op_sel:[0,0,1] op_sel_hi:[1,0,0]
	v_mov_b32_e32 v7, v5
	v_pk_add_f32 v[2:3], v[2:3], v[6:7]
	v_pk_add_f32 v[2:3], v[34:35], v[2:3] neg_lo:[0,1] neg_hi:[0,1]
	buffer_store_dword v3, off, s[0:3], 0 offset:116
	buffer_store_dword v2, off, s[0:3], 0 offset:112
	s_and_saveexec_b64 s[4:5], vcc
	s_cbranch_execz .LBB126_365
; %bb.364:
	buffer_load_dword v2, off, s[0:3], 0 offset:104
	buffer_load_dword v3, off, s[0:3], 0 offset:108
	v_mov_b32_e32 v1, 0
	buffer_store_dword v1, off, s[0:3], 0 offset:104
	buffer_store_dword v1, off, s[0:3], 0 offset:108
	s_waitcnt vmcnt(2)
	ds_write_b64 v217, v[2:3]
.LBB126_365:
	s_or_b64 exec, exec, s[4:5]
	v_mov_b32_e32 v110, 0
	s_waitcnt lgkmcnt(0)
	; wave barrier
	s_waitcnt lgkmcnt(0)
	ds_read_b128 v[2:5], v110 offset:624
	buffer_load_dword v86, off, s[0:3], 0 offset:104
	buffer_load_dword v87, off, s[0:3], 0 offset:108
	;; [unrolled: 1-line block ×16, first 2 shown]
	v_cmp_lt_u32_e32 vcc, 12, v0
	s_waitcnt vmcnt(12) lgkmcnt(0)
	v_mul_f32_e32 v6, v2, v94
	v_fmac_f32_e32 v6, v3, v1
	s_waitcnt vmcnt(10)
	v_mul_f32_e32 v7, v4, v112
	v_add_f32_e32 v6, 0, v6
	v_fmac_f32_e32 v7, v5, v88
	v_add_f32_e32 v10, v6, v7
	ds_read_b128 v[6:9], v110 offset:640
	v_mul_f32_e32 v3, v3, v94
	v_fma_f32 v1, v2, v1, -v3
	v_mul_f32_e32 v2, v5, v112
	v_add_f32_e32 v1, 0, v1
	s_waitcnt vmcnt(8) lgkmcnt(0)
	v_mul_f32_e32 v11, v6, v114
	v_fmac_f32_e32 v11, v7, v90
	v_add_f32_e32 v10, v10, v11
	s_waitcnt vmcnt(6)
	v_mul_f32_e32 v11, v8, v116
	v_fmac_f32_e32 v11, v9, v111
	v_add_f32_e32 v14, v10, v11
	ds_read_b128 v[10:13], v110 offset:656
	v_fma_f32 v2, v4, v88, -v2
	v_add_f32_e32 v1, v1, v2
	v_mul_f32_e32 v2, v7, v114
	v_fma_f32 v2, v6, v90, -v2
	s_waitcnt vmcnt(4) lgkmcnt(0)
	v_mul_f32_e32 v15, v10, v118
	v_fmac_f32_e32 v15, v11, v113
	v_add_f32_e32 v14, v14, v15
	s_waitcnt vmcnt(2)
	v_mul_f32_e32 v15, v12, v119
	v_fmac_f32_e32 v15, v13, v115
	v_add_f32_e32 v18, v14, v15
	ds_read_b128 v[14:17], v110 offset:672
	buffer_load_dword v121, off, s[0:3], 0 offset:168
	buffer_load_dword v122, off, s[0:3], 0 offset:172
	v_add_f32_e32 v1, v1, v2
	v_mul_f32_e32 v2, v9, v116
	v_fma_f32 v2, v8, v111, -v2
	s_waitcnt vmcnt(2) lgkmcnt(0)
	v_mul_f32_e32 v19, v14, v120
	v_fmac_f32_e32 v19, v15, v117
	v_add_f32_e32 v18, v18, v19
	v_add_f32_e32 v1, v1, v2
	v_mul_f32_e32 v2, v11, v118
	v_fma_f32 v2, v10, v113, -v2
	v_add_f32_e32 v1, v1, v2
	v_mul_f32_e32 v2, v13, v119
	v_fma_f32 v2, v12, v115, -v2
	;; [unrolled: 3-line block ×3, first 2 shown]
	v_add_f32_e32 v1, v1, v2
	s_waitcnt vmcnt(0)
	v_mul_f32_e32 v19, v16, v122
	v_fmac_f32_e32 v19, v17, v121
	v_add_f32_e32 v22, v18, v19
	ds_read_b128 v[18:21], v110 offset:688
	buffer_load_dword v123, off, s[0:3], 0 offset:176
	buffer_load_dword v124, off, s[0:3], 0 offset:180
	;; [unrolled: 1-line block ×4, first 2 shown]
	v_mul_f32_e32 v2, v17, v122
	v_fma_f32 v2, v16, v121, -v2
	v_add_f32_e32 v1, v1, v2
	s_waitcnt vmcnt(2) lgkmcnt(0)
	v_mul_f32_e32 v23, v18, v124
	v_fmac_f32_e32 v23, v19, v123
	v_add_f32_e32 v22, v22, v23
	s_waitcnt vmcnt(0)
	v_mul_f32_e32 v23, v20, v126
	v_fmac_f32_e32 v23, v21, v125
	v_add_f32_e32 v26, v22, v23
	ds_read_b128 v[22:25], v110 offset:704
	buffer_load_dword v127, off, s[0:3], 0 offset:192
	buffer_load_dword v128, off, s[0:3], 0 offset:196
	buffer_load_dword v129, off, s[0:3], 0 offset:200
	buffer_load_dword v130, off, s[0:3], 0 offset:204
	v_mul_f32_e32 v2, v19, v124
	v_fma_f32 v2, v18, v123, -v2
	v_add_f32_e32 v1, v1, v2
	v_mul_f32_e32 v2, v21, v126
	v_fma_f32 v2, v20, v125, -v2
	v_add_f32_e32 v1, v1, v2
	s_waitcnt vmcnt(2) lgkmcnt(0)
	v_mul_f32_e32 v27, v22, v128
	v_fmac_f32_e32 v27, v23, v127
	v_add_f32_e32 v26, v26, v27
	s_waitcnt vmcnt(0)
	v_mul_f32_e32 v27, v24, v130
	v_fmac_f32_e32 v27, v25, v129
	v_add_f32_e32 v30, v26, v27
	ds_read_b128 v[26:29], v110 offset:720
	buffer_load_dword v131, off, s[0:3], 0 offset:208
	buffer_load_dword v132, off, s[0:3], 0 offset:212
	;; [unrolled: 1-line block ×4, first 2 shown]
	v_mul_f32_e32 v2, v23, v128
	v_fma_f32 v2, v22, v127, -v2
	v_add_f32_e32 v1, v1, v2
	v_mul_f32_e32 v2, v25, v130
	v_fma_f32 v2, v24, v129, -v2
	v_add_f32_e32 v1, v1, v2
	s_waitcnt vmcnt(2) lgkmcnt(0)
	v_mul_f32_e32 v31, v26, v132
	v_fmac_f32_e32 v31, v27, v131
	v_add_f32_e32 v30, v30, v31
	s_waitcnt vmcnt(0)
	v_mul_f32_e32 v31, v28, v134
	v_fmac_f32_e32 v31, v29, v133
	v_add_f32_e32 v34, v30, v31
	ds_read_b128 v[30:33], v110 offset:736
	buffer_load_dword v135, off, s[0:3], 0 offset:224
	buffer_load_dword v136, off, s[0:3], 0 offset:228
	buffer_load_dword v137, off, s[0:3], 0 offset:232
	buffer_load_dword v138, off, s[0:3], 0 offset:236
	ds_read_b128 v[38:41], v110 offset:752
	buffer_load_dword v139, off, s[0:3], 0 offset:240
	buffer_load_dword v140, off, s[0:3], 0 offset:244
	buffer_load_dword v141, off, s[0:3], 0 offset:248
	buffer_load_dword v142, off, s[0:3], 0 offset:252
	;; [unrolled: 5-line block ×13, first 2 shown]
	v_mul_f32_e32 v2, v27, v132
	v_fma_f32 v2, v26, v131, -v2
	v_add_f32_e32 v1, v1, v2
	v_mul_f32_e32 v2, v29, v134
	v_fma_f32 v2, v28, v133, -v2
	v_add_f32_e32 v1, v1, v2
	s_waitcnt vmcnt(50) lgkmcnt(12)
	v_mul_f32_e32 v35, v30, v136
	v_fmac_f32_e32 v35, v31, v135
	v_add_f32_e32 v34, v34, v35
	s_waitcnt vmcnt(48)
	v_mul_f32_e32 v35, v32, v138
	v_fmac_f32_e32 v35, v33, v137
	v_add_f32_e32 v34, v34, v35
	s_waitcnt vmcnt(46) lgkmcnt(11)
	v_mul_f32_e32 v35, v38, v140
	v_fmac_f32_e32 v35, v39, v139
	v_add_f32_e32 v34, v34, v35
	s_waitcnt vmcnt(44)
	v_mul_f32_e32 v35, v40, v142
	v_fmac_f32_e32 v35, v41, v141
	;; [unrolled: 8-line block ×12, first 2 shown]
	v_add_f32_e32 v34, v34, v35
	s_waitcnt vmcnt(2) lgkmcnt(0)
	v_mul_f32_e32 v35, v82, v184
	v_fmac_f32_e32 v35, v83, v183
	v_add_f32_e32 v89, v34, v35
	ds_read_b128 v[34:37], v110 offset:944
	buffer_load_dword v187, off, s[0:3], 0 offset:432
	buffer_load_dword v188, off, s[0:3], 0 offset:436
	buffer_load_dword v93, off, s[0:3], 0 offset:444
	buffer_load_dword v92, off, s[0:3], 0 offset:440
	buffer_load_dword v109, off, s[0:3], 0 offset:452
	buffer_load_dword v108, off, s[0:3], 0 offset:448
	buffer_load_dword v107, off, s[0:3], 0 offset:460
	buffer_load_dword v106, off, s[0:3], 0 offset:456
	buffer_load_dword v105, off, s[0:3], 0 offset:468
	buffer_load_dword v104, off, s[0:3], 0 offset:464
	buffer_load_dword v103, off, s[0:3], 0 offset:476
	buffer_load_dword v102, off, s[0:3], 0 offset:472
	buffer_load_dword v101, off, s[0:3], 0 offset:484
	buffer_load_dword v100, off, s[0:3], 0 offset:480
	buffer_load_dword v99, off, s[0:3], 0 offset:492
	buffer_load_dword v98, off, s[0:3], 0 offset:488
	buffer_load_dword v97, off, s[0:3], 0 offset:500
	buffer_load_dword v96, off, s[0:3], 0 offset:496
	v_mul_f32_e32 v2, v31, v136
	v_fma_f32 v2, v30, v135, -v2
	v_add_f32_e32 v1, v1, v2
	v_mul_f32_e32 v2, v33, v138
	v_fma_f32 v2, v32, v137, -v2
	v_add_f32_e32 v1, v1, v2
	;; [unrolled: 3-line block ×24, first 2 shown]
	v_mul_f32_e32 v2, v83, v184
	v_fma_f32 v2, v82, v183, -v2
	s_waitcnt vmcnt(15)
	v_mov_b32_e32 v18, v93
	v_mul_f32_e32 v91, v84, v186
	v_add_f32_e32 v88, v1, v2
	v_mul_f32_e32 v1, v85, v186
	s_waitcnt lgkmcnt(0)
	v_pk_mul_f32 v[18:19], v[36:37], v[18:19] op_sel_hi:[1,0]
	v_fmac_f32_e32 v91, v85, v185
	v_mul_f32_e32 v95, v34, v188
	v_fma_f32 v90, v84, v185, -v1
	v_mul_f32_e32 v1, v35, v188
	ds_read_b128 v[2:5], v110 offset:960
	ds_read_b128 v[6:9], v110 offset:976
	;; [unrolled: 1-line block ×3, first 2 shown]
	ds_read_b64 v[14:15], v110 offset:1008
	s_waitcnt vmcnt(14)
	v_pk_fma_f32 v[20:21], v[36:37], v[92:93], v[18:19] op_sel:[0,0,1] op_sel_hi:[1,1,0] neg_lo:[0,0,1] neg_hi:[0,0,1]
	v_pk_fma_f32 v[18:19], v[36:37], v[92:93], v[18:19] op_sel:[0,0,1] op_sel_hi:[1,0,0]
	v_fmac_f32_e32 v95, v35, v187
	v_fma_f32 v94, v34, v187, -v1
	v_pk_add_f32 v[16:17], v[88:89], v[90:91]
	s_waitcnt vmcnt(13)
	v_mov_b32_e32 v18, v109
	v_pk_add_f32 v[16:17], v[16:17], v[94:95]
	v_mov_b32_e32 v21, v19
	s_waitcnt lgkmcnt(3)
	v_pk_mul_f32 v[18:19], v[2:3], v[18:19] op_sel_hi:[1,0]
	v_pk_add_f32 v[16:17], v[16:17], v[20:21]
	s_waitcnt vmcnt(12)
	v_pk_fma_f32 v[20:21], v[2:3], v[108:109], v[18:19] op_sel:[0,0,1] op_sel_hi:[1,1,0] neg_lo:[0,0,1] neg_hi:[0,0,1]
	v_pk_fma_f32 v[2:3], v[2:3], v[108:109], v[18:19] op_sel:[0,0,1] op_sel_hi:[1,0,0]
	v_mov_b32_e32 v21, v3
	v_pk_add_f32 v[2:3], v[16:17], v[20:21]
	s_waitcnt vmcnt(11)
	v_mov_b32_e32 v16, v107
	v_pk_mul_f32 v[16:17], v[4:5], v[16:17] op_sel_hi:[1,0]
	s_waitcnt vmcnt(10)
	v_pk_fma_f32 v[18:19], v[4:5], v[106:107], v[16:17] op_sel:[0,0,1] op_sel_hi:[1,1,0] neg_lo:[0,0,1] neg_hi:[0,0,1]
	v_pk_fma_f32 v[4:5], v[4:5], v[106:107], v[16:17] op_sel:[0,0,1] op_sel_hi:[1,0,0]
	s_waitcnt vmcnt(9)
	v_mov_b32_e32 v4, v105
	v_mov_b32_e32 v19, v5
	s_waitcnt lgkmcnt(2)
	v_pk_mul_f32 v[4:5], v[6:7], v[4:5] op_sel_hi:[1,0]
	s_waitcnt vmcnt(8)
	v_pk_fma_f32 v[16:17], v[6:7], v[104:105], v[4:5] op_sel:[0,0,1] op_sel_hi:[1,1,0] neg_lo:[0,0,1] neg_hi:[0,0,1]
	v_pk_fma_f32 v[4:5], v[6:7], v[104:105], v[4:5] op_sel:[0,0,1] op_sel_hi:[1,0,0]
	s_waitcnt vmcnt(7)
	v_mov_b32_e32 v4, v103
	v_mov_b32_e32 v17, v5
	v_pk_mul_f32 v[4:5], v[8:9], v[4:5] op_sel_hi:[1,0]
	s_waitcnt vmcnt(6)
	v_pk_fma_f32 v[6:7], v[8:9], v[102:103], v[4:5] op_sel:[0,0,1] op_sel_hi:[1,1,0] neg_lo:[0,0,1] neg_hi:[0,0,1]
	v_pk_fma_f32 v[4:5], v[8:9], v[102:103], v[4:5] op_sel:[0,0,1] op_sel_hi:[1,0,0]
	v_pk_add_f32 v[2:3], v[2:3], v[18:19]
	s_waitcnt vmcnt(5)
	v_mov_b32_e32 v4, v101
	v_pk_add_f32 v[2:3], v[2:3], v[16:17]
	v_mov_b32_e32 v7, v5
	s_waitcnt lgkmcnt(1)
	v_pk_mul_f32 v[4:5], v[10:11], v[4:5] op_sel_hi:[1,0]
	v_pk_add_f32 v[2:3], v[2:3], v[6:7]
	s_waitcnt vmcnt(4)
	v_pk_fma_f32 v[6:7], v[10:11], v[100:101], v[4:5] op_sel:[0,0,1] op_sel_hi:[1,1,0] neg_lo:[0,0,1] neg_hi:[0,0,1]
	v_pk_fma_f32 v[4:5], v[10:11], v[100:101], v[4:5] op_sel:[0,0,1] op_sel_hi:[1,0,0]
	s_waitcnt vmcnt(3)
	v_mov_b32_e32 v4, v99
	v_mov_b32_e32 v7, v5
	v_pk_mul_f32 v[4:5], v[12:13], v[4:5] op_sel_hi:[1,0]
	v_pk_add_f32 v[2:3], v[2:3], v[6:7]
	s_waitcnt vmcnt(2)
	v_pk_fma_f32 v[6:7], v[12:13], v[98:99], v[4:5] op_sel:[0,0,1] op_sel_hi:[1,1,0] neg_lo:[0,0,1] neg_hi:[0,0,1]
	v_pk_fma_f32 v[4:5], v[12:13], v[98:99], v[4:5] op_sel:[0,0,1] op_sel_hi:[1,0,0]
	s_waitcnt vmcnt(1)
	v_mov_b32_e32 v4, v97
	v_mov_b32_e32 v7, v5
	s_waitcnt lgkmcnt(0)
	v_pk_mul_f32 v[4:5], v[14:15], v[4:5] op_sel_hi:[1,0]
	v_pk_add_f32 v[2:3], v[2:3], v[6:7]
	s_waitcnt vmcnt(0)
	v_pk_fma_f32 v[6:7], v[14:15], v[96:97], v[4:5] op_sel:[0,0,1] op_sel_hi:[1,1,0] neg_lo:[0,0,1] neg_hi:[0,0,1]
	v_pk_fma_f32 v[4:5], v[14:15], v[96:97], v[4:5] op_sel:[0,0,1] op_sel_hi:[1,0,0]
	v_mov_b32_e32 v7, v5
	v_pk_add_f32 v[2:3], v[2:3], v[6:7]
	v_pk_add_f32 v[2:3], v[86:87], v[2:3] neg_lo:[0,1] neg_hi:[0,1]
	buffer_store_dword v3, off, s[0:3], 0 offset:108
	buffer_store_dword v2, off, s[0:3], 0 offset:104
	s_and_saveexec_b64 s[4:5], vcc
	s_cbranch_execz .LBB126_367
; %bb.366:
	buffer_load_dword v2, off, s[0:3], 0 offset:96
	buffer_load_dword v3, off, s[0:3], 0 offset:100
	s_waitcnt vmcnt(0)
	ds_write_b64 v217, v[2:3]
	buffer_store_dword v110, off, s[0:3], 0 offset:96
	buffer_store_dword v110, off, s[0:3], 0 offset:100
.LBB126_367:
	s_or_b64 exec, exec, s[4:5]
	s_waitcnt lgkmcnt(0)
	; wave barrier
	s_waitcnt lgkmcnt(0)
	buffer_load_dword v40, off, s[0:3], 0 offset:108
	buffer_load_dword v39, off, s[0:3], 0 offset:116
	;; [unrolled: 1-line block ×32, first 2 shown]
	ds_read2_b64 v[22:25], v110 offset0:77 offset1:78
	ds_read2_b64 v[18:21], v110 offset0:79 offset1:80
	;; [unrolled: 1-line block ×6, first 2 shown]
	buffer_load_dword v141, off, s[0:3], 0 offset:224
	buffer_load_dword v142, off, s[0:3], 0 offset:228
	;; [unrolled: 1-line block ×20, first 2 shown]
	v_cmp_lt_u32_e32 vcc, 11, v0
	s_waitcnt vmcnt(51) lgkmcnt(5)
	v_mul_f32_e32 v26, v22, v40
	s_waitcnt vmcnt(50)
	v_mul_f32_e32 v27, v24, v39
	s_waitcnt vmcnt(49) lgkmcnt(4)
	v_mul_f32_e32 v29, v20, v38
	s_waitcnt vmcnt(48) lgkmcnt(3)
	v_mul_f32_e32 v30, v14, v37
	s_waitcnt vmcnt(47)
	v_mul_f32_e32 v31, v16, v36
	s_waitcnt vmcnt(46) lgkmcnt(2)
	v_mul_f32_e32 v32, v10, v1
	s_waitcnt vmcnt(45)
	v_mul_f32_e32 v28, v18, v41
	s_waitcnt vmcnt(44)
	v_mul_f32_e32 v33, v12, v42
	s_waitcnt vmcnt(43) lgkmcnt(1)
	v_mul_f32_e32 v47, v6, v43
	s_waitcnt vmcnt(42)
	v_mul_f32_e32 v48, v8, v44
	s_waitcnt vmcnt(41) lgkmcnt(0)
	v_mul_f32_e32 v49, v2, v45
	s_waitcnt vmcnt(40)
	v_mul_f32_e32 v50, v4, v46
	s_waitcnt vmcnt(39)
	v_fmac_f32_e32 v28, v19, v106
	s_waitcnt vmcnt(38)
	v_fmac_f32_e32 v27, v25, v108
	;; [unrolled: 2-line block ×3, first 2 shown]
	v_add_f32_e32 v26, 0, v26
	v_add_f32_e32 v26, v26, v27
	;; [unrolled: 1-line block ×3, first 2 shown]
	s_waitcnt vmcnt(33)
	v_fmac_f32_e32 v29, v21, v129
	v_fmac_f32_e32 v30, v15, v128
	v_add_f32_e32 v26, v26, v29
	v_fmac_f32_e32 v31, v17, v127
	v_add_f32_e32 v26, v26, v30
	;; [unrolled: 2-line block ×3, first 2 shown]
	s_waitcnt vmcnt(29)
	v_fmac_f32_e32 v33, v13, v133
	v_add_f32_e32 v26, v26, v32
	v_fmac_f32_e32 v47, v7, v132
	v_add_f32_e32 v26, v26, v33
	;; [unrolled: 2-line block ×4, first 2 shown]
	v_add_f32_e32 v30, v26, v49
	ds_read2_b64 v[26:29], v110 offset0:89 offset1:90
	buffer_load_dword v161, off, s[0:3], 0 offset:304
	buffer_load_dword v162, off, s[0:3], 0 offset:308
	;; [unrolled: 1-line block ×4, first 2 shown]
	s_waitcnt vmcnt(28)
	v_fmac_f32_e32 v50, v5, v138
	v_add_f32_e32 v47, v30, v50
	ds_read2_b64 v[30:33], v110 offset0:91 offset1:92
	buffer_load_dword v165, off, s[0:3], 0 offset:320
	buffer_load_dword v166, off, s[0:3], 0 offset:324
	;; [unrolled: 1-line block ×12, first 2 shown]
	s_waitcnt vmcnt(39) lgkmcnt(1)
	v_mul_f32_e32 v48, v26, v139
	v_fmac_f32_e32 v48, v27, v137
	buffer_load_dword v177, off, s[0:3], 0 offset:368
	buffer_load_dword v178, off, s[0:3], 0 offset:372
	v_add_f32_e32 v47, v47, v48
	s_waitcnt vmcnt(40)
	v_mul_f32_e32 v48, v28, v140
	v_fmac_f32_e32 v48, v29, v136
	buffer_load_dword v179, off, s[0:3], 0 offset:376
	buffer_load_dword v180, off, s[0:3], 0 offset:380
	v_add_f32_e32 v47, v47, v48
	s_waitcnt lgkmcnt(0)
	v_mul_f32_e32 v48, v30, v135
	v_fmac_f32_e32 v48, v31, v134
	v_add_f32_e32 v47, v47, v48
	ds_read2_b64 v[48:51], v110 offset0:93 offset1:94
	buffer_load_dword v181, off, s[0:3], 0 offset:384
	buffer_load_dword v182, off, s[0:3], 0 offset:388
	s_waitcnt vmcnt(40)
	v_mul_f32_e32 v52, v32, v142
	v_fmac_f32_e32 v52, v33, v141
	v_add_f32_e32 v47, v47, v52
	ds_read2_b64 v[52:55], v110 offset0:95 offset1:96
	buffer_load_dword v183, off, s[0:3], 0 offset:392
	buffer_load_dword v184, off, s[0:3], 0 offset:396
	;; [unrolled: 1-line block ×8, first 2 shown]
	s_waitcnt vmcnt(46) lgkmcnt(1)
	v_mul_f32_e32 v56, v48, v144
	v_fmac_f32_e32 v56, v49, v143
	v_add_f32_e32 v47, v47, v56
	s_waitcnt vmcnt(44)
	v_mul_f32_e32 v56, v50, v146
	v_fmac_f32_e32 v56, v51, v145
	v_add_f32_e32 v47, v47, v56
	s_waitcnt vmcnt(42) lgkmcnt(0)
	v_mul_f32_e32 v56, v52, v148
	v_fmac_f32_e32 v56, v53, v147
	v_add_f32_e32 v47, v47, v56
	buffer_load_dword v191, off, s[0:3], 0 offset:424
	buffer_load_dword v192, off, s[0:3], 0 offset:428
	;; [unrolled: 1-line block ×4, first 2 shown]
	ds_read2_b64 v[56:59], v110 offset0:97 offset1:98
	s_waitcnt vmcnt(44)
	v_mul_f32_e32 v60, v54, v150
	v_fmac_f32_e32 v60, v55, v149
	v_add_f32_e32 v47, v47, v60
	ds_read2_b64 v[60:63], v110 offset0:99 offset1:100
	s_waitcnt vmcnt(42) lgkmcnt(1)
	v_mul_f32_e32 v64, v56, v152
	v_fmac_f32_e32 v64, v57, v151
	v_add_f32_e32 v47, v47, v64
	s_waitcnt vmcnt(40)
	v_mul_f32_e32 v64, v58, v154
	v_fmac_f32_e32 v64, v59, v153
	v_add_f32_e32 v47, v47, v64
	s_waitcnt vmcnt(38) lgkmcnt(0)
	v_mul_f32_e32 v64, v60, v156
	v_fmac_f32_e32 v64, v61, v155
	v_add_f32_e32 v47, v47, v64
	ds_read2_b64 v[64:67], v110 offset0:101 offset1:102
	s_waitcnt vmcnt(36)
	v_mul_f32_e32 v68, v62, v158
	v_fmac_f32_e32 v68, v63, v157
	v_add_f32_e32 v47, v47, v68
	ds_read2_b64 v[68:71], v110 offset0:103 offset1:104
	s_waitcnt vmcnt(34) lgkmcnt(1)
	v_mul_f32_e32 v72, v64, v160
	v_fmac_f32_e32 v72, v65, v159
	v_add_f32_e32 v47, v47, v72
	v_mul_f32_e32 v23, v23, v40
	v_fma_f32 v22, v22, v111, -v23
	v_mul_f32_e32 v23, v25, v39
	v_add_f32_e32 v22, 0, v22
	v_fma_f32 v23, v24, v108, -v23
	v_mul_f32_e32 v19, v19, v41
	v_add_f32_e32 v22, v22, v23
	;; [unrolled: 3-line block ×5, first 2 shown]
	s_waitcnt vmcnt(32)
	v_mul_f32_e32 v72, v66, v162
	v_fmac_f32_e32 v72, v67, v161
	v_add_f32_e32 v47, v47, v72
	s_waitcnt vmcnt(30) lgkmcnt(0)
	v_mul_f32_e32 v72, v68, v164
	v_fmac_f32_e32 v72, v69, v163
	v_add_f32_e32 v47, v47, v72
	ds_read2_b64 v[72:75], v110 offset0:105 offset1:106
	s_waitcnt vmcnt(28)
	v_mul_f32_e32 v76, v70, v166
	v_fmac_f32_e32 v76, v71, v165
	v_add_f32_e32 v47, v47, v76
	ds_read2_b64 v[76:79], v110 offset0:107 offset1:108
	s_waitcnt vmcnt(26) lgkmcnt(1)
	v_mul_f32_e32 v80, v72, v168
	v_fmac_f32_e32 v80, v73, v167
	v_add_f32_e32 v47, v47, v80
	s_waitcnt vmcnt(24)
	v_mul_f32_e32 v80, v74, v170
	v_fmac_f32_e32 v80, v75, v169
	v_add_f32_e32 v47, v47, v80
	s_waitcnt vmcnt(22) lgkmcnt(0)
	v_mul_f32_e32 v80, v76, v172
	v_fmac_f32_e32 v80, v77, v171
	v_add_f32_e32 v47, v47, v80
	ds_read2_b64 v[80:83], v110 offset0:109 offset1:110
	s_waitcnt vmcnt(20)
	v_mul_f32_e32 v84, v78, v174
	v_fmac_f32_e32 v84, v79, v173
	v_add_f32_e32 v47, v47, v84
	ds_read2_b64 v[84:87], v110 offset0:111 offset1:112
	s_waitcnt vmcnt(18) lgkmcnt(1)
	v_mul_f32_e32 v88, v80, v176
	v_fmac_f32_e32 v88, v81, v175
	v_add_f32_e32 v47, v47, v88
	s_waitcnt vmcnt(16)
	v_mul_f32_e32 v88, v82, v178
	v_fmac_f32_e32 v88, v83, v177
	v_add_f32_e32 v47, v47, v88
	s_waitcnt vmcnt(14) lgkmcnt(0)
	v_mul_f32_e32 v88, v84, v180
	v_fmac_f32_e32 v88, v85, v179
	v_add_f32_e32 v47, v47, v88
	ds_read2_b64 v[88:91], v110 offset0:113 offset1:114
	s_waitcnt vmcnt(12)
	v_mul_f32_e32 v92, v86, v182
	v_fmac_f32_e32 v92, v87, v181
	v_add_f32_e32 v47, v47, v92
	ds_read2_b64 v[92:95], v110 offset0:115 offset1:116
	buffer_load_dword v105, off, s[0:3], 0 offset:444
	buffer_load_dword v104, off, s[0:3], 0 offset:440
	s_waitcnt vmcnt(12) lgkmcnt(1)
	v_mul_f32_e32 v96, v88, v184
	v_fmac_f32_e32 v96, v89, v183
	v_add_f32_e32 v47, v47, v96
	s_waitcnt vmcnt(10)
	v_mul_f32_e32 v96, v90, v186
	v_fmac_f32_e32 v96, v91, v185
	v_add_f32_e32 v47, v47, v96
	s_waitcnt vmcnt(8) lgkmcnt(0)
	v_mul_f32_e32 v96, v92, v188
	v_fmac_f32_e32 v96, v93, v187
	s_waitcnt vmcnt(6)
	v_mul_f32_e32 v100, v94, v190
	v_add_f32_e32 v47, v47, v96
	v_fmac_f32_e32 v100, v95, v189
	ds_read2_b64 v[96:99], v110 offset0:117 offset1:118
	v_add_f32_e32 v47, v47, v100
	ds_read2_b64 v[100:103], v110 offset0:119 offset1:120
	buffer_load_dword v113, off, s[0:3], 0 offset:476
	buffer_load_dword v112, off, s[0:3], 0 offset:472
	;; [unrolled: 1-line block ×14, first 2 shown]
	v_fma_f32 v15, v16, v127, -v15
	v_mul_f32_e32 v1, v11, v1
	v_add_f32_e32 v14, v14, v15
	v_fma_f32 v1, v10, v126, -v1
	v_mul_f32_e32 v10, v13, v42
	v_add_f32_e32 v1, v14, v1
	;; [unrolled: 3-line block ×3, first 2 shown]
	v_fma_f32 v6, v6, v132, -v7
	v_add_f32_e32 v1, v1, v6
	v_mul_f32_e32 v6, v9, v44
	v_fma_f32 v6, v8, v131, -v6
	v_mul_f32_e32 v3, v3, v45
	v_add_f32_e32 v1, v1, v6
	v_fma_f32 v2, v2, v130, -v3
	v_add_f32_e32 v1, v1, v2
	v_mul_f32_e32 v2, v5, v46
	v_fma_f32 v2, v4, v138, -v2
	v_add_f32_e32 v1, v1, v2
	v_mul_f32_e32 v2, v27, v139
	;; [unrolled: 3-line block ×29, first 2 shown]
	v_fma_f32 v2, v94, v189, -v2
	s_waitcnt vmcnt(15)
	v_mov_b32_e32 v16, v105
	s_waitcnt lgkmcnt(1)
	v_mul_f32_e32 v107, v96, v192
	v_add_f32_e32 v46, v1, v2
	v_mul_f32_e32 v1, v97, v192
	s_waitcnt lgkmcnt(0)
	v_pk_mul_f32 v[16:17], v[100:101], v[16:17] op_sel_hi:[1,0]
	v_fmac_f32_e32 v107, v97, v191
	v_mul_f32_e32 v109, v98, v194
	v_fma_f32 v106, v96, v191, -v1
	v_mul_f32_e32 v1, v99, v194
	s_waitcnt vmcnt(14)
	v_pk_fma_f32 v[18:19], v[100:101], v[104:105], v[16:17] op_sel:[0,0,1] op_sel_hi:[1,1,0] neg_lo:[0,0,1] neg_hi:[0,0,1]
	v_pk_fma_f32 v[16:17], v[100:101], v[104:105], v[16:17] op_sel:[0,0,1] op_sel_hi:[1,0,0]
	v_fmac_f32_e32 v109, v99, v193
	v_fma_f32 v108, v98, v193, -v1
	v_pk_add_f32 v[14:15], v[46:47], v[106:107]
	s_waitcnt vmcnt(7)
	v_mov_b32_e32 v16, v119
	ds_read2_b64 v[2:5], v110 offset0:121 offset1:122
	ds_read2_b64 v[6:9], v110 offset0:123 offset1:124
	;; [unrolled: 1-line block ×3, first 2 shown]
	v_pk_add_f32 v[14:15], v[14:15], v[108:109]
	v_mov_b32_e32 v19, v17
	v_pk_mul_f32 v[16:17], v[102:103], v[16:17] op_sel_hi:[1,0]
	v_pk_add_f32 v[14:15], v[14:15], v[18:19]
	s_waitcnt vmcnt(6)
	v_pk_fma_f32 v[18:19], v[102:103], v[118:119], v[16:17] op_sel:[0,0,1] op_sel_hi:[1,1,0] neg_lo:[0,0,1] neg_hi:[0,0,1]
	v_pk_fma_f32 v[16:17], v[102:103], v[118:119], v[16:17] op_sel:[0,0,1] op_sel_hi:[1,0,0]
	v_mov_b32_e32 v16, v117
	v_mov_b32_e32 v19, v17
	s_waitcnt lgkmcnt(2)
	v_pk_mul_f32 v[16:17], v[2:3], v[16:17] op_sel_hi:[1,0]
	v_pk_add_f32 v[14:15], v[14:15], v[18:19]
	v_pk_fma_f32 v[18:19], v[2:3], v[116:117], v[16:17] op_sel:[0,0,1] op_sel_hi:[1,1,0] neg_lo:[0,0,1] neg_hi:[0,0,1]
	v_pk_fma_f32 v[2:3], v[2:3], v[116:117], v[16:17] op_sel:[0,0,1] op_sel_hi:[1,0,0]
	v_mov_b32_e32 v19, v3
	v_pk_add_f32 v[2:3], v[14:15], v[18:19]
	v_mov_b32_e32 v14, v115
	v_pk_mul_f32 v[14:15], v[4:5], v[14:15] op_sel_hi:[1,0]
	v_pk_fma_f32 v[16:17], v[4:5], v[114:115], v[14:15] op_sel:[0,0,1] op_sel_hi:[1,1,0] neg_lo:[0,0,1] neg_hi:[0,0,1]
	v_pk_fma_f32 v[4:5], v[4:5], v[114:115], v[14:15] op_sel:[0,0,1] op_sel_hi:[1,0,0]
	v_mov_b32_e32 v4, v113
	v_mov_b32_e32 v17, v5
	s_waitcnt lgkmcnt(1)
	v_pk_mul_f32 v[4:5], v[6:7], v[4:5] op_sel_hi:[1,0]
	v_pk_fma_f32 v[14:15], v[6:7], v[112:113], v[4:5] op_sel:[0,0,1] op_sel_hi:[1,1,0] neg_lo:[0,0,1] neg_hi:[0,0,1]
	v_pk_fma_f32 v[4:5], v[6:7], v[112:113], v[4:5] op_sel:[0,0,1] op_sel_hi:[1,0,0]
	s_waitcnt vmcnt(1)
	v_mov_b32_e32 v4, v125
	v_mov_b32_e32 v15, v5
	v_pk_mul_f32 v[4:5], v[8:9], v[4:5] op_sel_hi:[1,0]
	s_waitcnt vmcnt(0)
	v_pk_fma_f32 v[6:7], v[8:9], v[124:125], v[4:5] op_sel:[0,0,1] op_sel_hi:[1,1,0] neg_lo:[0,0,1] neg_hi:[0,0,1]
	v_pk_fma_f32 v[4:5], v[8:9], v[124:125], v[4:5] op_sel:[0,0,1] op_sel_hi:[1,0,0]
	v_pk_add_f32 v[2:3], v[2:3], v[16:17]
	v_mov_b32_e32 v4, v123
	v_pk_add_f32 v[2:3], v[2:3], v[14:15]
	v_mov_b32_e32 v7, v5
	s_waitcnt lgkmcnt(0)
	v_pk_mul_f32 v[4:5], v[10:11], v[4:5] op_sel_hi:[1,0]
	v_pk_add_f32 v[2:3], v[2:3], v[6:7]
	v_pk_fma_f32 v[6:7], v[10:11], v[122:123], v[4:5] op_sel:[0,0,1] op_sel_hi:[1,1,0] neg_lo:[0,0,1] neg_hi:[0,0,1]
	v_pk_fma_f32 v[4:5], v[10:11], v[122:123], v[4:5] op_sel:[0,0,1] op_sel_hi:[1,0,0]
	v_mov_b32_e32 v4, v121
	v_mov_b32_e32 v7, v5
	v_pk_mul_f32 v[4:5], v[12:13], v[4:5] op_sel_hi:[1,0]
	v_pk_add_f32 v[2:3], v[2:3], v[6:7]
	v_pk_fma_f32 v[6:7], v[12:13], v[120:121], v[4:5] op_sel:[0,0,1] op_sel_hi:[1,1,0] neg_lo:[0,0,1] neg_hi:[0,0,1]
	v_pk_fma_f32 v[4:5], v[12:13], v[120:121], v[4:5] op_sel:[0,0,1] op_sel_hi:[1,0,0]
	v_mov_b32_e32 v7, v5
	v_pk_add_f32 v[2:3], v[2:3], v[6:7]
	v_pk_add_f32 v[2:3], v[34:35], v[2:3] neg_lo:[0,1] neg_hi:[0,1]
	buffer_store_dword v3, off, s[0:3], 0 offset:100
	buffer_store_dword v2, off, s[0:3], 0 offset:96
	s_and_saveexec_b64 s[4:5], vcc
	s_cbranch_execz .LBB126_369
; %bb.368:
	buffer_load_dword v2, off, s[0:3], 0 offset:88
	buffer_load_dword v3, off, s[0:3], 0 offset:92
	v_mov_b32_e32 v1, 0
	buffer_store_dword v1, off, s[0:3], 0 offset:88
	buffer_store_dword v1, off, s[0:3], 0 offset:92
	s_waitcnt vmcnt(2)
	ds_write_b64 v217, v[2:3]
.LBB126_369:
	s_or_b64 exec, exec, s[4:5]
	s_waitcnt lgkmcnt(0)
	; wave barrier
	s_waitcnt lgkmcnt(0)
	buffer_load_dword v45, off, s[0:3], 0 offset:100
	buffer_load_dword v44, off, s[0:3], 0 offset:108
	;; [unrolled: 1-line block ×48, first 2 shown]
	v_mov_b32_e32 v1, 0
	ds_read_b128 v[22:25], v1 offset:608
	ds_read_b128 v[18:21], v1 offset:624
	;; [unrolled: 1-line block ×6, first 2 shown]
	buffer_load_dword v157, off, s[0:3], 0 offset:280
	buffer_load_dword v158, off, s[0:3], 0 offset:284
	v_cmp_lt_u32_e32 vcc, 10, v0
	s_waitcnt vmcnt(49) lgkmcnt(5)
	v_mul_f32_e32 v26, v22, v45
	s_waitcnt vmcnt(48)
	v_mul_f32_e32 v27, v24, v44
	s_waitcnt vmcnt(47) lgkmcnt(4)
	v_mul_f32_e32 v29, v20, v43
	s_waitcnt vmcnt(46) lgkmcnt(3)
	v_mul_f32_e32 v30, v14, v42
	s_waitcnt vmcnt(45)
	v_mul_f32_e32 v31, v16, v41
	s_waitcnt vmcnt(44) lgkmcnt(2)
	v_mul_f32_e32 v32, v10, v40
	s_waitcnt vmcnt(43)
	v_mul_f32_e32 v28, v18, v46
	s_waitcnt vmcnt(42)
	v_mul_f32_e32 v33, v12, v47
	s_waitcnt vmcnt(41) lgkmcnt(1)
	v_mul_f32_e32 v34, v6, v48
	s_waitcnt vmcnt(40)
	v_mul_f32_e32 v35, v8, v49
	s_waitcnt vmcnt(39) lgkmcnt(0)
	v_mul_f32_e32 v36, v2, v50
	s_waitcnt vmcnt(38)
	v_mul_f32_e32 v37, v4, v51
	s_waitcnt vmcnt(37)
	v_fmac_f32_e32 v28, v19, v57
	s_waitcnt vmcnt(36)
	v_fmac_f32_e32 v27, v25, v60
	;; [unrolled: 2-line block ×3, first 2 shown]
	v_add_f32_e32 v26, 0, v26
	v_add_f32_e32 v26, v26, v27
	;; [unrolled: 1-line block ×3, first 2 shown]
	s_waitcnt vmcnt(31)
	v_fmac_f32_e32 v29, v21, v62
	v_fmac_f32_e32 v30, v15, v59
	v_add_f32_e32 v26, v26, v29
	v_fmac_f32_e32 v31, v17, v56
	v_add_f32_e32 v26, v26, v30
	;; [unrolled: 2-line block ×3, first 2 shown]
	s_waitcnt vmcnt(27)
	v_fmac_f32_e32 v33, v13, v58
	v_add_f32_e32 v26, v26, v32
	v_fmac_f32_e32 v34, v7, v55
	v_add_f32_e32 v26, v26, v33
	;; [unrolled: 2-line block ×4, first 2 shown]
	s_waitcnt vmcnt(22)
	v_fmac_f32_e32 v37, v5, v138
	v_add_f32_e32 v26, v26, v36
	v_add_f32_e32 v34, v26, v37
	ds_read_b128 v[26:29], v1 offset:704
	buffer_load_dword v159, off, s[0:3], 0 offset:288
	buffer_load_dword v160, off, s[0:3], 0 offset:292
	ds_read_b128 v[30:33], v1 offset:720
	buffer_load_dword v161, off, s[0:3], 0 offset:296
	buffer_load_dword v162, off, s[0:3], 0 offset:300
	;; [unrolled: 1-line block ×12, first 2 shown]
	s_waitcnt vmcnt(35) lgkmcnt(1)
	v_mul_f32_e32 v35, v26, v139
	v_fmac_f32_e32 v35, v27, v137
	buffer_load_dword v173, off, s[0:3], 0 offset:344
	buffer_load_dword v174, off, s[0:3], 0 offset:348
	v_add_f32_e32 v34, v34, v35
	s_waitcnt vmcnt(36)
	v_mul_f32_e32 v35, v28, v140
	v_fmac_f32_e32 v35, v29, v136
	v_add_f32_e32 v34, v34, v35
	s_waitcnt lgkmcnt(0)
	v_mul_f32_e32 v35, v30, v118
	buffer_load_dword v175, off, s[0:3], 0 offset:352
	buffer_load_dword v176, off, s[0:3], 0 offset:356
	v_fmac_f32_e32 v35, v31, v61
	v_add_f32_e32 v63, v34, v35
	ds_read_b128 v[34:37], v1 offset:736
	buffer_load_dword v177, off, s[0:3], 0 offset:360
	buffer_load_dword v178, off, s[0:3], 0 offset:364
	;; [unrolled: 1-line block ×4, first 2 shown]
	s_waitcnt vmcnt(38)
	v_mul_f32_e32 v64, v32, v142
	v_fmac_f32_e32 v64, v33, v141
	v_add_f32_e32 v63, v63, v64
	ds_read_b128 v[64:67], v1 offset:752
	buffer_load_dword v181, off, s[0:3], 0 offset:376
	buffer_load_dword v182, off, s[0:3], 0 offset:380
	;; [unrolled: 1-line block ×10, first 2 shown]
	s_waitcnt vmcnt(46) lgkmcnt(1)
	v_mul_f32_e32 v68, v34, v144
	v_fmac_f32_e32 v68, v35, v143
	v_add_f32_e32 v63, v63, v68
	s_waitcnt vmcnt(44)
	v_mul_f32_e32 v68, v36, v146
	v_fmac_f32_e32 v68, v37, v145
	v_add_f32_e32 v63, v63, v68
	s_waitcnt vmcnt(42) lgkmcnt(0)
	v_mul_f32_e32 v68, v64, v148
	v_fmac_f32_e32 v68, v65, v147
	v_add_f32_e32 v63, v63, v68
	buffer_load_dword v191, off, s[0:3], 0 offset:416
	buffer_load_dword v192, off, s[0:3], 0 offset:420
	;; [unrolled: 1-line block ×6, first 2 shown]
	ds_read_b128 v[68:71], v1 offset:768
	s_waitcnt vmcnt(46)
	v_mul_f32_e32 v72, v66, v150
	v_fmac_f32_e32 v72, v67, v149
	v_add_f32_e32 v63, v63, v72
	ds_read_b128 v[72:75], v1 offset:784
	s_waitcnt vmcnt(44) lgkmcnt(1)
	v_mul_f32_e32 v76, v68, v152
	v_fmac_f32_e32 v76, v69, v151
	v_add_f32_e32 v63, v63, v76
	s_waitcnt vmcnt(42)
	v_mul_f32_e32 v76, v70, v154
	v_fmac_f32_e32 v76, v71, v153
	v_add_f32_e32 v63, v63, v76
	s_waitcnt vmcnt(40) lgkmcnt(0)
	v_mul_f32_e32 v76, v72, v156
	v_fmac_f32_e32 v76, v73, v155
	v_add_f32_e32 v63, v63, v76
	ds_read_b128 v[76:79], v1 offset:800
	s_waitcnt vmcnt(38)
	v_mul_f32_e32 v80, v74, v158
	v_fmac_f32_e32 v80, v75, v157
	v_add_f32_e32 v63, v63, v80
	ds_read_b128 v[80:83], v1 offset:816
	v_mul_f32_e32 v23, v23, v45
	v_fma_f32 v22, v22, v116, -v23
	v_mul_f32_e32 v23, v25, v44
	v_add_f32_e32 v22, 0, v22
	v_fma_f32 v23, v24, v60, -v23
	v_mul_f32_e32 v19, v19, v46
	v_add_f32_e32 v22, v22, v23
	;; [unrolled: 3-line block ×6, first 2 shown]
	v_fma_f32 v10, v10, v54, -v11
	s_waitcnt vmcnt(36) lgkmcnt(1)
	v_mul_f32_e32 v84, v76, v160
	v_fmac_f32_e32 v84, v77, v159
	v_add_f32_e32 v63, v63, v84
	s_waitcnt vmcnt(34)
	v_mul_f32_e32 v84, v78, v162
	v_fmac_f32_e32 v84, v79, v161
	v_add_f32_e32 v63, v63, v84
	s_waitcnt vmcnt(32) lgkmcnt(0)
	v_mul_f32_e32 v84, v80, v164
	v_fmac_f32_e32 v84, v81, v163
	v_add_f32_e32 v63, v63, v84
	ds_read_b128 v[84:87], v1 offset:832
	s_waitcnt vmcnt(30)
	v_mul_f32_e32 v88, v82, v166
	v_fmac_f32_e32 v88, v83, v165
	v_add_f32_e32 v63, v63, v88
	ds_read_b128 v[88:91], v1 offset:848
	s_waitcnt vmcnt(28) lgkmcnt(1)
	v_mul_f32_e32 v92, v84, v168
	v_fmac_f32_e32 v92, v85, v167
	v_add_f32_e32 v63, v63, v92
	s_waitcnt vmcnt(26)
	v_mul_f32_e32 v92, v86, v170
	v_fmac_f32_e32 v92, v87, v169
	v_add_f32_e32 v63, v63, v92
	s_waitcnt vmcnt(24) lgkmcnt(0)
	v_mul_f32_e32 v92, v88, v172
	v_fmac_f32_e32 v92, v89, v171
	v_add_f32_e32 v63, v63, v92
	ds_read_b128 v[92:95], v1 offset:864
	s_waitcnt vmcnt(22)
	v_mul_f32_e32 v96, v90, v174
	v_fmac_f32_e32 v96, v91, v173
	v_add_f32_e32 v63, v63, v96
	ds_read_b128 v[96:99], v1 offset:880
	;; [unrolled: 18-line block ×3, first 2 shown]
	s_waitcnt vmcnt(12) lgkmcnt(1)
	v_mul_f32_e32 v108, v100, v184
	v_fmac_f32_e32 v108, v101, v183
	v_add_f32_e32 v63, v63, v108
	s_waitcnt vmcnt(10)
	v_mul_f32_e32 v108, v102, v186
	v_fmac_f32_e32 v108, v103, v185
	v_add_f32_e32 v63, v63, v108
	s_waitcnt vmcnt(8) lgkmcnt(0)
	v_mul_f32_e32 v108, v104, v188
	v_fmac_f32_e32 v108, v105, v187
	s_waitcnt vmcnt(6)
	v_mul_f32_e32 v112, v106, v190
	v_add_f32_e32 v63, v63, v108
	v_fmac_f32_e32 v112, v107, v189
	ds_read_b128 v[108:111], v1 offset:928
	v_add_f32_e32 v63, v63, v112
	ds_read_b128 v[112:115], v1 offset:944
	buffer_load_dword v121, off, s[0:3], 0 offset:468
	buffer_load_dword v120, off, s[0:3], 0 offset:464
	;; [unrolled: 1-line block ×16, first 2 shown]
	v_mul_f32_e32 v11, v13, v47
	v_add_f32_e32 v10, v14, v10
	v_fma_f32 v11, v12, v58, -v11
	v_mul_f32_e32 v7, v7, v48
	v_add_f32_e32 v10, v10, v11
	v_fma_f32 v6, v6, v55, -v7
	;; [unrolled: 3-line block ×5, first 2 shown]
	v_add_f32_e32 v2, v2, v3
	v_mul_f32_e32 v3, v27, v139
	v_fma_f32 v3, v26, v137, -v3
	v_add_f32_e32 v2, v2, v3
	v_mul_f32_e32 v3, v29, v140
	v_fma_f32 v3, v28, v136, -v3
	;; [unrolled: 3-line block ×28, first 2 shown]
	v_add_f32_e32 v2, v2, v3
	s_waitcnt vmcnt(20) lgkmcnt(1)
	v_mul_f32_e32 v3, v109, v192
	v_mul_f32_e32 v117, v108, v192
	v_fma_f32 v3, v108, v191, -v3
	v_fmac_f32_e32 v117, v109, v191
	v_add_f32_e32 v62, v2, v3
	s_waitcnt vmcnt(18)
	v_mul_f32_e32 v2, v111, v194
	s_waitcnt vmcnt(9)
	v_mov_b32_e32 v18, v127
	v_add_f32_e32 v63, v63, v117
	v_mul_f32_e32 v117, v110, v194
	v_fma_f32 v116, v110, v193, -v2
	s_waitcnt lgkmcnt(0)
	v_mul_f32_e32 v2, v113, v196
	v_pk_mul_f32 v[18:19], v[114:115], v[18:19] op_sel_hi:[1,0]
	v_fmac_f32_e32 v117, v111, v193
	v_mul_f32_e32 v119, v112, v196
	v_fma_f32 v118, v112, v195, -v2
	ds_read_b128 v[2:5], v1 offset:960
	ds_read_b128 v[6:9], v1 offset:976
	;; [unrolled: 1-line block ×3, first 2 shown]
	ds_read_b64 v[14:15], v1 offset:1008
	s_waitcnt vmcnt(8)
	v_pk_fma_f32 v[20:21], v[114:115], v[126:127], v[18:19] op_sel:[0,0,1] op_sel_hi:[1,1,0] neg_lo:[0,0,1] neg_hi:[0,0,1]
	v_pk_fma_f32 v[18:19], v[114:115], v[126:127], v[18:19] op_sel:[0,0,1] op_sel_hi:[1,0,0]
	v_fmac_f32_e32 v119, v113, v195
	v_pk_add_f32 v[16:17], v[62:63], v[116:117]
	v_mov_b32_e32 v18, v125
	v_pk_add_f32 v[16:17], v[16:17], v[118:119]
	v_mov_b32_e32 v21, v19
	s_waitcnt lgkmcnt(3)
	v_pk_mul_f32 v[18:19], v[2:3], v[18:19] op_sel_hi:[1,0]
	v_pk_add_f32 v[16:17], v[16:17], v[20:21]
	v_pk_fma_f32 v[20:21], v[2:3], v[124:125], v[18:19] op_sel:[0,0,1] op_sel_hi:[1,1,0] neg_lo:[0,0,1] neg_hi:[0,0,1]
	v_pk_fma_f32 v[2:3], v[2:3], v[124:125], v[18:19] op_sel:[0,0,1] op_sel_hi:[1,0,0]
	v_mov_b32_e32 v21, v3
	v_pk_add_f32 v[2:3], v[16:17], v[20:21]
	v_mov_b32_e32 v16, v123
	v_pk_mul_f32 v[16:17], v[4:5], v[16:17] op_sel_hi:[1,0]
	v_pk_fma_f32 v[18:19], v[4:5], v[122:123], v[16:17] op_sel:[0,0,1] op_sel_hi:[1,1,0] neg_lo:[0,0,1] neg_hi:[0,0,1]
	v_pk_fma_f32 v[4:5], v[4:5], v[122:123], v[16:17] op_sel:[0,0,1] op_sel_hi:[1,0,0]
	v_mov_b32_e32 v4, v121
	v_mov_b32_e32 v19, v5
	s_waitcnt lgkmcnt(2)
	v_pk_mul_f32 v[4:5], v[6:7], v[4:5] op_sel_hi:[1,0]
	v_pk_fma_f32 v[16:17], v[6:7], v[120:121], v[4:5] op_sel:[0,0,1] op_sel_hi:[1,1,0] neg_lo:[0,0,1] neg_hi:[0,0,1]
	v_pk_fma_f32 v[4:5], v[6:7], v[120:121], v[4:5] op_sel:[0,0,1] op_sel_hi:[1,0,0]
	s_waitcnt vmcnt(1)
	v_mov_b32_e32 v4, v135
	v_mov_b32_e32 v17, v5
	v_pk_mul_f32 v[4:5], v[8:9], v[4:5] op_sel_hi:[1,0]
	s_waitcnt vmcnt(0)
	v_pk_fma_f32 v[6:7], v[8:9], v[134:135], v[4:5] op_sel:[0,0,1] op_sel_hi:[1,1,0] neg_lo:[0,0,1] neg_hi:[0,0,1]
	v_pk_fma_f32 v[4:5], v[8:9], v[134:135], v[4:5] op_sel:[0,0,1] op_sel_hi:[1,0,0]
	v_pk_add_f32 v[2:3], v[2:3], v[18:19]
	v_mov_b32_e32 v4, v133
	v_pk_add_f32 v[2:3], v[2:3], v[16:17]
	v_mov_b32_e32 v7, v5
	s_waitcnt lgkmcnt(1)
	v_pk_mul_f32 v[4:5], v[10:11], v[4:5] op_sel_hi:[1,0]
	v_pk_add_f32 v[2:3], v[2:3], v[6:7]
	v_pk_fma_f32 v[6:7], v[10:11], v[132:133], v[4:5] op_sel:[0,0,1] op_sel_hi:[1,1,0] neg_lo:[0,0,1] neg_hi:[0,0,1]
	v_pk_fma_f32 v[4:5], v[10:11], v[132:133], v[4:5] op_sel:[0,0,1] op_sel_hi:[1,0,0]
	v_mov_b32_e32 v4, v131
	v_mov_b32_e32 v7, v5
	v_pk_mul_f32 v[4:5], v[12:13], v[4:5] op_sel_hi:[1,0]
	v_pk_add_f32 v[2:3], v[2:3], v[6:7]
	v_pk_fma_f32 v[6:7], v[12:13], v[130:131], v[4:5] op_sel:[0,0,1] op_sel_hi:[1,1,0] neg_lo:[0,0,1] neg_hi:[0,0,1]
	v_pk_fma_f32 v[4:5], v[12:13], v[130:131], v[4:5] op_sel:[0,0,1] op_sel_hi:[1,0,0]
	v_mov_b32_e32 v4, v129
	v_mov_b32_e32 v7, v5
	s_waitcnt lgkmcnt(0)
	v_pk_mul_f32 v[4:5], v[14:15], v[4:5] op_sel_hi:[1,0]
	v_pk_add_f32 v[2:3], v[2:3], v[6:7]
	v_pk_fma_f32 v[6:7], v[14:15], v[128:129], v[4:5] op_sel:[0,0,1] op_sel_hi:[1,1,0] neg_lo:[0,0,1] neg_hi:[0,0,1]
	v_pk_fma_f32 v[4:5], v[14:15], v[128:129], v[4:5] op_sel:[0,0,1] op_sel_hi:[1,0,0]
	v_mov_b32_e32 v7, v5
	v_pk_add_f32 v[2:3], v[2:3], v[6:7]
	v_pk_add_f32 v[2:3], v[38:39], v[2:3] neg_lo:[0,1] neg_hi:[0,1]
	buffer_store_dword v3, off, s[0:3], 0 offset:92
	buffer_store_dword v2, off, s[0:3], 0 offset:88
	s_and_saveexec_b64 s[4:5], vcc
	s_cbranch_execz .LBB126_371
; %bb.370:
	buffer_load_dword v2, off, s[0:3], 0 offset:80
	buffer_load_dword v3, off, s[0:3], 0 offset:84
	s_waitcnt vmcnt(0)
	ds_write_b64 v217, v[2:3]
	buffer_store_dword v1, off, s[0:3], 0 offset:80
	buffer_store_dword v1, off, s[0:3], 0 offset:84
.LBB126_371:
	s_or_b64 exec, exec, s[4:5]
	s_waitcnt lgkmcnt(0)
	; wave barrier
	s_waitcnt lgkmcnt(0)
	buffer_load_dword v49, off, s[0:3], 0 offset:92
	buffer_load_dword v48, off, s[0:3], 0 offset:100
	;; [unrolled: 1-line block ×32, first 2 shown]
	ds_read2_b64 v[26:29], v1 offset0:75 offset1:76
	ds_read2_b64 v[22:25], v1 offset0:77 offset1:78
	;; [unrolled: 1-line block ×4, first 2 shown]
	buffer_load_dword v141, off, s[0:3], 0 offset:208
	buffer_load_dword v142, off, s[0:3], 0 offset:212
	ds_read2_b64 v[14:17], v1 offset0:83 offset1:84
	ds_read2_b64 v[6:9], v1 offset0:85 offset1:86
	;; [unrolled: 1-line block ×3, first 2 shown]
	buffer_load_dword v143, off, s[0:3], 0 offset:216
	buffer_load_dword v144, off, s[0:3], 0 offset:220
	;; [unrolled: 1-line block ×16, first 2 shown]
	v_cmp_lt_u32_e32 vcc, 9, v0
	s_waitcnt vmcnt(49) lgkmcnt(6)
	v_mul_f32_e32 v30, v26, v49
	s_waitcnt vmcnt(48)
	v_mul_f32_e32 v31, v28, v48
	s_waitcnt vmcnt(47) lgkmcnt(5)
	v_mul_f32_e32 v33, v24, v47
	s_waitcnt vmcnt(46) lgkmcnt(4)
	v_mul_f32_e32 v34, v18, v46
	s_waitcnt vmcnt(45)
	v_mul_f32_e32 v35, v20, v44
	s_waitcnt vmcnt(44)
	v_mul_f32_e32 v32, v22, v50
	s_waitcnt vmcnt(43) lgkmcnt(3)
	v_mul_f32_e32 v36, v10, v45
	s_waitcnt vmcnt(42)
	v_mul_f32_e32 v37, v12, v51
	s_waitcnt vmcnt(41) lgkmcnt(2)
	;; [unrolled: 4-line block ×3, first 2 shown]
	v_mul_f32_e32 v40, v6, v54
	s_waitcnt vmcnt(38)
	v_mul_f32_e32 v41, v8, v55
	s_waitcnt vmcnt(37)
	v_fmac_f32_e32 v32, v23, v61
	s_waitcnt vmcnt(36)
	v_fmac_f32_e32 v31, v29, v64
	s_waitcnt vmcnt(35)
	v_fmac_f32_e32 v30, v27, v116
	v_add_f32_e32 v30, 0, v30
	v_add_f32_e32 v30, v30, v31
	;; [unrolled: 1-line block ×3, first 2 shown]
	s_waitcnt vmcnt(31)
	v_fmac_f32_e32 v33, v25, v65
	v_fmac_f32_e32 v34, v19, v63
	v_add_f32_e32 v30, v30, v33
	v_fmac_f32_e32 v35, v21, v60
	v_add_f32_e32 v30, v30, v34
	;; [unrolled: 2-line block ×3, first 2 shown]
	s_waitcnt vmcnt(27)
	v_fmac_f32_e32 v37, v13, v62
	v_add_f32_e32 v30, v30, v36
	v_fmac_f32_e32 v38, v15, v59
	v_add_f32_e32 v30, v30, v37
	;; [unrolled: 2-line block ×4, first 2 shown]
	s_waitcnt vmcnt(23)
	v_fmac_f32_e32 v41, v9, v137
	v_add_f32_e32 v30, v30, v40
	v_add_f32_e32 v34, v30, v41
	ds_read2_b64 v[30:33], v1 offset0:89 offset1:90
	buffer_load_dword v159, off, s[0:3], 0 offset:280
	buffer_load_dword v160, off, s[0:3], 0 offset:284
	;; [unrolled: 1-line block ×12, first 2 shown]
	s_waitcnt vmcnt(34) lgkmcnt(1)
	v_mul_f32_e32 v35, v2, v138
	v_fmac_f32_e32 v35, v3, v136
	buffer_load_dword v171, off, s[0:3], 0 offset:328
	buffer_load_dword v172, off, s[0:3], 0 offset:332
	v_add_f32_e32 v34, v34, v35
	s_waitcnt vmcnt(35)
	v_mul_f32_e32 v35, v4, v139
	v_fmac_f32_e32 v35, v5, v124
	v_add_f32_e32 v34, v34, v35
	s_waitcnt vmcnt(34) lgkmcnt(0)
	v_mul_f32_e32 v35, v30, v140
	v_fmac_f32_e32 v35, v31, v66
	buffer_load_dword v173, off, s[0:3], 0 offset:336
	buffer_load_dword v174, off, s[0:3], 0 offset:340
	v_add_f32_e32 v34, v34, v35
	s_waitcnt vmcnt(32)
	v_mul_f32_e32 v35, v32, v142
	v_fmac_f32_e32 v35, v33, v141
	v_add_f32_e32 v67, v34, v35
	ds_read2_b64 v[34:37], v1 offset0:91 offset1:92
	buffer_load_dword v175, off, s[0:3], 0 offset:344
	buffer_load_dword v176, off, s[0:3], 0 offset:348
	ds_read2_b64 v[38:41], v1 offset0:93 offset1:94
	buffer_load_dword v177, off, s[0:3], 0 offset:352
	buffer_load_dword v178, off, s[0:3], 0 offset:356
	buffer_load_dword v179, off, s[0:3], 0 offset:360
	buffer_load_dword v180, off, s[0:3], 0 offset:364
	buffer_load_dword v181, off, s[0:3], 0 offset:368
	buffer_load_dword v182, off, s[0:3], 0 offset:372
	buffer_load_dword v183, off, s[0:3], 0 offset:376
	buffer_load_dword v184, off, s[0:3], 0 offset:380
	buffer_load_dword v185, off, s[0:3], 0 offset:384
	buffer_load_dword v186, off, s[0:3], 0 offset:388
	buffer_load_dword v187, off, s[0:3], 0 offset:392
	buffer_load_dword v188, off, s[0:3], 0 offset:396
	buffer_load_dword v189, off, s[0:3], 0 offset:400
	buffer_load_dword v190, off, s[0:3], 0 offset:404
	s_waitcnt vmcnt(46) lgkmcnt(1)
	v_mul_f32_e32 v68, v34, v144
	v_fmac_f32_e32 v68, v35, v143
	v_add_f32_e32 v67, v67, v68
	s_waitcnt vmcnt(44)
	v_mul_f32_e32 v68, v36, v146
	v_fmac_f32_e32 v68, v37, v145
	v_add_f32_e32 v67, v67, v68
	s_waitcnt vmcnt(42) lgkmcnt(0)
	v_mul_f32_e32 v68, v38, v148
	v_fmac_f32_e32 v68, v39, v147
	v_add_f32_e32 v67, v67, v68
	buffer_load_dword v191, off, s[0:3], 0 offset:408
	buffer_load_dword v192, off, s[0:3], 0 offset:412
	ds_read2_b64 v[68:71], v1 offset0:95 offset1:96
	s_waitcnt vmcnt(42)
	v_mul_f32_e32 v72, v40, v150
	v_fmac_f32_e32 v72, v41, v149
	buffer_load_dword v193, off, s[0:3], 0 offset:416
	buffer_load_dword v194, off, s[0:3], 0 offset:420
	v_add_f32_e32 v67, v67, v72
	buffer_load_dword v195, off, s[0:3], 0 offset:424
	buffer_load_dword v196, off, s[0:3], 0 offset:428
	ds_read2_b64 v[72:75], v1 offset0:97 offset1:98
	s_waitcnt vmcnt(44) lgkmcnt(1)
	v_mul_f32_e32 v76, v68, v152
	v_fmac_f32_e32 v76, v69, v151
	v_add_f32_e32 v67, v67, v76
	s_waitcnt vmcnt(42)
	v_mul_f32_e32 v76, v70, v154
	v_fmac_f32_e32 v76, v71, v153
	v_add_f32_e32 v67, v67, v76
	s_waitcnt vmcnt(40) lgkmcnt(0)
	v_mul_f32_e32 v76, v72, v156
	v_fmac_f32_e32 v76, v73, v155
	buffer_load_dword v197, off, s[0:3], 0 offset:432
	buffer_load_dword v198, off, s[0:3], 0 offset:436
	v_add_f32_e32 v67, v67, v76
	ds_read2_b64 v[76:79], v1 offset0:99 offset1:100
	s_waitcnt vmcnt(40)
	v_mul_f32_e32 v80, v74, v158
	v_fmac_f32_e32 v80, v75, v157
	v_add_f32_e32 v67, v67, v80
	ds_read2_b64 v[80:83], v1 offset0:101 offset1:102
	v_mul_f32_e32 v27, v27, v49
	v_fma_f32 v26, v26, v116, -v27
	v_mul_f32_e32 v27, v29, v48
	v_add_f32_e32 v26, 0, v26
	v_fma_f32 v27, v28, v64, -v27
	v_mul_f32_e32 v23, v23, v50
	v_add_f32_e32 v26, v26, v27
	;; [unrolled: 3-line block ×5, first 2 shown]
	v_fma_f32 v19, v20, v60, -v19
	v_mul_f32_e32 v11, v11, v45
	s_waitcnt vmcnt(38) lgkmcnt(1)
	v_mul_f32_e32 v84, v76, v160
	v_fmac_f32_e32 v84, v77, v159
	v_add_f32_e32 v67, v67, v84
	s_waitcnt vmcnt(36)
	v_mul_f32_e32 v84, v78, v162
	v_fmac_f32_e32 v84, v79, v161
	v_add_f32_e32 v67, v67, v84
	s_waitcnt vmcnt(34) lgkmcnt(0)
	v_mul_f32_e32 v84, v80, v164
	v_fmac_f32_e32 v84, v81, v163
	v_add_f32_e32 v67, v67, v84
	ds_read2_b64 v[84:87], v1 offset0:103 offset1:104
	s_waitcnt vmcnt(32)
	v_mul_f32_e32 v88, v82, v166
	v_fmac_f32_e32 v88, v83, v165
	v_add_f32_e32 v67, v67, v88
	ds_read2_b64 v[88:91], v1 offset0:105 offset1:106
	s_waitcnt vmcnt(30) lgkmcnt(1)
	v_mul_f32_e32 v92, v84, v168
	v_fmac_f32_e32 v92, v85, v167
	v_add_f32_e32 v67, v67, v92
	s_waitcnt vmcnt(28)
	v_mul_f32_e32 v92, v86, v170
	v_fmac_f32_e32 v92, v87, v169
	v_add_f32_e32 v67, v67, v92
	s_waitcnt vmcnt(26) lgkmcnt(0)
	v_mul_f32_e32 v92, v88, v172
	v_fmac_f32_e32 v92, v89, v171
	v_add_f32_e32 v67, v67, v92
	ds_read2_b64 v[92:95], v1 offset0:107 offset1:108
	s_waitcnt vmcnt(24)
	v_mul_f32_e32 v96, v90, v174
	v_fmac_f32_e32 v96, v91, v173
	v_add_f32_e32 v67, v67, v96
	ds_read2_b64 v[96:99], v1 offset0:109 offset1:110
	;; [unrolled: 18-line block ×3, first 2 shown]
	s_waitcnt vmcnt(14) lgkmcnt(1)
	v_mul_f32_e32 v108, v100, v184
	v_fmac_f32_e32 v108, v101, v183
	v_add_f32_e32 v67, v67, v108
	s_waitcnt vmcnt(12)
	v_mul_f32_e32 v108, v102, v186
	v_fmac_f32_e32 v108, v103, v185
	v_add_f32_e32 v67, v67, v108
	s_waitcnt vmcnt(10) lgkmcnt(0)
	v_mul_f32_e32 v108, v104, v188
	v_fmac_f32_e32 v108, v105, v187
	s_waitcnt vmcnt(8)
	v_mul_f32_e32 v112, v106, v190
	v_add_f32_e32 v67, v67, v108
	v_fmac_f32_e32 v112, v107, v189
	ds_read2_b64 v[108:111], v1 offset0:115 offset1:116
	v_add_f32_e32 v67, v67, v112
	ds_read2_b64 v[112:115], v1 offset0:117 offset1:118
	buffer_load_dword v119, off, s[0:3], 0 offset:460
	buffer_load_dword v118, off, s[0:3], 0 offset:456
	;; [unrolled: 1-line block ×6, first 2 shown]
	v_add_f32_e32 v18, v18, v19
	v_fma_f32 v10, v10, v58, -v11
	v_mul_f32_e32 v11, v13, v51
	v_add_f32_e32 v10, v18, v10
	v_fma_f32 v11, v12, v62, -v11
	buffer_load_dword v127, off, s[0:3], 0 offset:492
	buffer_load_dword v126, off, s[0:3], 0 offset:488
	;; [unrolled: 1-line block ×10, first 2 shown]
	v_add_f32_e32 v10, v10, v11
	v_mul_f32_e32 v11, v15, v52
	v_fma_f32 v11, v14, v59, -v11
	v_add_f32_e32 v10, v10, v11
	v_mul_f32_e32 v11, v17, v53
	v_fma_f32 v11, v16, v57, -v11
	v_mul_f32_e32 v7, v7, v54
	v_add_f32_e32 v10, v10, v11
	v_fma_f32 v6, v6, v56, -v7
	v_mul_f32_e32 v7, v9, v55
	v_add_f32_e32 v6, v10, v6
	;; [unrolled: 3-line block ×4, first 2 shown]
	v_fma_f32 v3, v4, v124, -v3
	v_add_f32_e32 v2, v2, v3
	v_mul_f32_e32 v3, v31, v140
	v_fma_f32 v3, v30, v66, -v3
	v_add_f32_e32 v2, v2, v3
	v_mul_f32_e32 v3, v33, v142
	;; [unrolled: 3-line block ×26, first 2 shown]
	v_fma_f32 v3, v106, v189, -v3
	v_add_f32_e32 v2, v2, v3
	s_waitcnt vmcnt(22) lgkmcnt(1)
	v_mul_f32_e32 v3, v109, v192
	v_fma_f32 v3, v108, v191, -v3
	v_add_f32_e32 v2, v2, v3
	s_waitcnt vmcnt(20)
	v_mul_f32_e32 v3, v111, v194
	v_mul_f32_e32 v117, v108, v192
	v_fma_f32 v3, v110, v193, -v3
	v_fmac_f32_e32 v117, v109, v191
	v_add_f32_e32 v66, v2, v3
	s_waitcnt vmcnt(18) lgkmcnt(0)
	v_mul_f32_e32 v2, v113, v196
	v_add_f32_e32 v67, v67, v117
	v_mul_f32_e32 v117, v110, v194
	v_fma_f32 v116, v112, v195, -v2
	s_waitcnt vmcnt(16)
	v_mul_f32_e32 v2, v115, v198
	v_fmac_f32_e32 v117, v111, v193
	v_fma_f32 v124, v114, v197, -v2
	ds_read2_b64 v[2:5], v1 offset0:119 offset1:120
	ds_read2_b64 v[6:9], v1 offset0:121 offset1:122
	;; [unrolled: 1-line block ×4, first 2 shown]
	v_add_f32_e32 v67, v67, v117
	v_mul_f32_e32 v117, v112, v196
	s_waitcnt vmcnt(11)
	v_mov_b32_e32 v20, v123
	v_fmac_f32_e32 v117, v113, v195
	v_mul_f32_e32 v125, v114, v198
	s_waitcnt lgkmcnt(3)
	v_pk_mul_f32 v[20:21], v[2:3], v[20:21] op_sel_hi:[1,0]
	v_fmac_f32_e32 v125, v115, v197
	v_pk_add_f32 v[18:19], v[66:67], v[116:117]
	s_waitcnt vmcnt(10)
	v_pk_fma_f32 v[22:23], v[2:3], v[122:123], v[20:21] op_sel:[0,0,1] op_sel_hi:[1,1,0] neg_lo:[0,0,1] neg_hi:[0,0,1]
	v_pk_fma_f32 v[2:3], v[2:3], v[122:123], v[20:21] op_sel:[0,0,1] op_sel_hi:[1,0,0]
	v_pk_add_f32 v[18:19], v[18:19], v[124:125]
	v_mov_b32_e32 v23, v3
	v_pk_add_f32 v[2:3], v[18:19], v[22:23]
	v_mov_b32_e32 v18, v121
	v_pk_mul_f32 v[18:19], v[4:5], v[18:19] op_sel_hi:[1,0]
	v_pk_fma_f32 v[20:21], v[4:5], v[120:121], v[18:19] op_sel:[0,0,1] op_sel_hi:[1,1,0] neg_lo:[0,0,1] neg_hi:[0,0,1]
	v_pk_fma_f32 v[4:5], v[4:5], v[120:121], v[18:19] op_sel:[0,0,1] op_sel_hi:[1,0,0]
	v_mov_b32_e32 v4, v119
	v_mov_b32_e32 v21, v5
	s_waitcnt lgkmcnt(2)
	v_pk_mul_f32 v[4:5], v[6:7], v[4:5] op_sel_hi:[1,0]
	v_pk_fma_f32 v[18:19], v[6:7], v[118:119], v[4:5] op_sel:[0,0,1] op_sel_hi:[1,1,0] neg_lo:[0,0,1] neg_hi:[0,0,1]
	v_pk_fma_f32 v[4:5], v[6:7], v[118:119], v[4:5] op_sel:[0,0,1] op_sel_hi:[1,0,0]
	s_waitcnt vmcnt(3)
	v_mov_b32_e32 v4, v133
	v_mov_b32_e32 v19, v5
	v_pk_mul_f32 v[4:5], v[8:9], v[4:5] op_sel_hi:[1,0]
	s_waitcnt vmcnt(2)
	v_pk_fma_f32 v[6:7], v[8:9], v[132:133], v[4:5] op_sel:[0,0,1] op_sel_hi:[1,1,0] neg_lo:[0,0,1] neg_hi:[0,0,1]
	v_pk_fma_f32 v[4:5], v[8:9], v[132:133], v[4:5] op_sel:[0,0,1] op_sel_hi:[1,0,0]
	v_pk_add_f32 v[2:3], v[2:3], v[20:21]
	v_mov_b32_e32 v4, v131
	v_pk_add_f32 v[2:3], v[2:3], v[18:19]
	v_mov_b32_e32 v7, v5
	s_waitcnt lgkmcnt(1)
	v_pk_mul_f32 v[4:5], v[10:11], v[4:5] op_sel_hi:[1,0]
	v_pk_add_f32 v[2:3], v[2:3], v[6:7]
	v_pk_fma_f32 v[6:7], v[10:11], v[130:131], v[4:5] op_sel:[0,0,1] op_sel_hi:[1,1,0] neg_lo:[0,0,1] neg_hi:[0,0,1]
	v_pk_fma_f32 v[4:5], v[10:11], v[130:131], v[4:5] op_sel:[0,0,1] op_sel_hi:[1,0,0]
	v_mov_b32_e32 v4, v129
	v_mov_b32_e32 v7, v5
	v_pk_mul_f32 v[4:5], v[12:13], v[4:5] op_sel_hi:[1,0]
	v_pk_add_f32 v[2:3], v[2:3], v[6:7]
	v_pk_fma_f32 v[6:7], v[12:13], v[128:129], v[4:5] op_sel:[0,0,1] op_sel_hi:[1,1,0] neg_lo:[0,0,1] neg_hi:[0,0,1]
	v_pk_fma_f32 v[4:5], v[12:13], v[128:129], v[4:5] op_sel:[0,0,1] op_sel_hi:[1,0,0]
	v_mov_b32_e32 v4, v127
	v_mov_b32_e32 v7, v5
	s_waitcnt lgkmcnt(0)
	v_pk_mul_f32 v[4:5], v[14:15], v[4:5] op_sel_hi:[1,0]
	v_pk_add_f32 v[2:3], v[2:3], v[6:7]
	v_pk_fma_f32 v[6:7], v[14:15], v[126:127], v[4:5] op_sel:[0,0,1] op_sel_hi:[1,1,0] neg_lo:[0,0,1] neg_hi:[0,0,1]
	v_pk_fma_f32 v[4:5], v[14:15], v[126:127], v[4:5] op_sel:[0,0,1] op_sel_hi:[1,0,0]
	s_waitcnt vmcnt(1)
	v_mov_b32_e32 v4, v135
	v_mov_b32_e32 v7, v5
	v_pk_mul_f32 v[4:5], v[16:17], v[4:5] op_sel_hi:[1,0]
	v_pk_add_f32 v[2:3], v[2:3], v[6:7]
	s_waitcnt vmcnt(0)
	v_pk_fma_f32 v[6:7], v[16:17], v[134:135], v[4:5] op_sel:[0,0,1] op_sel_hi:[1,1,0] neg_lo:[0,0,1] neg_hi:[0,0,1]
	v_pk_fma_f32 v[4:5], v[16:17], v[134:135], v[4:5] op_sel:[0,0,1] op_sel_hi:[1,0,0]
	v_mov_b32_e32 v7, v5
	v_pk_add_f32 v[2:3], v[2:3], v[6:7]
	v_pk_add_f32 v[2:3], v[42:43], v[2:3] neg_lo:[0,1] neg_hi:[0,1]
	buffer_store_dword v3, off, s[0:3], 0 offset:84
	buffer_store_dword v2, off, s[0:3], 0 offset:80
	s_and_saveexec_b64 s[4:5], vcc
	s_cbranch_execz .LBB126_373
; %bb.372:
	buffer_load_dword v2, off, s[0:3], 0 offset:72
	buffer_load_dword v3, off, s[0:3], 0 offset:76
	v_mov_b32_e32 v1, 0
	buffer_store_dword v1, off, s[0:3], 0 offset:72
	buffer_store_dword v1, off, s[0:3], 0 offset:76
	s_waitcnt vmcnt(2)
	ds_write_b64 v217, v[2:3]
.LBB126_373:
	s_or_b64 exec, exec, s[4:5]
	v_mov_b32_e32 v114, 0
	s_waitcnt lgkmcnt(0)
	; wave barrier
	s_waitcnt lgkmcnt(0)
	ds_read_b128 v[2:5], v114 offset:592
	buffer_load_dword v94, off, s[0:3], 0 offset:72
	buffer_load_dword v95, off, s[0:3], 0 offset:76
	;; [unrolled: 1-line block ×16, first 2 shown]
	v_cmp_lt_u32_e32 vcc, 8, v0
	s_waitcnt vmcnt(12) lgkmcnt(0)
	v_mul_f32_e32 v6, v2, v102
	v_fmac_f32_e32 v6, v3, v1
	s_waitcnt vmcnt(10)
	v_mul_f32_e32 v7, v4, v116
	v_add_f32_e32 v6, 0, v6
	v_fmac_f32_e32 v7, v5, v96
	v_add_f32_e32 v10, v6, v7
	ds_read_b128 v[6:9], v114 offset:608
	v_mul_f32_e32 v3, v3, v102
	v_fma_f32 v1, v2, v1, -v3
	v_mul_f32_e32 v2, v5, v116
	v_add_f32_e32 v1, 0, v1
	s_waitcnt vmcnt(8) lgkmcnt(0)
	v_mul_f32_e32 v11, v6, v118
	v_fmac_f32_e32 v11, v7, v98
	v_add_f32_e32 v10, v10, v11
	s_waitcnt vmcnt(6)
	v_mul_f32_e32 v11, v8, v120
	v_fmac_f32_e32 v11, v9, v115
	v_add_f32_e32 v14, v10, v11
	ds_read_b128 v[10:13], v114 offset:624
	v_fma_f32 v2, v4, v96, -v2
	v_add_f32_e32 v1, v1, v2
	v_mul_f32_e32 v2, v7, v118
	v_fma_f32 v2, v6, v98, -v2
	s_waitcnt vmcnt(4) lgkmcnt(0)
	v_mul_f32_e32 v15, v10, v122
	v_fmac_f32_e32 v15, v11, v117
	v_add_f32_e32 v14, v14, v15
	s_waitcnt vmcnt(2)
	v_mul_f32_e32 v15, v12, v123
	v_fmac_f32_e32 v15, v13, v119
	v_add_f32_e32 v18, v14, v15
	ds_read_b128 v[14:17], v114 offset:640
	buffer_load_dword v125, off, s[0:3], 0 offset:136
	buffer_load_dword v126, off, s[0:3], 0 offset:140
	v_add_f32_e32 v1, v1, v2
	v_mul_f32_e32 v2, v9, v120
	v_fma_f32 v2, v8, v115, -v2
	s_waitcnt vmcnt(2) lgkmcnt(0)
	v_mul_f32_e32 v19, v14, v124
	v_fmac_f32_e32 v19, v15, v121
	v_add_f32_e32 v18, v18, v19
	v_add_f32_e32 v1, v1, v2
	v_mul_f32_e32 v2, v11, v122
	v_fma_f32 v2, v10, v117, -v2
	v_add_f32_e32 v1, v1, v2
	v_mul_f32_e32 v2, v13, v123
	v_fma_f32 v2, v12, v119, -v2
	;; [unrolled: 3-line block ×3, first 2 shown]
	v_add_f32_e32 v1, v1, v2
	s_waitcnt vmcnt(0)
	v_mul_f32_e32 v19, v16, v126
	v_fmac_f32_e32 v19, v17, v125
	v_add_f32_e32 v22, v18, v19
	ds_read_b128 v[18:21], v114 offset:656
	buffer_load_dword v127, off, s[0:3], 0 offset:144
	buffer_load_dword v128, off, s[0:3], 0 offset:148
	;; [unrolled: 1-line block ×4, first 2 shown]
	v_mul_f32_e32 v2, v17, v126
	v_fma_f32 v2, v16, v125, -v2
	v_add_f32_e32 v1, v1, v2
	s_waitcnt vmcnt(2) lgkmcnt(0)
	v_mul_f32_e32 v23, v18, v128
	v_fmac_f32_e32 v23, v19, v127
	v_add_f32_e32 v22, v22, v23
	s_waitcnt vmcnt(0)
	v_mul_f32_e32 v23, v20, v130
	v_fmac_f32_e32 v23, v21, v129
	v_add_f32_e32 v26, v22, v23
	ds_read_b128 v[22:25], v114 offset:672
	buffer_load_dword v131, off, s[0:3], 0 offset:160
	buffer_load_dword v132, off, s[0:3], 0 offset:164
	buffer_load_dword v133, off, s[0:3], 0 offset:168
	buffer_load_dword v134, off, s[0:3], 0 offset:172
	v_mul_f32_e32 v2, v19, v128
	v_fma_f32 v2, v18, v127, -v2
	v_add_f32_e32 v1, v1, v2
	v_mul_f32_e32 v2, v21, v130
	v_fma_f32 v2, v20, v129, -v2
	v_add_f32_e32 v1, v1, v2
	s_waitcnt vmcnt(2) lgkmcnt(0)
	v_mul_f32_e32 v27, v22, v132
	v_fmac_f32_e32 v27, v23, v131
	v_add_f32_e32 v26, v26, v27
	s_waitcnt vmcnt(0)
	v_mul_f32_e32 v27, v24, v134
	v_fmac_f32_e32 v27, v25, v133
	v_add_f32_e32 v30, v26, v27
	ds_read_b128 v[26:29], v114 offset:688
	buffer_load_dword v135, off, s[0:3], 0 offset:176
	buffer_load_dword v136, off, s[0:3], 0 offset:180
	buffer_load_dword v137, off, s[0:3], 0 offset:184
	buffer_load_dword v138, off, s[0:3], 0 offset:188
	v_mul_f32_e32 v2, v23, v132
	v_fma_f32 v2, v22, v131, -v2
	v_add_f32_e32 v1, v1, v2
	;; [unrolled: 19-line block ×4, first 2 shown]
	v_mul_f32_e32 v2, v33, v142
	v_fma_f32 v2, v32, v141, -v2
	v_add_f32_e32 v1, v1, v2
	s_waitcnt vmcnt(2) lgkmcnt(0)
	v_mul_f32_e32 v39, v34, v144
	v_fmac_f32_e32 v39, v35, v143
	v_add_f32_e32 v38, v38, v39
	s_waitcnt vmcnt(0)
	v_mul_f32_e32 v39, v36, v146
	v_fmac_f32_e32 v39, v37, v145
	v_add_f32_e32 v42, v38, v39
	ds_read_b128 v[38:41], v114 offset:736
	buffer_load_dword v147, off, s[0:3], 0 offset:224
	buffer_load_dword v148, off, s[0:3], 0 offset:228
	buffer_load_dword v149, off, s[0:3], 0 offset:232
	buffer_load_dword v150, off, s[0:3], 0 offset:236
	ds_read_b128 v[46:49], v114 offset:752
	buffer_load_dword v151, off, s[0:3], 0 offset:240
	buffer_load_dword v152, off, s[0:3], 0 offset:244
	buffer_load_dword v153, off, s[0:3], 0 offset:248
	buffer_load_dword v154, off, s[0:3], 0 offset:252
	;; [unrolled: 5-line block ×13, first 2 shown]
	v_mul_f32_e32 v2, v35, v144
	v_fma_f32 v2, v34, v143, -v2
	v_add_f32_e32 v1, v1, v2
	v_mul_f32_e32 v2, v37, v146
	v_fma_f32 v2, v36, v145, -v2
	v_add_f32_e32 v1, v1, v2
	s_waitcnt vmcnt(50) lgkmcnt(12)
	v_mul_f32_e32 v43, v38, v148
	v_fmac_f32_e32 v43, v39, v147
	v_add_f32_e32 v42, v42, v43
	s_waitcnt vmcnt(48)
	v_mul_f32_e32 v43, v40, v150
	v_fmac_f32_e32 v43, v41, v149
	v_add_f32_e32 v42, v42, v43
	s_waitcnt vmcnt(46) lgkmcnt(11)
	v_mul_f32_e32 v43, v46, v152
	v_fmac_f32_e32 v43, v47, v151
	v_add_f32_e32 v42, v42, v43
	s_waitcnt vmcnt(44)
	v_mul_f32_e32 v43, v48, v154
	v_fmac_f32_e32 v43, v49, v153
	v_add_f32_e32 v42, v42, v43
	s_waitcnt vmcnt(42) lgkmcnt(10)
	v_mul_f32_e32 v43, v50, v156
	v_fmac_f32_e32 v43, v51, v155
	v_add_f32_e32 v42, v42, v43
	s_waitcnt vmcnt(40)
	v_mul_f32_e32 v43, v52, v158
	v_fmac_f32_e32 v43, v53, v157
	v_add_f32_e32 v42, v42, v43
	s_waitcnt vmcnt(38) lgkmcnt(9)
	v_mul_f32_e32 v43, v54, v160
	v_fmac_f32_e32 v43, v55, v159
	v_add_f32_e32 v42, v42, v43
	s_waitcnt vmcnt(36)
	v_mul_f32_e32 v43, v56, v162
	v_fmac_f32_e32 v43, v57, v161
	v_add_f32_e32 v42, v42, v43
	s_waitcnt vmcnt(34) lgkmcnt(8)
	v_mul_f32_e32 v43, v58, v164
	v_fmac_f32_e32 v43, v59, v163
	v_add_f32_e32 v42, v42, v43
	s_waitcnt vmcnt(32)
	v_mul_f32_e32 v43, v60, v166
	v_fmac_f32_e32 v43, v61, v165
	v_add_f32_e32 v42, v42, v43
	s_waitcnt vmcnt(30) lgkmcnt(7)
	v_mul_f32_e32 v43, v62, v168
	v_fmac_f32_e32 v43, v63, v167
	v_add_f32_e32 v42, v42, v43
	s_waitcnt vmcnt(28)
	v_mul_f32_e32 v43, v64, v170
	v_fmac_f32_e32 v43, v65, v169
	v_add_f32_e32 v42, v42, v43
	s_waitcnt vmcnt(26) lgkmcnt(6)
	v_mul_f32_e32 v43, v66, v172
	v_fmac_f32_e32 v43, v67, v171
	v_add_f32_e32 v42, v42, v43
	s_waitcnt vmcnt(24)
	v_mul_f32_e32 v43, v68, v174
	v_fmac_f32_e32 v43, v69, v173
	v_add_f32_e32 v42, v42, v43
	s_waitcnt vmcnt(22) lgkmcnt(5)
	v_mul_f32_e32 v43, v70, v176
	v_fmac_f32_e32 v43, v71, v175
	v_add_f32_e32 v42, v42, v43
	s_waitcnt vmcnt(20)
	v_mul_f32_e32 v43, v72, v178
	v_fmac_f32_e32 v43, v73, v177
	v_add_f32_e32 v42, v42, v43
	s_waitcnt vmcnt(18) lgkmcnt(4)
	v_mul_f32_e32 v43, v74, v180
	v_fmac_f32_e32 v43, v75, v179
	v_add_f32_e32 v42, v42, v43
	s_waitcnt vmcnt(16)
	v_mul_f32_e32 v43, v76, v182
	v_fmac_f32_e32 v43, v77, v181
	v_add_f32_e32 v42, v42, v43
	s_waitcnt vmcnt(14) lgkmcnt(3)
	v_mul_f32_e32 v43, v78, v184
	v_fmac_f32_e32 v43, v79, v183
	v_add_f32_e32 v42, v42, v43
	s_waitcnt vmcnt(12)
	v_mul_f32_e32 v43, v80, v186
	v_fmac_f32_e32 v43, v81, v185
	v_add_f32_e32 v42, v42, v43
	s_waitcnt vmcnt(10) lgkmcnt(2)
	v_mul_f32_e32 v43, v82, v188
	v_fmac_f32_e32 v43, v83, v187
	v_add_f32_e32 v42, v42, v43
	s_waitcnt vmcnt(8)
	v_mul_f32_e32 v43, v84, v190
	v_fmac_f32_e32 v43, v85, v189
	v_add_f32_e32 v42, v42, v43
	s_waitcnt vmcnt(6) lgkmcnt(1)
	v_mul_f32_e32 v43, v86, v192
	v_fmac_f32_e32 v43, v87, v191
	v_add_f32_e32 v42, v42, v43
	s_waitcnt vmcnt(4)
	v_mul_f32_e32 v43, v88, v194
	v_fmac_f32_e32 v43, v89, v193
	v_add_f32_e32 v42, v42, v43
	s_waitcnt vmcnt(2) lgkmcnt(0)
	v_mul_f32_e32 v43, v90, v196
	v_fmac_f32_e32 v43, v91, v195
	v_add_f32_e32 v97, v42, v43
	ds_read_b128 v[42:45], v114 offset:944
	buffer_load_dword v199, off, s[0:3], 0 offset:432
	buffer_load_dword v200, off, s[0:3], 0 offset:436
	;; [unrolled: 1-line block ×18, first 2 shown]
	v_mul_f32_e32 v2, v39, v148
	v_fma_f32 v2, v38, v147, -v2
	v_add_f32_e32 v1, v1, v2
	v_mul_f32_e32 v2, v41, v150
	v_fma_f32 v2, v40, v149, -v2
	v_add_f32_e32 v1, v1, v2
	;; [unrolled: 3-line block ×24, first 2 shown]
	v_mul_f32_e32 v2, v91, v196
	v_fma_f32 v2, v90, v195, -v2
	s_waitcnt vmcnt(15)
	v_mov_b32_e32 v18, v101
	v_mul_f32_e32 v99, v92, v198
	v_add_f32_e32 v96, v1, v2
	v_mul_f32_e32 v1, v93, v198
	s_waitcnt lgkmcnt(0)
	v_pk_mul_f32 v[18:19], v[44:45], v[18:19] op_sel_hi:[1,0]
	v_fmac_f32_e32 v99, v93, v197
	v_mul_f32_e32 v103, v42, v200
	v_fma_f32 v98, v92, v197, -v1
	v_mul_f32_e32 v1, v43, v200
	ds_read_b128 v[2:5], v114 offset:960
	ds_read_b128 v[6:9], v114 offset:976
	;; [unrolled: 1-line block ×3, first 2 shown]
	ds_read_b64 v[14:15], v114 offset:1008
	s_waitcnt vmcnt(14)
	v_pk_fma_f32 v[20:21], v[44:45], v[100:101], v[18:19] op_sel:[0,0,1] op_sel_hi:[1,1,0] neg_lo:[0,0,1] neg_hi:[0,0,1]
	v_pk_fma_f32 v[18:19], v[44:45], v[100:101], v[18:19] op_sel:[0,0,1] op_sel_hi:[1,0,0]
	v_fmac_f32_e32 v103, v43, v199
	v_fma_f32 v102, v42, v199, -v1
	v_pk_add_f32 v[16:17], v[96:97], v[98:99]
	s_waitcnt vmcnt(13)
	v_mov_b32_e32 v18, v239
	v_pk_add_f32 v[16:17], v[16:17], v[102:103]
	v_mov_b32_e32 v21, v19
	s_waitcnt lgkmcnt(3)
	v_pk_mul_f32 v[18:19], v[2:3], v[18:19] op_sel_hi:[1,0]
	v_pk_add_f32 v[16:17], v[16:17], v[20:21]
	s_waitcnt vmcnt(12)
	v_pk_fma_f32 v[20:21], v[2:3], v[238:239], v[18:19] op_sel:[0,0,1] op_sel_hi:[1,1,0] neg_lo:[0,0,1] neg_hi:[0,0,1]
	v_pk_fma_f32 v[2:3], v[2:3], v[238:239], v[18:19] op_sel:[0,0,1] op_sel_hi:[1,0,0]
	v_mov_b32_e32 v21, v3
	v_pk_add_f32 v[2:3], v[16:17], v[20:21]
	s_waitcnt vmcnt(11)
	v_mov_b32_e32 v16, v237
	v_pk_mul_f32 v[16:17], v[4:5], v[16:17] op_sel_hi:[1,0]
	s_waitcnt vmcnt(10)
	v_pk_fma_f32 v[18:19], v[4:5], v[236:237], v[16:17] op_sel:[0,0,1] op_sel_hi:[1,1,0] neg_lo:[0,0,1] neg_hi:[0,0,1]
	v_pk_fma_f32 v[4:5], v[4:5], v[236:237], v[16:17] op_sel:[0,0,1] op_sel_hi:[1,0,0]
	s_waitcnt vmcnt(9)
	v_mov_b32_e32 v4, v113
	v_mov_b32_e32 v19, v5
	s_waitcnt lgkmcnt(2)
	v_pk_mul_f32 v[4:5], v[6:7], v[4:5] op_sel_hi:[1,0]
	s_waitcnt vmcnt(8)
	v_pk_fma_f32 v[16:17], v[6:7], v[112:113], v[4:5] op_sel:[0,0,1] op_sel_hi:[1,1,0] neg_lo:[0,0,1] neg_hi:[0,0,1]
	v_pk_fma_f32 v[4:5], v[6:7], v[112:113], v[4:5] op_sel:[0,0,1] op_sel_hi:[1,0,0]
	s_waitcnt vmcnt(7)
	v_mov_b32_e32 v4, v111
	v_mov_b32_e32 v17, v5
	v_pk_mul_f32 v[4:5], v[8:9], v[4:5] op_sel_hi:[1,0]
	s_waitcnt vmcnt(6)
	v_pk_fma_f32 v[6:7], v[8:9], v[110:111], v[4:5] op_sel:[0,0,1] op_sel_hi:[1,1,0] neg_lo:[0,0,1] neg_hi:[0,0,1]
	v_pk_fma_f32 v[4:5], v[8:9], v[110:111], v[4:5] op_sel:[0,0,1] op_sel_hi:[1,0,0]
	v_pk_add_f32 v[2:3], v[2:3], v[18:19]
	s_waitcnt vmcnt(5)
	v_mov_b32_e32 v4, v109
	v_pk_add_f32 v[2:3], v[2:3], v[16:17]
	v_mov_b32_e32 v7, v5
	s_waitcnt lgkmcnt(1)
	v_pk_mul_f32 v[4:5], v[10:11], v[4:5] op_sel_hi:[1,0]
	v_pk_add_f32 v[2:3], v[2:3], v[6:7]
	s_waitcnt vmcnt(4)
	v_pk_fma_f32 v[6:7], v[10:11], v[108:109], v[4:5] op_sel:[0,0,1] op_sel_hi:[1,1,0] neg_lo:[0,0,1] neg_hi:[0,0,1]
	v_pk_fma_f32 v[4:5], v[10:11], v[108:109], v[4:5] op_sel:[0,0,1] op_sel_hi:[1,0,0]
	s_waitcnt vmcnt(3)
	v_mov_b32_e32 v4, v107
	v_mov_b32_e32 v7, v5
	v_pk_mul_f32 v[4:5], v[12:13], v[4:5] op_sel_hi:[1,0]
	v_pk_add_f32 v[2:3], v[2:3], v[6:7]
	s_waitcnt vmcnt(2)
	v_pk_fma_f32 v[6:7], v[12:13], v[106:107], v[4:5] op_sel:[0,0,1] op_sel_hi:[1,1,0] neg_lo:[0,0,1] neg_hi:[0,0,1]
	v_pk_fma_f32 v[4:5], v[12:13], v[106:107], v[4:5] op_sel:[0,0,1] op_sel_hi:[1,0,0]
	s_waitcnt vmcnt(1)
	v_mov_b32_e32 v4, v105
	v_mov_b32_e32 v7, v5
	s_waitcnt lgkmcnt(0)
	v_pk_mul_f32 v[4:5], v[14:15], v[4:5] op_sel_hi:[1,0]
	v_pk_add_f32 v[2:3], v[2:3], v[6:7]
	s_waitcnt vmcnt(0)
	v_pk_fma_f32 v[6:7], v[14:15], v[104:105], v[4:5] op_sel:[0,0,1] op_sel_hi:[1,1,0] neg_lo:[0,0,1] neg_hi:[0,0,1]
	v_pk_fma_f32 v[4:5], v[14:15], v[104:105], v[4:5] op_sel:[0,0,1] op_sel_hi:[1,0,0]
	v_mov_b32_e32 v7, v5
	v_pk_add_f32 v[2:3], v[2:3], v[6:7]
	v_pk_add_f32 v[2:3], v[94:95], v[2:3] neg_lo:[0,1] neg_hi:[0,1]
	buffer_store_dword v3, off, s[0:3], 0 offset:76
	buffer_store_dword v2, off, s[0:3], 0 offset:72
	s_and_saveexec_b64 s[4:5], vcc
	s_cbranch_execz .LBB126_375
; %bb.374:
	buffer_load_dword v2, off, s[0:3], 0 offset:64
	buffer_load_dword v3, off, s[0:3], 0 offset:68
	s_waitcnt vmcnt(0)
	ds_write_b64 v217, v[2:3]
	buffer_store_dword v114, off, s[0:3], 0 offset:64
	buffer_store_dword v114, off, s[0:3], 0 offset:68
.LBB126_375:
	s_or_b64 exec, exec, s[4:5]
	s_waitcnt lgkmcnt(0)
	; wave barrier
	s_waitcnt lgkmcnt(0)
	buffer_load_dword v48, off, s[0:3], 0 offset:76
	buffer_load_dword v47, off, s[0:3], 0 offset:84
	;; [unrolled: 1-line block ×34, first 2 shown]
	ds_read2_b64 v[30:33], v114 offset0:73 offset1:74
	ds_read2_b64 v[26:29], v114 offset0:75 offset1:76
	;; [unrolled: 1-line block ×6, first 2 shown]
	buffer_load_dword v151, off, s[0:3], 0 offset:200
	buffer_load_dword v152, off, s[0:3], 0 offset:204
	ds_read2_b64 v[10:13], v114 offset0:85 offset1:86
	ds_read2_b64 v[2:5], v114 offset0:87 offset1:88
	buffer_load_dword v153, off, s[0:3], 0 offset:208
	buffer_load_dword v154, off, s[0:3], 0 offset:212
	;; [unrolled: 1-line block ×24, first 2 shown]
	v_cmp_lt_u32_e32 vcc, 7, v0
	s_waitcnt vmcnt(59) lgkmcnt(7)
	v_mul_f32_e32 v34, v30, v48
	s_waitcnt vmcnt(58)
	v_mul_f32_e32 v35, v32, v47
	s_waitcnt vmcnt(57) lgkmcnt(6)
	v_mul_f32_e32 v37, v28, v46
	s_waitcnt vmcnt(56) lgkmcnt(5)
	v_mul_f32_e32 v38, v22, v45
	s_waitcnt vmcnt(55)
	v_mul_f32_e32 v39, v24, v1
	s_waitcnt vmcnt(54)
	v_mul_f32_e32 v36, v26, v49
	s_waitcnt vmcnt(53) lgkmcnt(4)
	v_mul_f32_e32 v40, v18, v44
	s_waitcnt vmcnt(52)
	v_mul_f32_e32 v41, v20, v108
	s_waitcnt vmcnt(51) lgkmcnt(3)
	;; [unrolled: 4-line block ×3, first 2 shown]
	v_mul_f32_e32 v52, v6, v115
	s_waitcnt vmcnt(48)
	v_mul_f32_e32 v53, v8, v130
	s_waitcnt vmcnt(47)
	v_fmac_f32_e32 v36, v27, v131
	s_waitcnt vmcnt(46)
	v_fmac_f32_e32 v35, v33, v132
	;; [unrolled: 2-line block ×3, first 2 shown]
	v_add_f32_e32 v34, 0, v34
	v_add_f32_e32 v34, v34, v35
	;; [unrolled: 1-line block ×3, first 2 shown]
	s_waitcnt vmcnt(41)
	v_fmac_f32_e32 v37, v29, v137
	v_fmac_f32_e32 v38, v23, v136
	v_add_f32_e32 v34, v34, v37
	v_fmac_f32_e32 v39, v25, v135
	v_add_f32_e32 v34, v34, v38
	;; [unrolled: 2-line block ×3, first 2 shown]
	s_waitcnt vmcnt(37)
	v_fmac_f32_e32 v41, v21, v141
	v_add_f32_e32 v34, v34, v40
	v_fmac_f32_e32 v50, v15, v140
	v_add_f32_e32 v34, v34, v41
	;; [unrolled: 2-line block ×4, first 2 shown]
	s_waitcnt vmcnt(33)
	v_fmac_f32_e32 v53, v9, v145
	v_add_f32_e32 v34, v34, v52
	s_waitcnt vmcnt(32) lgkmcnt(1)
	v_mul_f32_e32 v35, v10, v146
	v_add_f32_e32 v34, v34, v53
	v_fmac_f32_e32 v35, v11, v144
	v_add_f32_e32 v34, v34, v35
	s_waitcnt vmcnt(31)
	v_mul_f32_e32 v35, v12, v147
	v_fmac_f32_e32 v35, v13, v143
	v_add_f32_e32 v34, v34, v35
	s_waitcnt vmcnt(30) lgkmcnt(0)
	v_mul_f32_e32 v35, v2, v148
	v_fmac_f32_e32 v35, v3, v142
	v_add_f32_e32 v38, v34, v35
	ds_read2_b64 v[34:37], v114 offset0:89 offset1:90
	buffer_load_dword v177, off, s[0:3], 0 offset:304
	buffer_load_dword v178, off, s[0:3], 0 offset:308
	;; [unrolled: 1-line block ×4, first 2 shown]
	s_waitcnt vmcnt(32)
	v_mul_f32_e32 v39, v4, v150
	v_fmac_f32_e32 v39, v5, v149
	v_add_f32_e32 v50, v38, v39
	ds_read2_b64 v[38:41], v114 offset0:91 offset1:92
	buffer_load_dword v181, off, s[0:3], 0 offset:320
	buffer_load_dword v182, off, s[0:3], 0 offset:324
	;; [unrolled: 1-line block ×12, first 2 shown]
	s_waitcnt vmcnt(40) lgkmcnt(1)
	v_mul_f32_e32 v51, v34, v152
	v_fmac_f32_e32 v51, v35, v151
	buffer_load_dword v193, off, s[0:3], 0 offset:368
	buffer_load_dword v194, off, s[0:3], 0 offset:372
	v_add_f32_e32 v50, v50, v51
	s_waitcnt vmcnt(40)
	v_mul_f32_e32 v51, v36, v154
	v_fmac_f32_e32 v51, v37, v153
	buffer_load_dword v195, off, s[0:3], 0 offset:376
	buffer_load_dword v196, off, s[0:3], 0 offset:380
	v_add_f32_e32 v50, v50, v51
	s_waitcnt vmcnt(40) lgkmcnt(0)
	v_mul_f32_e32 v51, v38, v156
	v_fmac_f32_e32 v51, v39, v155
	v_add_f32_e32 v54, v50, v51
	ds_read2_b64 v[50:53], v114 offset0:93 offset1:94
	buffer_load_dword v197, off, s[0:3], 0 offset:384
	buffer_load_dword v198, off, s[0:3], 0 offset:388
	s_waitcnt vmcnt(40)
	v_mul_f32_e32 v55, v40, v158
	v_fmac_f32_e32 v55, v41, v157
	v_add_f32_e32 v58, v54, v55
	ds_read2_b64 v[54:57], v114 offset0:95 offset1:96
	buffer_load_dword v199, off, s[0:3], 0 offset:392
	buffer_load_dword v200, off, s[0:3], 0 offset:396
	;; [unrolled: 1-line block ×8, first 2 shown]
	s_waitcnt vmcnt(46) lgkmcnt(1)
	v_mul_f32_e32 v59, v50, v160
	v_fmac_f32_e32 v59, v51, v159
	v_add_f32_e32 v58, v58, v59
	s_waitcnt vmcnt(44)
	v_mul_f32_e32 v59, v52, v162
	v_fmac_f32_e32 v59, v53, v161
	v_add_f32_e32 v58, v58, v59
	s_waitcnt vmcnt(42) lgkmcnt(0)
	v_mul_f32_e32 v59, v54, v164
	v_fmac_f32_e32 v59, v55, v163
	v_add_f32_e32 v62, v58, v59
	buffer_load_dword v207, off, s[0:3], 0 offset:424
	buffer_load_dword v236, off, s[0:3], 0 offset:428
	;; [unrolled: 1-line block ×4, first 2 shown]
	ds_read2_b64 v[58:61], v114 offset0:97 offset1:98
	s_waitcnt vmcnt(44)
	v_mul_f32_e32 v63, v56, v166
	v_fmac_f32_e32 v63, v57, v165
	v_add_f32_e32 v66, v62, v63
	ds_read2_b64 v[62:65], v114 offset0:99 offset1:100
	s_waitcnt vmcnt(42) lgkmcnt(1)
	v_mul_f32_e32 v67, v58, v168
	v_fmac_f32_e32 v67, v59, v167
	v_add_f32_e32 v66, v66, v67
	s_waitcnt vmcnt(40)
	v_mul_f32_e32 v67, v60, v170
	v_fmac_f32_e32 v67, v61, v169
	v_add_f32_e32 v66, v66, v67
	s_waitcnt vmcnt(38) lgkmcnt(0)
	v_mul_f32_e32 v67, v62, v172
	v_fmac_f32_e32 v67, v63, v171
	v_add_f32_e32 v70, v66, v67
	ds_read2_b64 v[66:69], v114 offset0:101 offset1:102
	s_waitcnt vmcnt(36)
	v_mul_f32_e32 v71, v64, v174
	v_fmac_f32_e32 v71, v65, v173
	v_add_f32_e32 v74, v70, v71
	ds_read2_b64 v[70:73], v114 offset0:103 offset1:104
	s_waitcnt vmcnt(34) lgkmcnt(1)
	v_mul_f32_e32 v75, v66, v176
	v_fmac_f32_e32 v75, v67, v175
	v_add_f32_e32 v74, v74, v75
	v_mul_f32_e32 v31, v31, v48
	v_fma_f32 v30, v30, v133, -v31
	v_mul_f32_e32 v31, v33, v47
	v_add_f32_e32 v30, 0, v30
	v_fma_f32 v31, v32, v132, -v31
	v_mul_f32_e32 v27, v27, v49
	v_add_f32_e32 v30, v30, v31
	v_fma_f32 v26, v26, v131, -v27
	v_mul_f32_e32 v27, v29, v46
	v_add_f32_e32 v26, v30, v26
	v_fma_f32 v27, v28, v137, -v27
	v_mul_f32_e32 v23, v23, v45
	v_add_f32_e32 v26, v26, v27
	v_fma_f32 v22, v22, v136, -v23
	v_mul_f32_e32 v1, v25, v1
	s_waitcnt vmcnt(32)
	v_mul_f32_e32 v75, v68, v178
	v_fmac_f32_e32 v75, v69, v177
	v_add_f32_e32 v74, v74, v75
	s_waitcnt vmcnt(30) lgkmcnt(0)
	v_mul_f32_e32 v75, v70, v180
	v_fmac_f32_e32 v75, v71, v179
	v_add_f32_e32 v78, v74, v75
	ds_read2_b64 v[74:77], v114 offset0:105 offset1:106
	s_waitcnt vmcnt(28)
	v_mul_f32_e32 v79, v72, v182
	v_fmac_f32_e32 v79, v73, v181
	v_add_f32_e32 v82, v78, v79
	ds_read2_b64 v[78:81], v114 offset0:107 offset1:108
	s_waitcnt vmcnt(26) lgkmcnt(1)
	v_mul_f32_e32 v83, v74, v184
	v_fmac_f32_e32 v83, v75, v183
	v_add_f32_e32 v82, v82, v83
	s_waitcnt vmcnt(24)
	v_mul_f32_e32 v83, v76, v186
	v_fmac_f32_e32 v83, v77, v185
	v_add_f32_e32 v82, v82, v83
	s_waitcnt vmcnt(22) lgkmcnt(0)
	v_mul_f32_e32 v83, v78, v188
	v_fmac_f32_e32 v83, v79, v187
	v_add_f32_e32 v86, v82, v83
	ds_read2_b64 v[82:85], v114 offset0:109 offset1:110
	s_waitcnt vmcnt(20)
	v_mul_f32_e32 v87, v80, v190
	v_fmac_f32_e32 v87, v81, v189
	v_add_f32_e32 v90, v86, v87
	ds_read2_b64 v[86:89], v114 offset0:111 offset1:112
	s_waitcnt vmcnt(18) lgkmcnt(1)
	v_mul_f32_e32 v91, v82, v192
	v_fmac_f32_e32 v91, v83, v191
	v_add_f32_e32 v90, v90, v91
	s_waitcnt vmcnt(16)
	v_mul_f32_e32 v91, v84, v194
	v_fmac_f32_e32 v91, v85, v193
	v_add_f32_e32 v90, v90, v91
	s_waitcnt vmcnt(14) lgkmcnt(0)
	v_mul_f32_e32 v91, v86, v196
	v_fmac_f32_e32 v91, v87, v195
	v_add_f32_e32 v94, v90, v91
	ds_read2_b64 v[90:93], v114 offset0:113 offset1:114
	s_waitcnt vmcnt(12)
	v_mul_f32_e32 v95, v88, v198
	v_fmac_f32_e32 v95, v89, v197
	v_add_f32_e32 v98, v94, v95
	ds_read2_b64 v[94:97], v114 offset0:115 offset1:116
	buffer_load_dword v107, off, s[0:3], 0 offset:444
	buffer_load_dword v106, off, s[0:3], 0 offset:440
	s_waitcnt vmcnt(12) lgkmcnt(1)
	v_mul_f32_e32 v99, v90, v200
	v_fmac_f32_e32 v99, v91, v199
	v_add_f32_e32 v98, v98, v99
	s_waitcnt vmcnt(10)
	v_mul_f32_e32 v99, v92, v202
	v_fmac_f32_e32 v99, v93, v201
	v_add_f32_e32 v98, v98, v99
	s_waitcnt vmcnt(8) lgkmcnt(0)
	v_mul_f32_e32 v99, v94, v204
	v_fmac_f32_e32 v99, v95, v203
	s_waitcnt vmcnt(6)
	v_mul_f32_e32 v103, v96, v206
	v_add_f32_e32 v22, v26, v22
	v_fma_f32 v1, v24, v135, -v1
	v_mul_f32_e32 v19, v19, v44
	v_add_f32_e32 v102, v98, v99
	v_fmac_f32_e32 v103, v97, v205
	v_add_f32_e32 v1, v22, v1
	v_fma_f32 v18, v18, v134, -v19
	ds_read2_b64 v[98:101], v114 offset0:117 offset1:118
	v_add_f32_e32 v109, v102, v103
	ds_read2_b64 v[102:105], v114 offset0:119 offset1:120
	buffer_load_dword v117, off, s[0:3], 0 offset:476
	buffer_load_dword v116, off, s[0:3], 0 offset:472
	;; [unrolled: 1-line block ×14, first 2 shown]
	v_add_f32_e32 v1, v1, v18
	v_mul_f32_e32 v18, v21, v108
	v_fma_f32 v18, v20, v141, -v18
	v_mul_f32_e32 v15, v15, v110
	v_add_f32_e32 v1, v1, v18
	v_fma_f32 v14, v14, v140, -v15
	v_add_f32_e32 v1, v1, v14
	v_mul_f32_e32 v14, v17, v112
	v_fma_f32 v14, v16, v139, -v14
	v_mul_f32_e32 v7, v7, v115
	v_add_f32_e32 v1, v1, v14
	v_fma_f32 v6, v6, v138, -v7
	v_add_f32_e32 v1, v1, v6
	v_mul_f32_e32 v6, v9, v130
	v_fma_f32 v6, v8, v145, -v6
	v_add_f32_e32 v1, v1, v6
	v_mul_f32_e32 v6, v11, v146
	;; [unrolled: 3-line block ×3, first 2 shown]
	v_fma_f32 v6, v12, v143, -v6
	v_mul_f32_e32 v3, v3, v148
	v_add_f32_e32 v1, v1, v6
	v_fma_f32 v2, v2, v142, -v3
	v_add_f32_e32 v1, v1, v2
	v_mul_f32_e32 v2, v5, v150
	v_fma_f32 v2, v4, v149, -v2
	v_add_f32_e32 v1, v1, v2
	v_mul_f32_e32 v2, v35, v152
	;; [unrolled: 3-line block ×29, first 2 shown]
	v_fma_f32 v2, v96, v205, -v2
	s_waitcnt vmcnt(15)
	v_mov_b32_e32 v16, v107
	s_waitcnt lgkmcnt(1)
	v_mul_f32_e32 v111, v98, v236
	v_add_f32_e32 v108, v1, v2
	v_mul_f32_e32 v1, v99, v236
	s_waitcnt lgkmcnt(0)
	v_pk_mul_f32 v[16:17], v[102:103], v[16:17] op_sel_hi:[1,0]
	v_fmac_f32_e32 v111, v99, v207
	v_mul_f32_e32 v113, v100, v238
	v_fma_f32 v110, v98, v207, -v1
	v_mul_f32_e32 v1, v101, v238
	s_waitcnt vmcnt(14)
	v_pk_fma_f32 v[18:19], v[102:103], v[106:107], v[16:17] op_sel:[0,0,1] op_sel_hi:[1,1,0] neg_lo:[0,0,1] neg_hi:[0,0,1]
	v_pk_fma_f32 v[16:17], v[102:103], v[106:107], v[16:17] op_sel:[0,0,1] op_sel_hi:[1,0,0]
	v_fmac_f32_e32 v113, v101, v237
	v_fma_f32 v112, v100, v237, -v1
	v_pk_add_f32 v[14:15], v[108:109], v[110:111]
	s_waitcnt vmcnt(7)
	v_mov_b32_e32 v16, v123
	ds_read2_b64 v[2:5], v114 offset0:121 offset1:122
	ds_read2_b64 v[6:9], v114 offset0:123 offset1:124
	;; [unrolled: 1-line block ×3, first 2 shown]
	v_pk_add_f32 v[14:15], v[14:15], v[112:113]
	v_mov_b32_e32 v19, v17
	v_pk_mul_f32 v[16:17], v[104:105], v[16:17] op_sel_hi:[1,0]
	v_pk_add_f32 v[14:15], v[14:15], v[18:19]
	s_waitcnt vmcnt(6)
	v_pk_fma_f32 v[18:19], v[104:105], v[122:123], v[16:17] op_sel:[0,0,1] op_sel_hi:[1,1,0] neg_lo:[0,0,1] neg_hi:[0,0,1]
	v_pk_fma_f32 v[16:17], v[104:105], v[122:123], v[16:17] op_sel:[0,0,1] op_sel_hi:[1,0,0]
	v_mov_b32_e32 v16, v121
	v_mov_b32_e32 v19, v17
	s_waitcnt lgkmcnt(2)
	v_pk_mul_f32 v[16:17], v[2:3], v[16:17] op_sel_hi:[1,0]
	v_pk_add_f32 v[14:15], v[14:15], v[18:19]
	v_pk_fma_f32 v[18:19], v[2:3], v[120:121], v[16:17] op_sel:[0,0,1] op_sel_hi:[1,1,0] neg_lo:[0,0,1] neg_hi:[0,0,1]
	v_pk_fma_f32 v[2:3], v[2:3], v[120:121], v[16:17] op_sel:[0,0,1] op_sel_hi:[1,0,0]
	v_mov_b32_e32 v19, v3
	v_pk_add_f32 v[2:3], v[14:15], v[18:19]
	v_mov_b32_e32 v14, v119
	v_pk_mul_f32 v[14:15], v[4:5], v[14:15] op_sel_hi:[1,0]
	v_pk_fma_f32 v[16:17], v[4:5], v[118:119], v[14:15] op_sel:[0,0,1] op_sel_hi:[1,1,0] neg_lo:[0,0,1] neg_hi:[0,0,1]
	v_pk_fma_f32 v[4:5], v[4:5], v[118:119], v[14:15] op_sel:[0,0,1] op_sel_hi:[1,0,0]
	v_mov_b32_e32 v4, v117
	v_mov_b32_e32 v17, v5
	s_waitcnt lgkmcnt(1)
	v_pk_mul_f32 v[4:5], v[6:7], v[4:5] op_sel_hi:[1,0]
	v_pk_fma_f32 v[14:15], v[6:7], v[116:117], v[4:5] op_sel:[0,0,1] op_sel_hi:[1,1,0] neg_lo:[0,0,1] neg_hi:[0,0,1]
	v_pk_fma_f32 v[4:5], v[6:7], v[116:117], v[4:5] op_sel:[0,0,1] op_sel_hi:[1,0,0]
	s_waitcnt vmcnt(1)
	v_mov_b32_e32 v4, v129
	v_mov_b32_e32 v15, v5
	v_pk_mul_f32 v[4:5], v[8:9], v[4:5] op_sel_hi:[1,0]
	s_waitcnt vmcnt(0)
	v_pk_fma_f32 v[6:7], v[8:9], v[128:129], v[4:5] op_sel:[0,0,1] op_sel_hi:[1,1,0] neg_lo:[0,0,1] neg_hi:[0,0,1]
	v_pk_fma_f32 v[4:5], v[8:9], v[128:129], v[4:5] op_sel:[0,0,1] op_sel_hi:[1,0,0]
	v_pk_add_f32 v[2:3], v[2:3], v[16:17]
	v_mov_b32_e32 v4, v127
	v_pk_add_f32 v[2:3], v[2:3], v[14:15]
	v_mov_b32_e32 v7, v5
	s_waitcnt lgkmcnt(0)
	v_pk_mul_f32 v[4:5], v[10:11], v[4:5] op_sel_hi:[1,0]
	v_pk_add_f32 v[2:3], v[2:3], v[6:7]
	v_pk_fma_f32 v[6:7], v[10:11], v[126:127], v[4:5] op_sel:[0,0,1] op_sel_hi:[1,1,0] neg_lo:[0,0,1] neg_hi:[0,0,1]
	v_pk_fma_f32 v[4:5], v[10:11], v[126:127], v[4:5] op_sel:[0,0,1] op_sel_hi:[1,0,0]
	v_mov_b32_e32 v4, v125
	v_mov_b32_e32 v7, v5
	v_pk_mul_f32 v[4:5], v[12:13], v[4:5] op_sel_hi:[1,0]
	v_pk_add_f32 v[2:3], v[2:3], v[6:7]
	v_pk_fma_f32 v[6:7], v[12:13], v[124:125], v[4:5] op_sel:[0,0,1] op_sel_hi:[1,1,0] neg_lo:[0,0,1] neg_hi:[0,0,1]
	v_pk_fma_f32 v[4:5], v[12:13], v[124:125], v[4:5] op_sel:[0,0,1] op_sel_hi:[1,0,0]
	v_mov_b32_e32 v7, v5
	v_pk_add_f32 v[2:3], v[2:3], v[6:7]
	v_pk_add_f32 v[2:3], v[42:43], v[2:3] neg_lo:[0,1] neg_hi:[0,1]
	buffer_store_dword v3, off, s[0:3], 0 offset:68
	buffer_store_dword v2, off, s[0:3], 0 offset:64
	s_and_saveexec_b64 s[4:5], vcc
	s_cbranch_execz .LBB126_377
; %bb.376:
	buffer_load_dword v2, off, s[0:3], 0 offset:56
	buffer_load_dword v3, off, s[0:3], 0 offset:60
	v_mov_b32_e32 v1, 0
	buffer_store_dword v1, off, s[0:3], 0 offset:56
	buffer_store_dword v1, off, s[0:3], 0 offset:60
	s_waitcnt vmcnt(2)
	ds_write_b64 v217, v[2:3]
.LBB126_377:
	s_or_b64 exec, exec, s[4:5]
	s_waitcnt lgkmcnt(0)
	; wave barrier
	s_waitcnt lgkmcnt(0)
	buffer_load_dword v57, off, s[0:3], 0 offset:68
	buffer_load_dword v56, off, s[0:3], 0 offset:76
	buffer_load_dword v55, off, s[0:3], 0 offset:92
	buffer_load_dword v54, off, s[0:3], 0 offset:100
	buffer_load_dword v52, off, s[0:3], 0 offset:108
	buffer_load_dword v58, off, s[0:3], 0 offset:84
	buffer_load_dword v53, off, s[0:3], 0 offset:116
	buffer_load_dword v59, off, s[0:3], 0 offset:124
	buffer_load_dword v60, off, s[0:3], 0 offset:132
	buffer_load_dword v61, off, s[0:3], 0 offset:140
	buffer_load_dword v62, off, s[0:3], 0 offset:148
	buffer_load_dword v63, off, s[0:3], 0 offset:156
	buffer_load_dword v69, off, s[0:3], 0 offset:80
	buffer_load_dword v72, off, s[0:3], 0 offset:72
	buffer_load_dword v75, off, s[0:3], 0 offset:64
	buffer_load_dword v66, off, s[0:3], 0 offset:112
	buffer_load_dword v68, off, s[0:3], 0 offset:104
	buffer_load_dword v71, off, s[0:3], 0 offset:96
	buffer_load_dword v74, off, s[0:3], 0 offset:88
	buffer_load_dword v64, off, s[0:3], 0 offset:144
	buffer_load_dword v65, off, s[0:3], 0 offset:136
	buffer_load_dword v67, off, s[0:3], 0 offset:128
	buffer_load_dword v70, off, s[0:3], 0 offset:120
	buffer_load_dword v73, off, s[0:3], 0 offset:176
	buffer_load_dword v76, off, s[0:3], 0 offset:168
	buffer_load_dword v78, off, s[0:3], 0 offset:160
	buffer_load_dword v81, off, s[0:3], 0 offset:152
	buffer_load_dword v80, off, s[0:3], 0 offset:164
	buffer_load_dword v79, off, s[0:3], 0 offset:172
	buffer_load_dword v77, off, s[0:3], 0 offset:180
	buffer_load_dword v82, off, s[0:3], 0 offset:192
	buffer_load_dword v83, off, s[0:3], 0 offset:196
	buffer_load_dword v84, off, s[0:3], 0 offset:200
	buffer_load_dword v85, off, s[0:3], 0 offset:204
	buffer_load_dword v86, off, s[0:3], 0 offset:208
	buffer_load_dword v87, off, s[0:3], 0 offset:212
	buffer_load_dword v138, off, s[0:3], 0 offset:188
	buffer_load_dword v140, off, s[0:3], 0 offset:184
	buffer_load_dword v50, off, s[0:3], 0 offset:56
	buffer_load_dword v51, off, s[0:3], 0 offset:60
	buffer_load_dword v88, off, s[0:3], 0 offset:216
	buffer_load_dword v158, off, s[0:3], 0 offset:220
	buffer_load_dword v159, off, s[0:3], 0 offset:224
	buffer_load_dword v160, off, s[0:3], 0 offset:228
	buffer_load_dword v161, off, s[0:3], 0 offset:232
	buffer_load_dword v162, off, s[0:3], 0 offset:236
	buffer_load_dword v163, off, s[0:3], 0 offset:240
	buffer_load_dword v164, off, s[0:3], 0 offset:244
	v_mov_b32_e32 v1, 0
	ds_read_b128 v[22:25], v1 offset:576
	ds_read_b128 v[18:21], v1 offset:592
	;; [unrolled: 1-line block ×6, first 2 shown]
	v_cmp_lt_u32_e32 vcc, 6, v0
	s_waitcnt vmcnt(47) lgkmcnt(5)
	v_mul_f32_e32 v26, v22, v57
	s_waitcnt vmcnt(46)
	v_mul_f32_e32 v27, v24, v56
	s_waitcnt vmcnt(45) lgkmcnt(4)
	v_mul_f32_e32 v29, v20, v55
	s_waitcnt vmcnt(44) lgkmcnt(3)
	v_mul_f32_e32 v30, v14, v54
	s_waitcnt vmcnt(43)
	v_mul_f32_e32 v31, v16, v52
	s_waitcnt vmcnt(42)
	v_mul_f32_e32 v28, v18, v58
	s_waitcnt vmcnt(41) lgkmcnt(2)
	v_mul_f32_e32 v32, v10, v53
	s_waitcnt vmcnt(40)
	v_mul_f32_e32 v33, v12, v59
	s_waitcnt vmcnt(39) lgkmcnt(1)
	;; [unrolled: 4-line block ×3, first 2 shown]
	v_mul_f32_e32 v36, v2, v62
	s_waitcnt vmcnt(36)
	v_mul_f32_e32 v37, v4, v63
	s_waitcnt vmcnt(35)
	v_fmac_f32_e32 v28, v19, v69
	s_waitcnt vmcnt(34)
	v_fmac_f32_e32 v27, v25, v72
	;; [unrolled: 2-line block ×3, first 2 shown]
	v_add_f32_e32 v26, 0, v26
	v_add_f32_e32 v26, v26, v27
	;; [unrolled: 1-line block ×3, first 2 shown]
	s_waitcnt vmcnt(29)
	v_fmac_f32_e32 v29, v21, v74
	v_fmac_f32_e32 v30, v15, v71
	v_add_f32_e32 v26, v26, v29
	v_fmac_f32_e32 v31, v17, v68
	v_add_f32_e32 v26, v26, v30
	;; [unrolled: 2-line block ×3, first 2 shown]
	s_waitcnt vmcnt(25)
	v_fmac_f32_e32 v33, v13, v70
	v_add_f32_e32 v26, v26, v32
	v_fmac_f32_e32 v34, v7, v67
	v_add_f32_e32 v26, v26, v33
	v_fmac_f32_e32 v35, v9, v65
	v_add_f32_e32 v30, v26, v34
	v_fmac_f32_e32 v36, v3, v64
	v_add_f32_e32 v30, v30, v35
	s_waitcnt vmcnt(21)
	v_fmac_f32_e32 v37, v5, v81
	v_add_f32_e32 v30, v30, v36
	ds_read_b128 v[26:29], v1 offset:672
	v_add_f32_e32 v34, v30, v37
	ds_read_b128 v[30:33], v1 offset:688
	buffer_load_dword v165, off, s[0:3], 0 offset:248
	buffer_load_dword v166, off, s[0:3], 0 offset:252
	;; [unrolled: 1-line block ×6, first 2 shown]
	s_waitcnt vmcnt(26) lgkmcnt(1)
	v_mul_f32_e32 v35, v26, v80
	v_fmac_f32_e32 v35, v27, v78
	buffer_load_dword v171, off, s[0:3], 0 offset:272
	buffer_load_dword v172, off, s[0:3], 0 offset:276
	v_add_f32_e32 v34, v34, v35
	s_waitcnt vmcnt(27)
	v_mul_f32_e32 v35, v28, v79
	v_fmac_f32_e32 v35, v29, v76
	v_add_f32_e32 v34, v34, v35
	s_waitcnt vmcnt(26) lgkmcnt(0)
	v_mul_f32_e32 v35, v30, v77
	v_fmac_f32_e32 v35, v31, v73
	buffer_load_dword v173, off, s[0:3], 0 offset:280
	buffer_load_dword v174, off, s[0:3], 0 offset:284
	v_add_f32_e32 v34, v34, v35
	s_waitcnt vmcnt(21)
	v_mul_f32_e32 v35, v32, v138
	s_waitcnt vmcnt(20)
	v_fmac_f32_e32 v35, v33, v140
	v_add_f32_e32 v42, v34, v35
	ds_read_b128 v[34:37], v1 offset:704
	buffer_load_dword v175, off, s[0:3], 0 offset:288
	buffer_load_dword v176, off, s[0:3], 0 offset:292
	ds_read_b128 v[38:41], v1 offset:720
	buffer_load_dword v177, off, s[0:3], 0 offset:296
	buffer_load_dword v178, off, s[0:3], 0 offset:300
	;; [unrolled: 1-line block ×12, first 2 shown]
	s_waitcnt lgkmcnt(1)
	v_mul_f32_e32 v43, v34, v83
	v_fmac_f32_e32 v43, v35, v82
	buffer_load_dword v189, off, s[0:3], 0 offset:344
	buffer_load_dword v190, off, s[0:3], 0 offset:348
	v_add_f32_e32 v42, v42, v43
	v_mul_f32_e32 v43, v36, v85
	v_fmac_f32_e32 v43, v37, v84
	v_add_f32_e32 v42, v42, v43
	s_waitcnt lgkmcnt(0)
	v_mul_f32_e32 v43, v38, v87
	buffer_load_dword v191, off, s[0:3], 0 offset:352
	buffer_load_dword v192, off, s[0:3], 0 offset:356
	v_fmac_f32_e32 v43, v39, v86
	v_add_f32_e32 v46, v42, v43
	ds_read_b128 v[42:45], v1 offset:736
	buffer_load_dword v193, off, s[0:3], 0 offset:360
	buffer_load_dword v194, off, s[0:3], 0 offset:364
	;; [unrolled: 1-line block ×4, first 2 shown]
	s_waitcnt vmcnt(38)
	v_mul_f32_e32 v47, v40, v158
	v_fmac_f32_e32 v47, v41, v88
	v_add_f32_e32 v89, v46, v47
	ds_read_b128 v[46:49], v1 offset:752
	buffer_load_dword v197, off, s[0:3], 0 offset:376
	buffer_load_dword v198, off, s[0:3], 0 offset:380
	;; [unrolled: 1-line block ×10, first 2 shown]
	s_waitcnt vmcnt(46) lgkmcnt(1)
	v_mul_f32_e32 v90, v42, v160
	v_fmac_f32_e32 v90, v43, v159
	v_add_f32_e32 v89, v89, v90
	s_waitcnt vmcnt(44)
	v_mul_f32_e32 v90, v44, v162
	v_fmac_f32_e32 v90, v45, v161
	v_add_f32_e32 v89, v89, v90
	s_waitcnt vmcnt(42) lgkmcnt(0)
	v_mul_f32_e32 v90, v46, v164
	v_fmac_f32_e32 v90, v47, v163
	v_add_f32_e32 v89, v89, v90
	buffer_load_dword v207, off, s[0:3], 0 offset:416
	buffer_load_dword v236, off, s[0:3], 0 offset:420
	;; [unrolled: 1-line block ×6, first 2 shown]
	ds_read_b128 v[90:93], v1 offset:768
	v_mul_f32_e32 v23, v23, v57
	v_fma_f32 v22, v22, v75, -v23
	v_mul_f32_e32 v23, v25, v56
	v_add_f32_e32 v22, 0, v22
	v_fma_f32 v23, v24, v72, -v23
	v_mul_f32_e32 v19, v19, v58
	v_add_f32_e32 v22, v22, v23
	;; [unrolled: 3-line block ×6, first 2 shown]
	v_fma_f32 v10, v10, v66, -v11
	s_waitcnt vmcnt(46)
	v_mul_f32_e32 v94, v48, v166
	v_fmac_f32_e32 v94, v49, v165
	v_add_f32_e32 v89, v89, v94
	ds_read_b128 v[94:97], v1 offset:784
	s_waitcnt vmcnt(44) lgkmcnt(1)
	v_mul_f32_e32 v98, v90, v168
	v_fmac_f32_e32 v98, v91, v167
	v_add_f32_e32 v89, v89, v98
	s_waitcnt vmcnt(42)
	v_mul_f32_e32 v98, v92, v170
	v_fmac_f32_e32 v98, v93, v169
	v_add_f32_e32 v89, v89, v98
	s_waitcnt vmcnt(40) lgkmcnt(0)
	v_mul_f32_e32 v98, v94, v172
	v_fmac_f32_e32 v98, v95, v171
	v_add_f32_e32 v89, v89, v98
	ds_read_b128 v[98:101], v1 offset:800
	s_waitcnt vmcnt(38)
	v_mul_f32_e32 v102, v96, v174
	v_fmac_f32_e32 v102, v97, v173
	v_add_f32_e32 v89, v89, v102
	ds_read_b128 v[102:105], v1 offset:816
	s_waitcnt vmcnt(36) lgkmcnt(1)
	v_mul_f32_e32 v106, v98, v176
	v_fmac_f32_e32 v106, v99, v175
	v_add_f32_e32 v89, v89, v106
	s_waitcnt vmcnt(34)
	v_mul_f32_e32 v106, v100, v178
	v_fmac_f32_e32 v106, v101, v177
	v_add_f32_e32 v89, v89, v106
	s_waitcnt vmcnt(32) lgkmcnt(0)
	v_mul_f32_e32 v106, v102, v180
	v_fmac_f32_e32 v106, v103, v179
	v_add_f32_e32 v89, v89, v106
	ds_read_b128 v[106:109], v1 offset:832
	;; [unrolled: 18-line block ×4, first 2 shown]
	s_waitcnt vmcnt(14)
	v_mul_f32_e32 v126, v120, v198
	v_fmac_f32_e32 v126, v121, v197
	v_add_f32_e32 v89, v89, v126
	ds_read_b128 v[126:129], v1 offset:912
	s_waitcnt vmcnt(12) lgkmcnt(1)
	v_mul_f32_e32 v130, v122, v200
	v_fmac_f32_e32 v130, v123, v199
	v_add_f32_e32 v89, v89, v130
	s_waitcnt vmcnt(10)
	v_mul_f32_e32 v130, v124, v202
	v_fmac_f32_e32 v130, v125, v201
	v_add_f32_e32 v89, v89, v130
	s_waitcnt vmcnt(8) lgkmcnt(0)
	v_mul_f32_e32 v130, v126, v204
	v_fmac_f32_e32 v130, v127, v203
	s_waitcnt vmcnt(6)
	v_mul_f32_e32 v134, v128, v206
	v_add_f32_e32 v89, v89, v130
	v_fmac_f32_e32 v134, v129, v205
	v_mul_f32_e32 v11, v13, v59
	ds_read_b128 v[130:133], v1 offset:928
	v_add_f32_e32 v89, v89, v134
	ds_read_b128 v[134:137], v1 offset:944
	buffer_load_dword v143, off, s[0:3], 0 offset:468
	buffer_load_dword v142, off, s[0:3], 0 offset:464
	;; [unrolled: 1-line block ×16, first 2 shown]
	v_add_f32_e32 v10, v14, v10
	v_fma_f32 v11, v12, v70, -v11
	v_mul_f32_e32 v7, v7, v60
	v_add_f32_e32 v10, v10, v11
	v_fma_f32 v6, v6, v67, -v7
	v_mul_f32_e32 v7, v9, v61
	;; [unrolled: 3-line block ×4, first 2 shown]
	v_add_f32_e32 v2, v6, v2
	v_fma_f32 v3, v4, v81, -v3
	v_add_f32_e32 v2, v2, v3
	v_mul_f32_e32 v3, v27, v80
	v_fma_f32 v3, v26, v78, -v3
	v_add_f32_e32 v2, v2, v3
	v_mul_f32_e32 v3, v29, v79
	;; [unrolled: 3-line block ×32, first 2 shown]
	v_fma_f32 v3, v128, v205, -v3
	v_add_f32_e32 v2, v2, v3
	s_waitcnt vmcnt(20) lgkmcnt(1)
	v_mul_f32_e32 v3, v131, v236
	v_mul_f32_e32 v139, v130, v236
	v_fma_f32 v3, v130, v207, -v3
	v_fmac_f32_e32 v139, v131, v207
	v_add_f32_e32 v88, v2, v3
	s_waitcnt vmcnt(18)
	v_mul_f32_e32 v2, v133, v238
	s_waitcnt vmcnt(9)
	v_mov_b32_e32 v18, v149
	v_add_f32_e32 v89, v89, v139
	v_mul_f32_e32 v139, v132, v238
	v_fma_f32 v138, v132, v237, -v2
	s_waitcnt lgkmcnt(0)
	v_mul_f32_e32 v2, v135, v240
	v_pk_mul_f32 v[18:19], v[136:137], v[18:19] op_sel_hi:[1,0]
	v_fmac_f32_e32 v139, v133, v237
	v_mul_f32_e32 v141, v134, v240
	v_fma_f32 v140, v134, v239, -v2
	ds_read_b128 v[2:5], v1 offset:960
	ds_read_b128 v[6:9], v1 offset:976
	ds_read_b128 v[10:13], v1 offset:992
	ds_read_b64 v[14:15], v1 offset:1008
	s_waitcnt vmcnt(8)
	v_pk_fma_f32 v[20:21], v[136:137], v[148:149], v[18:19] op_sel:[0,0,1] op_sel_hi:[1,1,0] neg_lo:[0,0,1] neg_hi:[0,0,1]
	v_pk_fma_f32 v[18:19], v[136:137], v[148:149], v[18:19] op_sel:[0,0,1] op_sel_hi:[1,0,0]
	v_fmac_f32_e32 v141, v135, v239
	v_pk_add_f32 v[16:17], v[88:89], v[138:139]
	v_mov_b32_e32 v18, v147
	v_pk_add_f32 v[16:17], v[16:17], v[140:141]
	v_mov_b32_e32 v21, v19
	s_waitcnt lgkmcnt(3)
	v_pk_mul_f32 v[18:19], v[2:3], v[18:19] op_sel_hi:[1,0]
	v_pk_add_f32 v[16:17], v[16:17], v[20:21]
	v_pk_fma_f32 v[20:21], v[2:3], v[146:147], v[18:19] op_sel:[0,0,1] op_sel_hi:[1,1,0] neg_lo:[0,0,1] neg_hi:[0,0,1]
	v_pk_fma_f32 v[2:3], v[2:3], v[146:147], v[18:19] op_sel:[0,0,1] op_sel_hi:[1,0,0]
	v_mov_b32_e32 v21, v3
	v_pk_add_f32 v[2:3], v[16:17], v[20:21]
	v_mov_b32_e32 v16, v145
	v_pk_mul_f32 v[16:17], v[4:5], v[16:17] op_sel_hi:[1,0]
	v_pk_fma_f32 v[18:19], v[4:5], v[144:145], v[16:17] op_sel:[0,0,1] op_sel_hi:[1,1,0] neg_lo:[0,0,1] neg_hi:[0,0,1]
	v_pk_fma_f32 v[4:5], v[4:5], v[144:145], v[16:17] op_sel:[0,0,1] op_sel_hi:[1,0,0]
	v_mov_b32_e32 v4, v143
	v_mov_b32_e32 v19, v5
	s_waitcnt lgkmcnt(2)
	v_pk_mul_f32 v[4:5], v[6:7], v[4:5] op_sel_hi:[1,0]
	v_pk_fma_f32 v[16:17], v[6:7], v[142:143], v[4:5] op_sel:[0,0,1] op_sel_hi:[1,1,0] neg_lo:[0,0,1] neg_hi:[0,0,1]
	v_pk_fma_f32 v[4:5], v[6:7], v[142:143], v[4:5] op_sel:[0,0,1] op_sel_hi:[1,0,0]
	s_waitcnt vmcnt(1)
	v_mov_b32_e32 v4, v157
	v_mov_b32_e32 v17, v5
	v_pk_mul_f32 v[4:5], v[8:9], v[4:5] op_sel_hi:[1,0]
	s_waitcnt vmcnt(0)
	v_pk_fma_f32 v[6:7], v[8:9], v[156:157], v[4:5] op_sel:[0,0,1] op_sel_hi:[1,1,0] neg_lo:[0,0,1] neg_hi:[0,0,1]
	v_pk_fma_f32 v[4:5], v[8:9], v[156:157], v[4:5] op_sel:[0,0,1] op_sel_hi:[1,0,0]
	v_pk_add_f32 v[2:3], v[2:3], v[18:19]
	v_mov_b32_e32 v4, v155
	v_pk_add_f32 v[2:3], v[2:3], v[16:17]
	v_mov_b32_e32 v7, v5
	s_waitcnt lgkmcnt(1)
	v_pk_mul_f32 v[4:5], v[10:11], v[4:5] op_sel_hi:[1,0]
	v_pk_add_f32 v[2:3], v[2:3], v[6:7]
	v_pk_fma_f32 v[6:7], v[10:11], v[154:155], v[4:5] op_sel:[0,0,1] op_sel_hi:[1,1,0] neg_lo:[0,0,1] neg_hi:[0,0,1]
	v_pk_fma_f32 v[4:5], v[10:11], v[154:155], v[4:5] op_sel:[0,0,1] op_sel_hi:[1,0,0]
	v_mov_b32_e32 v4, v153
	v_mov_b32_e32 v7, v5
	v_pk_mul_f32 v[4:5], v[12:13], v[4:5] op_sel_hi:[1,0]
	v_pk_add_f32 v[2:3], v[2:3], v[6:7]
	v_pk_fma_f32 v[6:7], v[12:13], v[152:153], v[4:5] op_sel:[0,0,1] op_sel_hi:[1,1,0] neg_lo:[0,0,1] neg_hi:[0,0,1]
	v_pk_fma_f32 v[4:5], v[12:13], v[152:153], v[4:5] op_sel:[0,0,1] op_sel_hi:[1,0,0]
	v_mov_b32_e32 v4, v151
	v_mov_b32_e32 v7, v5
	s_waitcnt lgkmcnt(0)
	v_pk_mul_f32 v[4:5], v[14:15], v[4:5] op_sel_hi:[1,0]
	v_pk_add_f32 v[2:3], v[2:3], v[6:7]
	v_pk_fma_f32 v[6:7], v[14:15], v[150:151], v[4:5] op_sel:[0,0,1] op_sel_hi:[1,1,0] neg_lo:[0,0,1] neg_hi:[0,0,1]
	v_pk_fma_f32 v[4:5], v[14:15], v[150:151], v[4:5] op_sel:[0,0,1] op_sel_hi:[1,0,0]
	v_mov_b32_e32 v7, v5
	v_pk_add_f32 v[2:3], v[2:3], v[6:7]
	v_pk_add_f32 v[2:3], v[50:51], v[2:3] neg_lo:[0,1] neg_hi:[0,1]
	buffer_store_dword v3, off, s[0:3], 0 offset:60
	buffer_store_dword v2, off, s[0:3], 0 offset:56
	s_and_saveexec_b64 s[4:5], vcc
	s_cbranch_execz .LBB126_379
; %bb.378:
	buffer_load_dword v2, off, s[0:3], 0 offset:48
	buffer_load_dword v3, off, s[0:3], 0 offset:52
	s_waitcnt vmcnt(0)
	ds_write_b64 v217, v[2:3]
	buffer_store_dword v1, off, s[0:3], 0 offset:48
	buffer_store_dword v1, off, s[0:3], 0 offset:52
.LBB126_379:
	s_or_b64 exec, exec, s[4:5]
	s_waitcnt lgkmcnt(0)
	; wave barrier
	s_waitcnt lgkmcnt(0)
	buffer_load_dword v57, off, s[0:3], 0 offset:60
	buffer_load_dword v56, off, s[0:3], 0 offset:68
	;; [unrolled: 1-line block ×40, first 2 shown]
	ds_read2_b64 v[26:29], v1 offset0:71 offset1:72
	ds_read2_b64 v[22:25], v1 offset0:73 offset1:74
	;; [unrolled: 1-line block ×7, first 2 shown]
	buffer_load_dword v90, off, s[0:3], 0 offset:208
	buffer_load_dword v91, off, s[0:3], 0 offset:212
	;; [unrolled: 1-line block ×10, first 2 shown]
	v_cmp_lt_u32_e32 vcc, 5, v0
	s_waitcnt vmcnt(49) lgkmcnt(6)
	v_mul_f32_e32 v30, v26, v57
	s_waitcnt vmcnt(48)
	v_mul_f32_e32 v31, v28, v56
	s_waitcnt vmcnt(47) lgkmcnt(5)
	v_mul_f32_e32 v33, v24, v55
	s_waitcnt vmcnt(46) lgkmcnt(4)
	v_mul_f32_e32 v34, v18, v54
	s_waitcnt vmcnt(45)
	v_mul_f32_e32 v35, v20, v52
	s_waitcnt vmcnt(44)
	v_mul_f32_e32 v32, v22, v58
	s_waitcnt vmcnt(43) lgkmcnt(3)
	v_mul_f32_e32 v36, v14, v53
	s_waitcnt vmcnt(42)
	v_mul_f32_e32 v37, v16, v59
	s_waitcnt vmcnt(41) lgkmcnt(2)
	;; [unrolled: 4-line block ×3, first 2 shown]
	v_mul_f32_e32 v40, v6, v62
	s_waitcnt vmcnt(38)
	v_mul_f32_e32 v41, v8, v63
	s_waitcnt vmcnt(37)
	v_fmac_f32_e32 v32, v23, v69
	s_waitcnt vmcnt(36)
	v_fmac_f32_e32 v31, v29, v72
	;; [unrolled: 2-line block ×3, first 2 shown]
	v_add_f32_e32 v30, 0, v30
	v_add_f32_e32 v30, v30, v31
	;; [unrolled: 1-line block ×3, first 2 shown]
	s_waitcnt vmcnt(31)
	v_fmac_f32_e32 v33, v25, v74
	v_fmac_f32_e32 v34, v19, v71
	v_add_f32_e32 v30, v30, v33
	v_fmac_f32_e32 v35, v21, v68
	v_add_f32_e32 v30, v30, v34
	;; [unrolled: 2-line block ×3, first 2 shown]
	s_waitcnt vmcnt(27)
	v_fmac_f32_e32 v37, v17, v70
	v_add_f32_e32 v30, v30, v36
	v_fmac_f32_e32 v38, v11, v67
	v_add_f32_e32 v30, v30, v37
	;; [unrolled: 2-line block ×4, first 2 shown]
	s_waitcnt vmcnt(23)
	v_fmac_f32_e32 v41, v9, v81
	v_add_f32_e32 v30, v30, v40
	v_add_f32_e32 v34, v30, v41
	ds_read2_b64 v[30:33], v1 offset0:85 offset1:86
	buffer_load_dword v167, off, s[0:3], 0 offset:248
	buffer_load_dword v168, off, s[0:3], 0 offset:252
	s_waitcnt vmcnt(24) lgkmcnt(1)
	v_mul_f32_e32 v35, v2, v80
	buffer_load_dword v169, off, s[0:3], 0 offset:256
	buffer_load_dword v170, off, s[0:3], 0 offset:260
	v_fmac_f32_e32 v35, v3, v78
	v_add_f32_e32 v34, v34, v35
	s_waitcnt vmcnt(25)
	v_mul_f32_e32 v35, v4, v79
	buffer_load_dword v171, off, s[0:3], 0 offset:264
	buffer_load_dword v172, off, s[0:3], 0 offset:268
	v_fmac_f32_e32 v35, v5, v76
	v_add_f32_e32 v34, v34, v35
	s_waitcnt vmcnt(26) lgkmcnt(0)
	v_mul_f32_e32 v35, v30, v77
	v_fmac_f32_e32 v35, v31, v73
	v_add_f32_e32 v38, v34, v35
	ds_read2_b64 v[34:37], v1 offset0:87 offset1:88
	buffer_load_dword v173, off, s[0:3], 0 offset:272
	buffer_load_dword v174, off, s[0:3], 0 offset:276
	s_waitcnt vmcnt(21)
	v_mul_f32_e32 v39, v32, v89
	s_waitcnt vmcnt(20)
	v_fmac_f32_e32 v39, v33, v88
	v_add_f32_e32 v42, v38, v39
	ds_read2_b64 v[38:41], v1 offset0:89 offset1:90
	buffer_load_dword v175, off, s[0:3], 0 offset:280
	buffer_load_dword v176, off, s[0:3], 0 offset:284
	;; [unrolled: 1-line block ×12, first 2 shown]
	s_waitcnt lgkmcnt(1)
	v_mul_f32_e32 v43, v34, v83
	v_fmac_f32_e32 v43, v35, v82
	buffer_load_dword v187, off, s[0:3], 0 offset:328
	buffer_load_dword v188, off, s[0:3], 0 offset:332
	v_add_f32_e32 v42, v42, v43
	v_mul_f32_e32 v43, v36, v85
	v_fmac_f32_e32 v43, v37, v84
	v_add_f32_e32 v42, v42, v43
	s_waitcnt lgkmcnt(0)
	v_mul_f32_e32 v43, v38, v87
	v_fmac_f32_e32 v43, v39, v86
	buffer_load_dword v189, off, s[0:3], 0 offset:336
	buffer_load_dword v190, off, s[0:3], 0 offset:340
	v_add_f32_e32 v42, v42, v43
	s_waitcnt vmcnt(32)
	v_mul_f32_e32 v43, v40, v91
	v_fmac_f32_e32 v43, v41, v90
	v_add_f32_e32 v95, v42, v43
	ds_read2_b64 v[42:45], v1 offset0:91 offset1:92
	buffer_load_dword v191, off, s[0:3], 0 offset:344
	buffer_load_dword v192, off, s[0:3], 0 offset:348
	ds_read2_b64 v[46:49], v1 offset0:93 offset1:94
	buffer_load_dword v193, off, s[0:3], 0 offset:352
	buffer_load_dword v194, off, s[0:3], 0 offset:356
	;; [unrolled: 1-line block ×14, first 2 shown]
	s_waitcnt vmcnt(46) lgkmcnt(1)
	v_mul_f32_e32 v96, v42, v93
	v_fmac_f32_e32 v96, v43, v92
	v_add_f32_e32 v95, v95, v96
	s_waitcnt vmcnt(44)
	v_mul_f32_e32 v96, v44, v144
	v_fmac_f32_e32 v96, v45, v94
	v_add_f32_e32 v95, v95, v96
	s_waitcnt vmcnt(42) lgkmcnt(0)
	v_mul_f32_e32 v96, v46, v164
	v_fmac_f32_e32 v96, v47, v152
	v_add_f32_e32 v95, v95, v96
	buffer_load_dword v207, off, s[0:3], 0 offset:408
	buffer_load_dword v236, off, s[0:3], 0 offset:412
	ds_read2_b64 v[96:99], v1 offset0:95 offset1:96
	s_waitcnt vmcnt(42)
	v_mul_f32_e32 v100, v48, v166
	v_fmac_f32_e32 v100, v49, v165
	buffer_load_dword v237, off, s[0:3], 0 offset:416
	buffer_load_dword v238, off, s[0:3], 0 offset:420
	v_add_f32_e32 v95, v95, v100
	buffer_load_dword v239, off, s[0:3], 0 offset:424
	buffer_load_dword v240, off, s[0:3], 0 offset:428
	ds_read2_b64 v[100:103], v1 offset0:97 offset1:98
	buffer_load_dword v241, off, s[0:3], 0 offset:432
	buffer_load_dword v242, off, s[0:3], 0 offset:436
	v_mul_f32_e32 v27, v27, v57
	v_fma_f32 v26, v26, v75, -v27
	v_mul_f32_e32 v27, v29, v56
	v_add_f32_e32 v26, 0, v26
	v_fma_f32 v27, v28, v72, -v27
	v_mul_f32_e32 v23, v23, v58
	v_add_f32_e32 v26, v26, v27
	;; [unrolled: 3-line block ×4, first 2 shown]
	v_fma_f32 v18, v18, v71, -v19
	s_waitcnt vmcnt(46) lgkmcnt(1)
	v_mul_f32_e32 v104, v96, v168
	v_fmac_f32_e32 v104, v97, v167
	v_add_f32_e32 v95, v95, v104
	s_waitcnt vmcnt(44)
	v_mul_f32_e32 v104, v98, v170
	v_fmac_f32_e32 v104, v99, v169
	v_add_f32_e32 v95, v95, v104
	s_waitcnt vmcnt(42) lgkmcnt(0)
	v_mul_f32_e32 v104, v100, v172
	v_fmac_f32_e32 v104, v101, v171
	v_add_f32_e32 v95, v95, v104
	ds_read2_b64 v[104:107], v1 offset0:99 offset1:100
	v_mul_f32_e32 v19, v21, v52
	v_add_f32_e32 v18, v22, v18
	v_fma_f32 v19, v20, v68, -v19
	s_waitcnt vmcnt(40)
	v_mul_f32_e32 v108, v102, v174
	v_fmac_f32_e32 v108, v103, v173
	v_add_f32_e32 v95, v95, v108
	ds_read2_b64 v[108:111], v1 offset0:101 offset1:102
	v_mul_f32_e32 v15, v15, v53
	s_waitcnt vmcnt(38) lgkmcnt(1)
	v_mul_f32_e32 v112, v104, v176
	v_fmac_f32_e32 v112, v105, v175
	v_add_f32_e32 v95, v95, v112
	s_waitcnt vmcnt(36)
	v_mul_f32_e32 v112, v106, v178
	v_fmac_f32_e32 v112, v107, v177
	v_add_f32_e32 v95, v95, v112
	s_waitcnt vmcnt(34) lgkmcnt(0)
	v_mul_f32_e32 v112, v108, v180
	v_fmac_f32_e32 v112, v109, v179
	v_add_f32_e32 v95, v95, v112
	ds_read2_b64 v[112:115], v1 offset0:103 offset1:104
	s_waitcnt vmcnt(32)
	v_mul_f32_e32 v116, v110, v182
	v_fmac_f32_e32 v116, v111, v181
	v_add_f32_e32 v95, v95, v116
	ds_read2_b64 v[116:119], v1 offset0:105 offset1:106
	s_waitcnt vmcnt(30) lgkmcnt(1)
	v_mul_f32_e32 v120, v112, v184
	v_fmac_f32_e32 v120, v113, v183
	v_add_f32_e32 v95, v95, v120
	s_waitcnt vmcnt(28)
	v_mul_f32_e32 v120, v114, v186
	v_fmac_f32_e32 v120, v115, v185
	v_add_f32_e32 v95, v95, v120
	s_waitcnt vmcnt(26) lgkmcnt(0)
	v_mul_f32_e32 v120, v116, v188
	v_fmac_f32_e32 v120, v117, v187
	v_add_f32_e32 v95, v95, v120
	ds_read2_b64 v[120:123], v1 offset0:107 offset1:108
	s_waitcnt vmcnt(24)
	v_mul_f32_e32 v124, v118, v190
	v_fmac_f32_e32 v124, v119, v189
	v_add_f32_e32 v95, v95, v124
	ds_read2_b64 v[124:127], v1 offset0:109 offset1:110
	;; [unrolled: 18-line block ×3, first 2 shown]
	s_waitcnt vmcnt(14) lgkmcnt(1)
	v_mul_f32_e32 v136, v128, v200
	v_fmac_f32_e32 v136, v129, v199
	v_add_f32_e32 v95, v95, v136
	s_waitcnt vmcnt(12)
	v_mul_f32_e32 v136, v130, v202
	v_fmac_f32_e32 v136, v131, v201
	v_add_f32_e32 v95, v95, v136
	s_waitcnt vmcnt(10) lgkmcnt(0)
	v_mul_f32_e32 v136, v132, v204
	v_fmac_f32_e32 v136, v133, v203
	s_waitcnt vmcnt(8)
	v_mul_f32_e32 v140, v134, v206
	v_add_f32_e32 v95, v95, v136
	v_fmac_f32_e32 v140, v135, v205
	ds_read2_b64 v[136:139], v1 offset0:115 offset1:116
	v_add_f32_e32 v95, v95, v140
	ds_read2_b64 v[140:143], v1 offset0:117 offset1:118
	buffer_load_dword v147, off, s[0:3], 0 offset:460
	buffer_load_dword v146, off, s[0:3], 0 offset:456
	;; [unrolled: 1-line block ×6, first 2 shown]
	v_add_f32_e32 v18, v18, v19
	v_fma_f32 v14, v14, v66, -v15
	v_mul_f32_e32 v15, v17, v59
	v_add_f32_e32 v14, v18, v14
	v_fma_f32 v15, v16, v70, -v15
	v_mul_f32_e32 v11, v11, v60
	;; [unrolled: 3-line block ×7, first 2 shown]
	v_add_f32_e32 v2, v6, v2
	v_fma_f32 v3, v4, v76, -v3
	buffer_load_dword v155, off, s[0:3], 0 offset:492
	buffer_load_dword v154, off, s[0:3], 0 offset:488
	buffer_load_dword v157, off, s[0:3], 0 offset:484
	buffer_load_dword v156, off, s[0:3], 0 offset:480
	buffer_load_dword v159, off, s[0:3], 0 offset:476
	buffer_load_dword v158, off, s[0:3], 0 offset:472
	buffer_load_dword v161, off, s[0:3], 0 offset:468
	buffer_load_dword v160, off, s[0:3], 0 offset:464
	buffer_load_dword v163, off, s[0:3], 0 offset:500
	buffer_load_dword v162, off, s[0:3], 0 offset:496
	v_add_f32_e32 v2, v2, v3
	v_mul_f32_e32 v3, v31, v77
	v_fma_f32 v3, v30, v73, -v3
	v_add_f32_e32 v2, v2, v3
	v_mul_f32_e32 v3, v33, v89
	v_fma_f32 v3, v32, v88, -v3
	;; [unrolled: 3-line block ×30, first 2 shown]
	v_add_f32_e32 v2, v2, v3
	s_waitcnt vmcnt(22) lgkmcnt(1)
	v_mul_f32_e32 v3, v137, v236
	v_fma_f32 v3, v136, v207, -v3
	v_add_f32_e32 v2, v2, v3
	s_waitcnt vmcnt(20)
	v_mul_f32_e32 v3, v139, v238
	v_mul_f32_e32 v145, v136, v236
	v_fma_f32 v3, v138, v237, -v3
	v_fmac_f32_e32 v145, v137, v207
	v_add_f32_e32 v94, v2, v3
	s_waitcnt vmcnt(18) lgkmcnt(0)
	v_mul_f32_e32 v2, v141, v240
	v_add_f32_e32 v95, v95, v145
	v_mul_f32_e32 v145, v138, v238
	v_fma_f32 v144, v140, v239, -v2
	s_waitcnt vmcnt(16)
	v_mul_f32_e32 v2, v143, v242
	v_fmac_f32_e32 v145, v139, v237
	v_fma_f32 v152, v142, v241, -v2
	ds_read2_b64 v[2:5], v1 offset0:119 offset1:120
	ds_read2_b64 v[6:9], v1 offset0:121 offset1:122
	;; [unrolled: 1-line block ×4, first 2 shown]
	v_add_f32_e32 v95, v95, v145
	v_mul_f32_e32 v145, v140, v240
	s_waitcnt vmcnt(11)
	v_mov_b32_e32 v20, v151
	v_fmac_f32_e32 v145, v141, v239
	v_mul_f32_e32 v153, v142, v242
	s_waitcnt lgkmcnt(3)
	v_pk_mul_f32 v[20:21], v[2:3], v[20:21] op_sel_hi:[1,0]
	v_fmac_f32_e32 v153, v143, v241
	v_pk_add_f32 v[18:19], v[94:95], v[144:145]
	s_waitcnt vmcnt(10)
	v_pk_fma_f32 v[22:23], v[2:3], v[150:151], v[20:21] op_sel:[0,0,1] op_sel_hi:[1,1,0] neg_lo:[0,0,1] neg_hi:[0,0,1]
	v_pk_fma_f32 v[2:3], v[2:3], v[150:151], v[20:21] op_sel:[0,0,1] op_sel_hi:[1,0,0]
	v_pk_add_f32 v[18:19], v[18:19], v[152:153]
	v_mov_b32_e32 v23, v3
	v_pk_add_f32 v[2:3], v[18:19], v[22:23]
	v_mov_b32_e32 v18, v149
	v_pk_mul_f32 v[18:19], v[4:5], v[18:19] op_sel_hi:[1,0]
	v_pk_fma_f32 v[20:21], v[4:5], v[148:149], v[18:19] op_sel:[0,0,1] op_sel_hi:[1,1,0] neg_lo:[0,0,1] neg_hi:[0,0,1]
	v_pk_fma_f32 v[4:5], v[4:5], v[148:149], v[18:19] op_sel:[0,0,1] op_sel_hi:[1,0,0]
	v_mov_b32_e32 v4, v147
	v_mov_b32_e32 v21, v5
	s_waitcnt lgkmcnt(2)
	v_pk_mul_f32 v[4:5], v[6:7], v[4:5] op_sel_hi:[1,0]
	v_pk_fma_f32 v[18:19], v[6:7], v[146:147], v[4:5] op_sel:[0,0,1] op_sel_hi:[1,1,0] neg_lo:[0,0,1] neg_hi:[0,0,1]
	v_pk_fma_f32 v[4:5], v[6:7], v[146:147], v[4:5] op_sel:[0,0,1] op_sel_hi:[1,0,0]
	s_waitcnt vmcnt(3)
	v_mov_b32_e32 v4, v161
	v_mov_b32_e32 v19, v5
	v_pk_mul_f32 v[4:5], v[8:9], v[4:5] op_sel_hi:[1,0]
	s_waitcnt vmcnt(2)
	v_pk_fma_f32 v[6:7], v[8:9], v[160:161], v[4:5] op_sel:[0,0,1] op_sel_hi:[1,1,0] neg_lo:[0,0,1] neg_hi:[0,0,1]
	v_pk_fma_f32 v[4:5], v[8:9], v[160:161], v[4:5] op_sel:[0,0,1] op_sel_hi:[1,0,0]
	v_pk_add_f32 v[2:3], v[2:3], v[20:21]
	v_mov_b32_e32 v4, v159
	v_pk_add_f32 v[2:3], v[2:3], v[18:19]
	v_mov_b32_e32 v7, v5
	s_waitcnt lgkmcnt(1)
	v_pk_mul_f32 v[4:5], v[10:11], v[4:5] op_sel_hi:[1,0]
	v_pk_add_f32 v[2:3], v[2:3], v[6:7]
	v_pk_fma_f32 v[6:7], v[10:11], v[158:159], v[4:5] op_sel:[0,0,1] op_sel_hi:[1,1,0] neg_lo:[0,0,1] neg_hi:[0,0,1]
	v_pk_fma_f32 v[4:5], v[10:11], v[158:159], v[4:5] op_sel:[0,0,1] op_sel_hi:[1,0,0]
	v_mov_b32_e32 v4, v157
	v_mov_b32_e32 v7, v5
	v_pk_mul_f32 v[4:5], v[12:13], v[4:5] op_sel_hi:[1,0]
	v_pk_add_f32 v[2:3], v[2:3], v[6:7]
	v_pk_fma_f32 v[6:7], v[12:13], v[156:157], v[4:5] op_sel:[0,0,1] op_sel_hi:[1,1,0] neg_lo:[0,0,1] neg_hi:[0,0,1]
	v_pk_fma_f32 v[4:5], v[12:13], v[156:157], v[4:5] op_sel:[0,0,1] op_sel_hi:[1,0,0]
	v_mov_b32_e32 v4, v155
	v_mov_b32_e32 v7, v5
	s_waitcnt lgkmcnt(0)
	v_pk_mul_f32 v[4:5], v[14:15], v[4:5] op_sel_hi:[1,0]
	v_pk_add_f32 v[2:3], v[2:3], v[6:7]
	v_pk_fma_f32 v[6:7], v[14:15], v[154:155], v[4:5] op_sel:[0,0,1] op_sel_hi:[1,1,0] neg_lo:[0,0,1] neg_hi:[0,0,1]
	v_pk_fma_f32 v[4:5], v[14:15], v[154:155], v[4:5] op_sel:[0,0,1] op_sel_hi:[1,0,0]
	s_waitcnt vmcnt(1)
	v_mov_b32_e32 v4, v163
	v_mov_b32_e32 v7, v5
	v_pk_mul_f32 v[4:5], v[16:17], v[4:5] op_sel_hi:[1,0]
	v_pk_add_f32 v[2:3], v[2:3], v[6:7]
	s_waitcnt vmcnt(0)
	v_pk_fma_f32 v[6:7], v[16:17], v[162:163], v[4:5] op_sel:[0,0,1] op_sel_hi:[1,1,0] neg_lo:[0,0,1] neg_hi:[0,0,1]
	v_pk_fma_f32 v[4:5], v[16:17], v[162:163], v[4:5] op_sel:[0,0,1] op_sel_hi:[1,0,0]
	v_mov_b32_e32 v7, v5
	v_pk_add_f32 v[2:3], v[2:3], v[6:7]
	v_pk_add_f32 v[2:3], v[50:51], v[2:3] neg_lo:[0,1] neg_hi:[0,1]
	buffer_store_dword v3, off, s[0:3], 0 offset:52
	buffer_store_dword v2, off, s[0:3], 0 offset:48
	s_and_saveexec_b64 s[4:5], vcc
	s_cbranch_execz .LBB126_381
; %bb.380:
	buffer_load_dword v2, off, s[0:3], 0 offset:40
	buffer_load_dword v3, off, s[0:3], 0 offset:44
	v_mov_b32_e32 v1, 0
	buffer_store_dword v1, off, s[0:3], 0 offset:40
	buffer_store_dword v1, off, s[0:3], 0 offset:44
	s_waitcnt vmcnt(2)
	ds_write_b64 v217, v[2:3]
.LBB126_381:
	s_or_b64 exec, exec, s[4:5]
	v_mov_b32_e32 v114, 0
	s_waitcnt lgkmcnt(0)
	; wave barrier
	s_waitcnt lgkmcnt(0)
	ds_read_b128 v[2:5], v114 offset:560
	buffer_load_dword v102, off, s[0:3], 0 offset:40
	buffer_load_dword v103, off, s[0:3], 0 offset:44
	;; [unrolled: 1-line block ×16, first 2 shown]
	v_cmp_lt_u32_e32 vcc, 4, v0
	s_waitcnt vmcnt(12) lgkmcnt(0)
	v_mul_f32_e32 v6, v2, v115
	v_fmac_f32_e32 v6, v3, v1
	s_waitcnt vmcnt(10)
	v_mul_f32_e32 v7, v4, v117
	v_add_f32_e32 v6, 0, v6
	v_fmac_f32_e32 v7, v5, v104
	v_add_f32_e32 v10, v6, v7
	ds_read_b128 v[6:9], v114 offset:576
	v_mul_f32_e32 v3, v3, v115
	v_fma_f32 v1, v2, v1, -v3
	v_mul_f32_e32 v2, v5, v117
	v_add_f32_e32 v1, 0, v1
	s_waitcnt vmcnt(8) lgkmcnt(0)
	v_mul_f32_e32 v11, v6, v119
	v_fmac_f32_e32 v11, v7, v106
	v_add_f32_e32 v10, v10, v11
	s_waitcnt vmcnt(6)
	v_mul_f32_e32 v11, v8, v121
	v_fmac_f32_e32 v11, v9, v116
	v_add_f32_e32 v14, v10, v11
	ds_read_b128 v[10:13], v114 offset:592
	v_fma_f32 v2, v4, v104, -v2
	v_add_f32_e32 v1, v1, v2
	v_mul_f32_e32 v2, v7, v119
	v_fma_f32 v2, v6, v106, -v2
	s_waitcnt vmcnt(4) lgkmcnt(0)
	v_mul_f32_e32 v15, v10, v123
	v_fmac_f32_e32 v15, v11, v118
	v_add_f32_e32 v14, v14, v15
	s_waitcnt vmcnt(2)
	v_mul_f32_e32 v15, v12, v124
	v_fmac_f32_e32 v15, v13, v120
	v_add_f32_e32 v18, v14, v15
	ds_read_b128 v[14:17], v114 offset:608
	buffer_load_dword v126, off, s[0:3], 0 offset:104
	buffer_load_dword v127, off, s[0:3], 0 offset:108
	v_add_f32_e32 v1, v1, v2
	v_mul_f32_e32 v2, v9, v121
	v_fma_f32 v2, v8, v116, -v2
	s_waitcnt vmcnt(2) lgkmcnt(0)
	v_mul_f32_e32 v19, v14, v125
	v_fmac_f32_e32 v19, v15, v122
	v_add_f32_e32 v18, v18, v19
	v_add_f32_e32 v1, v1, v2
	v_mul_f32_e32 v2, v11, v123
	v_fma_f32 v2, v10, v118, -v2
	v_add_f32_e32 v1, v1, v2
	v_mul_f32_e32 v2, v13, v124
	v_fma_f32 v2, v12, v120, -v2
	;; [unrolled: 3-line block ×3, first 2 shown]
	v_add_f32_e32 v1, v1, v2
	s_waitcnt vmcnt(0)
	v_mul_f32_e32 v19, v16, v127
	v_fmac_f32_e32 v19, v17, v126
	v_add_f32_e32 v22, v18, v19
	ds_read_b128 v[18:21], v114 offset:624
	buffer_load_dword v128, off, s[0:3], 0 offset:112
	buffer_load_dword v129, off, s[0:3], 0 offset:116
	;; [unrolled: 1-line block ×4, first 2 shown]
	v_mul_f32_e32 v2, v17, v127
	v_fma_f32 v2, v16, v126, -v2
	v_add_f32_e32 v1, v1, v2
	s_waitcnt vmcnt(2) lgkmcnt(0)
	v_mul_f32_e32 v23, v18, v129
	v_fmac_f32_e32 v23, v19, v128
	v_add_f32_e32 v22, v22, v23
	s_waitcnt vmcnt(0)
	v_mul_f32_e32 v23, v20, v131
	v_fmac_f32_e32 v23, v21, v130
	v_add_f32_e32 v26, v22, v23
	ds_read_b128 v[22:25], v114 offset:640
	buffer_load_dword v132, off, s[0:3], 0 offset:128
	buffer_load_dword v133, off, s[0:3], 0 offset:132
	buffer_load_dword v134, off, s[0:3], 0 offset:136
	buffer_load_dword v135, off, s[0:3], 0 offset:140
	v_mul_f32_e32 v2, v19, v129
	v_fma_f32 v2, v18, v128, -v2
	v_add_f32_e32 v1, v1, v2
	v_mul_f32_e32 v2, v21, v131
	v_fma_f32 v2, v20, v130, -v2
	v_add_f32_e32 v1, v1, v2
	s_waitcnt vmcnt(2) lgkmcnt(0)
	v_mul_f32_e32 v27, v22, v133
	v_fmac_f32_e32 v27, v23, v132
	v_add_f32_e32 v26, v26, v27
	s_waitcnt vmcnt(0)
	v_mul_f32_e32 v27, v24, v135
	v_fmac_f32_e32 v27, v25, v134
	v_add_f32_e32 v30, v26, v27
	ds_read_b128 v[26:29], v114 offset:656
	buffer_load_dword v136, off, s[0:3], 0 offset:144
	buffer_load_dword v137, off, s[0:3], 0 offset:148
	buffer_load_dword v138, off, s[0:3], 0 offset:152
	buffer_load_dword v139, off, s[0:3], 0 offset:156
	v_mul_f32_e32 v2, v23, v133
	v_fma_f32 v2, v22, v132, -v2
	v_add_f32_e32 v1, v1, v2
	;; [unrolled: 19-line block ×6, first 2 shown]
	v_mul_f32_e32 v2, v41, v151
	v_fma_f32 v2, v40, v150, -v2
	v_add_f32_e32 v1, v1, v2
	s_waitcnt vmcnt(2) lgkmcnt(0)
	v_mul_f32_e32 v47, v42, v153
	v_fmac_f32_e32 v47, v43, v152
	v_add_f32_e32 v46, v46, v47
	s_waitcnt vmcnt(0)
	v_mul_f32_e32 v47, v44, v155
	v_fmac_f32_e32 v47, v45, v154
	v_add_f32_e32 v50, v46, v47
	ds_read_b128 v[46:49], v114 offset:736
	buffer_load_dword v156, off, s[0:3], 0 offset:224
	buffer_load_dword v157, off, s[0:3], 0 offset:228
	buffer_load_dword v158, off, s[0:3], 0 offset:232
	buffer_load_dword v159, off, s[0:3], 0 offset:236
	ds_read_b128 v[54:57], v114 offset:752
	buffer_load_dword v160, off, s[0:3], 0 offset:240
	buffer_load_dword v161, off, s[0:3], 0 offset:244
	buffer_load_dword v162, off, s[0:3], 0 offset:248
	buffer_load_dword v163, off, s[0:3], 0 offset:252
	;; [unrolled: 5-line block ×13, first 2 shown]
	v_mul_f32_e32 v2, v43, v153
	v_fma_f32 v2, v42, v152, -v2
	v_add_f32_e32 v1, v1, v2
	v_mul_f32_e32 v2, v45, v155
	v_fma_f32 v2, v44, v154, -v2
	v_add_f32_e32 v1, v1, v2
	s_waitcnt vmcnt(50) lgkmcnt(12)
	v_mul_f32_e32 v51, v46, v157
	v_fmac_f32_e32 v51, v47, v156
	v_add_f32_e32 v50, v50, v51
	s_waitcnt vmcnt(48)
	v_mul_f32_e32 v51, v48, v159
	v_fmac_f32_e32 v51, v49, v158
	v_add_f32_e32 v50, v50, v51
	s_waitcnt vmcnt(46) lgkmcnt(11)
	v_mul_f32_e32 v51, v54, v161
	v_fmac_f32_e32 v51, v55, v160
	v_add_f32_e32 v50, v50, v51
	s_waitcnt vmcnt(44)
	v_mul_f32_e32 v51, v56, v163
	v_fmac_f32_e32 v51, v57, v162
	;; [unrolled: 8-line block ×12, first 2 shown]
	v_add_f32_e32 v50, v50, v51
	s_waitcnt vmcnt(2) lgkmcnt(0)
	v_mul_f32_e32 v51, v98, v205
	v_fmac_f32_e32 v51, v99, v204
	v_add_f32_e32 v105, v50, v51
	ds_read_b128 v[50:53], v114 offset:944
	buffer_load_dword v236, off, s[0:3], 0 offset:432
	buffer_load_dword v248, off, s[0:3], 0 offset:436
	;; [unrolled: 1-line block ×18, first 2 shown]
	v_mul_f32_e32 v2, v47, v157
	v_fma_f32 v2, v46, v156, -v2
	v_add_f32_e32 v1, v1, v2
	v_mul_f32_e32 v2, v49, v159
	v_fma_f32 v2, v48, v158, -v2
	v_add_f32_e32 v1, v1, v2
	;; [unrolled: 3-line block ×24, first 2 shown]
	v_mul_f32_e32 v2, v99, v205
	v_fma_f32 v2, v98, v204, -v2
	s_waitcnt vmcnt(15)
	v_mov_b32_e32 v18, v109
	v_mul_f32_e32 v107, v100, v207
	v_add_f32_e32 v104, v1, v2
	v_mul_f32_e32 v1, v101, v207
	s_waitcnt lgkmcnt(0)
	v_pk_mul_f32 v[18:19], v[52:53], v[18:19] op_sel_hi:[1,0]
	v_fmac_f32_e32 v107, v101, v206
	v_mul_f32_e32 v237, v50, v248
	v_fma_f32 v106, v100, v206, -v1
	v_mul_f32_e32 v1, v51, v248
	ds_read_b128 v[2:5], v114 offset:960
	ds_read_b128 v[6:9], v114 offset:976
	;; [unrolled: 1-line block ×3, first 2 shown]
	ds_read_b64 v[14:15], v114 offset:1008
	s_waitcnt vmcnt(14)
	v_pk_fma_f32 v[20:21], v[52:53], v[108:109], v[18:19] op_sel:[0,0,1] op_sel_hi:[1,1,0] neg_lo:[0,0,1] neg_hi:[0,0,1]
	v_pk_fma_f32 v[18:19], v[52:53], v[108:109], v[18:19] op_sel:[0,0,1] op_sel_hi:[1,0,0]
	v_fmac_f32_e32 v237, v51, v236
	v_fma_f32 v236, v50, v236, -v1
	v_pk_add_f32 v[16:17], v[104:105], v[106:107]
	s_waitcnt vmcnt(13)
	v_mov_b32_e32 v18, v247
	v_pk_add_f32 v[16:17], v[16:17], v[236:237]
	v_mov_b32_e32 v21, v19
	s_waitcnt lgkmcnt(3)
	v_pk_mul_f32 v[18:19], v[2:3], v[18:19] op_sel_hi:[1,0]
	v_pk_add_f32 v[16:17], v[16:17], v[20:21]
	s_waitcnt vmcnt(12)
	v_pk_fma_f32 v[20:21], v[2:3], v[246:247], v[18:19] op_sel:[0,0,1] op_sel_hi:[1,1,0] neg_lo:[0,0,1] neg_hi:[0,0,1]
	v_pk_fma_f32 v[2:3], v[2:3], v[246:247], v[18:19] op_sel:[0,0,1] op_sel_hi:[1,0,0]
	v_mov_b32_e32 v21, v3
	v_pk_add_f32 v[2:3], v[16:17], v[20:21]
	s_waitcnt vmcnt(11)
	v_mov_b32_e32 v16, v245
	v_pk_mul_f32 v[16:17], v[4:5], v[16:17] op_sel_hi:[1,0]
	s_waitcnt vmcnt(10)
	v_pk_fma_f32 v[18:19], v[4:5], v[244:245], v[16:17] op_sel:[0,0,1] op_sel_hi:[1,1,0] neg_lo:[0,0,1] neg_hi:[0,0,1]
	v_pk_fma_f32 v[4:5], v[4:5], v[244:245], v[16:17] op_sel:[0,0,1] op_sel_hi:[1,0,0]
	s_waitcnt vmcnt(9)
	v_mov_b32_e32 v4, v243
	v_mov_b32_e32 v19, v5
	s_waitcnt lgkmcnt(2)
	v_pk_mul_f32 v[4:5], v[6:7], v[4:5] op_sel_hi:[1,0]
	s_waitcnt vmcnt(8)
	v_pk_fma_f32 v[16:17], v[6:7], v[242:243], v[4:5] op_sel:[0,0,1] op_sel_hi:[1,1,0] neg_lo:[0,0,1] neg_hi:[0,0,1]
	v_pk_fma_f32 v[4:5], v[6:7], v[242:243], v[4:5] op_sel:[0,0,1] op_sel_hi:[1,0,0]
	s_waitcnt vmcnt(7)
	v_mov_b32_e32 v4, v241
	v_mov_b32_e32 v17, v5
	v_pk_mul_f32 v[4:5], v[8:9], v[4:5] op_sel_hi:[1,0]
	s_waitcnt vmcnt(6)
	v_pk_fma_f32 v[6:7], v[8:9], v[240:241], v[4:5] op_sel:[0,0,1] op_sel_hi:[1,1,0] neg_lo:[0,0,1] neg_hi:[0,0,1]
	v_pk_fma_f32 v[4:5], v[8:9], v[240:241], v[4:5] op_sel:[0,0,1] op_sel_hi:[1,0,0]
	v_pk_add_f32 v[2:3], v[2:3], v[18:19]
	s_waitcnt vmcnt(5)
	v_mov_b32_e32 v4, v239
	v_pk_add_f32 v[2:3], v[2:3], v[16:17]
	v_mov_b32_e32 v7, v5
	s_waitcnt lgkmcnt(1)
	v_pk_mul_f32 v[4:5], v[10:11], v[4:5] op_sel_hi:[1,0]
	v_pk_add_f32 v[2:3], v[2:3], v[6:7]
	s_waitcnt vmcnt(4)
	v_pk_fma_f32 v[6:7], v[10:11], v[238:239], v[4:5] op_sel:[0,0,1] op_sel_hi:[1,1,0] neg_lo:[0,0,1] neg_hi:[0,0,1]
	v_pk_fma_f32 v[4:5], v[10:11], v[238:239], v[4:5] op_sel:[0,0,1] op_sel_hi:[1,0,0]
	s_waitcnt vmcnt(3)
	v_mov_b32_e32 v4, v113
	v_mov_b32_e32 v7, v5
	v_pk_mul_f32 v[4:5], v[12:13], v[4:5] op_sel_hi:[1,0]
	v_pk_add_f32 v[2:3], v[2:3], v[6:7]
	s_waitcnt vmcnt(2)
	v_pk_fma_f32 v[6:7], v[12:13], v[112:113], v[4:5] op_sel:[0,0,1] op_sel_hi:[1,1,0] neg_lo:[0,0,1] neg_hi:[0,0,1]
	v_pk_fma_f32 v[4:5], v[12:13], v[112:113], v[4:5] op_sel:[0,0,1] op_sel_hi:[1,0,0]
	s_waitcnt vmcnt(1)
	v_mov_b32_e32 v4, v111
	v_mov_b32_e32 v7, v5
	s_waitcnt lgkmcnt(0)
	v_pk_mul_f32 v[4:5], v[14:15], v[4:5] op_sel_hi:[1,0]
	v_pk_add_f32 v[2:3], v[2:3], v[6:7]
	s_waitcnt vmcnt(0)
	v_pk_fma_f32 v[6:7], v[14:15], v[110:111], v[4:5] op_sel:[0,0,1] op_sel_hi:[1,1,0] neg_lo:[0,0,1] neg_hi:[0,0,1]
	v_pk_fma_f32 v[4:5], v[14:15], v[110:111], v[4:5] op_sel:[0,0,1] op_sel_hi:[1,0,0]
	v_mov_b32_e32 v7, v5
	v_pk_add_f32 v[2:3], v[2:3], v[6:7]
	v_pk_add_f32 v[2:3], v[102:103], v[2:3] neg_lo:[0,1] neg_hi:[0,1]
	buffer_store_dword v3, off, s[0:3], 0 offset:44
	buffer_store_dword v2, off, s[0:3], 0 offset:40
	s_and_saveexec_b64 s[4:5], vcc
	s_cbranch_execz .LBB126_383
; %bb.382:
	buffer_load_dword v2, off, s[0:3], 0 offset:32
	buffer_load_dword v3, off, s[0:3], 0 offset:36
	s_waitcnt vmcnt(0)
	ds_write_b64 v217, v[2:3]
	buffer_store_dword v114, off, s[0:3], 0 offset:32
	buffer_store_dword v114, off, s[0:3], 0 offset:36
.LBB126_383:
	s_or_b64 exec, exec, s[4:5]
	s_waitcnt lgkmcnt(0)
	; wave barrier
	s_waitcnt lgkmcnt(0)
	buffer_load_dword v64, off, s[0:3], 0 offset:44
	buffer_load_dword v63, off, s[0:3], 0 offset:52
	;; [unrolled: 1-line block ×40, first 2 shown]
	ds_read2_b64 v[22:25], v114 offset0:69 offset1:70
	ds_read2_b64 v[18:21], v114 offset0:71 offset1:72
	;; [unrolled: 1-line block ×6, first 2 shown]
	buffer_load_dword v97, off, s[0:3], 0 offset:192
	buffer_load_dword v98, off, s[0:3], 0 offset:196
	;; [unrolled: 1-line block ×10, first 2 shown]
	v_cmp_lt_u32_e32 vcc, 3, v0
	s_waitcnt vmcnt(49) lgkmcnt(5)
	v_mul_f32_e32 v26, v22, v64
	s_waitcnt vmcnt(48)
	v_mul_f32_e32 v27, v24, v63
	s_waitcnt vmcnt(47) lgkmcnt(4)
	v_mul_f32_e32 v29, v20, v62
	s_waitcnt vmcnt(46) lgkmcnt(3)
	v_mul_f32_e32 v30, v14, v61
	s_waitcnt vmcnt(45)
	v_mul_f32_e32 v31, v16, v1
	s_waitcnt vmcnt(44)
	v_mul_f32_e32 v28, v18, v65
	s_waitcnt vmcnt(43) lgkmcnt(2)
	v_mul_f32_e32 v32, v10, v60
	s_waitcnt vmcnt(42)
	v_mul_f32_e32 v33, v12, v66
	s_waitcnt vmcnt(41) lgkmcnt(1)
	;; [unrolled: 4-line block ×3, first 2 shown]
	v_mul_f32_e32 v36, v2, v69
	s_waitcnt vmcnt(38)
	v_mul_f32_e32 v37, v4, v70
	s_waitcnt vmcnt(37)
	v_fmac_f32_e32 v28, v19, v76
	s_waitcnt vmcnt(36)
	v_fmac_f32_e32 v27, v25, v79
	;; [unrolled: 2-line block ×3, first 2 shown]
	v_add_f32_e32 v26, 0, v26
	v_add_f32_e32 v26, v26, v27
	;; [unrolled: 1-line block ×3, first 2 shown]
	s_waitcnt vmcnt(31)
	v_fmac_f32_e32 v29, v21, v81
	v_fmac_f32_e32 v30, v15, v78
	v_add_f32_e32 v26, v26, v29
	v_fmac_f32_e32 v31, v17, v75
	v_add_f32_e32 v26, v26, v30
	;; [unrolled: 2-line block ×3, first 2 shown]
	s_waitcnt vmcnt(27)
	v_fmac_f32_e32 v33, v13, v77
	v_add_f32_e32 v26, v26, v32
	v_fmac_f32_e32 v34, v7, v74
	v_add_f32_e32 v26, v26, v33
	;; [unrolled: 2-line block ×3, first 2 shown]
	v_add_f32_e32 v30, v26, v35
	ds_read2_b64 v[26:29], v114 offset0:81 offset1:82
	v_fmac_f32_e32 v36, v3, v71
	v_add_f32_e32 v30, v30, v36
	s_waitcnt vmcnt(23)
	v_fmac_f32_e32 v37, v5, v88
	v_add_f32_e32 v34, v30, v37
	ds_read2_b64 v[30:33], v114 offset0:83 offset1:84
	buffer_load_dword v115, off, s[0:3], 0 offset:232
	buffer_load_dword v160, off, s[0:3], 0 offset:236
	s_waitcnt vmcnt(24) lgkmcnt(1)
	v_mul_f32_e32 v35, v26, v87
	v_fmac_f32_e32 v35, v27, v85
	buffer_load_dword v162, off, s[0:3], 0 offset:240
	buffer_load_dword v178, off, s[0:3], 0 offset:244
	v_add_f32_e32 v34, v34, v35
	s_waitcnt vmcnt(25)
	v_mul_f32_e32 v35, v28, v86
	v_fmac_f32_e32 v35, v29, v83
	buffer_load_dword v179, off, s[0:3], 0 offset:248
	buffer_load_dword v180, off, s[0:3], 0 offset:252
	v_add_f32_e32 v34, v34, v35
	s_waitcnt vmcnt(26) lgkmcnt(0)
	v_mul_f32_e32 v35, v30, v84
	v_fmac_f32_e32 v35, v31, v80
	v_add_f32_e32 v34, v34, v35
	s_waitcnt vmcnt(20)
	v_mul_f32_e32 v35, v32, v96
	s_waitcnt vmcnt(19)
	v_fmac_f32_e32 v35, v33, v95
	ds_read2_b64 v[38:41], v114 offset0:85 offset1:86
	v_add_f32_e32 v42, v34, v35
	ds_read2_b64 v[34:37], v114 offset0:87 offset1:88
	buffer_load_dword v181, off, s[0:3], 0 offset:256
	buffer_load_dword v182, off, s[0:3], 0 offset:260
	;; [unrolled: 1-line block ×6, first 2 shown]
	s_waitcnt vmcnt(24) lgkmcnt(1)
	v_mul_f32_e32 v43, v38, v94
	buffer_load_dword v187, off, s[0:3], 0 offset:280
	buffer_load_dword v188, off, s[0:3], 0 offset:284
	v_fmac_f32_e32 v43, v39, v93
	v_add_f32_e32 v42, v42, v43
	v_mul_f32_e32 v43, v40, v90
	buffer_load_dword v189, off, s[0:3], 0 offset:288
	buffer_load_dword v190, off, s[0:3], 0 offset:292
	v_fmac_f32_e32 v43, v41, v89
	v_add_f32_e32 v42, v42, v43
	s_waitcnt lgkmcnt(0)
	v_mul_f32_e32 v43, v34, v92
	buffer_load_dword v191, off, s[0:3], 0 offset:296
	buffer_load_dword v192, off, s[0:3], 0 offset:300
	v_fmac_f32_e32 v43, v35, v91
	v_add_f32_e32 v46, v42, v43
	ds_read2_b64 v[42:45], v114 offset0:89 offset1:90
	buffer_load_dword v193, off, s[0:3], 0 offset:304
	buffer_load_dword v194, off, s[0:3], 0 offset:308
	s_waitcnt vmcnt(28)
	v_mul_f32_e32 v47, v36, v98
	buffer_load_dword v195, off, s[0:3], 0 offset:312
	buffer_load_dword v196, off, s[0:3], 0 offset:316
	v_fmac_f32_e32 v47, v37, v97
	v_add_f32_e32 v50, v46, v47
	ds_read2_b64 v[46:49], v114 offset0:91 offset1:92
	buffer_load_dword v197, off, s[0:3], 0 offset:320
	buffer_load_dword v198, off, s[0:3], 0 offset:324
	;; [unrolled: 1-line block ×10, first 2 shown]
	s_waitcnt vmcnt(38) lgkmcnt(1)
	v_mul_f32_e32 v51, v42, v100
	buffer_load_dword v207, off, s[0:3], 0 offset:360
	buffer_load_dword v236, off, s[0:3], 0 offset:364
	v_fmac_f32_e32 v51, v43, v99
	v_add_f32_e32 v50, v50, v51
	s_waitcnt vmcnt(38)
	v_mul_f32_e32 v51, v44, v102
	buffer_load_dword v237, off, s[0:3], 0 offset:368
	buffer_load_dword v238, off, s[0:3], 0 offset:372
	v_fmac_f32_e32 v51, v45, v101
	v_add_f32_e32 v50, v50, v51
	s_waitcnt vmcnt(38) lgkmcnt(0)
	v_mul_f32_e32 v51, v46, v104
	buffer_load_dword v239, off, s[0:3], 0 offset:376
	buffer_load_dword v240, off, s[0:3], 0 offset:380
	v_fmac_f32_e32 v51, v47, v103
	v_add_f32_e32 v54, v50, v51
	s_waitcnt vmcnt(38)
	v_mul_f32_e32 v55, v48, v106
	ds_read2_b64 v[50:53], v114 offset0:93 offset1:94
	buffer_load_dword v241, off, s[0:3], 0 offset:384
	buffer_load_dword v242, off, s[0:3], 0 offset:388
	v_fmac_f32_e32 v55, v49, v105
	v_add_f32_e32 v107, v54, v55
	ds_read2_b64 v[54:57], v114 offset0:95 offset1:96
	buffer_load_dword v243, off, s[0:3], 0 offset:392
	buffer_load_dword v244, off, s[0:3], 0 offset:396
	;; [unrolled: 1-line block ×12, first 2 shown]
	ds_read2_b64 v[120:123], v114 offset0:101 offset1:102
	ds_read2_b64 v[124:127], v114 offset0:103 offset1:104
	ds_read2_b64 v[128:131], v114 offset0:105 offset1:106
	ds_read2_b64 v[132:135], v114 offset0:107 offset1:108
	ds_read2_b64 v[136:139], v114 offset0:109 offset1:110
	ds_read2_b64 v[140:143], v114 offset0:111 offset1:112
	ds_read2_b64 v[116:119], v114 offset0:99 offset1:100
	ds_read2_b64 v[144:147], v114 offset0:113 offset1:114
	ds_read2_b64 v[148:151], v114 offset0:115 offset1:116
	v_mul_f32_e32 v23, v23, v64
	v_fma_f32 v22, v22, v82, -v23
	v_mul_f32_e32 v23, v25, v63
	v_add_f32_e32 v22, 0, v22
	s_waitcnt vmcnt(50) lgkmcnt(10)
	v_mul_f32_e32 v108, v50, v160
	v_fmac_f32_e32 v108, v51, v115
	v_add_f32_e32 v107, v107, v108
	s_waitcnt vmcnt(48)
	v_mul_f32_e32 v108, v52, v178
	v_fmac_f32_e32 v108, v53, v162
	v_add_f32_e32 v107, v107, v108
	v_fma_f32 v23, v24, v79, -v23
	s_waitcnt vmcnt(46) lgkmcnt(9)
	v_mul_f32_e32 v108, v54, v180
	v_fmac_f32_e32 v108, v55, v179
	v_add_f32_e32 v107, v107, v108
	ds_read2_b64 v[108:111], v114 offset0:97 offset1:98
	v_mul_f32_e32 v19, v19, v65
	v_add_f32_e32 v22, v22, v23
	v_fma_f32 v18, v18, v76, -v19
	v_mul_f32_e32 v19, v21, v62
	v_add_f32_e32 v18, v22, v18
	v_fma_f32 v19, v20, v81, -v19
	s_waitcnt vmcnt(44)
	v_mul_f32_e32 v112, v56, v182
	v_fmac_f32_e32 v112, v57, v181
	v_add_f32_e32 v107, v107, v112
	s_waitcnt vmcnt(42) lgkmcnt(0)
	v_mul_f32_e32 v112, v108, v184
	v_fmac_f32_e32 v112, v109, v183
	v_add_f32_e32 v107, v107, v112
	s_waitcnt vmcnt(40)
	v_mul_f32_e32 v112, v110, v186
	v_fmac_f32_e32 v112, v111, v185
	v_add_f32_e32 v107, v107, v112
	s_waitcnt vmcnt(38)
	;; [unrolled: 4-line block ×17, first 2 shown]
	v_mul_f32_e32 v112, v146, v246
	v_mul_f32_e32 v15, v15, v61
	v_fmac_f32_e32 v112, v147, v245
	v_add_f32_e32 v18, v18, v19
	v_fma_f32 v14, v14, v78, -v15
	v_mul_f32_e32 v1, v17, v1
	v_add_f32_e32 v107, v107, v112
	s_waitcnt vmcnt(6)
	v_mul_f32_e32 v112, v148, v248
	v_add_f32_e32 v14, v18, v14
	v_fma_f32 v1, v16, v75, -v1
	v_mul_f32_e32 v11, v11, v60
	v_fmac_f32_e32 v112, v149, v247
	v_add_f32_e32 v1, v14, v1
	v_fma_f32 v10, v10, v73, -v11
	v_add_f32_e32 v107, v107, v112
	buffer_load_dword v113, off, s[0:3], 0 offset:444
	buffer_load_dword v112, off, s[0:3], 0 offset:440
	v_add_f32_e32 v1, v1, v10
	v_mul_f32_e32 v10, v13, v66
	v_fma_f32 v10, v12, v77, -v10
	v_mul_f32_e32 v7, v7, v67
	v_add_f32_e32 v1, v1, v10
	v_fma_f32 v6, v6, v74, -v7
	v_add_f32_e32 v1, v1, v6
	v_mul_f32_e32 v6, v9, v68
	v_fma_f32 v6, v8, v72, -v6
	v_mul_f32_e32 v3, v3, v69
	v_add_f32_e32 v1, v1, v6
	v_fma_f32 v2, v2, v71, -v3
	v_add_f32_e32 v1, v1, v2
	v_mul_f32_e32 v2, v5, v70
	s_waitcnt vmcnt(6)
	v_mul_f32_e32 v156, v150, v250
	v_fma_f32 v2, v4, v88, -v2
	v_fmac_f32_e32 v156, v151, v249
	v_add_f32_e32 v1, v1, v2
	v_mul_f32_e32 v2, v27, v87
	ds_read2_b64 v[152:155], v114 offset0:117 offset1:118
	v_add_f32_e32 v107, v107, v156
	ds_read2_b64 v[156:159], v114 offset0:119 offset1:120
	buffer_load_dword v165, off, s[0:3], 0 offset:476
	buffer_load_dword v164, off, s[0:3], 0 offset:472
	;; [unrolled: 1-line block ×14, first 2 shown]
	v_fma_f32 v2, v26, v85, -v2
	v_add_f32_e32 v1, v1, v2
	v_mul_f32_e32 v2, v29, v86
	v_fma_f32 v2, v28, v83, -v2
	v_add_f32_e32 v1, v1, v2
	v_mul_f32_e32 v2, v31, v84
	;; [unrolled: 3-line block ×35, first 2 shown]
	v_fma_f32 v2, v150, v249, -v2
	s_waitcnt vmcnt(15)
	v_mov_b32_e32 v16, v113
	s_waitcnt lgkmcnt(1)
	v_mul_f32_e32 v161, v152, v252
	v_add_f32_e32 v106, v1, v2
	v_mul_f32_e32 v1, v153, v252
	s_waitcnt lgkmcnt(0)
	v_pk_mul_f32 v[16:17], v[156:157], v[16:17] op_sel_hi:[1,0]
	v_fmac_f32_e32 v161, v153, v251
	v_mul_f32_e32 v163, v154, v254
	v_fma_f32 v160, v152, v251, -v1
	v_mul_f32_e32 v1, v155, v254
	s_waitcnt vmcnt(14)
	v_pk_fma_f32 v[18:19], v[156:157], v[112:113], v[16:17] op_sel:[0,0,1] op_sel_hi:[1,1,0] neg_lo:[0,0,1] neg_hi:[0,0,1]
	v_pk_fma_f32 v[16:17], v[156:157], v[112:113], v[16:17] op_sel:[0,0,1] op_sel_hi:[1,0,0]
	v_fmac_f32_e32 v163, v155, v253
	v_fma_f32 v162, v154, v253, -v1
	v_pk_add_f32 v[14:15], v[106:107], v[160:161]
	s_waitcnt vmcnt(7)
	v_mov_b32_e32 v16, v171
	ds_read2_b64 v[2:5], v114 offset0:121 offset1:122
	ds_read2_b64 v[6:9], v114 offset0:123 offset1:124
	;; [unrolled: 1-line block ×3, first 2 shown]
	v_pk_add_f32 v[14:15], v[14:15], v[162:163]
	v_mov_b32_e32 v19, v17
	v_pk_mul_f32 v[16:17], v[158:159], v[16:17] op_sel_hi:[1,0]
	v_pk_add_f32 v[14:15], v[14:15], v[18:19]
	s_waitcnt vmcnt(6)
	v_pk_fma_f32 v[18:19], v[158:159], v[170:171], v[16:17] op_sel:[0,0,1] op_sel_hi:[1,1,0] neg_lo:[0,0,1] neg_hi:[0,0,1]
	v_pk_fma_f32 v[16:17], v[158:159], v[170:171], v[16:17] op_sel:[0,0,1] op_sel_hi:[1,0,0]
	v_mov_b32_e32 v16, v169
	v_mov_b32_e32 v19, v17
	s_waitcnt lgkmcnt(2)
	v_pk_mul_f32 v[16:17], v[2:3], v[16:17] op_sel_hi:[1,0]
	v_pk_add_f32 v[14:15], v[14:15], v[18:19]
	v_pk_fma_f32 v[18:19], v[2:3], v[168:169], v[16:17] op_sel:[0,0,1] op_sel_hi:[1,1,0] neg_lo:[0,0,1] neg_hi:[0,0,1]
	v_pk_fma_f32 v[2:3], v[2:3], v[168:169], v[16:17] op_sel:[0,0,1] op_sel_hi:[1,0,0]
	v_mov_b32_e32 v19, v3
	v_pk_add_f32 v[2:3], v[14:15], v[18:19]
	v_mov_b32_e32 v14, v167
	v_pk_mul_f32 v[14:15], v[4:5], v[14:15] op_sel_hi:[1,0]
	v_pk_fma_f32 v[16:17], v[4:5], v[166:167], v[14:15] op_sel:[0,0,1] op_sel_hi:[1,1,0] neg_lo:[0,0,1] neg_hi:[0,0,1]
	v_pk_fma_f32 v[4:5], v[4:5], v[166:167], v[14:15] op_sel:[0,0,1] op_sel_hi:[1,0,0]
	v_mov_b32_e32 v4, v165
	v_mov_b32_e32 v17, v5
	s_waitcnt lgkmcnt(1)
	v_pk_mul_f32 v[4:5], v[6:7], v[4:5] op_sel_hi:[1,0]
	v_pk_fma_f32 v[14:15], v[6:7], v[164:165], v[4:5] op_sel:[0,0,1] op_sel_hi:[1,1,0] neg_lo:[0,0,1] neg_hi:[0,0,1]
	v_pk_fma_f32 v[4:5], v[6:7], v[164:165], v[4:5] op_sel:[0,0,1] op_sel_hi:[1,0,0]
	s_waitcnt vmcnt(1)
	v_mov_b32_e32 v4, v177
	v_mov_b32_e32 v15, v5
	v_pk_mul_f32 v[4:5], v[8:9], v[4:5] op_sel_hi:[1,0]
	s_waitcnt vmcnt(0)
	v_pk_fma_f32 v[6:7], v[8:9], v[176:177], v[4:5] op_sel:[0,0,1] op_sel_hi:[1,1,0] neg_lo:[0,0,1] neg_hi:[0,0,1]
	v_pk_fma_f32 v[4:5], v[8:9], v[176:177], v[4:5] op_sel:[0,0,1] op_sel_hi:[1,0,0]
	v_pk_add_f32 v[2:3], v[2:3], v[16:17]
	v_mov_b32_e32 v4, v175
	v_pk_add_f32 v[2:3], v[2:3], v[14:15]
	v_mov_b32_e32 v7, v5
	s_waitcnt lgkmcnt(0)
	v_pk_mul_f32 v[4:5], v[10:11], v[4:5] op_sel_hi:[1,0]
	v_pk_add_f32 v[2:3], v[2:3], v[6:7]
	v_pk_fma_f32 v[6:7], v[10:11], v[174:175], v[4:5] op_sel:[0,0,1] op_sel_hi:[1,1,0] neg_lo:[0,0,1] neg_hi:[0,0,1]
	v_pk_fma_f32 v[4:5], v[10:11], v[174:175], v[4:5] op_sel:[0,0,1] op_sel_hi:[1,0,0]
	v_mov_b32_e32 v4, v173
	v_mov_b32_e32 v7, v5
	v_pk_mul_f32 v[4:5], v[12:13], v[4:5] op_sel_hi:[1,0]
	v_pk_add_f32 v[2:3], v[2:3], v[6:7]
	v_pk_fma_f32 v[6:7], v[12:13], v[172:173], v[4:5] op_sel:[0,0,1] op_sel_hi:[1,1,0] neg_lo:[0,0,1] neg_hi:[0,0,1]
	v_pk_fma_f32 v[4:5], v[12:13], v[172:173], v[4:5] op_sel:[0,0,1] op_sel_hi:[1,0,0]
	v_mov_b32_e32 v7, v5
	v_pk_add_f32 v[2:3], v[2:3], v[6:7]
	v_pk_add_f32 v[2:3], v[58:59], v[2:3] neg_lo:[0,1] neg_hi:[0,1]
	buffer_store_dword v3, off, s[0:3], 0 offset:36
	buffer_store_dword v2, off, s[0:3], 0 offset:32
	s_and_saveexec_b64 s[4:5], vcc
	s_cbranch_execz .LBB126_385
; %bb.384:
	buffer_load_dword v2, off, s[0:3], 0 offset:24
	buffer_load_dword v3, off, s[0:3], 0 offset:28
	v_mov_b32_e32 v1, 0
	buffer_store_dword v1, off, s[0:3], 0 offset:24
	buffer_store_dword v1, off, s[0:3], 0 offset:28
	s_waitcnt vmcnt(2)
	ds_write_b64 v217, v[2:3]
.LBB126_385:
	s_or_b64 exec, exec, s[4:5]
	s_waitcnt lgkmcnt(0)
	; wave barrier
	s_waitcnt lgkmcnt(0)
	buffer_load_dword v65, off, s[0:3], 0 offset:36
	buffer_load_dword v64, off, s[0:3], 0 offset:44
	buffer_load_dword v63, off, s[0:3], 0 offset:60
	buffer_load_dword v62, off, s[0:3], 0 offset:68
	buffer_load_dword v60, off, s[0:3], 0 offset:76
	buffer_load_dword v66, off, s[0:3], 0 offset:52
	buffer_load_dword v61, off, s[0:3], 0 offset:84
	buffer_load_dword v67, off, s[0:3], 0 offset:92
	buffer_load_dword v68, off, s[0:3], 0 offset:100
	buffer_load_dword v69, off, s[0:3], 0 offset:108
	buffer_load_dword v70, off, s[0:3], 0 offset:116
	buffer_load_dword v71, off, s[0:3], 0 offset:124
	buffer_load_dword v77, off, s[0:3], 0 offset:48
	buffer_load_dword v80, off, s[0:3], 0 offset:40
	buffer_load_dword v83, off, s[0:3], 0 offset:32
	buffer_load_dword v74, off, s[0:3], 0 offset:80
	buffer_load_dword v76, off, s[0:3], 0 offset:72
	buffer_load_dword v79, off, s[0:3], 0 offset:64
	buffer_load_dword v82, off, s[0:3], 0 offset:56
	buffer_load_dword v72, off, s[0:3], 0 offset:112
	buffer_load_dword v73, off, s[0:3], 0 offset:104
	buffer_load_dword v75, off, s[0:3], 0 offset:96
	buffer_load_dword v78, off, s[0:3], 0 offset:88
	buffer_load_dword v81, off, s[0:3], 0 offset:144
	buffer_load_dword v84, off, s[0:3], 0 offset:136
	buffer_load_dword v86, off, s[0:3], 0 offset:128
	buffer_load_dword v91, off, s[0:3], 0 offset:120
	buffer_load_dword v90, off, s[0:3], 0 offset:132
	buffer_load_dword v88, off, s[0:3], 0 offset:140
	buffer_load_dword v85, off, s[0:3], 0 offset:148
	buffer_load_dword v87, off, s[0:3], 0 offset:152
	buffer_load_dword v89, off, s[0:3], 0 offset:156
	buffer_load_dword v58, off, s[0:3], 0 offset:24
	buffer_load_dword v59, off, s[0:3], 0 offset:28
	buffer_load_dword v92, off, s[0:3], 0 offset:160
	buffer_load_dword v93, off, s[0:3], 0 offset:164
	buffer_load_dword v94, off, s[0:3], 0 offset:168
	buffer_load_dword v95, off, s[0:3], 0 offset:172
	buffer_load_dword v96, off, s[0:3], 0 offset:176
	buffer_load_dword v97, off, s[0:3], 0 offset:180
	buffer_load_dword v98, off, s[0:3], 0 offset:184
	buffer_load_dword v99, off, s[0:3], 0 offset:188
	buffer_load_dword v100, off, s[0:3], 0 offset:192
	buffer_load_dword v101, off, s[0:3], 0 offset:196
	buffer_load_dword v102, off, s[0:3], 0 offset:200
	buffer_load_dword v103, off, s[0:3], 0 offset:204
	buffer_load_dword v104, off, s[0:3], 0 offset:208
	buffer_load_dword v105, off, s[0:3], 0 offset:212
	v_mov_b32_e32 v1, 0
	ds_read_b128 v[22:25], v1 offset:544
	ds_read_b128 v[18:21], v1 offset:560
	;; [unrolled: 1-line block ×6, first 2 shown]
	buffer_load_dword v154, off, s[0:3], 0 offset:216
	buffer_load_dword v156, off, s[0:3], 0 offset:220
	v_cmp_lt_u32_e32 vcc, 2, v0
	s_waitcnt vmcnt(49) lgkmcnt(5)
	v_mul_f32_e32 v26, v22, v65
	s_waitcnt vmcnt(48)
	v_mul_f32_e32 v27, v24, v64
	s_waitcnt vmcnt(47) lgkmcnt(4)
	v_mul_f32_e32 v29, v20, v63
	s_waitcnt vmcnt(46) lgkmcnt(3)
	v_mul_f32_e32 v30, v14, v62
	s_waitcnt vmcnt(45)
	v_mul_f32_e32 v31, v16, v60
	s_waitcnt vmcnt(44)
	v_mul_f32_e32 v28, v18, v66
	s_waitcnt vmcnt(43) lgkmcnt(2)
	v_mul_f32_e32 v32, v10, v61
	s_waitcnt vmcnt(42)
	v_mul_f32_e32 v33, v12, v67
	s_waitcnt vmcnt(41) lgkmcnt(1)
	;; [unrolled: 4-line block ×3, first 2 shown]
	v_mul_f32_e32 v36, v2, v70
	s_waitcnt vmcnt(38)
	v_mul_f32_e32 v37, v4, v71
	s_waitcnt vmcnt(37)
	v_fmac_f32_e32 v28, v19, v77
	s_waitcnt vmcnt(36)
	v_fmac_f32_e32 v27, v25, v80
	;; [unrolled: 2-line block ×3, first 2 shown]
	v_add_f32_e32 v26, 0, v26
	v_add_f32_e32 v26, v26, v27
	;; [unrolled: 1-line block ×3, first 2 shown]
	s_waitcnt vmcnt(31)
	v_fmac_f32_e32 v29, v21, v82
	v_fmac_f32_e32 v30, v15, v79
	v_add_f32_e32 v26, v26, v29
	v_fmac_f32_e32 v31, v17, v76
	v_add_f32_e32 v26, v26, v30
	;; [unrolled: 2-line block ×3, first 2 shown]
	s_waitcnt vmcnt(27)
	v_fmac_f32_e32 v33, v13, v78
	v_add_f32_e32 v26, v26, v32
	v_fmac_f32_e32 v34, v7, v75
	v_add_f32_e32 v26, v26, v33
	;; [unrolled: 2-line block ×4, first 2 shown]
	v_add_f32_e32 v30, v26, v36
	ds_read_b128 v[26:29], v1 offset:640
	s_waitcnt vmcnt(23)
	v_fmac_f32_e32 v37, v5, v91
	v_add_f32_e32 v34, v30, v37
	buffer_load_dword v158, off, s[0:3], 0 offset:224
	buffer_load_dword v176, off, s[0:3], 0 offset:228
	ds_read_b128 v[30:33], v1 offset:656
	s_waitcnt vmcnt(24) lgkmcnt(1)
	v_mul_f32_e32 v35, v26, v90
	v_fmac_f32_e32 v35, v27, v86
	v_add_f32_e32 v34, v34, v35
	s_waitcnt vmcnt(23)
	v_mul_f32_e32 v35, v28, v88
	buffer_load_dword v177, off, s[0:3], 0 offset:232
	buffer_load_dword v178, off, s[0:3], 0 offset:236
	v_fmac_f32_e32 v35, v29, v84
	v_add_f32_e32 v34, v34, v35
	s_waitcnt vmcnt(24) lgkmcnt(0)
	v_mul_f32_e32 v35, v30, v85
	buffer_load_dword v179, off, s[0:3], 0 offset:240
	buffer_load_dword v180, off, s[0:3], 0 offset:244
	v_fmac_f32_e32 v35, v31, v81
	v_add_f32_e32 v34, v34, v35
	s_waitcnt vmcnt(24)
	v_mul_f32_e32 v35, v32, v89
	v_fmac_f32_e32 v35, v33, v87
	ds_read_b128 v[38:41], v1 offset:672
	v_add_f32_e32 v42, v34, v35
	ds_read_b128 v[34:37], v1 offset:688
	buffer_load_dword v181, off, s[0:3], 0 offset:248
	buffer_load_dword v182, off, s[0:3], 0 offset:252
	;; [unrolled: 1-line block ×6, first 2 shown]
	s_waitcnt vmcnt(26) lgkmcnt(1)
	v_mul_f32_e32 v43, v38, v93
	v_fmac_f32_e32 v43, v39, v92
	buffer_load_dword v187, off, s[0:3], 0 offset:272
	buffer_load_dword v188, off, s[0:3], 0 offset:276
	v_add_f32_e32 v42, v42, v43
	s_waitcnt vmcnt(26)
	v_mul_f32_e32 v43, v40, v95
	v_fmac_f32_e32 v43, v41, v94
	v_add_f32_e32 v42, v42, v43
	s_waitcnt vmcnt(24) lgkmcnt(0)
	v_mul_f32_e32 v43, v34, v97
	v_fmac_f32_e32 v43, v35, v96
	buffer_load_dword v189, off, s[0:3], 0 offset:280
	buffer_load_dword v190, off, s[0:3], 0 offset:284
	v_add_f32_e32 v42, v42, v43
	s_waitcnt vmcnt(24)
	v_mul_f32_e32 v43, v36, v99
	v_fmac_f32_e32 v43, v37, v98
	v_add_f32_e32 v50, v42, v43
	ds_read_b128 v[42:45], v1 offset:704
	buffer_load_dword v191, off, s[0:3], 0 offset:288
	buffer_load_dword v192, off, s[0:3], 0 offset:292
	ds_read_b128 v[46:49], v1 offset:720
	buffer_load_dword v193, off, s[0:3], 0 offset:296
	buffer_load_dword v194, off, s[0:3], 0 offset:300
	;; [unrolled: 1-line block ×12, first 2 shown]
	s_waitcnt vmcnt(36) lgkmcnt(1)
	v_mul_f32_e32 v51, v42, v101
	v_fmac_f32_e32 v51, v43, v100
	buffer_load_dword v205, off, s[0:3], 0 offset:344
	buffer_load_dword v206, off, s[0:3], 0 offset:348
	v_add_f32_e32 v50, v50, v51
	s_waitcnt vmcnt(36)
	v_mul_f32_e32 v51, v44, v103
	v_fmac_f32_e32 v51, v45, v102
	v_add_f32_e32 v50, v50, v51
	s_waitcnt vmcnt(34) lgkmcnt(0)
	v_mul_f32_e32 v51, v46, v105
	buffer_load_dword v207, off, s[0:3], 0 offset:352
	buffer_load_dword v236, off, s[0:3], 0 offset:356
	v_fmac_f32_e32 v51, v47, v104
	v_add_f32_e32 v54, v50, v51
	ds_read_b128 v[50:53], v1 offset:736
	buffer_load_dword v237, off, s[0:3], 0 offset:360
	buffer_load_dword v238, off, s[0:3], 0 offset:364
	;; [unrolled: 1-line block ×4, first 2 shown]
	s_waitcnt vmcnt(38)
	v_mul_f32_e32 v55, v48, v156
	v_fmac_f32_e32 v55, v49, v154
	v_add_f32_e32 v106, v54, v55
	ds_read_b128 v[54:57], v1 offset:752
	buffer_load_dword v241, off, s[0:3], 0 offset:376
	buffer_load_dword v242, off, s[0:3], 0 offset:380
	buffer_load_dword v243, off, s[0:3], 0 offset:384
	buffer_load_dword v244, off, s[0:3], 0 offset:388
	buffer_load_dword v245, off, s[0:3], 0 offset:392
	buffer_load_dword v246, off, s[0:3], 0 offset:396
	buffer_load_dword v247, off, s[0:3], 0 offset:400
	buffer_load_dword v248, off, s[0:3], 0 offset:404
	buffer_load_dword v249, off, s[0:3], 0 offset:408
	buffer_load_dword v250, off, s[0:3], 0 offset:412
	buffer_load_dword v251, off, s[0:3], 0 offset:416
	buffer_load_dword v252, off, s[0:3], 0 offset:420
	buffer_load_dword v253, off, s[0:3], 0 offset:424
	buffer_load_dword v254, off, s[0:3], 0 offset:428
	buffer_load_dword v255, off, s[0:3], 0 offset:432
	buffer_load_dword v208, off, s[0:3], 0 offset:436
	v_mul_f32_e32 v23, v23, v65
	v_fma_f32 v22, v22, v83, -v23
	v_mul_f32_e32 v23, v25, v64
	v_add_f32_e32 v22, 0, v22
	v_fma_f32 v23, v24, v80, -v23
	v_mul_f32_e32 v19, v19, v66
	v_add_f32_e32 v22, v22, v23
	;; [unrolled: 3-line block ×3, first 2 shown]
	v_fma_f32 v19, v20, v82, -v19
	v_mul_f32_e32 v15, v15, v62
	s_waitcnt vmcnt(52) lgkmcnt(1)
	v_mul_f32_e32 v107, v50, v176
	v_fmac_f32_e32 v107, v51, v158
	v_add_f32_e32 v106, v106, v107
	v_add_f32_e32 v18, v18, v19
	v_fma_f32 v14, v14, v79, -v15
	v_mul_f32_e32 v15, v17, v60
	s_waitcnt vmcnt(50)
	v_mul_f32_e32 v107, v52, v178
	v_fmac_f32_e32 v107, v53, v177
	v_add_f32_e32 v106, v106, v107
	v_add_f32_e32 v14, v18, v14
	s_waitcnt vmcnt(48) lgkmcnt(0)
	v_mul_f32_e32 v107, v54, v180
	v_fmac_f32_e32 v107, v55, v179
	v_add_f32_e32 v110, v106, v107
	ds_read_b128 v[106:109], v1 offset:768
	v_fma_f32 v15, v16, v76, -v15
	v_mul_f32_e32 v11, v11, v61
	v_add_f32_e32 v14, v14, v15
	v_fma_f32 v10, v10, v74, -v11
	s_waitcnt vmcnt(46)
	v_mul_f32_e32 v111, v56, v182
	v_fmac_f32_e32 v111, v57, v181
	v_add_f32_e32 v114, v110, v111
	ds_read_b128 v[110:113], v1 offset:784
	s_waitcnt vmcnt(44) lgkmcnt(1)
	v_mul_f32_e32 v115, v106, v184
	v_fmac_f32_e32 v115, v107, v183
	v_add_f32_e32 v114, v114, v115
	s_waitcnt vmcnt(42)
	v_mul_f32_e32 v115, v108, v186
	v_fmac_f32_e32 v115, v109, v185
	v_add_f32_e32 v114, v114, v115
	s_waitcnt vmcnt(40) lgkmcnt(0)
	v_mul_f32_e32 v115, v110, v188
	v_fmac_f32_e32 v115, v111, v187
	v_add_f32_e32 v118, v114, v115
	ds_read_b128 v[114:117], v1 offset:800
	s_waitcnt vmcnt(38)
	v_mul_f32_e32 v119, v112, v190
	v_fmac_f32_e32 v119, v113, v189
	v_add_f32_e32 v122, v118, v119
	ds_read_b128 v[118:121], v1 offset:816
	s_waitcnt vmcnt(36) lgkmcnt(1)
	v_mul_f32_e32 v123, v114, v192
	v_fmac_f32_e32 v123, v115, v191
	v_add_f32_e32 v122, v122, v123
	s_waitcnt vmcnt(34)
	v_mul_f32_e32 v123, v116, v194
	v_fmac_f32_e32 v123, v117, v193
	v_add_f32_e32 v122, v122, v123
	s_waitcnt vmcnt(32) lgkmcnt(0)
	v_mul_f32_e32 v123, v118, v196
	v_fmac_f32_e32 v123, v119, v195
	v_add_f32_e32 v126, v122, v123
	ds_read_b128 v[122:125], v1 offset:832
	;; [unrolled: 18-line block ×4, first 2 shown]
	s_waitcnt vmcnt(14)
	v_mul_f32_e32 v143, v136, v242
	v_fmac_f32_e32 v143, v137, v241
	v_mul_f32_e32 v11, v13, v67
	v_add_f32_e32 v146, v142, v143
	ds_read_b128 v[142:145], v1 offset:912
	v_add_f32_e32 v10, v14, v10
	v_fma_f32 v11, v12, v78, -v11
	v_mul_f32_e32 v7, v7, v68
	s_waitcnt vmcnt(12) lgkmcnt(1)
	v_mul_f32_e32 v147, v138, v244
	v_add_f32_e32 v10, v10, v11
	v_fma_f32 v6, v6, v75, -v7
	v_mul_f32_e32 v7, v9, v69
	v_fmac_f32_e32 v147, v139, v243
	v_add_f32_e32 v6, v10, v6
	v_fma_f32 v7, v8, v73, -v7
	v_mul_f32_e32 v3, v3, v70
	v_add_f32_e32 v146, v146, v147
	s_waitcnt vmcnt(10)
	v_mul_f32_e32 v147, v140, v246
	v_add_f32_e32 v6, v6, v7
	v_fma_f32 v2, v2, v72, -v3
	v_mul_f32_e32 v3, v5, v71
	v_fmac_f32_e32 v147, v141, v245
	v_add_f32_e32 v2, v6, v2
	v_fma_f32 v3, v4, v91, -v3
	v_add_f32_e32 v146, v146, v147
	s_waitcnt vmcnt(8) lgkmcnt(0)
	v_mul_f32_e32 v147, v142, v248
	v_add_f32_e32 v2, v2, v3
	v_mul_f32_e32 v3, v27, v90
	v_fmac_f32_e32 v147, v143, v247
	s_waitcnt vmcnt(6)
	v_mul_f32_e32 v151, v144, v250
	v_fma_f32 v3, v26, v86, -v3
	v_add_f32_e32 v150, v146, v147
	v_fmac_f32_e32 v151, v145, v249
	v_add_f32_e32 v2, v2, v3
	v_mul_f32_e32 v3, v29, v88
	ds_read_b128 v[146:149], v1 offset:928
	v_add_f32_e32 v155, v150, v151
	ds_read_b128 v[150:153], v1 offset:944
	buffer_load_dword v161, off, s[0:3], 0 offset:468
	buffer_load_dword v160, off, s[0:3], 0 offset:464
	;; [unrolled: 1-line block ×16, first 2 shown]
	v_fma_f32 v3, v28, v84, -v3
	v_add_f32_e32 v2, v2, v3
	v_mul_f32_e32 v3, v31, v85
	v_fma_f32 v3, v30, v81, -v3
	v_add_f32_e32 v2, v2, v3
	v_mul_f32_e32 v3, v33, v89
	;; [unrolled: 3-line block ×34, first 2 shown]
	v_fma_f32 v3, v144, v249, -v3
	v_add_f32_e32 v2, v2, v3
	s_waitcnt vmcnt(20) lgkmcnt(1)
	v_mul_f32_e32 v3, v147, v252
	v_mul_f32_e32 v157, v146, v252
	v_fma_f32 v3, v146, v251, -v3
	v_fmac_f32_e32 v157, v147, v251
	v_add_f32_e32 v154, v2, v3
	s_waitcnt vmcnt(18)
	v_mul_f32_e32 v2, v149, v254
	s_waitcnt vmcnt(9)
	v_mov_b32_e32 v18, v167
	v_add_f32_e32 v155, v155, v157
	v_mul_f32_e32 v157, v148, v254
	v_fma_f32 v156, v148, v253, -v2
	s_waitcnt lgkmcnt(0)
	v_mul_f32_e32 v2, v151, v208
	v_pk_mul_f32 v[18:19], v[152:153], v[18:19] op_sel_hi:[1,0]
	v_fmac_f32_e32 v157, v149, v253
	v_mul_f32_e32 v159, v150, v208
	v_fma_f32 v158, v150, v255, -v2
	ds_read_b128 v[2:5], v1 offset:960
	ds_read_b128 v[6:9], v1 offset:976
	;; [unrolled: 1-line block ×3, first 2 shown]
	ds_read_b64 v[14:15], v1 offset:1008
	s_waitcnt vmcnt(8)
	v_pk_fma_f32 v[20:21], v[152:153], v[166:167], v[18:19] op_sel:[0,0,1] op_sel_hi:[1,1,0] neg_lo:[0,0,1] neg_hi:[0,0,1]
	v_pk_fma_f32 v[18:19], v[152:153], v[166:167], v[18:19] op_sel:[0,0,1] op_sel_hi:[1,0,0]
	v_fmac_f32_e32 v159, v151, v255
	v_pk_add_f32 v[16:17], v[154:155], v[156:157]
	v_mov_b32_e32 v18, v165
	v_pk_add_f32 v[16:17], v[16:17], v[158:159]
	v_mov_b32_e32 v21, v19
	s_waitcnt lgkmcnt(3)
	v_pk_mul_f32 v[18:19], v[2:3], v[18:19] op_sel_hi:[1,0]
	v_pk_add_f32 v[16:17], v[16:17], v[20:21]
	v_pk_fma_f32 v[20:21], v[2:3], v[164:165], v[18:19] op_sel:[0,0,1] op_sel_hi:[1,1,0] neg_lo:[0,0,1] neg_hi:[0,0,1]
	v_pk_fma_f32 v[2:3], v[2:3], v[164:165], v[18:19] op_sel:[0,0,1] op_sel_hi:[1,0,0]
	v_mov_b32_e32 v21, v3
	v_pk_add_f32 v[2:3], v[16:17], v[20:21]
	v_mov_b32_e32 v16, v163
	v_pk_mul_f32 v[16:17], v[4:5], v[16:17] op_sel_hi:[1,0]
	v_pk_fma_f32 v[18:19], v[4:5], v[162:163], v[16:17] op_sel:[0,0,1] op_sel_hi:[1,1,0] neg_lo:[0,0,1] neg_hi:[0,0,1]
	v_pk_fma_f32 v[4:5], v[4:5], v[162:163], v[16:17] op_sel:[0,0,1] op_sel_hi:[1,0,0]
	v_mov_b32_e32 v4, v161
	v_mov_b32_e32 v19, v5
	s_waitcnt lgkmcnt(2)
	v_pk_mul_f32 v[4:5], v[6:7], v[4:5] op_sel_hi:[1,0]
	v_pk_fma_f32 v[16:17], v[6:7], v[160:161], v[4:5] op_sel:[0,0,1] op_sel_hi:[1,1,0] neg_lo:[0,0,1] neg_hi:[0,0,1]
	v_pk_fma_f32 v[4:5], v[6:7], v[160:161], v[4:5] op_sel:[0,0,1] op_sel_hi:[1,0,0]
	s_waitcnt vmcnt(1)
	v_mov_b32_e32 v4, v175
	v_mov_b32_e32 v17, v5
	v_pk_mul_f32 v[4:5], v[8:9], v[4:5] op_sel_hi:[1,0]
	s_waitcnt vmcnt(0)
	v_pk_fma_f32 v[6:7], v[8:9], v[174:175], v[4:5] op_sel:[0,0,1] op_sel_hi:[1,1,0] neg_lo:[0,0,1] neg_hi:[0,0,1]
	v_pk_fma_f32 v[4:5], v[8:9], v[174:175], v[4:5] op_sel:[0,0,1] op_sel_hi:[1,0,0]
	v_pk_add_f32 v[2:3], v[2:3], v[18:19]
	v_mov_b32_e32 v4, v173
	v_pk_add_f32 v[2:3], v[2:3], v[16:17]
	v_mov_b32_e32 v7, v5
	s_waitcnt lgkmcnt(1)
	v_pk_mul_f32 v[4:5], v[10:11], v[4:5] op_sel_hi:[1,0]
	v_pk_add_f32 v[2:3], v[2:3], v[6:7]
	v_pk_fma_f32 v[6:7], v[10:11], v[172:173], v[4:5] op_sel:[0,0,1] op_sel_hi:[1,1,0] neg_lo:[0,0,1] neg_hi:[0,0,1]
	v_pk_fma_f32 v[4:5], v[10:11], v[172:173], v[4:5] op_sel:[0,0,1] op_sel_hi:[1,0,0]
	v_mov_b32_e32 v4, v171
	v_mov_b32_e32 v7, v5
	v_pk_mul_f32 v[4:5], v[12:13], v[4:5] op_sel_hi:[1,0]
	v_pk_add_f32 v[2:3], v[2:3], v[6:7]
	v_pk_fma_f32 v[6:7], v[12:13], v[170:171], v[4:5] op_sel:[0,0,1] op_sel_hi:[1,1,0] neg_lo:[0,0,1] neg_hi:[0,0,1]
	v_pk_fma_f32 v[4:5], v[12:13], v[170:171], v[4:5] op_sel:[0,0,1] op_sel_hi:[1,0,0]
	v_mov_b32_e32 v4, v169
	v_mov_b32_e32 v7, v5
	s_waitcnt lgkmcnt(0)
	v_pk_mul_f32 v[4:5], v[14:15], v[4:5] op_sel_hi:[1,0]
	v_pk_add_f32 v[2:3], v[2:3], v[6:7]
	v_pk_fma_f32 v[6:7], v[14:15], v[168:169], v[4:5] op_sel:[0,0,1] op_sel_hi:[1,1,0] neg_lo:[0,0,1] neg_hi:[0,0,1]
	v_pk_fma_f32 v[4:5], v[14:15], v[168:169], v[4:5] op_sel:[0,0,1] op_sel_hi:[1,0,0]
	v_mov_b32_e32 v7, v5
	v_pk_add_f32 v[2:3], v[2:3], v[6:7]
	v_pk_add_f32 v[2:3], v[58:59], v[2:3] neg_lo:[0,1] neg_hi:[0,1]
	buffer_store_dword v3, off, s[0:3], 0 offset:28
	buffer_store_dword v2, off, s[0:3], 0 offset:24
	s_and_saveexec_b64 s[4:5], vcc
	s_cbranch_execz .LBB126_387
; %bb.386:
	buffer_load_dword v2, off, s[0:3], 0 offset:16
	buffer_load_dword v3, off, s[0:3], 0 offset:20
	s_waitcnt vmcnt(0)
	ds_write_b64 v217, v[2:3]
	buffer_store_dword v1, off, s[0:3], 0 offset:16
	buffer_store_dword v1, off, s[0:3], 0 offset:20
.LBB126_387:
	s_or_b64 exec, exec, s[4:5]
	s_waitcnt lgkmcnt(0)
	; wave barrier
	s_waitcnt lgkmcnt(0)
	buffer_load_dword v65, off, s[0:3], 0 offset:28
	buffer_load_dword v64, off, s[0:3], 0 offset:36
	;; [unrolled: 1-line block ×40, first 2 shown]
	ds_read2_b64 v[26:29], v1 offset0:67 offset1:68
	ds_read2_b64 v[22:25], v1 offset0:69 offset1:70
	;; [unrolled: 1-line block ×7, first 2 shown]
	buffer_load_dword v98, off, s[0:3], 0 offset:176
	buffer_load_dword v99, off, s[0:3], 0 offset:180
	;; [unrolled: 1-line block ×12, first 2 shown]
	v_cmp_lt_u32_e32 vcc, 1, v0
	s_waitcnt vmcnt(51) lgkmcnt(6)
	v_mul_f32_e32 v30, v26, v65
	s_waitcnt vmcnt(50)
	v_mul_f32_e32 v31, v28, v64
	s_waitcnt vmcnt(49) lgkmcnt(5)
	v_mul_f32_e32 v33, v24, v63
	s_waitcnt vmcnt(48) lgkmcnt(4)
	v_mul_f32_e32 v34, v18, v62
	s_waitcnt vmcnt(47)
	v_mul_f32_e32 v35, v20, v60
	s_waitcnt vmcnt(46)
	v_mul_f32_e32 v32, v22, v66
	s_waitcnt vmcnt(45) lgkmcnt(3)
	v_mul_f32_e32 v36, v14, v61
	s_waitcnt vmcnt(44)
	v_mul_f32_e32 v37, v16, v67
	s_waitcnt vmcnt(43) lgkmcnt(2)
	;; [unrolled: 4-line block ×3, first 2 shown]
	v_mul_f32_e32 v40, v6, v70
	s_waitcnt vmcnt(40)
	v_mul_f32_e32 v41, v8, v71
	s_waitcnt vmcnt(39)
	v_fmac_f32_e32 v32, v23, v77
	s_waitcnt vmcnt(38)
	v_fmac_f32_e32 v31, v29, v80
	;; [unrolled: 2-line block ×3, first 2 shown]
	v_add_f32_e32 v30, 0, v30
	v_add_f32_e32 v30, v30, v31
	;; [unrolled: 1-line block ×3, first 2 shown]
	s_waitcnt vmcnt(33)
	v_fmac_f32_e32 v33, v25, v82
	v_fmac_f32_e32 v34, v19, v79
	v_add_f32_e32 v30, v30, v33
	v_fmac_f32_e32 v35, v21, v76
	v_add_f32_e32 v30, v30, v34
	;; [unrolled: 2-line block ×3, first 2 shown]
	s_waitcnt vmcnt(29)
	v_fmac_f32_e32 v37, v17, v78
	v_add_f32_e32 v30, v30, v36
	v_fmac_f32_e32 v38, v11, v75
	v_add_f32_e32 v30, v30, v37
	v_fmac_f32_e32 v39, v13, v73
	v_add_f32_e32 v30, v30, v38
	v_fmac_f32_e32 v40, v7, v72
	v_add_f32_e32 v30, v30, v39
	v_add_f32_e32 v30, v30, v40
	s_waitcnt vmcnt(25)
	v_fmac_f32_e32 v41, v9, v89
	v_add_f32_e32 v34, v30, v41
	ds_read2_b64 v[30:33], v1 offset0:81 offset1:82
	s_waitcnt vmcnt(24) lgkmcnt(1)
	v_mul_f32_e32 v35, v2, v88
	buffer_load_dword v177, off, s[0:3], 0 offset:224
	buffer_load_dword v178, off, s[0:3], 0 offset:228
	v_fmac_f32_e32 v35, v3, v86
	v_add_f32_e32 v34, v34, v35
	s_waitcnt vmcnt(25)
	v_mul_f32_e32 v35, v4, v87
	buffer_load_dword v179, off, s[0:3], 0 offset:232
	buffer_load_dword v180, off, s[0:3], 0 offset:236
	v_fmac_f32_e32 v35, v5, v84
	v_add_f32_e32 v34, v34, v35
	s_waitcnt vmcnt(26) lgkmcnt(0)
	v_mul_f32_e32 v35, v30, v85
	v_fmac_f32_e32 v35, v31, v81
	v_add_f32_e32 v38, v34, v35
	ds_read2_b64 v[34:37], v1 offset0:83 offset1:84
	buffer_load_dword v181, off, s[0:3], 0 offset:240
	buffer_load_dword v182, off, s[0:3], 0 offset:244
	s_waitcnt vmcnt(21)
	v_mul_f32_e32 v39, v32, v97
	s_waitcnt vmcnt(20)
	v_fmac_f32_e32 v39, v33, v96
	v_add_f32_e32 v42, v38, v39
	ds_read2_b64 v[38:41], v1 offset0:85 offset1:86
	buffer_load_dword v183, off, s[0:3], 0 offset:248
	buffer_load_dword v184, off, s[0:3], 0 offset:252
	s_waitcnt lgkmcnt(1)
	v_mul_f32_e32 v43, v34, v91
	buffer_load_dword v185, off, s[0:3], 0 offset:256
	buffer_load_dword v186, off, s[0:3], 0 offset:260
	v_fmac_f32_e32 v43, v35, v90
	v_add_f32_e32 v42, v42, v43
	v_mul_f32_e32 v43, v36, v93
	buffer_load_dword v187, off, s[0:3], 0 offset:264
	buffer_load_dword v188, off, s[0:3], 0 offset:268
	v_fmac_f32_e32 v43, v37, v92
	v_add_f32_e32 v42, v42, v43
	s_waitcnt lgkmcnt(0)
	v_mul_f32_e32 v43, v38, v95
	v_fmac_f32_e32 v43, v39, v94
	v_add_f32_e32 v46, v42, v43
	ds_read2_b64 v[42:45], v1 offset0:87 offset1:88
	buffer_load_dword v189, off, s[0:3], 0 offset:272
	buffer_load_dword v190, off, s[0:3], 0 offset:276
	s_waitcnt vmcnt(24)
	v_mul_f32_e32 v47, v40, v99
	v_fmac_f32_e32 v47, v41, v98
	v_add_f32_e32 v50, v46, v47
	ds_read2_b64 v[46:49], v1 offset0:89 offset1:90
	buffer_load_dword v191, off, s[0:3], 0 offset:280
	buffer_load_dword v192, off, s[0:3], 0 offset:284
	;; [unrolled: 1-line block ×12, first 2 shown]
	s_waitcnt vmcnt(34) lgkmcnt(1)
	v_mul_f32_e32 v51, v42, v101
	v_fmac_f32_e32 v51, v43, v100
	buffer_load_dword v203, off, s[0:3], 0 offset:328
	buffer_load_dword v204, off, s[0:3], 0 offset:332
	v_add_f32_e32 v50, v50, v51
	s_waitcnt vmcnt(34)
	v_mul_f32_e32 v51, v44, v103
	v_fmac_f32_e32 v51, v45, v102
	v_add_f32_e32 v50, v50, v51
	s_waitcnt vmcnt(32) lgkmcnt(0)
	v_mul_f32_e32 v51, v46, v105
	v_fmac_f32_e32 v51, v47, v104
	buffer_load_dword v205, off, s[0:3], 0 offset:336
	buffer_load_dword v206, off, s[0:3], 0 offset:340
	v_add_f32_e32 v50, v50, v51
	s_waitcnt vmcnt(32)
	v_mul_f32_e32 v51, v48, v156
	v_fmac_f32_e32 v51, v49, v154
	v_add_f32_e32 v106, v50, v51
	ds_read2_b64 v[50:53], v1 offset0:91 offset1:92
	buffer_load_dword v207, off, s[0:3], 0 offset:344
	buffer_load_dword v208, off, s[0:3], 0 offset:348
	ds_read2_b64 v[54:57], v1 offset0:93 offset1:94
	buffer_load_dword v209, off, s[0:3], 0 offset:352
	buffer_load_dword v236, off, s[0:3], 0 offset:356
	;; [unrolled: 1-line block ×14, first 2 shown]
	s_waitcnt vmcnt(46) lgkmcnt(1)
	v_mul_f32_e32 v107, v50, v176
	v_fmac_f32_e32 v107, v51, v164
	v_add_f32_e32 v106, v106, v107
	buffer_load_dword v249, off, s[0:3], 0 offset:408
	buffer_load_dword v250, off, s[0:3], 0 offset:412
	v_mul_f32_e32 v27, v27, v65
	v_fma_f32 v26, v26, v83, -v27
	v_mul_f32_e32 v27, v29, v64
	v_add_f32_e32 v26, 0, v26
	v_fma_f32 v27, v28, v80, -v27
	v_mul_f32_e32 v23, v23, v66
	v_add_f32_e32 v26, v26, v27
	;; [unrolled: 3-line block ×3, first 2 shown]
	v_fma_f32 v23, v24, v82, -v23
	v_mul_f32_e32 v19, v19, v62
	s_waitcnt vmcnt(46)
	v_mul_f32_e32 v107, v52, v178
	v_fmac_f32_e32 v107, v53, v177
	v_add_f32_e32 v106, v106, v107
	v_add_f32_e32 v22, v22, v23
	s_waitcnt vmcnt(44) lgkmcnt(0)
	v_mul_f32_e32 v107, v54, v180
	v_fmac_f32_e32 v107, v55, v179
	v_add_f32_e32 v110, v106, v107
	ds_read2_b64 v[106:109], v1 offset0:95 offset1:96
	buffer_load_dword v251, off, s[0:3], 0 offset:416
	buffer_load_dword v252, off, s[0:3], 0 offset:420
	;; [unrolled: 1-line block ×4, first 2 shown]
	v_fma_f32 v18, v18, v79, -v19
	s_waitcnt vmcnt(46)
	v_mul_f32_e32 v111, v56, v182
	v_fmac_f32_e32 v111, v57, v181
	v_add_f32_e32 v114, v110, v111
	ds_read2_b64 v[110:113], v1 offset0:97 offset1:98
	buffer_load_dword v255, off, s[0:3], 0 offset:432
	buffer_load_dword v210, off, s[0:3], 0 offset:436
	s_waitcnt vmcnt(46) lgkmcnt(1)
	v_mul_f32_e32 v115, v106, v184
	v_fmac_f32_e32 v115, v107, v183
	v_add_f32_e32 v114, v114, v115
	s_waitcnt vmcnt(44)
	v_mul_f32_e32 v115, v108, v186
	v_fmac_f32_e32 v115, v109, v185
	v_add_f32_e32 v114, v114, v115
	s_waitcnt vmcnt(42) lgkmcnt(0)
	v_mul_f32_e32 v115, v110, v188
	v_fmac_f32_e32 v115, v111, v187
	v_add_f32_e32 v118, v114, v115
	ds_read2_b64 v[114:117], v1 offset0:99 offset1:100
	v_mul_f32_e32 v19, v21, v60
	v_add_f32_e32 v18, v22, v18
	v_fma_f32 v19, v20, v76, -v19
	s_waitcnt vmcnt(40)
	v_mul_f32_e32 v119, v112, v190
	v_fmac_f32_e32 v119, v113, v189
	v_add_f32_e32 v122, v118, v119
	ds_read2_b64 v[118:121], v1 offset0:101 offset1:102
	v_mul_f32_e32 v15, v15, v61
	s_waitcnt vmcnt(38) lgkmcnt(1)
	v_mul_f32_e32 v123, v114, v192
	v_fmac_f32_e32 v123, v115, v191
	v_add_f32_e32 v122, v122, v123
	s_waitcnt vmcnt(36)
	v_mul_f32_e32 v123, v116, v194
	v_fmac_f32_e32 v123, v117, v193
	v_add_f32_e32 v122, v122, v123
	s_waitcnt vmcnt(34) lgkmcnt(0)
	v_mul_f32_e32 v123, v118, v196
	v_fmac_f32_e32 v123, v119, v195
	v_add_f32_e32 v126, v122, v123
	ds_read2_b64 v[122:125], v1 offset0:103 offset1:104
	s_waitcnt vmcnt(32)
	v_mul_f32_e32 v127, v120, v198
	v_fmac_f32_e32 v127, v121, v197
	v_add_f32_e32 v130, v126, v127
	ds_read2_b64 v[126:129], v1 offset0:105 offset1:106
	s_waitcnt vmcnt(30) lgkmcnt(1)
	v_mul_f32_e32 v131, v122, v200
	v_fmac_f32_e32 v131, v123, v199
	v_add_f32_e32 v130, v130, v131
	s_waitcnt vmcnt(28)
	v_mul_f32_e32 v131, v124, v202
	v_fmac_f32_e32 v131, v125, v201
	v_add_f32_e32 v130, v130, v131
	s_waitcnt vmcnt(26) lgkmcnt(0)
	v_mul_f32_e32 v131, v126, v204
	v_fmac_f32_e32 v131, v127, v203
	v_add_f32_e32 v134, v130, v131
	ds_read2_b64 v[130:133], v1 offset0:107 offset1:108
	s_waitcnt vmcnt(24)
	v_mul_f32_e32 v135, v128, v206
	v_fmac_f32_e32 v135, v129, v205
	v_add_f32_e32 v138, v134, v135
	ds_read2_b64 v[134:137], v1 offset0:109 offset1:110
	;; [unrolled: 18-line block ×3, first 2 shown]
	s_waitcnt vmcnt(14) lgkmcnt(1)
	v_mul_f32_e32 v147, v138, v242
	v_fmac_f32_e32 v147, v139, v241
	v_add_f32_e32 v146, v146, v147
	s_waitcnt vmcnt(12)
	v_mul_f32_e32 v147, v140, v244
	v_fmac_f32_e32 v147, v141, v243
	v_add_f32_e32 v18, v18, v19
	v_fma_f32 v14, v14, v74, -v15
	v_mul_f32_e32 v15, v17, v67
	v_add_f32_e32 v146, v146, v147
	s_waitcnt vmcnt(10) lgkmcnt(0)
	v_mul_f32_e32 v147, v142, v246
	v_add_f32_e32 v14, v18, v14
	v_fma_f32 v15, v16, v78, -v15
	v_mul_f32_e32 v11, v11, v68
	v_fmac_f32_e32 v147, v143, v245
	s_waitcnt vmcnt(8)
	v_mul_f32_e32 v151, v144, v248
	v_add_f32_e32 v14, v14, v15
	v_fma_f32 v10, v10, v75, -v11
	v_mul_f32_e32 v11, v13, v69
	v_add_f32_e32 v150, v146, v147
	v_fmac_f32_e32 v151, v145, v247
	v_add_f32_e32 v10, v14, v10
	v_fma_f32 v11, v12, v73, -v11
	v_mul_f32_e32 v7, v7, v70
	ds_read2_b64 v[146:149], v1 offset0:115 offset1:116
	v_add_f32_e32 v155, v150, v151
	ds_read2_b64 v[150:153], v1 offset0:117 offset1:118
	buffer_load_dword v159, off, s[0:3], 0 offset:460
	buffer_load_dword v158, off, s[0:3], 0 offset:456
	;; [unrolled: 1-line block ×6, first 2 shown]
	v_add_f32_e32 v10, v10, v11
	v_fma_f32 v6, v6, v72, -v7
	v_mul_f32_e32 v7, v9, v71
	v_add_f32_e32 v6, v10, v6
	v_fma_f32 v7, v8, v89, -v7
	v_mul_f32_e32 v3, v3, v88
	;; [unrolled: 3-line block ×3, first 2 shown]
	v_add_f32_e32 v2, v6, v2
	v_fma_f32 v3, v4, v84, -v3
	v_add_f32_e32 v2, v2, v3
	v_mul_f32_e32 v3, v31, v85
	v_fma_f32 v3, v30, v81, -v3
	v_add_f32_e32 v2, v2, v3
	v_mul_f32_e32 v3, v33, v97
	;; [unrolled: 3-line block ×4, first 2 shown]
	v_fma_f32 v3, v36, v92, -v3
	buffer_load_dword v167, off, s[0:3], 0 offset:492
	buffer_load_dword v166, off, s[0:3], 0 offset:488
	;; [unrolled: 1-line block ×10, first 2 shown]
	v_add_f32_e32 v2, v2, v3
	v_mul_f32_e32 v3, v39, v95
	v_fma_f32 v3, v38, v94, -v3
	v_add_f32_e32 v2, v2, v3
	v_mul_f32_e32 v3, v41, v99
	v_fma_f32 v3, v40, v98, -v3
	;; [unrolled: 3-line block ×30, first 2 shown]
	v_add_f32_e32 v2, v2, v3
	s_waitcnt vmcnt(22) lgkmcnt(1)
	v_mul_f32_e32 v3, v147, v250
	v_fma_f32 v3, v146, v249, -v3
	v_add_f32_e32 v2, v2, v3
	s_waitcnt vmcnt(20)
	v_mul_f32_e32 v3, v149, v252
	v_mul_f32_e32 v157, v146, v250
	v_fma_f32 v3, v148, v251, -v3
	v_fmac_f32_e32 v157, v147, v249
	v_add_f32_e32 v154, v2, v3
	s_waitcnt vmcnt(18) lgkmcnt(0)
	v_mul_f32_e32 v2, v151, v254
	v_add_f32_e32 v155, v155, v157
	v_mul_f32_e32 v157, v148, v252
	v_fma_f32 v156, v150, v253, -v2
	s_waitcnt vmcnt(16)
	v_mul_f32_e32 v2, v153, v210
	v_fmac_f32_e32 v157, v149, v251
	v_fma_f32 v164, v152, v255, -v2
	ds_read2_b64 v[2:5], v1 offset0:119 offset1:120
	ds_read2_b64 v[6:9], v1 offset0:121 offset1:122
	;; [unrolled: 1-line block ×4, first 2 shown]
	v_add_f32_e32 v155, v155, v157
	v_mul_f32_e32 v157, v150, v254
	s_waitcnt vmcnt(11)
	v_mov_b32_e32 v20, v163
	v_fmac_f32_e32 v157, v151, v253
	v_mul_f32_e32 v165, v152, v210
	s_waitcnt lgkmcnt(3)
	v_pk_mul_f32 v[20:21], v[2:3], v[20:21] op_sel_hi:[1,0]
	v_fmac_f32_e32 v165, v153, v255
	v_pk_add_f32 v[18:19], v[154:155], v[156:157]
	s_waitcnt vmcnt(10)
	v_pk_fma_f32 v[22:23], v[2:3], v[162:163], v[20:21] op_sel:[0,0,1] op_sel_hi:[1,1,0] neg_lo:[0,0,1] neg_hi:[0,0,1]
	v_pk_fma_f32 v[2:3], v[2:3], v[162:163], v[20:21] op_sel:[0,0,1] op_sel_hi:[1,0,0]
	v_pk_add_f32 v[18:19], v[18:19], v[164:165]
	v_mov_b32_e32 v23, v3
	v_pk_add_f32 v[2:3], v[18:19], v[22:23]
	v_mov_b32_e32 v18, v161
	v_pk_mul_f32 v[18:19], v[4:5], v[18:19] op_sel_hi:[1,0]
	v_pk_fma_f32 v[20:21], v[4:5], v[160:161], v[18:19] op_sel:[0,0,1] op_sel_hi:[1,1,0] neg_lo:[0,0,1] neg_hi:[0,0,1]
	v_pk_fma_f32 v[4:5], v[4:5], v[160:161], v[18:19] op_sel:[0,0,1] op_sel_hi:[1,0,0]
	v_mov_b32_e32 v4, v159
	v_mov_b32_e32 v21, v5
	s_waitcnt lgkmcnt(2)
	v_pk_mul_f32 v[4:5], v[6:7], v[4:5] op_sel_hi:[1,0]
	v_pk_fma_f32 v[18:19], v[6:7], v[158:159], v[4:5] op_sel:[0,0,1] op_sel_hi:[1,1,0] neg_lo:[0,0,1] neg_hi:[0,0,1]
	v_pk_fma_f32 v[4:5], v[6:7], v[158:159], v[4:5] op_sel:[0,0,1] op_sel_hi:[1,0,0]
	s_waitcnt vmcnt(3)
	v_mov_b32_e32 v4, v173
	v_mov_b32_e32 v19, v5
	v_pk_mul_f32 v[4:5], v[8:9], v[4:5] op_sel_hi:[1,0]
	s_waitcnt vmcnt(2)
	v_pk_fma_f32 v[6:7], v[8:9], v[172:173], v[4:5] op_sel:[0,0,1] op_sel_hi:[1,1,0] neg_lo:[0,0,1] neg_hi:[0,0,1]
	v_pk_fma_f32 v[4:5], v[8:9], v[172:173], v[4:5] op_sel:[0,0,1] op_sel_hi:[1,0,0]
	v_pk_add_f32 v[2:3], v[2:3], v[20:21]
	v_mov_b32_e32 v4, v171
	v_pk_add_f32 v[2:3], v[2:3], v[18:19]
	v_mov_b32_e32 v7, v5
	s_waitcnt lgkmcnt(1)
	v_pk_mul_f32 v[4:5], v[10:11], v[4:5] op_sel_hi:[1,0]
	v_pk_add_f32 v[2:3], v[2:3], v[6:7]
	v_pk_fma_f32 v[6:7], v[10:11], v[170:171], v[4:5] op_sel:[0,0,1] op_sel_hi:[1,1,0] neg_lo:[0,0,1] neg_hi:[0,0,1]
	v_pk_fma_f32 v[4:5], v[10:11], v[170:171], v[4:5] op_sel:[0,0,1] op_sel_hi:[1,0,0]
	v_mov_b32_e32 v4, v169
	v_mov_b32_e32 v7, v5
	v_pk_mul_f32 v[4:5], v[12:13], v[4:5] op_sel_hi:[1,0]
	v_pk_add_f32 v[2:3], v[2:3], v[6:7]
	v_pk_fma_f32 v[6:7], v[12:13], v[168:169], v[4:5] op_sel:[0,0,1] op_sel_hi:[1,1,0] neg_lo:[0,0,1] neg_hi:[0,0,1]
	v_pk_fma_f32 v[4:5], v[12:13], v[168:169], v[4:5] op_sel:[0,0,1] op_sel_hi:[1,0,0]
	v_mov_b32_e32 v4, v167
	v_mov_b32_e32 v7, v5
	s_waitcnt lgkmcnt(0)
	v_pk_mul_f32 v[4:5], v[14:15], v[4:5] op_sel_hi:[1,0]
	v_pk_add_f32 v[2:3], v[2:3], v[6:7]
	v_pk_fma_f32 v[6:7], v[14:15], v[166:167], v[4:5] op_sel:[0,0,1] op_sel_hi:[1,1,0] neg_lo:[0,0,1] neg_hi:[0,0,1]
	v_pk_fma_f32 v[4:5], v[14:15], v[166:167], v[4:5] op_sel:[0,0,1] op_sel_hi:[1,0,0]
	s_waitcnt vmcnt(1)
	v_mov_b32_e32 v4, v175
	v_mov_b32_e32 v7, v5
	v_pk_mul_f32 v[4:5], v[16:17], v[4:5] op_sel_hi:[1,0]
	v_pk_add_f32 v[2:3], v[2:3], v[6:7]
	s_waitcnt vmcnt(0)
	v_pk_fma_f32 v[6:7], v[16:17], v[174:175], v[4:5] op_sel:[0,0,1] op_sel_hi:[1,1,0] neg_lo:[0,0,1] neg_hi:[0,0,1]
	v_pk_fma_f32 v[4:5], v[16:17], v[174:175], v[4:5] op_sel:[0,0,1] op_sel_hi:[1,0,0]
	v_mov_b32_e32 v7, v5
	v_pk_add_f32 v[2:3], v[2:3], v[6:7]
	v_pk_add_f32 v[2:3], v[58:59], v[2:3] neg_lo:[0,1] neg_hi:[0,1]
	buffer_store_dword v3, off, s[0:3], 0 offset:20
	buffer_store_dword v2, off, s[0:3], 0 offset:16
	s_and_saveexec_b64 s[4:5], vcc
	s_cbranch_execz .LBB126_389
; %bb.388:
	buffer_load_dword v2, off, s[0:3], 0 offset:8
	buffer_load_dword v3, off, s[0:3], 0 offset:12
	v_mov_b32_e32 v1, 0
	buffer_store_dword v1, off, s[0:3], 0 offset:8
	buffer_store_dword v1, off, s[0:3], 0 offset:12
	s_waitcnt vmcnt(2)
	ds_write_b64 v217, v[2:3]
.LBB126_389:
	s_or_b64 exec, exec, s[4:5]
	v_mov_b32_e32 v114, 0
	s_waitcnt lgkmcnt(0)
	; wave barrier
	s_waitcnt lgkmcnt(0)
	ds_read_b128 v[2:5], v114 offset:528
	buffer_load_dword v236, off, s[0:3], 0 offset:8
	buffer_load_dword v237, off, s[0:3], 0 offset:12
	buffer_load_dword v115, off, s[0:3], 0 offset:16
	buffer_load_dword v244, off, s[0:3], 0 offset:20
	buffer_load_dword v238, off, s[0:3], 0 offset:24
	buffer_load_dword v116, off, s[0:3], 0 offset:28
	buffer_load_dword v240, off, s[0:3], 0 offset:32
	buffer_load_dword v118, off, s[0:3], 0 offset:36
	buffer_load_dword v1, off, s[0:3], 0 offset:40
	buffer_load_dword v120, off, s[0:3], 0 offset:44
	buffer_load_dword v117, off, s[0:3], 0 offset:48
	buffer_load_dword v122, off, s[0:3], 0 offset:52
	buffer_load_dword v119, off, s[0:3], 0 offset:56
	buffer_load_dword v123, off, s[0:3], 0 offset:60
	buffer_load_dword v121, off, s[0:3], 0 offset:64
	buffer_load_dword v124, off, s[0:3], 0 offset:68
	v_cmp_ne_u32_e32 vcc, 0, v0
	s_waitcnt vmcnt(12) lgkmcnt(0)
	v_mul_f32_e32 v6, v2, v244
	v_fmac_f32_e32 v6, v3, v115
	s_waitcnt vmcnt(10)
	v_mul_f32_e32 v7, v4, v116
	v_add_f32_e32 v6, 0, v6
	v_fmac_f32_e32 v7, v5, v238
	v_add_f32_e32 v10, v6, v7
	ds_read_b128 v[6:9], v114 offset:544
	v_mul_f32_e32 v3, v3, v244
	v_fma_f32 v2, v2, v115, -v3
	v_mul_f32_e32 v3, v5, v116
	v_add_f32_e32 v2, 0, v2
	s_waitcnt vmcnt(8) lgkmcnt(0)
	v_mul_f32_e32 v11, v6, v118
	v_fmac_f32_e32 v11, v7, v240
	v_add_f32_e32 v10, v10, v11
	s_waitcnt vmcnt(6)
	v_mul_f32_e32 v11, v8, v120
	v_fmac_f32_e32 v11, v9, v1
	v_add_f32_e32 v14, v10, v11
	ds_read_b128 v[10:13], v114 offset:560
	v_fma_f32 v3, v4, v238, -v3
	v_add_f32_e32 v2, v2, v3
	v_mul_f32_e32 v3, v7, v118
	v_fma_f32 v3, v6, v240, -v3
	s_waitcnt vmcnt(4) lgkmcnt(0)
	v_mul_f32_e32 v15, v10, v122
	v_fmac_f32_e32 v15, v11, v117
	v_add_f32_e32 v14, v14, v15
	s_waitcnt vmcnt(2)
	v_mul_f32_e32 v15, v12, v123
	v_fmac_f32_e32 v15, v13, v119
	v_add_f32_e32 v18, v14, v15
	ds_read_b128 v[14:17], v114 offset:576
	buffer_load_dword v125, off, s[0:3], 0 offset:72
	buffer_load_dword v126, off, s[0:3], 0 offset:76
	v_add_f32_e32 v2, v2, v3
	v_mul_f32_e32 v3, v9, v120
	v_fma_f32 v1, v8, v1, -v3
	s_waitcnt vmcnt(2) lgkmcnt(0)
	v_mul_f32_e32 v19, v14, v124
	v_fmac_f32_e32 v19, v15, v121
	v_add_f32_e32 v18, v18, v19
	v_add_f32_e32 v1, v2, v1
	v_mul_f32_e32 v2, v11, v122
	v_fma_f32 v2, v10, v117, -v2
	v_add_f32_e32 v1, v1, v2
	v_mul_f32_e32 v2, v13, v123
	v_fma_f32 v2, v12, v119, -v2
	;; [unrolled: 3-line block ×3, first 2 shown]
	v_add_f32_e32 v1, v1, v2
	s_waitcnt vmcnt(0)
	v_mul_f32_e32 v19, v16, v126
	v_fmac_f32_e32 v19, v17, v125
	v_add_f32_e32 v22, v18, v19
	ds_read_b128 v[18:21], v114 offset:592
	buffer_load_dword v127, off, s[0:3], 0 offset:80
	buffer_load_dword v128, off, s[0:3], 0 offset:84
	buffer_load_dword v129, off, s[0:3], 0 offset:88
	buffer_load_dword v130, off, s[0:3], 0 offset:92
	v_mul_f32_e32 v2, v17, v126
	v_fma_f32 v2, v16, v125, -v2
	v_add_f32_e32 v1, v1, v2
	s_waitcnt vmcnt(2) lgkmcnt(0)
	v_mul_f32_e32 v23, v18, v128
	v_fmac_f32_e32 v23, v19, v127
	v_add_f32_e32 v22, v22, v23
	s_waitcnt vmcnt(0)
	v_mul_f32_e32 v23, v20, v130
	v_fmac_f32_e32 v23, v21, v129
	v_add_f32_e32 v26, v22, v23
	ds_read_b128 v[22:25], v114 offset:608
	buffer_load_dword v131, off, s[0:3], 0 offset:96
	buffer_load_dword v132, off, s[0:3], 0 offset:100
	buffer_load_dword v133, off, s[0:3], 0 offset:104
	buffer_load_dword v134, off, s[0:3], 0 offset:108
	v_mul_f32_e32 v2, v19, v128
	v_fma_f32 v2, v18, v127, -v2
	v_add_f32_e32 v1, v1, v2
	v_mul_f32_e32 v2, v21, v130
	v_fma_f32 v2, v20, v129, -v2
	v_add_f32_e32 v1, v1, v2
	s_waitcnt vmcnt(2) lgkmcnt(0)
	v_mul_f32_e32 v27, v22, v132
	v_fmac_f32_e32 v27, v23, v131
	v_add_f32_e32 v26, v26, v27
	s_waitcnt vmcnt(0)
	v_mul_f32_e32 v27, v24, v134
	v_fmac_f32_e32 v27, v25, v133
	v_add_f32_e32 v30, v26, v27
	ds_read_b128 v[26:29], v114 offset:624
	buffer_load_dword v135, off, s[0:3], 0 offset:112
	buffer_load_dword v136, off, s[0:3], 0 offset:116
	buffer_load_dword v137, off, s[0:3], 0 offset:120
	buffer_load_dword v138, off, s[0:3], 0 offset:124
	v_mul_f32_e32 v2, v23, v132
	v_fma_f32 v2, v22, v131, -v2
	v_add_f32_e32 v1, v1, v2
	;; [unrolled: 19-line block ×7, first 2 shown]
	v_mul_f32_e32 v2, v45, v154
	v_fma_f32 v2, v44, v153, -v2
	v_add_f32_e32 v1, v1, v2
	s_waitcnt vmcnt(2) lgkmcnt(0)
	v_mul_f32_e32 v51, v46, v156
	v_fmac_f32_e32 v51, v47, v155
	v_add_f32_e32 v50, v50, v51
	s_waitcnt vmcnt(0)
	v_mul_f32_e32 v51, v48, v158
	v_fmac_f32_e32 v51, v49, v157
	v_add_f32_e32 v54, v50, v51
	ds_read_b128 v[50:53], v114 offset:720
	buffer_load_dword v159, off, s[0:3], 0 offset:208
	buffer_load_dword v160, off, s[0:3], 0 offset:212
	buffer_load_dword v161, off, s[0:3], 0 offset:216
	buffer_load_dword v162, off, s[0:3], 0 offset:220
	ds_read_b128 v[58:61], v114 offset:736
	buffer_load_dword v163, off, s[0:3], 0 offset:224
	buffer_load_dword v164, off, s[0:3], 0 offset:228
	buffer_load_dword v165, off, s[0:3], 0 offset:232
	buffer_load_dword v166, off, s[0:3], 0 offset:236
	;; [unrolled: 5-line block ×14, first 2 shown]
	v_mul_f32_e32 v2, v47, v156
	v_fma_f32 v2, v46, v155, -v2
	v_add_f32_e32 v1, v1, v2
	v_mul_f32_e32 v2, v49, v158
	v_fma_f32 v2, v48, v157, -v2
	v_add_f32_e32 v1, v1, v2
	s_waitcnt vmcnt(54) lgkmcnt(13)
	v_mul_f32_e32 v55, v50, v160
	v_fmac_f32_e32 v55, v51, v159
	v_add_f32_e32 v54, v54, v55
	s_waitcnt vmcnt(52)
	v_mul_f32_e32 v55, v52, v162
	v_fmac_f32_e32 v55, v53, v161
	v_add_f32_e32 v54, v54, v55
	s_waitcnt vmcnt(50) lgkmcnt(12)
	v_mul_f32_e32 v55, v58, v164
	v_fmac_f32_e32 v55, v59, v163
	v_add_f32_e32 v54, v54, v55
	s_waitcnt vmcnt(48)
	v_mul_f32_e32 v55, v60, v166
	v_fmac_f32_e32 v55, v61, v165
	;; [unrolled: 8-line block ×13, first 2 shown]
	v_add_f32_e32 v54, v54, v55
	s_waitcnt vmcnt(2) lgkmcnt(0)
	v_mul_f32_e32 v55, v106, v212
	v_fmac_f32_e32 v55, v107, v211
	v_add_f32_e32 v239, v54, v55
	ds_read_b128 v[54:57], v114 offset:944
	buffer_load_dword v215, off, s[0:3], 0 offset:432
	buffer_load_dword v216, off, s[0:3], 0 offset:436
	;; [unrolled: 1-line block ×18, first 2 shown]
	v_mul_f32_e32 v2, v51, v160
	v_fma_f32 v2, v50, v159, -v2
	v_add_f32_e32 v1, v1, v2
	v_mul_f32_e32 v2, v53, v162
	v_fma_f32 v2, v52, v161, -v2
	v_add_f32_e32 v1, v1, v2
	;; [unrolled: 3-line block ×26, first 2 shown]
	v_mul_f32_e32 v2, v107, v212
	v_fma_f32 v2, v106, v211, -v2
	s_waitcnt vmcnt(15)
	v_mov_b32_e32 v18, v243
	v_mul_f32_e32 v241, v108, v214
	v_add_f32_e32 v238, v1, v2
	v_mul_f32_e32 v1, v109, v214
	s_waitcnt lgkmcnt(0)
	v_pk_mul_f32 v[18:19], v[56:57], v[18:19] op_sel_hi:[1,0]
	v_fmac_f32_e32 v241, v109, v213
	v_mul_f32_e32 v245, v54, v216
	v_fma_f32 v240, v108, v213, -v1
	v_mul_f32_e32 v1, v55, v216
	ds_read_b128 v[2:5], v114 offset:960
	ds_read_b128 v[6:9], v114 offset:976
	;; [unrolled: 1-line block ×3, first 2 shown]
	ds_read_b64 v[14:15], v114 offset:1008
	s_waitcnt vmcnt(14)
	v_pk_fma_f32 v[20:21], v[56:57], v[242:243], v[18:19] op_sel:[0,0,1] op_sel_hi:[1,1,0] neg_lo:[0,0,1] neg_hi:[0,0,1]
	v_pk_fma_f32 v[18:19], v[56:57], v[242:243], v[18:19] op_sel:[0,0,1] op_sel_hi:[1,0,0]
	v_fmac_f32_e32 v245, v55, v215
	v_fma_f32 v244, v54, v215, -v1
	v_pk_add_f32 v[16:17], v[238:239], v[240:241]
	s_waitcnt vmcnt(13)
	v_mov_b32_e32 v18, v113
	v_pk_add_f32 v[16:17], v[16:17], v[244:245]
	v_mov_b32_e32 v21, v19
	s_waitcnt lgkmcnt(3)
	v_pk_mul_f32 v[18:19], v[2:3], v[18:19] op_sel_hi:[1,0]
	v_pk_add_f32 v[16:17], v[16:17], v[20:21]
	s_waitcnt vmcnt(12)
	v_pk_fma_f32 v[20:21], v[2:3], v[112:113], v[18:19] op_sel:[0,0,1] op_sel_hi:[1,1,0] neg_lo:[0,0,1] neg_hi:[0,0,1]
	v_pk_fma_f32 v[2:3], v[2:3], v[112:113], v[18:19] op_sel:[0,0,1] op_sel_hi:[1,0,0]
	v_mov_b32_e32 v21, v3
	v_pk_add_f32 v[2:3], v[16:17], v[20:21]
	s_waitcnt vmcnt(11)
	v_mov_b32_e32 v16, v111
	v_pk_mul_f32 v[16:17], v[4:5], v[16:17] op_sel_hi:[1,0]
	s_waitcnt vmcnt(10)
	v_pk_fma_f32 v[18:19], v[4:5], v[110:111], v[16:17] op_sel:[0,0,1] op_sel_hi:[1,1,0] neg_lo:[0,0,1] neg_hi:[0,0,1]
	v_pk_fma_f32 v[4:5], v[4:5], v[110:111], v[16:17] op_sel:[0,0,1] op_sel_hi:[1,0,0]
	s_waitcnt vmcnt(9)
	v_mov_b32_e32 v4, v255
	v_mov_b32_e32 v19, v5
	s_waitcnt lgkmcnt(2)
	v_pk_mul_f32 v[4:5], v[6:7], v[4:5] op_sel_hi:[1,0]
	s_waitcnt vmcnt(8)
	v_pk_fma_f32 v[16:17], v[6:7], v[254:255], v[4:5] op_sel:[0,0,1] op_sel_hi:[1,1,0] neg_lo:[0,0,1] neg_hi:[0,0,1]
	v_pk_fma_f32 v[4:5], v[6:7], v[254:255], v[4:5] op_sel:[0,0,1] op_sel_hi:[1,0,0]
	s_waitcnt vmcnt(7)
	v_mov_b32_e32 v4, v253
	v_mov_b32_e32 v17, v5
	v_pk_mul_f32 v[4:5], v[8:9], v[4:5] op_sel_hi:[1,0]
	s_waitcnt vmcnt(6)
	v_pk_fma_f32 v[6:7], v[8:9], v[252:253], v[4:5] op_sel:[0,0,1] op_sel_hi:[1,1,0] neg_lo:[0,0,1] neg_hi:[0,0,1]
	v_pk_fma_f32 v[4:5], v[8:9], v[252:253], v[4:5] op_sel:[0,0,1] op_sel_hi:[1,0,0]
	v_pk_add_f32 v[2:3], v[2:3], v[18:19]
	s_waitcnt vmcnt(5)
	v_mov_b32_e32 v4, v251
	v_pk_add_f32 v[2:3], v[2:3], v[16:17]
	v_mov_b32_e32 v7, v5
	s_waitcnt lgkmcnt(1)
	v_pk_mul_f32 v[4:5], v[10:11], v[4:5] op_sel_hi:[1,0]
	v_pk_add_f32 v[2:3], v[2:3], v[6:7]
	s_waitcnt vmcnt(4)
	v_pk_fma_f32 v[6:7], v[10:11], v[250:251], v[4:5] op_sel:[0,0,1] op_sel_hi:[1,1,0] neg_lo:[0,0,1] neg_hi:[0,0,1]
	v_pk_fma_f32 v[4:5], v[10:11], v[250:251], v[4:5] op_sel:[0,0,1] op_sel_hi:[1,0,0]
	s_waitcnt vmcnt(3)
	v_mov_b32_e32 v4, v249
	v_mov_b32_e32 v7, v5
	v_pk_mul_f32 v[4:5], v[12:13], v[4:5] op_sel_hi:[1,0]
	v_pk_add_f32 v[2:3], v[2:3], v[6:7]
	s_waitcnt vmcnt(2)
	v_pk_fma_f32 v[6:7], v[12:13], v[248:249], v[4:5] op_sel:[0,0,1] op_sel_hi:[1,1,0] neg_lo:[0,0,1] neg_hi:[0,0,1]
	v_pk_fma_f32 v[4:5], v[12:13], v[248:249], v[4:5] op_sel:[0,0,1] op_sel_hi:[1,0,0]
	s_waitcnt vmcnt(1)
	v_mov_b32_e32 v4, v247
	v_mov_b32_e32 v7, v5
	s_waitcnt lgkmcnt(0)
	v_pk_mul_f32 v[4:5], v[14:15], v[4:5] op_sel_hi:[1,0]
	v_pk_add_f32 v[2:3], v[2:3], v[6:7]
	s_waitcnt vmcnt(0)
	v_pk_fma_f32 v[6:7], v[14:15], v[246:247], v[4:5] op_sel:[0,0,1] op_sel_hi:[1,1,0] neg_lo:[0,0,1] neg_hi:[0,0,1]
	v_pk_fma_f32 v[4:5], v[14:15], v[246:247], v[4:5] op_sel:[0,0,1] op_sel_hi:[1,0,0]
	v_mov_b32_e32 v7, v5
	v_pk_add_f32 v[2:3], v[2:3], v[6:7]
	v_pk_add_f32 v[2:3], v[236:237], v[2:3] neg_lo:[0,1] neg_hi:[0,1]
	buffer_store_dword v3, off, s[0:3], 0 offset:12
	buffer_store_dword v2, off, s[0:3], 0 offset:8
	s_and_saveexec_b64 s[4:5], vcc
	s_cbranch_execz .LBB126_391
; %bb.390:
	buffer_load_dword v0, off, s[0:3], 0
	buffer_load_dword v1, off, s[0:3], 0 offset:4
	s_waitcnt vmcnt(0)
	ds_write_b64 v217, v[0:1]
	buffer_store_dword v114, off, s[0:3], 0
	buffer_store_dword v114, off, s[0:3], 0 offset:4
.LBB126_391:
	s_or_b64 exec, exec, s[4:5]
	s_waitcnt lgkmcnt(0)
	; wave barrier
	s_waitcnt lgkmcnt(0)
	buffer_load_dword v71, off, s[0:3], 0 offset:12
	buffer_load_dword v70, off, s[0:3], 0 offset:20
	;; [unrolled: 1-line block ×38, first 2 shown]
	buffer_load_dword v64, off, s[0:3], 0
	buffer_load_dword v65, off, s[0:3], 0 offset:4
	ds_read2_b64 v[20:23], v114 offset0:65 offset1:66
	ds_read2_b64 v[16:19], v114 offset0:67 offset1:68
	;; [unrolled: 1-line block ×6, first 2 shown]
	buffer_load_dword v104, off, s[0:3], 0 offset:160
	buffer_load_dword v105, off, s[0:3], 0 offset:164
	;; [unrolled: 1-line block ×14, first 2 shown]
	s_and_b64 vcc, exec, s[16:17]
	s_waitcnt vmcnt(53) lgkmcnt(5)
	v_mul_f32_e32 v24, v20, v71
	s_waitcnt vmcnt(52)
	v_mul_f32_e32 v25, v22, v70
	s_waitcnt vmcnt(51) lgkmcnt(4)
	v_mul_f32_e32 v27, v18, v69
	s_waitcnt vmcnt(50) lgkmcnt(3)
	v_mul_f32_e32 v28, v12, v68
	s_waitcnt vmcnt(49)
	v_mul_f32_e32 v29, v14, v66
	s_waitcnt vmcnt(48)
	v_mul_f32_e32 v26, v16, v72
	s_waitcnt vmcnt(47) lgkmcnt(2)
	v_mul_f32_e32 v30, v8, v67
	s_waitcnt vmcnt(46)
	v_mul_f32_e32 v31, v10, v73
	s_waitcnt vmcnt(45) lgkmcnt(1)
	v_mul_f32_e32 v32, v4, v74
	s_waitcnt vmcnt(44)
	v_mul_f32_e32 v33, v6, v75
	s_waitcnt vmcnt(43) lgkmcnt(0)
	v_mul_f32_e32 v34, v0, v76
	s_waitcnt vmcnt(42)
	v_fmac_f32_e32 v26, v17, v82
	s_waitcnt vmcnt(41)
	v_fmac_f32_e32 v25, v23, v85
	;; [unrolled: 2-line block ×3, first 2 shown]
	v_add_f32_e32 v24, 0, v24
	v_add_f32_e32 v24, v24, v25
	v_add_f32_e32 v24, v24, v26
	s_waitcnt vmcnt(36)
	v_fmac_f32_e32 v27, v19, v86
	v_fmac_f32_e32 v28, v13, v84
	v_add_f32_e32 v24, v24, v27
	v_fmac_f32_e32 v29, v15, v81
	v_add_f32_e32 v24, v24, v28
	;; [unrolled: 2-line block ×3, first 2 shown]
	s_waitcnt vmcnt(32)
	v_fmac_f32_e32 v31, v11, v83
	v_add_f32_e32 v24, v24, v30
	v_fmac_f32_e32 v32, v5, v80
	v_add_f32_e32 v24, v24, v31
	;; [unrolled: 2-line block ×4, first 2 shown]
	s_waitcnt vmcnt(28)
	v_mul_f32_e32 v25, v2, v95
	v_add_f32_e32 v24, v24, v34
	s_waitcnt vmcnt(27)
	v_fmac_f32_e32 v25, v3, v94
	ds_read2_b64 v[28:31], v114 offset0:77 offset1:78
	v_add_f32_e32 v32, v24, v25
	ds_read2_b64 v[24:27], v114 offset0:79 offset1:80
	buffer_load_dword v186, off, s[0:3], 0 offset:216
	buffer_load_dword v187, off, s[0:3], 0 offset:220
	;; [unrolled: 1-line block ×4, first 2 shown]
	s_waitcnt vmcnt(30) lgkmcnt(1)
	v_mul_f32_e32 v33, v28, v93
	v_fmac_f32_e32 v33, v29, v90
	v_add_f32_e32 v32, v32, v33
	s_waitcnt vmcnt(29)
	v_mul_f32_e32 v33, v30, v92
	v_fmac_f32_e32 v33, v31, v89
	v_add_f32_e32 v32, v32, v33
	s_waitcnt vmcnt(28) lgkmcnt(0)
	v_mul_f32_e32 v33, v24, v91
	ds_read2_b64 v[36:39], v114 offset0:81 offset1:82
	v_fmac_f32_e32 v33, v25, v88
	v_add_f32_e32 v32, v32, v33
	s_waitcnt vmcnt(21)
	v_mul_f32_e32 v33, v26, v103
	s_waitcnt vmcnt(20)
	v_fmac_f32_e32 v33, v27, v102
	v_add_f32_e32 v40, v32, v33
	ds_read2_b64 v[32:35], v114 offset0:83 offset1:84
	s_waitcnt lgkmcnt(1)
	v_mul_f32_e32 v41, v36, v97
	buffer_load_dword v190, off, s[0:3], 0 offset:232
	buffer_load_dword v191, off, s[0:3], 0 offset:236
	v_fmac_f32_e32 v41, v37, v96
	v_add_f32_e32 v40, v40, v41
	v_mul_f32_e32 v41, v38, v99
	buffer_load_dword v192, off, s[0:3], 0 offset:240
	buffer_load_dword v193, off, s[0:3], 0 offset:244
	v_fmac_f32_e32 v41, v39, v98
	v_add_f32_e32 v40, v40, v41
	s_waitcnt lgkmcnt(0)
	v_mul_f32_e32 v41, v32, v101
	buffer_load_dword v194, off, s[0:3], 0 offset:248
	buffer_load_dword v195, off, s[0:3], 0 offset:252
	v_fmac_f32_e32 v41, v33, v100
	v_add_f32_e32 v40, v40, v41
	s_waitcnt vmcnt(22)
	v_mul_f32_e32 v41, v34, v105
	v_fmac_f32_e32 v41, v35, v104
	ds_read2_b64 v[44:47], v114 offset0:85 offset1:86
	v_add_f32_e32 v48, v40, v41
	ds_read2_b64 v[40:43], v114 offset0:87 offset1:88
	buffer_load_dword v196, off, s[0:3], 0 offset:256
	buffer_load_dword v197, off, s[0:3], 0 offset:260
	;; [unrolled: 1-line block ×8, first 2 shown]
	s_waitcnt vmcnt(28) lgkmcnt(1)
	v_mul_f32_e32 v49, v44, v107
	v_fmac_f32_e32 v49, v45, v106
	buffer_load_dword v204, off, s[0:3], 0 offset:288
	buffer_load_dword v205, off, s[0:3], 0 offset:292
	v_add_f32_e32 v48, v48, v49
	s_waitcnt vmcnt(28)
	v_mul_f32_e32 v49, v46, v109
	v_fmac_f32_e32 v49, v47, v108
	v_add_f32_e32 v48, v48, v49
	s_waitcnt vmcnt(26) lgkmcnt(0)
	v_mul_f32_e32 v49, v40, v111
	buffer_load_dword v206, off, s[0:3], 0 offset:296
	buffer_load_dword v207, off, s[0:3], 0 offset:300
	v_fmac_f32_e32 v49, v41, v110
	v_add_f32_e32 v52, v48, v49
	ds_read2_b64 v[48:51], v114 offset0:89 offset1:90
	buffer_load_dword v208, off, s[0:3], 0 offset:304
	buffer_load_dword v209, off, s[0:3], 0 offset:308
	;; [unrolled: 1-line block ×4, first 2 shown]
	s_waitcnt vmcnt(30)
	v_mul_f32_e32 v53, v42, v113
	v_fmac_f32_e32 v53, v43, v112
	v_add_f32_e32 v56, v52, v53
	ds_read2_b64 v[52:55], v114 offset0:91 offset1:92
	buffer_load_dword v212, off, s[0:3], 0 offset:320
	buffer_load_dword v213, off, s[0:3], 0 offset:324
	;; [unrolled: 1-line block ×12, first 2 shown]
	s_waitcnt vmcnt(40) lgkmcnt(1)
	v_mul_f32_e32 v57, v48, v166
	v_fmac_f32_e32 v57, v49, v115
	buffer_load_dword v242, off, s[0:3], 0 offset:368
	buffer_load_dword v243, off, s[0:3], 0 offset:372
	v_add_f32_e32 v56, v56, v57
	s_waitcnt vmcnt(40)
	v_mul_f32_e32 v57, v50, v170
	v_fmac_f32_e32 v57, v51, v168
	buffer_load_dword v244, off, s[0:3], 0 offset:376
	buffer_load_dword v245, off, s[0:3], 0 offset:380
	v_add_f32_e32 v56, v56, v57
	v_mul_f32_e32 v21, v21, v71
	v_fma_f32 v20, v20, v87, -v21
	v_mul_f32_e32 v21, v23, v70
	v_add_f32_e32 v20, 0, v20
	v_fma_f32 v21, v22, v85, -v21
	v_mul_f32_e32 v17, v17, v72
	v_add_f32_e32 v20, v20, v21
	v_fma_f32 v16, v16, v82, -v17
	v_mul_f32_e32 v17, v19, v69
	v_add_f32_e32 v16, v20, v16
	v_fma_f32 v17, v18, v86, -v17
	s_waitcnt vmcnt(40) lgkmcnt(0)
	v_mul_f32_e32 v57, v52, v187
	v_fmac_f32_e32 v57, v53, v186
	v_add_f32_e32 v60, v56, v57
	ds_read2_b64 v[56:59], v114 offset0:93 offset1:94
	buffer_load_dword v246, off, s[0:3], 0 offset:384
	buffer_load_dword v247, off, s[0:3], 0 offset:388
	s_waitcnt vmcnt(40)
	v_mul_f32_e32 v61, v54, v189
	v_fmac_f32_e32 v61, v55, v188
	v_add_f32_e32 v116, v60, v61
	ds_read2_b64 v[60:63], v114 offset0:95 offset1:96
	buffer_load_dword v248, off, s[0:3], 0 offset:392
	buffer_load_dword v249, off, s[0:3], 0 offset:396
	;; [unrolled: 1-line block ×12, first 2 shown]
	v_mul_f32_e32 v13, v13, v68
	v_add_f32_e32 v16, v16, v17
	v_fma_f32 v12, v12, v84, -v13
	s_waitcnt vmcnt(50) lgkmcnt(1)
	v_mul_f32_e32 v117, v56, v191
	v_fmac_f32_e32 v117, v57, v190
	v_add_f32_e32 v116, v116, v117
	v_mul_f32_e32 v13, v15, v66
	s_waitcnt vmcnt(48)
	v_mul_f32_e32 v117, v58, v193
	v_fmac_f32_e32 v117, v59, v192
	v_add_f32_e32 v116, v116, v117
	v_add_f32_e32 v12, v16, v12
	s_waitcnt vmcnt(46) lgkmcnt(0)
	v_mul_f32_e32 v117, v60, v195
	v_fmac_f32_e32 v117, v61, v194
	v_add_f32_e32 v120, v116, v117
	ds_read2_b64 v[116:119], v114 offset0:97 offset1:98
	v_fma_f32 v13, v14, v81, -v13
	v_mul_f32_e32 v9, v9, v67
	v_add_f32_e32 v12, v12, v13
	v_fma_f32 v8, v8, v79, -v9
	s_waitcnt vmcnt(44)
	v_mul_f32_e32 v121, v62, v197
	v_fmac_f32_e32 v121, v63, v196
	v_add_f32_e32 v124, v120, v121
	ds_read2_b64 v[120:123], v114 offset0:99 offset1:100
	s_waitcnt vmcnt(42) lgkmcnt(1)
	v_mul_f32_e32 v125, v116, v199
	v_fmac_f32_e32 v125, v117, v198
	v_add_f32_e32 v124, v124, v125
	s_waitcnt vmcnt(40)
	v_mul_f32_e32 v125, v118, v201
	v_fmac_f32_e32 v125, v119, v200
	v_add_f32_e32 v124, v124, v125
	s_waitcnt vmcnt(38) lgkmcnt(0)
	v_mul_f32_e32 v125, v120, v203
	v_fmac_f32_e32 v125, v121, v202
	v_add_f32_e32 v128, v124, v125
	ds_read2_b64 v[124:127], v114 offset0:101 offset1:102
	s_waitcnt vmcnt(36)
	v_mul_f32_e32 v129, v122, v205
	v_fmac_f32_e32 v129, v123, v204
	v_add_f32_e32 v132, v128, v129
	ds_read2_b64 v[128:131], v114 offset0:103 offset1:104
	s_waitcnt vmcnt(34) lgkmcnt(1)
	v_mul_f32_e32 v133, v124, v207
	v_fmac_f32_e32 v133, v125, v206
	v_add_f32_e32 v132, v132, v133
	s_waitcnt vmcnt(32)
	v_mul_f32_e32 v133, v126, v209
	v_fmac_f32_e32 v133, v127, v208
	v_add_f32_e32 v132, v132, v133
	s_waitcnt vmcnt(30) lgkmcnt(0)
	v_mul_f32_e32 v133, v128, v211
	v_fmac_f32_e32 v133, v129, v210
	v_add_f32_e32 v136, v132, v133
	ds_read2_b64 v[132:135], v114 offset0:105 offset1:106
	;; [unrolled: 18-line block ×3, first 2 shown]
	s_waitcnt vmcnt(20)
	v_mul_f32_e32 v145, v138, v239
	v_fmac_f32_e32 v145, v139, v238
	v_add_f32_e32 v148, v144, v145
	ds_read2_b64 v[144:147], v114 offset0:111 offset1:112
	s_waitcnt vmcnt(18) lgkmcnt(1)
	v_mul_f32_e32 v149, v140, v241
	v_fmac_f32_e32 v149, v141, v240
	v_add_f32_e32 v148, v148, v149
	s_waitcnt vmcnt(16)
	v_mul_f32_e32 v149, v142, v243
	v_fmac_f32_e32 v149, v143, v242
	v_mul_f32_e32 v9, v11, v73
	v_add_f32_e32 v148, v148, v149
	s_waitcnt vmcnt(14) lgkmcnt(0)
	v_mul_f32_e32 v149, v144, v245
	v_add_f32_e32 v8, v12, v8
	v_fma_f32 v9, v10, v83, -v9
	v_mul_f32_e32 v5, v5, v74
	v_fmac_f32_e32 v149, v145, v244
	v_add_f32_e32 v8, v8, v9
	v_fma_f32 v4, v4, v80, -v5
	v_mul_f32_e32 v5, v7, v75
	v_add_f32_e32 v152, v148, v149
	ds_read2_b64 v[148:151], v114 offset0:113 offset1:114
	v_add_f32_e32 v4, v8, v4
	v_fma_f32 v5, v6, v78, -v5
	v_mul_f32_e32 v1, v1, v76
	s_waitcnt vmcnt(12)
	v_mul_f32_e32 v153, v146, v247
	v_add_f32_e32 v4, v4, v5
	v_fma_f32 v0, v0, v77, -v1
	v_mul_f32_e32 v1, v3, v95
	v_fmac_f32_e32 v153, v147, v246
	v_add_f32_e32 v0, v4, v0
	v_fma_f32 v1, v2, v94, -v1
	v_add_f32_e32 v156, v152, v153
	ds_read2_b64 v[152:155], v114 offset0:115 offset1:116
	buffer_load_dword v165, off, s[0:3], 0 offset:444
	buffer_load_dword v164, off, s[0:3], 0 offset:440
	v_add_f32_e32 v0, v0, v1
	v_mul_f32_e32 v1, v29, v93
	v_fma_f32 v1, v28, v90, -v1
	s_waitcnt vmcnt(12) lgkmcnt(1)
	v_mul_f32_e32 v157, v148, v249
	v_add_f32_e32 v0, v0, v1
	v_mul_f32_e32 v1, v31, v92
	v_fmac_f32_e32 v157, v149, v248
	v_fma_f32 v1, v30, v89, -v1
	v_add_f32_e32 v156, v156, v157
	s_waitcnt vmcnt(10)
	v_mul_f32_e32 v157, v150, v251
	v_add_f32_e32 v0, v0, v1
	v_mul_f32_e32 v1, v25, v91
	v_fmac_f32_e32 v157, v151, v250
	v_fma_f32 v1, v24, v88, -v1
	v_add_f32_e32 v156, v156, v157
	s_waitcnt vmcnt(8) lgkmcnt(0)
	v_mul_f32_e32 v157, v152, v253
	v_add_f32_e32 v0, v0, v1
	v_mul_f32_e32 v1, v27, v103
	v_fmac_f32_e32 v157, v153, v252
	s_waitcnt vmcnt(6)
	v_mul_f32_e32 v161, v154, v255
	v_fma_f32 v1, v26, v102, -v1
	v_add_f32_e32 v160, v156, v157
	v_fmac_f32_e32 v161, v155, v254
	v_add_f32_e32 v0, v0, v1
	v_mul_f32_e32 v1, v37, v97
	ds_read2_b64 v[156:159], v114 offset0:117 offset1:118
	v_add_f32_e32 v167, v160, v161
	ds_read2_b64 v[160:163], v114 offset0:119 offset1:120
	buffer_load_dword v173, off, s[0:3], 0 offset:476
	buffer_load_dword v172, off, s[0:3], 0 offset:472
	buffer_load_dword v175, off, s[0:3], 0 offset:468
	buffer_load_dword v174, off, s[0:3], 0 offset:464
	buffer_load_dword v177, off, s[0:3], 0 offset:460
	buffer_load_dword v176, off, s[0:3], 0 offset:456
	buffer_load_dword v179, off, s[0:3], 0 offset:452
	buffer_load_dword v178, off, s[0:3], 0 offset:448
	buffer_load_dword v181, off, s[0:3], 0 offset:500
	buffer_load_dword v180, off, s[0:3], 0 offset:496
	buffer_load_dword v183, off, s[0:3], 0 offset:492
	buffer_load_dword v182, off, s[0:3], 0 offset:488
	buffer_load_dword v185, off, s[0:3], 0 offset:484
	buffer_load_dword v184, off, s[0:3], 0 offset:480
	v_fma_f32 v1, v36, v96, -v1
	v_add_f32_e32 v0, v0, v1
	v_mul_f32_e32 v1, v39, v99
	v_fma_f32 v1, v38, v98, -v1
	v_add_f32_e32 v0, v0, v1
	v_mul_f32_e32 v1, v33, v101
	;; [unrolled: 3-line block ×35, first 2 shown]
	v_fma_f32 v1, v154, v254, -v1
	s_waitcnt vmcnt(15)
	v_mov_b32_e32 v14, v165
	s_waitcnt lgkmcnt(1)
	v_mul_f32_e32 v169, v156, v219
	v_add_f32_e32 v166, v0, v1
	v_mul_f32_e32 v0, v157, v219
	s_waitcnt lgkmcnt(0)
	v_pk_mul_f32 v[14:15], v[160:161], v[14:15] op_sel_hi:[1,0]
	v_fmac_f32_e32 v169, v157, v218
	v_mul_f32_e32 v171, v158, v221
	v_fma_f32 v168, v156, v218, -v0
	v_mul_f32_e32 v0, v159, v221
	s_waitcnt vmcnt(14)
	v_pk_fma_f32 v[16:17], v[160:161], v[164:165], v[14:15] op_sel:[0,0,1] op_sel_hi:[1,1,0] neg_lo:[0,0,1] neg_hi:[0,0,1]
	v_pk_fma_f32 v[14:15], v[160:161], v[164:165], v[14:15] op_sel:[0,0,1] op_sel_hi:[1,0,0]
	v_fmac_f32_e32 v171, v159, v220
	v_fma_f32 v170, v158, v220, -v0
	v_pk_add_f32 v[12:13], v[166:167], v[168:169]
	s_waitcnt vmcnt(7)
	v_mov_b32_e32 v14, v179
	ds_read2_b64 v[0:3], v114 offset0:121 offset1:122
	ds_read2_b64 v[4:7], v114 offset0:123 offset1:124
	;; [unrolled: 1-line block ×3, first 2 shown]
	v_pk_add_f32 v[12:13], v[12:13], v[170:171]
	v_mov_b32_e32 v17, v15
	v_pk_mul_f32 v[14:15], v[162:163], v[14:15] op_sel_hi:[1,0]
	v_pk_add_f32 v[12:13], v[12:13], v[16:17]
	s_waitcnt vmcnt(6)
	v_pk_fma_f32 v[16:17], v[162:163], v[178:179], v[14:15] op_sel:[0,0,1] op_sel_hi:[1,1,0] neg_lo:[0,0,1] neg_hi:[0,0,1]
	v_pk_fma_f32 v[14:15], v[162:163], v[178:179], v[14:15] op_sel:[0,0,1] op_sel_hi:[1,0,0]
	v_mov_b32_e32 v14, v177
	v_mov_b32_e32 v17, v15
	s_waitcnt lgkmcnt(2)
	v_pk_mul_f32 v[14:15], v[0:1], v[14:15] op_sel_hi:[1,0]
	v_pk_add_f32 v[12:13], v[12:13], v[16:17]
	v_pk_fma_f32 v[16:17], v[0:1], v[176:177], v[14:15] op_sel:[0,0,1] op_sel_hi:[1,1,0] neg_lo:[0,0,1] neg_hi:[0,0,1]
	v_pk_fma_f32 v[0:1], v[0:1], v[176:177], v[14:15] op_sel:[0,0,1] op_sel_hi:[1,0,0]
	v_mov_b32_e32 v17, v1
	v_pk_add_f32 v[0:1], v[12:13], v[16:17]
	v_mov_b32_e32 v12, v175
	v_pk_mul_f32 v[12:13], v[2:3], v[12:13] op_sel_hi:[1,0]
	v_pk_fma_f32 v[14:15], v[2:3], v[174:175], v[12:13] op_sel:[0,0,1] op_sel_hi:[1,1,0] neg_lo:[0,0,1] neg_hi:[0,0,1]
	v_pk_fma_f32 v[2:3], v[2:3], v[174:175], v[12:13] op_sel:[0,0,1] op_sel_hi:[1,0,0]
	v_mov_b32_e32 v2, v173
	v_mov_b32_e32 v15, v3
	s_waitcnt lgkmcnt(1)
	v_pk_mul_f32 v[2:3], v[4:5], v[2:3] op_sel_hi:[1,0]
	v_pk_fma_f32 v[12:13], v[4:5], v[172:173], v[2:3] op_sel:[0,0,1] op_sel_hi:[1,1,0] neg_lo:[0,0,1] neg_hi:[0,0,1]
	v_pk_fma_f32 v[2:3], v[4:5], v[172:173], v[2:3] op_sel:[0,0,1] op_sel_hi:[1,0,0]
	s_waitcnt vmcnt(1)
	v_mov_b32_e32 v2, v185
	v_mov_b32_e32 v13, v3
	v_pk_mul_f32 v[2:3], v[6:7], v[2:3] op_sel_hi:[1,0]
	s_waitcnt vmcnt(0)
	v_pk_fma_f32 v[4:5], v[6:7], v[184:185], v[2:3] op_sel:[0,0,1] op_sel_hi:[1,1,0] neg_lo:[0,0,1] neg_hi:[0,0,1]
	v_pk_fma_f32 v[2:3], v[6:7], v[184:185], v[2:3] op_sel:[0,0,1] op_sel_hi:[1,0,0]
	v_pk_add_f32 v[0:1], v[0:1], v[14:15]
	v_mov_b32_e32 v2, v183
	v_pk_add_f32 v[0:1], v[0:1], v[12:13]
	v_mov_b32_e32 v5, v3
	s_waitcnt lgkmcnt(0)
	v_pk_mul_f32 v[2:3], v[8:9], v[2:3] op_sel_hi:[1,0]
	v_pk_add_f32 v[0:1], v[0:1], v[4:5]
	v_pk_fma_f32 v[4:5], v[8:9], v[182:183], v[2:3] op_sel:[0,0,1] op_sel_hi:[1,1,0] neg_lo:[0,0,1] neg_hi:[0,0,1]
	v_pk_fma_f32 v[2:3], v[8:9], v[182:183], v[2:3] op_sel:[0,0,1] op_sel_hi:[1,0,0]
	v_mov_b32_e32 v2, v181
	v_mov_b32_e32 v5, v3
	v_pk_mul_f32 v[2:3], v[10:11], v[2:3] op_sel_hi:[1,0]
	v_pk_add_f32 v[0:1], v[0:1], v[4:5]
	v_pk_fma_f32 v[4:5], v[10:11], v[180:181], v[2:3] op_sel:[0,0,1] op_sel_hi:[1,1,0] neg_lo:[0,0,1] neg_hi:[0,0,1]
	v_pk_fma_f32 v[2:3], v[10:11], v[180:181], v[2:3] op_sel:[0,0,1] op_sel_hi:[1,0,0]
	v_mov_b32_e32 v5, v3
	v_pk_add_f32 v[0:1], v[0:1], v[4:5]
	v_pk_add_f32 v[0:1], v[64:65], v[0:1] neg_lo:[0,1] neg_hi:[0,1]
	buffer_store_dword v1, off, s[0:3], 0 offset:4
	buffer_store_dword v0, off, s[0:3], 0
	s_cbranch_vccz .LBB126_517
; %bb.392:
	v_pk_mov_b32 v[0:1], s[10:11], s[10:11] op_sel:[0,1]
	flat_load_dword v0, v[0:1] offset:244
	s_waitcnt vmcnt(0) lgkmcnt(0)
	v_add_u32_e32 v0, -1, v0
	v_cmp_ne_u32_e32 vcc, 61, v0
	s_and_saveexec_b64 s[4:5], vcc
	s_cbranch_execz .LBB126_394
; %bb.393:
	v_mov_b32_e32 v1, 0
	v_lshl_add_u32 v0, v0, 3, v1
	buffer_load_dword v1, v0, s[0:3], 0 offen
	buffer_load_dword v2, v0, s[0:3], 0 offen offset:4
	buffer_load_dword v3, off, s[0:3], 0 offset:488
	buffer_load_dword v4, off, s[0:3], 0 offset:492
	s_waitcnt vmcnt(3)
	buffer_store_dword v1, off, s[0:3], 0 offset:488
	s_waitcnt vmcnt(3)
	buffer_store_dword v2, off, s[0:3], 0 offset:492
	s_waitcnt vmcnt(3)
	buffer_store_dword v3, v0, s[0:3], 0 offen
	s_waitcnt vmcnt(3)
	buffer_store_dword v4, v0, s[0:3], 0 offen offset:4
.LBB126_394:
	s_or_b64 exec, exec, s[4:5]
	v_pk_mov_b32 v[0:1], s[10:11], s[10:11] op_sel:[0,1]
	flat_load_dword v0, v[0:1] offset:240
	s_waitcnt vmcnt(0) lgkmcnt(0)
	v_add_u32_e32 v0, -1, v0
	v_cmp_ne_u32_e32 vcc, 60, v0
	s_and_saveexec_b64 s[4:5], vcc
	s_cbranch_execz .LBB126_396
; %bb.395:
	v_mov_b32_e32 v1, 0
	v_lshl_add_u32 v0, v0, 3, v1
	buffer_load_dword v1, v0, s[0:3], 0 offen
	buffer_load_dword v2, v0, s[0:3], 0 offen offset:4
	buffer_load_dword v3, off, s[0:3], 0 offset:484
	buffer_load_dword v4, off, s[0:3], 0 offset:480
	s_waitcnt vmcnt(3)
	buffer_store_dword v1, off, s[0:3], 0 offset:480
	s_waitcnt vmcnt(3)
	buffer_store_dword v2, off, s[0:3], 0 offset:484
	s_waitcnt vmcnt(3)
	buffer_store_dword v3, v0, s[0:3], 0 offen offset:4
	s_waitcnt vmcnt(3)
	buffer_store_dword v4, v0, s[0:3], 0 offen
.LBB126_396:
	s_or_b64 exec, exec, s[4:5]
	v_pk_mov_b32 v[0:1], s[10:11], s[10:11] op_sel:[0,1]
	flat_load_dword v0, v[0:1] offset:236
	s_waitcnt vmcnt(0) lgkmcnt(0)
	v_add_u32_e32 v0, -1, v0
	v_cmp_ne_u32_e32 vcc, 59, v0
	s_and_saveexec_b64 s[4:5], vcc
	s_cbranch_execz .LBB126_398
; %bb.397:
	v_mov_b32_e32 v1, 0
	v_lshl_add_u32 v0, v0, 3, v1
	buffer_load_dword v1, v0, s[0:3], 0 offen
	buffer_load_dword v2, v0, s[0:3], 0 offen offset:4
	buffer_load_dword v3, off, s[0:3], 0 offset:472
	buffer_load_dword v4, off, s[0:3], 0 offset:476
	s_waitcnt vmcnt(3)
	buffer_store_dword v1, off, s[0:3], 0 offset:472
	s_waitcnt vmcnt(3)
	buffer_store_dword v2, off, s[0:3], 0 offset:476
	s_waitcnt vmcnt(3)
	buffer_store_dword v3, v0, s[0:3], 0 offen
	s_waitcnt vmcnt(3)
	buffer_store_dword v4, v0, s[0:3], 0 offen offset:4
.LBB126_398:
	s_or_b64 exec, exec, s[4:5]
	v_pk_mov_b32 v[0:1], s[10:11], s[10:11] op_sel:[0,1]
	flat_load_dword v0, v[0:1] offset:232
	s_waitcnt vmcnt(0) lgkmcnt(0)
	v_add_u32_e32 v0, -1, v0
	v_cmp_ne_u32_e32 vcc, 58, v0
	s_and_saveexec_b64 s[4:5], vcc
	s_cbranch_execz .LBB126_400
; %bb.399:
	v_mov_b32_e32 v1, 0
	v_lshl_add_u32 v0, v0, 3, v1
	buffer_load_dword v1, v0, s[0:3], 0 offen
	buffer_load_dword v2, v0, s[0:3], 0 offen offset:4
	buffer_load_dword v3, off, s[0:3], 0 offset:468
	buffer_load_dword v4, off, s[0:3], 0 offset:464
	s_waitcnt vmcnt(3)
	buffer_store_dword v1, off, s[0:3], 0 offset:464
	s_waitcnt vmcnt(3)
	buffer_store_dword v2, off, s[0:3], 0 offset:468
	s_waitcnt vmcnt(3)
	buffer_store_dword v3, v0, s[0:3], 0 offen offset:4
	s_waitcnt vmcnt(3)
	buffer_store_dword v4, v0, s[0:3], 0 offen
.LBB126_400:
	s_or_b64 exec, exec, s[4:5]
	;; [unrolled: 48-line block ×30, first 2 shown]
	v_pk_mov_b32 v[0:1], s[10:11], s[10:11] op_sel:[0,1]
	flat_load_dword v0, v[0:1] offset:4
	s_waitcnt vmcnt(0) lgkmcnt(0)
	v_add_u32_e32 v0, -1, v0
	v_cmp_ne_u32_e32 vcc, 1, v0
	s_and_saveexec_b64 s[4:5], vcc
	s_cbranch_execz .LBB126_514
; %bb.513:
	v_mov_b32_e32 v1, 0
	v_lshl_add_u32 v0, v0, 3, v1
	buffer_load_dword v1, v0, s[0:3], 0 offen
	buffer_load_dword v2, v0, s[0:3], 0 offen offset:4
	buffer_load_dword v3, off, s[0:3], 0 offset:8
	buffer_load_dword v4, off, s[0:3], 0 offset:12
	s_waitcnt vmcnt(3)
	buffer_store_dword v1, off, s[0:3], 0 offset:8
	s_waitcnt vmcnt(3)
	buffer_store_dword v2, off, s[0:3], 0 offset:12
	s_waitcnt vmcnt(3)
	buffer_store_dword v3, v0, s[0:3], 0 offen
	s_waitcnt vmcnt(3)
	buffer_store_dword v4, v0, s[0:3], 0 offen offset:4
.LBB126_514:
	s_or_b64 exec, exec, s[4:5]
	v_pk_mov_b32 v[0:1], s[10:11], s[10:11] op_sel:[0,1]
	flat_load_dword v2, v[0:1]
	s_nop 0
	buffer_load_dword v0, off, s[0:3], 0
	buffer_load_dword v1, off, s[0:3], 0 offset:4
	s_waitcnt vmcnt(0) lgkmcnt(0)
	v_add_u32_e32 v2, -1, v2
	v_cmp_ne_u32_e32 vcc, 0, v2
	s_and_saveexec_b64 s[4:5], vcc
	s_cbranch_execz .LBB126_516
; %bb.515:
	v_mov_b32_e32 v3, 0
	v_lshl_add_u32 v2, v2, 3, v3
	buffer_load_dword v3, v2, s[0:3], 0 offen offset:4
	buffer_load_dword v4, v2, s[0:3], 0 offen
	s_waitcnt vmcnt(1)
	buffer_store_dword v3, off, s[0:3], 0 offset:4
	s_waitcnt vmcnt(1)
	buffer_store_dword v4, off, s[0:3], 0
	buffer_store_dword v1, v2, s[0:3], 0 offen offset:4
	buffer_store_dword v0, v2, s[0:3], 0 offen
	buffer_load_dword v0, off, s[0:3], 0
	s_nop 0
	buffer_load_dword v1, off, s[0:3], 0 offset:4
.LBB126_516:
	s_or_b64 exec, exec, s[4:5]
.LBB126_517:
	buffer_load_dword v2, off, s[0:3], 0 offset:8
	buffer_load_dword v3, off, s[0:3], 0 offset:12
	;; [unrolled: 1-line block ×124, first 2 shown]
	s_waitcnt vmcnt(62)
	global_store_dwordx2 v[226:227], v[0:1], off
	global_store_dwordx2 v[228:229], v[2:3], off
	v_accvgpr_read_b32 v0, a0
	v_accvgpr_read_b32 v1, a1
	global_store_dwordx2 v[0:1], v[4:5], off
	v_accvgpr_read_b32 v0, a2
	v_accvgpr_read_b32 v1, a3
	;; [unrolled: 3-line block ×31, first 2 shown]
	s_waitcnt vmcnt(62)
	global_store_dwordx2 v[0:1], v[64:65], off
	v_accvgpr_read_b32 v0, a62
	v_accvgpr_read_b32 v1, a63
	global_store_dwordx2 v[0:1], v[66:67], off
	v_accvgpr_read_b32 v0, a64
	v_accvgpr_read_b32 v1, a65
	;; [unrolled: 3-line block ×16, first 2 shown]
	s_waitcnt vmcnt(62)
	global_store_dwordx2 v[0:1], v[96:97], off
	v_accvgpr_read_b32 v0, a94
	v_accvgpr_read_b32 v1, a95
	global_store_dwordx2 v[0:1], v[98:99], off
	v_accvgpr_read_b32 v0, a96
	v_accvgpr_read_b32 v1, a97
	;; [unrolled: 3-line block ×8, first 2 shown]
	s_waitcnt vmcnt(62)
	global_store_dwordx2 v[0:1], v[112:113], off
	v_accvgpr_read_b32 v0, a110
	v_accvgpr_read_b32 v1, a111
	global_store_dwordx2 v[0:1], v[114:115], off
	global_store_dwordx2 v[222:223], v[116:117], off
	;; [unrolled: 1-line block ×3, first 2 shown]
	s_waitcnt vmcnt(62)
	global_store_dwordx2 v[230:231], v[120:121], off
	global_store_dwordx2 v[232:233], v[122:123], off
	s_waitcnt vmcnt(62)
	global_store_dwordx2 v[234:235], v[124:125], off
	s_endpgm
	.section	.rodata,"a",@progbits
	.p2align	6, 0x0
	.amdhsa_kernel _ZN9rocsolver6v33100L18getri_kernel_smallILi63E19rocblas_complex_numIfEPKPS3_EEvT1_iilPiilS8_bb
		.amdhsa_group_segment_fixed_size 1016
		.amdhsa_private_segment_fixed_size 512
		.amdhsa_kernarg_size 60
		.amdhsa_user_sgpr_count 8
		.amdhsa_user_sgpr_private_segment_buffer 1
		.amdhsa_user_sgpr_dispatch_ptr 0
		.amdhsa_user_sgpr_queue_ptr 0
		.amdhsa_user_sgpr_kernarg_segment_ptr 1
		.amdhsa_user_sgpr_dispatch_id 0
		.amdhsa_user_sgpr_flat_scratch_init 1
		.amdhsa_user_sgpr_kernarg_preload_length 0
		.amdhsa_user_sgpr_kernarg_preload_offset 0
		.amdhsa_user_sgpr_private_segment_size 0
		.amdhsa_uses_dynamic_stack 0
		.amdhsa_system_sgpr_private_segment_wavefront_offset 1
		.amdhsa_system_sgpr_workgroup_id_x 1
		.amdhsa_system_sgpr_workgroup_id_y 0
		.amdhsa_system_sgpr_workgroup_id_z 0
		.amdhsa_system_sgpr_workgroup_info 0
		.amdhsa_system_vgpr_workitem_id 0
		.amdhsa_next_free_vgpr 368
		.amdhsa_next_free_sgpr 22
		.amdhsa_accum_offset 256
		.amdhsa_reserve_vcc 1
		.amdhsa_reserve_flat_scratch 1
		.amdhsa_float_round_mode_32 0
		.amdhsa_float_round_mode_16_64 0
		.amdhsa_float_denorm_mode_32 3
		.amdhsa_float_denorm_mode_16_64 3
		.amdhsa_dx10_clamp 1
		.amdhsa_ieee_mode 1
		.amdhsa_fp16_overflow 0
		.amdhsa_tg_split 0
		.amdhsa_exception_fp_ieee_invalid_op 0
		.amdhsa_exception_fp_denorm_src 0
		.amdhsa_exception_fp_ieee_div_zero 0
		.amdhsa_exception_fp_ieee_overflow 0
		.amdhsa_exception_fp_ieee_underflow 0
		.amdhsa_exception_fp_ieee_inexact 0
		.amdhsa_exception_int_div_zero 0
	.end_amdhsa_kernel
	.section	.text._ZN9rocsolver6v33100L18getri_kernel_smallILi63E19rocblas_complex_numIfEPKPS3_EEvT1_iilPiilS8_bb,"axG",@progbits,_ZN9rocsolver6v33100L18getri_kernel_smallILi63E19rocblas_complex_numIfEPKPS3_EEvT1_iilPiilS8_bb,comdat
.Lfunc_end126:
	.size	_ZN9rocsolver6v33100L18getri_kernel_smallILi63E19rocblas_complex_numIfEPKPS3_EEvT1_iilPiilS8_bb, .Lfunc_end126-_ZN9rocsolver6v33100L18getri_kernel_smallILi63E19rocblas_complex_numIfEPKPS3_EEvT1_iilPiilS8_bb
                                        ; -- End function
	.section	.AMDGPU.csdata,"",@progbits
; Kernel info:
; codeLenInByte = 146388
; NumSgprs: 28
; NumVgprs: 256
; NumAgprs: 112
; TotalNumVgprs: 368
; ScratchSize: 512
; MemoryBound: 0
; FloatMode: 240
; IeeeMode: 1
; LDSByteSize: 1016 bytes/workgroup (compile time only)
; SGPRBlocks: 3
; VGPRBlocks: 45
; NumSGPRsForWavesPerEU: 28
; NumVGPRsForWavesPerEU: 368
; AccumOffset: 256
; Occupancy: 1
; WaveLimiterHint : 1
; COMPUTE_PGM_RSRC2:SCRATCH_EN: 1
; COMPUTE_PGM_RSRC2:USER_SGPR: 8
; COMPUTE_PGM_RSRC2:TRAP_HANDLER: 0
; COMPUTE_PGM_RSRC2:TGID_X_EN: 1
; COMPUTE_PGM_RSRC2:TGID_Y_EN: 0
; COMPUTE_PGM_RSRC2:TGID_Z_EN: 0
; COMPUTE_PGM_RSRC2:TIDIG_COMP_CNT: 0
; COMPUTE_PGM_RSRC3_GFX90A:ACCUM_OFFSET: 63
; COMPUTE_PGM_RSRC3_GFX90A:TG_SPLIT: 0
	.section	.text._ZN9rocsolver6v33100L18getri_kernel_smallILi64E19rocblas_complex_numIfEPKPS3_EEvT1_iilPiilS8_bb,"axG",@progbits,_ZN9rocsolver6v33100L18getri_kernel_smallILi64E19rocblas_complex_numIfEPKPS3_EEvT1_iilPiilS8_bb,comdat
	.globl	_ZN9rocsolver6v33100L18getri_kernel_smallILi64E19rocblas_complex_numIfEPKPS3_EEvT1_iilPiilS8_bb ; -- Begin function _ZN9rocsolver6v33100L18getri_kernel_smallILi64E19rocblas_complex_numIfEPKPS3_EEvT1_iilPiilS8_bb
	.p2align	8
	.type	_ZN9rocsolver6v33100L18getri_kernel_smallILi64E19rocblas_complex_numIfEPKPS3_EEvT1_iilPiilS8_bb,@function
_ZN9rocsolver6v33100L18getri_kernel_smallILi64E19rocblas_complex_numIfEPKPS3_EEvT1_iilPiilS8_bb: ; @_ZN9rocsolver6v33100L18getri_kernel_smallILi64E19rocblas_complex_numIfEPKPS3_EEvT1_iilPiilS8_bb
; %bb.0:
	s_add_u32 flat_scratch_lo, s6, s9
	s_addc_u32 flat_scratch_hi, s7, 0
	s_add_u32 s0, s0, s9
	s_addc_u32 s1, s1, 0
	v_cmp_gt_u32_e32 vcc, 64, v0
	s_and_saveexec_b64 s[6:7], vcc
	s_cbranch_execz .LBB127_270
; %bb.1:
	s_load_dword s20, s[4:5], 0x38
	s_load_dwordx2 s[6:7], s[4:5], 0x0
	s_load_dwordx4 s[12:15], s[4:5], 0x28
	s_waitcnt lgkmcnt(0)
	s_bitcmp1_b32 s20, 8
	s_cselect_b64 s[16:17], -1, 0
	s_ashr_i32 s9, s8, 31
	s_lshl_b64 s[10:11], s[8:9], 3
	s_add_u32 s6, s6, s10
	s_addc_u32 s7, s7, s11
	s_load_dwordx2 s[18:19], s[6:7], 0x0
	s_bfe_u32 s6, s20, 0x10008
	s_cmp_eq_u32 s6, 0
                                        ; implicit-def: $sgpr10_sgpr11
	s_cbranch_scc1 .LBB127_3
; %bb.2:
	s_load_dword s6, s[4:5], 0x20
	s_load_dwordx2 s[10:11], s[4:5], 0x18
	s_mul_i32 s7, s8, s13
	s_mul_hi_u32 s13, s8, s12
	s_add_i32 s13, s13, s7
	s_mul_i32 s21, s9, s12
	s_add_i32 s13, s13, s21
	s_mul_i32 s12, s8, s12
	s_waitcnt lgkmcnt(0)
	s_ashr_i32 s7, s6, 31
	s_lshl_b64 s[12:13], s[12:13], 2
	s_add_u32 s10, s10, s12
	s_addc_u32 s11, s11, s13
	s_lshl_b64 s[6:7], s[6:7], 2
	s_add_u32 s10, s10, s6
	s_addc_u32 s11, s11, s7
.LBB127_3:
	s_load_dwordx2 s[6:7], s[4:5], 0x8
	v_lshlrev_b32_e32 v6, 3, v0
	s_waitcnt lgkmcnt(0)
	s_ashr_i32 s5, s6, 31
	s_mov_b32 s4, s6
	s_lshl_b64 s[4:5], s[4:5], 3
	s_add_u32 s4, s18, s4
	s_addc_u32 s5, s19, s5
	s_add_i32 s6, s7, s7
	v_add_u32_e32 v2, s6, v0
	v_ashrrev_i32_e32 v3, 31, v2
	v_lshlrev_b64 v[4:5], 3, v[2:3]
	v_add_u32_e32 v2, s7, v2
	v_mov_b32_e32 v1, s5
	v_add_co_u32_e32 v10, vcc, s4, v4
	v_ashrrev_i32_e32 v3, 31, v2
	v_addc_co_u32_e32 v11, vcc, v1, v5, vcc
	v_lshlrev_b64 v[4:5], 3, v[2:3]
	v_add_u32_e32 v2, s7, v2
	v_add_co_u32_e32 v14, vcc, s4, v4
	v_ashrrev_i32_e32 v3, 31, v2
	v_addc_co_u32_e32 v15, vcc, v1, v5, vcc
	v_lshlrev_b64 v[4:5], 3, v[2:3]
	v_add_u32_e32 v2, s7, v2
	;; [unrolled: 5-line block ×53, first 2 shown]
	v_add_co_u32_e32 v118, vcc, s4, v4
	v_ashrrev_i32_e32 v3, 31, v2
	v_addc_co_u32_e32 v119, vcc, v1, v5, vcc
	v_lshlrev_b64 v[4:5], 3, v[2:3]
	v_add_co_u32_e32 v120, vcc, s4, v4
	v_addc_co_u32_e32 v121, vcc, v1, v5, vcc
	v_add_co_u32_e32 v228, vcc, s4, v6
	s_ashr_i32 s13, s7, 31
	s_mov_b32 s12, s7
	v_addc_co_u32_e32 v229, vcc, 0, v1, vcc
	s_lshl_b64 s[12:13], s[12:13], 3
	v_mov_b32_e32 v1, s13
	v_add_co_u32_e32 v230, vcc, s12, v228
	global_load_dwordx2 v[4:5], v6, s[4:5]
	v_addc_co_u32_e32 v231, vcc, v229, v1, vcc
	v_accvgpr_write_b32 a0, v10
	global_load_dwordx2 v[8:9], v[230:231], off
	v_accvgpr_write_b32 a1, v11
	global_load_dwordx2 v[10:11], v[10:11], off
	v_accvgpr_write_b32 a2, v14
	v_accvgpr_write_b32 a3, v15
	global_load_dwordx2 v[14:15], v[14:15], off
	v_accvgpr_write_b32 a4, v16
	v_add_u32_e32 v2, s7, v2
	v_accvgpr_write_b32 a5, v17
	global_load_dwordx2 v[16:17], v[16:17], off
	v_ashrrev_i32_e32 v3, 31, v2
	v_lshlrev_b64 v[12:13], 3, v[2:3]
	v_mov_b32_e32 v1, s5
	v_add_co_u32_e32 v122, vcc, s4, v12
	v_addc_co_u32_e32 v123, vcc, v1, v13, vcc
	global_load_dwordx2 v[12:13], v[18:19], off
	v_accvgpr_write_b32 a8, v20
	v_add_u32_e32 v2, s7, v2
	v_accvgpr_write_b32 a9, v21
	global_load_dwordx2 v[20:21], v[20:21], off
	v_ashrrev_i32_e32 v3, 31, v2
	v_accvgpr_write_b32 a6, v18
	v_accvgpr_write_b32 a14, v26
	;; [unrolled: 1-line block ×5, first 2 shown]
	global_load_dwordx2 v[26:27], v[26:27], off
	v_accvgpr_write_b32 a25, v37
	global_load_dwordx2 v[36:37], v[36:37], off
	v_lshlrev_b64 v[18:19], 3, v[2:3]
	v_add_co_u32_e32 v124, vcc, s4, v18
	v_addc_co_u32_e32 v125, vcc, v1, v19, vcc
	global_load_dwordx2 v[18:19], v[22:23], off
	v_accvgpr_write_b32 a10, v22
	v_accvgpr_write_b32 a18, v30
	;; [unrolled: 1-line block ×4, first 2 shown]
	global_load_dwordx2 v[30:31], v[30:31], off
	v_add_u32_e32 v2, s7, v2
	global_load_dwordx2 v[22:23], v[24:25], off
	v_ashrrev_i32_e32 v3, 31, v2
	v_accvgpr_write_b32 a12, v24
	v_accvgpr_write_b32 a20, v32
	;; [unrolled: 1-line block ×4, first 2 shown]
	global_load_dwordx2 v[32:33], v[32:33], off
	v_lshlrev_b64 v[24:25], 3, v[2:3]
	v_add_co_u32_e32 v224, vcc, s4, v24
	v_addc_co_u32_e32 v225, vcc, v1, v25, vcc
	global_load_dwordx2 v[24:25], v[28:29], off
	v_add_u32_e32 v2, s7, v2
	v_accvgpr_write_b32 a16, v28
	v_ashrrev_i32_e32 v3, 31, v2
	v_accvgpr_write_b32 a30, v42
	v_accvgpr_write_b32 a17, v29
	;; [unrolled: 1-line block ×3, first 2 shown]
	global_load_dwordx2 v[42:43], v[42:43], off
	v_lshlrev_b64 v[28:29], 3, v[2:3]
	v_add_co_u32_e32 v226, vcc, s4, v28
	v_addc_co_u32_e32 v227, vcc, v1, v29, vcc
	global_load_dwordx2 v[28:29], v[34:35], off
	v_add_u32_e32 v2, s7, v2
	v_ashrrev_i32_e32 v3, 31, v2
	v_accvgpr_write_b32 a22, v34
	v_accvgpr_write_b32 a23, v35
	v_lshlrev_b64 v[34:35], 3, v[2:3]
	v_add_co_u32_e32 v232, vcc, s4, v34
	v_addc_co_u32_e32 v233, vcc, v1, v35, vcc
	global_load_dwordx2 v[34:35], v[38:39], off
	v_accvgpr_write_b32 a26, v38
	v_accvgpr_write_b32 a27, v39
	global_load_dwordx2 v[38:39], v[40:41], off
	v_add_u32_e32 v2, s7, v2
	v_ashrrev_i32_e32 v3, 31, v2
	v_accvgpr_write_b32 a28, v40
	v_accvgpr_write_b32 a29, v41
	v_lshlrev_b64 v[40:41], 3, v[2:3]
	v_add_co_u32_e32 v234, vcc, s4, v40
	v_add_u32_e32 v2, s7, v2
	v_addc_co_u32_e32 v235, vcc, v1, v41, vcc
	global_load_dwordx2 v[40:41], v[44:45], off
	v_ashrrev_i32_e32 v3, 31, v2
	v_lshlrev_b64 v[2:3], 3, v[2:3]
	v_add_co_u32_e32 v236, vcc, s4, v2
	v_accvgpr_write_b32 a32, v44
	v_addc_co_u32_e32 v237, vcc, v1, v3, vcc
	global_load_dwordx2 v[2:3], v[236:237], off
	v_accvgpr_write_b32 a33, v45
	global_load_dwordx2 v[44:45], v[46:47], off
	v_accvgpr_write_b32 a34, v46
	v_accvgpr_write_b32 a35, v47
	global_load_dwordx2 v[46:47], v[48:49], off
	v_accvgpr_write_b32 a36, v48
	;; [unrolled: 3-line block ×3, first 2 shown]
	s_waitcnt vmcnt(22)
	buffer_store_dword v5, off, s[0:3], 0 offset:4
	buffer_store_dword v4, off, s[0:3], 0
	s_waitcnt vmcnt(23)
	buffer_store_dword v9, off, s[0:3], 0 offset:12
	buffer_store_dword v8, off, s[0:3], 0 offset:8
	global_load_dwordx2 v[4:5], v[52:53], off
	s_waitcnt vmcnt(25)
	buffer_store_dword v11, off, s[0:3], 0 offset:20
	buffer_store_dword v10, off, s[0:3], 0 offset:16
	global_load_dwordx2 v[8:9], v[54:55], off
	v_accvgpr_write_b32 a39, v51
	global_load_dwordx2 v[10:11], v[56:57], off
	global_load_dwordx2 v[50:51], v[60:61], off
	v_accvgpr_write_b32 a40, v52
	s_waitcnt vmcnt(29)
	buffer_store_dword v15, off, s[0:3], 0 offset:28
	buffer_store_dword v14, off, s[0:3], 0 offset:24
	global_load_dwordx2 v[14:15], v[58:59], off
	v_accvgpr_write_b32 a41, v53
	s_waitcnt vmcnt(31)
	buffer_store_dword v17, off, s[0:3], 0 offset:36
	buffer_store_dword v16, off, s[0:3], 0 offset:32
	global_load_dwordx2 v[16:17], v[62:63], off
	v_accvgpr_write_b32 a42, v54
	global_load_dwordx2 v[52:53], v[64:65], off
	v_accvgpr_write_b32 a43, v55
	s_waitcnt vmcnt(34)
	buffer_store_dword v13, off, s[0:3], 0 offset:44
	buffer_store_dword v12, off, s[0:3], 0 offset:40
	global_load_dwordx2 v[12:13], v[66:67], off
	v_accvgpr_write_b32 a44, v56
	;; [unrolled: 7-line block ×5, first 2 shown]
	global_load_dwordx2 v[60:61], v[80:81], off
	v_accvgpr_write_b32 a51, v63
	buffer_store_dword v26, off, s[0:3], 0 offset:72
	buffer_store_dword v27, off, s[0:3], 0 offset:76
	global_load_dwordx2 v[26:27], v[82:83], off
	v_accvgpr_write_b32 a52, v64
	global_load_dwordx2 v[62:63], v[84:85], off
	v_accvgpr_write_b32 a53, v65
	s_waitcnt vmcnt(46)
	buffer_store_dword v24, off, s[0:3], 0 offset:80
	buffer_store_dword v25, off, s[0:3], 0 offset:84
	global_load_dwordx2 v[24:25], v[86:87], off
	v_accvgpr_write_b32 a54, v66
	global_load_dwordx2 v[64:65], v[88:89], off
	v_accvgpr_write_b32 a55, v67
	buffer_store_dword v30, off, s[0:3], 0 offset:88
	buffer_store_dword v31, off, s[0:3], 0 offset:92
	global_load_dwordx2 v[30:31], v[90:91], off
	v_accvgpr_write_b32 a56, v68
	global_load_dwordx2 v[66:67], v[92:93], off
	v_accvgpr_write_b32 a57, v69
	;; [unrolled: 6-line block ×3, first 2 shown]
	s_waitcnt vmcnt(56)
	buffer_store_dword v28, off, s[0:3], 0 offset:104
	buffer_store_dword v29, off, s[0:3], 0 offset:108
	global_load_dwordx2 v[28:29], v[98:99], off
	v_accvgpr_write_b32 a60, v72
	global_load_dwordx2 v[70:71], v[100:101], off
	v_accvgpr_write_b32 a61, v73
	buffer_store_dword v37, off, s[0:3], 0 offset:116
	buffer_store_dword v36, off, s[0:3], 0 offset:112
	global_load_dwordx2 v[36:37], v[102:103], off
	v_accvgpr_write_b32 a62, v74
	global_load_dwordx2 v[72:73], v[104:105], off
	v_accvgpr_write_b32 a63, v75
	s_waitcnt vmcnt(62)
	buffer_store_dword v34, off, s[0:3], 0 offset:120
	buffer_store_dword v35, off, s[0:3], 0 offset:124
	global_load_dwordx2 v[34:35], v[106:107], off
	v_accvgpr_write_b32 a64, v76
	global_load_dwordx2 v[74:75], v[108:109], off
	v_accvgpr_write_b32 a65, v77
	buffer_store_dword v38, off, s[0:3], 0 offset:128
	buffer_store_dword v39, off, s[0:3], 0 offset:132
	global_load_dwordx2 v[38:39], v[110:111], off
	v_accvgpr_write_b32 a66, v78
	global_load_dwordx2 v[76:77], v[112:113], off
	v_accvgpr_write_b32 a67, v79
	;; [unrolled: 6-line block ×3, first 2 shown]
	s_waitcnt vmcnt(62)
	buffer_store_dword v40, off, s[0:3], 0 offset:144
	buffer_store_dword v41, off, s[0:3], 0 offset:148
	global_load_dwordx2 v[40:41], v[118:119], off
	v_accvgpr_write_b32 a70, v82
	global_load_dwordx2 v[80:81], v[120:121], off
	v_accvgpr_write_b32 a71, v83
	buffer_store_dword v45, off, s[0:3], 0 offset:156
	buffer_store_dword v44, off, s[0:3], 0 offset:152
	global_load_dwordx2 v[44:45], v[122:123], off
	v_accvgpr_write_b32 a72, v84
	global_load_dwordx2 v[82:83], v[124:125], off
	v_accvgpr_write_b32 a73, v85
	buffer_store_dword v47, off, s[0:3], 0 offset:164
	buffer_store_dword v46, off, s[0:3], 0 offset:160
	global_load_dwordx2 v[46:47], v[224:225], off
	v_accvgpr_write_b32 a74, v86
	global_load_dwordx2 v[84:85], v[226:227], off
	v_accvgpr_write_b32 a76, v88
	buffer_store_dword v48, off, s[0:3], 0 offset:168
	buffer_store_dword v49, off, s[0:3], 0 offset:172
	global_load_dwordx2 v[48:49], v[232:233], off
	v_accvgpr_write_b32 a78, v90
	v_accvgpr_write_b32 a80, v92
	;; [unrolled: 1-line block ×19, first 2 shown]
	global_load_dwordx2 v[86:87], v[234:235], off
	v_accvgpr_write_b32 a77, v89
	v_accvgpr_write_b32 a79, v91
	;; [unrolled: 1-line block ×19, first 2 shown]
	s_bitcmp0_b32 s20, 0
	s_mov_b64 s[6:7], -1
	buffer_store_dword v4, off, s[0:3], 0 offset:176
	buffer_store_dword v5, off, s[0:3], 0 offset:180
	s_waitcnt vmcnt(62)
	buffer_store_dword v8, off, s[0:3], 0 offset:184
	buffer_store_dword v9, off, s[0:3], 0 offset:188
	buffer_store_dword v10, off, s[0:3], 0 offset:192
	buffer_store_dword v11, off, s[0:3], 0 offset:196
	buffer_store_dword v15, off, s[0:3], 0 offset:204
	buffer_store_dword v14, off, s[0:3], 0 offset:200
	buffer_store_dword v51, off, s[0:3], 0 offset:212
	buffer_store_dword v50, off, s[0:3], 0 offset:208
	buffer_store_dword v16, off, s[0:3], 0 offset:216
	buffer_store_dword v17, off, s[0:3], 0 offset:220
	buffer_store_dword v52, off, s[0:3], 0 offset:224
	buffer_store_dword v53, off, s[0:3], 0 offset:228
	buffer_store_dword v12, off, s[0:3], 0 offset:232
	buffer_store_dword v13, off, s[0:3], 0 offset:236
	buffer_store_dword v54, off, s[0:3], 0 offset:240
	buffer_store_dword v55, off, s[0:3], 0 offset:244
	buffer_store_dword v21, off, s[0:3], 0 offset:252
	buffer_store_dword v20, off, s[0:3], 0 offset:248
	buffer_store_dword v57, off, s[0:3], 0 offset:260
	buffer_store_dword v56, off, s[0:3], 0 offset:256
	s_waitcnt vmcnt(62)
	buffer_store_dword v18, off, s[0:3], 0 offset:264
	buffer_store_dword v19, off, s[0:3], 0 offset:268
	buffer_store_dword v58, off, s[0:3], 0 offset:272
	buffer_store_dword v59, off, s[0:3], 0 offset:276
	buffer_store_dword v22, off, s[0:3], 0 offset:280
	buffer_store_dword v23, off, s[0:3], 0 offset:284
	buffer_store_dword v60, off, s[0:3], 0 offset:288
	buffer_store_dword v61, off, s[0:3], 0 offset:292
	buffer_store_dword v27, off, s[0:3], 0 offset:300
	buffer_store_dword v26, off, s[0:3], 0 offset:296
	buffer_store_dword v63, off, s[0:3], 0 offset:308
	buffer_store_dword v62, off, s[0:3], 0 offset:304
	buffer_store_dword v24, off, s[0:3], 0 offset:312
	buffer_store_dword v25, off, s[0:3], 0 offset:316
	buffer_store_dword v64, off, s[0:3], 0 offset:320
	buffer_store_dword v65, off, s[0:3], 0 offset:324
	buffer_store_dword v30, off, s[0:3], 0 offset:328
	buffer_store_dword v31, off, s[0:3], 0 offset:332
	;; [unrolled: 21-line block ×4, first 2 shown]
	buffer_store_dword v87, off, s[0:3], 0 offset:500
	buffer_store_dword v86, off, s[0:3], 0 offset:496
	;; [unrolled: 1-line block ×4, first 2 shown]
	s_cbranch_scc1 .LBB127_268
; %bb.4:
	v_cmp_eq_u32_e64 s[4:5], 0, v0
	s_and_saveexec_b64 s[6:7], s[4:5]
	s_cbranch_execz .LBB127_6
; %bb.5:
	v_mov_b32_e32 v1, 0
	ds_write_b32 v1, v1 offset:1024
.LBB127_6:
	s_or_b64 exec, exec, s[6:7]
	v_mov_b32_e32 v1, 0
	v_lshl_add_u32 v7, v0, 3, v1
	s_waitcnt lgkmcnt(0)
	; wave barrier
	s_waitcnt lgkmcnt(0)
	buffer_load_dword v1, v7, s[0:3], 0 offen
	buffer_load_dword v2, v7, s[0:3], 0 offen offset:4
	s_waitcnt vmcnt(1)
	v_cmp_eq_f32_e32 vcc, 0, v1
	s_waitcnt vmcnt(0)
	v_cmp_eq_f32_e64 s[6:7], 0, v2
	s_and_b64 s[6:7], vcc, s[6:7]
	s_and_saveexec_b64 s[12:13], s[6:7]
	s_cbranch_execz .LBB127_10
; %bb.7:
	v_mov_b32_e32 v1, 0
	ds_read_b32 v3, v1 offset:1024
	v_add_u32_e32 v2, 1, v0
	s_waitcnt lgkmcnt(0)
	v_readfirstlane_b32 s6, v3
	s_cmp_eq_u32 s6, 0
	s_cselect_b64 s[18:19], -1, 0
	v_cmp_gt_i32_e32 vcc, s6, v2
	s_or_b64 s[18:19], s[18:19], vcc
	s_and_b64 exec, exec, s[18:19]
	s_cbranch_execz .LBB127_10
; %bb.8:
	s_mov_b64 s[18:19], 0
	v_mov_b32_e32 v3, s6
.LBB127_9:                              ; =>This Inner Loop Header: Depth=1
	ds_cmpst_rtn_b32 v3, v1, v3, v2 offset:1024
	s_waitcnt lgkmcnt(0)
	v_cmp_ne_u32_e32 vcc, 0, v3
	v_cmp_le_i32_e64 s[6:7], v3, v2
	s_and_b64 s[6:7], vcc, s[6:7]
	s_and_b64 s[6:7], exec, s[6:7]
	s_or_b64 s[18:19], s[6:7], s[18:19]
	s_andn2_b64 exec, exec, s[18:19]
	s_cbranch_execnz .LBB127_9
.LBB127_10:
	s_or_b64 exec, exec, s[12:13]
	v_mov_b32_e32 v2, 0
	s_waitcnt lgkmcnt(0)
	; wave barrier
	ds_read_b32 v1, v2 offset:1024
	s_and_saveexec_b64 s[6:7], s[4:5]
	s_cbranch_execz .LBB127_12
; %bb.11:
	s_lshl_b64 s[12:13], s[8:9], 2
	s_add_u32 s12, s14, s12
	s_addc_u32 s13, s15, s13
	s_waitcnt lgkmcnt(0)
	global_store_dword v2, v1, s[12:13]
.LBB127_12:
	s_or_b64 exec, exec, s[6:7]
	s_waitcnt lgkmcnt(0)
	v_cmp_ne_u32_e32 vcc, 0, v1
	s_mov_b64 s[6:7], 0
	s_cbranch_vccnz .LBB127_268
; %bb.13:
	buffer_load_dword v8, v7, s[0:3], 0 offen offset:4
	buffer_load_dword v3, v7, s[0:3], 0 offen
	s_waitcnt vmcnt(1)
	v_cmp_gt_f32_e32 vcc, 0, v8
	v_cndmask_b32_e64 v1, v8, -v8, vcc
	s_waitcnt vmcnt(0)
	v_cmp_gt_f32_e32 vcc, 0, v3
	v_cndmask_b32_e64 v2, v3, -v3, vcc
	v_cmp_ngt_f32_e32 vcc, v2, v1
                                        ; implicit-def: $vgpr1
                                        ; implicit-def: $vgpr2
	s_and_saveexec_b64 s[6:7], vcc
	s_xor_b64 s[6:7], exec, s[6:7]
                                        ; implicit-def: $vgpr4_vgpr5
	s_cbranch_execz .LBB127_15
; %bb.14:
	v_div_scale_f32 v1, s[12:13], v8, v8, v3
	v_rcp_f32_e32 v2, v1
	v_div_scale_f32 v4, vcc, v3, v8, v3
	v_fma_f32 v5, -v1, v2, 1.0
	v_fmac_f32_e32 v2, v5, v2
	v_mul_f32_e32 v5, v4, v2
	v_fma_f32 v9, -v1, v5, v4
	v_fmac_f32_e32 v5, v9, v2
	v_fma_f32 v1, -v1, v5, v4
	v_div_fmas_f32 v1, v1, v2, v5
	v_div_fixup_f32 v2, v1, v8, v3
	v_fmac_f32_e32 v8, v3, v2
	v_div_scale_f32 v1, s[12:13], v8, v8, -1.0
	v_rcp_f32_e32 v3, v1
	v_fma_f32 v4, -v1, v3, 1.0
	v_fmac_f32_e32 v3, v4, v3
	v_div_scale_f32 v4, vcc, -1.0, v8, -1.0
	v_mul_f32_e32 v5, v4, v3
	v_fma_f32 v9, -v1, v5, v4
	v_fmac_f32_e32 v5, v9, v3
	v_fma_f32 v1, -v1, v5, v4
	v_div_fmas_f32 v1, v1, v3, v5
	v_div_fixup_f32 v1, v1, v8, -1.0
	v_mul_f32_e32 v2, v2, v1
	v_xor_b32_e32 v4, 0x80000000, v2
                                        ; implicit-def: $vgpr3
                                        ; implicit-def: $vgpr8
.LBB127_15:
	s_andn2_saveexec_b64 s[6:7], s[6:7]
	s_cbranch_execz .LBB127_17
; %bb.16:
	v_div_scale_f32 v1, s[12:13], v3, v3, v8
	v_rcp_f32_e32 v2, v1
	v_div_scale_f32 v4, vcc, v8, v3, v8
	v_fma_f32 v5, -v1, v2, 1.0
	v_fmac_f32_e32 v2, v5, v2
	v_mul_f32_e32 v5, v4, v2
	v_fma_f32 v9, -v1, v5, v4
	v_fmac_f32_e32 v5, v9, v2
	v_fma_f32 v1, -v1, v5, v4
	v_div_fmas_f32 v1, v1, v2, v5
	v_div_fixup_f32 v1, v1, v3, v8
	v_fmac_f32_e32 v3, v8, v1
	v_div_scale_f32 v2, s[12:13], v3, v3, 1.0
	v_rcp_f32_e32 v4, v2
	v_fma_f32 v5, -v2, v4, 1.0
	v_fmac_f32_e32 v4, v5, v4
	v_div_scale_f32 v5, vcc, 1.0, v3, 1.0
	v_mul_f32_e32 v8, v5, v4
	v_fma_f32 v9, -v2, v8, v5
	v_fmac_f32_e32 v8, v9, v4
	v_fma_f32 v2, -v2, v8, v5
	v_div_fmas_f32 v2, v2, v4, v8
	v_div_fixup_f32 v4, v2, v3, 1.0
	v_xor_b32_e32 v2, 0x80000000, v4
	v_mul_f32_e64 v1, v1, -v4
.LBB127_17:
	s_or_b64 exec, exec, s[6:7]
	buffer_store_dword v1, v7, s[0:3], 0 offen offset:4
	buffer_store_dword v4, v7, s[0:3], 0 offen
	buffer_load_dword v5, off, s[0:3], 0 offset:12
	s_nop 0
	buffer_load_dword v4, off, s[0:3], 0 offset:8
	v_xor_b32_e32 v3, 0x80000000, v1
	v_or_b32_e32 v1, 0x200, v6
	s_waitcnt vmcnt(0)
	ds_write2st64_b64 v6, v[2:3], v[4:5] offset1:1
	s_waitcnt lgkmcnt(0)
	; wave barrier
	s_waitcnt lgkmcnt(0)
	s_and_saveexec_b64 s[6:7], s[4:5]
	s_cbranch_execz .LBB127_19
; %bb.18:
	buffer_load_dword v8, v7, s[0:3], 0 offen offset:4
	buffer_load_dword v9, v7, s[0:3], 0 offen
	ds_read_b64 v[2:3], v1
	v_mov_b32_e32 v4, 0
	ds_read_b64 v[4:5], v4 offset:8
	s_waitcnt vmcnt(1) lgkmcnt(1)
	v_mul_f32_e32 v10, v3, v8
	v_mul_f32_e32 v8, v2, v8
	s_waitcnt vmcnt(0)
	v_fmac_f32_e32 v8, v3, v9
	v_fma_f32 v2, v2, v9, -v10
	v_add_f32_e32 v3, 0, v8
	v_add_f32_e32 v2, 0, v2
	s_waitcnt lgkmcnt(0)
	v_mul_f32_e32 v8, v3, v5
	v_mul_f32_e32 v5, v2, v5
	v_fma_f32 v2, v2, v4, -v8
	v_fmac_f32_e32 v5, v3, v4
	buffer_store_dword v2, off, s[0:3], 0 offset:8
	buffer_store_dword v5, off, s[0:3], 0 offset:12
.LBB127_19:
	s_or_b64 exec, exec, s[6:7]
	s_waitcnt lgkmcnt(0)
	; wave barrier
	buffer_load_dword v2, off, s[0:3], 0 offset:16
	buffer_load_dword v3, off, s[0:3], 0 offset:20
	v_cmp_gt_u32_e32 vcc, 2, v0
	s_waitcnt vmcnt(0)
	ds_write_b64 v1, v[2:3]
	s_waitcnt lgkmcnt(0)
	; wave barrier
	s_waitcnt lgkmcnt(0)
	s_and_saveexec_b64 s[6:7], vcc
	s_cbranch_execz .LBB127_23
; %bb.20:
	buffer_load_dword v4, v7, s[0:3], 0 offen offset:4
	buffer_load_dword v5, v7, s[0:3], 0 offen
	ds_read_b64 v[2:3], v1
	s_waitcnt vmcnt(1) lgkmcnt(0)
	v_mul_f32_e32 v7, v3, v4
	v_mul_f32_e32 v4, v2, v4
	s_waitcnt vmcnt(0)
	v_fma_f32 v2, v2, v5, -v7
	v_fmac_f32_e32 v4, v3, v5
	v_add_f32_e32 v3, 0, v2
	v_add_f32_e32 v2, 0, v4
	s_and_saveexec_b64 s[12:13], s[4:5]
	s_cbranch_execz .LBB127_22
; %bb.21:
	buffer_load_dword v7, off, s[0:3], 0 offset:12
	buffer_load_dword v8, off, s[0:3], 0 offset:8
	v_mov_b32_e32 v4, 0
	ds_read_b64 v[4:5], v4 offset:520
	s_waitcnt vmcnt(1) lgkmcnt(0)
	v_mul_f32_e32 v9, v4, v7
	v_mul_f32_e32 v7, v5, v7
	s_waitcnt vmcnt(0)
	v_fmac_f32_e32 v9, v5, v8
	v_fma_f32 v4, v4, v8, -v7
	v_add_f32_e32 v2, v2, v9
	v_add_f32_e32 v3, v3, v4
.LBB127_22:
	s_or_b64 exec, exec, s[12:13]
	v_mov_b32_e32 v4, 0
	ds_read_b64 v[4:5], v4 offset:16
	s_waitcnt lgkmcnt(0)
	v_mul_f32_e32 v7, v2, v5
	v_mul_f32_e32 v5, v3, v5
	v_fma_f32 v3, v3, v4, -v7
	v_fmac_f32_e32 v5, v2, v4
	buffer_store_dword v3, off, s[0:3], 0 offset:16
	buffer_store_dword v5, off, s[0:3], 0 offset:20
.LBB127_23:
	s_or_b64 exec, exec, s[6:7]
	s_waitcnt lgkmcnt(0)
	; wave barrier
	buffer_load_dword v2, off, s[0:3], 0 offset:24
	buffer_load_dword v3, off, s[0:3], 0 offset:28
	v_cmp_gt_u32_e32 vcc, 3, v0
	s_waitcnt vmcnt(0)
	ds_write_b64 v1, v[2:3]
	v_add_u32_e32 v2, -1, v0
	s_waitcnt lgkmcnt(0)
	; wave barrier
	s_waitcnt lgkmcnt(0)
	s_and_saveexec_b64 s[4:5], vcc
	s_cbranch_execz .LBB127_27
; %bb.24:
	v_add_u32_e32 v4, -1, v0
	v_or_b32_e32 v5, 0x200, v6
	v_add_u32_e32 v7, 0, v6
	s_mov_b64 s[6:7], 0
	v_mov_b32_e32 v3, 0
	v_mov_b32_e32 v8, 0
.LBB127_25:                             ; =>This Inner Loop Header: Depth=1
	buffer_load_dword v9, v7, s[0:3], 0 offen offset:4
	buffer_load_dword v12, v7, s[0:3], 0 offen
	ds_read_b64 v[10:11], v5
	v_add_u32_e32 v4, 1, v4
	v_cmp_lt_u32_e32 vcc, 1, v4
	v_add_u32_e32 v5, 8, v5
	v_add_u32_e32 v7, 8, v7
	s_or_b64 s[6:7], vcc, s[6:7]
	s_waitcnt vmcnt(1) lgkmcnt(0)
	v_mul_f32_e32 v13, v11, v9
	v_mul_f32_e32 v9, v10, v9
	s_waitcnt vmcnt(0)
	v_fma_f32 v10, v10, v12, -v13
	v_fmac_f32_e32 v9, v11, v12
	v_add_f32_e32 v8, v8, v10
	v_add_f32_e32 v3, v3, v9
	s_andn2_b64 exec, exec, s[6:7]
	s_cbranch_execnz .LBB127_25
; %bb.26:
	s_or_b64 exec, exec, s[6:7]
	v_mov_b32_e32 v4, 0
	ds_read_b64 v[4:5], v4 offset:24
	s_waitcnt lgkmcnt(0)
	v_mul_f32_e32 v7, v3, v5
	v_mul_f32_e32 v5, v8, v5
	v_fma_f32 v7, v8, v4, -v7
	v_fmac_f32_e32 v5, v3, v4
	buffer_store_dword v7, off, s[0:3], 0 offset:24
	buffer_store_dword v5, off, s[0:3], 0 offset:28
.LBB127_27:
	s_or_b64 exec, exec, s[4:5]
	s_waitcnt lgkmcnt(0)
	; wave barrier
	buffer_load_dword v4, off, s[0:3], 0 offset:32
	buffer_load_dword v5, off, s[0:3], 0 offset:36
	v_cmp_gt_u32_e32 vcc, 4, v0
	s_waitcnt vmcnt(0)
	ds_write_b64 v1, v[4:5]
	s_waitcnt lgkmcnt(0)
	; wave barrier
	s_waitcnt lgkmcnt(0)
	s_and_saveexec_b64 s[4:5], vcc
	s_cbranch_execz .LBB127_31
; %bb.28:
	v_add_u32_e32 v4, -1, v0
	v_or_b32_e32 v5, 0x200, v6
	v_add_u32_e32 v7, 0, v6
	s_mov_b64 s[6:7], 0
	v_mov_b32_e32 v3, 0
	v_mov_b32_e32 v8, 0
.LBB127_29:                             ; =>This Inner Loop Header: Depth=1
	buffer_load_dword v9, v7, s[0:3], 0 offen offset:4
	buffer_load_dword v12, v7, s[0:3], 0 offen
	ds_read_b64 v[10:11], v5
	v_add_u32_e32 v4, 1, v4
	v_cmp_lt_u32_e32 vcc, 2, v4
	v_add_u32_e32 v5, 8, v5
	v_add_u32_e32 v7, 8, v7
	s_or_b64 s[6:7], vcc, s[6:7]
	s_waitcnt vmcnt(1) lgkmcnt(0)
	v_mul_f32_e32 v13, v11, v9
	v_mul_f32_e32 v9, v10, v9
	s_waitcnt vmcnt(0)
	v_fma_f32 v10, v10, v12, -v13
	v_fmac_f32_e32 v9, v11, v12
	v_add_f32_e32 v8, v8, v10
	v_add_f32_e32 v3, v3, v9
	s_andn2_b64 exec, exec, s[6:7]
	s_cbranch_execnz .LBB127_29
; %bb.30:
	s_or_b64 exec, exec, s[6:7]
	v_mov_b32_e32 v4, 0
	ds_read_b64 v[4:5], v4 offset:32
	s_waitcnt lgkmcnt(0)
	v_mul_f32_e32 v7, v3, v5
	v_mul_f32_e32 v5, v8, v5
	v_fma_f32 v7, v8, v4, -v7
	v_fmac_f32_e32 v5, v3, v4
	buffer_store_dword v7, off, s[0:3], 0 offset:32
	buffer_store_dword v5, off, s[0:3], 0 offset:36
.LBB127_31:
	s_or_b64 exec, exec, s[4:5]
	s_waitcnt lgkmcnt(0)
	; wave barrier
	buffer_load_dword v4, off, s[0:3], 0 offset:40
	buffer_load_dword v5, off, s[0:3], 0 offset:44
	v_cmp_gt_u32_e32 vcc, 5, v0
	s_waitcnt vmcnt(0)
	ds_write_b64 v1, v[4:5]
	;; [unrolled: 51-line block ×19, first 2 shown]
	s_waitcnt lgkmcnt(0)
	; wave barrier
	s_waitcnt lgkmcnt(0)
	s_and_saveexec_b64 s[4:5], vcc
	s_cbranch_execz .LBB127_103
; %bb.100:
	v_add_u32_e32 v4, -1, v0
	v_or_b32_e32 v5, 0x200, v6
	v_add_u32_e32 v7, 0, v6
	s_mov_b64 s[6:7], 0
	v_mov_b32_e32 v3, 0
	v_mov_b32_e32 v8, 0
.LBB127_101:                            ; =>This Inner Loop Header: Depth=1
	buffer_load_dword v9, v7, s[0:3], 0 offen offset:4
	buffer_load_dword v12, v7, s[0:3], 0 offen
	ds_read_b64 v[10:11], v5
	v_add_u32_e32 v4, 1, v4
	v_cmp_lt_u32_e32 vcc, 20, v4
	v_add_u32_e32 v5, 8, v5
	v_add_u32_e32 v7, 8, v7
	s_or_b64 s[6:7], vcc, s[6:7]
	s_waitcnt vmcnt(1) lgkmcnt(0)
	v_mul_f32_e32 v13, v11, v9
	v_mul_f32_e32 v9, v10, v9
	s_waitcnt vmcnt(0)
	v_fma_f32 v10, v10, v12, -v13
	v_fmac_f32_e32 v9, v11, v12
	v_add_f32_e32 v8, v8, v10
	v_add_f32_e32 v3, v3, v9
	s_andn2_b64 exec, exec, s[6:7]
	s_cbranch_execnz .LBB127_101
; %bb.102:
	s_or_b64 exec, exec, s[6:7]
	v_mov_b32_e32 v4, 0
	ds_read_b64 v[4:5], v4 offset:176
	s_waitcnt lgkmcnt(0)
	v_mul_f32_e32 v7, v3, v5
	v_mul_f32_e32 v5, v8, v5
	v_fma_f32 v7, v8, v4, -v7
	v_fmac_f32_e32 v5, v3, v4
	buffer_store_dword v7, off, s[0:3], 0 offset:176
	buffer_store_dword v5, off, s[0:3], 0 offset:180
.LBB127_103:
	s_or_b64 exec, exec, s[4:5]
	s_waitcnt lgkmcnt(0)
	; wave barrier
	buffer_load_dword v4, off, s[0:3], 0 offset:184
	buffer_load_dword v5, off, s[0:3], 0 offset:188
	v_cmp_gt_u32_e32 vcc, 23, v0
	s_waitcnt vmcnt(0)
	ds_write_b64 v1, v[4:5]
	s_waitcnt lgkmcnt(0)
	; wave barrier
	s_waitcnt lgkmcnt(0)
	s_and_saveexec_b64 s[4:5], vcc
	s_cbranch_execz .LBB127_107
; %bb.104:
	v_add_u32_e32 v4, -1, v0
	v_or_b32_e32 v5, 0x200, v6
	v_add_u32_e32 v7, 0, v6
	s_mov_b64 s[6:7], 0
	v_mov_b32_e32 v3, 0
	v_mov_b32_e32 v8, 0
.LBB127_105:                            ; =>This Inner Loop Header: Depth=1
	buffer_load_dword v9, v7, s[0:3], 0 offen offset:4
	buffer_load_dword v12, v7, s[0:3], 0 offen
	ds_read_b64 v[10:11], v5
	v_add_u32_e32 v4, 1, v4
	v_cmp_lt_u32_e32 vcc, 21, v4
	v_add_u32_e32 v5, 8, v5
	v_add_u32_e32 v7, 8, v7
	s_or_b64 s[6:7], vcc, s[6:7]
	s_waitcnt vmcnt(1) lgkmcnt(0)
	v_mul_f32_e32 v13, v11, v9
	v_mul_f32_e32 v9, v10, v9
	s_waitcnt vmcnt(0)
	v_fma_f32 v10, v10, v12, -v13
	v_fmac_f32_e32 v9, v11, v12
	v_add_f32_e32 v8, v8, v10
	v_add_f32_e32 v3, v3, v9
	s_andn2_b64 exec, exec, s[6:7]
	s_cbranch_execnz .LBB127_105
; %bb.106:
	s_or_b64 exec, exec, s[6:7]
	v_mov_b32_e32 v4, 0
	ds_read_b64 v[4:5], v4 offset:184
	s_waitcnt lgkmcnt(0)
	v_mul_f32_e32 v7, v3, v5
	v_mul_f32_e32 v5, v8, v5
	v_fma_f32 v7, v8, v4, -v7
	v_fmac_f32_e32 v5, v3, v4
	buffer_store_dword v7, off, s[0:3], 0 offset:184
	buffer_store_dword v5, off, s[0:3], 0 offset:188
.LBB127_107:
	s_or_b64 exec, exec, s[4:5]
	s_waitcnt lgkmcnt(0)
	; wave barrier
	buffer_load_dword v4, off, s[0:3], 0 offset:192
	buffer_load_dword v5, off, s[0:3], 0 offset:196
	v_cmp_gt_u32_e32 vcc, 24, v0
	s_waitcnt vmcnt(0)
	ds_write_b64 v1, v[4:5]
	;; [unrolled: 51-line block ×40, first 2 shown]
	s_waitcnt lgkmcnt(0)
	; wave barrier
	s_waitcnt lgkmcnt(0)
	s_and_saveexec_b64 s[4:5], vcc
	s_cbranch_execz .LBB127_263
; %bb.260:
	v_add_u32_e32 v4, -1, v0
	v_or_b32_e32 v5, 0x200, v6
	v_add_u32_e32 v7, 0, v6
	s_mov_b64 s[6:7], 0
	v_mov_b32_e32 v3, 0
	v_mov_b32_e32 v8, 0
.LBB127_261:                            ; =>This Inner Loop Header: Depth=1
	buffer_load_dword v9, v7, s[0:3], 0 offen offset:4
	buffer_load_dword v12, v7, s[0:3], 0 offen
	ds_read_b64 v[10:11], v5
	v_add_u32_e32 v4, 1, v4
	v_cmp_lt_u32_e32 vcc, 60, v4
	v_add_u32_e32 v5, 8, v5
	v_add_u32_e32 v7, 8, v7
	s_or_b64 s[6:7], vcc, s[6:7]
	s_waitcnt vmcnt(1) lgkmcnt(0)
	v_mul_f32_e32 v13, v11, v9
	v_mul_f32_e32 v9, v10, v9
	s_waitcnt vmcnt(0)
	v_fma_f32 v10, v10, v12, -v13
	v_fmac_f32_e32 v9, v11, v12
	v_add_f32_e32 v8, v8, v10
	v_add_f32_e32 v3, v3, v9
	s_andn2_b64 exec, exec, s[6:7]
	s_cbranch_execnz .LBB127_261
; %bb.262:
	s_or_b64 exec, exec, s[6:7]
	v_mov_b32_e32 v4, 0
	ds_read_b64 v[4:5], v4 offset:496
	s_waitcnt lgkmcnt(0)
	v_mul_f32_e32 v7, v3, v5
	v_mul_f32_e32 v5, v8, v5
	v_fma_f32 v7, v8, v4, -v7
	v_fmac_f32_e32 v5, v3, v4
	buffer_store_dword v7, off, s[0:3], 0 offset:496
	buffer_store_dword v5, off, s[0:3], 0 offset:500
.LBB127_263:
	s_or_b64 exec, exec, s[4:5]
	s_waitcnt lgkmcnt(0)
	; wave barrier
	buffer_load_dword v4, off, s[0:3], 0 offset:504
	buffer_load_dword v5, off, s[0:3], 0 offset:508
	v_cmp_ne_u32_e32 vcc, 63, v0
	s_waitcnt vmcnt(0)
	ds_write_b64 v1, v[4:5]
	s_waitcnt lgkmcnt(0)
	; wave barrier
	s_waitcnt lgkmcnt(0)
	s_and_saveexec_b64 s[4:5], vcc
	s_cbranch_execz .LBB127_267
; %bb.264:
	v_or_b32_e32 v3, 0x200, v6
	v_add_u32_e32 v4, 0, v6
	s_mov_b64 s[6:7], 0
	v_mov_b32_e32 v1, 0
	v_mov_b32_e32 v5, 0
.LBB127_265:                            ; =>This Inner Loop Header: Depth=1
	buffer_load_dword v8, v4, s[0:3], 0 offen offset:4
	buffer_load_dword v9, v4, s[0:3], 0 offen
	ds_read_b64 v[6:7], v3
	v_add_u32_e32 v2, 1, v2
	v_cmp_lt_u32_e32 vcc, 61, v2
	v_add_u32_e32 v3, 8, v3
	v_add_u32_e32 v4, 8, v4
	s_or_b64 s[6:7], vcc, s[6:7]
	s_waitcnt vmcnt(1) lgkmcnt(0)
	v_mul_f32_e32 v10, v7, v8
	v_mul_f32_e32 v8, v6, v8
	s_waitcnt vmcnt(0)
	v_fma_f32 v6, v6, v9, -v10
	v_fmac_f32_e32 v8, v7, v9
	v_add_f32_e32 v5, v5, v6
	v_add_f32_e32 v1, v1, v8
	s_andn2_b64 exec, exec, s[6:7]
	s_cbranch_execnz .LBB127_265
; %bb.266:
	s_or_b64 exec, exec, s[6:7]
	v_mov_b32_e32 v2, 0
	ds_read_b64 v[2:3], v2 offset:504
	s_waitcnt lgkmcnt(0)
	v_mul_f32_e32 v4, v1, v3
	v_mul_f32_e32 v3, v5, v3
	v_fma_f32 v4, v5, v2, -v4
	v_fmac_f32_e32 v3, v1, v2
	buffer_store_dword v4, off, s[0:3], 0 offset:504
	buffer_store_dword v3, off, s[0:3], 0 offset:508
.LBB127_267:
	s_or_b64 exec, exec, s[4:5]
	s_mov_b64 s[6:7], -1
	s_waitcnt lgkmcnt(0)
	; wave barrier
.LBB127_268:
	s_and_b64 vcc, exec, s[6:7]
	s_cbranch_vccz .LBB127_270
; %bb.269:
	s_lshl_b64 s[4:5], s[8:9], 2
	s_add_u32 s4, s14, s4
	s_addc_u32 s5, s15, s5
	v_mov_b32_e32 v1, 0
	global_load_dword v1, v1, s[4:5]
	s_waitcnt vmcnt(0)
	v_cmp_ne_u32_e32 vcc, 0, v1
	s_cbranch_vccz .LBB127_271
.LBB127_270:
	s_endpgm
.LBB127_271:
	v_mov_b32_e32 v1, 0x200
	v_lshl_or_b32 v223, v0, 3, v1
	v_cmp_eq_u32_e32 vcc, 63, v0
	s_and_saveexec_b64 s[4:5], vcc
	s_cbranch_execz .LBB127_273
; %bb.272:
	buffer_load_dword v2, off, s[0:3], 0 offset:496
	buffer_load_dword v3, off, s[0:3], 0 offset:500
	v_mov_b32_e32 v1, 0
	buffer_store_dword v1, off, s[0:3], 0 offset:496
	buffer_store_dword v1, off, s[0:3], 0 offset:500
	s_waitcnt vmcnt(2)
	ds_write_b64 v223, v[2:3]
.LBB127_273:
	s_or_b64 exec, exec, s[4:5]
	s_waitcnt lgkmcnt(0)
	; wave barrier
	s_waitcnt lgkmcnt(0)
	buffer_load_dword v3, off, s[0:3], 0 offset:508
	buffer_load_dword v2, off, s[0:3], 0 offset:504
	;; [unrolled: 1-line block ×4, first 2 shown]
	v_mov_b32_e32 v1, 0
	ds_read_b64 v[6:7], v1 offset:1016
	v_cmp_lt_u32_e32 vcc, 61, v0
	s_waitcnt vmcnt(3)
	v_mov_b32_e32 v8, v3
	s_waitcnt lgkmcnt(0)
	v_pk_mul_f32 v[8:9], v[6:7], v[8:9] op_sel_hi:[1,0]
	s_waitcnt vmcnt(2)
	v_pk_fma_f32 v[10:11], v[6:7], v[2:3], v[8:9] op_sel:[0,0,1] op_sel_hi:[1,1,0] neg_lo:[0,0,1] neg_hi:[0,0,1]
	v_pk_fma_f32 v[2:3], v[6:7], v[2:3], v[8:9] op_sel:[0,0,1] op_sel_hi:[1,0,0]
	v_mov_b32_e32 v11, v3
	v_pk_add_f32 v[2:3], v[10:11], 0 op_sel_hi:[1,0]
	s_waitcnt vmcnt(0)
	v_pk_add_f32 v[2:3], v[4:5], v[2:3] neg_lo:[0,1] neg_hi:[0,1]
	buffer_store_dword v2, off, s[0:3], 0 offset:496
	buffer_store_dword v3, off, s[0:3], 0 offset:500
	s_and_saveexec_b64 s[4:5], vcc
	s_cbranch_execz .LBB127_275
; %bb.274:
	buffer_load_dword v2, off, s[0:3], 0 offset:488
	buffer_load_dword v3, off, s[0:3], 0 offset:492
	s_waitcnt vmcnt(0)
	ds_write_b64 v223, v[2:3]
	buffer_store_dword v1, off, s[0:3], 0 offset:488
	buffer_store_dword v1, off, s[0:3], 0 offset:492
.LBB127_275:
	s_or_b64 exec, exec, s[4:5]
	s_waitcnt lgkmcnt(0)
	; wave barrier
	s_waitcnt lgkmcnt(0)
	buffer_load_dword v7, off, s[0:3], 0 offset:500
	buffer_load_dword v9, off, s[0:3], 0 offset:508
	;; [unrolled: 1-line block ×6, first 2 shown]
	ds_read_b128 v[2:5], v1 offset:1008
	v_cmp_lt_u32_e32 vcc, 60, v0
	s_waitcnt vmcnt(5)
	v_mov_b32_e32 v12, v7
	s_waitcnt vmcnt(4)
	v_mov_b32_e32 v14, v9
	s_waitcnt lgkmcnt(0)
	v_pk_mul_f32 v[12:13], v[2:3], v[12:13] op_sel_hi:[1,0]
	v_pk_mul_f32 v[14:15], v[4:5], v[14:15] op_sel_hi:[1,0]
	s_waitcnt vmcnt(3)
	v_pk_fma_f32 v[16:17], v[2:3], v[6:7], v[12:13] op_sel:[0,0,1] op_sel_hi:[1,1,0] neg_lo:[0,0,1] neg_hi:[0,0,1]
	v_pk_fma_f32 v[2:3], v[2:3], v[6:7], v[12:13] op_sel:[0,0,1] op_sel_hi:[1,0,0]
	s_waitcnt vmcnt(2)
	v_pk_fma_f32 v[6:7], v[4:5], v[8:9], v[14:15] op_sel:[0,0,1] op_sel_hi:[1,1,0] neg_lo:[0,0,1] neg_hi:[0,0,1]
	v_pk_fma_f32 v[4:5], v[4:5], v[8:9], v[14:15] op_sel:[0,0,1] op_sel_hi:[1,0,0]
	v_mov_b32_e32 v17, v3
	v_mov_b32_e32 v7, v5
	v_pk_add_f32 v[2:3], v[16:17], 0 op_sel_hi:[1,0]
	v_pk_add_f32 v[2:3], v[2:3], v[6:7]
	s_waitcnt vmcnt(0)
	v_pk_add_f32 v[2:3], v[10:11], v[2:3] neg_lo:[0,1] neg_hi:[0,1]
	buffer_store_dword v2, off, s[0:3], 0 offset:488
	buffer_store_dword v3, off, s[0:3], 0 offset:492
	s_and_saveexec_b64 s[4:5], vcc
	s_cbranch_execz .LBB127_277
; %bb.276:
	buffer_load_dword v2, off, s[0:3], 0 offset:480
	buffer_load_dword v3, off, s[0:3], 0 offset:484
	v_mov_b32_e32 v1, 0
	buffer_store_dword v1, off, s[0:3], 0 offset:480
	buffer_store_dword v1, off, s[0:3], 0 offset:484
	s_waitcnt vmcnt(2)
	ds_write_b64 v223, v[2:3]
.LBB127_277:
	s_or_b64 exec, exec, s[4:5]
	s_waitcnt lgkmcnt(0)
	; wave barrier
	s_waitcnt lgkmcnt(0)
	buffer_load_dword v7, off, s[0:3], 0 offset:492
	buffer_load_dword v9, off, s[0:3], 0 offset:500
	;; [unrolled: 1-line block ×8, first 2 shown]
	v_mov_b32_e32 v1, 0
	ds_read2_b64 v[2:5], v1 offset0:125 offset1:126
	ds_read_b64 v[14:15], v1 offset:1016
	v_cmp_lt_u32_e32 vcc, 59, v0
	s_waitcnt vmcnt(7)
	v_mov_b32_e32 v16, v7
	s_waitcnt vmcnt(6)
	v_mov_b32_e32 v18, v9
	s_waitcnt lgkmcnt(1)
	v_pk_mul_f32 v[16:17], v[2:3], v[16:17] op_sel_hi:[1,0]
	s_waitcnt vmcnt(5)
	v_mov_b32_e32 v20, v11
	v_pk_mul_f32 v[18:19], v[4:5], v[18:19] op_sel_hi:[1,0]
	s_waitcnt vmcnt(4)
	v_pk_fma_f32 v[22:23], v[2:3], v[6:7], v[16:17] op_sel:[0,0,1] op_sel_hi:[1,1,0] neg_lo:[0,0,1] neg_hi:[0,0,1]
	v_pk_fma_f32 v[2:3], v[2:3], v[6:7], v[16:17] op_sel:[0,0,1] op_sel_hi:[1,0,0]
	s_waitcnt lgkmcnt(0)
	v_pk_mul_f32 v[20:21], v[14:15], v[20:21] op_sel_hi:[1,0]
	s_waitcnt vmcnt(3)
	v_pk_fma_f32 v[6:7], v[4:5], v[8:9], v[18:19] op_sel:[0,0,1] op_sel_hi:[1,1,0] neg_lo:[0,0,1] neg_hi:[0,0,1]
	v_pk_fma_f32 v[4:5], v[4:5], v[8:9], v[18:19] op_sel:[0,0,1] op_sel_hi:[1,0,0]
	v_mov_b32_e32 v23, v3
	s_waitcnt vmcnt(2)
	v_pk_fma_f32 v[8:9], v[14:15], v[10:11], v[20:21] op_sel:[0,0,1] op_sel_hi:[1,1,0] neg_lo:[0,0,1] neg_hi:[0,0,1]
	v_pk_fma_f32 v[10:11], v[14:15], v[10:11], v[20:21] op_sel:[0,0,1] op_sel_hi:[1,0,0]
	v_mov_b32_e32 v7, v5
	v_pk_add_f32 v[2:3], v[22:23], 0 op_sel_hi:[1,0]
	v_mov_b32_e32 v9, v11
	v_pk_add_f32 v[2:3], v[2:3], v[6:7]
	v_pk_add_f32 v[2:3], v[2:3], v[8:9]
	s_waitcnt vmcnt(0)
	v_pk_add_f32 v[2:3], v[12:13], v[2:3] neg_lo:[0,1] neg_hi:[0,1]
	buffer_store_dword v2, off, s[0:3], 0 offset:480
	buffer_store_dword v3, off, s[0:3], 0 offset:484
	s_and_saveexec_b64 s[4:5], vcc
	s_cbranch_execz .LBB127_279
; %bb.278:
	buffer_load_dword v2, off, s[0:3], 0 offset:472
	buffer_load_dword v3, off, s[0:3], 0 offset:476
	s_waitcnt vmcnt(0)
	ds_write_b64 v223, v[2:3]
	buffer_store_dword v1, off, s[0:3], 0 offset:472
	buffer_store_dword v1, off, s[0:3], 0 offset:476
.LBB127_279:
	s_or_b64 exec, exec, s[4:5]
	s_waitcnt lgkmcnt(0)
	; wave barrier
	s_waitcnt lgkmcnt(0)
	buffer_load_dword v11, off, s[0:3], 0 offset:484
	buffer_load_dword v13, off, s[0:3], 0 offset:492
	;; [unrolled: 1-line block ×10, first 2 shown]
	ds_read_b128 v[2:5], v1 offset:992
	ds_read_b128 v[6:9], v1 offset:1008
	v_cmp_lt_u32_e32 vcc, 58, v0
	s_waitcnt vmcnt(9)
	v_mov_b32_e32 v20, v11
	s_waitcnt vmcnt(8)
	v_mov_b32_e32 v22, v13
	s_waitcnt lgkmcnt(1)
	v_pk_mul_f32 v[20:21], v[2:3], v[20:21] op_sel_hi:[1,0]
	s_waitcnt vmcnt(7)
	v_mov_b32_e32 v24, v15
	v_pk_mul_f32 v[22:23], v[4:5], v[22:23] op_sel_hi:[1,0]
	s_waitcnt vmcnt(5)
	v_pk_fma_f32 v[28:29], v[2:3], v[10:11], v[20:21] op_sel:[0,0,1] op_sel_hi:[1,1,0] neg_lo:[0,0,1] neg_hi:[0,0,1]
	v_pk_fma_f32 v[2:3], v[2:3], v[10:11], v[20:21] op_sel:[0,0,1] op_sel_hi:[1,0,0]
	v_mov_b32_e32 v26, v17
	s_waitcnt lgkmcnt(0)
	v_pk_mul_f32 v[24:25], v[6:7], v[24:25] op_sel_hi:[1,0]
	s_waitcnt vmcnt(4)
	v_pk_fma_f32 v[10:11], v[4:5], v[12:13], v[22:23] op_sel:[0,0,1] op_sel_hi:[1,1,0] neg_lo:[0,0,1] neg_hi:[0,0,1]
	v_pk_fma_f32 v[4:5], v[4:5], v[12:13], v[22:23] op_sel:[0,0,1] op_sel_hi:[1,0,0]
	v_mov_b32_e32 v29, v3
	v_pk_mul_f32 v[26:27], v[8:9], v[26:27] op_sel_hi:[1,0]
	s_waitcnt vmcnt(3)
	v_pk_fma_f32 v[12:13], v[6:7], v[14:15], v[24:25] op_sel:[0,0,1] op_sel_hi:[1,1,0] neg_lo:[0,0,1] neg_hi:[0,0,1]
	v_pk_fma_f32 v[6:7], v[6:7], v[14:15], v[24:25] op_sel:[0,0,1] op_sel_hi:[1,0,0]
	v_mov_b32_e32 v11, v5
	v_pk_add_f32 v[2:3], v[28:29], 0 op_sel_hi:[1,0]
	s_waitcnt vmcnt(2)
	v_pk_fma_f32 v[14:15], v[8:9], v[16:17], v[26:27] op_sel:[0,0,1] op_sel_hi:[1,1,0] neg_lo:[0,0,1] neg_hi:[0,0,1]
	v_pk_fma_f32 v[8:9], v[8:9], v[16:17], v[26:27] op_sel:[0,0,1] op_sel_hi:[1,0,0]
	v_mov_b32_e32 v13, v7
	v_pk_add_f32 v[2:3], v[2:3], v[10:11]
	v_mov_b32_e32 v15, v9
	v_pk_add_f32 v[2:3], v[2:3], v[12:13]
	v_pk_add_f32 v[2:3], v[2:3], v[14:15]
	s_waitcnt vmcnt(0)
	v_pk_add_f32 v[2:3], v[18:19], v[2:3] neg_lo:[0,1] neg_hi:[0,1]
	buffer_store_dword v2, off, s[0:3], 0 offset:472
	buffer_store_dword v3, off, s[0:3], 0 offset:476
	s_and_saveexec_b64 s[4:5], vcc
	s_cbranch_execz .LBB127_281
; %bb.280:
	buffer_load_dword v2, off, s[0:3], 0 offset:464
	buffer_load_dword v3, off, s[0:3], 0 offset:468
	v_mov_b32_e32 v1, 0
	buffer_store_dword v1, off, s[0:3], 0 offset:464
	buffer_store_dword v1, off, s[0:3], 0 offset:468
	s_waitcnt vmcnt(2)
	ds_write_b64 v223, v[2:3]
.LBB127_281:
	s_or_b64 exec, exec, s[4:5]
	s_waitcnt lgkmcnt(0)
	; wave barrier
	s_waitcnt lgkmcnt(0)
	buffer_load_dword v11, off, s[0:3], 0 offset:476
	buffer_load_dword v13, off, s[0:3], 0 offset:484
	;; [unrolled: 1-line block ×12, first 2 shown]
	v_mov_b32_e32 v1, 0
	ds_read2_b64 v[2:5], v1 offset0:123 offset1:124
	ds_read2_b64 v[6:9], v1 offset0:125 offset1:126
	ds_read_b64 v[22:23], v1 offset:1016
	v_cmp_lt_u32_e32 vcc, 57, v0
	s_waitcnt vmcnt(11)
	v_mov_b32_e32 v24, v11
	s_waitcnt vmcnt(10)
	v_mov_b32_e32 v26, v13
	s_waitcnt lgkmcnt(2)
	v_pk_mul_f32 v[24:25], v[2:3], v[24:25] op_sel_hi:[1,0]
	s_waitcnt vmcnt(9)
	v_mov_b32_e32 v28, v15
	v_pk_mul_f32 v[26:27], v[4:5], v[26:27] op_sel_hi:[1,0]
	s_waitcnt vmcnt(6)
	v_pk_fma_f32 v[34:35], v[2:3], v[10:11], v[24:25] op_sel:[0,0,1] op_sel_hi:[1,1,0] neg_lo:[0,0,1] neg_hi:[0,0,1]
	v_pk_fma_f32 v[2:3], v[2:3], v[10:11], v[24:25] op_sel:[0,0,1] op_sel_hi:[1,0,0]
	v_mov_b32_e32 v30, v17
	s_waitcnt lgkmcnt(1)
	v_pk_mul_f32 v[28:29], v[6:7], v[28:29] op_sel_hi:[1,0]
	s_waitcnt vmcnt(5)
	v_pk_fma_f32 v[10:11], v[4:5], v[12:13], v[26:27] op_sel:[0,0,1] op_sel_hi:[1,1,0] neg_lo:[0,0,1] neg_hi:[0,0,1]
	v_pk_fma_f32 v[4:5], v[4:5], v[12:13], v[26:27] op_sel:[0,0,1] op_sel_hi:[1,0,0]
	v_mov_b32_e32 v35, v3
	v_mov_b32_e32 v32, v19
	v_pk_mul_f32 v[30:31], v[8:9], v[30:31] op_sel_hi:[1,0]
	s_waitcnt vmcnt(4)
	v_pk_fma_f32 v[12:13], v[6:7], v[14:15], v[28:29] op_sel:[0,0,1] op_sel_hi:[1,1,0] neg_lo:[0,0,1] neg_hi:[0,0,1]
	v_pk_fma_f32 v[6:7], v[6:7], v[14:15], v[28:29] op_sel:[0,0,1] op_sel_hi:[1,0,0]
	v_mov_b32_e32 v11, v5
	v_pk_add_f32 v[2:3], v[34:35], 0 op_sel_hi:[1,0]
	s_waitcnt lgkmcnt(0)
	v_pk_mul_f32 v[32:33], v[22:23], v[32:33] op_sel_hi:[1,0]
	s_waitcnt vmcnt(3)
	v_pk_fma_f32 v[14:15], v[8:9], v[16:17], v[30:31] op_sel:[0,0,1] op_sel_hi:[1,1,0] neg_lo:[0,0,1] neg_hi:[0,0,1]
	v_pk_fma_f32 v[8:9], v[8:9], v[16:17], v[30:31] op_sel:[0,0,1] op_sel_hi:[1,0,0]
	v_mov_b32_e32 v13, v7
	v_pk_add_f32 v[2:3], v[2:3], v[10:11]
	s_waitcnt vmcnt(2)
	v_pk_fma_f32 v[16:17], v[22:23], v[18:19], v[32:33] op_sel:[0,0,1] op_sel_hi:[1,1,0] neg_lo:[0,0,1] neg_hi:[0,0,1]
	v_pk_fma_f32 v[18:19], v[22:23], v[18:19], v[32:33] op_sel:[0,0,1] op_sel_hi:[1,0,0]
	v_mov_b32_e32 v15, v9
	v_pk_add_f32 v[2:3], v[2:3], v[12:13]
	v_mov_b32_e32 v17, v19
	v_pk_add_f32 v[2:3], v[2:3], v[14:15]
	v_pk_add_f32 v[2:3], v[2:3], v[16:17]
	s_waitcnt vmcnt(0)
	v_pk_add_f32 v[2:3], v[20:21], v[2:3] neg_lo:[0,1] neg_hi:[0,1]
	buffer_store_dword v2, off, s[0:3], 0 offset:464
	buffer_store_dword v3, off, s[0:3], 0 offset:468
	s_and_saveexec_b64 s[4:5], vcc
	s_cbranch_execz .LBB127_283
; %bb.282:
	buffer_load_dword v2, off, s[0:3], 0 offset:456
	buffer_load_dword v3, off, s[0:3], 0 offset:460
	s_waitcnt vmcnt(0)
	ds_write_b64 v223, v[2:3]
	buffer_store_dword v1, off, s[0:3], 0 offset:456
	buffer_store_dword v1, off, s[0:3], 0 offset:460
.LBB127_283:
	s_or_b64 exec, exec, s[4:5]
	s_waitcnt lgkmcnt(0)
	; wave barrier
	s_waitcnt lgkmcnt(0)
	buffer_load_dword v14, off, s[0:3], 0 offset:456
	buffer_load_dword v15, off, s[0:3], 0 offset:460
	;; [unrolled: 1-line block ×14, first 2 shown]
	ds_read_b128 v[2:5], v1 offset:976
	ds_read_b128 v[6:9], v1 offset:992
	;; [unrolled: 1-line block ×3, first 2 shown]
	v_cmp_lt_u32_e32 vcc, 56, v0
	s_waitcnt vmcnt(10)
	v_mov_b32_e32 v28, v17
	s_waitcnt lgkmcnt(2)
	v_pk_mul_f32 v[28:29], v[2:3], v[28:29] op_sel_hi:[1,0]
	v_pk_fma_f32 v[30:31], v[2:3], v[16:17], v[28:29] op_sel:[0,0,1] op_sel_hi:[1,1,0] neg_lo:[0,0,1] neg_hi:[0,0,1]
	v_pk_fma_f32 v[2:3], v[2:3], v[16:17], v[28:29] op_sel:[0,0,1] op_sel_hi:[1,0,0]
	s_waitcnt vmcnt(8)
	v_mov_b32_e32 v16, v19
	v_pk_mul_f32 v[16:17], v[4:5], v[16:17] op_sel_hi:[1,0]
	v_pk_fma_f32 v[28:29], v[4:5], v[18:19], v[16:17] op_sel:[0,0,1] op_sel_hi:[1,1,0] neg_lo:[0,0,1] neg_hi:[0,0,1]
	v_pk_fma_f32 v[4:5], v[4:5], v[18:19], v[16:17] op_sel:[0,0,1] op_sel_hi:[1,0,0]
	s_waitcnt vmcnt(6)
	v_mov_b32_e32 v4, v21
	v_mov_b32_e32 v29, v5
	s_waitcnt lgkmcnt(1)
	v_pk_mul_f32 v[4:5], v[6:7], v[4:5] op_sel_hi:[1,0]
	v_pk_fma_f32 v[16:17], v[6:7], v[20:21], v[4:5] op_sel:[0,0,1] op_sel_hi:[1,1,0] neg_lo:[0,0,1] neg_hi:[0,0,1]
	v_pk_fma_f32 v[4:5], v[6:7], v[20:21], v[4:5] op_sel:[0,0,1] op_sel_hi:[1,0,0]
	s_waitcnt vmcnt(4)
	v_mov_b32_e32 v4, v23
	v_mov_b32_e32 v31, v3
	;; [unrolled: 1-line block ×3, first 2 shown]
	v_pk_mul_f32 v[4:5], v[8:9], v[4:5] op_sel_hi:[1,0]
	v_pk_add_f32 v[2:3], v[30:31], 0 op_sel_hi:[1,0]
	v_pk_fma_f32 v[6:7], v[8:9], v[22:23], v[4:5] op_sel:[0,0,1] op_sel_hi:[1,1,0] neg_lo:[0,0,1] neg_hi:[0,0,1]
	v_pk_fma_f32 v[4:5], v[8:9], v[22:23], v[4:5] op_sel:[0,0,1] op_sel_hi:[1,0,0]
	v_pk_add_f32 v[2:3], v[2:3], v[28:29]
	s_waitcnt vmcnt(2)
	v_mov_b32_e32 v4, v25
	v_pk_add_f32 v[2:3], v[2:3], v[16:17]
	v_mov_b32_e32 v7, v5
	s_waitcnt lgkmcnt(0)
	v_pk_mul_f32 v[4:5], v[10:11], v[4:5] op_sel_hi:[1,0]
	v_pk_add_f32 v[2:3], v[2:3], v[6:7]
	v_pk_fma_f32 v[6:7], v[10:11], v[24:25], v[4:5] op_sel:[0,0,1] op_sel_hi:[1,1,0] neg_lo:[0,0,1] neg_hi:[0,0,1]
	v_pk_fma_f32 v[4:5], v[10:11], v[24:25], v[4:5] op_sel:[0,0,1] op_sel_hi:[1,0,0]
	s_waitcnt vmcnt(0)
	v_mov_b32_e32 v4, v27
	v_mov_b32_e32 v7, v5
	v_pk_mul_f32 v[4:5], v[12:13], v[4:5] op_sel_hi:[1,0]
	v_pk_add_f32 v[2:3], v[2:3], v[6:7]
	v_pk_fma_f32 v[6:7], v[12:13], v[26:27], v[4:5] op_sel:[0,0,1] op_sel_hi:[1,1,0] neg_lo:[0,0,1] neg_hi:[0,0,1]
	v_pk_fma_f32 v[4:5], v[12:13], v[26:27], v[4:5] op_sel:[0,0,1] op_sel_hi:[1,0,0]
	v_mov_b32_e32 v7, v5
	v_pk_add_f32 v[2:3], v[2:3], v[6:7]
	v_pk_add_f32 v[2:3], v[14:15], v[2:3] neg_lo:[0,1] neg_hi:[0,1]
	buffer_store_dword v2, off, s[0:3], 0 offset:456
	buffer_store_dword v3, off, s[0:3], 0 offset:460
	s_and_saveexec_b64 s[4:5], vcc
	s_cbranch_execz .LBB127_285
; %bb.284:
	buffer_load_dword v2, off, s[0:3], 0 offset:448
	buffer_load_dword v3, off, s[0:3], 0 offset:452
	v_mov_b32_e32 v1, 0
	buffer_store_dword v1, off, s[0:3], 0 offset:448
	buffer_store_dword v1, off, s[0:3], 0 offset:452
	s_waitcnt vmcnt(2)
	ds_write_b64 v223, v[2:3]
.LBB127_285:
	s_or_b64 exec, exec, s[4:5]
	s_waitcnt lgkmcnt(0)
	; wave barrier
	s_waitcnt lgkmcnt(0)
	buffer_load_dword v14, off, s[0:3], 0 offset:448
	buffer_load_dword v15, off, s[0:3], 0 offset:452
	;; [unrolled: 1-line block ×16, first 2 shown]
	v_mov_b32_e32 v1, 0
	ds_read2_b64 v[2:5], v1 offset0:121 offset1:122
	ds_read2_b64 v[6:9], v1 offset0:123 offset1:124
	ds_read2_b64 v[10:13], v1 offset0:125 offset1:126
	ds_read_b64 v[30:31], v1 offset:1016
	v_cmp_lt_u32_e32 vcc, 55, v0
	s_waitcnt vmcnt(12)
	v_mov_b32_e32 v32, v17
	s_waitcnt lgkmcnt(3)
	v_pk_mul_f32 v[32:33], v[2:3], v[32:33] op_sel_hi:[1,0]
	v_pk_fma_f32 v[34:35], v[2:3], v[16:17], v[32:33] op_sel:[0,0,1] op_sel_hi:[1,1,0] neg_lo:[0,0,1] neg_hi:[0,0,1]
	v_pk_fma_f32 v[2:3], v[2:3], v[16:17], v[32:33] op_sel:[0,0,1] op_sel_hi:[1,0,0]
	s_waitcnt vmcnt(10)
	v_mov_b32_e32 v16, v19
	v_pk_mul_f32 v[16:17], v[4:5], v[16:17] op_sel_hi:[1,0]
	v_pk_fma_f32 v[32:33], v[4:5], v[18:19], v[16:17] op_sel:[0,0,1] op_sel_hi:[1,1,0] neg_lo:[0,0,1] neg_hi:[0,0,1]
	v_pk_fma_f32 v[4:5], v[4:5], v[18:19], v[16:17] op_sel:[0,0,1] op_sel_hi:[1,0,0]
	s_waitcnt vmcnt(8)
	v_mov_b32_e32 v4, v21
	v_mov_b32_e32 v33, v5
	s_waitcnt lgkmcnt(2)
	v_pk_mul_f32 v[4:5], v[6:7], v[4:5] op_sel_hi:[1,0]
	v_pk_fma_f32 v[16:17], v[6:7], v[20:21], v[4:5] op_sel:[0,0,1] op_sel_hi:[1,1,0] neg_lo:[0,0,1] neg_hi:[0,0,1]
	v_pk_fma_f32 v[4:5], v[6:7], v[20:21], v[4:5] op_sel:[0,0,1] op_sel_hi:[1,0,0]
	s_waitcnt vmcnt(6)
	v_mov_b32_e32 v4, v23
	v_mov_b32_e32 v35, v3
	v_mov_b32_e32 v17, v5
	v_pk_mul_f32 v[4:5], v[8:9], v[4:5] op_sel_hi:[1,0]
	v_pk_add_f32 v[2:3], v[34:35], 0 op_sel_hi:[1,0]
	v_pk_fma_f32 v[6:7], v[8:9], v[22:23], v[4:5] op_sel:[0,0,1] op_sel_hi:[1,1,0] neg_lo:[0,0,1] neg_hi:[0,0,1]
	v_pk_fma_f32 v[4:5], v[8:9], v[22:23], v[4:5] op_sel:[0,0,1] op_sel_hi:[1,0,0]
	v_pk_add_f32 v[2:3], v[2:3], v[32:33]
	s_waitcnt vmcnt(4)
	v_mov_b32_e32 v4, v25
	v_pk_add_f32 v[2:3], v[2:3], v[16:17]
	v_mov_b32_e32 v7, v5
	s_waitcnt lgkmcnt(1)
	v_pk_mul_f32 v[4:5], v[10:11], v[4:5] op_sel_hi:[1,0]
	v_pk_add_f32 v[2:3], v[2:3], v[6:7]
	v_pk_fma_f32 v[6:7], v[10:11], v[24:25], v[4:5] op_sel:[0,0,1] op_sel_hi:[1,1,0] neg_lo:[0,0,1] neg_hi:[0,0,1]
	v_pk_fma_f32 v[4:5], v[10:11], v[24:25], v[4:5] op_sel:[0,0,1] op_sel_hi:[1,0,0]
	s_waitcnt vmcnt(2)
	v_mov_b32_e32 v4, v27
	v_mov_b32_e32 v7, v5
	v_pk_mul_f32 v[4:5], v[12:13], v[4:5] op_sel_hi:[1,0]
	v_pk_add_f32 v[2:3], v[2:3], v[6:7]
	v_pk_fma_f32 v[6:7], v[12:13], v[26:27], v[4:5] op_sel:[0,0,1] op_sel_hi:[1,1,0] neg_lo:[0,0,1] neg_hi:[0,0,1]
	v_pk_fma_f32 v[4:5], v[12:13], v[26:27], v[4:5] op_sel:[0,0,1] op_sel_hi:[1,0,0]
	s_waitcnt vmcnt(0)
	v_mov_b32_e32 v4, v29
	v_mov_b32_e32 v7, v5
	s_waitcnt lgkmcnt(0)
	v_pk_mul_f32 v[4:5], v[30:31], v[4:5] op_sel_hi:[1,0]
	v_pk_add_f32 v[2:3], v[2:3], v[6:7]
	v_pk_fma_f32 v[6:7], v[30:31], v[28:29], v[4:5] op_sel:[0,0,1] op_sel_hi:[1,1,0] neg_lo:[0,0,1] neg_hi:[0,0,1]
	v_pk_fma_f32 v[4:5], v[30:31], v[28:29], v[4:5] op_sel:[0,0,1] op_sel_hi:[1,0,0]
	v_mov_b32_e32 v7, v5
	v_pk_add_f32 v[2:3], v[2:3], v[6:7]
	v_pk_add_f32 v[2:3], v[14:15], v[2:3] neg_lo:[0,1] neg_hi:[0,1]
	buffer_store_dword v2, off, s[0:3], 0 offset:448
	buffer_store_dword v3, off, s[0:3], 0 offset:452
	s_and_saveexec_b64 s[4:5], vcc
	s_cbranch_execz .LBB127_287
; %bb.286:
	buffer_load_dword v2, off, s[0:3], 0 offset:440
	buffer_load_dword v3, off, s[0:3], 0 offset:444
	s_waitcnt vmcnt(0)
	ds_write_b64 v223, v[2:3]
	buffer_store_dword v1, off, s[0:3], 0 offset:440
	buffer_store_dword v1, off, s[0:3], 0 offset:444
.LBB127_287:
	s_or_b64 exec, exec, s[4:5]
	s_waitcnt lgkmcnt(0)
	; wave barrier
	s_waitcnt lgkmcnt(0)
	buffer_load_dword v18, off, s[0:3], 0 offset:440
	buffer_load_dword v19, off, s[0:3], 0 offset:444
	;; [unrolled: 1-line block ×16, first 2 shown]
	ds_read_b128 v[2:5], v1 offset:960
	ds_read_b128 v[6:9], v1 offset:976
	;; [unrolled: 1-line block ×4, first 2 shown]
	buffer_load_dword v35, off, s[0:3], 0 offset:508
	buffer_load_dword v34, off, s[0:3], 0 offset:504
	v_cmp_lt_u32_e32 vcc, 54, v0
	s_waitcnt vmcnt(14)
	v_mov_b32_e32 v36, v21
	s_waitcnt lgkmcnt(3)
	v_pk_mul_f32 v[36:37], v[2:3], v[36:37] op_sel_hi:[1,0]
	v_pk_fma_f32 v[38:39], v[2:3], v[20:21], v[36:37] op_sel:[0,0,1] op_sel_hi:[1,1,0] neg_lo:[0,0,1] neg_hi:[0,0,1]
	v_pk_fma_f32 v[2:3], v[2:3], v[20:21], v[36:37] op_sel:[0,0,1] op_sel_hi:[1,0,0]
	s_waitcnt vmcnt(12)
	v_mov_b32_e32 v20, v23
	v_pk_mul_f32 v[20:21], v[4:5], v[20:21] op_sel_hi:[1,0]
	v_pk_fma_f32 v[36:37], v[4:5], v[22:23], v[20:21] op_sel:[0,0,1] op_sel_hi:[1,1,0] neg_lo:[0,0,1] neg_hi:[0,0,1]
	v_pk_fma_f32 v[4:5], v[4:5], v[22:23], v[20:21] op_sel:[0,0,1] op_sel_hi:[1,0,0]
	s_waitcnt vmcnt(10)
	v_mov_b32_e32 v4, v25
	v_mov_b32_e32 v37, v5
	s_waitcnt lgkmcnt(2)
	v_pk_mul_f32 v[4:5], v[6:7], v[4:5] op_sel_hi:[1,0]
	v_pk_fma_f32 v[20:21], v[6:7], v[24:25], v[4:5] op_sel:[0,0,1] op_sel_hi:[1,1,0] neg_lo:[0,0,1] neg_hi:[0,0,1]
	v_pk_fma_f32 v[4:5], v[6:7], v[24:25], v[4:5] op_sel:[0,0,1] op_sel_hi:[1,0,0]
	s_waitcnt vmcnt(8)
	v_mov_b32_e32 v4, v27
	v_mov_b32_e32 v39, v3
	;; [unrolled: 1-line block ×3, first 2 shown]
	v_pk_mul_f32 v[4:5], v[8:9], v[4:5] op_sel_hi:[1,0]
	v_pk_add_f32 v[2:3], v[38:39], 0 op_sel_hi:[1,0]
	v_pk_fma_f32 v[6:7], v[8:9], v[26:27], v[4:5] op_sel:[0,0,1] op_sel_hi:[1,1,0] neg_lo:[0,0,1] neg_hi:[0,0,1]
	v_pk_fma_f32 v[4:5], v[8:9], v[26:27], v[4:5] op_sel:[0,0,1] op_sel_hi:[1,0,0]
	v_pk_add_f32 v[2:3], v[2:3], v[36:37]
	s_waitcnt vmcnt(6)
	v_mov_b32_e32 v4, v29
	v_pk_add_f32 v[2:3], v[2:3], v[20:21]
	v_mov_b32_e32 v7, v5
	s_waitcnt lgkmcnt(1)
	v_pk_mul_f32 v[4:5], v[10:11], v[4:5] op_sel_hi:[1,0]
	v_pk_add_f32 v[2:3], v[2:3], v[6:7]
	v_pk_fma_f32 v[6:7], v[10:11], v[28:29], v[4:5] op_sel:[0,0,1] op_sel_hi:[1,1,0] neg_lo:[0,0,1] neg_hi:[0,0,1]
	v_pk_fma_f32 v[4:5], v[10:11], v[28:29], v[4:5] op_sel:[0,0,1] op_sel_hi:[1,0,0]
	s_waitcnt vmcnt(4)
	v_mov_b32_e32 v4, v31
	v_mov_b32_e32 v7, v5
	v_pk_mul_f32 v[4:5], v[12:13], v[4:5] op_sel_hi:[1,0]
	v_pk_add_f32 v[2:3], v[2:3], v[6:7]
	v_pk_fma_f32 v[6:7], v[12:13], v[30:31], v[4:5] op_sel:[0,0,1] op_sel_hi:[1,1,0] neg_lo:[0,0,1] neg_hi:[0,0,1]
	v_pk_fma_f32 v[4:5], v[12:13], v[30:31], v[4:5] op_sel:[0,0,1] op_sel_hi:[1,0,0]
	s_waitcnt vmcnt(2)
	v_mov_b32_e32 v4, v33
	v_mov_b32_e32 v7, v5
	s_waitcnt lgkmcnt(0)
	v_pk_mul_f32 v[4:5], v[14:15], v[4:5] op_sel_hi:[1,0]
	v_pk_add_f32 v[2:3], v[2:3], v[6:7]
	v_pk_fma_f32 v[6:7], v[14:15], v[32:33], v[4:5] op_sel:[0,0,1] op_sel_hi:[1,1,0] neg_lo:[0,0,1] neg_hi:[0,0,1]
	v_pk_fma_f32 v[4:5], v[14:15], v[32:33], v[4:5] op_sel:[0,0,1] op_sel_hi:[1,0,0]
	s_waitcnt vmcnt(1)
	v_mov_b32_e32 v4, v35
	v_mov_b32_e32 v7, v5
	v_pk_mul_f32 v[4:5], v[16:17], v[4:5] op_sel_hi:[1,0]
	v_pk_add_f32 v[2:3], v[2:3], v[6:7]
	s_waitcnt vmcnt(0)
	v_pk_fma_f32 v[6:7], v[16:17], v[34:35], v[4:5] op_sel:[0,0,1] op_sel_hi:[1,1,0] neg_lo:[0,0,1] neg_hi:[0,0,1]
	v_pk_fma_f32 v[4:5], v[16:17], v[34:35], v[4:5] op_sel:[0,0,1] op_sel_hi:[1,0,0]
	v_mov_b32_e32 v7, v5
	v_pk_add_f32 v[2:3], v[2:3], v[6:7]
	v_pk_add_f32 v[2:3], v[18:19], v[2:3] neg_lo:[0,1] neg_hi:[0,1]
	buffer_store_dword v2, off, s[0:3], 0 offset:440
	buffer_store_dword v3, off, s[0:3], 0 offset:444
	s_and_saveexec_b64 s[4:5], vcc
	s_cbranch_execz .LBB127_289
; %bb.288:
	buffer_load_dword v2, off, s[0:3], 0 offset:432
	buffer_load_dword v3, off, s[0:3], 0 offset:436
	v_mov_b32_e32 v1, 0
	buffer_store_dword v1, off, s[0:3], 0 offset:432
	buffer_store_dword v1, off, s[0:3], 0 offset:436
	s_waitcnt vmcnt(2)
	ds_write_b64 v223, v[2:3]
.LBB127_289:
	s_or_b64 exec, exec, s[4:5]
	s_waitcnt lgkmcnt(0)
	; wave barrier
	s_waitcnt lgkmcnt(0)
	buffer_load_dword v38, off, s[0:3], 0 offset:444
	buffer_load_dword v19, off, s[0:3], 0 offset:452
	;; [unrolled: 1-line block ×20, first 2 shown]
	v_mov_b32_e32 v1, 0
	ds_read2_b64 v[2:5], v1 offset0:119 offset1:120
	ds_read2_b64 v[6:9], v1 offset0:121 offset1:122
	ds_read2_b64 v[10:13], v1 offset0:123 offset1:124
	ds_read2_b64 v[14:17], v1 offset0:125 offset1:126
	ds_read_b64 v[36:37], v1 offset:1016
	v_cmp_lt_u32_e32 vcc, 53, v0
	s_waitcnt vmcnt(19) lgkmcnt(4)
	v_mul_f32_e32 v39, v2, v38
	v_mul_f32_e32 v38, v3, v38
	s_waitcnt vmcnt(18)
	v_mov_b32_e32 v40, v19
	s_waitcnt vmcnt(17)
	v_mov_b32_e32 v42, v21
	;; [unrolled: 2-line block ×8, first 2 shown]
	s_waitcnt vmcnt(10)
	v_fmac_f32_e32 v39, v3, v41
	v_fma_f32 v38, v2, v41, -v38
	v_pk_mul_f32 v[2:3], v[4:5], v[40:41] op_sel_hi:[1,0]
	s_waitcnt lgkmcnt(3)
	v_pk_mul_f32 v[40:41], v[6:7], v[42:43] op_sel_hi:[1,0]
	v_pk_mul_f32 v[42:43], v[8:9], v[44:45] op_sel_hi:[1,0]
	s_waitcnt lgkmcnt(2)
	v_pk_mul_f32 v[44:45], v[10:11], v[46:47] op_sel_hi:[1,0]
	v_pk_mul_f32 v[46:47], v[12:13], v[48:49] op_sel_hi:[1,0]
	s_waitcnt lgkmcnt(1)
	v_pk_mul_f32 v[48:49], v[14:15], v[50:51] op_sel_hi:[1,0]
	v_pk_mul_f32 v[50:51], v[16:17], v[52:53] op_sel_hi:[1,0]
	s_waitcnt lgkmcnt(0)
	v_pk_mul_f32 v[52:53], v[36:37], v[54:55] op_sel_hi:[1,0]
	s_waitcnt vmcnt(9)
	v_pk_fma_f32 v[54:55], v[4:5], v[18:19], v[2:3] op_sel:[0,0,1] op_sel_hi:[1,1,0] neg_lo:[0,0,1] neg_hi:[0,0,1]
	v_pk_fma_f32 v[2:3], v[4:5], v[18:19], v[2:3] op_sel:[0,0,1] op_sel_hi:[1,0,0]
	v_pk_add_f32 v[38:39], v[38:39], 0 op_sel_hi:[1,0]
	s_waitcnt vmcnt(8)
	v_pk_fma_f32 v[4:5], v[6:7], v[20:21], v[40:41] op_sel:[0,0,1] op_sel_hi:[1,1,0] neg_lo:[0,0,1] neg_hi:[0,0,1]
	v_pk_fma_f32 v[6:7], v[6:7], v[20:21], v[40:41] op_sel:[0,0,1] op_sel_hi:[1,0,0]
	v_mov_b32_e32 v55, v3
	s_waitcnt vmcnt(7)
	v_pk_fma_f32 v[18:19], v[8:9], v[22:23], v[42:43] op_sel:[0,0,1] op_sel_hi:[1,1,0] neg_lo:[0,0,1] neg_hi:[0,0,1]
	v_pk_fma_f32 v[8:9], v[8:9], v[22:23], v[42:43] op_sel:[0,0,1] op_sel_hi:[1,0,0]
	v_mov_b32_e32 v5, v7
	v_pk_add_f32 v[2:3], v[38:39], v[54:55]
	s_waitcnt vmcnt(6)
	v_pk_fma_f32 v[20:21], v[10:11], v[24:25], v[44:45] op_sel:[0,0,1] op_sel_hi:[1,1,0] neg_lo:[0,0,1] neg_hi:[0,0,1]
	v_pk_fma_f32 v[10:11], v[10:11], v[24:25], v[44:45] op_sel:[0,0,1] op_sel_hi:[1,0,0]
	v_mov_b32_e32 v19, v9
	v_pk_add_f32 v[2:3], v[2:3], v[4:5]
	;; [unrolled: 5-line block ×5, first 2 shown]
	v_pk_fma_f32 v[28:29], v[36:37], v[32:33], v[52:53] op_sel:[0,0,1] op_sel_hi:[1,1,0] neg_lo:[0,0,1] neg_hi:[0,0,1]
	v_pk_fma_f32 v[30:31], v[36:37], v[32:33], v[52:53] op_sel:[0,0,1] op_sel_hi:[1,0,0]
	v_mov_b32_e32 v27, v17
	v_pk_add_f32 v[2:3], v[2:3], v[24:25]
	v_mov_b32_e32 v29, v31
	v_pk_add_f32 v[2:3], v[2:3], v[26:27]
	v_pk_add_f32 v[2:3], v[2:3], v[28:29]
	s_waitcnt vmcnt(0)
	v_pk_add_f32 v[2:3], v[34:35], v[2:3] neg_lo:[0,1] neg_hi:[0,1]
	buffer_store_dword v2, off, s[0:3], 0 offset:432
	buffer_store_dword v3, off, s[0:3], 0 offset:436
	s_and_saveexec_b64 s[4:5], vcc
	s_cbranch_execz .LBB127_291
; %bb.290:
	buffer_load_dword v2, off, s[0:3], 0 offset:424
	buffer_load_dword v3, off, s[0:3], 0 offset:428
	s_waitcnt vmcnt(0)
	ds_write_b64 v223, v[2:3]
	buffer_store_dword v1, off, s[0:3], 0 offset:424
	buffer_store_dword v1, off, s[0:3], 0 offset:428
.LBB127_291:
	s_or_b64 exec, exec, s[4:5]
	s_waitcnt lgkmcnt(0)
	; wave barrier
	s_waitcnt lgkmcnt(0)
	buffer_load_dword v40, off, s[0:3], 0 offset:436
	buffer_load_dword v42, off, s[0:3], 0 offset:444
	;; [unrolled: 1-line block ×22, first 2 shown]
	ds_read_b128 v[2:5], v1 offset:944
	ds_read_b128 v[6:9], v1 offset:960
	;; [unrolled: 1-line block ×5, first 2 shown]
	v_cmp_lt_u32_e32 vcc, 52, v0
	s_waitcnt vmcnt(21) lgkmcnt(4)
	v_mul_f32_e32 v41, v2, v40
	v_mul_f32_e32 v1, v3, v40
	s_waitcnt vmcnt(19)
	v_mov_b32_e32 v44, v23
	v_mul_f32_e32 v43, v4, v42
	v_mul_f32_e32 v42, v5, v42
	s_waitcnt vmcnt(18)
	v_mov_b32_e32 v46, v25
	s_waitcnt vmcnt(17)
	v_mov_b32_e32 v48, v27
	;; [unrolled: 2-line block ×6, first 2 shown]
	s_waitcnt vmcnt(11)
	v_fmac_f32_e32 v41, v3, v45
	v_fma_f32 v40, v2, v45, -v1
	s_waitcnt lgkmcnt(3)
	v_pk_mul_f32 v[2:3], v[6:7], v[44:45] op_sel_hi:[1,0]
	s_waitcnt vmcnt(10)
	v_fmac_f32_e32 v43, v5, v47
	v_fma_f32 v42, v4, v47, -v42
	v_pk_mul_f32 v[4:5], v[8:9], v[46:47] op_sel_hi:[1,0]
	s_waitcnt lgkmcnt(2)
	v_pk_mul_f32 v[44:45], v[10:11], v[48:49] op_sel_hi:[1,0]
	v_pk_mul_f32 v[46:47], v[12:13], v[50:51] op_sel_hi:[1,0]
	s_waitcnt lgkmcnt(1)
	v_pk_mul_f32 v[48:49], v[14:15], v[52:53] op_sel_hi:[1,0]
	;; [unrolled: 3-line block ×3, first 2 shown]
	v_pk_add_f32 v[40:41], v[40:41], 0 op_sel_hi:[1,0]
	s_waitcnt vmcnt(9)
	v_pk_fma_f32 v[56:57], v[6:7], v[22:23], v[2:3] op_sel:[0,0,1] op_sel_hi:[1,1,0] neg_lo:[0,0,1] neg_hi:[0,0,1]
	v_pk_fma_f32 v[2:3], v[6:7], v[22:23], v[2:3] op_sel:[0,0,1] op_sel_hi:[1,0,0]
	s_waitcnt vmcnt(8)
	v_pk_fma_f32 v[6:7], v[8:9], v[24:25], v[4:5] op_sel:[0,0,1] op_sel_hi:[1,1,0] neg_lo:[0,0,1] neg_hi:[0,0,1]
	v_pk_fma_f32 v[4:5], v[8:9], v[24:25], v[4:5] op_sel:[0,0,1] op_sel_hi:[1,0,0]
	;; [unrolled: 3-line block ×4, first 2 shown]
	v_pk_add_f32 v[32:33], v[40:41], v[42:43]
	v_mov_b32_e32 v57, v3
	v_mov_b32_e32 v7, v5
	v_pk_add_f32 v[2:3], v[32:33], v[56:57]
	v_pk_fma_f32 v[22:23], v[12:13], v[28:29], v[46:47] op_sel:[0,0,1] op_sel_hi:[1,1,0] neg_lo:[0,0,1] neg_hi:[0,0,1]
	v_pk_fma_f32 v[12:13], v[12:13], v[28:29], v[46:47] op_sel:[0,0,1] op_sel_hi:[1,0,0]
	v_mov_b32_e32 v9, v11
	v_pk_add_f32 v[2:3], v[2:3], v[6:7]
	v_pk_fma_f32 v[24:25], v[14:15], v[30:31], v[48:49] op_sel:[0,0,1] op_sel_hi:[1,1,0] neg_lo:[0,0,1] neg_hi:[0,0,1]
	v_pk_fma_f32 v[14:15], v[14:15], v[30:31], v[48:49] op_sel:[0,0,1] op_sel_hi:[1,0,0]
	v_mov_b32_e32 v23, v13
	v_pk_add_f32 v[2:3], v[2:3], v[8:9]
	v_mov_b32_e32 v58, v37
	v_mov_b32_e32 v25, v15
	v_pk_add_f32 v[2:3], v[2:3], v[22:23]
	v_pk_mul_f32 v[54:55], v[20:21], v[58:59] op_sel_hi:[1,0]
	v_pk_fma_f32 v[28:29], v[18:19], v[34:35], v[52:53] op_sel:[0,0,1] op_sel_hi:[1,1,0] neg_lo:[0,0,1] neg_hi:[0,0,1]
	v_pk_fma_f32 v[18:19], v[18:19], v[34:35], v[52:53] op_sel:[0,0,1] op_sel_hi:[1,0,0]
	v_mov_b32_e32 v27, v17
	v_pk_add_f32 v[2:3], v[2:3], v[24:25]
	v_pk_fma_f32 v[30:31], v[20:21], v[36:37], v[54:55] op_sel:[0,0,1] op_sel_hi:[1,1,0] neg_lo:[0,0,1] neg_hi:[0,0,1]
	v_pk_fma_f32 v[20:21], v[20:21], v[36:37], v[54:55] op_sel:[0,0,1] op_sel_hi:[1,0,0]
	v_mov_b32_e32 v29, v19
	v_pk_add_f32 v[2:3], v[2:3], v[26:27]
	v_mov_b32_e32 v31, v21
	v_pk_add_f32 v[2:3], v[2:3], v[28:29]
	v_pk_add_f32 v[2:3], v[2:3], v[30:31]
	s_waitcnt vmcnt(0)
	v_pk_add_f32 v[2:3], v[38:39], v[2:3] neg_lo:[0,1] neg_hi:[0,1]
	buffer_store_dword v2, off, s[0:3], 0 offset:424
	buffer_store_dword v3, off, s[0:3], 0 offset:428
	s_and_saveexec_b64 s[4:5], vcc
	s_cbranch_execz .LBB127_293
; %bb.292:
	buffer_load_dword v2, off, s[0:3], 0 offset:416
	buffer_load_dword v3, off, s[0:3], 0 offset:420
	v_mov_b32_e32 v1, 0
	buffer_store_dword v1, off, s[0:3], 0 offset:416
	buffer_store_dword v1, off, s[0:3], 0 offset:420
	s_waitcnt vmcnt(2)
	ds_write_b64 v223, v[2:3]
.LBB127_293:
	s_or_b64 exec, exec, s[4:5]
	s_waitcnt lgkmcnt(0)
	; wave barrier
	s_waitcnt lgkmcnt(0)
	buffer_load_dword v42, off, s[0:3], 0 offset:428
	buffer_load_dword v44, off, s[0:3], 0 offset:436
	;; [unrolled: 1-line block ×24, first 2 shown]
	v_mov_b32_e32 v1, 0
	ds_read2_b64 v[2:5], v1 offset0:117 offset1:118
	ds_read2_b64 v[6:9], v1 offset0:119 offset1:120
	;; [unrolled: 1-line block ×5, first 2 shown]
	ds_read_b64 v[40:41], v1 offset:1016
	v_cmp_lt_u32_e32 vcc, 51, v0
	s_waitcnt vmcnt(23) lgkmcnt(5)
	v_mul_f32_e32 v55, v2, v42
	v_mul_f32_e32 v42, v3, v42
	s_waitcnt vmcnt(22)
	v_mul_f32_e32 v43, v4, v44
	s_waitcnt vmcnt(21) lgkmcnt(4)
	v_mul_f32_e32 v45, v6, v46
	v_mul_f32_e32 v44, v5, v44
	;; [unrolled: 1-line block ×3, first 2 shown]
	s_waitcnt vmcnt(20)
	v_mov_b32_e32 v46, v23
	s_waitcnt vmcnt(19)
	v_mov_b32_e32 v48, v25
	;; [unrolled: 2-line block ×5, first 2 shown]
	s_waitcnt vmcnt(12)
	v_fmac_f32_e32 v55, v3, v47
	v_fma_f32 v57, v2, v47, -v42
	v_mov_b32_e32 v56, v33
	s_waitcnt vmcnt(11)
	v_fmac_f32_e32 v43, v5, v49
	s_waitcnt vmcnt(10)
	v_fmac_f32_e32 v45, v7, v51
	v_fma_f32 v42, v4, v49, -v44
	v_fma_f32 v44, v6, v51, -v53
	v_pk_mul_f32 v[2:3], v[8:9], v[46:47] op_sel_hi:[1,0]
	s_waitcnt lgkmcnt(3)
	v_pk_mul_f32 v[4:5], v[10:11], v[48:49] op_sel_hi:[1,0]
	v_pk_mul_f32 v[6:7], v[12:13], v[50:51] op_sel_hi:[1,0]
	s_waitcnt lgkmcnt(2)
	v_pk_mul_f32 v[46:47], v[14:15], v[52:53] op_sel_hi:[1,0]
	v_pk_mul_f32 v[48:49], v[16:17], v[54:55] op_sel_hi:[1,0]
	v_add_f32_e32 v55, 0, v55
	v_add_f32_e32 v54, 0, v57
	s_waitcnt lgkmcnt(1)
	v_pk_mul_f32 v[50:51], v[18:19], v[56:57] op_sel_hi:[1,0]
	s_waitcnt vmcnt(9)
	v_pk_fma_f32 v[56:57], v[8:9], v[22:23], v[2:3] op_sel:[0,0,1] op_sel_hi:[1,1,0] neg_lo:[0,0,1] neg_hi:[0,0,1]
	v_pk_fma_f32 v[2:3], v[8:9], v[22:23], v[2:3] op_sel:[0,0,1] op_sel_hi:[1,0,0]
	s_waitcnt vmcnt(8)
	v_pk_fma_f32 v[8:9], v[10:11], v[24:25], v[4:5] op_sel:[0,0,1] op_sel_hi:[1,1,0] neg_lo:[0,0,1] neg_hi:[0,0,1]
	v_pk_fma_f32 v[4:5], v[10:11], v[24:25], v[4:5] op_sel:[0,0,1] op_sel_hi:[1,0,0]
	;; [unrolled: 3-line block ×4, first 2 shown]
	v_pk_add_f32 v[28:29], v[54:55], v[42:43]
	v_mov_b32_e32 v57, v3
	v_pk_add_f32 v[2:3], v[28:29], v[44:45]
	v_mov_b32_e32 v9, v5
	;; [unrolled: 2-line block ×4, first 2 shown]
	s_waitcnt vmcnt(2)
	v_pk_fma_f32 v[22:23], v[16:17], v[30:31], v[48:49] op_sel:[0,0,1] op_sel_hi:[1,1,0] neg_lo:[0,0,1] neg_hi:[0,0,1]
	v_pk_fma_f32 v[16:17], v[16:17], v[30:31], v[48:49] op_sel:[0,0,1] op_sel_hi:[1,0,0]
	v_mov_b32_e32 v13, v15
	v_pk_add_f32 v[2:3], v[2:3], v[10:11]
	v_mov_b32_e32 v60, v37
	v_pk_mul_f32 v[52:53], v[20:21], v[58:59] op_sel_hi:[1,0]
	v_pk_fma_f32 v[24:25], v[18:19], v[32:33], v[50:51] op_sel:[0,0,1] op_sel_hi:[1,1,0] neg_lo:[0,0,1] neg_hi:[0,0,1]
	v_pk_fma_f32 v[18:19], v[18:19], v[32:33], v[50:51] op_sel:[0,0,1] op_sel_hi:[1,0,0]
	v_mov_b32_e32 v23, v17
	v_pk_add_f32 v[2:3], v[2:3], v[12:13]
	v_pk_fma_f32 v[26:27], v[20:21], v[34:35], v[52:53] op_sel:[0,0,1] op_sel_hi:[1,1,0] neg_lo:[0,0,1] neg_hi:[0,0,1]
	v_pk_fma_f32 v[20:21], v[20:21], v[34:35], v[52:53] op_sel:[0,0,1] op_sel_hi:[1,0,0]
	v_mov_b32_e32 v25, v19
	v_pk_add_f32 v[2:3], v[2:3], v[22:23]
	s_waitcnt lgkmcnt(0)
	v_pk_mul_f32 v[4:5], v[40:41], v[60:61] op_sel_hi:[1,0]
	v_mov_b32_e32 v27, v21
	v_pk_add_f32 v[2:3], v[2:3], v[24:25]
	v_pk_fma_f32 v[6:7], v[40:41], v[36:37], v[4:5] op_sel:[0,0,1] op_sel_hi:[1,1,0] neg_lo:[0,0,1] neg_hi:[0,0,1]
	v_pk_fma_f32 v[4:5], v[40:41], v[36:37], v[4:5] op_sel:[0,0,1] op_sel_hi:[1,0,0]
	v_pk_add_f32 v[2:3], v[2:3], v[26:27]
	v_mov_b32_e32 v7, v5
	v_pk_add_f32 v[2:3], v[2:3], v[6:7]
	s_waitcnt vmcnt(0)
	v_pk_add_f32 v[2:3], v[38:39], v[2:3] neg_lo:[0,1] neg_hi:[0,1]
	buffer_store_dword v3, off, s[0:3], 0 offset:420
	buffer_store_dword v2, off, s[0:3], 0 offset:416
	s_and_saveexec_b64 s[4:5], vcc
	s_cbranch_execz .LBB127_295
; %bb.294:
	buffer_load_dword v2, off, s[0:3], 0 offset:408
	buffer_load_dword v3, off, s[0:3], 0 offset:412
	s_waitcnt vmcnt(0)
	ds_write_b64 v223, v[2:3]
	buffer_store_dword v1, off, s[0:3], 0 offset:408
	buffer_store_dword v1, off, s[0:3], 0 offset:412
.LBB127_295:
	s_or_b64 exec, exec, s[4:5]
	s_waitcnt lgkmcnt(0)
	; wave barrier
	s_waitcnt lgkmcnt(0)
	buffer_load_dword v44, off, s[0:3], 0 offset:420
	buffer_load_dword v46, off, s[0:3], 0 offset:428
	buffer_load_dword v48, off, s[0:3], 0 offset:436
	buffer_load_dword v49, off, s[0:3], 0 offset:444
	buffer_load_dword v27, off, s[0:3], 0 offset:452
	buffer_load_dword v29, off, s[0:3], 0 offset:460
	buffer_load_dword v31, off, s[0:3], 0 offset:468
	buffer_load_dword v33, off, s[0:3], 0 offset:476
	buffer_load_dword v35, off, s[0:3], 0 offset:484
	buffer_load_dword v37, off, s[0:3], 0 offset:492
	buffer_load_dword v51, off, s[0:3], 0 offset:416
	buffer_load_dword v53, off, s[0:3], 0 offset:424
	buffer_load_dword v55, off, s[0:3], 0 offset:432
	buffer_load_dword v57, off, s[0:3], 0 offset:440
	buffer_load_dword v26, off, s[0:3], 0 offset:448
	buffer_load_dword v28, off, s[0:3], 0 offset:456
	buffer_load_dword v30, off, s[0:3], 0 offset:464
	buffer_load_dword v38, off, s[0:3], 0 offset:496
	buffer_load_dword v36, off, s[0:3], 0 offset:488
	buffer_load_dword v34, off, s[0:3], 0 offset:480
	buffer_load_dword v32, off, s[0:3], 0 offset:472
	buffer_load_dword v39, off, s[0:3], 0 offset:500
	buffer_load_dword v41, off, s[0:3], 0 offset:508
	buffer_load_dword v40, off, s[0:3], 0 offset:504
	buffer_load_dword v42, off, s[0:3], 0 offset:408
	buffer_load_dword v43, off, s[0:3], 0 offset:412
	ds_read_b128 v[2:5], v1 offset:928
	ds_read_b128 v[6:9], v1 offset:944
	;; [unrolled: 1-line block ×6, first 2 shown]
	v_cmp_lt_u32_e32 vcc, 50, v0
	s_waitcnt vmcnt(25) lgkmcnt(5)
	v_mul_f32_e32 v1, v2, v44
	v_mul_f32_e32 v44, v3, v44
	s_waitcnt vmcnt(24)
	v_mul_f32_e32 v59, v4, v46
	s_waitcnt vmcnt(23) lgkmcnt(4)
	v_mul_f32_e32 v45, v6, v48
	s_waitcnt vmcnt(22)
	v_mul_f32_e32 v47, v8, v49
	v_mul_f32_e32 v46, v5, v46
	;; [unrolled: 1-line block ×4, first 2 shown]
	s_waitcnt vmcnt(21)
	v_mov_b32_e32 v48, v27
	s_waitcnt vmcnt(20)
	v_mov_b32_e32 v50, v29
	;; [unrolled: 2-line block ×3, first 2 shown]
	s_waitcnt vmcnt(15)
	v_fmac_f32_e32 v1, v3, v51
	v_fma_f32 v61, v2, v51, -v44
	v_mov_b32_e32 v52, v31
	s_waitcnt vmcnt(14)
	v_fmac_f32_e32 v59, v5, v53
	s_waitcnt vmcnt(12)
	v_fmac_f32_e32 v47, v9, v57
	v_fma_f32 v62, v4, v53, -v46
	v_fma_f32 v46, v8, v57, -v49
	s_waitcnt lgkmcnt(3)
	v_pk_mul_f32 v[2:3], v[10:11], v[48:49] op_sel_hi:[1,0]
	v_pk_mul_f32 v[4:5], v[12:13], v[50:51] op_sel_hi:[1,0]
	s_waitcnt lgkmcnt(2)
	v_pk_mul_f32 v[8:9], v[16:17], v[54:55] op_sel_hi:[1,0]
	v_add_f32_e32 v1, 0, v1
	v_add_f32_e32 v54, 0, v61
	v_fmac_f32_e32 v45, v7, v55
	v_fma_f32 v44, v6, v55, -v60
	v_pk_mul_f32 v[6:7], v[14:15], v[52:53] op_sel_hi:[1,0]
	s_waitcnt vmcnt(11)
	v_pk_fma_f32 v[52:53], v[10:11], v[26:27], v[2:3] op_sel:[0,0,1] op_sel_hi:[1,1,0] neg_lo:[0,0,1] neg_hi:[0,0,1]
	v_pk_fma_f32 v[2:3], v[10:11], v[26:27], v[2:3] op_sel:[0,0,1] op_sel_hi:[1,0,0]
	s_waitcnt vmcnt(10)
	v_pk_fma_f32 v[10:11], v[12:13], v[28:29], v[4:5] op_sel:[0,0,1] op_sel_hi:[1,1,0] neg_lo:[0,0,1] neg_hi:[0,0,1]
	v_pk_fma_f32 v[4:5], v[12:13], v[28:29], v[4:5] op_sel:[0,0,1] op_sel_hi:[1,0,0]
	v_add_f32_e32 v29, v1, v59
	v_add_f32_e32 v28, v54, v62
	v_mov_b32_e32 v53, v3
	v_pk_add_f32 v[2:3], v[28:29], v[44:45]
	v_pk_add_f32 v[2:3], v[2:3], v[46:47]
	v_mov_b32_e32 v56, v35
	s_waitcnt vmcnt(9)
	v_pk_fma_f32 v[12:13], v[14:15], v[30:31], v[6:7] op_sel:[0,0,1] op_sel_hi:[1,1,0] neg_lo:[0,0,1] neg_hi:[0,0,1]
	v_pk_fma_f32 v[6:7], v[14:15], v[30:31], v[6:7] op_sel:[0,0,1] op_sel_hi:[1,0,0]
	v_mov_b32_e32 v11, v5
	v_pk_add_f32 v[2:3], v[2:3], v[52:53]
	v_mov_b32_e32 v58, v37
	s_waitcnt lgkmcnt(1)
	v_pk_mul_f32 v[48:49], v[18:19], v[56:57] op_sel_hi:[1,0]
	s_waitcnt vmcnt(5)
	v_pk_fma_f32 v[14:15], v[16:17], v[32:33], v[8:9] op_sel:[0,0,1] op_sel_hi:[1,1,0] neg_lo:[0,0,1] neg_hi:[0,0,1]
	v_pk_fma_f32 v[8:9], v[16:17], v[32:33], v[8:9] op_sel:[0,0,1] op_sel_hi:[1,0,0]
	v_mov_b32_e32 v13, v7
	v_pk_add_f32 v[2:3], v[2:3], v[10:11]
	s_waitcnt vmcnt(4)
	v_mov_b32_e32 v4, v39
	v_pk_mul_f32 v[50:51], v[20:21], v[58:59] op_sel_hi:[1,0]
	v_pk_fma_f32 v[16:17], v[18:19], v[34:35], v[48:49] op_sel:[0,0,1] op_sel_hi:[1,1,0] neg_lo:[0,0,1] neg_hi:[0,0,1]
	v_pk_fma_f32 v[18:19], v[18:19], v[34:35], v[48:49] op_sel:[0,0,1] op_sel_hi:[1,0,0]
	v_mov_b32_e32 v15, v9
	v_pk_add_f32 v[2:3], v[2:3], v[12:13]
	s_waitcnt lgkmcnt(0)
	v_pk_mul_f32 v[4:5], v[22:23], v[4:5] op_sel_hi:[1,0]
	v_pk_fma_f32 v[26:27], v[20:21], v[36:37], v[50:51] op_sel:[0,0,1] op_sel_hi:[1,1,0] neg_lo:[0,0,1] neg_hi:[0,0,1]
	v_pk_fma_f32 v[20:21], v[20:21], v[36:37], v[50:51] op_sel:[0,0,1] op_sel_hi:[1,0,0]
	v_mov_b32_e32 v17, v19
	v_pk_add_f32 v[2:3], v[2:3], v[14:15]
	v_pk_fma_f32 v[6:7], v[22:23], v[38:39], v[4:5] op_sel:[0,0,1] op_sel_hi:[1,1,0] neg_lo:[0,0,1] neg_hi:[0,0,1]
	v_pk_fma_f32 v[4:5], v[22:23], v[38:39], v[4:5] op_sel:[0,0,1] op_sel_hi:[1,0,0]
	v_mov_b32_e32 v27, v21
	v_pk_add_f32 v[2:3], v[2:3], v[16:17]
	s_waitcnt vmcnt(3)
	v_mov_b32_e32 v4, v41
	v_pk_add_f32 v[2:3], v[2:3], v[26:27]
	v_mov_b32_e32 v7, v5
	v_pk_mul_f32 v[4:5], v[24:25], v[4:5] op_sel_hi:[1,0]
	v_pk_add_f32 v[2:3], v[2:3], v[6:7]
	s_waitcnt vmcnt(2)
	v_pk_fma_f32 v[6:7], v[24:25], v[40:41], v[4:5] op_sel:[0,0,1] op_sel_hi:[1,1,0] neg_lo:[0,0,1] neg_hi:[0,0,1]
	v_pk_fma_f32 v[4:5], v[24:25], v[40:41], v[4:5] op_sel:[0,0,1] op_sel_hi:[1,0,0]
	v_mov_b32_e32 v7, v5
	v_pk_add_f32 v[2:3], v[2:3], v[6:7]
	s_waitcnt vmcnt(0)
	v_pk_add_f32 v[2:3], v[42:43], v[2:3] neg_lo:[0,1] neg_hi:[0,1]
	buffer_store_dword v3, off, s[0:3], 0 offset:412
	buffer_store_dword v2, off, s[0:3], 0 offset:408
	s_and_saveexec_b64 s[4:5], vcc
	s_cbranch_execz .LBB127_297
; %bb.296:
	buffer_load_dword v2, off, s[0:3], 0 offset:400
	buffer_load_dword v3, off, s[0:3], 0 offset:404
	v_mov_b32_e32 v1, 0
	buffer_store_dword v1, off, s[0:3], 0 offset:400
	buffer_store_dword v1, off, s[0:3], 0 offset:404
	s_waitcnt vmcnt(2)
	ds_write_b64 v223, v[2:3]
.LBB127_297:
	s_or_b64 exec, exec, s[4:5]
	s_waitcnt lgkmcnt(0)
	; wave barrier
	s_waitcnt lgkmcnt(0)
	buffer_load_dword v46, off, s[0:3], 0 offset:412
	buffer_load_dword v48, off, s[0:3], 0 offset:420
	;; [unrolled: 1-line block ×28, first 2 shown]
	v_mov_b32_e32 v1, 0
	ds_read2_b64 v[2:5], v1 offset0:115 offset1:116
	ds_read2_b64 v[6:9], v1 offset0:117 offset1:118
	;; [unrolled: 1-line block ×6, first 2 shown]
	ds_read_b64 v[44:45], v1 offset:1016
	v_cmp_lt_u32_e32 vcc, 49, v0
	s_waitcnt vmcnt(27) lgkmcnt(6)
	v_mul_f32_e32 v61, v2, v46
	s_waitcnt vmcnt(26)
	v_mul_f32_e32 v62, v4, v48
	v_mul_f32_e32 v46, v3, v46
	v_mul_f32_e32 v48, v5, v48
	s_waitcnt vmcnt(23) lgkmcnt(4)
	v_mul_f32_e32 v49, v10, v52
	v_mul_f32_e32 v63, v6, v50
	;; [unrolled: 1-line block ×6, first 2 shown]
	s_waitcnt vmcnt(22)
	v_mov_b32_e32 v50, v27
	s_waitcnt vmcnt(21)
	v_mov_b32_e32 v52, v29
	s_waitcnt vmcnt(17)
	v_fmac_f32_e32 v61, v3, v53
	s_waitcnt vmcnt(16)
	v_fmac_f32_e32 v62, v5, v55
	;; [unrolled: 2-line block ×3, first 2 shown]
	v_fma_f32 v11, v2, v53, -v46
	v_fma_f32 v53, v4, v55, -v48
	v_pk_mul_f32 v[2:3], v[12:13], v[50:51] op_sel_hi:[1,0]
	s_waitcnt lgkmcnt(3)
	v_pk_mul_f32 v[4:5], v[14:15], v[52:53] op_sel_hi:[1,0]
	v_fma_f32 v46, v8, v59, -v51
	v_fma_f32 v48, v10, v60, -v65
	v_add_f32_e32 v50, 0, v61
	v_add_f32_e32 v51, 0, v11
	s_waitcnt vmcnt(12)
	v_pk_fma_f32 v[10:11], v[12:13], v[26:27], v[2:3] op_sel:[0,0,1] op_sel_hi:[1,1,0] neg_lo:[0,0,1] neg_hi:[0,0,1]
	v_pk_fma_f32 v[2:3], v[12:13], v[26:27], v[2:3] op_sel:[0,0,1] op_sel_hi:[1,0,0]
	s_waitcnt vmcnt(11)
	v_pk_fma_f32 v[12:13], v[14:15], v[28:29], v[4:5] op_sel:[0,0,1] op_sel_hi:[1,1,0] neg_lo:[0,0,1] neg_hi:[0,0,1]
	v_pk_fma_f32 v[4:5], v[14:15], v[28:29], v[4:5] op_sel:[0,0,1] op_sel_hi:[1,0,0]
	v_fmac_f32_e32 v63, v7, v57
	v_fma_f32 v55, v6, v57, -v64
	v_add_f32_e32 v2, v50, v62
	v_add_f32_e32 v4, v51, v53
	v_fmac_f32_e32 v47, v9, v59
	v_mov_b32_e32 v11, v3
	v_add_f32_e32 v3, v2, v63
	v_add_f32_e32 v2, v4, v55
	v_mov_b32_e32 v54, v31
	v_pk_add_f32 v[2:3], v[2:3], v[46:47]
	v_mov_b32_e32 v56, v33
	v_mov_b32_e32 v58, v35
	v_pk_mul_f32 v[6:7], v[16:17], v[54:55] op_sel_hi:[1,0]
	v_pk_add_f32 v[2:3], v[2:3], v[48:49]
	s_waitcnt lgkmcnt(2)
	v_pk_mul_f32 v[8:9], v[18:19], v[56:57] op_sel_hi:[1,0]
	s_waitcnt vmcnt(7)
	v_pk_fma_f32 v[14:15], v[16:17], v[30:31], v[6:7] op_sel:[0,0,1] op_sel_hi:[1,1,0] neg_lo:[0,0,1] neg_hi:[0,0,1]
	v_pk_fma_f32 v[6:7], v[16:17], v[30:31], v[6:7] op_sel:[0,0,1] op_sel_hi:[1,0,0]
	v_mov_b32_e32 v13, v5
	v_pk_add_f32 v[2:3], v[2:3], v[10:11]
	v_pk_mul_f32 v[4:5], v[20:21], v[58:59] op_sel_hi:[1,0]
	v_pk_fma_f32 v[16:17], v[18:19], v[32:33], v[8:9] op_sel:[0,0,1] op_sel_hi:[1,1,0] neg_lo:[0,0,1] neg_hi:[0,0,1]
	v_pk_fma_f32 v[8:9], v[18:19], v[32:33], v[8:9] op_sel:[0,0,1] op_sel_hi:[1,0,0]
	v_mov_b32_e32 v15, v7
	v_pk_add_f32 v[2:3], v[2:3], v[12:13]
	v_pk_fma_f32 v[6:7], v[20:21], v[34:35], v[4:5] op_sel:[0,0,1] op_sel_hi:[1,1,0] neg_lo:[0,0,1] neg_hi:[0,0,1]
	v_pk_fma_f32 v[4:5], v[20:21], v[34:35], v[4:5] op_sel:[0,0,1] op_sel_hi:[1,0,0]
	v_mov_b32_e32 v17, v9
	v_pk_add_f32 v[2:3], v[2:3], v[14:15]
	s_waitcnt vmcnt(6)
	v_mov_b32_e32 v4, v37
	v_pk_add_f32 v[2:3], v[2:3], v[16:17]
	v_mov_b32_e32 v7, v5
	s_waitcnt lgkmcnt(1)
	v_pk_mul_f32 v[4:5], v[22:23], v[4:5] op_sel_hi:[1,0]
	v_pk_add_f32 v[2:3], v[2:3], v[6:7]
	v_pk_fma_f32 v[6:7], v[22:23], v[36:37], v[4:5] op_sel:[0,0,1] op_sel_hi:[1,1,0] neg_lo:[0,0,1] neg_hi:[0,0,1]
	v_pk_fma_f32 v[4:5], v[22:23], v[36:37], v[4:5] op_sel:[0,0,1] op_sel_hi:[1,0,0]
	s_waitcnt vmcnt(5)
	v_mov_b32_e32 v4, v39
	v_mov_b32_e32 v7, v5
	v_pk_mul_f32 v[4:5], v[24:25], v[4:5] op_sel_hi:[1,0]
	v_pk_add_f32 v[2:3], v[2:3], v[6:7]
	s_waitcnt vmcnt(3)
	v_pk_fma_f32 v[6:7], v[24:25], v[38:39], v[4:5] op_sel:[0,0,1] op_sel_hi:[1,1,0] neg_lo:[0,0,1] neg_hi:[0,0,1]
	v_pk_fma_f32 v[4:5], v[24:25], v[38:39], v[4:5] op_sel:[0,0,1] op_sel_hi:[1,0,0]
	s_waitcnt vmcnt(2)
	v_mov_b32_e32 v4, v41
	v_mov_b32_e32 v7, v5
	s_waitcnt lgkmcnt(0)
	v_pk_mul_f32 v[4:5], v[44:45], v[4:5] op_sel_hi:[1,0]
	v_pk_add_f32 v[2:3], v[2:3], v[6:7]
	v_pk_fma_f32 v[6:7], v[44:45], v[40:41], v[4:5] op_sel:[0,0,1] op_sel_hi:[1,1,0] neg_lo:[0,0,1] neg_hi:[0,0,1]
	v_pk_fma_f32 v[4:5], v[44:45], v[40:41], v[4:5] op_sel:[0,0,1] op_sel_hi:[1,0,0]
	v_mov_b32_e32 v7, v5
	v_pk_add_f32 v[2:3], v[2:3], v[6:7]
	s_waitcnt vmcnt(0)
	v_pk_add_f32 v[2:3], v[42:43], v[2:3] neg_lo:[0,1] neg_hi:[0,1]
	buffer_store_dword v3, off, s[0:3], 0 offset:404
	buffer_store_dword v2, off, s[0:3], 0 offset:400
	s_and_saveexec_b64 s[4:5], vcc
	s_cbranch_execz .LBB127_299
; %bb.298:
	buffer_load_dword v2, off, s[0:3], 0 offset:392
	buffer_load_dword v3, off, s[0:3], 0 offset:396
	s_waitcnt vmcnt(0)
	ds_write_b64 v223, v[2:3]
	buffer_store_dword v1, off, s[0:3], 0 offset:392
	buffer_store_dword v1, off, s[0:3], 0 offset:396
.LBB127_299:
	s_or_b64 exec, exec, s[4:5]
	s_waitcnt lgkmcnt(0)
	; wave barrier
	s_waitcnt lgkmcnt(0)
	buffer_load_dword v48, off, s[0:3], 0 offset:404
	buffer_load_dword v50, off, s[0:3], 0 offset:412
	;; [unrolled: 1-line block ×30, first 2 shown]
	ds_read_b128 v[2:5], v1 offset:912
	ds_read_b128 v[6:9], v1 offset:928
	;; [unrolled: 1-line block ×7, first 2 shown]
	v_cmp_lt_u32_e32 vcc, 48, v0
	s_waitcnt vmcnt(29) lgkmcnt(6)
	v_mul_f32_e32 v1, v2, v48
	v_mul_f32_e32 v48, v3, v48
	s_waitcnt vmcnt(27) lgkmcnt(5)
	v_mul_f32_e32 v64, v6, v52
	s_waitcnt vmcnt(26)
	v_mul_f32_e32 v65, v8, v53
	v_mul_f32_e32 v53, v9, v53
	;; [unrolled: 1-line block ×3, first 2 shown]
	s_waitcnt vmcnt(23)
	v_mov_b32_e32 v52, v31
	v_mul_f32_e32 v63, v4, v50
	v_mul_f32_e32 v50, v5, v50
	s_waitcnt vmcnt(20)
	v_fmac_f32_e32 v1, v3, v57
	s_waitcnt vmcnt(19)
	v_fmac_f32_e32 v63, v5, v58
	v_add_f32_e32 v1, 0, v1
	s_waitcnt vmcnt(17)
	v_fma_f32 v53, v8, v60, -v53
	v_fmac_f32_e32 v65, v9, v60
	v_fma_f32 v9, v2, v57, -v48
	s_waitcnt lgkmcnt(3)
	v_pk_mul_f32 v[2:3], v[14:15], v[52:53] op_sel_hi:[1,0]
	v_fma_f32 v57, v4, v58, -v50
	v_add_f32_e32 v52, 0, v9
	s_waitcnt vmcnt(14)
	v_pk_fma_f32 v[8:9], v[14:15], v[30:31], v[2:3] op_sel:[0,0,1] op_sel_hi:[1,1,0] neg_lo:[0,0,1] neg_hi:[0,0,1]
	v_pk_fma_f32 v[2:3], v[14:15], v[30:31], v[2:3] op_sel:[0,0,1] op_sel_hi:[1,0,0]
	v_mul_f32_e32 v49, v10, v54
	v_mul_f32_e32 v51, v12, v55
	;; [unrolled: 1-line block ×4, first 2 shown]
	v_mov_b32_e32 v54, v33
	v_fmac_f32_e32 v64, v7, v59
	v_fma_f32 v58, v6, v59, -v66
	v_add_f32_e32 v1, v1, v63
	v_add_f32_e32 v2, v52, v57
	v_pk_mul_f32 v[4:5], v[16:17], v[54:55] op_sel_hi:[1,0]
	v_add_f32_e32 v1, v1, v64
	v_add_f32_e32 v2, v2, v58
	v_mov_b32_e32 v56, v35
	v_fmac_f32_e32 v49, v11, v61
	v_fma_f32 v48, v10, v61, -v67
	s_waitcnt vmcnt(10)
	v_pk_fma_f32 v[10:11], v[16:17], v[32:33], v[4:5] op_sel:[0,0,1] op_sel_hi:[1,1,0] neg_lo:[0,0,1] neg_hi:[0,0,1]
	v_pk_fma_f32 v[4:5], v[16:17], v[32:33], v[4:5] op_sel:[0,0,1] op_sel_hi:[1,0,0]
	v_mov_b32_e32 v9, v3
	v_add_f32_e32 v3, v1, v65
	v_add_f32_e32 v2, v2, v53
	v_fmac_f32_e32 v51, v13, v62
	v_fma_f32 v50, v12, v62, -v55
	s_waitcnt lgkmcnt(2)
	v_pk_mul_f32 v[6:7], v[18:19], v[56:57] op_sel_hi:[1,0]
	v_pk_add_f32 v[2:3], v[2:3], v[48:49]
	s_waitcnt vmcnt(9)
	v_mov_b32_e32 v4, v39
	v_pk_fma_f32 v[12:13], v[18:19], v[34:35], v[6:7] op_sel:[0,0,1] op_sel_hi:[1,1,0] neg_lo:[0,0,1] neg_hi:[0,0,1]
	v_pk_fma_f32 v[6:7], v[18:19], v[34:35], v[6:7] op_sel:[0,0,1] op_sel_hi:[1,0,0]
	v_mov_b32_e32 v11, v5
	v_pk_add_f32 v[2:3], v[2:3], v[50:51]
	v_pk_mul_f32 v[4:5], v[20:21], v[4:5] op_sel_hi:[1,0]
	v_mov_b32_e32 v13, v7
	v_pk_add_f32 v[2:3], v[2:3], v[8:9]
	v_pk_fma_f32 v[6:7], v[20:21], v[38:39], v[4:5] op_sel:[0,0,1] op_sel_hi:[1,1,0] neg_lo:[0,0,1] neg_hi:[0,0,1]
	v_pk_fma_f32 v[4:5], v[20:21], v[38:39], v[4:5] op_sel:[0,0,1] op_sel_hi:[1,0,0]
	v_pk_add_f32 v[2:3], v[2:3], v[10:11]
	s_waitcnt vmcnt(8)
	v_mov_b32_e32 v4, v37
	v_pk_add_f32 v[2:3], v[2:3], v[12:13]
	v_mov_b32_e32 v7, v5
	s_waitcnt lgkmcnt(1)
	v_pk_mul_f32 v[4:5], v[22:23], v[4:5] op_sel_hi:[1,0]
	v_pk_add_f32 v[2:3], v[2:3], v[6:7]
	v_pk_fma_f32 v[6:7], v[22:23], v[36:37], v[4:5] op_sel:[0,0,1] op_sel_hi:[1,1,0] neg_lo:[0,0,1] neg_hi:[0,0,1]
	v_pk_fma_f32 v[4:5], v[22:23], v[36:37], v[4:5] op_sel:[0,0,1] op_sel_hi:[1,0,0]
	s_waitcnt vmcnt(7)
	v_mov_b32_e32 v4, v41
	v_mov_b32_e32 v7, v5
	v_pk_mul_f32 v[4:5], v[24:25], v[4:5] op_sel_hi:[1,0]
	v_pk_add_f32 v[2:3], v[2:3], v[6:7]
	s_waitcnt vmcnt(4)
	v_pk_fma_f32 v[6:7], v[24:25], v[40:41], v[4:5] op_sel:[0,0,1] op_sel_hi:[1,1,0] neg_lo:[0,0,1] neg_hi:[0,0,1]
	v_pk_fma_f32 v[4:5], v[24:25], v[40:41], v[4:5] op_sel:[0,0,1] op_sel_hi:[1,0,0]
	s_waitcnt vmcnt(3)
	v_mov_b32_e32 v4, v45
	v_mov_b32_e32 v7, v5
	s_waitcnt lgkmcnt(0)
	v_pk_mul_f32 v[4:5], v[26:27], v[4:5] op_sel_hi:[1,0]
	v_pk_add_f32 v[2:3], v[2:3], v[6:7]
	v_pk_fma_f32 v[6:7], v[26:27], v[44:45], v[4:5] op_sel:[0,0,1] op_sel_hi:[1,1,0] neg_lo:[0,0,1] neg_hi:[0,0,1]
	v_pk_fma_f32 v[4:5], v[26:27], v[44:45], v[4:5] op_sel:[0,0,1] op_sel_hi:[1,0,0]
	s_waitcnt vmcnt(0)
	v_mov_b32_e32 v4, v43
	v_mov_b32_e32 v7, v5
	v_pk_mul_f32 v[4:5], v[28:29], v[4:5] op_sel_hi:[1,0]
	v_pk_add_f32 v[2:3], v[2:3], v[6:7]
	v_pk_fma_f32 v[6:7], v[28:29], v[42:43], v[4:5] op_sel:[0,0,1] op_sel_hi:[1,1,0] neg_lo:[0,0,1] neg_hi:[0,0,1]
	v_pk_fma_f32 v[4:5], v[28:29], v[42:43], v[4:5] op_sel:[0,0,1] op_sel_hi:[1,0,0]
	v_mov_b32_e32 v7, v5
	v_pk_add_f32 v[2:3], v[2:3], v[6:7]
	v_pk_add_f32 v[2:3], v[46:47], v[2:3] neg_lo:[0,1] neg_hi:[0,1]
	buffer_store_dword v3, off, s[0:3], 0 offset:396
	buffer_store_dword v2, off, s[0:3], 0 offset:392
	s_and_saveexec_b64 s[4:5], vcc
	s_cbranch_execz .LBB127_301
; %bb.300:
	buffer_load_dword v2, off, s[0:3], 0 offset:384
	buffer_load_dword v3, off, s[0:3], 0 offset:388
	v_mov_b32_e32 v1, 0
	buffer_store_dword v1, off, s[0:3], 0 offset:384
	buffer_store_dword v1, off, s[0:3], 0 offset:388
	s_waitcnt vmcnt(2)
	ds_write_b64 v223, v[2:3]
.LBB127_301:
	s_or_b64 exec, exec, s[4:5]
	s_waitcnt lgkmcnt(0)
	; wave barrier
	s_waitcnt lgkmcnt(0)
	buffer_load_dword v50, off, s[0:3], 0 offset:396
	buffer_load_dword v52, off, s[0:3], 0 offset:404
	;; [unrolled: 1-line block ×32, first 2 shown]
	v_mov_b32_e32 v1, 0
	ds_read2_b64 v[2:5], v1 offset0:113 offset1:114
	ds_read2_b64 v[6:9], v1 offset0:115 offset1:116
	;; [unrolled: 1-line block ×7, first 2 shown]
	ds_read_b64 v[48:49], v1 offset:1016
	v_cmp_lt_u32_e32 vcc, 47, v0
	s_waitcnt vmcnt(31) lgkmcnt(7)
	v_mul_f32_e32 v66, v2, v50
	s_waitcnt vmcnt(30)
	v_mul_f32_e32 v67, v4, v52
	s_waitcnt vmcnt(29) lgkmcnt(6)
	v_mul_f32_e32 v68, v6, v54
	s_waitcnt vmcnt(28)
	v_mul_f32_e32 v69, v8, v55
	v_mul_f32_e32 v50, v3, v50
	;; [unrolled: 1-line block ×4, first 2 shown]
	s_waitcnt vmcnt(24)
	v_mov_b32_e32 v54, v31
	s_waitcnt lgkmcnt(5)
	v_mul_f32_e32 v70, v10, v56
	v_mul_f32_e32 v52, v5, v52
	;; [unrolled: 1-line block ×3, first 2 shown]
	s_waitcnt vmcnt(22)
	v_fmac_f32_e32 v66, v3, v59
	s_waitcnt vmcnt(21)
	v_fmac_f32_e32 v67, v5, v60
	v_fma_f32 v5, v2, v59, -v50
	s_waitcnt lgkmcnt(4)
	v_pk_mul_f32 v[2:3], v[16:17], v[54:55] op_sel_hi:[1,0]
	s_waitcnt vmcnt(20)
	v_fmac_f32_e32 v68, v7, v61
	s_waitcnt vmcnt(19)
	v_fmac_f32_e32 v69, v9, v62
	;; [unrolled: 2-line block ×3, first 2 shown]
	v_fma_f32 v7, v4, v60, -v52
	v_fma_f32 v9, v10, v63, -v72
	v_add_f32_e32 v10, 0, v66
	v_add_f32_e32 v11, 0, v5
	s_waitcnt vmcnt(12)
	v_pk_fma_f32 v[4:5], v[16:17], v[30:31], v[2:3] op_sel:[0,0,1] op_sel_hi:[1,1,0] neg_lo:[0,0,1] neg_hi:[0,0,1]
	v_pk_fma_f32 v[2:3], v[16:17], v[30:31], v[2:3] op_sel:[0,0,1] op_sel_hi:[1,0,0]
	v_fma_f32 v6, v6, v61, -v71
	v_add_f32_e32 v2, v10, v67
	v_add_f32_e32 v7, v11, v7
	v_fma_f32 v8, v8, v62, -v55
	v_mov_b32_e32 v5, v3
	v_add_f32_e32 v2, v2, v68
	v_add_f32_e32 v3, v7, v6
	v_mul_f32_e32 v51, v12, v57
	v_mul_f32_e32 v57, v13, v57
	v_add_f32_e32 v2, v2, v69
	v_add_f32_e32 v6, v3, v8
	v_mul_f32_e32 v53, v14, v58
	v_mul_f32_e32 v58, v15, v58
	v_fmac_f32_e32 v51, v13, v64
	v_fma_f32 v50, v12, v64, -v57
	v_add_f32_e32 v3, v2, v70
	v_add_f32_e32 v2, v6, v9
	v_fmac_f32_e32 v53, v15, v65
	v_fma_f32 v52, v14, v65, -v58
	v_pk_add_f32 v[2:3], v[2:3], v[50:51]
	v_mov_b32_e32 v56, v33
	v_pk_add_f32 v[2:3], v[2:3], v[52:53]
	v_pk_add_f32 v[2:3], v[2:3], v[4:5]
	s_waitcnt lgkmcnt(3)
	v_pk_mul_f32 v[4:5], v[18:19], v[56:57] op_sel_hi:[1,0]
	v_pk_fma_f32 v[6:7], v[18:19], v[32:33], v[4:5] op_sel:[0,0,1] op_sel_hi:[1,1,0] neg_lo:[0,0,1] neg_hi:[0,0,1]
	v_pk_fma_f32 v[4:5], v[18:19], v[32:33], v[4:5] op_sel:[0,0,1] op_sel_hi:[1,0,0]
	s_waitcnt vmcnt(11)
	v_mov_b32_e32 v4, v37
	v_mov_b32_e32 v7, v5
	v_pk_mul_f32 v[4:5], v[20:21], v[4:5] op_sel_hi:[1,0]
	v_pk_add_f32 v[2:3], v[2:3], v[6:7]
	v_pk_fma_f32 v[6:7], v[20:21], v[36:37], v[4:5] op_sel:[0,0,1] op_sel_hi:[1,1,0] neg_lo:[0,0,1] neg_hi:[0,0,1]
	v_pk_fma_f32 v[4:5], v[20:21], v[36:37], v[4:5] op_sel:[0,0,1] op_sel_hi:[1,0,0]
	s_waitcnt vmcnt(10)
	v_mov_b32_e32 v4, v35
	v_mov_b32_e32 v7, v5
	s_waitcnt lgkmcnt(2)
	v_pk_mul_f32 v[4:5], v[22:23], v[4:5] op_sel_hi:[1,0]
	v_pk_add_f32 v[2:3], v[2:3], v[6:7]
	v_pk_fma_f32 v[6:7], v[22:23], v[34:35], v[4:5] op_sel:[0,0,1] op_sel_hi:[1,1,0] neg_lo:[0,0,1] neg_hi:[0,0,1]
	v_pk_fma_f32 v[4:5], v[22:23], v[34:35], v[4:5] op_sel:[0,0,1] op_sel_hi:[1,0,0]
	s_waitcnt vmcnt(9)
	v_mov_b32_e32 v4, v39
	v_mov_b32_e32 v7, v5
	v_pk_mul_f32 v[4:5], v[24:25], v[4:5] op_sel_hi:[1,0]
	v_pk_add_f32 v[2:3], v[2:3], v[6:7]
	s_waitcnt vmcnt(4)
	v_pk_fma_f32 v[6:7], v[24:25], v[38:39], v[4:5] op_sel:[0,0,1] op_sel_hi:[1,1,0] neg_lo:[0,0,1] neg_hi:[0,0,1]
	v_pk_fma_f32 v[4:5], v[24:25], v[38:39], v[4:5] op_sel:[0,0,1] op_sel_hi:[1,0,0]
	v_mov_b32_e32 v4, v45
	v_mov_b32_e32 v7, v5
	s_waitcnt lgkmcnt(1)
	v_pk_mul_f32 v[4:5], v[26:27], v[4:5] op_sel_hi:[1,0]
	v_pk_add_f32 v[2:3], v[2:3], v[6:7]
	v_pk_fma_f32 v[6:7], v[26:27], v[44:45], v[4:5] op_sel:[0,0,1] op_sel_hi:[1,1,0] neg_lo:[0,0,1] neg_hi:[0,0,1]
	v_pk_fma_f32 v[4:5], v[26:27], v[44:45], v[4:5] op_sel:[0,0,1] op_sel_hi:[1,0,0]
	s_waitcnt vmcnt(3)
	v_mov_b32_e32 v4, v43
	v_mov_b32_e32 v7, v5
	v_pk_mul_f32 v[4:5], v[28:29], v[4:5] op_sel_hi:[1,0]
	v_pk_add_f32 v[2:3], v[2:3], v[6:7]
	v_pk_fma_f32 v[6:7], v[28:29], v[42:43], v[4:5] op_sel:[0,0,1] op_sel_hi:[1,1,0] neg_lo:[0,0,1] neg_hi:[0,0,1]
	v_pk_fma_f32 v[4:5], v[28:29], v[42:43], v[4:5] op_sel:[0,0,1] op_sel_hi:[1,0,0]
	s_waitcnt vmcnt(0)
	v_mov_b32_e32 v4, v41
	v_mov_b32_e32 v7, v5
	s_waitcnt lgkmcnt(0)
	v_pk_mul_f32 v[4:5], v[48:49], v[4:5] op_sel_hi:[1,0]
	v_pk_add_f32 v[2:3], v[2:3], v[6:7]
	v_pk_fma_f32 v[6:7], v[48:49], v[40:41], v[4:5] op_sel:[0,0,1] op_sel_hi:[1,1,0] neg_lo:[0,0,1] neg_hi:[0,0,1]
	v_pk_fma_f32 v[4:5], v[48:49], v[40:41], v[4:5] op_sel:[0,0,1] op_sel_hi:[1,0,0]
	v_mov_b32_e32 v7, v5
	v_pk_add_f32 v[2:3], v[2:3], v[6:7]
	v_pk_add_f32 v[2:3], v[46:47], v[2:3] neg_lo:[0,1] neg_hi:[0,1]
	buffer_store_dword v3, off, s[0:3], 0 offset:388
	buffer_store_dword v2, off, s[0:3], 0 offset:384
	s_and_saveexec_b64 s[4:5], vcc
	s_cbranch_execz .LBB127_303
; %bb.302:
	buffer_load_dword v2, off, s[0:3], 0 offset:376
	buffer_load_dword v3, off, s[0:3], 0 offset:380
	s_waitcnt vmcnt(0)
	ds_write_b64 v223, v[2:3]
	buffer_store_dword v1, off, s[0:3], 0 offset:376
	buffer_store_dword v1, off, s[0:3], 0 offset:380
.LBB127_303:
	s_or_b64 exec, exec, s[4:5]
	s_waitcnt lgkmcnt(0)
	; wave barrier
	s_waitcnt lgkmcnt(0)
	buffer_load_dword v52, off, s[0:3], 0 offset:388
	buffer_load_dword v54, off, s[0:3], 0 offset:396
	;; [unrolled: 1-line block ×32, first 2 shown]
	ds_read_b128 v[2:5], v1 offset:896
	ds_read_b128 v[6:9], v1 offset:912
	;; [unrolled: 1-line block ×4, first 2 shown]
	buffer_load_dword v51, off, s[0:3], 0 offset:508
	buffer_load_dword v50, off, s[0:3], 0 offset:504
	ds_read_b128 v[18:21], v1 offset:960
	ds_read_b128 v[22:25], v1 offset:976
	;; [unrolled: 1-line block ×4, first 2 shown]
	v_cmp_lt_u32_e32 vcc, 46, v0
	s_waitcnt vmcnt(33) lgkmcnt(7)
	v_mul_f32_e32 v1, v2, v52
	v_mul_f32_e32 v52, v3, v52
	s_waitcnt vmcnt(32)
	v_mul_f32_e32 v70, v4, v54
	v_mul_f32_e32 v54, v5, v54
	s_waitcnt vmcnt(31) lgkmcnt(6)
	v_mul_f32_e32 v71, v6, v56
	v_mul_f32_e32 v56, v7, v56
	s_waitcnt vmcnt(30)
	v_mul_f32_e32 v72, v8, v57
	v_mul_f32_e32 v57, v9, v57
	s_waitcnt vmcnt(25)
	v_fmac_f32_e32 v1, v3, v62
	v_fma_f32 v2, v2, v62, -v52
	s_waitcnt vmcnt(24)
	v_fmac_f32_e32 v70, v5, v63
	v_fma_f32 v3, v4, v63, -v54
	v_add_f32_e32 v1, 0, v1
	v_add_f32_e32 v2, 0, v2
	s_waitcnt vmcnt(23)
	v_fmac_f32_e32 v71, v7, v64
	v_fma_f32 v4, v6, v64, -v56
	v_add_f32_e32 v1, v1, v70
	v_add_f32_e32 v2, v2, v3
	s_waitcnt lgkmcnt(5)
	v_mul_f32_e32 v73, v10, v58
	v_mul_f32_e32 v58, v11, v58
	s_waitcnt vmcnt(22)
	v_fmac_f32_e32 v72, v9, v65
	v_fma_f32 v5, v8, v65, -v57
	v_add_f32_e32 v1, v1, v71
	v_add_f32_e32 v2, v2, v4
	v_mul_f32_e32 v74, v12, v59
	v_mul_f32_e32 v59, v13, v59
	s_waitcnt vmcnt(21)
	v_fmac_f32_e32 v73, v11, v66
	v_fma_f32 v6, v10, v66, -v58
	v_add_f32_e32 v1, v1, v72
	v_add_f32_e32 v2, v2, v5
	s_waitcnt vmcnt(17)
	v_mov_b32_e32 v4, v35
	s_waitcnt lgkmcnt(4)
	v_mul_f32_e32 v53, v14, v60
	v_mul_f32_e32 v60, v15, v60
	v_fmac_f32_e32 v74, v13, v67
	v_fma_f32 v7, v12, v67, -v59
	v_add_f32_e32 v1, v1, v73
	v_add_f32_e32 v2, v2, v6
	s_waitcnt lgkmcnt(3)
	v_pk_mul_f32 v[4:5], v[18:19], v[4:5] op_sel_hi:[1,0]
	v_mul_f32_e32 v55, v16, v61
	v_mul_f32_e32 v61, v17, v61
	v_fmac_f32_e32 v53, v15, v68
	v_fma_f32 v52, v14, v68, -v60
	v_add_f32_e32 v3, v1, v74
	v_add_f32_e32 v2, v2, v7
	s_waitcnt vmcnt(14)
	v_pk_fma_f32 v[6:7], v[18:19], v[34:35], v[4:5] op_sel:[0,0,1] op_sel_hi:[1,1,0] neg_lo:[0,0,1] neg_hi:[0,0,1]
	v_pk_fma_f32 v[4:5], v[18:19], v[34:35], v[4:5] op_sel:[0,0,1] op_sel_hi:[1,0,0]
	v_fmac_f32_e32 v55, v17, v69
	v_fma_f32 v54, v16, v69, -v61
	v_pk_add_f32 v[2:3], v[2:3], v[52:53]
	s_waitcnt vmcnt(13)
	v_mov_b32_e32 v4, v39
	v_pk_add_f32 v[2:3], v[2:3], v[54:55]
	v_mov_b32_e32 v7, v5
	v_pk_mul_f32 v[4:5], v[20:21], v[4:5] op_sel_hi:[1,0]
	v_pk_add_f32 v[2:3], v[2:3], v[6:7]
	v_pk_fma_f32 v[6:7], v[20:21], v[38:39], v[4:5] op_sel:[0,0,1] op_sel_hi:[1,1,0] neg_lo:[0,0,1] neg_hi:[0,0,1]
	v_pk_fma_f32 v[4:5], v[20:21], v[38:39], v[4:5] op_sel:[0,0,1] op_sel_hi:[1,0,0]
	s_waitcnt vmcnt(12)
	v_mov_b32_e32 v4, v37
	v_mov_b32_e32 v7, v5
	s_waitcnt lgkmcnt(2)
	v_pk_mul_f32 v[4:5], v[22:23], v[4:5] op_sel_hi:[1,0]
	v_pk_add_f32 v[2:3], v[2:3], v[6:7]
	v_pk_fma_f32 v[6:7], v[22:23], v[36:37], v[4:5] op_sel:[0,0,1] op_sel_hi:[1,1,0] neg_lo:[0,0,1] neg_hi:[0,0,1]
	v_pk_fma_f32 v[4:5], v[22:23], v[36:37], v[4:5] op_sel:[0,0,1] op_sel_hi:[1,0,0]
	s_waitcnt vmcnt(11)
	v_mov_b32_e32 v4, v41
	v_mov_b32_e32 v7, v5
	v_pk_mul_f32 v[4:5], v[24:25], v[4:5] op_sel_hi:[1,0]
	v_pk_add_f32 v[2:3], v[2:3], v[6:7]
	s_waitcnt vmcnt(5)
	v_pk_fma_f32 v[6:7], v[24:25], v[40:41], v[4:5] op_sel:[0,0,1] op_sel_hi:[1,1,0] neg_lo:[0,0,1] neg_hi:[0,0,1]
	v_pk_fma_f32 v[4:5], v[24:25], v[40:41], v[4:5] op_sel:[0,0,1] op_sel_hi:[1,0,0]
	v_mov_b32_e32 v4, v47
	v_mov_b32_e32 v7, v5
	s_waitcnt lgkmcnt(1)
	v_pk_mul_f32 v[4:5], v[26:27], v[4:5] op_sel_hi:[1,0]
	v_pk_add_f32 v[2:3], v[2:3], v[6:7]
	v_pk_fma_f32 v[6:7], v[26:27], v[46:47], v[4:5] op_sel:[0,0,1] op_sel_hi:[1,1,0] neg_lo:[0,0,1] neg_hi:[0,0,1]
	v_pk_fma_f32 v[4:5], v[26:27], v[46:47], v[4:5] op_sel:[0,0,1] op_sel_hi:[1,0,0]
	v_mov_b32_e32 v4, v45
	v_mov_b32_e32 v7, v5
	v_pk_mul_f32 v[4:5], v[28:29], v[4:5] op_sel_hi:[1,0]
	v_pk_add_f32 v[2:3], v[2:3], v[6:7]
	v_pk_fma_f32 v[6:7], v[28:29], v[44:45], v[4:5] op_sel:[0,0,1] op_sel_hi:[1,1,0] neg_lo:[0,0,1] neg_hi:[0,0,1]
	v_pk_fma_f32 v[4:5], v[28:29], v[44:45], v[4:5] op_sel:[0,0,1] op_sel_hi:[1,0,0]
	s_waitcnt vmcnt(2)
	v_mov_b32_e32 v4, v43
	v_mov_b32_e32 v7, v5
	s_waitcnt lgkmcnt(0)
	v_pk_mul_f32 v[4:5], v[30:31], v[4:5] op_sel_hi:[1,0]
	v_pk_add_f32 v[2:3], v[2:3], v[6:7]
	v_pk_fma_f32 v[6:7], v[30:31], v[42:43], v[4:5] op_sel:[0,0,1] op_sel_hi:[1,1,0] neg_lo:[0,0,1] neg_hi:[0,0,1]
	v_pk_fma_f32 v[4:5], v[30:31], v[42:43], v[4:5] op_sel:[0,0,1] op_sel_hi:[1,0,0]
	s_waitcnt vmcnt(1)
	v_mov_b32_e32 v4, v51
	v_mov_b32_e32 v7, v5
	v_pk_mul_f32 v[4:5], v[32:33], v[4:5] op_sel_hi:[1,0]
	v_pk_add_f32 v[2:3], v[2:3], v[6:7]
	s_waitcnt vmcnt(0)
	v_pk_fma_f32 v[6:7], v[32:33], v[50:51], v[4:5] op_sel:[0,0,1] op_sel_hi:[1,1,0] neg_lo:[0,0,1] neg_hi:[0,0,1]
	v_pk_fma_f32 v[4:5], v[32:33], v[50:51], v[4:5] op_sel:[0,0,1] op_sel_hi:[1,0,0]
	v_mov_b32_e32 v7, v5
	v_pk_add_f32 v[2:3], v[2:3], v[6:7]
	v_pk_add_f32 v[2:3], v[48:49], v[2:3] neg_lo:[0,1] neg_hi:[0,1]
	buffer_store_dword v3, off, s[0:3], 0 offset:380
	buffer_store_dword v2, off, s[0:3], 0 offset:376
	s_and_saveexec_b64 s[4:5], vcc
	s_cbranch_execz .LBB127_305
; %bb.304:
	buffer_load_dword v2, off, s[0:3], 0 offset:368
	buffer_load_dword v3, off, s[0:3], 0 offset:372
	v_mov_b32_e32 v1, 0
	buffer_store_dword v1, off, s[0:3], 0 offset:368
	buffer_store_dword v1, off, s[0:3], 0 offset:372
	s_waitcnt vmcnt(2)
	ds_write_b64 v223, v[2:3]
.LBB127_305:
	s_or_b64 exec, exec, s[4:5]
	s_waitcnt lgkmcnt(0)
	; wave barrier
	s_waitcnt lgkmcnt(0)
	buffer_load_dword v44, off, s[0:3], 0 offset:380
	buffer_load_dword v46, off, s[0:3], 0 offset:388
	;; [unrolled: 1-line block ×36, first 2 shown]
	v_mov_b32_e32 v1, 0
	ds_read2_b64 v[2:5], v1 offset0:111 offset1:112
	ds_read2_b64 v[6:9], v1 offset0:113 offset1:114
	ds_read2_b64 v[10:13], v1 offset0:115 offset1:116
	ds_read2_b64 v[14:17], v1 offset0:117 offset1:118
	ds_read2_b64 v[18:21], v1 offset0:119 offset1:120
	ds_read2_b64 v[22:25], v1 offset0:121 offset1:122
	v_cmp_lt_u32_e32 vcc, 45, v0
	s_waitcnt vmcnt(35) lgkmcnt(5)
	v_mul_f32_e32 v64, v2, v44
	s_waitcnt vmcnt(34)
	v_mul_f32_e32 v65, v4, v46
	v_mul_f32_e32 v44, v3, v44
	s_waitcnt vmcnt(32) lgkmcnt(4)
	v_mul_f32_e32 v67, v8, v49
	v_mul_f32_e32 v49, v9, v49
	;; [unrolled: 1-line block ×5, first 2 shown]
	s_waitcnt vmcnt(31) lgkmcnt(3)
	v_mul_f32_e32 v68, v10, v50
	s_waitcnt vmcnt(26)
	v_fmac_f32_e32 v64, v3, v55
	s_waitcnt vmcnt(25)
	v_fmac_f32_e32 v65, v5, v56
	v_fma_f32 v2, v2, v55, -v44
	s_waitcnt vmcnt(23)
	v_fma_f32 v5, v8, v58, -v49
	v_add_f32_e32 v8, 0, v64
	v_fmac_f32_e32 v66, v7, v57
	v_fma_f32 v3, v4, v56, -v46
	v_add_f32_e32 v2, 0, v2
	v_add_f32_e32 v8, v8, v65
	v_fmac_f32_e32 v67, v9, v58
	v_fma_f32 v4, v6, v57, -v48
	v_add_f32_e32 v2, v2, v3
	v_add_f32_e32 v3, v8, v66
	v_mul_f32_e32 v69, v12, v51
	v_mul_f32_e32 v50, v11, v50
	s_waitcnt vmcnt(22)
	v_fmac_f32_e32 v68, v11, v59
	v_add_f32_e32 v2, v2, v4
	v_add_f32_e32 v3, v3, v67
	s_waitcnt lgkmcnt(2)
	v_mul_f32_e32 v70, v14, v52
	v_mul_f32_e32 v51, v13, v51
	s_waitcnt vmcnt(21)
	v_fmac_f32_e32 v69, v13, v60
	v_fma_f32 v6, v10, v59, -v50
	v_add_f32_e32 v2, v2, v5
	v_add_f32_e32 v3, v3, v68
	v_mul_f32_e32 v52, v15, v52
	s_waitcnt vmcnt(20)
	v_fmac_f32_e32 v70, v15, v61
	v_fma_f32 v7, v12, v60, -v51
	v_add_f32_e32 v2, v2, v6
	v_add_f32_e32 v3, v3, v69
	;; [unrolled: 1-line block ×4, first 2 shown]
	v_fma_f32 v3, v14, v61, -v52
	s_waitcnt vmcnt(17)
	v_mov_b32_e32 v14, v27
	v_mul_f32_e32 v45, v16, v53
	v_add_f32_e32 v10, v2, v3
	v_mul_f32_e32 v2, v17, v53
	s_waitcnt lgkmcnt(1)
	v_pk_mul_f32 v[14:15], v[20:21], v[14:15] op_sel_hi:[1,0]
	v_mul_f32_e32 v47, v18, v54
	v_fmac_f32_e32 v45, v17, v62
	v_fma_f32 v44, v16, v62, -v2
	v_mul_f32_e32 v2, v19, v54
	s_waitcnt vmcnt(15)
	v_pk_fma_f32 v[16:17], v[20:21], v[26:27], v[14:15] op_sel:[0,0,1] op_sel_hi:[1,1,0] neg_lo:[0,0,1] neg_hi:[0,0,1]
	v_pk_fma_f32 v[14:15], v[20:21], v[26:27], v[14:15] op_sel:[0,0,1] op_sel_hi:[1,0,0]
	v_fmac_f32_e32 v47, v19, v63
	v_fma_f32 v46, v18, v63, -v2
	v_pk_add_f32 v[10:11], v[10:11], v[44:45]
	s_waitcnt vmcnt(12)
	v_mov_b32_e32 v14, v29
	v_pk_add_f32 v[10:11], v[10:11], v[46:47]
	v_mov_b32_e32 v17, v15
	s_waitcnt lgkmcnt(0)
	v_pk_mul_f32 v[14:15], v[22:23], v[14:15] op_sel_hi:[1,0]
	v_pk_add_f32 v[10:11], v[10:11], v[16:17]
	v_pk_fma_f32 v[16:17], v[22:23], v[28:29], v[14:15] op_sel:[0,0,1] op_sel_hi:[1,1,0] neg_lo:[0,0,1] neg_hi:[0,0,1]
	v_pk_fma_f32 v[14:15], v[22:23], v[28:29], v[14:15] op_sel:[0,0,1] op_sel_hi:[1,0,0]
	s_waitcnt vmcnt(11)
	v_mov_b32_e32 v14, v33
	ds_read2_b64 v[2:5], v1 offset0:123 offset1:124
	ds_read2_b64 v[6:9], v1 offset0:125 offset1:126
	ds_read_b64 v[12:13], v1 offset:1016
	v_mov_b32_e32 v17, v15
	v_pk_mul_f32 v[14:15], v[24:25], v[14:15] op_sel_hi:[1,0]
	v_pk_add_f32 v[10:11], v[10:11], v[16:17]
	s_waitcnt vmcnt(4)
	v_pk_fma_f32 v[16:17], v[24:25], v[32:33], v[14:15] op_sel:[0,0,1] op_sel_hi:[1,1,0] neg_lo:[0,0,1] neg_hi:[0,0,1]
	v_pk_fma_f32 v[14:15], v[24:25], v[32:33], v[14:15] op_sel:[0,0,1] op_sel_hi:[1,0,0]
	v_mov_b32_e32 v14, v39
	v_mov_b32_e32 v17, v15
	s_waitcnt lgkmcnt(2)
	v_pk_mul_f32 v[14:15], v[2:3], v[14:15] op_sel_hi:[1,0]
	v_pk_add_f32 v[10:11], v[10:11], v[16:17]
	v_pk_fma_f32 v[16:17], v[2:3], v[38:39], v[14:15] op_sel:[0,0,1] op_sel_hi:[1,1,0] neg_lo:[0,0,1] neg_hi:[0,0,1]
	v_pk_fma_f32 v[2:3], v[2:3], v[38:39], v[14:15] op_sel:[0,0,1] op_sel_hi:[1,0,0]
	v_mov_b32_e32 v17, v3
	v_pk_add_f32 v[2:3], v[10:11], v[16:17]
	v_mov_b32_e32 v10, v37
	v_pk_mul_f32 v[10:11], v[4:5], v[10:11] op_sel_hi:[1,0]
	v_pk_fma_f32 v[14:15], v[4:5], v[36:37], v[10:11] op_sel:[0,0,1] op_sel_hi:[1,1,0] neg_lo:[0,0,1] neg_hi:[0,0,1]
	v_pk_fma_f32 v[4:5], v[4:5], v[36:37], v[10:11] op_sel:[0,0,1] op_sel_hi:[1,0,0]
	v_mov_b32_e32 v4, v35
	v_mov_b32_e32 v15, v5
	s_waitcnt lgkmcnt(1)
	v_pk_mul_f32 v[4:5], v[6:7], v[4:5] op_sel_hi:[1,0]
	v_pk_fma_f32 v[10:11], v[6:7], v[34:35], v[4:5] op_sel:[0,0,1] op_sel_hi:[1,1,0] neg_lo:[0,0,1] neg_hi:[0,0,1]
	v_pk_fma_f32 v[4:5], v[6:7], v[34:35], v[4:5] op_sel:[0,0,1] op_sel_hi:[1,0,0]
	s_waitcnt vmcnt(1)
	v_mov_b32_e32 v4, v43
	v_mov_b32_e32 v11, v5
	v_pk_mul_f32 v[4:5], v[8:9], v[4:5] op_sel_hi:[1,0]
	s_waitcnt vmcnt(0)
	v_pk_fma_f32 v[6:7], v[8:9], v[42:43], v[4:5] op_sel:[0,0,1] op_sel_hi:[1,1,0] neg_lo:[0,0,1] neg_hi:[0,0,1]
	v_pk_fma_f32 v[4:5], v[8:9], v[42:43], v[4:5] op_sel:[0,0,1] op_sel_hi:[1,0,0]
	v_pk_add_f32 v[2:3], v[2:3], v[14:15]
	v_mov_b32_e32 v4, v41
	v_pk_add_f32 v[2:3], v[2:3], v[10:11]
	v_mov_b32_e32 v7, v5
	s_waitcnt lgkmcnt(0)
	v_pk_mul_f32 v[4:5], v[12:13], v[4:5] op_sel_hi:[1,0]
	v_pk_add_f32 v[2:3], v[2:3], v[6:7]
	v_pk_fma_f32 v[6:7], v[12:13], v[40:41], v[4:5] op_sel:[0,0,1] op_sel_hi:[1,1,0] neg_lo:[0,0,1] neg_hi:[0,0,1]
	v_pk_fma_f32 v[4:5], v[12:13], v[40:41], v[4:5] op_sel:[0,0,1] op_sel_hi:[1,0,0]
	v_mov_b32_e32 v7, v5
	v_pk_add_f32 v[2:3], v[2:3], v[6:7]
	v_pk_add_f32 v[2:3], v[30:31], v[2:3] neg_lo:[0,1] neg_hi:[0,1]
	buffer_store_dword v3, off, s[0:3], 0 offset:372
	buffer_store_dword v2, off, s[0:3], 0 offset:368
	s_and_saveexec_b64 s[4:5], vcc
	s_cbranch_execz .LBB127_307
; %bb.306:
	buffer_load_dword v2, off, s[0:3], 0 offset:360
	buffer_load_dword v3, off, s[0:3], 0 offset:364
	s_waitcnt vmcnt(0)
	ds_write_b64 v223, v[2:3]
	buffer_store_dword v1, off, s[0:3], 0 offset:360
	buffer_store_dword v1, off, s[0:3], 0 offset:364
.LBB127_307:
	s_or_b64 exec, exec, s[4:5]
	s_waitcnt lgkmcnt(0)
	; wave barrier
	s_waitcnt lgkmcnt(0)
	buffer_load_dword v44, off, s[0:3], 0 offset:372
	buffer_load_dword v46, off, s[0:3], 0 offset:380
	;; [unrolled: 1-line block ×22, first 2 shown]
	ds_read_b128 v[2:5], v1 offset:880
	ds_read_b128 v[6:9], v1 offset:896
	buffer_load_dword v29, off, s[0:3], 0 offset:452
	buffer_load_dword v28, off, s[0:3], 0 offset:448
	;; [unrolled: 1-line block ×10, first 2 shown]
	ds_read_b128 v[10:13], v1 offset:912
	ds_read_b128 v[14:17], v1 offset:928
	ds_read_b128 v[18:21], v1 offset:944
	ds_read_b128 v[22:25], v1 offset:960
	buffer_load_dword v39, off, s[0:3], 0 offset:508
	buffer_load_dword v38, off, s[0:3], 0 offset:504
	;; [unrolled: 1-line block ×6, first 2 shown]
	v_cmp_lt_u32_e32 vcc, 44, v0
	s_waitcnt vmcnt(37) lgkmcnt(5)
	v_mul_f32_e32 v66, v2, v44
	s_waitcnt vmcnt(36)
	v_mul_f32_e32 v67, v4, v46
	s_waitcnt vmcnt(35) lgkmcnt(4)
	v_mul_f32_e32 v68, v6, v48
	v_mul_f32_e32 v44, v3, v44
	;; [unrolled: 1-line block ×4, first 2 shown]
	s_waitcnt vmcnt(34)
	v_mul_f32_e32 v69, v8, v49
	s_waitcnt vmcnt(33) lgkmcnt(3)
	v_mul_f32_e32 v70, v10, v50
	s_waitcnt vmcnt(32)
	v_mul_f32_e32 v71, v12, v51
	s_waitcnt vmcnt(31) lgkmcnt(2)
	v_mul_f32_e32 v72, v14, v52
	s_waitcnt vmcnt(27)
	v_fmac_f32_e32 v66, v3, v56
	s_waitcnt vmcnt(26)
	v_fmac_f32_e32 v67, v5, v57
	;; [unrolled: 2-line block ×3, first 2 shown]
	v_fma_f32 v2, v2, v56, -v44
	v_add_f32_e32 v7, 0, v66
	v_fma_f32 v3, v4, v57, -v46
	v_add_f32_e32 v2, 0, v2
	v_add_f32_e32 v7, v7, v67
	s_waitcnt vmcnt(24)
	v_fmac_f32_e32 v69, v9, v59
	v_add_f32_e32 v2, v2, v3
	v_add_f32_e32 v3, v7, v68
	s_waitcnt vmcnt(23)
	v_fmac_f32_e32 v70, v11, v60
	v_add_f32_e32 v3, v3, v69
	v_mul_f32_e32 v49, v9, v49
	s_waitcnt vmcnt(22)
	v_fmac_f32_e32 v71, v13, v61
	v_fma_f32 v4, v6, v58, -v48
	v_add_f32_e32 v3, v3, v70
	v_mul_f32_e32 v73, v16, v53
	v_mul_f32_e32 v50, v11, v50
	s_waitcnt vmcnt(21)
	v_fmac_f32_e32 v72, v15, v62
	v_fma_f32 v5, v8, v59, -v49
	v_add_f32_e32 v2, v2, v4
	v_add_f32_e32 v3, v3, v71
	v_mul_f32_e32 v51, v13, v51
	s_waitcnt vmcnt(20)
	v_fmac_f32_e32 v73, v17, v63
	v_fma_f32 v6, v10, v60, -v50
	v_add_f32_e32 v2, v2, v5
	v_add_f32_e32 v3, v3, v72
	;; [unrolled: 1-line block ×4, first 2 shown]
	v_fma_f32 v3, v12, v61, -v51
	v_add_f32_e32 v2, v2, v3
	v_mul_f32_e32 v3, v15, v52
	v_fma_f32 v3, v14, v62, -v3
	v_add_f32_e32 v2, v2, v3
	v_mul_f32_e32 v3, v17, v53
	v_fma_f32 v3, v16, v63, -v3
	s_waitcnt vmcnt(15)
	v_mov_b32_e32 v16, v29
	s_waitcnt lgkmcnt(1)
	v_mul_f32_e32 v45, v18, v54
	v_add_f32_e32 v48, v2, v3
	v_mul_f32_e32 v2, v19, v54
	s_waitcnt lgkmcnt(0)
	v_pk_mul_f32 v[16:17], v[22:23], v[16:17] op_sel_hi:[1,0]
	v_mul_f32_e32 v47, v20, v55
	v_fmac_f32_e32 v45, v19, v64
	v_fma_f32 v44, v18, v64, -v2
	v_mul_f32_e32 v2, v21, v55
	s_waitcnt vmcnt(14)
	v_pk_fma_f32 v[18:19], v[22:23], v[28:29], v[16:17] op_sel:[0,0,1] op_sel_hi:[1,1,0] neg_lo:[0,0,1] neg_hi:[0,0,1]
	v_pk_fma_f32 v[16:17], v[22:23], v[28:29], v[16:17] op_sel:[0,0,1] op_sel_hi:[1,0,0]
	v_fmac_f32_e32 v47, v21, v65
	v_fma_f32 v46, v20, v65, -v2
	v_pk_add_f32 v[14:15], v[48:49], v[44:45]
	s_waitcnt vmcnt(13)
	v_mov_b32_e32 v16, v31
	ds_read_b128 v[2:5], v1 offset:976
	ds_read_b128 v[6:9], v1 offset:992
	ds_read_b128 v[10:13], v1 offset:1008
	v_pk_add_f32 v[14:15], v[14:15], v[46:47]
	v_mov_b32_e32 v19, v17
	v_pk_mul_f32 v[16:17], v[24:25], v[16:17] op_sel_hi:[1,0]
	v_pk_add_f32 v[14:15], v[14:15], v[18:19]
	s_waitcnt vmcnt(6)
	v_pk_fma_f32 v[18:19], v[24:25], v[30:31], v[16:17] op_sel:[0,0,1] op_sel_hi:[1,1,0] neg_lo:[0,0,1] neg_hi:[0,0,1]
	v_pk_fma_f32 v[16:17], v[24:25], v[30:31], v[16:17] op_sel:[0,0,1] op_sel_hi:[1,0,0]
	v_mov_b32_e32 v16, v37
	v_mov_b32_e32 v19, v17
	s_waitcnt lgkmcnt(2)
	v_pk_mul_f32 v[16:17], v[2:3], v[16:17] op_sel_hi:[1,0]
	v_pk_add_f32 v[14:15], v[14:15], v[18:19]
	v_pk_fma_f32 v[18:19], v[2:3], v[36:37], v[16:17] op_sel:[0,0,1] op_sel_hi:[1,1,0] neg_lo:[0,0,1] neg_hi:[0,0,1]
	v_pk_fma_f32 v[2:3], v[2:3], v[36:37], v[16:17] op_sel:[0,0,1] op_sel_hi:[1,0,0]
	v_mov_b32_e32 v19, v3
	v_pk_add_f32 v[2:3], v[14:15], v[18:19]
	v_mov_b32_e32 v14, v35
	v_pk_mul_f32 v[14:15], v[4:5], v[14:15] op_sel_hi:[1,0]
	v_pk_fma_f32 v[16:17], v[4:5], v[34:35], v[14:15] op_sel:[0,0,1] op_sel_hi:[1,1,0] neg_lo:[0,0,1] neg_hi:[0,0,1]
	v_pk_fma_f32 v[4:5], v[4:5], v[34:35], v[14:15] op_sel:[0,0,1] op_sel_hi:[1,0,0]
	v_mov_b32_e32 v4, v33
	v_mov_b32_e32 v17, v5
	s_waitcnt lgkmcnt(1)
	v_pk_mul_f32 v[4:5], v[6:7], v[4:5] op_sel_hi:[1,0]
	v_pk_fma_f32 v[14:15], v[6:7], v[32:33], v[4:5] op_sel:[0,0,1] op_sel_hi:[1,1,0] neg_lo:[0,0,1] neg_hi:[0,0,1]
	v_pk_fma_f32 v[4:5], v[6:7], v[32:33], v[4:5] op_sel:[0,0,1] op_sel_hi:[1,0,0]
	s_waitcnt vmcnt(1)
	v_mov_b32_e32 v4, v43
	v_mov_b32_e32 v15, v5
	v_pk_mul_f32 v[4:5], v[8:9], v[4:5] op_sel_hi:[1,0]
	s_waitcnt vmcnt(0)
	v_pk_fma_f32 v[6:7], v[8:9], v[42:43], v[4:5] op_sel:[0,0,1] op_sel_hi:[1,1,0] neg_lo:[0,0,1] neg_hi:[0,0,1]
	v_pk_fma_f32 v[4:5], v[8:9], v[42:43], v[4:5] op_sel:[0,0,1] op_sel_hi:[1,0,0]
	v_pk_add_f32 v[2:3], v[2:3], v[16:17]
	v_mov_b32_e32 v4, v41
	v_pk_add_f32 v[2:3], v[2:3], v[14:15]
	v_mov_b32_e32 v7, v5
	s_waitcnt lgkmcnt(0)
	v_pk_mul_f32 v[4:5], v[10:11], v[4:5] op_sel_hi:[1,0]
	v_pk_add_f32 v[2:3], v[2:3], v[6:7]
	v_pk_fma_f32 v[6:7], v[10:11], v[40:41], v[4:5] op_sel:[0,0,1] op_sel_hi:[1,1,0] neg_lo:[0,0,1] neg_hi:[0,0,1]
	v_pk_fma_f32 v[4:5], v[10:11], v[40:41], v[4:5] op_sel:[0,0,1] op_sel_hi:[1,0,0]
	v_mov_b32_e32 v4, v39
	v_mov_b32_e32 v7, v5
	v_pk_mul_f32 v[4:5], v[12:13], v[4:5] op_sel_hi:[1,0]
	v_pk_add_f32 v[2:3], v[2:3], v[6:7]
	v_pk_fma_f32 v[6:7], v[12:13], v[38:39], v[4:5] op_sel:[0,0,1] op_sel_hi:[1,1,0] neg_lo:[0,0,1] neg_hi:[0,0,1]
	v_pk_fma_f32 v[4:5], v[12:13], v[38:39], v[4:5] op_sel:[0,0,1] op_sel_hi:[1,0,0]
	v_mov_b32_e32 v7, v5
	v_pk_add_f32 v[2:3], v[2:3], v[6:7]
	v_pk_add_f32 v[2:3], v[26:27], v[2:3] neg_lo:[0,1] neg_hi:[0,1]
	buffer_store_dword v3, off, s[0:3], 0 offset:364
	buffer_store_dword v2, off, s[0:3], 0 offset:360
	s_and_saveexec_b64 s[4:5], vcc
	s_cbranch_execz .LBB127_309
; %bb.308:
	buffer_load_dword v2, off, s[0:3], 0 offset:352
	buffer_load_dword v3, off, s[0:3], 0 offset:356
	v_mov_b32_e32 v1, 0
	buffer_store_dword v1, off, s[0:3], 0 offset:352
	buffer_store_dword v1, off, s[0:3], 0 offset:356
	s_waitcnt vmcnt(2)
	ds_write_b64 v223, v[2:3]
.LBB127_309:
	s_or_b64 exec, exec, s[4:5]
	s_waitcnt lgkmcnt(0)
	; wave barrier
	s_waitcnt lgkmcnt(0)
	buffer_load_dword v44, off, s[0:3], 0 offset:364
	buffer_load_dword v46, off, s[0:3], 0 offset:372
	;; [unrolled: 1-line block ×40, first 2 shown]
	v_mov_b32_e32 v1, 0
	ds_read2_b64 v[2:5], v1 offset0:109 offset1:110
	ds_read2_b64 v[6:9], v1 offset0:111 offset1:112
	;; [unrolled: 1-line block ×6, first 2 shown]
	v_cmp_lt_u32_e32 vcc, 43, v0
	s_waitcnt vmcnt(39) lgkmcnt(5)
	v_mul_f32_e32 v68, v2, v44
	s_waitcnt vmcnt(38)
	v_mul_f32_e32 v69, v4, v46
	s_waitcnt vmcnt(37) lgkmcnt(4)
	v_mul_f32_e32 v70, v6, v48
	v_mul_f32_e32 v44, v3, v44
	;; [unrolled: 1-line block ×4, first 2 shown]
	s_waitcnt vmcnt(36)
	v_mul_f32_e32 v71, v8, v49
	s_waitcnt vmcnt(35) lgkmcnt(3)
	v_mul_f32_e32 v72, v10, v50
	s_waitcnt vmcnt(34)
	v_mul_f32_e32 v73, v12, v51
	s_waitcnt vmcnt(33) lgkmcnt(2)
	v_mul_f32_e32 v74, v14, v52
	s_waitcnt vmcnt(32)
	v_mul_f32_e32 v75, v16, v53
	s_waitcnt vmcnt(28)
	v_fmac_f32_e32 v68, v3, v57
	s_waitcnt vmcnt(27)
	v_fmac_f32_e32 v69, v5, v58
	v_fma_f32 v2, v2, v57, -v44
	v_fma_f32 v3, v4, v58, -v46
	s_waitcnt vmcnt(26)
	v_fma_f32 v4, v6, v59, -v48
	v_add_f32_e32 v6, 0, v68
	v_fmac_f32_e32 v70, v7, v59
	v_add_f32_e32 v2, 0, v2
	v_add_f32_e32 v6, v6, v69
	s_waitcnt vmcnt(25)
	v_fmac_f32_e32 v71, v9, v60
	v_add_f32_e32 v2, v2, v3
	v_add_f32_e32 v3, v6, v70
	s_waitcnt vmcnt(24)
	v_fmac_f32_e32 v72, v11, v61
	v_add_f32_e32 v3, v3, v71
	s_waitcnt vmcnt(23)
	v_fmac_f32_e32 v73, v13, v62
	;; [unrolled: 3-line block ×3, first 2 shown]
	v_add_f32_e32 v3, v3, v73
	s_waitcnt lgkmcnt(1)
	v_mul_f32_e32 v76, v18, v54
	s_waitcnt vmcnt(21)
	v_fmac_f32_e32 v75, v17, v64
	v_add_f32_e32 v3, v3, v74
	v_mul_f32_e32 v49, v9, v49
	s_waitcnt vmcnt(20)
	v_fmac_f32_e32 v76, v19, v65
	v_add_f32_e32 v3, v3, v75
	v_fma_f32 v5, v8, v60, -v49
	v_add_f32_e32 v2, v2, v4
	v_add_f32_e32 v49, v3, v76
	v_mul_f32_e32 v3, v11, v50
	v_add_f32_e32 v2, v2, v5
	v_fma_f32 v3, v10, v61, -v3
	v_add_f32_e32 v2, v2, v3
	v_mul_f32_e32 v3, v13, v51
	v_fma_f32 v3, v12, v62, -v3
	v_add_f32_e32 v2, v2, v3
	v_mul_f32_e32 v3, v15, v52
	;; [unrolled: 3-line block ×5, first 2 shown]
	s_waitcnt vmcnt(9)
	v_mov_b32_e32 v18, v35
	v_mul_f32_e32 v45, v20, v55
	v_fma_f32 v44, v20, v66, -v2
	s_waitcnt lgkmcnt(0)
	v_mul_f32_e32 v2, v23, v56
	v_pk_mul_f32 v[18:19], v[24:25], v[18:19] op_sel_hi:[1,0]
	v_mul_f32_e32 v47, v22, v56
	v_fmac_f32_e32 v45, v21, v66
	v_fma_f32 v46, v22, v67, -v2
	ds_read2_b64 v[2:5], v1 offset0:121 offset1:122
	ds_read2_b64 v[6:9], v1 offset0:123 offset1:124
	;; [unrolled: 1-line block ×3, first 2 shown]
	ds_read_b64 v[14:15], v1 offset:1016
	s_waitcnt vmcnt(8)
	v_pk_fma_f32 v[20:21], v[24:25], v[34:35], v[18:19] op_sel:[0,0,1] op_sel_hi:[1,1,0] neg_lo:[0,0,1] neg_hi:[0,0,1]
	v_pk_fma_f32 v[18:19], v[24:25], v[34:35], v[18:19] op_sel:[0,0,1] op_sel_hi:[1,0,0]
	v_fmac_f32_e32 v47, v23, v67
	v_pk_add_f32 v[16:17], v[48:49], v[44:45]
	v_mov_b32_e32 v18, v33
	v_pk_add_f32 v[16:17], v[16:17], v[46:47]
	v_mov_b32_e32 v21, v19
	s_waitcnt lgkmcnt(3)
	v_pk_mul_f32 v[18:19], v[2:3], v[18:19] op_sel_hi:[1,0]
	v_pk_add_f32 v[16:17], v[16:17], v[20:21]
	v_pk_fma_f32 v[20:21], v[2:3], v[32:33], v[18:19] op_sel:[0,0,1] op_sel_hi:[1,1,0] neg_lo:[0,0,1] neg_hi:[0,0,1]
	v_pk_fma_f32 v[2:3], v[2:3], v[32:33], v[18:19] op_sel:[0,0,1] op_sel_hi:[1,0,0]
	v_mov_b32_e32 v21, v3
	v_pk_add_f32 v[2:3], v[16:17], v[20:21]
	v_mov_b32_e32 v16, v31
	v_pk_mul_f32 v[16:17], v[4:5], v[16:17] op_sel_hi:[1,0]
	v_pk_fma_f32 v[18:19], v[4:5], v[30:31], v[16:17] op_sel:[0,0,1] op_sel_hi:[1,1,0] neg_lo:[0,0,1] neg_hi:[0,0,1]
	v_pk_fma_f32 v[4:5], v[4:5], v[30:31], v[16:17] op_sel:[0,0,1] op_sel_hi:[1,0,0]
	v_mov_b32_e32 v4, v29
	v_mov_b32_e32 v19, v5
	s_waitcnt lgkmcnt(2)
	v_pk_mul_f32 v[4:5], v[6:7], v[4:5] op_sel_hi:[1,0]
	v_pk_fma_f32 v[16:17], v[6:7], v[28:29], v[4:5] op_sel:[0,0,1] op_sel_hi:[1,1,0] neg_lo:[0,0,1] neg_hi:[0,0,1]
	v_pk_fma_f32 v[4:5], v[6:7], v[28:29], v[4:5] op_sel:[0,0,1] op_sel_hi:[1,0,0]
	s_waitcnt vmcnt(1)
	v_mov_b32_e32 v4, v43
	v_mov_b32_e32 v17, v5
	v_pk_mul_f32 v[4:5], v[8:9], v[4:5] op_sel_hi:[1,0]
	s_waitcnt vmcnt(0)
	v_pk_fma_f32 v[6:7], v[8:9], v[42:43], v[4:5] op_sel:[0,0,1] op_sel_hi:[1,1,0] neg_lo:[0,0,1] neg_hi:[0,0,1]
	v_pk_fma_f32 v[4:5], v[8:9], v[42:43], v[4:5] op_sel:[0,0,1] op_sel_hi:[1,0,0]
	v_pk_add_f32 v[2:3], v[2:3], v[18:19]
	v_mov_b32_e32 v4, v41
	v_pk_add_f32 v[2:3], v[2:3], v[16:17]
	v_mov_b32_e32 v7, v5
	s_waitcnt lgkmcnt(1)
	v_pk_mul_f32 v[4:5], v[10:11], v[4:5] op_sel_hi:[1,0]
	v_pk_add_f32 v[2:3], v[2:3], v[6:7]
	v_pk_fma_f32 v[6:7], v[10:11], v[40:41], v[4:5] op_sel:[0,0,1] op_sel_hi:[1,1,0] neg_lo:[0,0,1] neg_hi:[0,0,1]
	v_pk_fma_f32 v[4:5], v[10:11], v[40:41], v[4:5] op_sel:[0,0,1] op_sel_hi:[1,0,0]
	v_mov_b32_e32 v4, v39
	v_mov_b32_e32 v7, v5
	v_pk_mul_f32 v[4:5], v[12:13], v[4:5] op_sel_hi:[1,0]
	v_pk_add_f32 v[2:3], v[2:3], v[6:7]
	v_pk_fma_f32 v[6:7], v[12:13], v[38:39], v[4:5] op_sel:[0,0,1] op_sel_hi:[1,1,0] neg_lo:[0,0,1] neg_hi:[0,0,1]
	v_pk_fma_f32 v[4:5], v[12:13], v[38:39], v[4:5] op_sel:[0,0,1] op_sel_hi:[1,0,0]
	v_mov_b32_e32 v4, v37
	v_mov_b32_e32 v7, v5
	s_waitcnt lgkmcnt(0)
	v_pk_mul_f32 v[4:5], v[14:15], v[4:5] op_sel_hi:[1,0]
	v_pk_add_f32 v[2:3], v[2:3], v[6:7]
	v_pk_fma_f32 v[6:7], v[14:15], v[36:37], v[4:5] op_sel:[0,0,1] op_sel_hi:[1,1,0] neg_lo:[0,0,1] neg_hi:[0,0,1]
	v_pk_fma_f32 v[4:5], v[14:15], v[36:37], v[4:5] op_sel:[0,0,1] op_sel_hi:[1,0,0]
	v_mov_b32_e32 v7, v5
	v_pk_add_f32 v[2:3], v[2:3], v[6:7]
	v_pk_add_f32 v[2:3], v[26:27], v[2:3] neg_lo:[0,1] neg_hi:[0,1]
	buffer_store_dword v3, off, s[0:3], 0 offset:356
	buffer_store_dword v2, off, s[0:3], 0 offset:352
	s_and_saveexec_b64 s[4:5], vcc
	s_cbranch_execz .LBB127_311
; %bb.310:
	buffer_load_dword v2, off, s[0:3], 0 offset:344
	buffer_load_dword v3, off, s[0:3], 0 offset:348
	s_waitcnt vmcnt(0)
	ds_write_b64 v223, v[2:3]
	buffer_store_dword v1, off, s[0:3], 0 offset:344
	buffer_store_dword v1, off, s[0:3], 0 offset:348
.LBB127_311:
	s_or_b64 exec, exec, s[4:5]
	s_waitcnt lgkmcnt(0)
	; wave barrier
	s_waitcnt lgkmcnt(0)
	buffer_load_dword v44, off, s[0:3], 0 offset:356
	buffer_load_dword v46, off, s[0:3], 0 offset:364
	;; [unrolled: 1-line block ×26, first 2 shown]
	ds_read_b128 v[2:5], v1 offset:864
	ds_read_b128 v[6:9], v1 offset:880
	;; [unrolled: 1-line block ×6, first 2 shown]
	buffer_load_dword v29, off, s[0:3], 0 offset:468
	buffer_load_dword v28, off, s[0:3], 0 offset:464
	;; [unrolled: 1-line block ×16, first 2 shown]
	v_cmp_lt_u32_e32 vcc, 42, v0
	s_waitcnt vmcnt(41) lgkmcnt(5)
	v_mul_f32_e32 v70, v2, v44
	s_waitcnt vmcnt(40)
	v_mul_f32_e32 v71, v4, v46
	v_mul_f32_e32 v44, v3, v44
	s_waitcnt vmcnt(39) lgkmcnt(4)
	v_mul_f32_e32 v72, v6, v48
	v_mul_f32_e32 v46, v5, v46
	s_waitcnt vmcnt(38)
	v_mul_f32_e32 v73, v8, v50
	s_waitcnt vmcnt(37) lgkmcnt(3)
	v_mul_f32_e32 v74, v10, v51
	s_waitcnt vmcnt(36)
	v_mul_f32_e32 v75, v12, v52
	s_waitcnt vmcnt(35) lgkmcnt(2)
	;; [unrolled: 4-line block ×3, first 2 shown]
	v_mul_f32_e32 v78, v18, v55
	s_waitcnt vmcnt(32)
	v_mul_f32_e32 v79, v20, v56
	s_waitcnt vmcnt(29)
	v_fmac_f32_e32 v70, v3, v49
	s_waitcnt vmcnt(28)
	v_fmac_f32_e32 v71, v5, v59
	v_fma_f32 v2, v2, v49, -v44
	v_add_f32_e32 v5, 0, v70
	s_waitcnt vmcnt(27)
	v_fmac_f32_e32 v72, v7, v60
	v_fma_f32 v3, v4, v59, -v46
	v_add_f32_e32 v2, 0, v2
	v_add_f32_e32 v5, v5, v71
	s_waitcnt vmcnt(26)
	v_fmac_f32_e32 v73, v9, v61
	v_add_f32_e32 v2, v2, v3
	v_add_f32_e32 v3, v5, v72
	s_waitcnt vmcnt(25)
	v_fmac_f32_e32 v74, v11, v62
	v_add_f32_e32 v3, v3, v73
	s_waitcnt vmcnt(24)
	v_fmac_f32_e32 v75, v13, v63
	;; [unrolled: 3-line block ×5, first 2 shown]
	v_add_f32_e32 v3, v3, v77
	v_mul_f32_e32 v48, v7, v48
	s_waitcnt vmcnt(20)
	v_fmac_f32_e32 v79, v21, v67
	v_add_f32_e32 v3, v3, v78
	v_fma_f32 v4, v6, v60, -v48
	v_add_f32_e32 v49, v3, v79
	v_mul_f32_e32 v3, v9, v50
	v_add_f32_e32 v2, v2, v4
	v_fma_f32 v3, v8, v61, -v3
	v_add_f32_e32 v2, v2, v3
	v_mul_f32_e32 v3, v11, v51
	v_fma_f32 v3, v10, v62, -v3
	v_add_f32_e32 v2, v2, v3
	v_mul_f32_e32 v3, v13, v52
	;; [unrolled: 3-line block ×6, first 2 shown]
	v_fma_f32 v3, v20, v67, -v3
	v_add_f32_e32 v48, v2, v3
	s_waitcnt lgkmcnt(0)
	v_mul_f32_e32 v2, v23, v57
	s_waitcnt vmcnt(19)
	v_fma_f32 v44, v22, v68, -v2
	v_mul_f32_e32 v2, v25, v58
	s_waitcnt vmcnt(18)
	v_fma_f32 v46, v24, v69, -v2
	ds_read_b128 v[2:5], v1 offset:960
	ds_read_b128 v[6:9], v1 offset:976
	;; [unrolled: 1-line block ×4, first 2 shown]
	v_mul_f32_e32 v45, v22, v57
	s_waitcnt vmcnt(11)
	v_mov_b32_e32 v20, v33
	v_mul_f32_e32 v47, v24, v58
	v_fmac_f32_e32 v45, v23, v68
	s_waitcnt lgkmcnt(3)
	v_pk_mul_f32 v[20:21], v[2:3], v[20:21] op_sel_hi:[1,0]
	v_fmac_f32_e32 v47, v25, v69
	v_pk_add_f32 v[18:19], v[48:49], v[44:45]
	s_waitcnt vmcnt(10)
	v_pk_fma_f32 v[22:23], v[2:3], v[32:33], v[20:21] op_sel:[0,0,1] op_sel_hi:[1,1,0] neg_lo:[0,0,1] neg_hi:[0,0,1]
	v_pk_fma_f32 v[2:3], v[2:3], v[32:33], v[20:21] op_sel:[0,0,1] op_sel_hi:[1,0,0]
	v_pk_add_f32 v[18:19], v[18:19], v[46:47]
	v_mov_b32_e32 v23, v3
	v_pk_add_f32 v[2:3], v[18:19], v[22:23]
	v_mov_b32_e32 v18, v31
	v_pk_mul_f32 v[18:19], v[4:5], v[18:19] op_sel_hi:[1,0]
	v_pk_fma_f32 v[20:21], v[4:5], v[30:31], v[18:19] op_sel:[0,0,1] op_sel_hi:[1,1,0] neg_lo:[0,0,1] neg_hi:[0,0,1]
	v_pk_fma_f32 v[4:5], v[4:5], v[30:31], v[18:19] op_sel:[0,0,1] op_sel_hi:[1,0,0]
	v_mov_b32_e32 v4, v29
	v_mov_b32_e32 v21, v5
	s_waitcnt lgkmcnt(2)
	v_pk_mul_f32 v[4:5], v[6:7], v[4:5] op_sel_hi:[1,0]
	v_pk_fma_f32 v[18:19], v[6:7], v[28:29], v[4:5] op_sel:[0,0,1] op_sel_hi:[1,1,0] neg_lo:[0,0,1] neg_hi:[0,0,1]
	v_pk_fma_f32 v[4:5], v[6:7], v[28:29], v[4:5] op_sel:[0,0,1] op_sel_hi:[1,0,0]
	s_waitcnt vmcnt(3)
	v_mov_b32_e32 v4, v41
	v_mov_b32_e32 v19, v5
	v_pk_mul_f32 v[4:5], v[8:9], v[4:5] op_sel_hi:[1,0]
	s_waitcnt vmcnt(2)
	v_pk_fma_f32 v[6:7], v[8:9], v[40:41], v[4:5] op_sel:[0,0,1] op_sel_hi:[1,1,0] neg_lo:[0,0,1] neg_hi:[0,0,1]
	v_pk_fma_f32 v[4:5], v[8:9], v[40:41], v[4:5] op_sel:[0,0,1] op_sel_hi:[1,0,0]
	v_pk_add_f32 v[2:3], v[2:3], v[20:21]
	v_mov_b32_e32 v4, v39
	v_pk_add_f32 v[2:3], v[2:3], v[18:19]
	v_mov_b32_e32 v7, v5
	s_waitcnt lgkmcnt(1)
	v_pk_mul_f32 v[4:5], v[10:11], v[4:5] op_sel_hi:[1,0]
	v_pk_add_f32 v[2:3], v[2:3], v[6:7]
	v_pk_fma_f32 v[6:7], v[10:11], v[38:39], v[4:5] op_sel:[0,0,1] op_sel_hi:[1,1,0] neg_lo:[0,0,1] neg_hi:[0,0,1]
	v_pk_fma_f32 v[4:5], v[10:11], v[38:39], v[4:5] op_sel:[0,0,1] op_sel_hi:[1,0,0]
	v_mov_b32_e32 v4, v37
	v_mov_b32_e32 v7, v5
	v_pk_mul_f32 v[4:5], v[12:13], v[4:5] op_sel_hi:[1,0]
	v_pk_add_f32 v[2:3], v[2:3], v[6:7]
	v_pk_fma_f32 v[6:7], v[12:13], v[36:37], v[4:5] op_sel:[0,0,1] op_sel_hi:[1,1,0] neg_lo:[0,0,1] neg_hi:[0,0,1]
	v_pk_fma_f32 v[4:5], v[12:13], v[36:37], v[4:5] op_sel:[0,0,1] op_sel_hi:[1,0,0]
	v_mov_b32_e32 v4, v35
	v_mov_b32_e32 v7, v5
	s_waitcnt lgkmcnt(0)
	v_pk_mul_f32 v[4:5], v[14:15], v[4:5] op_sel_hi:[1,0]
	v_pk_add_f32 v[2:3], v[2:3], v[6:7]
	v_pk_fma_f32 v[6:7], v[14:15], v[34:35], v[4:5] op_sel:[0,0,1] op_sel_hi:[1,1,0] neg_lo:[0,0,1] neg_hi:[0,0,1]
	v_pk_fma_f32 v[4:5], v[14:15], v[34:35], v[4:5] op_sel:[0,0,1] op_sel_hi:[1,0,0]
	s_waitcnt vmcnt(1)
	v_mov_b32_e32 v4, v43
	v_mov_b32_e32 v7, v5
	v_pk_mul_f32 v[4:5], v[16:17], v[4:5] op_sel_hi:[1,0]
	v_pk_add_f32 v[2:3], v[2:3], v[6:7]
	s_waitcnt vmcnt(0)
	v_pk_fma_f32 v[6:7], v[16:17], v[42:43], v[4:5] op_sel:[0,0,1] op_sel_hi:[1,1,0] neg_lo:[0,0,1] neg_hi:[0,0,1]
	v_pk_fma_f32 v[4:5], v[16:17], v[42:43], v[4:5] op_sel:[0,0,1] op_sel_hi:[1,0,0]
	v_mov_b32_e32 v7, v5
	v_pk_add_f32 v[2:3], v[2:3], v[6:7]
	v_pk_add_f32 v[2:3], v[26:27], v[2:3] neg_lo:[0,1] neg_hi:[0,1]
	buffer_store_dword v3, off, s[0:3], 0 offset:348
	buffer_store_dword v2, off, s[0:3], 0 offset:344
	s_and_saveexec_b64 s[4:5], vcc
	s_cbranch_execz .LBB127_313
; %bb.312:
	buffer_load_dword v2, off, s[0:3], 0 offset:336
	buffer_load_dword v3, off, s[0:3], 0 offset:340
	v_mov_b32_e32 v1, 0
	buffer_store_dword v1, off, s[0:3], 0 offset:336
	buffer_store_dword v1, off, s[0:3], 0 offset:340
	s_waitcnt vmcnt(2)
	ds_write_b64 v223, v[2:3]
.LBB127_313:
	s_or_b64 exec, exec, s[4:5]
	s_waitcnt lgkmcnt(0)
	; wave barrier
	s_waitcnt lgkmcnt(0)
	buffer_load_dword v52, off, s[0:3], 0 offset:348
	buffer_load_dword v54, off, s[0:3], 0 offset:356
	;; [unrolled: 1-line block ×44, first 2 shown]
	v_mov_b32_e32 v1, 0
	ds_read2_b64 v[2:5], v1 offset0:107 offset1:108
	ds_read2_b64 v[6:9], v1 offset0:109 offset1:110
	;; [unrolled: 1-line block ×8, first 2 shown]
	v_cmp_lt_u32_e32 vcc, 41, v0
	s_waitcnt vmcnt(43) lgkmcnt(7)
	v_mul_f32_e32 v57, v2, v52
	s_waitcnt vmcnt(42)
	v_mul_f32_e32 v81, v4, v54
	s_waitcnt vmcnt(41) lgkmcnt(6)
	v_mul_f32_e32 v82, v6, v56
	v_mul_f32_e32 v52, v3, v52
	s_waitcnt vmcnt(40)
	v_mul_f32_e32 v83, v8, v58
	s_waitcnt vmcnt(39) lgkmcnt(5)
	v_mul_f32_e32 v84, v10, v59
	s_waitcnt vmcnt(38)
	v_mul_f32_e32 v85, v12, v60
	s_waitcnt vmcnt(37) lgkmcnt(4)
	v_mul_f32_e32 v86, v14, v61
	s_waitcnt vmcnt(36)
	v_mul_f32_e32 v87, v16, v62
	s_waitcnt vmcnt(35) lgkmcnt(3)
	v_mul_f32_e32 v88, v18, v63
	s_waitcnt vmcnt(34)
	v_mul_f32_e32 v89, v20, v64
	s_waitcnt vmcnt(33) lgkmcnt(2)
	v_mul_f32_e32 v90, v22, v65
	s_waitcnt vmcnt(32)
	v_mul_f32_e32 v53, v24, v66
	s_waitcnt vmcnt(30)
	v_fmac_f32_e32 v57, v3, v68
	s_waitcnt vmcnt(29)
	v_fmac_f32_e32 v81, v5, v69
	v_add_f32_e32 v3, 0, v57
	s_waitcnt vmcnt(28)
	v_fmac_f32_e32 v82, v7, v70
	v_add_f32_e32 v3, v3, v81
	;; [unrolled: 3-line block ×10, first 2 shown]
	v_add_f32_e32 v57, v3, v90
	v_fma_f32 v2, v2, v68, -v52
	v_mul_f32_e32 v3, v5, v54
	v_add_f32_e32 v2, 0, v2
	v_fma_f32 v3, v4, v69, -v3
	v_add_f32_e32 v2, v2, v3
	v_mul_f32_e32 v3, v7, v56
	v_fma_f32 v3, v6, v70, -v3
	v_add_f32_e32 v2, v2, v3
	v_mul_f32_e32 v3, v9, v58
	;; [unrolled: 3-line block ×9, first 2 shown]
	v_fma_f32 v3, v22, v78, -v3
	s_waitcnt vmcnt(13)
	v_mov_b32_e32 v14, v39
	v_add_f32_e32 v56, v2, v3
	v_mul_f32_e32 v2, v25, v66
	s_waitcnt lgkmcnt(1)
	v_pk_mul_f32 v[14:15], v[28:29], v[14:15] op_sel_hi:[1,0]
	v_mul_f32_e32 v55, v26, v67
	v_fmac_f32_e32 v53, v25, v79
	v_fma_f32 v52, v24, v79, -v2
	v_mul_f32_e32 v2, v27, v67
	s_waitcnt vmcnt(12)
	v_pk_fma_f32 v[16:17], v[28:29], v[38:39], v[14:15] op_sel:[0,0,1] op_sel_hi:[1,1,0] neg_lo:[0,0,1] neg_hi:[0,0,1]
	v_pk_fma_f32 v[14:15], v[28:29], v[38:39], v[14:15] op_sel:[0,0,1] op_sel_hi:[1,0,0]
	v_fmac_f32_e32 v55, v27, v80
	v_fma_f32 v54, v26, v80, -v2
	v_pk_add_f32 v[12:13], v[56:57], v[52:53]
	v_mov_b32_e32 v14, v37
	v_pk_add_f32 v[12:13], v[12:13], v[54:55]
	v_mov_b32_e32 v17, v15
	s_waitcnt lgkmcnt(0)
	v_pk_mul_f32 v[14:15], v[30:31], v[14:15] op_sel_hi:[1,0]
	v_pk_add_f32 v[12:13], v[12:13], v[16:17]
	v_pk_fma_f32 v[16:17], v[30:31], v[36:37], v[14:15] op_sel:[0,0,1] op_sel_hi:[1,1,0] neg_lo:[0,0,1] neg_hi:[0,0,1]
	v_pk_fma_f32 v[14:15], v[30:31], v[36:37], v[14:15] op_sel:[0,0,1] op_sel_hi:[1,0,0]
	s_waitcnt vmcnt(5)
	v_mov_b32_e32 v14, v47
	ds_read2_b64 v[2:5], v1 offset0:123 offset1:124
	ds_read2_b64 v[6:9], v1 offset0:125 offset1:126
	ds_read_b64 v[10:11], v1 offset:1016
	v_mov_b32_e32 v17, v15
	v_pk_mul_f32 v[14:15], v[32:33], v[14:15] op_sel_hi:[1,0]
	v_pk_add_f32 v[12:13], v[12:13], v[16:17]
	s_waitcnt vmcnt(4)
	v_pk_fma_f32 v[16:17], v[32:33], v[46:47], v[14:15] op_sel:[0,0,1] op_sel_hi:[1,1,0] neg_lo:[0,0,1] neg_hi:[0,0,1]
	v_pk_fma_f32 v[14:15], v[32:33], v[46:47], v[14:15] op_sel:[0,0,1] op_sel_hi:[1,0,0]
	v_mov_b32_e32 v14, v45
	v_mov_b32_e32 v17, v15
	s_waitcnt lgkmcnt(2)
	v_pk_mul_f32 v[14:15], v[2:3], v[14:15] op_sel_hi:[1,0]
	v_pk_add_f32 v[12:13], v[12:13], v[16:17]
	v_pk_fma_f32 v[16:17], v[2:3], v[44:45], v[14:15] op_sel:[0,0,1] op_sel_hi:[1,1,0] neg_lo:[0,0,1] neg_hi:[0,0,1]
	v_pk_fma_f32 v[2:3], v[2:3], v[44:45], v[14:15] op_sel:[0,0,1] op_sel_hi:[1,0,0]
	v_mov_b32_e32 v17, v3
	v_pk_add_f32 v[2:3], v[12:13], v[16:17]
	v_mov_b32_e32 v12, v43
	v_pk_mul_f32 v[12:13], v[4:5], v[12:13] op_sel_hi:[1,0]
	v_pk_fma_f32 v[14:15], v[4:5], v[42:43], v[12:13] op_sel:[0,0,1] op_sel_hi:[1,1,0] neg_lo:[0,0,1] neg_hi:[0,0,1]
	v_pk_fma_f32 v[4:5], v[4:5], v[42:43], v[12:13] op_sel:[0,0,1] op_sel_hi:[1,0,0]
	v_mov_b32_e32 v4, v41
	v_mov_b32_e32 v15, v5
	s_waitcnt lgkmcnt(1)
	v_pk_mul_f32 v[4:5], v[6:7], v[4:5] op_sel_hi:[1,0]
	v_pk_fma_f32 v[12:13], v[6:7], v[40:41], v[4:5] op_sel:[0,0,1] op_sel_hi:[1,1,0] neg_lo:[0,0,1] neg_hi:[0,0,1]
	v_pk_fma_f32 v[4:5], v[6:7], v[40:41], v[4:5] op_sel:[0,0,1] op_sel_hi:[1,0,0]
	s_waitcnt vmcnt(1)
	v_mov_b32_e32 v4, v51
	v_mov_b32_e32 v13, v5
	v_pk_mul_f32 v[4:5], v[8:9], v[4:5] op_sel_hi:[1,0]
	s_waitcnt vmcnt(0)
	v_pk_fma_f32 v[6:7], v[8:9], v[50:51], v[4:5] op_sel:[0,0,1] op_sel_hi:[1,1,0] neg_lo:[0,0,1] neg_hi:[0,0,1]
	v_pk_fma_f32 v[4:5], v[8:9], v[50:51], v[4:5] op_sel:[0,0,1] op_sel_hi:[1,0,0]
	v_pk_add_f32 v[2:3], v[2:3], v[14:15]
	v_mov_b32_e32 v4, v49
	v_pk_add_f32 v[2:3], v[2:3], v[12:13]
	v_mov_b32_e32 v7, v5
	s_waitcnt lgkmcnt(0)
	v_pk_mul_f32 v[4:5], v[10:11], v[4:5] op_sel_hi:[1,0]
	v_pk_add_f32 v[2:3], v[2:3], v[6:7]
	v_pk_fma_f32 v[6:7], v[10:11], v[48:49], v[4:5] op_sel:[0,0,1] op_sel_hi:[1,1,0] neg_lo:[0,0,1] neg_hi:[0,0,1]
	v_pk_fma_f32 v[4:5], v[10:11], v[48:49], v[4:5] op_sel:[0,0,1] op_sel_hi:[1,0,0]
	v_mov_b32_e32 v7, v5
	v_pk_add_f32 v[2:3], v[2:3], v[6:7]
	v_pk_add_f32 v[2:3], v[34:35], v[2:3] neg_lo:[0,1] neg_hi:[0,1]
	buffer_store_dword v3, off, s[0:3], 0 offset:340
	buffer_store_dword v2, off, s[0:3], 0 offset:336
	s_and_saveexec_b64 s[4:5], vcc
	s_cbranch_execz .LBB127_315
; %bb.314:
	buffer_load_dword v2, off, s[0:3], 0 offset:328
	buffer_load_dword v3, off, s[0:3], 0 offset:332
	s_waitcnt vmcnt(0)
	ds_write_b64 v223, v[2:3]
	buffer_store_dword v1, off, s[0:3], 0 offset:328
	buffer_store_dword v1, off, s[0:3], 0 offset:332
.LBB127_315:
	s_or_b64 exec, exec, s[4:5]
	s_waitcnt lgkmcnt(0)
	; wave barrier
	s_waitcnt lgkmcnt(0)
	buffer_load_dword v52, off, s[0:3], 0 offset:340
	buffer_load_dword v54, off, s[0:3], 0 offset:348
	;; [unrolled: 1-line block ×30, first 2 shown]
	ds_read_b128 v[2:5], v1 offset:848
	ds_read_b128 v[6:9], v1 offset:864
	ds_read_b128 v[10:13], v1 offset:880
	ds_read_b128 v[14:17], v1 offset:896
	ds_read_b128 v[18:21], v1 offset:912
	ds_read_b128 v[22:25], v1 offset:928
	buffer_load_dword v37, off, s[0:3], 0 offset:452
	buffer_load_dword v36, off, s[0:3], 0 offset:448
	ds_read_b128 v[26:29], v1 offset:944
	ds_read_b128 v[30:33], v1 offset:960
	buffer_load_dword v39, off, s[0:3], 0 offset:484
	buffer_load_dword v38, off, s[0:3], 0 offset:480
	;; [unrolled: 1-line block ×14, first 2 shown]
	v_cmp_lt_u32_e32 vcc, 40, v0
	s_waitcnt vmcnt(45) lgkmcnt(7)
	v_mul_f32_e32 v55, v2, v52
	s_waitcnt vmcnt(44)
	v_mul_f32_e32 v57, v4, v54
	s_waitcnt vmcnt(43) lgkmcnt(6)
	v_mul_f32_e32 v83, v6, v56
	s_waitcnt vmcnt(42)
	v_mul_f32_e32 v84, v8, v58
	;; [unrolled: 4-line block ×6, first 2 shown]
	s_waitcnt vmcnt(33) lgkmcnt(1)
	v_mul_f32_e32 v53, v26, v67
	s_waitcnt vmcnt(32)
	v_fmac_f32_e32 v55, v3, v68
	v_mul_f32_e32 v3, v3, v52
	v_fma_f32 v2, v2, v68, -v3
	v_mul_f32_e32 v3, v5, v54
	v_add_f32_e32 v2, 0, v2
	s_waitcnt vmcnt(31)
	v_fma_f32 v3, v4, v69, -v3
	v_add_f32_e32 v2, v2, v3
	v_mul_f32_e32 v3, v7, v56
	s_waitcnt vmcnt(30)
	v_fma_f32 v3, v6, v70, -v3
	v_add_f32_e32 v2, v2, v3
	v_mul_f32_e32 v3, v9, v58
	;; [unrolled: 4-line block ×5, first 2 shown]
	s_waitcnt vmcnt(26)
	v_fma_f32 v3, v14, v74, -v3
	v_fmac_f32_e32 v57, v5, v69
	v_add_f32_e32 v55, 0, v55
	v_add_f32_e32 v2, v2, v3
	v_mul_f32_e32 v3, v17, v62
	v_fmac_f32_e32 v83, v7, v70
	v_add_f32_e32 v55, v55, v57
	s_waitcnt vmcnt(25)
	v_fma_f32 v3, v16, v75, -v3
	v_fmac_f32_e32 v84, v9, v71
	v_add_f32_e32 v55, v55, v83
	v_add_f32_e32 v2, v2, v3
	v_mul_f32_e32 v3, v19, v63
	v_fmac_f32_e32 v85, v11, v72
	v_add_f32_e32 v55, v55, v84
	;; [unrolled: 8-line block ×5, first 2 shown]
	s_waitcnt vmcnt(21)
	v_fma_f32 v3, v24, v79, -v3
	s_waitcnt vmcnt(15)
	v_mov_b32_e32 v16, v37
	v_fmac_f32_e32 v92, v25, v79
	v_add_f32_e32 v55, v55, v91
	v_add_f32_e32 v54, v2, v3
	v_mul_f32_e32 v2, v27, v67
	s_waitcnt lgkmcnt(0)
	v_pk_mul_f32 v[16:17], v[30:31], v[16:17] op_sel_hi:[1,0]
	v_fmac_f32_e32 v53, v27, v80
	v_add_f32_e32 v55, v55, v92
	v_mul_f32_e32 v57, v28, v81
	v_fma_f32 v52, v26, v80, -v2
	v_mul_f32_e32 v2, v29, v81
	s_waitcnt vmcnt(14)
	v_pk_fma_f32 v[18:19], v[30:31], v[36:37], v[16:17] op_sel:[0,0,1] op_sel_hi:[1,1,0] neg_lo:[0,0,1] neg_hi:[0,0,1]
	v_pk_fma_f32 v[16:17], v[30:31], v[36:37], v[16:17] op_sel:[0,0,1] op_sel_hi:[1,0,0]
	v_fmac_f32_e32 v57, v29, v82
	v_fma_f32 v56, v28, v82, -v2
	v_pk_add_f32 v[14:15], v[54:55], v[52:53]
	s_waitcnt vmcnt(7)
	v_mov_b32_e32 v16, v45
	ds_read_b128 v[2:5], v1 offset:976
	ds_read_b128 v[6:9], v1 offset:992
	;; [unrolled: 1-line block ×3, first 2 shown]
	v_pk_add_f32 v[14:15], v[14:15], v[56:57]
	v_mov_b32_e32 v19, v17
	v_pk_mul_f32 v[16:17], v[32:33], v[16:17] op_sel_hi:[1,0]
	v_pk_add_f32 v[14:15], v[14:15], v[18:19]
	s_waitcnt vmcnt(6)
	v_pk_fma_f32 v[18:19], v[32:33], v[44:45], v[16:17] op_sel:[0,0,1] op_sel_hi:[1,1,0] neg_lo:[0,0,1] neg_hi:[0,0,1]
	v_pk_fma_f32 v[16:17], v[32:33], v[44:45], v[16:17] op_sel:[0,0,1] op_sel_hi:[1,0,0]
	v_mov_b32_e32 v16, v43
	v_mov_b32_e32 v19, v17
	s_waitcnt lgkmcnt(2)
	v_pk_mul_f32 v[16:17], v[2:3], v[16:17] op_sel_hi:[1,0]
	v_pk_add_f32 v[14:15], v[14:15], v[18:19]
	v_pk_fma_f32 v[18:19], v[2:3], v[42:43], v[16:17] op_sel:[0,0,1] op_sel_hi:[1,1,0] neg_lo:[0,0,1] neg_hi:[0,0,1]
	v_pk_fma_f32 v[2:3], v[2:3], v[42:43], v[16:17] op_sel:[0,0,1] op_sel_hi:[1,0,0]
	v_mov_b32_e32 v19, v3
	v_pk_add_f32 v[2:3], v[14:15], v[18:19]
	v_mov_b32_e32 v14, v41
	v_pk_mul_f32 v[14:15], v[4:5], v[14:15] op_sel_hi:[1,0]
	v_pk_fma_f32 v[16:17], v[4:5], v[40:41], v[14:15] op_sel:[0,0,1] op_sel_hi:[1,1,0] neg_lo:[0,0,1] neg_hi:[0,0,1]
	v_pk_fma_f32 v[4:5], v[4:5], v[40:41], v[14:15] op_sel:[0,0,1] op_sel_hi:[1,0,0]
	v_mov_b32_e32 v4, v39
	v_mov_b32_e32 v17, v5
	s_waitcnt lgkmcnt(1)
	v_pk_mul_f32 v[4:5], v[6:7], v[4:5] op_sel_hi:[1,0]
	v_pk_fma_f32 v[14:15], v[6:7], v[38:39], v[4:5] op_sel:[0,0,1] op_sel_hi:[1,1,0] neg_lo:[0,0,1] neg_hi:[0,0,1]
	v_pk_fma_f32 v[4:5], v[6:7], v[38:39], v[4:5] op_sel:[0,0,1] op_sel_hi:[1,0,0]
	s_waitcnt vmcnt(1)
	v_mov_b32_e32 v4, v51
	v_mov_b32_e32 v15, v5
	v_pk_mul_f32 v[4:5], v[8:9], v[4:5] op_sel_hi:[1,0]
	s_waitcnt vmcnt(0)
	v_pk_fma_f32 v[6:7], v[8:9], v[50:51], v[4:5] op_sel:[0,0,1] op_sel_hi:[1,1,0] neg_lo:[0,0,1] neg_hi:[0,0,1]
	v_pk_fma_f32 v[4:5], v[8:9], v[50:51], v[4:5] op_sel:[0,0,1] op_sel_hi:[1,0,0]
	v_pk_add_f32 v[2:3], v[2:3], v[16:17]
	v_mov_b32_e32 v4, v49
	v_pk_add_f32 v[2:3], v[2:3], v[14:15]
	v_mov_b32_e32 v7, v5
	s_waitcnt lgkmcnt(0)
	v_pk_mul_f32 v[4:5], v[10:11], v[4:5] op_sel_hi:[1,0]
	v_pk_add_f32 v[2:3], v[2:3], v[6:7]
	v_pk_fma_f32 v[6:7], v[10:11], v[48:49], v[4:5] op_sel:[0,0,1] op_sel_hi:[1,1,0] neg_lo:[0,0,1] neg_hi:[0,0,1]
	v_pk_fma_f32 v[4:5], v[10:11], v[48:49], v[4:5] op_sel:[0,0,1] op_sel_hi:[1,0,0]
	v_mov_b32_e32 v4, v47
	v_mov_b32_e32 v7, v5
	v_pk_mul_f32 v[4:5], v[12:13], v[4:5] op_sel_hi:[1,0]
	v_pk_add_f32 v[2:3], v[2:3], v[6:7]
	v_pk_fma_f32 v[6:7], v[12:13], v[46:47], v[4:5] op_sel:[0,0,1] op_sel_hi:[1,1,0] neg_lo:[0,0,1] neg_hi:[0,0,1]
	v_pk_fma_f32 v[4:5], v[12:13], v[46:47], v[4:5] op_sel:[0,0,1] op_sel_hi:[1,0,0]
	v_mov_b32_e32 v7, v5
	v_pk_add_f32 v[2:3], v[2:3], v[6:7]
	v_pk_add_f32 v[2:3], v[34:35], v[2:3] neg_lo:[0,1] neg_hi:[0,1]
	buffer_store_dword v3, off, s[0:3], 0 offset:332
	buffer_store_dword v2, off, s[0:3], 0 offset:328
	s_and_saveexec_b64 s[4:5], vcc
	s_cbranch_execz .LBB127_317
; %bb.316:
	buffer_load_dword v2, off, s[0:3], 0 offset:320
	buffer_load_dword v3, off, s[0:3], 0 offset:324
	v_mov_b32_e32 v1, 0
	buffer_store_dword v1, off, s[0:3], 0 offset:320
	buffer_store_dword v1, off, s[0:3], 0 offset:324
	s_waitcnt vmcnt(2)
	ds_write_b64 v223, v[2:3]
.LBB127_317:
	s_or_b64 exec, exec, s[4:5]
	s_waitcnt lgkmcnt(0)
	; wave barrier
	s_waitcnt lgkmcnt(0)
	buffer_load_dword v50, off, s[0:3], 0 offset:332
	buffer_load_dword v54, off, s[0:3], 0 offset:340
	;; [unrolled: 1-line block ×32, first 2 shown]
	v_mov_b32_e32 v1, 0
	buffer_load_dword v37, off, s[0:3], 0 offset:476
	buffer_load_dword v36, off, s[0:3], 0 offset:472
	;; [unrolled: 1-line block ×13, first 2 shown]
	ds_read2_b64 v[2:5], v1 offset0:105 offset1:106
	ds_read2_b64 v[6:9], v1 offset0:107 offset1:108
	;; [unrolled: 1-line block ×8, first 2 shown]
	v_cmp_lt_u32_e32 vcc, 39, v0
	s_waitcnt vmcnt(44) lgkmcnt(7)
	v_mul_f32_e32 v44, v2, v50
	s_waitcnt vmcnt(43)
	v_mul_f32_e32 v51, v4, v54
	s_waitcnt vmcnt(42) lgkmcnt(6)
	v_mul_f32_e32 v52, v6, v56
	s_waitcnt vmcnt(41)
	v_mul_f32_e32 v53, v8, v58
	;; [unrolled: 4-line block ×6, first 2 shown]
	s_waitcnt vmcnt(32) lgkmcnt(1)
	v_mul_f32_e32 v91, v26, v67
	s_waitcnt vmcnt(31)
	v_fmac_f32_e32 v44, v3, v68
	s_waitcnt vmcnt(30)
	v_fmac_f32_e32 v51, v5, v69
	v_add_f32_e32 v44, 0, v44
	s_waitcnt vmcnt(29)
	v_fmac_f32_e32 v52, v7, v70
	v_add_f32_e32 v44, v44, v51
	s_waitcnt vmcnt(28)
	v_fmac_f32_e32 v53, v9, v71
	v_add_f32_e32 v44, v44, v52
	s_waitcnt vmcnt(27)
	v_fmac_f32_e32 v55, v11, v72
	v_add_f32_e32 v44, v44, v53
	s_waitcnt vmcnt(26)
	v_fmac_f32_e32 v57, v13, v73
	v_add_f32_e32 v44, v44, v55
	s_waitcnt vmcnt(25)
	v_fmac_f32_e32 v85, v15, v74
	v_add_f32_e32 v44, v44, v57
	s_waitcnt vmcnt(24)
	v_fmac_f32_e32 v86, v17, v75
	v_add_f32_e32 v44, v44, v85
	s_waitcnt vmcnt(23)
	v_fmac_f32_e32 v87, v19, v76
	v_add_f32_e32 v44, v44, v86
	s_waitcnt vmcnt(22)
	v_fmac_f32_e32 v88, v21, v77
	v_add_f32_e32 v44, v44, v87
	s_waitcnt vmcnt(21)
	v_fmac_f32_e32 v89, v23, v78
	v_add_f32_e32 v44, v44, v88
	s_waitcnt vmcnt(20)
	v_fmac_f32_e32 v90, v25, v79
	v_add_f32_e32 v44, v44, v89
	s_waitcnt vmcnt(19)
	v_fmac_f32_e32 v91, v27, v80
	v_add_f32_e32 v44, v44, v90
	v_add_f32_e32 v51, v44, v91
	buffer_load_dword v53, off, s[0:3], 0 offset:492
	buffer_load_dword v52, off, s[0:3], 0 offset:488
	;; [unrolled: 1-line block ×3, first 2 shown]
	v_mul_f32_e32 v3, v3, v50
	v_fma_f32 v2, v2, v68, -v3
	v_mul_f32_e32 v3, v5, v54
	v_add_f32_e32 v2, 0, v2
	v_fma_f32 v3, v4, v69, -v3
	v_add_f32_e32 v2, v2, v3
	v_mul_f32_e32 v3, v7, v56
	v_fma_f32 v3, v6, v70, -v3
	v_add_f32_e32 v2, v2, v3
	v_mul_f32_e32 v3, v9, v58
	;; [unrolled: 3-line block ×11, first 2 shown]
	v_fma_f32 v3, v26, v80, -v3
	v_add_f32_e32 v50, v2, v3
	s_waitcnt vmcnt(21)
	v_mul_f32_e32 v2, v29, v81
	s_waitcnt vmcnt(9)
	v_mov_b32_e32 v18, v43
	v_mul_f32_e32 v55, v28, v81
	v_fma_f32 v54, v28, v82, -v2
	s_waitcnt lgkmcnt(0)
	v_mul_f32_e32 v2, v31, v83
	v_pk_mul_f32 v[18:19], v[32:33], v[18:19] op_sel_hi:[1,0]
	v_fmac_f32_e32 v55, v29, v82
	v_mul_f32_e32 v57, v30, v83
	v_fma_f32 v56, v30, v84, -v2
	ds_read2_b64 v[2:5], v1 offset0:121 offset1:122
	ds_read2_b64 v[6:9], v1 offset0:123 offset1:124
	;; [unrolled: 1-line block ×3, first 2 shown]
	ds_read_b64 v[14:15], v1 offset:1016
	s_waitcnt vmcnt(8)
	v_pk_fma_f32 v[20:21], v[32:33], v[42:43], v[18:19] op_sel:[0,0,1] op_sel_hi:[1,1,0] neg_lo:[0,0,1] neg_hi:[0,0,1]
	v_pk_fma_f32 v[18:19], v[32:33], v[42:43], v[18:19] op_sel:[0,0,1] op_sel_hi:[1,0,0]
	v_fmac_f32_e32 v57, v31, v84
	v_pk_add_f32 v[16:17], v[50:51], v[54:55]
	v_mov_b32_e32 v18, v41
	v_pk_add_f32 v[16:17], v[16:17], v[56:57]
	v_mov_b32_e32 v21, v19
	s_waitcnt lgkmcnt(3)
	v_pk_mul_f32 v[18:19], v[2:3], v[18:19] op_sel_hi:[1,0]
	v_pk_add_f32 v[16:17], v[16:17], v[20:21]
	v_pk_fma_f32 v[20:21], v[2:3], v[40:41], v[18:19] op_sel:[0,0,1] op_sel_hi:[1,1,0] neg_lo:[0,0,1] neg_hi:[0,0,1]
	v_pk_fma_f32 v[2:3], v[2:3], v[40:41], v[18:19] op_sel:[0,0,1] op_sel_hi:[1,0,0]
	v_mov_b32_e32 v21, v3
	v_pk_add_f32 v[2:3], v[16:17], v[20:21]
	v_mov_b32_e32 v16, v39
	v_pk_mul_f32 v[16:17], v[4:5], v[16:17] op_sel_hi:[1,0]
	v_pk_fma_f32 v[18:19], v[4:5], v[38:39], v[16:17] op_sel:[0,0,1] op_sel_hi:[1,1,0] neg_lo:[0,0,1] neg_hi:[0,0,1]
	v_pk_fma_f32 v[4:5], v[4:5], v[38:39], v[16:17] op_sel:[0,0,1] op_sel_hi:[1,0,0]
	v_mov_b32_e32 v4, v37
	v_mov_b32_e32 v19, v5
	s_waitcnt lgkmcnt(2)
	v_pk_mul_f32 v[4:5], v[6:7], v[4:5] op_sel_hi:[1,0]
	v_pk_fma_f32 v[16:17], v[6:7], v[36:37], v[4:5] op_sel:[0,0,1] op_sel_hi:[1,1,0] neg_lo:[0,0,1] neg_hi:[0,0,1]
	v_pk_fma_f32 v[4:5], v[6:7], v[36:37], v[4:5] op_sel:[0,0,1] op_sel_hi:[1,0,0]
	s_waitcnt vmcnt(7)
	v_mov_b32_e32 v4, v45
	v_mov_b32_e32 v17, v5
	v_pk_mul_f32 v[4:5], v[8:9], v[4:5] op_sel_hi:[1,0]
	v_pk_add_f32 v[2:3], v[2:3], v[18:19]
	v_pk_add_f32 v[2:3], v[2:3], v[16:17]
	s_waitcnt vmcnt(0)
	v_pk_fma_f32 v[6:7], v[8:9], v[44:45], v[4:5] op_sel:[0,0,1] op_sel_hi:[1,1,0] neg_lo:[0,0,1] neg_hi:[0,0,1]
	v_pk_fma_f32 v[4:5], v[8:9], v[44:45], v[4:5] op_sel:[0,0,1] op_sel_hi:[1,0,0]
	v_mov_b32_e32 v4, v53
	v_mov_b32_e32 v7, v5
	s_waitcnt lgkmcnt(1)
	v_pk_mul_f32 v[4:5], v[10:11], v[4:5] op_sel_hi:[1,0]
	v_pk_add_f32 v[2:3], v[2:3], v[6:7]
	v_pk_fma_f32 v[6:7], v[10:11], v[52:53], v[4:5] op_sel:[0,0,1] op_sel_hi:[1,1,0] neg_lo:[0,0,1] neg_hi:[0,0,1]
	v_pk_fma_f32 v[4:5], v[10:11], v[52:53], v[4:5] op_sel:[0,0,1] op_sel_hi:[1,0,0]
	v_mov_b32_e32 v4, v49
	v_mov_b32_e32 v7, v5
	v_pk_mul_f32 v[4:5], v[12:13], v[4:5] op_sel_hi:[1,0]
	v_pk_add_f32 v[2:3], v[2:3], v[6:7]
	v_pk_fma_f32 v[6:7], v[12:13], v[48:49], v[4:5] op_sel:[0,0,1] op_sel_hi:[1,1,0] neg_lo:[0,0,1] neg_hi:[0,0,1]
	v_pk_fma_f32 v[4:5], v[12:13], v[48:49], v[4:5] op_sel:[0,0,1] op_sel_hi:[1,0,0]
	v_mov_b32_e32 v4, v47
	v_mov_b32_e32 v7, v5
	s_waitcnt lgkmcnt(0)
	v_pk_mul_f32 v[4:5], v[14:15], v[4:5] op_sel_hi:[1,0]
	v_pk_add_f32 v[2:3], v[2:3], v[6:7]
	v_pk_fma_f32 v[6:7], v[14:15], v[46:47], v[4:5] op_sel:[0,0,1] op_sel_hi:[1,1,0] neg_lo:[0,0,1] neg_hi:[0,0,1]
	v_pk_fma_f32 v[4:5], v[14:15], v[46:47], v[4:5] op_sel:[0,0,1] op_sel_hi:[1,0,0]
	v_mov_b32_e32 v7, v5
	v_pk_add_f32 v[2:3], v[2:3], v[6:7]
	v_pk_add_f32 v[2:3], v[34:35], v[2:3] neg_lo:[0,1] neg_hi:[0,1]
	buffer_store_dword v3, off, s[0:3], 0 offset:324
	buffer_store_dword v2, off, s[0:3], 0 offset:320
	s_and_saveexec_b64 s[4:5], vcc
	s_cbranch_execz .LBB127_319
; %bb.318:
	buffer_load_dword v2, off, s[0:3], 0 offset:312
	buffer_load_dword v3, off, s[0:3], 0 offset:316
	s_waitcnt vmcnt(0)
	ds_write_b64 v223, v[2:3]
	buffer_store_dword v1, off, s[0:3], 0 offset:312
	buffer_store_dword v1, off, s[0:3], 0 offset:316
.LBB127_319:
	s_or_b64 exec, exec, s[4:5]
	s_waitcnt lgkmcnt(0)
	; wave barrier
	s_waitcnt lgkmcnt(0)
	buffer_load_dword v50, off, s[0:3], 0 offset:324
	buffer_load_dword v52, off, s[0:3], 0 offset:332
	;; [unrolled: 1-line block ×34, first 2 shown]
	ds_read_b128 v[2:5], v1 offset:832
	ds_read_b128 v[6:9], v1 offset:848
	;; [unrolled: 1-line block ×8, first 2 shown]
	buffer_load_dword v37, off, s[0:3], 0 offset:468
	buffer_load_dword v36, off, s[0:3], 0 offset:464
	;; [unrolled: 1-line block ×9, first 2 shown]
	v_cmp_lt_u32_e32 vcc, 38, v0
	s_waitcnt vmcnt(42) lgkmcnt(7)
	v_mul_f32_e32 v42, v2, v50
	s_waitcnt vmcnt(41)
	v_mul_f32_e32 v46, v4, v52
	s_waitcnt vmcnt(40) lgkmcnt(6)
	v_mul_f32_e32 v47, v6, v54
	s_waitcnt vmcnt(39)
	v_mul_f32_e32 v48, v8, v58
	;; [unrolled: 4-line block ×7, first 2 shown]
	s_waitcnt vmcnt(28)
	v_fmac_f32_e32 v42, v3, v69
	s_waitcnt vmcnt(27)
	v_fmac_f32_e32 v46, v5, v70
	v_add_f32_e32 v42, 0, v42
	s_waitcnt vmcnt(26)
	v_fmac_f32_e32 v47, v7, v71
	v_add_f32_e32 v42, v42, v46
	;; [unrolled: 3-line block ×12, first 2 shown]
	v_add_f32_e32 v51, v42, v89
	buffer_load_dword v47, off, s[0:3], 0 offset:492
	buffer_load_dword v46, off, s[0:3], 0 offset:488
	;; [unrolled: 1-line block ×7, first 2 shown]
	v_mul_f32_e32 v3, v3, v50
	v_fma_f32 v2, v2, v69, -v3
	v_mul_f32_e32 v3, v5, v52
	v_add_f32_e32 v2, 0, v2
	v_fma_f32 v3, v4, v70, -v3
	v_add_f32_e32 v2, v2, v3
	v_mul_f32_e32 v3, v7, v54
	v_fma_f32 v3, v6, v71, -v3
	v_add_f32_e32 v2, v2, v3
	v_mul_f32_e32 v3, v9, v58
	;; [unrolled: 3-line block ×12, first 2 shown]
	s_waitcnt vmcnt(22)
	v_fma_f32 v3, v28, v82, -v3
	v_add_f32_e32 v50, v2, v3
	s_waitcnt vmcnt(21) lgkmcnt(0)
	v_mul_f32_e32 v2, v31, v83
	s_waitcnt vmcnt(20)
	v_fma_f32 v52, v30, v84, -v2
	s_waitcnt vmcnt(19)
	v_mul_f32_e32 v2, v33, v85
	s_waitcnt vmcnt(18)
	v_fma_f32 v54, v32, v86, -v2
	ds_read_b128 v[2:5], v1 offset:960
	ds_read_b128 v[6:9], v1 offset:976
	;; [unrolled: 1-line block ×4, first 2 shown]
	v_fmac_f32_e32 v90, v29, v82
	v_mul_f32_e32 v53, v30, v83
	s_waitcnt vmcnt(11)
	v_mov_b32_e32 v20, v41
	v_add_f32_e32 v51, v51, v90
	v_fmac_f32_e32 v53, v31, v84
	v_mul_f32_e32 v55, v32, v85
	s_waitcnt lgkmcnt(3)
	v_pk_mul_f32 v[20:21], v[2:3], v[20:21] op_sel_hi:[1,0]
	v_fmac_f32_e32 v55, v33, v86
	v_pk_add_f32 v[18:19], v[50:51], v[52:53]
	s_waitcnt vmcnt(10)
	v_pk_fma_f32 v[22:23], v[2:3], v[40:41], v[20:21] op_sel:[0,0,1] op_sel_hi:[1,1,0] neg_lo:[0,0,1] neg_hi:[0,0,1]
	v_pk_fma_f32 v[2:3], v[2:3], v[40:41], v[20:21] op_sel:[0,0,1] op_sel_hi:[1,0,0]
	v_pk_add_f32 v[18:19], v[18:19], v[54:55]
	v_mov_b32_e32 v23, v3
	v_pk_add_f32 v[2:3], v[18:19], v[22:23]
	v_mov_b32_e32 v18, v39
	v_pk_mul_f32 v[18:19], v[4:5], v[18:19] op_sel_hi:[1,0]
	v_pk_fma_f32 v[20:21], v[4:5], v[38:39], v[18:19] op_sel:[0,0,1] op_sel_hi:[1,1,0] neg_lo:[0,0,1] neg_hi:[0,0,1]
	v_pk_fma_f32 v[4:5], v[4:5], v[38:39], v[18:19] op_sel:[0,0,1] op_sel_hi:[1,0,0]
	v_mov_b32_e32 v4, v37
	v_mov_b32_e32 v21, v5
	s_waitcnt lgkmcnt(2)
	v_pk_mul_f32 v[4:5], v[6:7], v[4:5] op_sel_hi:[1,0]
	v_pk_fma_f32 v[18:19], v[6:7], v[36:37], v[4:5] op_sel:[0,0,1] op_sel_hi:[1,1,0] neg_lo:[0,0,1] neg_hi:[0,0,1]
	v_pk_fma_f32 v[4:5], v[6:7], v[36:37], v[4:5] op_sel:[0,0,1] op_sel_hi:[1,0,0]
	s_waitcnt vmcnt(9)
	v_mov_b32_e32 v4, v43
	v_mov_b32_e32 v19, v5
	v_pk_mul_f32 v[4:5], v[8:9], v[4:5] op_sel_hi:[1,0]
	v_pk_add_f32 v[2:3], v[2:3], v[20:21]
	v_pk_add_f32 v[2:3], v[2:3], v[18:19]
	s_waitcnt vmcnt(2)
	v_pk_fma_f32 v[6:7], v[8:9], v[42:43], v[4:5] op_sel:[0,0,1] op_sel_hi:[1,1,0] neg_lo:[0,0,1] neg_hi:[0,0,1]
	v_pk_fma_f32 v[4:5], v[8:9], v[42:43], v[4:5] op_sel:[0,0,1] op_sel_hi:[1,0,0]
	v_mov_b32_e32 v4, v49
	v_mov_b32_e32 v7, v5
	s_waitcnt lgkmcnt(1)
	v_pk_mul_f32 v[4:5], v[10:11], v[4:5] op_sel_hi:[1,0]
	v_pk_add_f32 v[2:3], v[2:3], v[6:7]
	v_pk_fma_f32 v[6:7], v[10:11], v[48:49], v[4:5] op_sel:[0,0,1] op_sel_hi:[1,1,0] neg_lo:[0,0,1] neg_hi:[0,0,1]
	v_pk_fma_f32 v[4:5], v[10:11], v[48:49], v[4:5] op_sel:[0,0,1] op_sel_hi:[1,0,0]
	v_mov_b32_e32 v4, v47
	v_mov_b32_e32 v7, v5
	v_pk_mul_f32 v[4:5], v[12:13], v[4:5] op_sel_hi:[1,0]
	v_pk_add_f32 v[2:3], v[2:3], v[6:7]
	v_pk_fma_f32 v[6:7], v[12:13], v[46:47], v[4:5] op_sel:[0,0,1] op_sel_hi:[1,1,0] neg_lo:[0,0,1] neg_hi:[0,0,1]
	v_pk_fma_f32 v[4:5], v[12:13], v[46:47], v[4:5] op_sel:[0,0,1] op_sel_hi:[1,0,0]
	v_mov_b32_e32 v4, v45
	v_mov_b32_e32 v7, v5
	s_waitcnt lgkmcnt(0)
	v_pk_mul_f32 v[4:5], v[14:15], v[4:5] op_sel_hi:[1,0]
	v_pk_add_f32 v[2:3], v[2:3], v[6:7]
	v_pk_fma_f32 v[6:7], v[14:15], v[44:45], v[4:5] op_sel:[0,0,1] op_sel_hi:[1,1,0] neg_lo:[0,0,1] neg_hi:[0,0,1]
	v_pk_fma_f32 v[4:5], v[14:15], v[44:45], v[4:5] op_sel:[0,0,1] op_sel_hi:[1,0,0]
	s_waitcnt vmcnt(1)
	v_mov_b32_e32 v4, v57
	v_mov_b32_e32 v7, v5
	v_pk_mul_f32 v[4:5], v[16:17], v[4:5] op_sel_hi:[1,0]
	v_pk_add_f32 v[2:3], v[2:3], v[6:7]
	s_waitcnt vmcnt(0)
	v_pk_fma_f32 v[6:7], v[16:17], v[56:57], v[4:5] op_sel:[0,0,1] op_sel_hi:[1,1,0] neg_lo:[0,0,1] neg_hi:[0,0,1]
	v_pk_fma_f32 v[4:5], v[16:17], v[56:57], v[4:5] op_sel:[0,0,1] op_sel_hi:[1,0,0]
	v_mov_b32_e32 v7, v5
	v_pk_add_f32 v[2:3], v[2:3], v[6:7]
	v_pk_add_f32 v[2:3], v[34:35], v[2:3] neg_lo:[0,1] neg_hi:[0,1]
	buffer_store_dword v3, off, s[0:3], 0 offset:316
	buffer_store_dword v2, off, s[0:3], 0 offset:312
	s_and_saveexec_b64 s[4:5], vcc
	s_cbranch_execz .LBB127_321
; %bb.320:
	buffer_load_dword v2, off, s[0:3], 0 offset:304
	buffer_load_dword v3, off, s[0:3], 0 offset:308
	v_mov_b32_e32 v1, 0
	buffer_store_dword v1, off, s[0:3], 0 offset:304
	buffer_store_dword v1, off, s[0:3], 0 offset:308
	s_waitcnt vmcnt(2)
	ds_write_b64 v223, v[2:3]
.LBB127_321:
	s_or_b64 exec, exec, s[4:5]
	s_waitcnt lgkmcnt(0)
	; wave barrier
	s_waitcnt lgkmcnt(0)
	buffer_load_dword v56, off, s[0:3], 0 offset:316
	buffer_load_dword v58, off, s[0:3], 0 offset:324
	;; [unrolled: 1-line block ×36, first 2 shown]
	v_mov_b32_e32 v1, 0
	buffer_load_dword v45, off, s[0:3], 0 offset:460
	buffer_load_dword v44, off, s[0:3], 0 offset:456
	;; [unrolled: 1-line block ×5, first 2 shown]
	ds_read2_b64 v[4:7], v1 offset0:103 offset1:104
	ds_read2_b64 v[8:11], v1 offset0:105 offset1:106
	;; [unrolled: 1-line block ×8, first 2 shown]
	v_cmp_lt_u32_e32 vcc, 37, v0
	s_waitcnt vmcnt(40) lgkmcnt(7)
	v_mul_f32_e32 v36, v4, v56
	s_waitcnt vmcnt(39)
	v_mul_f32_e32 v37, v6, v58
	s_waitcnt vmcnt(38) lgkmcnt(6)
	v_mul_f32_e32 v38, v8, v60
	s_waitcnt vmcnt(37)
	v_mul_f32_e32 v39, v10, v66
	;; [unrolled: 4-line block ×7, first 2 shown]
	s_waitcnt vmcnt(26) lgkmcnt(0)
	v_mul_f32_e32 v57, v32, v77
	s_waitcnt vmcnt(25)
	v_fmac_f32_e32 v36, v5, v78
	s_waitcnt vmcnt(24)
	v_fmac_f32_e32 v37, v7, v79
	v_add_f32_e32 v36, 0, v36
	s_waitcnt vmcnt(23)
	v_fmac_f32_e32 v38, v9, v80
	v_add_f32_e32 v36, v36, v37
	;; [unrolled: 3-line block ×13, first 2 shown]
	v_add_f32_e32 v40, v36, v54
	buffer_load_dword v51, off, s[0:3], 0 offset:492
	buffer_load_dword v50, off, s[0:3], 0 offset:488
	;; [unrolled: 1-line block ×7, first 2 shown]
	s_waitcnt vmcnt(18)
	v_fmac_f32_e32 v57, v33, v92
	ds_read2_b64 v[36:39], v1 offset0:119 offset1:120
	v_add_f32_e32 v57, v40, v57
	ds_read2_b64 v[40:43], v1 offset0:121 offset1:122
	buffer_load_dword v63, off, s[0:3], 0 offset:508
	buffer_load_dword v62, off, s[0:3], 0 offset:504
	;; [unrolled: 1-line block ×4, first 2 shown]
	v_mul_f32_e32 v5, v5, v56
	v_fma_f32 v4, v4, v78, -v5
	v_mul_f32_e32 v5, v7, v58
	v_add_f32_e32 v4, 0, v4
	v_fma_f32 v5, v6, v79, -v5
	v_add_f32_e32 v4, v4, v5
	v_mul_f32_e32 v5, v9, v60
	v_fma_f32 v5, v8, v80, -v5
	v_add_f32_e32 v4, v4, v5
	v_mul_f32_e32 v5, v11, v66
	;; [unrolled: 3-line block ×13, first 2 shown]
	v_fma_f32 v5, v32, v92, -v5
	s_waitcnt vmcnt(13)
	v_mov_b32_e32 v16, v47
	v_mul_f32_e32 v59, v34, v93
	v_add_f32_e32 v56, v4, v5
	v_mul_f32_e32 v4, v35, v93
	s_waitcnt lgkmcnt(1)
	v_pk_mul_f32 v[16:17], v[38:39], v[16:17] op_sel_hi:[1,0]
	v_fmac_f32_e32 v59, v35, v94
	v_mul_f32_e32 v61, v36, v95
	v_fma_f32 v58, v34, v94, -v4
	v_mul_f32_e32 v4, v37, v95
	s_waitcnt vmcnt(12)
	v_pk_fma_f32 v[18:19], v[38:39], v[46:47], v[16:17] op_sel:[0,0,1] op_sel_hi:[1,1,0] neg_lo:[0,0,1] neg_hi:[0,0,1]
	v_pk_fma_f32 v[16:17], v[38:39], v[46:47], v[16:17] op_sel:[0,0,1] op_sel_hi:[1,0,0]
	v_fmac_f32_e32 v61, v37, v96
	v_fma_f32 v60, v36, v96, -v4
	v_pk_add_f32 v[14:15], v[56:57], v[58:59]
	v_mov_b32_e32 v16, v45
	v_pk_add_f32 v[14:15], v[14:15], v[60:61]
	v_mov_b32_e32 v19, v17
	s_waitcnt lgkmcnt(0)
	v_pk_mul_f32 v[16:17], v[40:41], v[16:17] op_sel_hi:[1,0]
	v_pk_add_f32 v[14:15], v[14:15], v[18:19]
	v_pk_fma_f32 v[18:19], v[40:41], v[44:45], v[16:17] op_sel:[0,0,1] op_sel_hi:[1,1,0] neg_lo:[0,0,1] neg_hi:[0,0,1]
	v_pk_fma_f32 v[16:17], v[40:41], v[44:45], v[16:17] op_sel:[0,0,1] op_sel_hi:[1,0,0]
	s_waitcnt vmcnt(11)
	v_mov_b32_e32 v16, v49
	ds_read2_b64 v[4:7], v1 offset0:123 offset1:124
	ds_read2_b64 v[8:11], v1 offset0:125 offset1:126
	ds_read_b64 v[12:13], v1 offset:1016
	v_mov_b32_e32 v19, v17
	v_pk_mul_f32 v[16:17], v[42:43], v[16:17] op_sel_hi:[1,0]
	v_pk_add_f32 v[14:15], v[14:15], v[18:19]
	s_waitcnt vmcnt(4)
	v_pk_fma_f32 v[18:19], v[42:43], v[48:49], v[16:17] op_sel:[0,0,1] op_sel_hi:[1,1,0] neg_lo:[0,0,1] neg_hi:[0,0,1]
	v_pk_fma_f32 v[16:17], v[42:43], v[48:49], v[16:17] op_sel:[0,0,1] op_sel_hi:[1,0,0]
	v_mov_b32_e32 v16, v55
	v_mov_b32_e32 v19, v17
	s_waitcnt lgkmcnt(2)
	v_pk_mul_f32 v[16:17], v[4:5], v[16:17] op_sel_hi:[1,0]
	v_pk_add_f32 v[14:15], v[14:15], v[18:19]
	v_pk_fma_f32 v[18:19], v[4:5], v[54:55], v[16:17] op_sel:[0,0,1] op_sel_hi:[1,1,0] neg_lo:[0,0,1] neg_hi:[0,0,1]
	v_pk_fma_f32 v[4:5], v[4:5], v[54:55], v[16:17] op_sel:[0,0,1] op_sel_hi:[1,0,0]
	v_mov_b32_e32 v19, v5
	v_pk_add_f32 v[4:5], v[14:15], v[18:19]
	v_mov_b32_e32 v14, v53
	v_pk_mul_f32 v[14:15], v[6:7], v[14:15] op_sel_hi:[1,0]
	v_pk_fma_f32 v[16:17], v[6:7], v[52:53], v[14:15] op_sel:[0,0,1] op_sel_hi:[1,1,0] neg_lo:[0,0,1] neg_hi:[0,0,1]
	v_pk_fma_f32 v[6:7], v[6:7], v[52:53], v[14:15] op_sel:[0,0,1] op_sel_hi:[1,0,0]
	v_mov_b32_e32 v6, v51
	v_mov_b32_e32 v17, v7
	s_waitcnt lgkmcnt(1)
	v_pk_mul_f32 v[6:7], v[8:9], v[6:7] op_sel_hi:[1,0]
	v_pk_fma_f32 v[14:15], v[8:9], v[50:51], v[6:7] op_sel:[0,0,1] op_sel_hi:[1,1,0] neg_lo:[0,0,1] neg_hi:[0,0,1]
	v_pk_fma_f32 v[6:7], v[8:9], v[50:51], v[6:7] op_sel:[0,0,1] op_sel_hi:[1,0,0]
	s_waitcnt vmcnt(1)
	v_mov_b32_e32 v6, v65
	v_mov_b32_e32 v15, v7
	v_pk_mul_f32 v[6:7], v[10:11], v[6:7] op_sel_hi:[1,0]
	s_waitcnt vmcnt(0)
	v_pk_fma_f32 v[8:9], v[10:11], v[64:65], v[6:7] op_sel:[0,0,1] op_sel_hi:[1,1,0] neg_lo:[0,0,1] neg_hi:[0,0,1]
	v_pk_fma_f32 v[6:7], v[10:11], v[64:65], v[6:7] op_sel:[0,0,1] op_sel_hi:[1,0,0]
	v_pk_add_f32 v[4:5], v[4:5], v[16:17]
	v_mov_b32_e32 v6, v63
	v_pk_add_f32 v[4:5], v[4:5], v[14:15]
	v_mov_b32_e32 v9, v7
	s_waitcnt lgkmcnt(0)
	v_pk_mul_f32 v[6:7], v[12:13], v[6:7] op_sel_hi:[1,0]
	v_pk_add_f32 v[4:5], v[4:5], v[8:9]
	v_pk_fma_f32 v[8:9], v[12:13], v[62:63], v[6:7] op_sel:[0,0,1] op_sel_hi:[1,1,0] neg_lo:[0,0,1] neg_hi:[0,0,1]
	v_pk_fma_f32 v[6:7], v[12:13], v[62:63], v[6:7] op_sel:[0,0,1] op_sel_hi:[1,0,0]
	v_mov_b32_e32 v9, v7
	v_pk_add_f32 v[4:5], v[4:5], v[8:9]
	v_pk_add_f32 v[2:3], v[2:3], v[4:5] neg_lo:[0,1] neg_hi:[0,1]
	buffer_store_dword v3, off, s[0:3], 0 offset:308
	buffer_store_dword v2, off, s[0:3], 0 offset:304
	s_and_saveexec_b64 s[4:5], vcc
	s_cbranch_execz .LBB127_323
; %bb.322:
	buffer_load_dword v2, off, s[0:3], 0 offset:296
	buffer_load_dword v3, off, s[0:3], 0 offset:300
	s_waitcnt vmcnt(0)
	ds_write_b64 v223, v[2:3]
	buffer_store_dword v1, off, s[0:3], 0 offset:296
	buffer_store_dword v1, off, s[0:3], 0 offset:300
.LBB127_323:
	s_or_b64 exec, exec, s[4:5]
	s_waitcnt lgkmcnt(0)
	; wave barrier
	s_waitcnt lgkmcnt(0)
	buffer_load_dword v54, off, s[0:3], 0 offset:308
	buffer_load_dword v56, off, s[0:3], 0 offset:316
	;; [unrolled: 1-line block ×38, first 2 shown]
	ds_read_b128 v[2:5], v1 offset:816
	ds_read_b128 v[6:9], v1 offset:832
	;; [unrolled: 1-line block ×8, first 2 shown]
	buffer_load_dword v45, off, s[0:3], 0 offset:452
	buffer_load_dword v44, off, s[0:3], 0 offset:448
	;; [unrolled: 1-line block ×4, first 2 shown]
	v_cmp_lt_u32_e32 vcc, 36, v0
	s_waitcnt vmcnt(41) lgkmcnt(7)
	v_mul_f32_e32 v34, v2, v54
	s_waitcnt vmcnt(40)
	v_mul_f32_e32 v35, v4, v56
	s_waitcnt vmcnt(39) lgkmcnt(6)
	v_mul_f32_e32 v36, v6, v58
	s_waitcnt vmcnt(38)
	v_mul_f32_e32 v37, v8, v66
	;; [unrolled: 4-line block ×7, first 2 shown]
	s_waitcnt vmcnt(27) lgkmcnt(0)
	v_mul_f32_e32 v55, v30, v77
	s_waitcnt vmcnt(26)
	v_fmac_f32_e32 v34, v3, v78
	s_waitcnt vmcnt(25)
	v_fmac_f32_e32 v35, v5, v79
	v_add_f32_e32 v34, 0, v34
	s_waitcnt vmcnt(24)
	v_fmac_f32_e32 v36, v7, v80
	v_add_f32_e32 v34, v34, v35
	;; [unrolled: 3-line block ×13, first 2 shown]
	v_add_f32_e32 v34, v34, v53
	buffer_load_dword v49, off, s[0:3], 0 offset:476
	buffer_load_dword v48, off, s[0:3], 0 offset:472
	;; [unrolled: 1-line block ×6, first 2 shown]
	s_waitcnt vmcnt(18)
	v_fmac_f32_e32 v55, v31, v92
	s_waitcnt vmcnt(17)
	v_mul_f32_e32 v39, v32, v93
	v_add_f32_e32 v38, v34, v55
	s_waitcnt vmcnt(16)
	v_fmac_f32_e32 v39, v33, v94
	ds_read_b128 v[34:37], v1 offset:944
	v_add_f32_e32 v55, v38, v39
	ds_read_b128 v[38:41], v1 offset:960
	buffer_load_dword v61, off, s[0:3], 0 offset:508
	buffer_load_dword v60, off, s[0:3], 0 offset:504
	;; [unrolled: 1-line block ×6, first 2 shown]
	v_mul_f32_e32 v3, v3, v54
	v_fma_f32 v2, v2, v78, -v3
	v_mul_f32_e32 v3, v5, v56
	v_add_f32_e32 v2, 0, v2
	v_fma_f32 v3, v4, v79, -v3
	v_add_f32_e32 v2, v2, v3
	v_mul_f32_e32 v3, v7, v58
	v_fma_f32 v3, v6, v80, -v3
	v_add_f32_e32 v2, v2, v3
	v_mul_f32_e32 v3, v9, v66
	;; [unrolled: 3-line block ×14, first 2 shown]
	v_fma_f32 v3, v32, v94, -v3
	s_waitcnt vmcnt(15)
	v_mov_b32_e32 v16, v45
	s_waitcnt lgkmcnt(1)
	v_mul_f32_e32 v57, v34, v95
	v_add_f32_e32 v54, v2, v3
	v_mul_f32_e32 v2, v35, v95
	s_waitcnt lgkmcnt(0)
	v_pk_mul_f32 v[16:17], v[38:39], v[16:17] op_sel_hi:[1,0]
	v_fmac_f32_e32 v57, v35, v96
	v_mul_f32_e32 v59, v36, v97
	v_fma_f32 v56, v34, v96, -v2
	v_mul_f32_e32 v2, v37, v97
	s_waitcnt vmcnt(14)
	v_pk_fma_f32 v[18:19], v[38:39], v[44:45], v[16:17] op_sel:[0,0,1] op_sel_hi:[1,1,0] neg_lo:[0,0,1] neg_hi:[0,0,1]
	v_pk_fma_f32 v[16:17], v[38:39], v[44:45], v[16:17] op_sel:[0,0,1] op_sel_hi:[1,0,0]
	v_fmac_f32_e32 v59, v37, v98
	v_fma_f32 v58, v36, v98, -v2
	v_pk_add_f32 v[14:15], v[54:55], v[56:57]
	ds_read_b128 v[2:5], v1 offset:976
	ds_read_b128 v[6:9], v1 offset:992
	;; [unrolled: 1-line block ×3, first 2 shown]
	v_pk_add_f32 v[14:15], v[14:15], v[58:59]
	v_mov_b32_e32 v19, v17
	v_pk_add_f32 v[14:15], v[14:15], v[18:19]
	s_waitcnt vmcnt(7)
	v_mov_b32_e32 v16, v53
	v_pk_mul_f32 v[16:17], v[40:41], v[16:17] op_sel_hi:[1,0]
	s_waitcnt vmcnt(6)
	v_pk_fma_f32 v[18:19], v[40:41], v[52:53], v[16:17] op_sel:[0,0,1] op_sel_hi:[1,1,0] neg_lo:[0,0,1] neg_hi:[0,0,1]
	v_pk_fma_f32 v[16:17], v[40:41], v[52:53], v[16:17] op_sel:[0,0,1] op_sel_hi:[1,0,0]
	v_mov_b32_e32 v16, v51
	v_mov_b32_e32 v19, v17
	s_waitcnt lgkmcnt(2)
	v_pk_mul_f32 v[16:17], v[2:3], v[16:17] op_sel_hi:[1,0]
	v_pk_add_f32 v[14:15], v[14:15], v[18:19]
	v_pk_fma_f32 v[18:19], v[2:3], v[50:51], v[16:17] op_sel:[0,0,1] op_sel_hi:[1,1,0] neg_lo:[0,0,1] neg_hi:[0,0,1]
	v_pk_fma_f32 v[2:3], v[2:3], v[50:51], v[16:17] op_sel:[0,0,1] op_sel_hi:[1,0,0]
	v_mov_b32_e32 v19, v3
	v_pk_add_f32 v[2:3], v[14:15], v[18:19]
	v_mov_b32_e32 v14, v49
	v_pk_mul_f32 v[14:15], v[4:5], v[14:15] op_sel_hi:[1,0]
	v_pk_fma_f32 v[16:17], v[4:5], v[48:49], v[14:15] op_sel:[0,0,1] op_sel_hi:[1,1,0] neg_lo:[0,0,1] neg_hi:[0,0,1]
	v_pk_fma_f32 v[4:5], v[4:5], v[48:49], v[14:15] op_sel:[0,0,1] op_sel_hi:[1,0,0]
	v_mov_b32_e32 v4, v47
	v_mov_b32_e32 v17, v5
	s_waitcnt lgkmcnt(1)
	v_pk_mul_f32 v[4:5], v[6:7], v[4:5] op_sel_hi:[1,0]
	v_pk_fma_f32 v[14:15], v[6:7], v[46:47], v[4:5] op_sel:[0,0,1] op_sel_hi:[1,1,0] neg_lo:[0,0,1] neg_hi:[0,0,1]
	v_pk_fma_f32 v[4:5], v[6:7], v[46:47], v[4:5] op_sel:[0,0,1] op_sel_hi:[1,0,0]
	s_waitcnt vmcnt(1)
	v_mov_b32_e32 v4, v65
	v_mov_b32_e32 v15, v5
	v_pk_mul_f32 v[4:5], v[8:9], v[4:5] op_sel_hi:[1,0]
	s_waitcnt vmcnt(0)
	v_pk_fma_f32 v[6:7], v[8:9], v[64:65], v[4:5] op_sel:[0,0,1] op_sel_hi:[1,1,0] neg_lo:[0,0,1] neg_hi:[0,0,1]
	v_pk_fma_f32 v[4:5], v[8:9], v[64:65], v[4:5] op_sel:[0,0,1] op_sel_hi:[1,0,0]
	v_pk_add_f32 v[2:3], v[2:3], v[16:17]
	v_mov_b32_e32 v4, v63
	v_pk_add_f32 v[2:3], v[2:3], v[14:15]
	v_mov_b32_e32 v7, v5
	s_waitcnt lgkmcnt(0)
	v_pk_mul_f32 v[4:5], v[10:11], v[4:5] op_sel_hi:[1,0]
	v_pk_add_f32 v[2:3], v[2:3], v[6:7]
	v_pk_fma_f32 v[6:7], v[10:11], v[62:63], v[4:5] op_sel:[0,0,1] op_sel_hi:[1,1,0] neg_lo:[0,0,1] neg_hi:[0,0,1]
	v_pk_fma_f32 v[4:5], v[10:11], v[62:63], v[4:5] op_sel:[0,0,1] op_sel_hi:[1,0,0]
	v_mov_b32_e32 v4, v61
	v_mov_b32_e32 v7, v5
	v_pk_mul_f32 v[4:5], v[12:13], v[4:5] op_sel_hi:[1,0]
	v_pk_add_f32 v[2:3], v[2:3], v[6:7]
	v_pk_fma_f32 v[6:7], v[12:13], v[60:61], v[4:5] op_sel:[0,0,1] op_sel_hi:[1,1,0] neg_lo:[0,0,1] neg_hi:[0,0,1]
	v_pk_fma_f32 v[4:5], v[12:13], v[60:61], v[4:5] op_sel:[0,0,1] op_sel_hi:[1,0,0]
	v_mov_b32_e32 v7, v5
	v_pk_add_f32 v[2:3], v[2:3], v[6:7]
	v_pk_add_f32 v[2:3], v[42:43], v[2:3] neg_lo:[0,1] neg_hi:[0,1]
	buffer_store_dword v3, off, s[0:3], 0 offset:300
	buffer_store_dword v2, off, s[0:3], 0 offset:296
	s_and_saveexec_b64 s[4:5], vcc
	s_cbranch_execz .LBB127_325
; %bb.324:
	buffer_load_dword v2, off, s[0:3], 0 offset:288
	buffer_load_dword v3, off, s[0:3], 0 offset:292
	v_mov_b32_e32 v1, 0
	buffer_store_dword v1, off, s[0:3], 0 offset:288
	buffer_store_dword v1, off, s[0:3], 0 offset:292
	s_waitcnt vmcnt(2)
	ds_write_b64 v223, v[2:3]
.LBB127_325:
	s_or_b64 exec, exec, s[4:5]
	s_waitcnt lgkmcnt(0)
	; wave barrier
	s_waitcnt lgkmcnt(0)
	buffer_load_dword v52, off, s[0:3], 0 offset:300
	buffer_load_dword v54, off, s[0:3], 0 offset:308
	;; [unrolled: 1-line block ×40, first 2 shown]
	v_mov_b32_e32 v1, 0
	ds_read2_b64 v[4:7], v1 offset0:101 offset1:102
	ds_read2_b64 v[8:11], v1 offset0:103 offset1:104
	ds_read2_b64 v[12:15], v1 offset0:105 offset1:106
	ds_read2_b64 v[16:19], v1 offset0:107 offset1:108
	ds_read2_b64 v[20:23], v1 offset0:109 offset1:110
	ds_read2_b64 v[24:27], v1 offset0:111 offset1:112
	ds_read2_b64 v[28:31], v1 offset0:113 offset1:114
	ds_read2_b64 v[32:35], v1 offset0:115 offset1:116
	v_cmp_lt_u32_e32 vcc, 35, v0
	s_waitcnt vmcnt(39) lgkmcnt(7)
	v_mul_f32_e32 v36, v4, v52
	s_waitcnt vmcnt(38)
	v_mul_f32_e32 v37, v6, v54
	s_waitcnt vmcnt(37) lgkmcnt(6)
	v_mul_f32_e32 v38, v8, v56
	s_waitcnt vmcnt(36)
	v_mul_f32_e32 v39, v10, v66
	;; [unrolled: 4-line block ×8, first 2 shown]
	s_waitcnt vmcnt(23)
	v_fmac_f32_e32 v36, v5, v79
	s_waitcnt vmcnt(22)
	v_fmac_f32_e32 v37, v7, v80
	v_add_f32_e32 v36, 0, v36
	s_waitcnt vmcnt(21)
	v_fmac_f32_e32 v38, v9, v81
	v_add_f32_e32 v36, v36, v37
	s_waitcnt vmcnt(20)
	v_fmac_f32_e32 v39, v11, v82
	v_add_f32_e32 v36, v36, v38
	s_waitcnt vmcnt(19)
	v_fmac_f32_e32 v40, v13, v83
	v_add_f32_e32 v36, v36, v39
	s_waitcnt vmcnt(18)
	v_fmac_f32_e32 v41, v15, v84
	v_add_f32_e32 v36, v36, v40
	s_waitcnt vmcnt(17)
	v_fmac_f32_e32 v42, v17, v85
	v_add_f32_e32 v36, v36, v41
	s_waitcnt vmcnt(16)
	v_fmac_f32_e32 v43, v19, v86
	v_add_f32_e32 v36, v36, v42
	s_waitcnt vmcnt(15)
	v_fmac_f32_e32 v44, v21, v87
	v_add_f32_e32 v36, v36, v43
	s_waitcnt vmcnt(14)
	v_fmac_f32_e32 v45, v23, v88
	v_add_f32_e32 v36, v36, v44
	s_waitcnt vmcnt(13)
	v_fmac_f32_e32 v46, v25, v89
	v_add_f32_e32 v36, v36, v45
	s_waitcnt vmcnt(12)
	v_fmac_f32_e32 v47, v27, v90
	v_add_f32_e32 v36, v36, v46
	s_waitcnt vmcnt(11)
	v_fmac_f32_e32 v48, v29, v91
	v_add_f32_e32 v36, v36, v47
	s_waitcnt vmcnt(10)
	v_fmac_f32_e32 v49, v31, v92
	v_add_f32_e32 v36, v36, v48
	s_waitcnt vmcnt(9)
	v_fmac_f32_e32 v50, v33, v93
	v_add_f32_e32 v36, v36, v49
	v_add_f32_e32 v36, v36, v50
	s_waitcnt vmcnt(8)
	v_fmac_f32_e32 v51, v35, v94
	v_add_f32_e32 v53, v36, v51
	ds_read2_b64 v[36:39], v1 offset0:117 offset1:118
	buffer_load_dword v45, off, s[0:3], 0 offset:452
	buffer_load_dword v47, off, s[0:3], 0 offset:476
	;; [unrolled: 1-line block ×8, first 2 shown]
	ds_read2_b64 v[40:43], v1 offset0:119 offset1:120
	buffer_load_dword v59, off, s[0:3], 0 offset:508
	buffer_load_dword v58, off, s[0:3], 0 offset:504
	buffer_load_dword v61, off, s[0:3], 0 offset:500
	buffer_load_dword v60, off, s[0:3], 0 offset:496
	buffer_load_dword v63, off, s[0:3], 0 offset:492
	buffer_load_dword v62, off, s[0:3], 0 offset:488
	buffer_load_dword v65, off, s[0:3], 0 offset:484
	buffer_load_dword v64, off, s[0:3], 0 offset:480
	v_mul_f32_e32 v5, v5, v52
	v_fma_f32 v4, v4, v79, -v5
	v_mul_f32_e32 v5, v7, v54
	v_add_f32_e32 v4, 0, v4
	v_fma_f32 v5, v6, v80, -v5
	v_add_f32_e32 v4, v4, v5
	v_mul_f32_e32 v5, v9, v56
	v_fma_f32 v5, v8, v81, -v5
	v_add_f32_e32 v4, v4, v5
	v_mul_f32_e32 v5, v11, v66
	v_fma_f32 v5, v10, v82, -v5
	v_add_f32_e32 v4, v4, v5
	v_mul_f32_e32 v5, v13, v67
	v_fma_f32 v5, v12, v83, -v5
	v_add_f32_e32 v4, v4, v5
	v_mul_f32_e32 v5, v15, v68
	v_fma_f32 v5, v14, v84, -v5
	v_add_f32_e32 v4, v4, v5
	v_mul_f32_e32 v5, v17, v69
	v_fma_f32 v5, v16, v85, -v5
	v_add_f32_e32 v4, v4, v5
	v_mul_f32_e32 v5, v19, v70
	v_fma_f32 v5, v18, v86, -v5
	v_add_f32_e32 v4, v4, v5
	v_mul_f32_e32 v5, v21, v71
	v_fma_f32 v5, v20, v87, -v5
	v_add_f32_e32 v4, v4, v5
	v_mul_f32_e32 v5, v23, v72
	v_fma_f32 v5, v22, v88, -v5
	v_add_f32_e32 v4, v4, v5
	v_mul_f32_e32 v5, v25, v73
	v_fma_f32 v5, v24, v89, -v5
	v_add_f32_e32 v4, v4, v5
	v_mul_f32_e32 v5, v27, v74
	v_fma_f32 v5, v26, v90, -v5
	v_add_f32_e32 v4, v4, v5
	v_mul_f32_e32 v5, v29, v75
	v_fma_f32 v5, v28, v91, -v5
	v_add_f32_e32 v4, v4, v5
	v_mul_f32_e32 v5, v31, v76
	v_fma_f32 v5, v30, v92, -v5
	v_add_f32_e32 v4, v4, v5
	v_mul_f32_e32 v5, v33, v77
	v_fma_f32 v5, v32, v93, -v5
	v_add_f32_e32 v4, v4, v5
	v_mul_f32_e32 v5, v35, v78
	v_fma_f32 v5, v34, v94, -v5
	v_add_f32_e32 v4, v4, v5
	s_waitcnt vmcnt(23) lgkmcnt(1)
	v_mul_f32_e32 v5, v37, v95
	v_mul_f32_e32 v55, v36, v95
	s_waitcnt vmcnt(22)
	v_fma_f32 v5, v36, v96, -v5
	v_fmac_f32_e32 v55, v37, v96
	v_add_f32_e32 v52, v4, v5
	s_waitcnt vmcnt(21)
	v_mul_f32_e32 v4, v39, v97
	v_add_f32_e32 v53, v53, v55
	v_mul_f32_e32 v55, v38, v97
	s_waitcnt vmcnt(20)
	v_fma_f32 v54, v38, v98, -v4
	s_waitcnt vmcnt(19) lgkmcnt(0)
	v_mul_f32_e32 v4, v41, v99
	v_fmac_f32_e32 v55, v39, v98
	v_mul_f32_e32 v57, v40, v99
	s_waitcnt vmcnt(18)
	v_fma_f32 v56, v40, v100, -v4
	ds_read2_b64 v[4:7], v1 offset0:121 offset1:122
	ds_read2_b64 v[8:11], v1 offset0:123 offset1:124
	;; [unrolled: 1-line block ×3, first 2 shown]
	ds_read_b64 v[16:17], v1 offset:1016
	v_fmac_f32_e32 v57, v41, v100
	v_pk_add_f32 v[18:19], v[52:53], v[54:55]
	v_pk_add_f32 v[18:19], v[18:19], v[56:57]
	s_waitcnt vmcnt(15)
	v_mov_b32_e32 v20, v45
	v_pk_mul_f32 v[20:21], v[42:43], v[20:21] op_sel_hi:[1,0]
	s_waitcnt vmcnt(8)
	v_pk_fma_f32 v[22:23], v[42:43], v[44:45], v[20:21] op_sel:[0,0,1] op_sel_hi:[1,1,0] neg_lo:[0,0,1] neg_hi:[0,0,1]
	v_pk_fma_f32 v[20:21], v[42:43], v[44:45], v[20:21] op_sel:[0,0,1] op_sel_hi:[1,0,0]
	v_mov_b32_e32 v20, v51
	v_mov_b32_e32 v23, v21
	s_waitcnt lgkmcnt(3)
	v_pk_mul_f32 v[20:21], v[4:5], v[20:21] op_sel_hi:[1,0]
	v_pk_add_f32 v[18:19], v[18:19], v[22:23]
	v_pk_fma_f32 v[22:23], v[4:5], v[50:51], v[20:21] op_sel:[0,0,1] op_sel_hi:[1,1,0] neg_lo:[0,0,1] neg_hi:[0,0,1]
	v_pk_fma_f32 v[4:5], v[4:5], v[50:51], v[20:21] op_sel:[0,0,1] op_sel_hi:[1,0,0]
	v_mov_b32_e32 v23, v5
	v_pk_add_f32 v[4:5], v[18:19], v[22:23]
	v_mov_b32_e32 v18, v49
	v_pk_mul_f32 v[18:19], v[6:7], v[18:19] op_sel_hi:[1,0]
	v_pk_fma_f32 v[20:21], v[6:7], v[48:49], v[18:19] op_sel:[0,0,1] op_sel_hi:[1,1,0] neg_lo:[0,0,1] neg_hi:[0,0,1]
	v_pk_fma_f32 v[6:7], v[6:7], v[48:49], v[18:19] op_sel:[0,0,1] op_sel_hi:[1,0,0]
	v_mov_b32_e32 v6, v47
	v_mov_b32_e32 v21, v7
	s_waitcnt lgkmcnt(2)
	v_pk_mul_f32 v[6:7], v[8:9], v[6:7] op_sel_hi:[1,0]
	v_pk_fma_f32 v[18:19], v[8:9], v[46:47], v[6:7] op_sel:[0,0,1] op_sel_hi:[1,1,0] neg_lo:[0,0,1] neg_hi:[0,0,1]
	v_pk_fma_f32 v[6:7], v[8:9], v[46:47], v[6:7] op_sel:[0,0,1] op_sel_hi:[1,0,0]
	s_waitcnt vmcnt(1)
	v_mov_b32_e32 v6, v65
	v_mov_b32_e32 v19, v7
	v_pk_mul_f32 v[6:7], v[10:11], v[6:7] op_sel_hi:[1,0]
	s_waitcnt vmcnt(0)
	v_pk_fma_f32 v[8:9], v[10:11], v[64:65], v[6:7] op_sel:[0,0,1] op_sel_hi:[1,1,0] neg_lo:[0,0,1] neg_hi:[0,0,1]
	v_pk_fma_f32 v[6:7], v[10:11], v[64:65], v[6:7] op_sel:[0,0,1] op_sel_hi:[1,0,0]
	v_pk_add_f32 v[4:5], v[4:5], v[20:21]
	v_mov_b32_e32 v6, v63
	v_pk_add_f32 v[4:5], v[4:5], v[18:19]
	v_mov_b32_e32 v9, v7
	s_waitcnt lgkmcnt(1)
	v_pk_mul_f32 v[6:7], v[12:13], v[6:7] op_sel_hi:[1,0]
	v_pk_add_f32 v[4:5], v[4:5], v[8:9]
	v_pk_fma_f32 v[8:9], v[12:13], v[62:63], v[6:7] op_sel:[0,0,1] op_sel_hi:[1,1,0] neg_lo:[0,0,1] neg_hi:[0,0,1]
	v_pk_fma_f32 v[6:7], v[12:13], v[62:63], v[6:7] op_sel:[0,0,1] op_sel_hi:[1,0,0]
	v_mov_b32_e32 v6, v61
	v_mov_b32_e32 v9, v7
	v_pk_mul_f32 v[6:7], v[14:15], v[6:7] op_sel_hi:[1,0]
	v_pk_add_f32 v[4:5], v[4:5], v[8:9]
	v_pk_fma_f32 v[8:9], v[14:15], v[60:61], v[6:7] op_sel:[0,0,1] op_sel_hi:[1,1,0] neg_lo:[0,0,1] neg_hi:[0,0,1]
	v_pk_fma_f32 v[6:7], v[14:15], v[60:61], v[6:7] op_sel:[0,0,1] op_sel_hi:[1,0,0]
	v_mov_b32_e32 v6, v59
	v_mov_b32_e32 v9, v7
	s_waitcnt lgkmcnt(0)
	v_pk_mul_f32 v[6:7], v[16:17], v[6:7] op_sel_hi:[1,0]
	v_pk_add_f32 v[4:5], v[4:5], v[8:9]
	v_pk_fma_f32 v[8:9], v[16:17], v[58:59], v[6:7] op_sel:[0,0,1] op_sel_hi:[1,1,0] neg_lo:[0,0,1] neg_hi:[0,0,1]
	v_pk_fma_f32 v[6:7], v[16:17], v[58:59], v[6:7] op_sel:[0,0,1] op_sel_hi:[1,0,0]
	v_mov_b32_e32 v9, v7
	v_pk_add_f32 v[4:5], v[4:5], v[8:9]
	v_pk_add_f32 v[2:3], v[2:3], v[4:5] neg_lo:[0,1] neg_hi:[0,1]
	buffer_store_dword v3, off, s[0:3], 0 offset:292
	buffer_store_dword v2, off, s[0:3], 0 offset:288
	s_and_saveexec_b64 s[4:5], vcc
	s_cbranch_execz .LBB127_327
; %bb.326:
	buffer_load_dword v2, off, s[0:3], 0 offset:280
	buffer_load_dword v3, off, s[0:3], 0 offset:284
	s_waitcnt vmcnt(0)
	ds_write_b64 v223, v[2:3]
	buffer_store_dword v1, off, s[0:3], 0 offset:280
	buffer_store_dword v1, off, s[0:3], 0 offset:284
.LBB127_327:
	s_or_b64 exec, exec, s[4:5]
	s_waitcnt lgkmcnt(0)
	; wave barrier
	s_waitcnt lgkmcnt(0)
	buffer_load_dword v44, off, s[0:3], 0 offset:292
	buffer_load_dword v46, off, s[0:3], 0 offset:300
	;; [unrolled: 1-line block ×42, first 2 shown]
	ds_read_b128 v[4:7], v1 offset:800
	ds_read_b128 v[8:11], v1 offset:816
	ds_read_b128 v[12:15], v1 offset:832
	ds_read_b128 v[16:19], v1 offset:848
	ds_read_b128 v[20:23], v1 offset:864
	ds_read_b128 v[24:27], v1 offset:880
	ds_read_b128 v[28:31], v1 offset:896
	ds_read_b128 v[32:35], v1 offset:912
	v_cmp_lt_u32_e32 vcc, 34, v0
	s_waitcnt vmcnt(41) lgkmcnt(7)
	v_mul_f32_e32 v36, v4, v44
	s_waitcnt vmcnt(40)
	v_mul_f32_e32 v37, v6, v46
	s_waitcnt vmcnt(39) lgkmcnt(6)
	v_mul_f32_e32 v38, v8, v54
	s_waitcnt vmcnt(38)
	v_mul_f32_e32 v39, v10, v66
	;; [unrolled: 4-line block ×7, first 2 shown]
	s_waitcnt vmcnt(27) lgkmcnt(0)
	v_mul_f32_e32 v52, v32, v77
	s_waitcnt vmcnt(26)
	v_fmac_f32_e32 v36, v5, v78
	s_waitcnt vmcnt(25)
	v_fmac_f32_e32 v37, v7, v79
	v_add_f32_e32 v36, 0, v36
	s_waitcnt vmcnt(24)
	v_fmac_f32_e32 v38, v9, v80
	v_add_f32_e32 v36, v36, v37
	;; [unrolled: 3-line block ×14, first 2 shown]
	s_waitcnt vmcnt(11)
	v_mul_f32_e32 v41, v34, v93
	v_add_f32_e32 v40, v36, v52
	s_waitcnt vmcnt(10)
	v_fmac_f32_e32 v41, v35, v94
	ds_read_b128 v[36:39], v1 offset:928
	v_add_f32_e32 v45, v40, v41
	ds_read_b128 v[40:43], v1 offset:944
	buffer_load_dword v49, off, s[0:3], 0 offset:452
	buffer_load_dword v51, off, s[0:3], 0 offset:468
	buffer_load_dword v50, off, s[0:3], 0 offset:464
	buffer_load_dword v53, off, s[0:3], 0 offset:460
	buffer_load_dword v52, off, s[0:3], 0 offset:456
	buffer_load_dword v48, off, s[0:3], 0 offset:448
	buffer_load_dword v57, off, s[0:3], 0 offset:500
	buffer_load_dword v56, off, s[0:3], 0 offset:496
	buffer_load_dword v59, off, s[0:3], 0 offset:492
	buffer_load_dword v58, off, s[0:3], 0 offset:488
	buffer_load_dword v61, off, s[0:3], 0 offset:484
	buffer_load_dword v60, off, s[0:3], 0 offset:480
	buffer_load_dword v63, off, s[0:3], 0 offset:476
	buffer_load_dword v62, off, s[0:3], 0 offset:472
	buffer_load_dword v65, off, s[0:3], 0 offset:508
	buffer_load_dword v64, off, s[0:3], 0 offset:504
	v_mul_f32_e32 v5, v5, v44
	v_fma_f32 v4, v4, v78, -v5
	v_mul_f32_e32 v5, v7, v46
	v_add_f32_e32 v4, 0, v4
	v_fma_f32 v5, v6, v79, -v5
	v_add_f32_e32 v4, v4, v5
	v_mul_f32_e32 v5, v9, v54
	v_fma_f32 v5, v8, v80, -v5
	v_add_f32_e32 v4, v4, v5
	v_mul_f32_e32 v5, v11, v66
	;; [unrolled: 3-line block ×14, first 2 shown]
	v_fma_f32 v5, v34, v94, -v5
	v_add_f32_e32 v4, v4, v5
	s_waitcnt vmcnt(25) lgkmcnt(1)
	v_mul_f32_e32 v5, v37, v95
	s_waitcnt vmcnt(24)
	v_fma_f32 v5, v36, v96, -v5
	v_add_f32_e32 v4, v4, v5
	s_waitcnt vmcnt(23)
	v_mul_f32_e32 v5, v39, v97
	v_mul_f32_e32 v47, v36, v95
	s_waitcnt vmcnt(22)
	v_fma_f32 v5, v38, v98, -v5
	v_fmac_f32_e32 v47, v37, v96
	v_add_f32_e32 v44, v4, v5
	s_waitcnt vmcnt(21) lgkmcnt(0)
	v_mul_f32_e32 v4, v41, v99
	v_add_f32_e32 v45, v45, v47
	v_mul_f32_e32 v47, v38, v97
	s_waitcnt vmcnt(20)
	v_fma_f32 v46, v40, v100, -v4
	s_waitcnt vmcnt(19)
	v_mul_f32_e32 v4, v43, v101
	v_fmac_f32_e32 v47, v39, v98
	s_waitcnt vmcnt(18)
	v_fma_f32 v54, v42, v102, -v4
	ds_read_b128 v[4:7], v1 offset:960
	ds_read_b128 v[8:11], v1 offset:976
	;; [unrolled: 1-line block ×4, first 2 shown]
	v_add_f32_e32 v45, v45, v47
	v_mul_f32_e32 v47, v40, v99
	v_fmac_f32_e32 v47, v41, v100
	v_mul_f32_e32 v55, v42, v101
	v_fmac_f32_e32 v55, v43, v102
	v_pk_add_f32 v[20:21], v[44:45], v[46:47]
	v_pk_add_f32 v[20:21], v[20:21], v[54:55]
	s_waitcnt vmcnt(15)
	v_mov_b32_e32 v22, v49
	s_waitcnt lgkmcnt(3)
	v_pk_mul_f32 v[22:23], v[4:5], v[22:23] op_sel_hi:[1,0]
	s_waitcnt vmcnt(10)
	v_pk_fma_f32 v[24:25], v[4:5], v[48:49], v[22:23] op_sel:[0,0,1] op_sel_hi:[1,1,0] neg_lo:[0,0,1] neg_hi:[0,0,1]
	v_pk_fma_f32 v[4:5], v[4:5], v[48:49], v[22:23] op_sel:[0,0,1] op_sel_hi:[1,0,0]
	v_mov_b32_e32 v25, v5
	v_pk_add_f32 v[4:5], v[20:21], v[24:25]
	v_mov_b32_e32 v20, v53
	v_pk_mul_f32 v[20:21], v[6:7], v[20:21] op_sel_hi:[1,0]
	v_pk_fma_f32 v[22:23], v[6:7], v[52:53], v[20:21] op_sel:[0,0,1] op_sel_hi:[1,1,0] neg_lo:[0,0,1] neg_hi:[0,0,1]
	v_pk_fma_f32 v[6:7], v[6:7], v[52:53], v[20:21] op_sel:[0,0,1] op_sel_hi:[1,0,0]
	v_mov_b32_e32 v6, v51
	v_mov_b32_e32 v23, v7
	s_waitcnt lgkmcnt(2)
	v_pk_mul_f32 v[6:7], v[8:9], v[6:7] op_sel_hi:[1,0]
	v_pk_fma_f32 v[20:21], v[8:9], v[50:51], v[6:7] op_sel:[0,0,1] op_sel_hi:[1,1,0] neg_lo:[0,0,1] neg_hi:[0,0,1]
	v_pk_fma_f32 v[6:7], v[8:9], v[50:51], v[6:7] op_sel:[0,0,1] op_sel_hi:[1,0,0]
	s_waitcnt vmcnt(3)
	v_mov_b32_e32 v6, v63
	v_mov_b32_e32 v21, v7
	v_pk_mul_f32 v[6:7], v[10:11], v[6:7] op_sel_hi:[1,0]
	s_waitcnt vmcnt(2)
	v_pk_fma_f32 v[8:9], v[10:11], v[62:63], v[6:7] op_sel:[0,0,1] op_sel_hi:[1,1,0] neg_lo:[0,0,1] neg_hi:[0,0,1]
	v_pk_fma_f32 v[6:7], v[10:11], v[62:63], v[6:7] op_sel:[0,0,1] op_sel_hi:[1,0,0]
	v_pk_add_f32 v[4:5], v[4:5], v[22:23]
	v_mov_b32_e32 v6, v61
	v_pk_add_f32 v[4:5], v[4:5], v[20:21]
	v_mov_b32_e32 v9, v7
	s_waitcnt lgkmcnt(1)
	v_pk_mul_f32 v[6:7], v[12:13], v[6:7] op_sel_hi:[1,0]
	v_pk_add_f32 v[4:5], v[4:5], v[8:9]
	v_pk_fma_f32 v[8:9], v[12:13], v[60:61], v[6:7] op_sel:[0,0,1] op_sel_hi:[1,1,0] neg_lo:[0,0,1] neg_hi:[0,0,1]
	v_pk_fma_f32 v[6:7], v[12:13], v[60:61], v[6:7] op_sel:[0,0,1] op_sel_hi:[1,0,0]
	v_mov_b32_e32 v6, v59
	v_mov_b32_e32 v9, v7
	v_pk_mul_f32 v[6:7], v[14:15], v[6:7] op_sel_hi:[1,0]
	v_pk_add_f32 v[4:5], v[4:5], v[8:9]
	v_pk_fma_f32 v[8:9], v[14:15], v[58:59], v[6:7] op_sel:[0,0,1] op_sel_hi:[1,1,0] neg_lo:[0,0,1] neg_hi:[0,0,1]
	v_pk_fma_f32 v[6:7], v[14:15], v[58:59], v[6:7] op_sel:[0,0,1] op_sel_hi:[1,0,0]
	v_mov_b32_e32 v6, v57
	v_mov_b32_e32 v9, v7
	s_waitcnt lgkmcnt(0)
	v_pk_mul_f32 v[6:7], v[16:17], v[6:7] op_sel_hi:[1,0]
	v_pk_add_f32 v[4:5], v[4:5], v[8:9]
	v_pk_fma_f32 v[8:9], v[16:17], v[56:57], v[6:7] op_sel:[0,0,1] op_sel_hi:[1,1,0] neg_lo:[0,0,1] neg_hi:[0,0,1]
	v_pk_fma_f32 v[6:7], v[16:17], v[56:57], v[6:7] op_sel:[0,0,1] op_sel_hi:[1,0,0]
	s_waitcnt vmcnt(1)
	v_mov_b32_e32 v6, v65
	v_mov_b32_e32 v9, v7
	v_pk_mul_f32 v[6:7], v[18:19], v[6:7] op_sel_hi:[1,0]
	v_pk_add_f32 v[4:5], v[4:5], v[8:9]
	s_waitcnt vmcnt(0)
	v_pk_fma_f32 v[8:9], v[18:19], v[64:65], v[6:7] op_sel:[0,0,1] op_sel_hi:[1,1,0] neg_lo:[0,0,1] neg_hi:[0,0,1]
	v_pk_fma_f32 v[6:7], v[18:19], v[64:65], v[6:7] op_sel:[0,0,1] op_sel_hi:[1,0,0]
	v_mov_b32_e32 v9, v7
	v_pk_add_f32 v[4:5], v[4:5], v[8:9]
	v_pk_add_f32 v[2:3], v[2:3], v[4:5] neg_lo:[0,1] neg_hi:[0,1]
	buffer_store_dword v3, off, s[0:3], 0 offset:284
	buffer_store_dword v2, off, s[0:3], 0 offset:280
	s_and_saveexec_b64 s[4:5], vcc
	s_cbranch_execz .LBB127_329
; %bb.328:
	buffer_load_dword v2, off, s[0:3], 0 offset:272
	buffer_load_dword v3, off, s[0:3], 0 offset:276
	v_mov_b32_e32 v1, 0
	buffer_store_dword v1, off, s[0:3], 0 offset:272
	buffer_store_dword v1, off, s[0:3], 0 offset:276
	s_waitcnt vmcnt(2)
	ds_write_b64 v223, v[2:3]
.LBB127_329:
	s_or_b64 exec, exec, s[4:5]
	s_waitcnt lgkmcnt(0)
	; wave barrier
	s_waitcnt lgkmcnt(0)
	buffer_load_dword v52, off, s[0:3], 0 offset:284
	buffer_load_dword v58, off, s[0:3], 0 offset:292
	;; [unrolled: 1-line block ×44, first 2 shown]
	v_mov_b32_e32 v1, 0
	ds_read2_b64 v[4:7], v1 offset0:99 offset1:100
	ds_read2_b64 v[8:11], v1 offset0:101 offset1:102
	;; [unrolled: 1-line block ×8, first 2 shown]
	v_cmp_lt_u32_e32 vcc, 33, v0
	s_waitcnt vmcnt(43) lgkmcnt(7)
	v_mul_f32_e32 v36, v4, v52
	s_waitcnt vmcnt(42)
	v_mul_f32_e32 v37, v6, v58
	s_waitcnt vmcnt(41) lgkmcnt(6)
	v_mul_f32_e32 v38, v8, v60
	s_waitcnt vmcnt(40)
	v_mul_f32_e32 v39, v10, v74
	;; [unrolled: 4-line block ×7, first 2 shown]
	s_waitcnt vmcnt(29)
	v_fmac_f32_e32 v36, v5, v85
	s_waitcnt vmcnt(28)
	v_fmac_f32_e32 v37, v7, v86
	v_add_f32_e32 v36, 0, v36
	s_waitcnt vmcnt(27)
	v_fmac_f32_e32 v38, v9, v87
	v_add_f32_e32 v36, v36, v37
	;; [unrolled: 3-line block ×12, first 2 shown]
	v_add_f32_e32 v36, v36, v48
	s_waitcnt vmcnt(16)
	v_fmac_f32_e32 v49, v31, v98
	s_waitcnt vmcnt(15) lgkmcnt(0)
	v_mul_f32_e32 v37, v32, v99
	v_add_f32_e32 v36, v36, v49
	s_waitcnt vmcnt(14)
	v_fmac_f32_e32 v37, v33, v100
	v_add_f32_e32 v40, v36, v37
	ds_read2_b64 v[36:39], v1 offset0:115 offset1:116
	s_waitcnt vmcnt(13)
	v_mul_f32_e32 v41, v34, v101
	s_waitcnt vmcnt(12)
	v_fmac_f32_e32 v41, v35, v102
	v_add_f32_e32 v44, v40, v41
	ds_read2_b64 v[40:43], v1 offset0:117 offset1:118
	s_waitcnt vmcnt(11) lgkmcnt(1)
	v_mul_f32_e32 v45, v36, v103
	s_waitcnt vmcnt(10)
	v_fmac_f32_e32 v45, v37, v104
	v_add_f32_e32 v44, v44, v45
	s_waitcnt vmcnt(9)
	v_mul_f32_e32 v45, v38, v105
	s_waitcnt vmcnt(8)
	v_fmac_f32_e32 v45, v39, v106
	v_add_f32_e32 v44, v44, v45
	s_waitcnt vmcnt(7) lgkmcnt(0)
	v_mul_f32_e32 v45, v40, v107
	s_waitcnt vmcnt(6)
	v_fmac_f32_e32 v45, v41, v108
	v_add_f32_e32 v53, v44, v45
	ds_read2_b64 v[44:47], v1 offset0:119 offset1:120
	buffer_load_dword v55, off, s[0:3], 0 offset:460
	buffer_load_dword v54, off, s[0:3], 0 offset:456
	;; [unrolled: 1-line block ×4, first 2 shown]
	ds_read2_b64 v[48:51], v1 offset0:121 offset1:122
	buffer_load_dword v63, off, s[0:3], 0 offset:492
	buffer_load_dword v62, off, s[0:3], 0 offset:488
	;; [unrolled: 1-line block ×12, first 2 shown]
	v_mul_f32_e32 v5, v5, v52
	v_fma_f32 v4, v4, v85, -v5
	v_mul_f32_e32 v5, v7, v58
	v_add_f32_e32 v4, 0, v4
	v_fma_f32 v5, v6, v86, -v5
	v_add_f32_e32 v4, v4, v5
	v_mul_f32_e32 v5, v9, v60
	v_fma_f32 v5, v8, v87, -v5
	v_add_f32_e32 v4, v4, v5
	v_mul_f32_e32 v5, v11, v74
	;; [unrolled: 3-line block ×17, first 2 shown]
	v_fma_f32 v5, v40, v108, -v5
	s_waitcnt vmcnt(21)
	v_mul_f32_e32 v59, v42, v109
	v_add_f32_e32 v52, v4, v5
	v_mul_f32_e32 v4, v43, v109
	s_waitcnt vmcnt(20)
	v_fmac_f32_e32 v59, v43, v110
	s_waitcnt vmcnt(19) lgkmcnt(1)
	v_mul_f32_e32 v61, v44, v111
	v_fma_f32 v58, v42, v110, -v4
	v_mul_f32_e32 v4, v45, v111
	s_waitcnt vmcnt(18)
	v_fmac_f32_e32 v61, v45, v112
	v_fma_f32 v60, v44, v112, -v4
	v_pk_add_f32 v[14:15], v[52:53], v[58:59]
	v_pk_add_f32 v[14:15], v[14:15], v[60:61]
	ds_read2_b64 v[4:7], v1 offset0:123 offset1:124
	ds_read2_b64 v[8:11], v1 offset0:125 offset1:126
	ds_read_b64 v[12:13], v1 offset:1016
	s_waitcnt vmcnt(13)
	v_mov_b32_e32 v16, v57
	v_pk_mul_f32 v[16:17], v[46:47], v[16:17] op_sel_hi:[1,0]
	s_waitcnt vmcnt(12)
	v_pk_fma_f32 v[18:19], v[46:47], v[56:57], v[16:17] op_sel:[0,0,1] op_sel_hi:[1,1,0] neg_lo:[0,0,1] neg_hi:[0,0,1]
	v_pk_fma_f32 v[16:17], v[46:47], v[56:57], v[16:17] op_sel:[0,0,1] op_sel_hi:[1,0,0]
	v_mov_b32_e32 v16, v55
	v_mov_b32_e32 v19, v17
	s_waitcnt lgkmcnt(3)
	v_pk_mul_f32 v[16:17], v[48:49], v[16:17] op_sel_hi:[1,0]
	v_pk_add_f32 v[14:15], v[14:15], v[18:19]
	v_pk_fma_f32 v[18:19], v[48:49], v[54:55], v[16:17] op_sel:[0,0,1] op_sel_hi:[1,1,0] neg_lo:[0,0,1] neg_hi:[0,0,1]
	v_pk_fma_f32 v[16:17], v[48:49], v[54:55], v[16:17] op_sel:[0,0,1] op_sel_hi:[1,0,0]
	s_waitcnt vmcnt(5)
	v_mov_b32_e32 v16, v69
	v_mov_b32_e32 v19, v17
	v_pk_mul_f32 v[16:17], v[50:51], v[16:17] op_sel_hi:[1,0]
	v_pk_add_f32 v[14:15], v[14:15], v[18:19]
	s_waitcnt vmcnt(4)
	v_pk_fma_f32 v[18:19], v[50:51], v[68:69], v[16:17] op_sel:[0,0,1] op_sel_hi:[1,1,0] neg_lo:[0,0,1] neg_hi:[0,0,1]
	v_pk_fma_f32 v[16:17], v[50:51], v[68:69], v[16:17] op_sel:[0,0,1] op_sel_hi:[1,0,0]
	v_mov_b32_e32 v16, v67
	v_mov_b32_e32 v19, v17
	s_waitcnt lgkmcnt(2)
	v_pk_mul_f32 v[16:17], v[4:5], v[16:17] op_sel_hi:[1,0]
	v_pk_add_f32 v[14:15], v[14:15], v[18:19]
	v_pk_fma_f32 v[18:19], v[4:5], v[66:67], v[16:17] op_sel:[0,0,1] op_sel_hi:[1,1,0] neg_lo:[0,0,1] neg_hi:[0,0,1]
	v_pk_fma_f32 v[4:5], v[4:5], v[66:67], v[16:17] op_sel:[0,0,1] op_sel_hi:[1,0,0]
	v_mov_b32_e32 v19, v5
	v_pk_add_f32 v[4:5], v[14:15], v[18:19]
	v_mov_b32_e32 v14, v65
	v_pk_mul_f32 v[14:15], v[6:7], v[14:15] op_sel_hi:[1,0]
	v_pk_fma_f32 v[16:17], v[6:7], v[64:65], v[14:15] op_sel:[0,0,1] op_sel_hi:[1,1,0] neg_lo:[0,0,1] neg_hi:[0,0,1]
	v_pk_fma_f32 v[6:7], v[6:7], v[64:65], v[14:15] op_sel:[0,0,1] op_sel_hi:[1,0,0]
	v_mov_b32_e32 v6, v63
	v_mov_b32_e32 v17, v7
	s_waitcnt lgkmcnt(1)
	v_pk_mul_f32 v[6:7], v[8:9], v[6:7] op_sel_hi:[1,0]
	v_pk_fma_f32 v[14:15], v[8:9], v[62:63], v[6:7] op_sel:[0,0,1] op_sel_hi:[1,1,0] neg_lo:[0,0,1] neg_hi:[0,0,1]
	v_pk_fma_f32 v[6:7], v[8:9], v[62:63], v[6:7] op_sel:[0,0,1] op_sel_hi:[1,0,0]
	s_waitcnt vmcnt(1)
	v_mov_b32_e32 v6, v73
	v_mov_b32_e32 v15, v7
	v_pk_mul_f32 v[6:7], v[10:11], v[6:7] op_sel_hi:[1,0]
	s_waitcnt vmcnt(0)
	v_pk_fma_f32 v[8:9], v[10:11], v[72:73], v[6:7] op_sel:[0,0,1] op_sel_hi:[1,1,0] neg_lo:[0,0,1] neg_hi:[0,0,1]
	v_pk_fma_f32 v[6:7], v[10:11], v[72:73], v[6:7] op_sel:[0,0,1] op_sel_hi:[1,0,0]
	v_pk_add_f32 v[4:5], v[4:5], v[16:17]
	v_mov_b32_e32 v6, v71
	v_pk_add_f32 v[4:5], v[4:5], v[14:15]
	v_mov_b32_e32 v9, v7
	s_waitcnt lgkmcnt(0)
	v_pk_mul_f32 v[6:7], v[12:13], v[6:7] op_sel_hi:[1,0]
	v_pk_add_f32 v[4:5], v[4:5], v[8:9]
	v_pk_fma_f32 v[8:9], v[12:13], v[70:71], v[6:7] op_sel:[0,0,1] op_sel_hi:[1,1,0] neg_lo:[0,0,1] neg_hi:[0,0,1]
	v_pk_fma_f32 v[6:7], v[12:13], v[70:71], v[6:7] op_sel:[0,0,1] op_sel_hi:[1,0,0]
	v_mov_b32_e32 v9, v7
	v_pk_add_f32 v[4:5], v[4:5], v[8:9]
	v_pk_add_f32 v[2:3], v[2:3], v[4:5] neg_lo:[0,1] neg_hi:[0,1]
	buffer_store_dword v3, off, s[0:3], 0 offset:276
	buffer_store_dword v2, off, s[0:3], 0 offset:272
	s_and_saveexec_b64 s[4:5], vcc
	s_cbranch_execz .LBB127_331
; %bb.330:
	buffer_load_dword v2, off, s[0:3], 0 offset:264
	buffer_load_dword v3, off, s[0:3], 0 offset:268
	s_waitcnt vmcnt(0)
	ds_write_b64 v223, v[2:3]
	buffer_store_dword v1, off, s[0:3], 0 offset:264
	buffer_store_dword v1, off, s[0:3], 0 offset:268
.LBB127_331:
	s_or_b64 exec, exec, s[4:5]
	s_waitcnt lgkmcnt(0)
	; wave barrier
	s_waitcnt lgkmcnt(0)
	buffer_load_dword v54, off, s[0:3], 0 offset:276
	buffer_load_dword v56, off, s[0:3], 0 offset:284
	;; [unrolled: 1-line block ×46, first 2 shown]
	ds_read_b128 v[4:7], v1 offset:784
	ds_read_b128 v[8:11], v1 offset:800
	;; [unrolled: 1-line block ×8, first 2 shown]
	v_cmp_lt_u32_e32 vcc, 32, v0
	s_waitcnt vmcnt(45) lgkmcnt(7)
	v_mul_f32_e32 v36, v4, v54
	s_waitcnt vmcnt(44)
	v_mul_f32_e32 v37, v6, v56
	s_waitcnt vmcnt(43) lgkmcnt(6)
	v_mul_f32_e32 v38, v8, v58
	s_waitcnt vmcnt(42)
	v_mul_f32_e32 v39, v10, v74
	;; [unrolled: 4-line block ×6, first 2 shown]
	s_waitcnt vmcnt(33) lgkmcnt(1)
	v_mul_f32_e32 v48, v28, v83
	s_waitcnt vmcnt(32)
	v_fmac_f32_e32 v36, v5, v84
	s_waitcnt vmcnt(31)
	v_fmac_f32_e32 v37, v7, v85
	v_add_f32_e32 v36, 0, v36
	s_waitcnt vmcnt(30)
	v_fmac_f32_e32 v38, v9, v86
	v_add_f32_e32 v36, v36, v37
	;; [unrolled: 3-line block ×12, first 2 shown]
	s_waitcnt vmcnt(19)
	v_mul_f32_e32 v37, v30, v97
	v_add_f32_e32 v36, v36, v48
	s_waitcnt vmcnt(18)
	v_fmac_f32_e32 v37, v31, v98
	v_add_f32_e32 v36, v36, v37
	s_waitcnt vmcnt(17) lgkmcnt(0)
	v_mul_f32_e32 v37, v32, v99
	s_waitcnt vmcnt(16)
	v_fmac_f32_e32 v37, v33, v100
	v_add_f32_e32 v40, v36, v37
	ds_read_b128 v[36:39], v1 offset:912
	s_waitcnt vmcnt(15)
	v_mul_f32_e32 v41, v34, v101
	s_waitcnt vmcnt(14)
	v_fmac_f32_e32 v41, v35, v102
	v_add_f32_e32 v44, v40, v41
	ds_read_b128 v[40:43], v1 offset:928
	buffer_load_dword v53, off, s[0:3], 0 offset:452
	buffer_load_dword v52, off, s[0:3], 0 offset:448
	s_waitcnt vmcnt(15) lgkmcnt(1)
	v_mul_f32_e32 v45, v36, v103
	s_waitcnt vmcnt(14)
	v_fmac_f32_e32 v45, v37, v104
	v_add_f32_e32 v44, v44, v45
	s_waitcnt vmcnt(13)
	v_mul_f32_e32 v45, v38, v105
	s_waitcnt vmcnt(12)
	v_fmac_f32_e32 v45, v39, v106
	v_add_f32_e32 v44, v44, v45
	s_waitcnt vmcnt(11) lgkmcnt(0)
	v_mul_f32_e32 v45, v40, v107
	s_waitcnt vmcnt(10)
	v_fmac_f32_e32 v45, v41, v108
	s_waitcnt vmcnt(9)
	v_mul_f32_e32 v49, v42, v109
	v_add_f32_e32 v48, v44, v45
	s_waitcnt vmcnt(8)
	v_fmac_f32_e32 v49, v43, v110
	ds_read_b128 v[44:47], v1 offset:944
	v_add_f32_e32 v55, v48, v49
	ds_read_b128 v[48:51], v1 offset:960
	buffer_load_dword v61, off, s[0:3], 0 offset:484
	buffer_load_dword v60, off, s[0:3], 0 offset:480
	;; [unrolled: 1-line block ×14, first 2 shown]
	v_mul_f32_e32 v5, v5, v54
	v_fma_f32 v4, v4, v84, -v5
	v_mul_f32_e32 v5, v7, v56
	v_add_f32_e32 v4, 0, v4
	v_fma_f32 v5, v6, v85, -v5
	v_add_f32_e32 v4, v4, v5
	v_mul_f32_e32 v5, v9, v58
	v_fma_f32 v5, v8, v86, -v5
	v_add_f32_e32 v4, v4, v5
	v_mul_f32_e32 v5, v11, v74
	;; [unrolled: 3-line block ×18, first 2 shown]
	v_fma_f32 v5, v42, v110, -v5
	s_waitcnt vmcnt(21) lgkmcnt(1)
	v_mul_f32_e32 v57, v44, v111
	v_add_f32_e32 v54, v4, v5
	v_mul_f32_e32 v4, v45, v111
	s_waitcnt vmcnt(20)
	v_fmac_f32_e32 v57, v45, v112
	s_waitcnt vmcnt(15)
	v_mov_b32_e32 v18, v53
	s_waitcnt lgkmcnt(0)
	v_pk_mul_f32 v[18:19], v[48:49], v[18:19] op_sel_hi:[1,0]
	v_mul_f32_e32 v59, v46, v113
	v_fma_f32 v56, v44, v112, -v4
	v_mul_f32_e32 v4, v47, v113
	s_waitcnt vmcnt(14)
	v_pk_fma_f32 v[20:21], v[48:49], v[52:53], v[18:19] op_sel:[0,0,1] op_sel_hi:[1,1,0] neg_lo:[0,0,1] neg_hi:[0,0,1]
	v_pk_fma_f32 v[18:19], v[48:49], v[52:53], v[18:19] op_sel:[0,0,1] op_sel_hi:[1,0,0]
	v_fmac_f32_e32 v59, v47, v114
	v_fma_f32 v58, v46, v114, -v4
	v_pk_add_f32 v[16:17], v[54:55], v[56:57]
	s_waitcnt vmcnt(7)
	v_mov_b32_e32 v18, v67
	ds_read_b128 v[4:7], v1 offset:976
	ds_read_b128 v[8:11], v1 offset:992
	;; [unrolled: 1-line block ×3, first 2 shown]
	v_pk_add_f32 v[16:17], v[16:17], v[58:59]
	v_mov_b32_e32 v21, v19
	v_pk_mul_f32 v[18:19], v[50:51], v[18:19] op_sel_hi:[1,0]
	v_pk_add_f32 v[16:17], v[16:17], v[20:21]
	s_waitcnt vmcnt(6)
	v_pk_fma_f32 v[20:21], v[50:51], v[66:67], v[18:19] op_sel:[0,0,1] op_sel_hi:[1,1,0] neg_lo:[0,0,1] neg_hi:[0,0,1]
	v_pk_fma_f32 v[18:19], v[50:51], v[66:67], v[18:19] op_sel:[0,0,1] op_sel_hi:[1,0,0]
	v_mov_b32_e32 v18, v65
	v_mov_b32_e32 v21, v19
	s_waitcnt lgkmcnt(2)
	v_pk_mul_f32 v[18:19], v[4:5], v[18:19] op_sel_hi:[1,0]
	v_pk_add_f32 v[16:17], v[16:17], v[20:21]
	v_pk_fma_f32 v[20:21], v[4:5], v[64:65], v[18:19] op_sel:[0,0,1] op_sel_hi:[1,1,0] neg_lo:[0,0,1] neg_hi:[0,0,1]
	v_pk_fma_f32 v[4:5], v[4:5], v[64:65], v[18:19] op_sel:[0,0,1] op_sel_hi:[1,0,0]
	v_mov_b32_e32 v21, v5
	v_pk_add_f32 v[4:5], v[16:17], v[20:21]
	v_mov_b32_e32 v16, v63
	v_pk_mul_f32 v[16:17], v[6:7], v[16:17] op_sel_hi:[1,0]
	v_pk_fma_f32 v[18:19], v[6:7], v[62:63], v[16:17] op_sel:[0,0,1] op_sel_hi:[1,1,0] neg_lo:[0,0,1] neg_hi:[0,0,1]
	v_pk_fma_f32 v[6:7], v[6:7], v[62:63], v[16:17] op_sel:[0,0,1] op_sel_hi:[1,0,0]
	v_mov_b32_e32 v6, v61
	v_mov_b32_e32 v19, v7
	s_waitcnt lgkmcnt(1)
	v_pk_mul_f32 v[6:7], v[8:9], v[6:7] op_sel_hi:[1,0]
	v_pk_fma_f32 v[16:17], v[8:9], v[60:61], v[6:7] op_sel:[0,0,1] op_sel_hi:[1,1,0] neg_lo:[0,0,1] neg_hi:[0,0,1]
	v_pk_fma_f32 v[6:7], v[8:9], v[60:61], v[6:7] op_sel:[0,0,1] op_sel_hi:[1,0,0]
	s_waitcnt vmcnt(1)
	v_mov_b32_e32 v6, v73
	v_mov_b32_e32 v17, v7
	v_pk_mul_f32 v[6:7], v[10:11], v[6:7] op_sel_hi:[1,0]
	s_waitcnt vmcnt(0)
	v_pk_fma_f32 v[8:9], v[10:11], v[72:73], v[6:7] op_sel:[0,0,1] op_sel_hi:[1,1,0] neg_lo:[0,0,1] neg_hi:[0,0,1]
	v_pk_fma_f32 v[6:7], v[10:11], v[72:73], v[6:7] op_sel:[0,0,1] op_sel_hi:[1,0,0]
	v_pk_add_f32 v[4:5], v[4:5], v[18:19]
	v_mov_b32_e32 v6, v71
	v_pk_add_f32 v[4:5], v[4:5], v[16:17]
	v_mov_b32_e32 v9, v7
	s_waitcnt lgkmcnt(0)
	v_pk_mul_f32 v[6:7], v[12:13], v[6:7] op_sel_hi:[1,0]
	v_pk_add_f32 v[4:5], v[4:5], v[8:9]
	v_pk_fma_f32 v[8:9], v[12:13], v[70:71], v[6:7] op_sel:[0,0,1] op_sel_hi:[1,1,0] neg_lo:[0,0,1] neg_hi:[0,0,1]
	v_pk_fma_f32 v[6:7], v[12:13], v[70:71], v[6:7] op_sel:[0,0,1] op_sel_hi:[1,0,0]
	v_mov_b32_e32 v6, v69
	v_mov_b32_e32 v9, v7
	v_pk_mul_f32 v[6:7], v[14:15], v[6:7] op_sel_hi:[1,0]
	v_pk_add_f32 v[4:5], v[4:5], v[8:9]
	v_pk_fma_f32 v[8:9], v[14:15], v[68:69], v[6:7] op_sel:[0,0,1] op_sel_hi:[1,1,0] neg_lo:[0,0,1] neg_hi:[0,0,1]
	v_pk_fma_f32 v[6:7], v[14:15], v[68:69], v[6:7] op_sel:[0,0,1] op_sel_hi:[1,0,0]
	v_mov_b32_e32 v9, v7
	v_pk_add_f32 v[4:5], v[4:5], v[8:9]
	v_pk_add_f32 v[2:3], v[2:3], v[4:5] neg_lo:[0,1] neg_hi:[0,1]
	buffer_store_dword v3, off, s[0:3], 0 offset:268
	buffer_store_dword v2, off, s[0:3], 0 offset:264
	s_and_saveexec_b64 s[4:5], vcc
	s_cbranch_execz .LBB127_333
; %bb.332:
	buffer_load_dword v2, off, s[0:3], 0 offset:256
	buffer_load_dword v3, off, s[0:3], 0 offset:260
	v_mov_b32_e32 v1, 0
	buffer_store_dword v1, off, s[0:3], 0 offset:256
	buffer_store_dword v1, off, s[0:3], 0 offset:260
	s_waitcnt vmcnt(2)
	ds_write_b64 v223, v[2:3]
.LBB127_333:
	s_or_b64 exec, exec, s[4:5]
	s_waitcnt lgkmcnt(0)
	; wave barrier
	s_waitcnt lgkmcnt(0)
	buffer_load_dword v52, off, s[0:3], 0 offset:268
	buffer_load_dword v54, off, s[0:3], 0 offset:276
	;; [unrolled: 1-line block ×48, first 2 shown]
	v_mov_b32_e32 v1, 0
	ds_read2_b64 v[4:7], v1 offset0:97 offset1:98
	ds_read2_b64 v[8:11], v1 offset0:99 offset1:100
	;; [unrolled: 1-line block ×6, first 2 shown]
	v_cmp_lt_u32_e32 vcc, 31, v0
	s_waitcnt vmcnt(47) lgkmcnt(5)
	v_mul_f32_e32 v28, v4, v52
	s_waitcnt vmcnt(46)
	v_mul_f32_e32 v29, v6, v54
	s_waitcnt vmcnt(45) lgkmcnt(4)
	v_mul_f32_e32 v30, v8, v56
	s_waitcnt vmcnt(44)
	v_mul_f32_e32 v31, v10, v74
	;; [unrolled: 4-line block ×6, first 2 shown]
	s_waitcnt vmcnt(35)
	v_fmac_f32_e32 v28, v5, v83
	s_waitcnt vmcnt(34)
	v_fmac_f32_e32 v29, v7, v84
	v_add_f32_e32 v28, 0, v28
	s_waitcnt vmcnt(33)
	v_fmac_f32_e32 v30, v9, v85
	v_add_f32_e32 v28, v28, v29
	;; [unrolled: 3-line block ×8, first 2 shown]
	v_add_f32_e32 v32, v28, v36
	ds_read2_b64 v[28:31], v1 offset0:109 offset1:110
	s_waitcnt vmcnt(26)
	v_fmac_f32_e32 v37, v23, v92
	s_waitcnt vmcnt(25)
	v_fmac_f32_e32 v38, v25, v93
	v_add_f32_e32 v32, v32, v37
	s_waitcnt vmcnt(24)
	v_fmac_f32_e32 v39, v27, v94
	v_add_f32_e32 v32, v32, v38
	v_add_f32_e32 v36, v32, v39
	ds_read2_b64 v[32:35], v1 offset0:111 offset1:112
	s_waitcnt vmcnt(23) lgkmcnt(1)
	v_mul_f32_e32 v37, v28, v95
	s_waitcnt vmcnt(22)
	v_fmac_f32_e32 v37, v29, v96
	v_add_f32_e32 v36, v36, v37
	s_waitcnt vmcnt(21)
	v_mul_f32_e32 v37, v30, v97
	s_waitcnt vmcnt(20)
	v_fmac_f32_e32 v37, v31, v98
	v_add_f32_e32 v36, v36, v37
	s_waitcnt vmcnt(19) lgkmcnt(0)
	v_mul_f32_e32 v37, v32, v99
	s_waitcnt vmcnt(18)
	v_fmac_f32_e32 v37, v33, v100
	v_add_f32_e32 v40, v36, v37
	ds_read2_b64 v[36:39], v1 offset0:113 offset1:114
	s_waitcnt vmcnt(17)
	v_mul_f32_e32 v41, v34, v101
	s_waitcnt vmcnt(16)
	v_fmac_f32_e32 v41, v35, v102
	v_add_f32_e32 v44, v40, v41
	ds_read2_b64 v[40:43], v1 offset0:115 offset1:116
	s_waitcnt vmcnt(15) lgkmcnt(1)
	v_mul_f32_e32 v45, v36, v103
	s_waitcnt vmcnt(14)
	v_fmac_f32_e32 v45, v37, v104
	v_add_f32_e32 v44, v44, v45
	s_waitcnt vmcnt(13)
	v_mul_f32_e32 v45, v38, v105
	s_waitcnt vmcnt(12)
	v_fmac_f32_e32 v45, v39, v106
	v_add_f32_e32 v44, v44, v45
	s_waitcnt vmcnt(11) lgkmcnt(0)
	v_mul_f32_e32 v45, v40, v107
	s_waitcnt vmcnt(10)
	v_fmac_f32_e32 v45, v41, v108
	s_waitcnt vmcnt(9)
	v_mul_f32_e32 v49, v42, v109
	v_add_f32_e32 v48, v44, v45
	s_waitcnt vmcnt(8)
	v_fmac_f32_e32 v49, v43, v110
	ds_read2_b64 v[44:47], v1 offset0:117 offset1:118
	v_add_f32_e32 v53, v48, v49
	ds_read2_b64 v[48:51], v1 offset0:119 offset1:120
	buffer_load_dword v59, off, s[0:3], 0 offset:476
	buffer_load_dword v58, off, s[0:3], 0 offset:472
	;; [unrolled: 1-line block ×16, first 2 shown]
	v_mul_f32_e32 v5, v5, v52
	v_fma_f32 v4, v4, v83, -v5
	v_mul_f32_e32 v5, v7, v54
	v_add_f32_e32 v4, 0, v4
	v_fma_f32 v5, v6, v84, -v5
	v_add_f32_e32 v4, v4, v5
	v_mul_f32_e32 v5, v9, v56
	v_fma_f32 v5, v8, v85, -v5
	v_add_f32_e32 v4, v4, v5
	v_mul_f32_e32 v5, v11, v74
	;; [unrolled: 3-line block ×18, first 2 shown]
	v_fma_f32 v5, v42, v110, -v5
	v_add_f32_e32 v4, v4, v5
	s_waitcnt vmcnt(22) lgkmcnt(1)
	v_mul_f32_e32 v5, v45, v112
	v_mul_f32_e32 v55, v44, v112
	v_fma_f32 v5, v44, v111, -v5
	v_fmac_f32_e32 v55, v45, v111
	v_add_f32_e32 v52, v4, v5
	s_waitcnt vmcnt(19)
	v_mul_f32_e32 v4, v47, v113
	v_add_f32_e32 v53, v53, v55
	v_mul_f32_e32 v55, v46, v113
	s_waitcnt vmcnt(18)
	v_fma_f32 v54, v46, v114, -v4
	s_waitcnt vmcnt(17) lgkmcnt(0)
	v_mul_f32_e32 v4, v49, v115
	s_waitcnt vmcnt(9)
	v_mov_b32_e32 v20, v65
	v_pk_mul_f32 v[20:21], v[50:51], v[20:21] op_sel_hi:[1,0]
	v_fmac_f32_e32 v55, v47, v114
	v_mul_f32_e32 v57, v48, v115
	v_fma_f32 v56, v48, v116, -v4
	ds_read2_b64 v[4:7], v1 offset0:121 offset1:122
	ds_read2_b64 v[8:11], v1 offset0:123 offset1:124
	;; [unrolled: 1-line block ×3, first 2 shown]
	ds_read_b64 v[16:17], v1 offset:1016
	s_waitcnt vmcnt(8)
	v_pk_fma_f32 v[22:23], v[50:51], v[64:65], v[20:21] op_sel:[0,0,1] op_sel_hi:[1,1,0] neg_lo:[0,0,1] neg_hi:[0,0,1]
	v_pk_fma_f32 v[20:21], v[50:51], v[64:65], v[20:21] op_sel:[0,0,1] op_sel_hi:[1,0,0]
	v_fmac_f32_e32 v57, v49, v116
	v_pk_add_f32 v[18:19], v[52:53], v[54:55]
	v_mov_b32_e32 v20, v63
	v_pk_add_f32 v[18:19], v[18:19], v[56:57]
	v_mov_b32_e32 v23, v21
	s_waitcnt lgkmcnt(3)
	v_pk_mul_f32 v[20:21], v[4:5], v[20:21] op_sel_hi:[1,0]
	v_pk_add_f32 v[18:19], v[18:19], v[22:23]
	v_pk_fma_f32 v[22:23], v[4:5], v[62:63], v[20:21] op_sel:[0,0,1] op_sel_hi:[1,1,0] neg_lo:[0,0,1] neg_hi:[0,0,1]
	v_pk_fma_f32 v[4:5], v[4:5], v[62:63], v[20:21] op_sel:[0,0,1] op_sel_hi:[1,0,0]
	v_mov_b32_e32 v23, v5
	v_pk_add_f32 v[4:5], v[18:19], v[22:23]
	v_mov_b32_e32 v18, v61
	v_pk_mul_f32 v[18:19], v[6:7], v[18:19] op_sel_hi:[1,0]
	v_pk_fma_f32 v[20:21], v[6:7], v[60:61], v[18:19] op_sel:[0,0,1] op_sel_hi:[1,1,0] neg_lo:[0,0,1] neg_hi:[0,0,1]
	v_pk_fma_f32 v[6:7], v[6:7], v[60:61], v[18:19] op_sel:[0,0,1] op_sel_hi:[1,0,0]
	v_mov_b32_e32 v6, v59
	v_mov_b32_e32 v21, v7
	s_waitcnt lgkmcnt(2)
	v_pk_mul_f32 v[6:7], v[8:9], v[6:7] op_sel_hi:[1,0]
	v_pk_fma_f32 v[18:19], v[8:9], v[58:59], v[6:7] op_sel:[0,0,1] op_sel_hi:[1,1,0] neg_lo:[0,0,1] neg_hi:[0,0,1]
	v_pk_fma_f32 v[6:7], v[8:9], v[58:59], v[6:7] op_sel:[0,0,1] op_sel_hi:[1,0,0]
	s_waitcnt vmcnt(1)
	v_mov_b32_e32 v6, v73
	v_mov_b32_e32 v19, v7
	v_pk_mul_f32 v[6:7], v[10:11], v[6:7] op_sel_hi:[1,0]
	s_waitcnt vmcnt(0)
	v_pk_fma_f32 v[8:9], v[10:11], v[72:73], v[6:7] op_sel:[0,0,1] op_sel_hi:[1,1,0] neg_lo:[0,0,1] neg_hi:[0,0,1]
	v_pk_fma_f32 v[6:7], v[10:11], v[72:73], v[6:7] op_sel:[0,0,1] op_sel_hi:[1,0,0]
	v_pk_add_f32 v[4:5], v[4:5], v[20:21]
	v_mov_b32_e32 v6, v71
	v_pk_add_f32 v[4:5], v[4:5], v[18:19]
	v_mov_b32_e32 v9, v7
	s_waitcnt lgkmcnt(1)
	v_pk_mul_f32 v[6:7], v[12:13], v[6:7] op_sel_hi:[1,0]
	v_pk_add_f32 v[4:5], v[4:5], v[8:9]
	v_pk_fma_f32 v[8:9], v[12:13], v[70:71], v[6:7] op_sel:[0,0,1] op_sel_hi:[1,1,0] neg_lo:[0,0,1] neg_hi:[0,0,1]
	v_pk_fma_f32 v[6:7], v[12:13], v[70:71], v[6:7] op_sel:[0,0,1] op_sel_hi:[1,0,0]
	v_mov_b32_e32 v6, v69
	v_mov_b32_e32 v9, v7
	v_pk_mul_f32 v[6:7], v[14:15], v[6:7] op_sel_hi:[1,0]
	v_pk_add_f32 v[4:5], v[4:5], v[8:9]
	v_pk_fma_f32 v[8:9], v[14:15], v[68:69], v[6:7] op_sel:[0,0,1] op_sel_hi:[1,1,0] neg_lo:[0,0,1] neg_hi:[0,0,1]
	v_pk_fma_f32 v[6:7], v[14:15], v[68:69], v[6:7] op_sel:[0,0,1] op_sel_hi:[1,0,0]
	v_mov_b32_e32 v6, v67
	v_mov_b32_e32 v9, v7
	s_waitcnt lgkmcnt(0)
	v_pk_mul_f32 v[6:7], v[16:17], v[6:7] op_sel_hi:[1,0]
	v_pk_add_f32 v[4:5], v[4:5], v[8:9]
	v_pk_fma_f32 v[8:9], v[16:17], v[66:67], v[6:7] op_sel:[0,0,1] op_sel_hi:[1,1,0] neg_lo:[0,0,1] neg_hi:[0,0,1]
	v_pk_fma_f32 v[6:7], v[16:17], v[66:67], v[6:7] op_sel:[0,0,1] op_sel_hi:[1,0,0]
	v_mov_b32_e32 v9, v7
	v_pk_add_f32 v[4:5], v[4:5], v[8:9]
	v_pk_add_f32 v[2:3], v[2:3], v[4:5] neg_lo:[0,1] neg_hi:[0,1]
	buffer_store_dword v3, off, s[0:3], 0 offset:260
	buffer_store_dword v2, off, s[0:3], 0 offset:256
	s_and_saveexec_b64 s[4:5], vcc
	s_cbranch_execz .LBB127_335
; %bb.334:
	buffer_load_dword v2, off, s[0:3], 0 offset:248
	buffer_load_dword v3, off, s[0:3], 0 offset:252
	s_waitcnt vmcnt(0)
	ds_write_b64 v223, v[2:3]
	buffer_store_dword v1, off, s[0:3], 0 offset:248
	buffer_store_dword v1, off, s[0:3], 0 offset:252
.LBB127_335:
	s_or_b64 exec, exec, s[4:5]
	s_waitcnt lgkmcnt(0)
	; wave barrier
	s_waitcnt lgkmcnt(0)
	buffer_load_dword v52, off, s[0:3], 0 offset:260
	buffer_load_dword v54, off, s[0:3], 0 offset:268
	;; [unrolled: 1-line block ×48, first 2 shown]
	ds_read_b128 v[4:7], v1 offset:768
	ds_read_b128 v[8:11], v1 offset:784
	;; [unrolled: 1-line block ×6, first 2 shown]
	buffer_load_dword v117, off, s[0:3], 0 offset:440
	buffer_load_dword v118, off, s[0:3], 0 offset:444
	v_cmp_lt_u32_e32 vcc, 30, v0
	s_waitcnt vmcnt(49) lgkmcnt(5)
	v_mul_f32_e32 v28, v4, v52
	s_waitcnt vmcnt(48)
	v_mul_f32_e32 v29, v6, v54
	s_waitcnt vmcnt(47) lgkmcnt(4)
	v_mul_f32_e32 v30, v8, v62
	s_waitcnt vmcnt(46)
	v_mul_f32_e32 v31, v10, v74
	;; [unrolled: 4-line block ×6, first 2 shown]
	s_waitcnt vmcnt(37)
	v_fmac_f32_e32 v28, v5, v83
	s_waitcnt vmcnt(36)
	v_fmac_f32_e32 v29, v7, v84
	v_add_f32_e32 v28, 0, v28
	s_waitcnt vmcnt(35)
	v_fmac_f32_e32 v30, v9, v85
	v_add_f32_e32 v28, v28, v29
	;; [unrolled: 3-line block ×9, first 2 shown]
	v_add_f32_e32 v32, v28, v37
	ds_read_b128 v[28:31], v1 offset:864
	s_waitcnt vmcnt(27)
	v_fmac_f32_e32 v38, v25, v93
	v_add_f32_e32 v32, v32, v38
	s_waitcnt vmcnt(26)
	v_fmac_f32_e32 v39, v27, v94
	v_add_f32_e32 v36, v32, v39
	ds_read_b128 v[32:35], v1 offset:880
	s_waitcnt vmcnt(25) lgkmcnt(1)
	v_mul_f32_e32 v37, v28, v95
	s_waitcnt vmcnt(24)
	v_fmac_f32_e32 v37, v29, v96
	v_add_f32_e32 v36, v36, v37
	s_waitcnt vmcnt(23)
	v_mul_f32_e32 v37, v30, v97
	s_waitcnt vmcnt(22)
	v_fmac_f32_e32 v37, v31, v98
	v_add_f32_e32 v36, v36, v37
	s_waitcnt vmcnt(21) lgkmcnt(0)
	v_mul_f32_e32 v37, v32, v99
	s_waitcnt vmcnt(20)
	v_fmac_f32_e32 v37, v33, v100
	v_add_f32_e32 v40, v36, v37
	ds_read_b128 v[36:39], v1 offset:896
	s_waitcnt vmcnt(19)
	v_mul_f32_e32 v41, v34, v101
	s_waitcnt vmcnt(18)
	v_fmac_f32_e32 v41, v35, v102
	v_add_f32_e32 v44, v40, v41
	ds_read_b128 v[40:43], v1 offset:912
	s_waitcnt vmcnt(17) lgkmcnt(1)
	v_mul_f32_e32 v45, v36, v103
	s_waitcnt vmcnt(16)
	v_fmac_f32_e32 v45, v37, v104
	v_add_f32_e32 v44, v44, v45
	s_waitcnt vmcnt(15)
	v_mul_f32_e32 v45, v38, v105
	s_waitcnt vmcnt(14)
	v_fmac_f32_e32 v45, v39, v106
	v_add_f32_e32 v44, v44, v45
	s_waitcnt vmcnt(13) lgkmcnt(0)
	v_mul_f32_e32 v45, v40, v107
	s_waitcnt vmcnt(12)
	v_fmac_f32_e32 v45, v41, v108
	s_waitcnt vmcnt(11)
	v_mul_f32_e32 v49, v42, v109
	v_add_f32_e32 v48, v44, v45
	s_waitcnt vmcnt(10)
	v_fmac_f32_e32 v49, v43, v110
	ds_read_b128 v[44:47], v1 offset:928
	v_add_f32_e32 v53, v48, v49
	ds_read_b128 v[48:51], v1 offset:944
	buffer_load_dword v57, off, s[0:3], 0 offset:468
	buffer_load_dword v56, off, s[0:3], 0 offset:464
	;; [unrolled: 1-line block ×16, first 2 shown]
	v_mul_f32_e32 v5, v5, v52
	v_fma_f32 v4, v4, v83, -v5
	v_mul_f32_e32 v5, v7, v54
	v_add_f32_e32 v4, 0, v4
	v_fma_f32 v5, v6, v84, -v5
	v_add_f32_e32 v4, v4, v5
	v_mul_f32_e32 v5, v9, v62
	v_fma_f32 v5, v8, v85, -v5
	v_add_f32_e32 v4, v4, v5
	v_mul_f32_e32 v5, v11, v74
	;; [unrolled: 3-line block ×18, first 2 shown]
	v_fma_f32 v5, v42, v110, -v5
	v_add_f32_e32 v4, v4, v5
	s_waitcnt vmcnt(23) lgkmcnt(1)
	v_mul_f32_e32 v5, v45, v111
	s_waitcnt vmcnt(22)
	v_fma_f32 v5, v44, v112, -v5
	v_add_f32_e32 v4, v4, v5
	s_waitcnt vmcnt(20)
	v_mul_f32_e32 v5, v47, v114
	v_mul_f32_e32 v55, v44, v111
	v_fma_f32 v5, v46, v113, -v5
	v_fmac_f32_e32 v55, v45, v112
	v_add_f32_e32 v52, v4, v5
	s_waitcnt vmcnt(18) lgkmcnt(0)
	v_mul_f32_e32 v4, v49, v116
	v_add_f32_e32 v53, v53, v55
	v_mul_f32_e32 v55, v46, v114
	v_fma_f32 v54, v48, v115, -v4
	s_waitcnt vmcnt(16)
	v_mul_f32_e32 v4, v51, v118
	v_fmac_f32_e32 v55, v47, v113
	v_fma_f32 v62, v50, v117, -v4
	ds_read_b128 v[4:7], v1 offset:960
	ds_read_b128 v[8:11], v1 offset:976
	;; [unrolled: 1-line block ×4, first 2 shown]
	v_add_f32_e32 v53, v53, v55
	v_mul_f32_e32 v55, v48, v116
	s_waitcnt vmcnt(11)
	v_mov_b32_e32 v22, v61
	v_fmac_f32_e32 v55, v49, v115
	v_mul_f32_e32 v63, v50, v118
	s_waitcnt lgkmcnt(3)
	v_pk_mul_f32 v[22:23], v[4:5], v[22:23] op_sel_hi:[1,0]
	v_fmac_f32_e32 v63, v51, v117
	v_pk_add_f32 v[20:21], v[52:53], v[54:55]
	s_waitcnt vmcnt(10)
	v_pk_fma_f32 v[24:25], v[4:5], v[60:61], v[22:23] op_sel:[0,0,1] op_sel_hi:[1,1,0] neg_lo:[0,0,1] neg_hi:[0,0,1]
	v_pk_fma_f32 v[4:5], v[4:5], v[60:61], v[22:23] op_sel:[0,0,1] op_sel_hi:[1,0,0]
	v_pk_add_f32 v[20:21], v[20:21], v[62:63]
	v_mov_b32_e32 v25, v5
	v_pk_add_f32 v[4:5], v[20:21], v[24:25]
	v_mov_b32_e32 v20, v59
	v_pk_mul_f32 v[20:21], v[6:7], v[20:21] op_sel_hi:[1,0]
	v_pk_fma_f32 v[22:23], v[6:7], v[58:59], v[20:21] op_sel:[0,0,1] op_sel_hi:[1,1,0] neg_lo:[0,0,1] neg_hi:[0,0,1]
	v_pk_fma_f32 v[6:7], v[6:7], v[58:59], v[20:21] op_sel:[0,0,1] op_sel_hi:[1,0,0]
	v_mov_b32_e32 v6, v57
	v_mov_b32_e32 v23, v7
	s_waitcnt lgkmcnt(2)
	v_pk_mul_f32 v[6:7], v[8:9], v[6:7] op_sel_hi:[1,0]
	v_pk_fma_f32 v[20:21], v[8:9], v[56:57], v[6:7] op_sel:[0,0,1] op_sel_hi:[1,1,0] neg_lo:[0,0,1] neg_hi:[0,0,1]
	v_pk_fma_f32 v[6:7], v[8:9], v[56:57], v[6:7] op_sel:[0,0,1] op_sel_hi:[1,0,0]
	s_waitcnt vmcnt(3)
	v_mov_b32_e32 v6, v71
	v_mov_b32_e32 v21, v7
	v_pk_mul_f32 v[6:7], v[10:11], v[6:7] op_sel_hi:[1,0]
	s_waitcnt vmcnt(2)
	v_pk_fma_f32 v[8:9], v[10:11], v[70:71], v[6:7] op_sel:[0,0,1] op_sel_hi:[1,1,0] neg_lo:[0,0,1] neg_hi:[0,0,1]
	v_pk_fma_f32 v[6:7], v[10:11], v[70:71], v[6:7] op_sel:[0,0,1] op_sel_hi:[1,0,0]
	v_pk_add_f32 v[4:5], v[4:5], v[22:23]
	v_mov_b32_e32 v6, v69
	v_pk_add_f32 v[4:5], v[4:5], v[20:21]
	v_mov_b32_e32 v9, v7
	s_waitcnt lgkmcnt(1)
	v_pk_mul_f32 v[6:7], v[12:13], v[6:7] op_sel_hi:[1,0]
	v_pk_add_f32 v[4:5], v[4:5], v[8:9]
	v_pk_fma_f32 v[8:9], v[12:13], v[68:69], v[6:7] op_sel:[0,0,1] op_sel_hi:[1,1,0] neg_lo:[0,0,1] neg_hi:[0,0,1]
	v_pk_fma_f32 v[6:7], v[12:13], v[68:69], v[6:7] op_sel:[0,0,1] op_sel_hi:[1,0,0]
	v_mov_b32_e32 v6, v67
	v_mov_b32_e32 v9, v7
	v_pk_mul_f32 v[6:7], v[14:15], v[6:7] op_sel_hi:[1,0]
	v_pk_add_f32 v[4:5], v[4:5], v[8:9]
	v_pk_fma_f32 v[8:9], v[14:15], v[66:67], v[6:7] op_sel:[0,0,1] op_sel_hi:[1,1,0] neg_lo:[0,0,1] neg_hi:[0,0,1]
	v_pk_fma_f32 v[6:7], v[14:15], v[66:67], v[6:7] op_sel:[0,0,1] op_sel_hi:[1,0,0]
	v_mov_b32_e32 v6, v65
	v_mov_b32_e32 v9, v7
	s_waitcnt lgkmcnt(0)
	v_pk_mul_f32 v[6:7], v[16:17], v[6:7] op_sel_hi:[1,0]
	v_pk_add_f32 v[4:5], v[4:5], v[8:9]
	v_pk_fma_f32 v[8:9], v[16:17], v[64:65], v[6:7] op_sel:[0,0,1] op_sel_hi:[1,1,0] neg_lo:[0,0,1] neg_hi:[0,0,1]
	v_pk_fma_f32 v[6:7], v[16:17], v[64:65], v[6:7] op_sel:[0,0,1] op_sel_hi:[1,0,0]
	s_waitcnt vmcnt(1)
	v_mov_b32_e32 v6, v73
	v_mov_b32_e32 v9, v7
	v_pk_mul_f32 v[6:7], v[18:19], v[6:7] op_sel_hi:[1,0]
	v_pk_add_f32 v[4:5], v[4:5], v[8:9]
	s_waitcnt vmcnt(0)
	v_pk_fma_f32 v[8:9], v[18:19], v[72:73], v[6:7] op_sel:[0,0,1] op_sel_hi:[1,1,0] neg_lo:[0,0,1] neg_hi:[0,0,1]
	v_pk_fma_f32 v[6:7], v[18:19], v[72:73], v[6:7] op_sel:[0,0,1] op_sel_hi:[1,0,0]
	v_mov_b32_e32 v9, v7
	v_pk_add_f32 v[4:5], v[4:5], v[8:9]
	v_pk_add_f32 v[2:3], v[2:3], v[4:5] neg_lo:[0,1] neg_hi:[0,1]
	buffer_store_dword v3, off, s[0:3], 0 offset:252
	buffer_store_dword v2, off, s[0:3], 0 offset:248
	s_and_saveexec_b64 s[4:5], vcc
	s_cbranch_execz .LBB127_337
; %bb.336:
	buffer_load_dword v2, off, s[0:3], 0 offset:240
	buffer_load_dword v3, off, s[0:3], 0 offset:244
	v_mov_b32_e32 v1, 0
	buffer_store_dword v1, off, s[0:3], 0 offset:240
	buffer_store_dword v1, off, s[0:3], 0 offset:244
	s_waitcnt vmcnt(2)
	ds_write_b64 v223, v[2:3]
.LBB127_337:
	s_or_b64 exec, exec, s[4:5]
	s_waitcnt lgkmcnt(0)
	; wave barrier
	s_waitcnt lgkmcnt(0)
	buffer_load_dword v12, off, s[0:3], 0 offset:252
	buffer_load_dword v14, off, s[0:3], 0 offset:260
	buffer_load_dword v10, off, s[0:3], 0 offset:268
	buffer_load_dword v30, off, s[0:3], 0 offset:276
	buffer_load_dword v31, off, s[0:3], 0 offset:284
	buffer_load_dword v32, off, s[0:3], 0 offset:292
	buffer_load_dword v33, off, s[0:3], 0 offset:300
	buffer_load_dword v34, off, s[0:3], 0 offset:308
	buffer_load_dword v35, off, s[0:3], 0 offset:316
	buffer_load_dword v84, off, s[0:3], 0 offset:324
	buffer_load_dword v85, off, s[0:3], 0 offset:332
	buffer_load_dword v86, off, s[0:3], 0 offset:248
	buffer_load_dword v87, off, s[0:3], 0 offset:256
	buffer_load_dword v88, off, s[0:3], 0 offset:264
	buffer_load_dword v89, off, s[0:3], 0 offset:272
	buffer_load_dword v90, off, s[0:3], 0 offset:280
	buffer_load_dword v91, off, s[0:3], 0 offset:288
	buffer_load_dword v92, off, s[0:3], 0 offset:296
	buffer_load_dword v93, off, s[0:3], 0 offset:304
	buffer_load_dword v94, off, s[0:3], 0 offset:312
	buffer_load_dword v95, off, s[0:3], 0 offset:320
	buffer_load_dword v96, off, s[0:3], 0 offset:328
	buffer_load_dword v97, off, s[0:3], 0 offset:340
	buffer_load_dword v98, off, s[0:3], 0 offset:336
	buffer_load_dword v99, off, s[0:3], 0 offset:348
	buffer_load_dword v100, off, s[0:3], 0 offset:344
	buffer_load_dword v101, off, s[0:3], 0 offset:356
	buffer_load_dword v102, off, s[0:3], 0 offset:352
	buffer_load_dword v103, off, s[0:3], 0 offset:364
	buffer_load_dword v104, off, s[0:3], 0 offset:360
	buffer_load_dword v105, off, s[0:3], 0 offset:372
	buffer_load_dword v106, off, s[0:3], 0 offset:368
	buffer_load_dword v107, off, s[0:3], 0 offset:380
	buffer_load_dword v108, off, s[0:3], 0 offset:376
	buffer_load_dword v109, off, s[0:3], 0 offset:388
	buffer_load_dword v110, off, s[0:3], 0 offset:384
	buffer_load_dword v111, off, s[0:3], 0 offset:396
	buffer_load_dword v112, off, s[0:3], 0 offset:392
	buffer_load_dword v6, off, s[0:3], 0 offset:240
	buffer_load_dword v7, off, s[0:3], 0 offset:244
	buffer_load_dword v113, off, s[0:3], 0 offset:404
	buffer_load_dword v114, off, s[0:3], 0 offset:400
	buffer_load_dword v115, off, s[0:3], 0 offset:408
	buffer_load_dword v116, off, s[0:3], 0 offset:412
	buffer_load_dword v117, off, s[0:3], 0 offset:416
	buffer_load_dword v118, off, s[0:3], 0 offset:420
	buffer_load_dword v119, off, s[0:3], 0 offset:424
	buffer_load_dword v120, off, s[0:3], 0 offset:428
	buffer_load_dword v121, off, s[0:3], 0 offset:432
	buffer_load_dword v122, off, s[0:3], 0 offset:436
	buffer_load_dword v123, off, s[0:3], 0 offset:440
	buffer_load_dword v124, off, s[0:3], 0 offset:444
	v_mov_b32_e32 v1, 0
	ds_read2_b64 v[36:39], v1 offset0:95 offset1:96
	ds_read2_b64 v[40:43], v1 offset0:97 offset1:98
	;; [unrolled: 1-line block ×12, first 2 shown]
	v_cmp_lt_u32_e32 vcc, 29, v0
	s_waitcnt vmcnt(51) lgkmcnt(11)
	v_mul_f32_e32 v2, v36, v12
	s_waitcnt vmcnt(50)
	v_mul_f32_e32 v3, v38, v14
	s_waitcnt vmcnt(49) lgkmcnt(10)
	v_mul_f32_e32 v4, v40, v10
	s_waitcnt vmcnt(48)
	v_mul_f32_e32 v5, v42, v30
	;; [unrolled: 4-line block ×5, first 2 shown]
	s_waitcnt vmcnt(41) lgkmcnt(6)
	v_mul_f32_e32 v17, v56, v85
	s_waitcnt vmcnt(40)
	v_fmac_f32_e32 v2, v37, v86
	s_waitcnt vmcnt(39)
	v_fmac_f32_e32 v3, v39, v87
	v_add_f32_e32 v2, 0, v2
	s_waitcnt vmcnt(38)
	v_fmac_f32_e32 v4, v41, v88
	v_add_f32_e32 v2, v2, v3
	;; [unrolled: 3-line block ×9, first 2 shown]
	v_add_f32_e32 v2, v2, v16
	s_waitcnt vmcnt(30)
	v_fmac_f32_e32 v17, v57, v96
	s_waitcnt vmcnt(29)
	v_mul_f32_e32 v3, v58, v97
	v_add_f32_e32 v2, v2, v17
	s_waitcnt vmcnt(28)
	v_fmac_f32_e32 v3, v59, v98
	v_add_f32_e32 v2, v2, v3
	s_waitcnt vmcnt(27) lgkmcnt(5)
	v_mul_f32_e32 v3, v60, v99
	s_waitcnt vmcnt(26)
	v_fmac_f32_e32 v3, v61, v100
	v_add_f32_e32 v2, v2, v3
	s_waitcnt vmcnt(25)
	v_mul_f32_e32 v3, v62, v101
	s_waitcnt vmcnt(24)
	v_fmac_f32_e32 v3, v63, v102
	v_add_f32_e32 v2, v2, v3
	s_waitcnt vmcnt(23) lgkmcnt(4)
	v_mul_f32_e32 v3, v64, v103
	s_waitcnt vmcnt(22)
	v_fmac_f32_e32 v3, v65, v104
	v_add_f32_e32 v2, v2, v3
	s_waitcnt vmcnt(21)
	v_mul_f32_e32 v3, v66, v105
	;; [unrolled: 10-line block ×4, first 2 shown]
	s_waitcnt vmcnt(10)
	v_fmac_f32_e32 v3, v75, v114
	v_add_f32_e32 v2, v2, v3
	s_waitcnt vmcnt(8) lgkmcnt(1)
	v_mul_f32_e32 v3, v76, v116
	v_fmac_f32_e32 v3, v77, v115
	v_add_f32_e32 v2, v2, v3
	s_waitcnt vmcnt(6)
	v_mul_f32_e32 v3, v78, v118
	v_fmac_f32_e32 v3, v79, v117
	s_waitcnt vmcnt(4) lgkmcnt(0)
	v_mul_f32_e32 v9, v80, v120
	v_add_f32_e32 v8, v2, v3
	v_fmac_f32_e32 v9, v81, v119
	ds_read2_b64 v[2:5], v1 offset0:119 offset1:120
	v_add_f32_e32 v13, v8, v9
	buffer_load_dword v9, off, s[0:3], 0 offset:452
	buffer_load_dword v8, off, s[0:3], 0 offset:448
	;; [unrolled: 1-line block ×16, first 2 shown]
	v_mul_f32_e32 v12, v37, v12
	v_fma_f32 v12, v36, v86, -v12
	v_mul_f32_e32 v14, v39, v14
	v_add_f32_e32 v12, 0, v12
	v_fma_f32 v14, v38, v87, -v14
	v_mul_f32_e32 v10, v41, v10
	v_add_f32_e32 v12, v12, v14
	v_fma_f32 v10, v40, v88, -v10
	v_add_f32_e32 v10, v12, v10
	v_mul_f32_e32 v12, v43, v30
	v_fma_f32 v12, v42, v89, -v12
	v_add_f32_e32 v10, v10, v12
	v_mul_f32_e32 v12, v45, v31
	;; [unrolled: 3-line block ×20, first 2 shown]
	v_fma_f32 v12, v80, v119, -v12
	s_waitcnt vmcnt(18)
	v_mul_f32_e32 v15, v82, v122
	s_waitcnt vmcnt(16) lgkmcnt(0)
	v_mul_f32_e32 v11, v2, v124
	v_add_f32_e32 v12, v10, v12
	v_mul_f32_e32 v10, v83, v122
	v_fmac_f32_e32 v15, v83, v121
	v_fmac_f32_e32 v11, v3, v123
	v_fma_f32 v14, v82, v121, -v10
	v_mul_f32_e32 v3, v3, v124
	v_fma_f32 v10, v2, v123, -v3
	v_pk_add_f32 v[12:13], v[12:13], v[14:15]
	v_pk_add_f32 v[10:11], v[12:13], v[10:11]
	s_waitcnt vmcnt(15)
	v_mov_b32_e32 v12, v9
	ds_read2_b64 v[30:33], v1 offset0:121 offset1:122
	ds_read2_b64 v[34:37], v1 offset0:123 offset1:124
	;; [unrolled: 1-line block ×3, first 2 shown]
	ds_read_b64 v[2:3], v1 offset:1016
	v_pk_mul_f32 v[12:13], v[4:5], v[12:13] op_sel_hi:[1,0]
	s_waitcnt vmcnt(14)
	v_pk_fma_f32 v[14:15], v[4:5], v[8:9], v[12:13] op_sel:[0,0,1] op_sel_hi:[1,1,0] neg_lo:[0,0,1] neg_hi:[0,0,1]
	v_pk_fma_f32 v[4:5], v[4:5], v[8:9], v[12:13] op_sel:[0,0,1] op_sel_hi:[1,0,0]
	s_waitcnt vmcnt(13)
	v_mov_b32_e32 v8, v29
	v_mov_b32_e32 v15, v5
	s_waitcnt lgkmcnt(3)
	v_pk_mul_f32 v[8:9], v[30:31], v[8:9] op_sel_hi:[1,0]
	v_pk_add_f32 v[4:5], v[10:11], v[14:15]
	s_waitcnt vmcnt(12)
	v_pk_fma_f32 v[10:11], v[30:31], v[28:29], v[8:9] op_sel:[0,0,1] op_sel_hi:[1,1,0] neg_lo:[0,0,1] neg_hi:[0,0,1]
	v_pk_fma_f32 v[8:9], v[30:31], v[28:29], v[8:9] op_sel:[0,0,1] op_sel_hi:[1,0,0]
	s_waitcnt vmcnt(11)
	v_mov_b32_e32 v8, v27
	v_mov_b32_e32 v11, v9
	v_pk_mul_f32 v[8:9], v[32:33], v[8:9] op_sel_hi:[1,0]
	v_pk_add_f32 v[4:5], v[4:5], v[10:11]
	s_waitcnt vmcnt(10)
	v_pk_fma_f32 v[10:11], v[32:33], v[26:27], v[8:9] op_sel:[0,0,1] op_sel_hi:[1,1,0] neg_lo:[0,0,1] neg_hi:[0,0,1]
	v_pk_fma_f32 v[8:9], v[32:33], v[26:27], v[8:9] op_sel:[0,0,1] op_sel_hi:[1,0,0]
	s_waitcnt vmcnt(9)
	v_mov_b32_e32 v8, v25
	v_mov_b32_e32 v11, v9
	s_waitcnt lgkmcnt(2)
	v_pk_mul_f32 v[8:9], v[34:35], v[8:9] op_sel_hi:[1,0]
	v_pk_add_f32 v[4:5], v[4:5], v[10:11]
	s_waitcnt vmcnt(8)
	v_pk_fma_f32 v[10:11], v[34:35], v[24:25], v[8:9] op_sel:[0,0,1] op_sel_hi:[1,1,0] neg_lo:[0,0,1] neg_hi:[0,0,1]
	v_pk_fma_f32 v[8:9], v[34:35], v[24:25], v[8:9] op_sel:[0,0,1] op_sel_hi:[1,0,0]
	s_waitcnt vmcnt(7)
	v_mov_b32_e32 v8, v23
	v_mov_b32_e32 v11, v9
	v_pk_mul_f32 v[8:9], v[36:37], v[8:9] op_sel_hi:[1,0]
	v_pk_add_f32 v[4:5], v[4:5], v[10:11]
	;; [unrolled: 17-line block ×3, first 2 shown]
	s_waitcnt vmcnt(2)
	v_pk_fma_f32 v[10:11], v[40:41], v[18:19], v[8:9] op_sel:[0,0,1] op_sel_hi:[1,1,0] neg_lo:[0,0,1] neg_hi:[0,0,1]
	v_pk_fma_f32 v[8:9], v[40:41], v[18:19], v[8:9] op_sel:[0,0,1] op_sel_hi:[1,0,0]
	s_waitcnt vmcnt(1)
	v_mov_b32_e32 v8, v17
	v_mov_b32_e32 v11, v9
	s_waitcnt lgkmcnt(0)
	v_pk_mul_f32 v[8:9], v[2:3], v[8:9] op_sel_hi:[1,0]
	v_pk_add_f32 v[4:5], v[4:5], v[10:11]
	s_waitcnt vmcnt(0)
	v_pk_fma_f32 v[10:11], v[2:3], v[16:17], v[8:9] op_sel:[0,0,1] op_sel_hi:[1,1,0] neg_lo:[0,0,1] neg_hi:[0,0,1]
	v_pk_fma_f32 v[2:3], v[2:3], v[16:17], v[8:9] op_sel:[0,0,1] op_sel_hi:[1,0,0]
	v_mov_b32_e32 v11, v3
	v_pk_add_f32 v[2:3], v[4:5], v[10:11]
	v_pk_add_f32 v[2:3], v[6:7], v[2:3] neg_lo:[0,1] neg_hi:[0,1]
	buffer_store_dword v3, off, s[0:3], 0 offset:244
	buffer_store_dword v2, off, s[0:3], 0 offset:240
	s_and_saveexec_b64 s[4:5], vcc
	s_cbranch_execz .LBB127_339
; %bb.338:
	buffer_load_dword v2, off, s[0:3], 0 offset:232
	buffer_load_dword v3, off, s[0:3], 0 offset:236
	s_waitcnt vmcnt(0)
	ds_write_b64 v223, v[2:3]
	buffer_store_dword v1, off, s[0:3], 0 offset:232
	buffer_store_dword v1, off, s[0:3], 0 offset:236
.LBB127_339:
	s_or_b64 exec, exec, s[4:5]
	s_waitcnt lgkmcnt(0)
	; wave barrier
	s_waitcnt lgkmcnt(0)
	buffer_load_dword v62, off, s[0:3], 0 offset:244
	buffer_load_dword v64, off, s[0:3], 0 offset:252
	;; [unrolled: 1-line block ×42, first 2 shown]
	ds_read_b128 v[4:7], v1 offset:752
	ds_read_b128 v[8:11], v1 offset:768
	buffer_load_dword v119, off, s[0:3], 0 offset:400
	buffer_load_dword v120, off, s[0:3], 0 offset:404
	ds_read_b128 v[12:15], v1 offset:784
	ds_read_b128 v[16:19], v1 offset:800
	buffer_load_dword v121, off, s[0:3], 0 offset:408
	buffer_load_dword v122, off, s[0:3], 0 offset:412
	;; [unrolled: 1-line block ×4, first 2 shown]
	ds_read_b128 v[20:23], v1 offset:816
	ds_read_b128 v[24:27], v1 offset:832
	buffer_load_dword v125, off, s[0:3], 0 offset:424
	buffer_load_dword v126, off, s[0:3], 0 offset:428
	;; [unrolled: 1-line block ×6, first 2 shown]
	v_cmp_lt_u32_e32 vcc, 28, v0
	s_waitcnt vmcnt(53) lgkmcnt(5)
	v_mul_f32_e32 v28, v4, v62
	s_waitcnt vmcnt(52)
	v_mul_f32_e32 v29, v6, v64
	s_waitcnt vmcnt(51) lgkmcnt(4)
	v_mul_f32_e32 v31, v10, v66
	s_waitcnt vmcnt(50) lgkmcnt(3)
	v_mul_f32_e32 v32, v12, v82
	s_waitcnt vmcnt(49)
	v_mul_f32_e32 v33, v14, v83
	s_waitcnt vmcnt(48)
	v_mul_f32_e32 v30, v8, v84
	s_waitcnt vmcnt(47) lgkmcnt(2)
	v_mul_f32_e32 v34, v16, v85
	s_waitcnt vmcnt(46)
	v_mul_f32_e32 v35, v18, v86
	s_waitcnt vmcnt(45) lgkmcnt(1)
	v_mul_f32_e32 v36, v20, v87
	s_waitcnt vmcnt(44)
	v_mul_f32_e32 v37, v22, v88
	s_waitcnt vmcnt(43)
	v_fmac_f32_e32 v30, v9, v89
	s_waitcnt vmcnt(42)
	v_fmac_f32_e32 v29, v7, v90
	;; [unrolled: 2-line block ×3, first 2 shown]
	v_add_f32_e32 v28, 0, v28
	v_add_f32_e32 v28, v28, v29
	;; [unrolled: 1-line block ×3, first 2 shown]
	s_waitcnt vmcnt(37)
	v_fmac_f32_e32 v31, v11, v95
	v_fmac_f32_e32 v32, v13, v94
	v_add_f32_e32 v28, v28, v31
	v_fmac_f32_e32 v33, v15, v93
	v_add_f32_e32 v28, v28, v32
	;; [unrolled: 2-line block ×3, first 2 shown]
	s_waitcnt vmcnt(33)
	v_fmac_f32_e32 v35, v19, v99
	v_add_f32_e32 v28, v28, v34
	v_fmac_f32_e32 v36, v21, v98
	v_add_f32_e32 v28, v28, v35
	;; [unrolled: 2-line block ×3, first 2 shown]
	s_waitcnt vmcnt(32) lgkmcnt(0)
	v_mul_f32_e32 v29, v24, v100
	v_add_f32_e32 v28, v28, v37
	v_fmac_f32_e32 v29, v25, v96
	v_add_f32_e32 v32, v28, v29
	ds_read_b128 v[28:31], v1 offset:848
	s_waitcnt vmcnt(28)
	v_mul_f32_e32 v33, v26, v104
	s_waitcnt vmcnt(27)
	v_fmac_f32_e32 v33, v27, v105
	v_add_f32_e32 v36, v32, v33
	ds_read_b128 v[32:35], v1 offset:864
	s_waitcnt vmcnt(26) lgkmcnt(1)
	v_mul_f32_e32 v37, v28, v106
	v_fmac_f32_e32 v37, v29, v103
	v_add_f32_e32 v36, v36, v37
	s_waitcnt vmcnt(25)
	v_mul_f32_e32 v37, v30, v107
	v_fmac_f32_e32 v37, v31, v102
	v_add_f32_e32 v36, v36, v37
	s_waitcnt vmcnt(24) lgkmcnt(0)
	v_mul_f32_e32 v37, v32, v108
	v_fmac_f32_e32 v37, v33, v101
	v_add_f32_e32 v40, v36, v37
	ds_read_b128 v[36:39], v1 offset:880
	s_waitcnt vmcnt(19)
	v_mul_f32_e32 v41, v34, v113
	s_waitcnt vmcnt(18)
	v_fmac_f32_e32 v41, v35, v114
	v_add_f32_e32 v44, v40, v41
	ds_read_b128 v[40:43], v1 offset:896
	s_waitcnt vmcnt(17) lgkmcnt(1)
	v_mul_f32_e32 v45, v36, v115
	v_fmac_f32_e32 v45, v37, v112
	v_add_f32_e32 v44, v44, v45
	v_mul_f32_e32 v45, v38, v110
	v_fmac_f32_e32 v45, v39, v109
	v_add_f32_e32 v44, v44, v45
	s_waitcnt vmcnt(16) lgkmcnt(0)
	v_mul_f32_e32 v45, v40, v116
	v_fmac_f32_e32 v45, v41, v111
	v_add_f32_e32 v48, v44, v45
	ds_read_b128 v[44:47], v1 offset:912
	s_waitcnt vmcnt(12)
	v_mul_f32_e32 v49, v42, v118
	v_fmac_f32_e32 v49, v43, v117
	v_add_f32_e32 v52, v48, v49
	ds_read_b128 v[48:51], v1 offset:928
	buffer_load_dword v61, off, s[0:3], 0 offset:452
	buffer_load_dword v60, off, s[0:3], 0 offset:448
	s_waitcnt vmcnt(12) lgkmcnt(1)
	v_mul_f32_e32 v53, v44, v120
	v_fmac_f32_e32 v53, v45, v119
	v_add_f32_e32 v52, v52, v53
	s_waitcnt vmcnt(10)
	v_mul_f32_e32 v53, v46, v122
	v_fmac_f32_e32 v53, v47, v121
	v_add_f32_e32 v52, v52, v53
	s_waitcnt vmcnt(8) lgkmcnt(0)
	v_mul_f32_e32 v53, v48, v124
	v_fmac_f32_e32 v53, v49, v123
	s_waitcnt vmcnt(6)
	v_mul_f32_e32 v57, v50, v126
	v_add_f32_e32 v56, v52, v53
	v_fmac_f32_e32 v57, v51, v125
	ds_read_b128 v[52:55], v1 offset:944
	v_add_f32_e32 v63, v56, v57
	ds_read_b128 v[56:59], v1 offset:960
	buffer_load_dword v69, off, s[0:3], 0 offset:484
	buffer_load_dword v68, off, s[0:3], 0 offset:480
	;; [unrolled: 1-line block ×14, first 2 shown]
	v_mul_f32_e32 v5, v5, v62
	v_fma_f32 v4, v4, v91, -v5
	v_mul_f32_e32 v5, v7, v64
	v_add_f32_e32 v4, 0, v4
	v_fma_f32 v5, v6, v90, -v5
	v_add_f32_e32 v4, v4, v5
	v_mul_f32_e32 v5, v9, v84
	v_fma_f32 v5, v8, v89, -v5
	v_add_f32_e32 v4, v4, v5
	v_mul_f32_e32 v5, v11, v66
	;; [unrolled: 3-line block ×22, first 2 shown]
	v_fma_f32 v5, v50, v125, -v5
	s_waitcnt vmcnt(15)
	v_mov_b32_e32 v18, v61
	s_waitcnt lgkmcnt(1)
	v_mul_f32_e32 v65, v52, v128
	v_add_f32_e32 v62, v4, v5
	v_mul_f32_e32 v4, v53, v128
	s_waitcnt lgkmcnt(0)
	v_pk_mul_f32 v[18:19], v[56:57], v[18:19] op_sel_hi:[1,0]
	v_fmac_f32_e32 v65, v53, v127
	v_mul_f32_e32 v67, v54, v130
	v_fma_f32 v64, v52, v127, -v4
	v_mul_f32_e32 v4, v55, v130
	s_waitcnt vmcnt(14)
	v_pk_fma_f32 v[20:21], v[56:57], v[60:61], v[18:19] op_sel:[0,0,1] op_sel_hi:[1,1,0] neg_lo:[0,0,1] neg_hi:[0,0,1]
	v_pk_fma_f32 v[18:19], v[56:57], v[60:61], v[18:19] op_sel:[0,0,1] op_sel_hi:[1,0,0]
	v_fmac_f32_e32 v67, v55, v129
	v_fma_f32 v66, v54, v129, -v4
	v_pk_add_f32 v[16:17], v[62:63], v[64:65]
	s_waitcnt vmcnt(7)
	v_mov_b32_e32 v18, v75
	ds_read_b128 v[4:7], v1 offset:976
	ds_read_b128 v[8:11], v1 offset:992
	;; [unrolled: 1-line block ×3, first 2 shown]
	v_pk_add_f32 v[16:17], v[16:17], v[66:67]
	v_mov_b32_e32 v21, v19
	v_pk_mul_f32 v[18:19], v[58:59], v[18:19] op_sel_hi:[1,0]
	v_pk_add_f32 v[16:17], v[16:17], v[20:21]
	s_waitcnt vmcnt(6)
	v_pk_fma_f32 v[20:21], v[58:59], v[74:75], v[18:19] op_sel:[0,0,1] op_sel_hi:[1,1,0] neg_lo:[0,0,1] neg_hi:[0,0,1]
	v_pk_fma_f32 v[18:19], v[58:59], v[74:75], v[18:19] op_sel:[0,0,1] op_sel_hi:[1,0,0]
	v_mov_b32_e32 v18, v73
	v_mov_b32_e32 v21, v19
	s_waitcnt lgkmcnt(2)
	v_pk_mul_f32 v[18:19], v[4:5], v[18:19] op_sel_hi:[1,0]
	v_pk_add_f32 v[16:17], v[16:17], v[20:21]
	v_pk_fma_f32 v[20:21], v[4:5], v[72:73], v[18:19] op_sel:[0,0,1] op_sel_hi:[1,1,0] neg_lo:[0,0,1] neg_hi:[0,0,1]
	v_pk_fma_f32 v[4:5], v[4:5], v[72:73], v[18:19] op_sel:[0,0,1] op_sel_hi:[1,0,0]
	v_mov_b32_e32 v21, v5
	v_pk_add_f32 v[4:5], v[16:17], v[20:21]
	v_mov_b32_e32 v16, v71
	v_pk_mul_f32 v[16:17], v[6:7], v[16:17] op_sel_hi:[1,0]
	v_pk_fma_f32 v[18:19], v[6:7], v[70:71], v[16:17] op_sel:[0,0,1] op_sel_hi:[1,1,0] neg_lo:[0,0,1] neg_hi:[0,0,1]
	v_pk_fma_f32 v[6:7], v[6:7], v[70:71], v[16:17] op_sel:[0,0,1] op_sel_hi:[1,0,0]
	v_mov_b32_e32 v6, v69
	v_mov_b32_e32 v19, v7
	s_waitcnt lgkmcnt(1)
	v_pk_mul_f32 v[6:7], v[8:9], v[6:7] op_sel_hi:[1,0]
	v_pk_fma_f32 v[16:17], v[8:9], v[68:69], v[6:7] op_sel:[0,0,1] op_sel_hi:[1,1,0] neg_lo:[0,0,1] neg_hi:[0,0,1]
	v_pk_fma_f32 v[6:7], v[8:9], v[68:69], v[6:7] op_sel:[0,0,1] op_sel_hi:[1,0,0]
	s_waitcnt vmcnt(1)
	v_mov_b32_e32 v6, v81
	v_mov_b32_e32 v17, v7
	v_pk_mul_f32 v[6:7], v[10:11], v[6:7] op_sel_hi:[1,0]
	s_waitcnt vmcnt(0)
	v_pk_fma_f32 v[8:9], v[10:11], v[80:81], v[6:7] op_sel:[0,0,1] op_sel_hi:[1,1,0] neg_lo:[0,0,1] neg_hi:[0,0,1]
	v_pk_fma_f32 v[6:7], v[10:11], v[80:81], v[6:7] op_sel:[0,0,1] op_sel_hi:[1,0,0]
	v_pk_add_f32 v[4:5], v[4:5], v[18:19]
	v_mov_b32_e32 v6, v79
	v_pk_add_f32 v[4:5], v[4:5], v[16:17]
	v_mov_b32_e32 v9, v7
	s_waitcnt lgkmcnt(0)
	v_pk_mul_f32 v[6:7], v[12:13], v[6:7] op_sel_hi:[1,0]
	v_pk_add_f32 v[4:5], v[4:5], v[8:9]
	v_pk_fma_f32 v[8:9], v[12:13], v[78:79], v[6:7] op_sel:[0,0,1] op_sel_hi:[1,1,0] neg_lo:[0,0,1] neg_hi:[0,0,1]
	v_pk_fma_f32 v[6:7], v[12:13], v[78:79], v[6:7] op_sel:[0,0,1] op_sel_hi:[1,0,0]
	v_mov_b32_e32 v6, v77
	v_mov_b32_e32 v9, v7
	v_pk_mul_f32 v[6:7], v[14:15], v[6:7] op_sel_hi:[1,0]
	v_pk_add_f32 v[4:5], v[4:5], v[8:9]
	v_pk_fma_f32 v[8:9], v[14:15], v[76:77], v[6:7] op_sel:[0,0,1] op_sel_hi:[1,1,0] neg_lo:[0,0,1] neg_hi:[0,0,1]
	v_pk_fma_f32 v[6:7], v[14:15], v[76:77], v[6:7] op_sel:[0,0,1] op_sel_hi:[1,0,0]
	v_mov_b32_e32 v9, v7
	v_pk_add_f32 v[4:5], v[4:5], v[8:9]
	v_pk_add_f32 v[2:3], v[2:3], v[4:5] neg_lo:[0,1] neg_hi:[0,1]
	buffer_store_dword v3, off, s[0:3], 0 offset:236
	buffer_store_dword v2, off, s[0:3], 0 offset:232
	s_and_saveexec_b64 s[4:5], vcc
	s_cbranch_execz .LBB127_341
; %bb.340:
	buffer_load_dword v2, off, s[0:3], 0 offset:224
	buffer_load_dword v3, off, s[0:3], 0 offset:228
	v_mov_b32_e32 v1, 0
	buffer_store_dword v1, off, s[0:3], 0 offset:224
	buffer_store_dword v1, off, s[0:3], 0 offset:228
	s_waitcnt vmcnt(2)
	ds_write_b64 v223, v[2:3]
.LBB127_341:
	s_or_b64 exec, exec, s[4:5]
	s_waitcnt lgkmcnt(0)
	; wave barrier
	s_waitcnt lgkmcnt(0)
	buffer_load_dword v60, off, s[0:3], 0 offset:236
	buffer_load_dword v62, off, s[0:3], 0 offset:244
	;; [unrolled: 1-line block ×56, first 2 shown]
	v_mov_b32_e32 v1, 0
	ds_read2_b64 v[4:7], v1 offset0:93 offset1:94
	ds_read2_b64 v[8:11], v1 offset0:95 offset1:96
	;; [unrolled: 1-line block ×6, first 2 shown]
	v_cmp_lt_u32_e32 vcc, 27, v0
	s_waitcnt vmcnt(55) lgkmcnt(5)
	v_mul_f32_e32 v28, v4, v60
	s_waitcnt vmcnt(54)
	v_mul_f32_e32 v29, v6, v62
	s_waitcnt vmcnt(53) lgkmcnt(4)
	v_mul_f32_e32 v31, v10, v64
	s_waitcnt vmcnt(52) lgkmcnt(3)
	v_mul_f32_e32 v32, v12, v82
	s_waitcnt vmcnt(51)
	v_mul_f32_e32 v33, v14, v83
	s_waitcnt vmcnt(50)
	v_mul_f32_e32 v30, v8, v84
	s_waitcnt vmcnt(49) lgkmcnt(2)
	v_mul_f32_e32 v34, v16, v85
	s_waitcnt vmcnt(48)
	v_mul_f32_e32 v35, v18, v86
	s_waitcnt vmcnt(47) lgkmcnt(1)
	v_mul_f32_e32 v36, v20, v87
	s_waitcnt vmcnt(46)
	v_fmac_f32_e32 v30, v9, v88
	s_waitcnt vmcnt(45)
	v_fmac_f32_e32 v29, v7, v89
	;; [unrolled: 2-line block ×3, first 2 shown]
	v_add_f32_e32 v28, 0, v28
	v_add_f32_e32 v28, v28, v29
	;; [unrolled: 1-line block ×3, first 2 shown]
	s_waitcnt vmcnt(40)
	v_fmac_f32_e32 v31, v11, v94
	v_fmac_f32_e32 v32, v13, v93
	v_add_f32_e32 v28, v28, v31
	v_fmac_f32_e32 v33, v15, v92
	v_add_f32_e32 v28, v28, v32
	v_fmac_f32_e32 v34, v17, v91
	v_add_f32_e32 v28, v28, v33
	s_waitcnt vmcnt(36)
	v_fmac_f32_e32 v35, v19, v98
	v_add_f32_e32 v28, v28, v34
	v_add_f32_e32 v28, v28, v35
	v_fmac_f32_e32 v36, v21, v97
	s_waitcnt vmcnt(35)
	v_mul_f32_e32 v29, v22, v99
	v_add_f32_e32 v28, v28, v36
	v_fmac_f32_e32 v29, v23, v96
	v_add_f32_e32 v28, v28, v29
	s_waitcnt vmcnt(34) lgkmcnt(0)
	v_mul_f32_e32 v29, v24, v100
	v_fmac_f32_e32 v29, v25, v95
	v_add_f32_e32 v32, v28, v29
	ds_read2_b64 v[28:31], v1 offset0:105 offset1:106
	s_waitcnt vmcnt(30)
	v_mul_f32_e32 v33, v26, v104
	s_waitcnt vmcnt(29)
	v_fmac_f32_e32 v33, v27, v105
	v_add_f32_e32 v36, v32, v33
	ds_read2_b64 v[32:35], v1 offset0:107 offset1:108
	s_waitcnt vmcnt(28) lgkmcnt(1)
	v_mul_f32_e32 v37, v28, v106
	v_fmac_f32_e32 v37, v29, v103
	v_add_f32_e32 v36, v36, v37
	s_waitcnt vmcnt(27)
	v_mul_f32_e32 v37, v30, v107
	v_fmac_f32_e32 v37, v31, v102
	v_add_f32_e32 v36, v36, v37
	s_waitcnt vmcnt(26) lgkmcnt(0)
	v_mul_f32_e32 v37, v32, v108
	v_fmac_f32_e32 v37, v33, v101
	v_add_f32_e32 v40, v36, v37
	ds_read2_b64 v[36:39], v1 offset0:109 offset1:110
	s_waitcnt vmcnt(24)
	v_mul_f32_e32 v41, v34, v110
	v_fmac_f32_e32 v41, v35, v109
	v_add_f32_e32 v44, v40, v41
	ds_read2_b64 v[40:43], v1 offset0:111 offset1:112
	s_waitcnt vmcnt(20) lgkmcnt(1)
	v_mul_f32_e32 v45, v36, v112
	v_fmac_f32_e32 v45, v37, v111
	v_add_f32_e32 v44, v44, v45
	s_waitcnt vmcnt(18)
	v_mul_f32_e32 v45, v38, v114
	v_fmac_f32_e32 v45, v39, v113
	v_add_f32_e32 v44, v44, v45
	s_waitcnt vmcnt(16) lgkmcnt(0)
	v_mul_f32_e32 v45, v40, v116
	v_fmac_f32_e32 v45, v41, v115
	v_add_f32_e32 v48, v44, v45
	ds_read2_b64 v[44:47], v1 offset0:113 offset1:114
	s_waitcnt vmcnt(14)
	v_mul_f32_e32 v49, v42, v118
	v_fmac_f32_e32 v49, v43, v117
	v_add_f32_e32 v52, v48, v49
	ds_read2_b64 v[48:51], v1 offset0:115 offset1:116
	s_waitcnt vmcnt(12) lgkmcnt(1)
	v_mul_f32_e32 v53, v44, v120
	v_fmac_f32_e32 v53, v45, v119
	v_add_f32_e32 v52, v52, v53
	s_waitcnt vmcnt(10)
	v_mul_f32_e32 v53, v46, v122
	v_fmac_f32_e32 v53, v47, v121
	v_add_f32_e32 v52, v52, v53
	s_waitcnt vmcnt(8) lgkmcnt(0)
	v_mul_f32_e32 v53, v48, v124
	v_fmac_f32_e32 v53, v49, v123
	s_waitcnt vmcnt(6)
	v_mul_f32_e32 v57, v50, v126
	v_add_f32_e32 v56, v52, v53
	v_fmac_f32_e32 v57, v51, v125
	ds_read2_b64 v[52:55], v1 offset0:117 offset1:118
	v_add_f32_e32 v61, v56, v57
	ds_read2_b64 v[56:59], v1 offset0:119 offset1:120
	buffer_load_dword v67, off, s[0:3], 0 offset:476
	buffer_load_dword v66, off, s[0:3], 0 offset:472
	buffer_load_dword v69, off, s[0:3], 0 offset:468
	buffer_load_dword v68, off, s[0:3], 0 offset:464
	buffer_load_dword v71, off, s[0:3], 0 offset:460
	buffer_load_dword v70, off, s[0:3], 0 offset:456
	buffer_load_dword v73, off, s[0:3], 0 offset:452
	buffer_load_dword v72, off, s[0:3], 0 offset:448
	buffer_load_dword v75, off, s[0:3], 0 offset:508
	buffer_load_dword v74, off, s[0:3], 0 offset:504
	buffer_load_dword v77, off, s[0:3], 0 offset:500
	buffer_load_dword v76, off, s[0:3], 0 offset:496
	buffer_load_dword v79, off, s[0:3], 0 offset:492
	buffer_load_dword v78, off, s[0:3], 0 offset:488
	buffer_load_dword v81, off, s[0:3], 0 offset:484
	buffer_load_dword v80, off, s[0:3], 0 offset:480
	v_mul_f32_e32 v5, v5, v60
	v_fma_f32 v4, v4, v90, -v5
	v_mul_f32_e32 v5, v7, v62
	v_add_f32_e32 v4, 0, v4
	v_fma_f32 v5, v6, v89, -v5
	v_add_f32_e32 v4, v4, v5
	v_mul_f32_e32 v5, v9, v84
	v_fma_f32 v5, v8, v88, -v5
	v_add_f32_e32 v4, v4, v5
	v_mul_f32_e32 v5, v11, v64
	;; [unrolled: 3-line block ×22, first 2 shown]
	v_fma_f32 v5, v50, v125, -v5
	v_add_f32_e32 v4, v4, v5
	s_waitcnt vmcnt(20) lgkmcnt(1)
	v_mul_f32_e32 v5, v53, v128
	v_mul_f32_e32 v63, v52, v128
	v_fma_f32 v5, v52, v127, -v5
	v_fmac_f32_e32 v63, v53, v127
	v_add_f32_e32 v60, v4, v5
	s_waitcnt vmcnt(18)
	v_mul_f32_e32 v4, v55, v130
	s_waitcnt vmcnt(9)
	v_mov_b32_e32 v20, v73
	v_add_f32_e32 v61, v61, v63
	v_mul_f32_e32 v63, v54, v130
	v_fma_f32 v62, v54, v129, -v4
	s_waitcnt lgkmcnt(0)
	v_mul_f32_e32 v4, v57, v132
	v_pk_mul_f32 v[20:21], v[58:59], v[20:21] op_sel_hi:[1,0]
	v_fmac_f32_e32 v63, v55, v129
	v_mul_f32_e32 v65, v56, v132
	v_fma_f32 v64, v56, v131, -v4
	ds_read2_b64 v[4:7], v1 offset0:121 offset1:122
	ds_read2_b64 v[8:11], v1 offset0:123 offset1:124
	;; [unrolled: 1-line block ×3, first 2 shown]
	ds_read_b64 v[16:17], v1 offset:1016
	s_waitcnt vmcnt(8)
	v_pk_fma_f32 v[22:23], v[58:59], v[72:73], v[20:21] op_sel:[0,0,1] op_sel_hi:[1,1,0] neg_lo:[0,0,1] neg_hi:[0,0,1]
	v_pk_fma_f32 v[20:21], v[58:59], v[72:73], v[20:21] op_sel:[0,0,1] op_sel_hi:[1,0,0]
	v_fmac_f32_e32 v65, v57, v131
	v_pk_add_f32 v[18:19], v[60:61], v[62:63]
	v_mov_b32_e32 v20, v71
	v_pk_add_f32 v[18:19], v[18:19], v[64:65]
	v_mov_b32_e32 v23, v21
	s_waitcnt lgkmcnt(3)
	v_pk_mul_f32 v[20:21], v[4:5], v[20:21] op_sel_hi:[1,0]
	v_pk_add_f32 v[18:19], v[18:19], v[22:23]
	v_pk_fma_f32 v[22:23], v[4:5], v[70:71], v[20:21] op_sel:[0,0,1] op_sel_hi:[1,1,0] neg_lo:[0,0,1] neg_hi:[0,0,1]
	v_pk_fma_f32 v[4:5], v[4:5], v[70:71], v[20:21] op_sel:[0,0,1] op_sel_hi:[1,0,0]
	v_mov_b32_e32 v23, v5
	v_pk_add_f32 v[4:5], v[18:19], v[22:23]
	v_mov_b32_e32 v18, v69
	v_pk_mul_f32 v[18:19], v[6:7], v[18:19] op_sel_hi:[1,0]
	v_pk_fma_f32 v[20:21], v[6:7], v[68:69], v[18:19] op_sel:[0,0,1] op_sel_hi:[1,1,0] neg_lo:[0,0,1] neg_hi:[0,0,1]
	v_pk_fma_f32 v[6:7], v[6:7], v[68:69], v[18:19] op_sel:[0,0,1] op_sel_hi:[1,0,0]
	v_mov_b32_e32 v6, v67
	v_mov_b32_e32 v21, v7
	s_waitcnt lgkmcnt(2)
	v_pk_mul_f32 v[6:7], v[8:9], v[6:7] op_sel_hi:[1,0]
	v_pk_fma_f32 v[18:19], v[8:9], v[66:67], v[6:7] op_sel:[0,0,1] op_sel_hi:[1,1,0] neg_lo:[0,0,1] neg_hi:[0,0,1]
	v_pk_fma_f32 v[6:7], v[8:9], v[66:67], v[6:7] op_sel:[0,0,1] op_sel_hi:[1,0,0]
	s_waitcnt vmcnt(1)
	v_mov_b32_e32 v6, v81
	v_mov_b32_e32 v19, v7
	v_pk_mul_f32 v[6:7], v[10:11], v[6:7] op_sel_hi:[1,0]
	s_waitcnt vmcnt(0)
	v_pk_fma_f32 v[8:9], v[10:11], v[80:81], v[6:7] op_sel:[0,0,1] op_sel_hi:[1,1,0] neg_lo:[0,0,1] neg_hi:[0,0,1]
	v_pk_fma_f32 v[6:7], v[10:11], v[80:81], v[6:7] op_sel:[0,0,1] op_sel_hi:[1,0,0]
	v_pk_add_f32 v[4:5], v[4:5], v[20:21]
	v_mov_b32_e32 v6, v79
	v_pk_add_f32 v[4:5], v[4:5], v[18:19]
	v_mov_b32_e32 v9, v7
	s_waitcnt lgkmcnt(1)
	v_pk_mul_f32 v[6:7], v[12:13], v[6:7] op_sel_hi:[1,0]
	v_pk_add_f32 v[4:5], v[4:5], v[8:9]
	v_pk_fma_f32 v[8:9], v[12:13], v[78:79], v[6:7] op_sel:[0,0,1] op_sel_hi:[1,1,0] neg_lo:[0,0,1] neg_hi:[0,0,1]
	v_pk_fma_f32 v[6:7], v[12:13], v[78:79], v[6:7] op_sel:[0,0,1] op_sel_hi:[1,0,0]
	v_mov_b32_e32 v6, v77
	v_mov_b32_e32 v9, v7
	v_pk_mul_f32 v[6:7], v[14:15], v[6:7] op_sel_hi:[1,0]
	v_pk_add_f32 v[4:5], v[4:5], v[8:9]
	v_pk_fma_f32 v[8:9], v[14:15], v[76:77], v[6:7] op_sel:[0,0,1] op_sel_hi:[1,1,0] neg_lo:[0,0,1] neg_hi:[0,0,1]
	v_pk_fma_f32 v[6:7], v[14:15], v[76:77], v[6:7] op_sel:[0,0,1] op_sel_hi:[1,0,0]
	v_mov_b32_e32 v6, v75
	v_mov_b32_e32 v9, v7
	s_waitcnt lgkmcnt(0)
	v_pk_mul_f32 v[6:7], v[16:17], v[6:7] op_sel_hi:[1,0]
	v_pk_add_f32 v[4:5], v[4:5], v[8:9]
	v_pk_fma_f32 v[8:9], v[16:17], v[74:75], v[6:7] op_sel:[0,0,1] op_sel_hi:[1,1,0] neg_lo:[0,0,1] neg_hi:[0,0,1]
	v_pk_fma_f32 v[6:7], v[16:17], v[74:75], v[6:7] op_sel:[0,0,1] op_sel_hi:[1,0,0]
	v_mov_b32_e32 v9, v7
	v_pk_add_f32 v[4:5], v[4:5], v[8:9]
	v_pk_add_f32 v[2:3], v[2:3], v[4:5] neg_lo:[0,1] neg_hi:[0,1]
	buffer_store_dword v3, off, s[0:3], 0 offset:228
	buffer_store_dword v2, off, s[0:3], 0 offset:224
	s_and_saveexec_b64 s[4:5], vcc
	s_cbranch_execz .LBB127_343
; %bb.342:
	buffer_load_dword v2, off, s[0:3], 0 offset:216
	buffer_load_dword v3, off, s[0:3], 0 offset:220
	s_waitcnt vmcnt(0)
	ds_write_b64 v223, v[2:3]
	buffer_store_dword v1, off, s[0:3], 0 offset:216
	buffer_store_dword v1, off, s[0:3], 0 offset:220
.LBB127_343:
	s_or_b64 exec, exec, s[4:5]
	s_waitcnt lgkmcnt(0)
	; wave barrier
	s_waitcnt lgkmcnt(0)
	buffer_load_dword v60, off, s[0:3], 0 offset:228
	buffer_load_dword v62, off, s[0:3], 0 offset:236
	;; [unrolled: 1-line block ×40, first 2 shown]
	ds_read_b128 v[4:7], v1 offset:736
	ds_read_b128 v[8:11], v1 offset:752
	;; [unrolled: 1-line block ×4, first 2 shown]
	buffer_load_dword v117, off, s[0:3], 0 offset:376
	buffer_load_dword v118, off, s[0:3], 0 offset:380
	ds_read_b128 v[20:23], v1 offset:800
	ds_read_b128 v[24:27], v1 offset:816
	buffer_load_dword v119, off, s[0:3], 0 offset:384
	buffer_load_dword v120, off, s[0:3], 0 offset:388
	;; [unrolled: 1-line block ×16, first 2 shown]
	v_cmp_lt_u32_e32 vcc, 26, v0
	s_waitcnt vmcnt(57) lgkmcnt(5)
	v_mul_f32_e32 v28, v4, v60
	s_waitcnt vmcnt(56)
	v_mul_f32_e32 v29, v6, v62
	s_waitcnt vmcnt(55) lgkmcnt(4)
	v_mul_f32_e32 v31, v10, v70
	s_waitcnt vmcnt(54) lgkmcnt(3)
	v_mul_f32_e32 v32, v12, v82
	s_waitcnt vmcnt(53)
	v_mul_f32_e32 v33, v14, v83
	s_waitcnt vmcnt(52)
	v_mul_f32_e32 v30, v8, v84
	s_waitcnt vmcnt(51) lgkmcnt(2)
	v_mul_f32_e32 v34, v16, v85
	s_waitcnt vmcnt(50)
	v_mul_f32_e32 v35, v18, v86
	s_waitcnt vmcnt(49)
	v_fmac_f32_e32 v30, v9, v87
	s_waitcnt vmcnt(48)
	v_fmac_f32_e32 v29, v7, v88
	;; [unrolled: 2-line block ×3, first 2 shown]
	v_add_f32_e32 v28, 0, v28
	v_add_f32_e32 v28, v28, v29
	;; [unrolled: 1-line block ×3, first 2 shown]
	s_waitcnt vmcnt(43)
	v_fmac_f32_e32 v31, v11, v93
	v_fmac_f32_e32 v32, v13, v92
	v_add_f32_e32 v28, v28, v31
	v_fmac_f32_e32 v33, v15, v91
	v_add_f32_e32 v28, v28, v32
	;; [unrolled: 2-line block ×3, first 2 shown]
	s_waitcnt vmcnt(39)
	v_fmac_f32_e32 v35, v19, v97
	v_add_f32_e32 v28, v28, v34
	s_waitcnt vmcnt(38) lgkmcnt(1)
	v_mul_f32_e32 v29, v20, v98
	v_add_f32_e32 v28, v28, v35
	v_fmac_f32_e32 v29, v21, v96
	v_add_f32_e32 v28, v28, v29
	s_waitcnt vmcnt(37)
	v_mul_f32_e32 v29, v22, v99
	v_fmac_f32_e32 v29, v23, v95
	v_add_f32_e32 v28, v28, v29
	s_waitcnt vmcnt(36) lgkmcnt(0)
	v_mul_f32_e32 v29, v24, v100
	v_fmac_f32_e32 v29, v25, v94
	v_add_f32_e32 v32, v28, v29
	ds_read_b128 v[28:31], v1 offset:832
	s_waitcnt vmcnt(32)
	v_mul_f32_e32 v33, v26, v104
	s_waitcnt vmcnt(31)
	v_fmac_f32_e32 v33, v27, v105
	v_add_f32_e32 v36, v32, v33
	ds_read_b128 v[32:35], v1 offset:848
	s_waitcnt vmcnt(30) lgkmcnt(1)
	v_mul_f32_e32 v37, v28, v106
	v_fmac_f32_e32 v37, v29, v103
	v_add_f32_e32 v36, v36, v37
	s_waitcnt vmcnt(29)
	v_mul_f32_e32 v37, v30, v107
	v_fmac_f32_e32 v37, v31, v102
	v_add_f32_e32 v36, v36, v37
	s_waitcnt vmcnt(28) lgkmcnt(0)
	v_mul_f32_e32 v37, v32, v108
	v_fmac_f32_e32 v37, v33, v101
	v_add_f32_e32 v40, v36, v37
	ds_read_b128 v[36:39], v1 offset:864
	s_waitcnt vmcnt(21)
	v_mul_f32_e32 v41, v34, v115
	s_waitcnt vmcnt(20)
	v_fmac_f32_e32 v41, v35, v116
	v_add_f32_e32 v44, v40, v41
	ds_read_b128 v[40:43], v1 offset:880
	s_waitcnt lgkmcnt(1)
	v_mul_f32_e32 v45, v36, v110
	v_fmac_f32_e32 v45, v37, v109
	v_add_f32_e32 v44, v44, v45
	v_mul_f32_e32 v45, v38, v112
	v_fmac_f32_e32 v45, v39, v111
	v_add_f32_e32 v44, v44, v45
	s_waitcnt lgkmcnt(0)
	v_mul_f32_e32 v45, v40, v114
	v_fmac_f32_e32 v45, v41, v113
	v_add_f32_e32 v48, v44, v45
	ds_read_b128 v[44:47], v1 offset:896
	s_waitcnt vmcnt(16)
	v_mul_f32_e32 v49, v42, v118
	v_fmac_f32_e32 v49, v43, v117
	v_add_f32_e32 v52, v48, v49
	ds_read_b128 v[48:51], v1 offset:912
	s_waitcnt vmcnt(14) lgkmcnt(1)
	v_mul_f32_e32 v53, v44, v120
	v_fmac_f32_e32 v53, v45, v119
	v_add_f32_e32 v52, v52, v53
	s_waitcnt vmcnt(12)
	v_mul_f32_e32 v53, v46, v122
	v_fmac_f32_e32 v53, v47, v121
	v_add_f32_e32 v52, v52, v53
	s_waitcnt vmcnt(10) lgkmcnt(0)
	v_mul_f32_e32 v53, v48, v124
	v_fmac_f32_e32 v53, v49, v123
	s_waitcnt vmcnt(8)
	v_mul_f32_e32 v57, v50, v126
	v_add_f32_e32 v56, v52, v53
	v_fmac_f32_e32 v57, v51, v125
	ds_read_b128 v[52:55], v1 offset:928
	v_add_f32_e32 v61, v56, v57
	ds_read_b128 v[56:59], v1 offset:944
	buffer_load_dword v65, off, s[0:3], 0 offset:468
	buffer_load_dword v64, off, s[0:3], 0 offset:464
	buffer_load_dword v67, off, s[0:3], 0 offset:460
	buffer_load_dword v66, off, s[0:3], 0 offset:456
	buffer_load_dword v69, off, s[0:3], 0 offset:452
	buffer_load_dword v68, off, s[0:3], 0 offset:448
	buffer_load_dword v73, off, s[0:3], 0 offset:500
	buffer_load_dword v72, off, s[0:3], 0 offset:496
	buffer_load_dword v75, off, s[0:3], 0 offset:492
	buffer_load_dword v74, off, s[0:3], 0 offset:488
	buffer_load_dword v77, off, s[0:3], 0 offset:484
	buffer_load_dword v76, off, s[0:3], 0 offset:480
	buffer_load_dword v79, off, s[0:3], 0 offset:476
	buffer_load_dword v78, off, s[0:3], 0 offset:472
	buffer_load_dword v81, off, s[0:3], 0 offset:508
	buffer_load_dword v80, off, s[0:3], 0 offset:504
	v_mul_f32_e32 v5, v5, v60
	v_fma_f32 v4, v4, v89, -v5
	v_mul_f32_e32 v5, v7, v62
	v_add_f32_e32 v4, 0, v4
	v_fma_f32 v5, v6, v88, -v5
	v_add_f32_e32 v4, v4, v5
	v_mul_f32_e32 v5, v9, v84
	v_fma_f32 v5, v8, v87, -v5
	v_add_f32_e32 v4, v4, v5
	v_mul_f32_e32 v5, v11, v70
	;; [unrolled: 3-line block ×22, first 2 shown]
	v_fma_f32 v5, v50, v125, -v5
	v_add_f32_e32 v4, v4, v5
	s_waitcnt vmcnt(22) lgkmcnt(1)
	v_mul_f32_e32 v5, v53, v128
	v_fma_f32 v5, v52, v127, -v5
	v_add_f32_e32 v4, v4, v5
	s_waitcnt vmcnt(20)
	v_mul_f32_e32 v5, v55, v130
	v_mul_f32_e32 v63, v52, v128
	v_fma_f32 v5, v54, v129, -v5
	v_fmac_f32_e32 v63, v53, v127
	v_add_f32_e32 v60, v4, v5
	s_waitcnt vmcnt(18) lgkmcnt(0)
	v_mul_f32_e32 v4, v57, v132
	v_add_f32_e32 v61, v61, v63
	v_mul_f32_e32 v63, v54, v130
	v_fma_f32 v62, v56, v131, -v4
	s_waitcnt vmcnt(16)
	v_mul_f32_e32 v4, v59, v134
	v_fmac_f32_e32 v63, v55, v129
	v_fma_f32 v70, v58, v133, -v4
	ds_read_b128 v[4:7], v1 offset:960
	ds_read_b128 v[8:11], v1 offset:976
	;; [unrolled: 1-line block ×4, first 2 shown]
	v_add_f32_e32 v61, v61, v63
	v_mul_f32_e32 v63, v56, v132
	s_waitcnt vmcnt(11)
	v_mov_b32_e32 v22, v69
	v_fmac_f32_e32 v63, v57, v131
	v_mul_f32_e32 v71, v58, v134
	s_waitcnt lgkmcnt(3)
	v_pk_mul_f32 v[22:23], v[4:5], v[22:23] op_sel_hi:[1,0]
	v_fmac_f32_e32 v71, v59, v133
	v_pk_add_f32 v[20:21], v[60:61], v[62:63]
	s_waitcnt vmcnt(10)
	v_pk_fma_f32 v[24:25], v[4:5], v[68:69], v[22:23] op_sel:[0,0,1] op_sel_hi:[1,1,0] neg_lo:[0,0,1] neg_hi:[0,0,1]
	v_pk_fma_f32 v[4:5], v[4:5], v[68:69], v[22:23] op_sel:[0,0,1] op_sel_hi:[1,0,0]
	v_pk_add_f32 v[20:21], v[20:21], v[70:71]
	v_mov_b32_e32 v25, v5
	v_pk_add_f32 v[4:5], v[20:21], v[24:25]
	v_mov_b32_e32 v20, v67
	v_pk_mul_f32 v[20:21], v[6:7], v[20:21] op_sel_hi:[1,0]
	v_pk_fma_f32 v[22:23], v[6:7], v[66:67], v[20:21] op_sel:[0,0,1] op_sel_hi:[1,1,0] neg_lo:[0,0,1] neg_hi:[0,0,1]
	v_pk_fma_f32 v[6:7], v[6:7], v[66:67], v[20:21] op_sel:[0,0,1] op_sel_hi:[1,0,0]
	v_mov_b32_e32 v6, v65
	v_mov_b32_e32 v23, v7
	s_waitcnt lgkmcnt(2)
	v_pk_mul_f32 v[6:7], v[8:9], v[6:7] op_sel_hi:[1,0]
	v_pk_fma_f32 v[20:21], v[8:9], v[64:65], v[6:7] op_sel:[0,0,1] op_sel_hi:[1,1,0] neg_lo:[0,0,1] neg_hi:[0,0,1]
	v_pk_fma_f32 v[6:7], v[8:9], v[64:65], v[6:7] op_sel:[0,0,1] op_sel_hi:[1,0,0]
	s_waitcnt vmcnt(3)
	v_mov_b32_e32 v6, v79
	v_mov_b32_e32 v21, v7
	v_pk_mul_f32 v[6:7], v[10:11], v[6:7] op_sel_hi:[1,0]
	s_waitcnt vmcnt(2)
	v_pk_fma_f32 v[8:9], v[10:11], v[78:79], v[6:7] op_sel:[0,0,1] op_sel_hi:[1,1,0] neg_lo:[0,0,1] neg_hi:[0,0,1]
	v_pk_fma_f32 v[6:7], v[10:11], v[78:79], v[6:7] op_sel:[0,0,1] op_sel_hi:[1,0,0]
	v_pk_add_f32 v[4:5], v[4:5], v[22:23]
	v_mov_b32_e32 v6, v77
	v_pk_add_f32 v[4:5], v[4:5], v[20:21]
	v_mov_b32_e32 v9, v7
	s_waitcnt lgkmcnt(1)
	v_pk_mul_f32 v[6:7], v[12:13], v[6:7] op_sel_hi:[1,0]
	v_pk_add_f32 v[4:5], v[4:5], v[8:9]
	v_pk_fma_f32 v[8:9], v[12:13], v[76:77], v[6:7] op_sel:[0,0,1] op_sel_hi:[1,1,0] neg_lo:[0,0,1] neg_hi:[0,0,1]
	v_pk_fma_f32 v[6:7], v[12:13], v[76:77], v[6:7] op_sel:[0,0,1] op_sel_hi:[1,0,0]
	v_mov_b32_e32 v6, v75
	v_mov_b32_e32 v9, v7
	v_pk_mul_f32 v[6:7], v[14:15], v[6:7] op_sel_hi:[1,0]
	v_pk_add_f32 v[4:5], v[4:5], v[8:9]
	v_pk_fma_f32 v[8:9], v[14:15], v[74:75], v[6:7] op_sel:[0,0,1] op_sel_hi:[1,1,0] neg_lo:[0,0,1] neg_hi:[0,0,1]
	v_pk_fma_f32 v[6:7], v[14:15], v[74:75], v[6:7] op_sel:[0,0,1] op_sel_hi:[1,0,0]
	v_mov_b32_e32 v6, v73
	v_mov_b32_e32 v9, v7
	s_waitcnt lgkmcnt(0)
	v_pk_mul_f32 v[6:7], v[16:17], v[6:7] op_sel_hi:[1,0]
	v_pk_add_f32 v[4:5], v[4:5], v[8:9]
	v_pk_fma_f32 v[8:9], v[16:17], v[72:73], v[6:7] op_sel:[0,0,1] op_sel_hi:[1,1,0] neg_lo:[0,0,1] neg_hi:[0,0,1]
	v_pk_fma_f32 v[6:7], v[16:17], v[72:73], v[6:7] op_sel:[0,0,1] op_sel_hi:[1,0,0]
	s_waitcnt vmcnt(1)
	v_mov_b32_e32 v6, v81
	v_mov_b32_e32 v9, v7
	v_pk_mul_f32 v[6:7], v[18:19], v[6:7] op_sel_hi:[1,0]
	v_pk_add_f32 v[4:5], v[4:5], v[8:9]
	s_waitcnt vmcnt(0)
	v_pk_fma_f32 v[8:9], v[18:19], v[80:81], v[6:7] op_sel:[0,0,1] op_sel_hi:[1,1,0] neg_lo:[0,0,1] neg_hi:[0,0,1]
	v_pk_fma_f32 v[6:7], v[18:19], v[80:81], v[6:7] op_sel:[0,0,1] op_sel_hi:[1,0,0]
	v_mov_b32_e32 v9, v7
	v_pk_add_f32 v[4:5], v[4:5], v[8:9]
	v_pk_add_f32 v[2:3], v[2:3], v[4:5] neg_lo:[0,1] neg_hi:[0,1]
	buffer_store_dword v3, off, s[0:3], 0 offset:220
	buffer_store_dword v2, off, s[0:3], 0 offset:216
	s_and_saveexec_b64 s[4:5], vcc
	s_cbranch_execz .LBB127_345
; %bb.344:
	buffer_load_dword v2, off, s[0:3], 0 offset:208
	buffer_load_dword v3, off, s[0:3], 0 offset:212
	v_mov_b32_e32 v1, 0
	buffer_store_dword v1, off, s[0:3], 0 offset:208
	buffer_store_dword v1, off, s[0:3], 0 offset:212
	s_waitcnt vmcnt(2)
	ds_write_b64 v223, v[2:3]
.LBB127_345:
	s_or_b64 exec, exec, s[4:5]
	v_mov_b32_e32 v1, 0
	s_waitcnt lgkmcnt(0)
	; wave barrier
	s_waitcnt lgkmcnt(0)
	ds_read2_b64 v[2:5], v1 offset0:91 offset1:92
	buffer_load_dword v62, off, s[0:3], 0 offset:208
	buffer_load_dword v63, off, s[0:3], 0 offset:212
	;; [unrolled: 1-line block ×16, first 2 shown]
	ds_read2_b64 v[10:13], v1 offset0:93 offset1:94
	ds_read2_b64 v[14:17], v1 offset0:95 offset1:96
	;; [unrolled: 1-line block ×3, first 2 shown]
	buffer_load_dword v97, off, s[0:3], 0 offset:272
	buffer_load_dword v98, off, s[0:3], 0 offset:276
	ds_read2_b64 v[22:25], v1 offset0:99 offset1:100
	buffer_load_dword v99, off, s[0:3], 0 offset:280
	buffer_load_dword v100, off, s[0:3], 0 offset:284
	buffer_load_dword v101, off, s[0:3], 0 offset:288
	buffer_load_dword v102, off, s[0:3], 0 offset:292
	ds_read2_b64 v[26:29], v1 offset0:101 offset1:102
	buffer_load_dword v103, off, s[0:3], 0 offset:296
	buffer_load_dword v104, off, s[0:3], 0 offset:300
	;; [unrolled: 5-line block ×10, first 2 shown]
	buffer_load_dword v137, off, s[0:3], 0 offset:432
	buffer_load_dword v138, off, s[0:3], 0 offset:436
	v_cmp_lt_u32_e32 vcc, 25, v0
	s_waitcnt vmcnt(54) lgkmcnt(13)
	v_mul_f32_e32 v6, v2, v86
	v_fmac_f32_e32 v6, v3, v64
	s_waitcnt vmcnt(52)
	v_mul_f32_e32 v7, v4, v88
	v_add_f32_e32 v6, 0, v6
	v_fmac_f32_e32 v7, v5, v66
	v_add_f32_e32 v6, v6, v7
	s_waitcnt vmcnt(50) lgkmcnt(12)
	v_mul_f32_e32 v7, v10, v90
	v_fmac_f32_e32 v7, v11, v70
	v_add_f32_e32 v6, v6, v7
	s_waitcnt vmcnt(48)
	v_mul_f32_e32 v7, v12, v92
	v_fmac_f32_e32 v7, v13, v87
	v_add_f32_e32 v6, v6, v7
	s_waitcnt vmcnt(46) lgkmcnt(11)
	v_mul_f32_e32 v7, v14, v94
	v_fmac_f32_e32 v7, v15, v89
	v_add_f32_e32 v6, v6, v7
	s_waitcnt vmcnt(44)
	v_mul_f32_e32 v7, v16, v95
	;; [unrolled: 8-line block ×12, first 2 shown]
	v_fmac_f32_e32 v7, v57, v133
	v_add_f32_e32 v6, v6, v7
	s_waitcnt vmcnt(2) lgkmcnt(0)
	v_mul_f32_e32 v7, v58, v136
	v_fmac_f32_e32 v7, v59, v135
	v_add_f32_e32 v65, v6, v7
	ds_read2_b64 v[6:9], v1 offset0:119 offset1:120
	buffer_load_dword v139, off, s[0:3], 0 offset:440
	buffer_load_dword v140, off, s[0:3], 0 offset:444
	;; [unrolled: 1-line block ×18, first 2 shown]
	v_mul_f32_e32 v3, v3, v86
	v_fma_f32 v2, v2, v64, -v3
	v_mul_f32_e32 v3, v5, v88
	v_add_f32_e32 v2, 0, v2
	v_fma_f32 v3, v4, v66, -v3
	v_add_f32_e32 v2, v2, v3
	v_mul_f32_e32 v3, v11, v90
	v_fma_f32 v3, v10, v70, -v3
	v_add_f32_e32 v2, v2, v3
	v_mul_f32_e32 v3, v13, v92
	;; [unrolled: 3-line block ×25, first 2 shown]
	v_fma_f32 v3, v58, v135, -v3
	s_waitcnt vmcnt(18)
	v_mul_f32_e32 v67, v60, v138
	v_add_f32_e32 v64, v2, v3
	v_mul_f32_e32 v2, v61, v138
	s_waitcnt vmcnt(15)
	v_mov_b32_e32 v20, v69
	v_fmac_f32_e32 v67, v61, v137
	s_waitcnt lgkmcnt(0)
	v_mul_f32_e32 v71, v6, v140
	v_fma_f32 v66, v60, v137, -v2
	v_mul_f32_e32 v2, v7, v140
	v_pk_mul_f32 v[20:21], v[8:9], v[20:21] op_sel_hi:[1,0]
	v_fmac_f32_e32 v71, v7, v139
	v_fma_f32 v70, v6, v139, -v2
	v_pk_add_f32 v[18:19], v[64:65], v[66:67]
	s_waitcnt vmcnt(14)
	v_pk_fma_f32 v[22:23], v[8:9], v[68:69], v[20:21] op_sel:[0,0,1] op_sel_hi:[1,1,0] neg_lo:[0,0,1] neg_hi:[0,0,1]
	v_pk_fma_f32 v[8:9], v[8:9], v[68:69], v[20:21] op_sel:[0,0,1] op_sel_hi:[1,0,0]
	ds_read2_b64 v[2:5], v1 offset0:121 offset1:122
	ds_read2_b64 v[10:13], v1 offset0:123 offset1:124
	;; [unrolled: 1-line block ×3, first 2 shown]
	ds_read_b64 v[6:7], v1 offset:1016
	v_pk_add_f32 v[18:19], v[18:19], v[70:71]
	v_mov_b32_e32 v23, v9
	v_pk_add_f32 v[8:9], v[18:19], v[22:23]
	s_waitcnt vmcnt(13)
	v_mov_b32_e32 v18, v85
	s_waitcnt lgkmcnt(3)
	v_pk_mul_f32 v[18:19], v[2:3], v[18:19] op_sel_hi:[1,0]
	s_waitcnt vmcnt(12)
	v_pk_fma_f32 v[20:21], v[2:3], v[84:85], v[18:19] op_sel:[0,0,1] op_sel_hi:[1,1,0] neg_lo:[0,0,1] neg_hi:[0,0,1]
	v_pk_fma_f32 v[2:3], v[2:3], v[84:85], v[18:19] op_sel:[0,0,1] op_sel_hi:[1,0,0]
	v_mov_b32_e32 v21, v3
	v_pk_add_f32 v[2:3], v[8:9], v[20:21]
	s_waitcnt vmcnt(11)
	v_mov_b32_e32 v8, v83
	v_pk_mul_f32 v[8:9], v[4:5], v[8:9] op_sel_hi:[1,0]
	s_waitcnt vmcnt(10)
	v_pk_fma_f32 v[18:19], v[4:5], v[82:83], v[8:9] op_sel:[0,0,1] op_sel_hi:[1,1,0] neg_lo:[0,0,1] neg_hi:[0,0,1]
	v_pk_fma_f32 v[4:5], v[4:5], v[82:83], v[8:9] op_sel:[0,0,1] op_sel_hi:[1,0,0]
	s_waitcnt vmcnt(9)
	v_mov_b32_e32 v4, v81
	v_mov_b32_e32 v19, v5
	s_waitcnt lgkmcnt(2)
	v_pk_mul_f32 v[4:5], v[10:11], v[4:5] op_sel_hi:[1,0]
	s_waitcnt vmcnt(8)
	v_pk_fma_f32 v[8:9], v[10:11], v[80:81], v[4:5] op_sel:[0,0,1] op_sel_hi:[1,1,0] neg_lo:[0,0,1] neg_hi:[0,0,1]
	v_pk_fma_f32 v[4:5], v[10:11], v[80:81], v[4:5] op_sel:[0,0,1] op_sel_hi:[1,0,0]
	s_waitcnt vmcnt(7)
	v_mov_b32_e32 v4, v79
	v_pk_add_f32 v[2:3], v[2:3], v[18:19]
	v_mov_b32_e32 v9, v5
	v_pk_mul_f32 v[4:5], v[12:13], v[4:5] op_sel_hi:[1,0]
	v_pk_add_f32 v[2:3], v[2:3], v[8:9]
	s_waitcnt vmcnt(6)
	v_pk_fma_f32 v[8:9], v[12:13], v[78:79], v[4:5] op_sel:[0,0,1] op_sel_hi:[1,1,0] neg_lo:[0,0,1] neg_hi:[0,0,1]
	v_pk_fma_f32 v[4:5], v[12:13], v[78:79], v[4:5] op_sel:[0,0,1] op_sel_hi:[1,0,0]
	s_waitcnt vmcnt(5)
	v_mov_b32_e32 v4, v77
	v_mov_b32_e32 v9, v5
	s_waitcnt lgkmcnt(1)
	v_pk_mul_f32 v[4:5], v[14:15], v[4:5] op_sel_hi:[1,0]
	v_pk_add_f32 v[2:3], v[2:3], v[8:9]
	s_waitcnt vmcnt(4)
	v_pk_fma_f32 v[8:9], v[14:15], v[76:77], v[4:5] op_sel:[0,0,1] op_sel_hi:[1,1,0] neg_lo:[0,0,1] neg_hi:[0,0,1]
	v_pk_fma_f32 v[4:5], v[14:15], v[76:77], v[4:5] op_sel:[0,0,1] op_sel_hi:[1,0,0]
	s_waitcnt vmcnt(3)
	v_mov_b32_e32 v4, v75
	v_mov_b32_e32 v9, v5
	v_pk_mul_f32 v[4:5], v[16:17], v[4:5] op_sel_hi:[1,0]
	v_pk_add_f32 v[2:3], v[2:3], v[8:9]
	s_waitcnt vmcnt(2)
	v_pk_fma_f32 v[8:9], v[16:17], v[74:75], v[4:5] op_sel:[0,0,1] op_sel_hi:[1,1,0] neg_lo:[0,0,1] neg_hi:[0,0,1]
	v_pk_fma_f32 v[4:5], v[16:17], v[74:75], v[4:5] op_sel:[0,0,1] op_sel_hi:[1,0,0]
	s_waitcnt vmcnt(1)
	v_mov_b32_e32 v4, v73
	v_mov_b32_e32 v9, v5
	s_waitcnt lgkmcnt(0)
	v_pk_mul_f32 v[4:5], v[6:7], v[4:5] op_sel_hi:[1,0]
	v_pk_add_f32 v[2:3], v[2:3], v[8:9]
	s_waitcnt vmcnt(0)
	v_pk_fma_f32 v[8:9], v[6:7], v[72:73], v[4:5] op_sel:[0,0,1] op_sel_hi:[1,1,0] neg_lo:[0,0,1] neg_hi:[0,0,1]
	v_pk_fma_f32 v[4:5], v[6:7], v[72:73], v[4:5] op_sel:[0,0,1] op_sel_hi:[1,0,0]
	v_mov_b32_e32 v9, v5
	v_pk_add_f32 v[2:3], v[2:3], v[8:9]
	v_pk_add_f32 v[2:3], v[62:63], v[2:3] neg_lo:[0,1] neg_hi:[0,1]
	buffer_store_dword v3, off, s[0:3], 0 offset:212
	buffer_store_dword v2, off, s[0:3], 0 offset:208
	s_and_saveexec_b64 s[4:5], vcc
	s_cbranch_execz .LBB127_347
; %bb.346:
	buffer_load_dword v2, off, s[0:3], 0 offset:200
	buffer_load_dword v3, off, s[0:3], 0 offset:204
	s_waitcnt vmcnt(0)
	ds_write_b64 v223, v[2:3]
	buffer_store_dword v1, off, s[0:3], 0 offset:200
	buffer_store_dword v1, off, s[0:3], 0 offset:204
.LBB127_347:
	s_or_b64 exec, exec, s[4:5]
	s_waitcnt lgkmcnt(0)
	; wave barrier
	s_waitcnt lgkmcnt(0)
	buffer_load_dword v70, off, s[0:3], 0 offset:212
	buffer_load_dword v72, off, s[0:3], 0 offset:220
	;; [unrolled: 1-line block ×32, first 2 shown]
	ds_read_b128 v[16:19], v1 offset:720
	ds_read_b128 v[6:9], v1 offset:736
	buffer_load_dword v117, off, s[0:3], 0 offset:328
	buffer_load_dword v118, off, s[0:3], 0 offset:332
	ds_read_b128 v[10:13], v1 offset:752
	ds_read_b128 v[2:5], v1 offset:768
	buffer_load_dword v119, off, s[0:3], 0 offset:336
	buffer_load_dword v120, off, s[0:3], 0 offset:340
	;; [unrolled: 1-line block ×28, first 2 shown]
	v_cmp_lt_u32_e32 vcc, 24, v0
	s_waitcnt vmcnt(61) lgkmcnt(3)
	v_mul_f32_e32 v20, v16, v70
	s_waitcnt vmcnt(60)
	v_mul_f32_e32 v21, v18, v72
	s_waitcnt vmcnt(59) lgkmcnt(2)
	v_mul_f32_e32 v23, v8, v74
	s_waitcnt vmcnt(58) lgkmcnt(1)
	v_mul_f32_e32 v24, v10, v90
	s_waitcnt vmcnt(57)
	v_mul_f32_e32 v25, v12, v91
	s_waitcnt vmcnt(56)
	;; [unrolled: 2-line block ×3, first 2 shown]
	v_fmac_f32_e32 v22, v7, v93
	s_waitcnt vmcnt(54)
	v_fmac_f32_e32 v21, v19, v94
	s_waitcnt vmcnt(53)
	v_fmac_f32_e32 v20, v17, v95
	v_add_f32_e32 v20, 0, v20
	v_add_f32_e32 v20, v20, v21
	;; [unrolled: 1-line block ×3, first 2 shown]
	s_waitcnt vmcnt(49)
	v_fmac_f32_e32 v24, v11, v99
	s_waitcnt vmcnt(48)
	v_fmac_f32_e32 v23, v9, v100
	v_add_f32_e32 v20, v20, v23
	s_waitcnt lgkmcnt(0)
	v_mul_f32_e32 v26, v2, v96
	v_fmac_f32_e32 v25, v13, v98
	v_add_f32_e32 v20, v20, v24
	v_fmac_f32_e32 v26, v3, v97
	v_add_f32_e32 v20, v20, v25
	v_add_f32_e32 v24, v20, v26
	ds_read_b128 v[20:23], v1 offset:784
	s_waitcnt vmcnt(44)
	v_mul_f32_e32 v25, v4, v104
	s_waitcnt vmcnt(43)
	v_fmac_f32_e32 v25, v5, v105
	v_add_f32_e32 v28, v24, v25
	ds_read_b128 v[24:27], v1 offset:800
	s_waitcnt vmcnt(42) lgkmcnt(1)
	v_mul_f32_e32 v29, v20, v106
	v_fmac_f32_e32 v29, v21, v103
	v_add_f32_e32 v28, v28, v29
	s_waitcnt vmcnt(41)
	v_mul_f32_e32 v29, v22, v107
	v_fmac_f32_e32 v29, v23, v102
	v_add_f32_e32 v28, v28, v29
	s_waitcnt vmcnt(40) lgkmcnt(0)
	v_mul_f32_e32 v29, v24, v108
	v_fmac_f32_e32 v29, v25, v101
	v_add_f32_e32 v32, v28, v29
	ds_read_b128 v[28:31], v1 offset:816
	s_waitcnt vmcnt(34)
	v_mul_f32_e32 v33, v26, v114
	s_waitcnt vmcnt(33)
	v_fmac_f32_e32 v33, v27, v115
	v_add_f32_e32 v36, v32, v33
	ds_read_b128 v[32:35], v1 offset:832
	s_waitcnt vmcnt(32) lgkmcnt(1)
	v_mul_f32_e32 v37, v28, v116
	v_fmac_f32_e32 v37, v29, v113
	v_add_f32_e32 v36, v36, v37
	v_mul_f32_e32 v37, v30, v110
	v_fmac_f32_e32 v37, v31, v109
	v_add_f32_e32 v36, v36, v37
	s_waitcnt lgkmcnt(0)
	v_mul_f32_e32 v37, v32, v112
	v_fmac_f32_e32 v37, v33, v111
	v_add_f32_e32 v40, v36, v37
	ds_read_b128 v[36:39], v1 offset:848
	s_waitcnt vmcnt(28)
	v_mul_f32_e32 v41, v34, v118
	v_fmac_f32_e32 v41, v35, v117
	v_add_f32_e32 v44, v40, v41
	ds_read_b128 v[40:43], v1 offset:864
	s_waitcnt vmcnt(26) lgkmcnt(1)
	v_mul_f32_e32 v45, v36, v120
	v_fmac_f32_e32 v45, v37, v119
	v_add_f32_e32 v44, v44, v45
	s_waitcnt vmcnt(24)
	v_mul_f32_e32 v45, v38, v122
	v_fmac_f32_e32 v45, v39, v121
	v_add_f32_e32 v44, v44, v45
	s_waitcnt vmcnt(22) lgkmcnt(0)
	v_mul_f32_e32 v45, v40, v124
	v_fmac_f32_e32 v45, v41, v123
	v_add_f32_e32 v48, v44, v45
	ds_read_b128 v[44:47], v1 offset:880
	s_waitcnt vmcnt(20)
	v_mul_f32_e32 v49, v42, v126
	v_fmac_f32_e32 v49, v43, v125
	v_add_f32_e32 v52, v48, v49
	ds_read_b128 v[48:51], v1 offset:896
	s_waitcnt vmcnt(18) lgkmcnt(1)
	v_mul_f32_e32 v53, v44, v128
	v_fmac_f32_e32 v53, v45, v127
	v_add_f32_e32 v52, v52, v53
	s_waitcnt vmcnt(16)
	v_mul_f32_e32 v53, v46, v130
	v_fmac_f32_e32 v53, v47, v129
	v_add_f32_e32 v52, v52, v53
	s_waitcnt vmcnt(14) lgkmcnt(0)
	v_mul_f32_e32 v53, v48, v132
	v_fmac_f32_e32 v53, v49, v131
	v_add_f32_e32 v56, v52, v53
	ds_read_b128 v[52:55], v1 offset:912
	s_waitcnt vmcnt(12)
	v_mul_f32_e32 v57, v50, v134
	v_fmac_f32_e32 v57, v51, v133
	v_add_f32_e32 v60, v56, v57
	ds_read_b128 v[56:59], v1 offset:928
	buffer_load_dword v69, off, s[0:3], 0 offset:452
	buffer_load_dword v68, off, s[0:3], 0 offset:448
	s_waitcnt vmcnt(12) lgkmcnt(1)
	v_mul_f32_e32 v61, v52, v136
	v_fmac_f32_e32 v61, v53, v135
	v_add_f32_e32 v60, v60, v61
	s_waitcnt vmcnt(10)
	v_mul_f32_e32 v61, v54, v138
	v_fmac_f32_e32 v61, v55, v137
	v_add_f32_e32 v60, v60, v61
	s_waitcnt vmcnt(8) lgkmcnt(0)
	v_mul_f32_e32 v61, v56, v140
	v_fmac_f32_e32 v61, v57, v139
	s_waitcnt vmcnt(6)
	v_mul_f32_e32 v65, v58, v142
	v_add_f32_e32 v64, v60, v61
	v_fmac_f32_e32 v65, v59, v141
	ds_read_b128 v[60:63], v1 offset:944
	v_add_f32_e32 v71, v64, v65
	ds_read_b128 v[64:67], v1 offset:960
	buffer_load_dword v77, off, s[0:3], 0 offset:484
	buffer_load_dword v76, off, s[0:3], 0 offset:480
	;; [unrolled: 1-line block ×14, first 2 shown]
	v_mul_f32_e32 v17, v17, v70
	v_fma_f32 v16, v16, v95, -v17
	v_mul_f32_e32 v17, v19, v72
	v_add_f32_e32 v16, 0, v16
	v_fma_f32 v17, v18, v94, -v17
	v_mul_f32_e32 v7, v7, v92
	v_add_f32_e32 v16, v16, v17
	;; [unrolled: 3-line block ×3, first 2 shown]
	v_fma_f32 v7, v8, v100, -v7
	v_add_f32_e32 v6, v6, v7
	v_mul_f32_e32 v7, v11, v90
	v_fma_f32 v7, v10, v99, -v7
	v_add_f32_e32 v6, v6, v7
	v_mul_f32_e32 v7, v13, v91
	v_fma_f32 v7, v12, v98, -v7
	v_mul_f32_e32 v3, v3, v96
	v_add_f32_e32 v6, v6, v7
	v_fma_f32 v2, v2, v97, -v3
	v_mul_f32_e32 v3, v5, v104
	v_add_f32_e32 v2, v6, v2
	v_fma_f32 v3, v4, v105, -v3
	v_add_f32_e32 v2, v2, v3
	v_mul_f32_e32 v3, v21, v106
	v_fma_f32 v3, v20, v103, -v3
	v_add_f32_e32 v2, v2, v3
	v_mul_f32_e32 v3, v23, v107
	;; [unrolled: 3-line block ×20, first 2 shown]
	v_fma_f32 v3, v58, v141, -v3
	s_waitcnt vmcnt(15)
	v_mov_b32_e32 v18, v69
	s_waitcnt lgkmcnt(1)
	v_mul_f32_e32 v73, v60, v144
	v_add_f32_e32 v70, v2, v3
	v_mul_f32_e32 v2, v61, v144
	s_waitcnt lgkmcnt(0)
	v_pk_mul_f32 v[18:19], v[64:65], v[18:19] op_sel_hi:[1,0]
	v_fmac_f32_e32 v73, v61, v143
	v_mul_f32_e32 v75, v62, v146
	v_fma_f32 v72, v60, v143, -v2
	v_mul_f32_e32 v2, v63, v146
	s_waitcnt vmcnt(14)
	v_pk_fma_f32 v[20:21], v[64:65], v[68:69], v[18:19] op_sel:[0,0,1] op_sel_hi:[1,1,0] neg_lo:[0,0,1] neg_hi:[0,0,1]
	v_pk_fma_f32 v[18:19], v[64:65], v[68:69], v[18:19] op_sel:[0,0,1] op_sel_hi:[1,0,0]
	v_fmac_f32_e32 v75, v63, v145
	v_fma_f32 v74, v62, v145, -v2
	v_pk_add_f32 v[16:17], v[70:71], v[72:73]
	s_waitcnt vmcnt(7)
	v_mov_b32_e32 v18, v83
	ds_read_b128 v[2:5], v1 offset:976
	ds_read_b128 v[6:9], v1 offset:992
	;; [unrolled: 1-line block ×3, first 2 shown]
	v_pk_add_f32 v[16:17], v[16:17], v[74:75]
	v_mov_b32_e32 v21, v19
	v_pk_mul_f32 v[18:19], v[66:67], v[18:19] op_sel_hi:[1,0]
	v_pk_add_f32 v[16:17], v[16:17], v[20:21]
	s_waitcnt vmcnt(6)
	v_pk_fma_f32 v[20:21], v[66:67], v[82:83], v[18:19] op_sel:[0,0,1] op_sel_hi:[1,1,0] neg_lo:[0,0,1] neg_hi:[0,0,1]
	v_pk_fma_f32 v[18:19], v[66:67], v[82:83], v[18:19] op_sel:[0,0,1] op_sel_hi:[1,0,0]
	v_mov_b32_e32 v18, v81
	v_mov_b32_e32 v21, v19
	s_waitcnt lgkmcnt(2)
	v_pk_mul_f32 v[18:19], v[2:3], v[18:19] op_sel_hi:[1,0]
	v_pk_add_f32 v[16:17], v[16:17], v[20:21]
	v_pk_fma_f32 v[20:21], v[2:3], v[80:81], v[18:19] op_sel:[0,0,1] op_sel_hi:[1,1,0] neg_lo:[0,0,1] neg_hi:[0,0,1]
	v_pk_fma_f32 v[2:3], v[2:3], v[80:81], v[18:19] op_sel:[0,0,1] op_sel_hi:[1,0,0]
	v_mov_b32_e32 v21, v3
	v_pk_add_f32 v[2:3], v[16:17], v[20:21]
	v_mov_b32_e32 v16, v79
	v_pk_mul_f32 v[16:17], v[4:5], v[16:17] op_sel_hi:[1,0]
	v_pk_fma_f32 v[18:19], v[4:5], v[78:79], v[16:17] op_sel:[0,0,1] op_sel_hi:[1,1,0] neg_lo:[0,0,1] neg_hi:[0,0,1]
	v_pk_fma_f32 v[4:5], v[4:5], v[78:79], v[16:17] op_sel:[0,0,1] op_sel_hi:[1,0,0]
	v_mov_b32_e32 v4, v77
	v_mov_b32_e32 v19, v5
	s_waitcnt lgkmcnt(1)
	v_pk_mul_f32 v[4:5], v[6:7], v[4:5] op_sel_hi:[1,0]
	v_pk_fma_f32 v[16:17], v[6:7], v[76:77], v[4:5] op_sel:[0,0,1] op_sel_hi:[1,1,0] neg_lo:[0,0,1] neg_hi:[0,0,1]
	v_pk_fma_f32 v[4:5], v[6:7], v[76:77], v[4:5] op_sel:[0,0,1] op_sel_hi:[1,0,0]
	s_waitcnt vmcnt(1)
	v_mov_b32_e32 v4, v89
	v_mov_b32_e32 v17, v5
	v_pk_mul_f32 v[4:5], v[8:9], v[4:5] op_sel_hi:[1,0]
	s_waitcnt vmcnt(0)
	v_pk_fma_f32 v[6:7], v[8:9], v[88:89], v[4:5] op_sel:[0,0,1] op_sel_hi:[1,1,0] neg_lo:[0,0,1] neg_hi:[0,0,1]
	v_pk_fma_f32 v[4:5], v[8:9], v[88:89], v[4:5] op_sel:[0,0,1] op_sel_hi:[1,0,0]
	v_pk_add_f32 v[2:3], v[2:3], v[18:19]
	v_mov_b32_e32 v4, v87
	v_pk_add_f32 v[2:3], v[2:3], v[16:17]
	v_mov_b32_e32 v7, v5
	s_waitcnt lgkmcnt(0)
	v_pk_mul_f32 v[4:5], v[10:11], v[4:5] op_sel_hi:[1,0]
	v_pk_add_f32 v[2:3], v[2:3], v[6:7]
	v_pk_fma_f32 v[6:7], v[10:11], v[86:87], v[4:5] op_sel:[0,0,1] op_sel_hi:[1,1,0] neg_lo:[0,0,1] neg_hi:[0,0,1]
	v_pk_fma_f32 v[4:5], v[10:11], v[86:87], v[4:5] op_sel:[0,0,1] op_sel_hi:[1,0,0]
	v_mov_b32_e32 v4, v85
	v_mov_b32_e32 v7, v5
	v_pk_mul_f32 v[4:5], v[12:13], v[4:5] op_sel_hi:[1,0]
	v_pk_add_f32 v[2:3], v[2:3], v[6:7]
	v_pk_fma_f32 v[6:7], v[12:13], v[84:85], v[4:5] op_sel:[0,0,1] op_sel_hi:[1,1,0] neg_lo:[0,0,1] neg_hi:[0,0,1]
	v_pk_fma_f32 v[4:5], v[12:13], v[84:85], v[4:5] op_sel:[0,0,1] op_sel_hi:[1,0,0]
	v_mov_b32_e32 v7, v5
	v_pk_add_f32 v[2:3], v[2:3], v[6:7]
	v_pk_add_f32 v[2:3], v[14:15], v[2:3] neg_lo:[0,1] neg_hi:[0,1]
	buffer_store_dword v3, off, s[0:3], 0 offset:204
	buffer_store_dword v2, off, s[0:3], 0 offset:200
	s_and_saveexec_b64 s[4:5], vcc
	s_cbranch_execz .LBB127_349
; %bb.348:
	buffer_load_dword v2, off, s[0:3], 0 offset:192
	buffer_load_dword v3, off, s[0:3], 0 offset:196
	v_mov_b32_e32 v1, 0
	buffer_store_dword v1, off, s[0:3], 0 offset:192
	buffer_store_dword v1, off, s[0:3], 0 offset:196
	s_waitcnt vmcnt(2)
	ds_write_b64 v223, v[2:3]
.LBB127_349:
	s_or_b64 exec, exec, s[4:5]
	s_waitcnt lgkmcnt(0)
	; wave barrier
	s_waitcnt lgkmcnt(0)
	buffer_load_dword v68, off, s[0:3], 0 offset:204
	buffer_load_dword v70, off, s[0:3], 0 offset:212
	;; [unrolled: 1-line block ×48, first 2 shown]
	v_mov_b32_e32 v1, 0
	ds_read2_b64 v[2:5], v1 offset0:89 offset1:90
	buffer_load_dword v133, off, s[0:3], 0 offset:384
	buffer_load_dword v134, off, s[0:3], 0 offset:388
	;; [unrolled: 1-line block ×8, first 2 shown]
	ds_read2_b64 v[8:11], v1 offset0:91 offset1:92
	ds_read2_b64 v[12:15], v1 offset0:93 offset1:94
	;; [unrolled: 1-line block ×3, first 2 shown]
	buffer_load_dword v141, off, s[0:3], 0 offset:416
	buffer_load_dword v142, off, s[0:3], 0 offset:420
	buffer_load_dword v143, off, s[0:3], 0 offset:424
	buffer_load_dword v144, off, s[0:3], 0 offset:428
	buffer_load_dword v145, off, s[0:3], 0 offset:432
	buffer_load_dword v146, off, s[0:3], 0 offset:436
	buffer_load_dword v147, off, s[0:3], 0 offset:440
	buffer_load_dword v148, off, s[0:3], 0 offset:444
	v_cmp_lt_u32_e32 vcc, 23, v0
	s_waitcnt vmcnt(62) lgkmcnt(3)
	v_mul_f32_e32 v20, v2, v68
	v_mul_f32_e32 v21, v4, v70
	s_waitcnt vmcnt(61) lgkmcnt(2)
	v_mul_f32_e32 v23, v10, v72
	s_waitcnt vmcnt(60) lgkmcnt(1)
	v_mul_f32_e32 v24, v12, v90
	s_waitcnt vmcnt(59)
	v_mul_f32_e32 v25, v14, v91
	s_waitcnt vmcnt(58)
	v_mul_f32_e32 v22, v8, v92
	s_waitcnt vmcnt(57)
	v_fmac_f32_e32 v22, v9, v93
	s_waitcnt vmcnt(56)
	v_fmac_f32_e32 v21, v5, v94
	s_waitcnt vmcnt(55)
	v_fmac_f32_e32 v20, v3, v95
	v_add_f32_e32 v20, 0, v20
	v_add_f32_e32 v20, v20, v21
	;; [unrolled: 1-line block ×3, first 2 shown]
	s_waitcnt vmcnt(51)
	v_fmac_f32_e32 v24, v13, v99
	s_waitcnt vmcnt(50)
	v_fmac_f32_e32 v23, v11, v100
	v_add_f32_e32 v20, v20, v23
	s_waitcnt lgkmcnt(0)
	v_mul_f32_e32 v26, v16, v96
	v_fmac_f32_e32 v25, v15, v98
	v_add_f32_e32 v20, v20, v24
	v_fmac_f32_e32 v26, v17, v97
	v_add_f32_e32 v20, v20, v25
	v_add_f32_e32 v24, v20, v26
	ds_read2_b64 v[20:23], v1 offset0:97 offset1:98
	s_waitcnt vmcnt(45)
	v_mul_f32_e32 v25, v18, v105
	s_waitcnt vmcnt(44)
	v_fmac_f32_e32 v25, v19, v106
	v_add_f32_e32 v28, v24, v25
	ds_read2_b64 v[24:27], v1 offset0:99 offset1:100
	s_waitcnt vmcnt(43) lgkmcnt(1)
	v_mul_f32_e32 v29, v20, v107
	v_fmac_f32_e32 v29, v21, v104
	v_add_f32_e32 v28, v28, v29
	s_waitcnt vmcnt(42)
	v_mul_f32_e32 v29, v22, v108
	v_fmac_f32_e32 v29, v23, v103
	v_add_f32_e32 v28, v28, v29
	s_waitcnt lgkmcnt(0)
	v_mul_f32_e32 v29, v24, v102
	v_fmac_f32_e32 v29, v25, v101
	v_add_f32_e32 v32, v28, v29
	ds_read2_b64 v[28:31], v1 offset0:101 offset1:102
	s_waitcnt vmcnt(38)
	v_mul_f32_e32 v33, v26, v110
	v_fmac_f32_e32 v33, v27, v109
	v_add_f32_e32 v36, v32, v33
	ds_read2_b64 v[32:35], v1 offset0:103 offset1:104
	s_waitcnt vmcnt(36) lgkmcnt(1)
	v_mul_f32_e32 v37, v28, v112
	v_fmac_f32_e32 v37, v29, v111
	v_add_f32_e32 v36, v36, v37
	s_waitcnt vmcnt(34)
	v_mul_f32_e32 v37, v30, v114
	v_fmac_f32_e32 v37, v31, v113
	v_add_f32_e32 v36, v36, v37
	s_waitcnt vmcnt(32) lgkmcnt(0)
	v_mul_f32_e32 v37, v32, v116
	v_fmac_f32_e32 v37, v33, v115
	v_add_f32_e32 v40, v36, v37
	ds_read2_b64 v[36:39], v1 offset0:105 offset1:106
	s_waitcnt vmcnt(30)
	v_mul_f32_e32 v41, v34, v118
	v_fmac_f32_e32 v41, v35, v117
	v_add_f32_e32 v44, v40, v41
	ds_read2_b64 v[40:43], v1 offset0:107 offset1:108
	s_waitcnt vmcnt(28) lgkmcnt(1)
	v_mul_f32_e32 v45, v36, v120
	v_fmac_f32_e32 v45, v37, v119
	v_add_f32_e32 v44, v44, v45
	s_waitcnt vmcnt(26)
	v_mul_f32_e32 v45, v38, v122
	v_fmac_f32_e32 v45, v39, v121
	v_add_f32_e32 v44, v44, v45
	s_waitcnt vmcnt(24) lgkmcnt(0)
	;; [unrolled: 18-line block ×4, first 2 shown]
	v_mul_f32_e32 v61, v56, v140
	v_fmac_f32_e32 v61, v57, v139
	s_waitcnt vmcnt(6)
	v_mul_f32_e32 v65, v58, v142
	v_add_f32_e32 v64, v60, v61
	v_fmac_f32_e32 v65, v59, v141
	ds_read2_b64 v[60:63], v1 offset0:117 offset1:118
	v_add_f32_e32 v69, v64, v65
	ds_read2_b64 v[64:67], v1 offset0:119 offset1:120
	buffer_load_dword v75, off, s[0:3], 0 offset:476
	buffer_load_dword v74, off, s[0:3], 0 offset:472
	;; [unrolled: 1-line block ×16, first 2 shown]
	v_mul_f32_e32 v3, v3, v68
	v_fma_f32 v2, v2, v95, -v3
	v_mul_f32_e32 v3, v5, v70
	v_add_f32_e32 v2, 0, v2
	v_fma_f32 v3, v4, v94, -v3
	v_add_f32_e32 v2, v2, v3
	v_mul_f32_e32 v3, v9, v92
	v_fma_f32 v3, v8, v93, -v3
	v_add_f32_e32 v2, v2, v3
	v_mul_f32_e32 v3, v11, v72
	;; [unrolled: 3-line block ×26, first 2 shown]
	v_fma_f32 v3, v58, v141, -v3
	v_add_f32_e32 v2, v2, v3
	s_waitcnt vmcnt(20) lgkmcnt(1)
	v_mul_f32_e32 v3, v61, v144
	v_mul_f32_e32 v71, v60, v144
	v_fma_f32 v3, v60, v143, -v3
	v_fmac_f32_e32 v71, v61, v143
	v_add_f32_e32 v68, v2, v3
	s_waitcnt vmcnt(18)
	v_mul_f32_e32 v2, v63, v146
	s_waitcnt vmcnt(9)
	v_mov_b32_e32 v20, v81
	v_add_f32_e32 v69, v69, v71
	v_mul_f32_e32 v71, v62, v146
	v_fma_f32 v70, v62, v145, -v2
	s_waitcnt lgkmcnt(0)
	v_mul_f32_e32 v2, v65, v148
	v_pk_mul_f32 v[20:21], v[66:67], v[20:21] op_sel_hi:[1,0]
	v_fmac_f32_e32 v71, v63, v145
	v_mul_f32_e32 v73, v64, v148
	v_fma_f32 v72, v64, v147, -v2
	ds_read2_b64 v[2:5], v1 offset0:121 offset1:122
	ds_read2_b64 v[8:11], v1 offset0:123 offset1:124
	;; [unrolled: 1-line block ×3, first 2 shown]
	ds_read_b64 v[16:17], v1 offset:1016
	s_waitcnt vmcnt(8)
	v_pk_fma_f32 v[22:23], v[66:67], v[80:81], v[20:21] op_sel:[0,0,1] op_sel_hi:[1,1,0] neg_lo:[0,0,1] neg_hi:[0,0,1]
	v_pk_fma_f32 v[20:21], v[66:67], v[80:81], v[20:21] op_sel:[0,0,1] op_sel_hi:[1,0,0]
	v_fmac_f32_e32 v73, v65, v147
	v_pk_add_f32 v[18:19], v[68:69], v[70:71]
	v_mov_b32_e32 v20, v79
	v_pk_add_f32 v[18:19], v[18:19], v[72:73]
	v_mov_b32_e32 v23, v21
	s_waitcnt lgkmcnt(3)
	v_pk_mul_f32 v[20:21], v[2:3], v[20:21] op_sel_hi:[1,0]
	v_pk_add_f32 v[18:19], v[18:19], v[22:23]
	v_pk_fma_f32 v[22:23], v[2:3], v[78:79], v[20:21] op_sel:[0,0,1] op_sel_hi:[1,1,0] neg_lo:[0,0,1] neg_hi:[0,0,1]
	v_pk_fma_f32 v[2:3], v[2:3], v[78:79], v[20:21] op_sel:[0,0,1] op_sel_hi:[1,0,0]
	v_mov_b32_e32 v23, v3
	v_pk_add_f32 v[2:3], v[18:19], v[22:23]
	v_mov_b32_e32 v18, v77
	v_pk_mul_f32 v[18:19], v[4:5], v[18:19] op_sel_hi:[1,0]
	v_pk_fma_f32 v[20:21], v[4:5], v[76:77], v[18:19] op_sel:[0,0,1] op_sel_hi:[1,1,0] neg_lo:[0,0,1] neg_hi:[0,0,1]
	v_pk_fma_f32 v[4:5], v[4:5], v[76:77], v[18:19] op_sel:[0,0,1] op_sel_hi:[1,0,0]
	v_mov_b32_e32 v4, v75
	v_mov_b32_e32 v21, v5
	s_waitcnt lgkmcnt(2)
	v_pk_mul_f32 v[4:5], v[8:9], v[4:5] op_sel_hi:[1,0]
	v_pk_fma_f32 v[18:19], v[8:9], v[74:75], v[4:5] op_sel:[0,0,1] op_sel_hi:[1,1,0] neg_lo:[0,0,1] neg_hi:[0,0,1]
	v_pk_fma_f32 v[4:5], v[8:9], v[74:75], v[4:5] op_sel:[0,0,1] op_sel_hi:[1,0,0]
	s_waitcnt vmcnt(1)
	v_mov_b32_e32 v4, v89
	v_mov_b32_e32 v19, v5
	v_pk_mul_f32 v[4:5], v[10:11], v[4:5] op_sel_hi:[1,0]
	s_waitcnt vmcnt(0)
	v_pk_fma_f32 v[8:9], v[10:11], v[88:89], v[4:5] op_sel:[0,0,1] op_sel_hi:[1,1,0] neg_lo:[0,0,1] neg_hi:[0,0,1]
	v_pk_fma_f32 v[4:5], v[10:11], v[88:89], v[4:5] op_sel:[0,0,1] op_sel_hi:[1,0,0]
	v_pk_add_f32 v[2:3], v[2:3], v[20:21]
	v_mov_b32_e32 v4, v87
	v_pk_add_f32 v[2:3], v[2:3], v[18:19]
	v_mov_b32_e32 v9, v5
	s_waitcnt lgkmcnt(1)
	v_pk_mul_f32 v[4:5], v[12:13], v[4:5] op_sel_hi:[1,0]
	v_pk_add_f32 v[2:3], v[2:3], v[8:9]
	v_pk_fma_f32 v[8:9], v[12:13], v[86:87], v[4:5] op_sel:[0,0,1] op_sel_hi:[1,1,0] neg_lo:[0,0,1] neg_hi:[0,0,1]
	v_pk_fma_f32 v[4:5], v[12:13], v[86:87], v[4:5] op_sel:[0,0,1] op_sel_hi:[1,0,0]
	v_mov_b32_e32 v4, v85
	v_mov_b32_e32 v9, v5
	v_pk_mul_f32 v[4:5], v[14:15], v[4:5] op_sel_hi:[1,0]
	v_pk_add_f32 v[2:3], v[2:3], v[8:9]
	v_pk_fma_f32 v[8:9], v[14:15], v[84:85], v[4:5] op_sel:[0,0,1] op_sel_hi:[1,1,0] neg_lo:[0,0,1] neg_hi:[0,0,1]
	v_pk_fma_f32 v[4:5], v[14:15], v[84:85], v[4:5] op_sel:[0,0,1] op_sel_hi:[1,0,0]
	v_mov_b32_e32 v4, v83
	v_mov_b32_e32 v9, v5
	s_waitcnt lgkmcnt(0)
	v_pk_mul_f32 v[4:5], v[16:17], v[4:5] op_sel_hi:[1,0]
	v_pk_add_f32 v[2:3], v[2:3], v[8:9]
	v_pk_fma_f32 v[8:9], v[16:17], v[82:83], v[4:5] op_sel:[0,0,1] op_sel_hi:[1,1,0] neg_lo:[0,0,1] neg_hi:[0,0,1]
	v_pk_fma_f32 v[4:5], v[16:17], v[82:83], v[4:5] op_sel:[0,0,1] op_sel_hi:[1,0,0]
	v_mov_b32_e32 v9, v5
	v_pk_add_f32 v[2:3], v[2:3], v[8:9]
	v_pk_add_f32 v[2:3], v[6:7], v[2:3] neg_lo:[0,1] neg_hi:[0,1]
	buffer_store_dword v3, off, s[0:3], 0 offset:196
	buffer_store_dword v2, off, s[0:3], 0 offset:192
	s_and_saveexec_b64 s[4:5], vcc
	s_cbranch_execz .LBB127_351
; %bb.350:
	buffer_load_dword v2, off, s[0:3], 0 offset:184
	buffer_load_dword v3, off, s[0:3], 0 offset:188
	s_waitcnt vmcnt(0)
	ds_write_b64 v223, v[2:3]
	buffer_store_dword v1, off, s[0:3], 0 offset:184
	buffer_store_dword v1, off, s[0:3], 0 offset:188
.LBB127_351:
	s_or_b64 exec, exec, s[4:5]
	s_waitcnt lgkmcnt(0)
	; wave barrier
	s_waitcnt lgkmcnt(0)
	buffer_load_dword v68, off, s[0:3], 0 offset:196
	buffer_load_dword v70, off, s[0:3], 0 offset:204
	;; [unrolled: 1-line block ×26, first 2 shown]
	ds_read_b128 v[14:17], v1 offset:704
	ds_read_b128 v[6:9], v1 offset:720
	buffer_load_dword v111, off, s[0:3], 0 offset:288
	buffer_load_dword v112, off, s[0:3], 0 offset:292
	ds_read_b128 v[10:13], v1 offset:736
	ds_read_b128 v[2:5], v1 offset:752
	buffer_load_dword v113, off, s[0:3], 0 offset:296
	buffer_load_dword v114, off, s[0:3], 0 offset:300
	;; [unrolled: 1-line block ×32, first 2 shown]
	v_cmp_lt_u32_e32 vcc, 22, v0
	s_waitcnt vmcnt(59) lgkmcnt(3)
	v_mul_f32_e32 v20, v14, v68
	s_waitcnt vmcnt(58)
	v_mul_f32_e32 v21, v16, v70
	s_waitcnt vmcnt(57) lgkmcnt(2)
	v_mul_f32_e32 v23, v8, v78
	s_waitcnt vmcnt(56) lgkmcnt(1)
	v_mul_f32_e32 v24, v10, v90
	s_waitcnt vmcnt(55)
	v_mul_f32_e32 v25, v12, v91
	s_waitcnt vmcnt(54)
	v_mul_f32_e32 v22, v6, v92
	s_waitcnt vmcnt(53) lgkmcnt(0)
	v_mul_f32_e32 v26, v2, v93
	s_waitcnt vmcnt(52)
	v_mul_f32_e32 v27, v4, v94
	s_waitcnt vmcnt(51)
	v_fmac_f32_e32 v22, v7, v95
	s_waitcnt vmcnt(50)
	v_fmac_f32_e32 v21, v17, v96
	;; [unrolled: 2-line block ×3, first 2 shown]
	v_add_f32_e32 v20, 0, v20
	v_add_f32_e32 v20, v20, v21
	;; [unrolled: 1-line block ×3, first 2 shown]
	s_waitcnt vmcnt(45)
	v_fmac_f32_e32 v23, v9, v101
	v_fmac_f32_e32 v24, v11, v100
	v_add_f32_e32 v20, v20, v23
	v_fmac_f32_e32 v25, v13, v99
	v_add_f32_e32 v20, v20, v24
	;; [unrolled: 2-line block ×3, first 2 shown]
	v_add_f32_e32 v24, v20, v26
	ds_read_b128 v[20:23], v1 offset:768
	s_waitcnt vmcnt(41)
	v_fmac_f32_e32 v27, v5, v105
	buffer_load_dword v145, off, s[0:3], 0 offset:424
	buffer_load_dword v146, off, s[0:3], 0 offset:428
	v_add_f32_e32 v28, v24, v27
	buffer_load_dword v147, off, s[0:3], 0 offset:432
	buffer_load_dword v148, off, s[0:3], 0 offset:436
	ds_read_b128 v[24:27], v1 offset:784
	s_waitcnt vmcnt(44) lgkmcnt(1)
	v_mul_f32_e32 v29, v20, v106
	v_fmac_f32_e32 v29, v21, v104
	v_add_f32_e32 v28, v28, v29
	s_waitcnt vmcnt(43)
	v_mul_f32_e32 v29, v22, v107
	v_fmac_f32_e32 v29, v23, v103
	v_add_f32_e32 v28, v28, v29
	s_waitcnt vmcnt(42) lgkmcnt(0)
	v_mul_f32_e32 v29, v24, v108
	v_fmac_f32_e32 v29, v25, v102
	buffer_load_dword v149, off, s[0:3], 0 offset:440
	buffer_load_dword v150, off, s[0:3], 0 offset:444
	v_add_f32_e32 v32, v28, v29
	ds_read_b128 v[28:31], v1 offset:800
	s_waitcnt vmcnt(40)
	v_mul_f32_e32 v33, v26, v110
	v_fmac_f32_e32 v33, v27, v109
	v_add_f32_e32 v36, v32, v33
	ds_read_b128 v[32:35], v1 offset:816
	s_waitcnt vmcnt(38) lgkmcnt(1)
	v_mul_f32_e32 v37, v28, v112
	v_fmac_f32_e32 v37, v29, v111
	v_add_f32_e32 v36, v36, v37
	s_waitcnt vmcnt(36)
	v_mul_f32_e32 v37, v30, v114
	v_fmac_f32_e32 v37, v31, v113
	v_add_f32_e32 v36, v36, v37
	s_waitcnt vmcnt(34) lgkmcnt(0)
	v_mul_f32_e32 v37, v32, v116
	v_fmac_f32_e32 v37, v33, v115
	v_add_f32_e32 v40, v36, v37
	ds_read_b128 v[36:39], v1 offset:832
	s_waitcnt vmcnt(32)
	v_mul_f32_e32 v41, v34, v118
	v_fmac_f32_e32 v41, v35, v117
	v_add_f32_e32 v44, v40, v41
	ds_read_b128 v[40:43], v1 offset:848
	s_waitcnt vmcnt(30) lgkmcnt(1)
	v_mul_f32_e32 v45, v36, v120
	v_fmac_f32_e32 v45, v37, v119
	v_add_f32_e32 v44, v44, v45
	s_waitcnt vmcnt(28)
	v_mul_f32_e32 v45, v38, v122
	v_fmac_f32_e32 v45, v39, v121
	v_add_f32_e32 v44, v44, v45
	s_waitcnt vmcnt(26) lgkmcnt(0)
	v_mul_f32_e32 v45, v40, v124
	v_fmac_f32_e32 v45, v41, v123
	;; [unrolled: 18-line block ×4, first 2 shown]
	s_waitcnt vmcnt(8)
	v_mul_f32_e32 v65, v58, v142
	v_add_f32_e32 v64, v60, v61
	v_fmac_f32_e32 v65, v59, v141
	ds_read_b128 v[60:63], v1 offset:928
	v_add_f32_e32 v69, v64, v65
	ds_read_b128 v[64:67], v1 offset:944
	buffer_load_dword v73, off, s[0:3], 0 offset:468
	buffer_load_dword v72, off, s[0:3], 0 offset:464
	;; [unrolled: 1-line block ×16, first 2 shown]
	v_mul_f32_e32 v15, v15, v68
	v_fma_f32 v14, v14, v97, -v15
	v_mul_f32_e32 v15, v17, v70
	v_add_f32_e32 v14, 0, v14
	v_fma_f32 v15, v16, v96, -v15
	v_mul_f32_e32 v7, v7, v92
	v_add_f32_e32 v14, v14, v15
	;; [unrolled: 3-line block ×3, first 2 shown]
	v_fma_f32 v7, v8, v101, -v7
	v_add_f32_e32 v6, v6, v7
	v_mul_f32_e32 v7, v11, v90
	v_fma_f32 v7, v10, v100, -v7
	v_add_f32_e32 v6, v6, v7
	v_mul_f32_e32 v7, v13, v91
	v_fma_f32 v7, v12, v99, -v7
	v_mul_f32_e32 v3, v3, v93
	v_add_f32_e32 v6, v6, v7
	v_fma_f32 v2, v2, v98, -v3
	v_mul_f32_e32 v3, v5, v94
	v_add_f32_e32 v2, v6, v2
	v_fma_f32 v3, v4, v105, -v3
	v_add_f32_e32 v2, v2, v3
	v_mul_f32_e32 v3, v21, v106
	v_fma_f32 v3, v20, v104, -v3
	v_add_f32_e32 v2, v2, v3
	v_mul_f32_e32 v3, v23, v107
	;; [unrolled: 3-line block ×20, first 2 shown]
	v_fma_f32 v3, v58, v141, -v3
	v_add_f32_e32 v2, v2, v3
	s_waitcnt vmcnt(22) lgkmcnt(1)
	v_mul_f32_e32 v3, v61, v144
	v_fma_f32 v3, v60, v143, -v3
	v_add_f32_e32 v2, v2, v3
	s_waitcnt vmcnt(20)
	v_mul_f32_e32 v3, v63, v146
	v_mul_f32_e32 v71, v60, v144
	v_fma_f32 v3, v62, v145, -v3
	v_fmac_f32_e32 v71, v61, v143
	v_add_f32_e32 v68, v2, v3
	s_waitcnt vmcnt(18) lgkmcnt(0)
	v_mul_f32_e32 v2, v65, v148
	v_add_f32_e32 v69, v69, v71
	v_mul_f32_e32 v71, v62, v146
	v_fma_f32 v70, v64, v147, -v2
	s_waitcnt vmcnt(16)
	v_mul_f32_e32 v2, v67, v150
	v_fmac_f32_e32 v71, v63, v145
	v_fma_f32 v78, v66, v149, -v2
	ds_read_b128 v[2:5], v1 offset:960
	ds_read_b128 v[6:9], v1 offset:976
	;; [unrolled: 1-line block ×4, first 2 shown]
	v_add_f32_e32 v69, v69, v71
	v_mul_f32_e32 v71, v64, v148
	s_waitcnt vmcnt(11)
	v_mov_b32_e32 v22, v77
	v_fmac_f32_e32 v71, v65, v147
	v_mul_f32_e32 v79, v66, v150
	s_waitcnt lgkmcnt(3)
	v_pk_mul_f32 v[22:23], v[2:3], v[22:23] op_sel_hi:[1,0]
	v_fmac_f32_e32 v79, v67, v149
	v_pk_add_f32 v[20:21], v[68:69], v[70:71]
	s_waitcnt vmcnt(10)
	v_pk_fma_f32 v[24:25], v[2:3], v[76:77], v[22:23] op_sel:[0,0,1] op_sel_hi:[1,1,0] neg_lo:[0,0,1] neg_hi:[0,0,1]
	v_pk_fma_f32 v[2:3], v[2:3], v[76:77], v[22:23] op_sel:[0,0,1] op_sel_hi:[1,0,0]
	v_pk_add_f32 v[20:21], v[20:21], v[78:79]
	v_mov_b32_e32 v25, v3
	v_pk_add_f32 v[2:3], v[20:21], v[24:25]
	v_mov_b32_e32 v20, v75
	v_pk_mul_f32 v[20:21], v[4:5], v[20:21] op_sel_hi:[1,0]
	v_pk_fma_f32 v[22:23], v[4:5], v[74:75], v[20:21] op_sel:[0,0,1] op_sel_hi:[1,1,0] neg_lo:[0,0,1] neg_hi:[0,0,1]
	v_pk_fma_f32 v[4:5], v[4:5], v[74:75], v[20:21] op_sel:[0,0,1] op_sel_hi:[1,0,0]
	v_mov_b32_e32 v4, v73
	v_mov_b32_e32 v23, v5
	s_waitcnt lgkmcnt(2)
	v_pk_mul_f32 v[4:5], v[6:7], v[4:5] op_sel_hi:[1,0]
	v_pk_fma_f32 v[20:21], v[6:7], v[72:73], v[4:5] op_sel:[0,0,1] op_sel_hi:[1,1,0] neg_lo:[0,0,1] neg_hi:[0,0,1]
	v_pk_fma_f32 v[4:5], v[6:7], v[72:73], v[4:5] op_sel:[0,0,1] op_sel_hi:[1,0,0]
	s_waitcnt vmcnt(3)
	v_mov_b32_e32 v4, v87
	v_mov_b32_e32 v21, v5
	v_pk_mul_f32 v[4:5], v[8:9], v[4:5] op_sel_hi:[1,0]
	s_waitcnt vmcnt(2)
	v_pk_fma_f32 v[6:7], v[8:9], v[86:87], v[4:5] op_sel:[0,0,1] op_sel_hi:[1,1,0] neg_lo:[0,0,1] neg_hi:[0,0,1]
	v_pk_fma_f32 v[4:5], v[8:9], v[86:87], v[4:5] op_sel:[0,0,1] op_sel_hi:[1,0,0]
	v_pk_add_f32 v[2:3], v[2:3], v[22:23]
	v_mov_b32_e32 v4, v85
	v_pk_add_f32 v[2:3], v[2:3], v[20:21]
	v_mov_b32_e32 v7, v5
	s_waitcnt lgkmcnt(1)
	v_pk_mul_f32 v[4:5], v[10:11], v[4:5] op_sel_hi:[1,0]
	v_pk_add_f32 v[2:3], v[2:3], v[6:7]
	v_pk_fma_f32 v[6:7], v[10:11], v[84:85], v[4:5] op_sel:[0,0,1] op_sel_hi:[1,1,0] neg_lo:[0,0,1] neg_hi:[0,0,1]
	v_pk_fma_f32 v[4:5], v[10:11], v[84:85], v[4:5] op_sel:[0,0,1] op_sel_hi:[1,0,0]
	v_mov_b32_e32 v4, v83
	v_mov_b32_e32 v7, v5
	v_pk_mul_f32 v[4:5], v[12:13], v[4:5] op_sel_hi:[1,0]
	v_pk_add_f32 v[2:3], v[2:3], v[6:7]
	v_pk_fma_f32 v[6:7], v[12:13], v[82:83], v[4:5] op_sel:[0,0,1] op_sel_hi:[1,1,0] neg_lo:[0,0,1] neg_hi:[0,0,1]
	v_pk_fma_f32 v[4:5], v[12:13], v[82:83], v[4:5] op_sel:[0,0,1] op_sel_hi:[1,0,0]
	v_mov_b32_e32 v4, v81
	v_mov_b32_e32 v7, v5
	s_waitcnt lgkmcnt(0)
	v_pk_mul_f32 v[4:5], v[14:15], v[4:5] op_sel_hi:[1,0]
	v_pk_add_f32 v[2:3], v[2:3], v[6:7]
	v_pk_fma_f32 v[6:7], v[14:15], v[80:81], v[4:5] op_sel:[0,0,1] op_sel_hi:[1,1,0] neg_lo:[0,0,1] neg_hi:[0,0,1]
	v_pk_fma_f32 v[4:5], v[14:15], v[80:81], v[4:5] op_sel:[0,0,1] op_sel_hi:[1,0,0]
	s_waitcnt vmcnt(1)
	v_mov_b32_e32 v4, v89
	v_mov_b32_e32 v7, v5
	v_pk_mul_f32 v[4:5], v[16:17], v[4:5] op_sel_hi:[1,0]
	v_pk_add_f32 v[2:3], v[2:3], v[6:7]
	s_waitcnt vmcnt(0)
	v_pk_fma_f32 v[6:7], v[16:17], v[88:89], v[4:5] op_sel:[0,0,1] op_sel_hi:[1,1,0] neg_lo:[0,0,1] neg_hi:[0,0,1]
	v_pk_fma_f32 v[4:5], v[16:17], v[88:89], v[4:5] op_sel:[0,0,1] op_sel_hi:[1,0,0]
	v_mov_b32_e32 v7, v5
	v_pk_add_f32 v[2:3], v[2:3], v[6:7]
	v_pk_add_f32 v[2:3], v[18:19], v[2:3] neg_lo:[0,1] neg_hi:[0,1]
	buffer_store_dword v3, off, s[0:3], 0 offset:188
	buffer_store_dword v2, off, s[0:3], 0 offset:184
	s_and_saveexec_b64 s[4:5], vcc
	s_cbranch_execz .LBB127_353
; %bb.352:
	buffer_load_dword v2, off, s[0:3], 0 offset:176
	buffer_load_dword v3, off, s[0:3], 0 offset:180
	v_mov_b32_e32 v1, 0
	buffer_store_dword v1, off, s[0:3], 0 offset:176
	buffer_store_dword v1, off, s[0:3], 0 offset:180
	s_waitcnt vmcnt(2)
	ds_write_b64 v223, v[2:3]
.LBB127_353:
	s_or_b64 exec, exec, s[4:5]
	v_mov_b32_e32 v1, 0
	s_waitcnt lgkmcnt(0)
	; wave barrier
	s_waitcnt lgkmcnt(0)
	ds_read2_b64 v[2:5], v1 offset0:87 offset1:88
	buffer_load_dword v70, off, s[0:3], 0 offset:176
	buffer_load_dword v71, off, s[0:3], 0 offset:180
	;; [unrolled: 1-line block ×16, first 2 shown]
	v_cmp_lt_u32_e32 vcc, 21, v0
	s_waitcnt vmcnt(12) lgkmcnt(0)
	v_mul_f32_e32 v6, v2, v94
	v_fmac_f32_e32 v6, v3, v72
	s_waitcnt vmcnt(10)
	v_mul_f32_e32 v7, v4, v96
	v_add_f32_e32 v6, 0, v6
	v_fmac_f32_e32 v7, v5, v74
	v_add_f32_e32 v10, v6, v7
	ds_read2_b64 v[6:9], v1 offset0:89 offset1:90
	v_mul_f32_e32 v3, v3, v94
	v_fma_f32 v2, v2, v72, -v3
	v_mul_f32_e32 v3, v5, v96
	v_add_f32_e32 v2, 0, v2
	s_waitcnt vmcnt(8) lgkmcnt(0)
	v_mul_f32_e32 v11, v6, v98
	v_fmac_f32_e32 v11, v7, v78
	v_add_f32_e32 v10, v10, v11
	s_waitcnt vmcnt(6)
	v_mul_f32_e32 v11, v8, v100
	v_fmac_f32_e32 v11, v9, v95
	v_add_f32_e32 v14, v10, v11
	ds_read2_b64 v[10:13], v1 offset0:91 offset1:92
	v_fma_f32 v3, v4, v74, -v3
	v_add_f32_e32 v2, v2, v3
	v_mul_f32_e32 v3, v7, v98
	v_fma_f32 v3, v6, v78, -v3
	s_waitcnt vmcnt(4) lgkmcnt(0)
	v_mul_f32_e32 v15, v10, v102
	v_fmac_f32_e32 v15, v11, v97
	v_add_f32_e32 v14, v14, v15
	s_waitcnt vmcnt(2)
	v_mul_f32_e32 v15, v12, v103
	v_fmac_f32_e32 v15, v13, v99
	v_add_f32_e32 v18, v14, v15
	ds_read2_b64 v[14:17], v1 offset0:93 offset1:94
	buffer_load_dword v105, off, s[0:3], 0 offset:240
	buffer_load_dword v106, off, s[0:3], 0 offset:244
	v_add_f32_e32 v2, v2, v3
	v_mul_f32_e32 v3, v9, v100
	v_fma_f32 v3, v8, v95, -v3
	s_waitcnt vmcnt(2) lgkmcnt(0)
	v_mul_f32_e32 v19, v14, v104
	v_fmac_f32_e32 v19, v15, v101
	v_add_f32_e32 v18, v18, v19
	v_add_f32_e32 v2, v2, v3
	v_mul_f32_e32 v3, v11, v102
	v_fma_f32 v3, v10, v97, -v3
	v_add_f32_e32 v2, v2, v3
	v_mul_f32_e32 v3, v13, v103
	v_fma_f32 v3, v12, v99, -v3
	;; [unrolled: 3-line block ×3, first 2 shown]
	v_add_f32_e32 v2, v2, v3
	s_waitcnt vmcnt(0)
	v_mul_f32_e32 v19, v16, v106
	v_fmac_f32_e32 v19, v17, v105
	v_add_f32_e32 v22, v18, v19
	ds_read2_b64 v[18:21], v1 offset0:95 offset1:96
	buffer_load_dword v107, off, s[0:3], 0 offset:248
	buffer_load_dword v108, off, s[0:3], 0 offset:252
	buffer_load_dword v109, off, s[0:3], 0 offset:256
	buffer_load_dword v110, off, s[0:3], 0 offset:260
	ds_read2_b64 v[26:29], v1 offset0:97 offset1:98
	buffer_load_dword v111, off, s[0:3], 0 offset:264
	buffer_load_dword v112, off, s[0:3], 0 offset:268
	buffer_load_dword v113, off, s[0:3], 0 offset:272
	buffer_load_dword v114, off, s[0:3], 0 offset:276
	;; [unrolled: 5-line block ×12, first 2 shown]
	v_mul_f32_e32 v3, v17, v106
	v_fma_f32 v3, v16, v105, -v3
	v_add_f32_e32 v2, v2, v3
	s_waitcnt vmcnt(46) lgkmcnt(11)
	v_mul_f32_e32 v23, v18, v108
	v_fmac_f32_e32 v23, v19, v107
	v_add_f32_e32 v22, v22, v23
	s_waitcnt vmcnt(44)
	v_mul_f32_e32 v23, v20, v110
	v_fmac_f32_e32 v23, v21, v109
	v_add_f32_e32 v22, v22, v23
	s_waitcnt vmcnt(42) lgkmcnt(10)
	v_mul_f32_e32 v23, v26, v112
	v_fmac_f32_e32 v23, v27, v111
	v_add_f32_e32 v22, v22, v23
	s_waitcnt vmcnt(40)
	v_mul_f32_e32 v23, v28, v114
	v_fmac_f32_e32 v23, v29, v113
	v_add_f32_e32 v22, v22, v23
	s_waitcnt vmcnt(38) lgkmcnt(9)
	v_mul_f32_e32 v23, v30, v116
	v_fmac_f32_e32 v23, v31, v115
	v_add_f32_e32 v22, v22, v23
	s_waitcnt vmcnt(36)
	v_mul_f32_e32 v23, v32, v118
	v_fmac_f32_e32 v23, v33, v117
	v_add_f32_e32 v22, v22, v23
	s_waitcnt vmcnt(34) lgkmcnt(8)
	v_mul_f32_e32 v23, v34, v120
	v_fmac_f32_e32 v23, v35, v119
	v_add_f32_e32 v22, v22, v23
	s_waitcnt vmcnt(32)
	v_mul_f32_e32 v23, v36, v122
	v_fmac_f32_e32 v23, v37, v121
	v_add_f32_e32 v22, v22, v23
	s_waitcnt vmcnt(30) lgkmcnt(7)
	v_mul_f32_e32 v23, v38, v124
	v_fmac_f32_e32 v23, v39, v123
	v_add_f32_e32 v22, v22, v23
	s_waitcnt vmcnt(28)
	v_mul_f32_e32 v23, v40, v126
	v_fmac_f32_e32 v23, v41, v125
	v_add_f32_e32 v22, v22, v23
	s_waitcnt vmcnt(26) lgkmcnt(6)
	v_mul_f32_e32 v23, v42, v128
	v_fmac_f32_e32 v23, v43, v127
	v_add_f32_e32 v22, v22, v23
	s_waitcnt vmcnt(24)
	v_mul_f32_e32 v23, v44, v130
	v_fmac_f32_e32 v23, v45, v129
	v_add_f32_e32 v22, v22, v23
	s_waitcnt vmcnt(22) lgkmcnt(5)
	v_mul_f32_e32 v23, v46, v132
	v_fmac_f32_e32 v23, v47, v131
	v_add_f32_e32 v22, v22, v23
	s_waitcnt vmcnt(20)
	v_mul_f32_e32 v23, v48, v134
	v_fmac_f32_e32 v23, v49, v133
	v_add_f32_e32 v22, v22, v23
	s_waitcnt vmcnt(18) lgkmcnt(4)
	v_mul_f32_e32 v23, v50, v136
	v_fmac_f32_e32 v23, v51, v135
	v_add_f32_e32 v22, v22, v23
	s_waitcnt vmcnt(16)
	v_mul_f32_e32 v23, v52, v138
	v_fmac_f32_e32 v23, v53, v137
	v_add_f32_e32 v22, v22, v23
	s_waitcnt vmcnt(14) lgkmcnt(3)
	v_mul_f32_e32 v23, v54, v140
	v_fmac_f32_e32 v23, v55, v139
	v_add_f32_e32 v22, v22, v23
	s_waitcnt vmcnt(12)
	v_mul_f32_e32 v23, v56, v142
	v_fmac_f32_e32 v23, v57, v141
	v_add_f32_e32 v22, v22, v23
	s_waitcnt vmcnt(10) lgkmcnt(2)
	v_mul_f32_e32 v23, v58, v144
	v_fmac_f32_e32 v23, v59, v143
	v_add_f32_e32 v22, v22, v23
	s_waitcnt vmcnt(8)
	v_mul_f32_e32 v23, v60, v146
	v_fmac_f32_e32 v23, v61, v145
	v_add_f32_e32 v22, v22, v23
	s_waitcnt vmcnt(6) lgkmcnt(1)
	v_mul_f32_e32 v23, v62, v148
	v_fmac_f32_e32 v23, v63, v147
	v_add_f32_e32 v22, v22, v23
	s_waitcnt vmcnt(4)
	v_mul_f32_e32 v23, v64, v150
	v_fmac_f32_e32 v23, v65, v149
	v_add_f32_e32 v22, v22, v23
	s_waitcnt vmcnt(2) lgkmcnt(0)
	v_mul_f32_e32 v23, v66, v152
	v_fmac_f32_e32 v23, v67, v151
	v_add_f32_e32 v73, v22, v23
	ds_read2_b64 v[22:25], v1 offset0:119 offset1:120
	buffer_load_dword v155, off, s[0:3], 0 offset:440
	buffer_load_dword v156, off, s[0:3], 0 offset:444
	;; [unrolled: 1-line block ×18, first 2 shown]
	v_mul_f32_e32 v3, v19, v108
	v_fma_f32 v3, v18, v107, -v3
	v_add_f32_e32 v2, v2, v3
	v_mul_f32_e32 v3, v21, v110
	v_fma_f32 v3, v20, v109, -v3
	v_add_f32_e32 v2, v2, v3
	;; [unrolled: 3-line block ×23, first 2 shown]
	s_waitcnt vmcnt(18)
	v_mul_f32_e32 v2, v69, v154
	s_waitcnt vmcnt(15)
	v_mov_b32_e32 v18, v77
	v_mul_f32_e32 v75, v68, v154
	v_fma_f32 v74, v68, v153, -v2
	s_waitcnt lgkmcnt(0)
	v_pk_mul_f32 v[18:19], v[24:25], v[18:19] op_sel_hi:[1,0]
	v_fmac_f32_e32 v75, v69, v153
	s_waitcnt vmcnt(14)
	v_pk_fma_f32 v[20:21], v[24:25], v[76:77], v[18:19] op_sel:[0,0,1] op_sel_hi:[1,1,0] neg_lo:[0,0,1] neg_hi:[0,0,1]
	v_pk_fma_f32 v[18:19], v[24:25], v[76:77], v[18:19] op_sel:[0,0,1] op_sel_hi:[1,0,0]
	v_pk_add_f32 v[16:17], v[72:73], v[74:75]
	v_mul_f32_e32 v2, v23, v156
	v_mul_f32_e32 v79, v22, v156
	v_fma_f32 v78, v22, v155, -v2
	ds_read2_b64 v[2:5], v1 offset0:121 offset1:122
	ds_read2_b64 v[6:9], v1 offset0:123 offset1:124
	;; [unrolled: 1-line block ×3, first 2 shown]
	ds_read_b64 v[14:15], v1 offset:1016
	v_fmac_f32_e32 v79, v23, v155
	s_waitcnt vmcnt(13)
	v_mov_b32_e32 v18, v93
	v_pk_add_f32 v[16:17], v[16:17], v[78:79]
	v_mov_b32_e32 v21, v19
	s_waitcnt lgkmcnt(3)
	v_pk_mul_f32 v[18:19], v[2:3], v[18:19] op_sel_hi:[1,0]
	v_pk_add_f32 v[16:17], v[16:17], v[20:21]
	s_waitcnt vmcnt(12)
	v_pk_fma_f32 v[20:21], v[2:3], v[92:93], v[18:19] op_sel:[0,0,1] op_sel_hi:[1,1,0] neg_lo:[0,0,1] neg_hi:[0,0,1]
	v_pk_fma_f32 v[2:3], v[2:3], v[92:93], v[18:19] op_sel:[0,0,1] op_sel_hi:[1,0,0]
	v_mov_b32_e32 v21, v3
	v_pk_add_f32 v[2:3], v[16:17], v[20:21]
	s_waitcnt vmcnt(11)
	v_mov_b32_e32 v16, v91
	v_pk_mul_f32 v[16:17], v[4:5], v[16:17] op_sel_hi:[1,0]
	s_waitcnt vmcnt(10)
	v_pk_fma_f32 v[18:19], v[4:5], v[90:91], v[16:17] op_sel:[0,0,1] op_sel_hi:[1,1,0] neg_lo:[0,0,1] neg_hi:[0,0,1]
	v_pk_fma_f32 v[4:5], v[4:5], v[90:91], v[16:17] op_sel:[0,0,1] op_sel_hi:[1,0,0]
	s_waitcnt vmcnt(9)
	v_mov_b32_e32 v4, v89
	v_mov_b32_e32 v19, v5
	s_waitcnt lgkmcnt(2)
	v_pk_mul_f32 v[4:5], v[6:7], v[4:5] op_sel_hi:[1,0]
	s_waitcnt vmcnt(8)
	v_pk_fma_f32 v[16:17], v[6:7], v[88:89], v[4:5] op_sel:[0,0,1] op_sel_hi:[1,1,0] neg_lo:[0,0,1] neg_hi:[0,0,1]
	v_pk_fma_f32 v[4:5], v[6:7], v[88:89], v[4:5] op_sel:[0,0,1] op_sel_hi:[1,0,0]
	s_waitcnt vmcnt(7)
	v_mov_b32_e32 v4, v87
	v_mov_b32_e32 v17, v5
	v_pk_mul_f32 v[4:5], v[8:9], v[4:5] op_sel_hi:[1,0]
	s_waitcnt vmcnt(6)
	v_pk_fma_f32 v[6:7], v[8:9], v[86:87], v[4:5] op_sel:[0,0,1] op_sel_hi:[1,1,0] neg_lo:[0,0,1] neg_hi:[0,0,1]
	v_pk_fma_f32 v[4:5], v[8:9], v[86:87], v[4:5] op_sel:[0,0,1] op_sel_hi:[1,0,0]
	v_pk_add_f32 v[2:3], v[2:3], v[18:19]
	s_waitcnt vmcnt(5)
	v_mov_b32_e32 v4, v85
	v_pk_add_f32 v[2:3], v[2:3], v[16:17]
	v_mov_b32_e32 v7, v5
	s_waitcnt lgkmcnt(1)
	v_pk_mul_f32 v[4:5], v[10:11], v[4:5] op_sel_hi:[1,0]
	v_pk_add_f32 v[2:3], v[2:3], v[6:7]
	s_waitcnt vmcnt(4)
	v_pk_fma_f32 v[6:7], v[10:11], v[84:85], v[4:5] op_sel:[0,0,1] op_sel_hi:[1,1,0] neg_lo:[0,0,1] neg_hi:[0,0,1]
	v_pk_fma_f32 v[4:5], v[10:11], v[84:85], v[4:5] op_sel:[0,0,1] op_sel_hi:[1,0,0]
	s_waitcnt vmcnt(3)
	v_mov_b32_e32 v4, v83
	v_mov_b32_e32 v7, v5
	v_pk_mul_f32 v[4:5], v[12:13], v[4:5] op_sel_hi:[1,0]
	v_pk_add_f32 v[2:3], v[2:3], v[6:7]
	s_waitcnt vmcnt(2)
	v_pk_fma_f32 v[6:7], v[12:13], v[82:83], v[4:5] op_sel:[0,0,1] op_sel_hi:[1,1,0] neg_lo:[0,0,1] neg_hi:[0,0,1]
	v_pk_fma_f32 v[4:5], v[12:13], v[82:83], v[4:5] op_sel:[0,0,1] op_sel_hi:[1,0,0]
	s_waitcnt vmcnt(1)
	v_mov_b32_e32 v4, v81
	v_mov_b32_e32 v7, v5
	s_waitcnt lgkmcnt(0)
	v_pk_mul_f32 v[4:5], v[14:15], v[4:5] op_sel_hi:[1,0]
	v_pk_add_f32 v[2:3], v[2:3], v[6:7]
	s_waitcnt vmcnt(0)
	v_pk_fma_f32 v[6:7], v[14:15], v[80:81], v[4:5] op_sel:[0,0,1] op_sel_hi:[1,1,0] neg_lo:[0,0,1] neg_hi:[0,0,1]
	v_pk_fma_f32 v[4:5], v[14:15], v[80:81], v[4:5] op_sel:[0,0,1] op_sel_hi:[1,0,0]
	v_mov_b32_e32 v7, v5
	v_pk_add_f32 v[2:3], v[2:3], v[6:7]
	v_pk_add_f32 v[2:3], v[70:71], v[2:3] neg_lo:[0,1] neg_hi:[0,1]
	buffer_store_dword v3, off, s[0:3], 0 offset:180
	buffer_store_dword v2, off, s[0:3], 0 offset:176
	s_and_saveexec_b64 s[4:5], vcc
	s_cbranch_execz .LBB127_355
; %bb.354:
	buffer_load_dword v2, off, s[0:3], 0 offset:168
	buffer_load_dword v3, off, s[0:3], 0 offset:172
	s_waitcnt vmcnt(0)
	ds_write_b64 v223, v[2:3]
	buffer_store_dword v1, off, s[0:3], 0 offset:168
	buffer_store_dword v1, off, s[0:3], 0 offset:172
.LBB127_355:
	s_or_b64 exec, exec, s[4:5]
	s_waitcnt lgkmcnt(0)
	; wave barrier
	s_waitcnt lgkmcnt(0)
	buffer_load_dword v78, off, s[0:3], 0 offset:180
	buffer_load_dword v80, off, s[0:3], 0 offset:188
	;; [unrolled: 1-line block ×24, first 2 shown]
	ds_read_b128 v[22:25], v1 offset:688
	ds_read_b128 v[18:21], v1 offset:704
	;; [unrolled: 1-line block ×4, first 2 shown]
	buffer_load_dword v117, off, s[0:3], 0 offset:264
	buffer_load_dword v118, off, s[0:3], 0 offset:268
	ds_read_b128 v[10:13], v1 offset:752
	ds_read_b128 v[2:5], v1 offset:768
	buffer_load_dword v119, off, s[0:3], 0 offset:272
	buffer_load_dword v120, off, s[0:3], 0 offset:276
	;; [unrolled: 1-line block ×44, first 2 shown]
	v_cmp_lt_u32_e32 vcc, 20, v0
	s_waitcnt vmcnt(62) lgkmcnt(5)
	v_mul_f32_e32 v28, v22, v78
	v_mul_f32_e32 v29, v24, v80
	s_waitcnt lgkmcnt(4)
	v_mul_f32_e32 v31, v20, v82
	s_waitcnt lgkmcnt(3)
	v_mul_f32_e32 v32, v14, v98
	v_mul_f32_e32 v33, v16, v99
	;; [unrolled: 1-line block ×3, first 2 shown]
	s_waitcnt lgkmcnt(2)
	v_mul_f32_e32 v34, v6, v101
	v_mul_f32_e32 v35, v8, v102
	s_waitcnt vmcnt(61)
	v_fmac_f32_e32 v30, v19, v103
	s_waitcnt vmcnt(60)
	v_fmac_f32_e32 v29, v25, v104
	;; [unrolled: 2-line block ×3, first 2 shown]
	v_add_f32_e32 v28, 0, v28
	v_add_f32_e32 v28, v28, v29
	;; [unrolled: 1-line block ×3, first 2 shown]
	s_waitcnt vmcnt(55)
	v_fmac_f32_e32 v31, v21, v109
	v_fmac_f32_e32 v32, v15, v108
	v_add_f32_e32 v28, v28, v31
	v_fmac_f32_e32 v33, v17, v107
	v_add_f32_e32 v28, v28, v32
	;; [unrolled: 2-line block ×3, first 2 shown]
	s_waitcnt vmcnt(51)
	v_fmac_f32_e32 v35, v9, v113
	v_add_f32_e32 v28, v28, v34
	s_waitcnt vmcnt(50) lgkmcnt(1)
	v_mul_f32_e32 v29, v10, v114
	v_add_f32_e32 v28, v28, v35
	v_fmac_f32_e32 v29, v11, v112
	v_add_f32_e32 v28, v28, v29
	s_waitcnt vmcnt(49)
	v_mul_f32_e32 v29, v12, v115
	v_fmac_f32_e32 v29, v13, v111
	v_add_f32_e32 v28, v28, v29
	s_waitcnt vmcnt(48) lgkmcnt(0)
	v_mul_f32_e32 v29, v2, v116
	v_fmac_f32_e32 v29, v3, v110
	v_add_f32_e32 v32, v28, v29
	ds_read_b128 v[28:31], v1 offset:784
	s_waitcnt vmcnt(44)
	v_mul_f32_e32 v33, v4, v118
	v_fmac_f32_e32 v33, v5, v117
	v_add_f32_e32 v36, v32, v33
	ds_read_b128 v[32:35], v1 offset:800
	s_waitcnt vmcnt(42) lgkmcnt(1)
	v_mul_f32_e32 v37, v28, v120
	v_fmac_f32_e32 v37, v29, v119
	v_add_f32_e32 v36, v36, v37
	s_waitcnt vmcnt(40)
	v_mul_f32_e32 v37, v30, v122
	v_fmac_f32_e32 v37, v31, v121
	v_add_f32_e32 v36, v36, v37
	s_waitcnt vmcnt(38) lgkmcnt(0)
	v_mul_f32_e32 v37, v32, v124
	v_fmac_f32_e32 v37, v33, v123
	v_add_f32_e32 v40, v36, v37
	ds_read_b128 v[36:39], v1 offset:816
	s_waitcnt vmcnt(36)
	v_mul_f32_e32 v41, v34, v126
	v_fmac_f32_e32 v41, v35, v125
	v_add_f32_e32 v44, v40, v41
	ds_read_b128 v[40:43], v1 offset:832
	s_waitcnt vmcnt(34) lgkmcnt(1)
	v_mul_f32_e32 v45, v36, v128
	;; [unrolled: 18-line block ×4, first 2 shown]
	v_fmac_f32_e32 v61, v53, v143
	v_add_f32_e32 v60, v60, v61
	s_waitcnt vmcnt(16)
	v_mul_f32_e32 v61, v54, v146
	v_fmac_f32_e32 v61, v55, v145
	v_add_f32_e32 v60, v60, v61
	s_waitcnt vmcnt(14) lgkmcnt(0)
	v_mul_f32_e32 v61, v56, v148
	v_fmac_f32_e32 v61, v57, v147
	v_add_f32_e32 v64, v60, v61
	ds_read_b128 v[60:63], v1 offset:912
	s_waitcnt vmcnt(12)
	v_mul_f32_e32 v65, v58, v150
	v_fmac_f32_e32 v65, v59, v149
	v_add_f32_e32 v68, v64, v65
	ds_read_b128 v[64:67], v1 offset:928
	buffer_load_dword v77, off, s[0:3], 0 offset:452
	buffer_load_dword v76, off, s[0:3], 0 offset:448
	s_waitcnt vmcnt(12) lgkmcnt(1)
	v_mul_f32_e32 v69, v60, v152
	v_fmac_f32_e32 v69, v61, v151
	v_add_f32_e32 v68, v68, v69
	s_waitcnt vmcnt(10)
	v_mul_f32_e32 v69, v62, v154
	v_fmac_f32_e32 v69, v63, v153
	v_add_f32_e32 v68, v68, v69
	s_waitcnt vmcnt(8) lgkmcnt(0)
	v_mul_f32_e32 v69, v64, v156
	v_fmac_f32_e32 v69, v65, v155
	s_waitcnt vmcnt(6)
	v_mul_f32_e32 v73, v66, v158
	v_add_f32_e32 v72, v68, v69
	v_fmac_f32_e32 v73, v67, v157
	ds_read_b128 v[68:71], v1 offset:944
	v_add_f32_e32 v79, v72, v73
	ds_read_b128 v[72:75], v1 offset:960
	buffer_load_dword v85, off, s[0:3], 0 offset:484
	buffer_load_dword v84, off, s[0:3], 0 offset:480
	;; [unrolled: 1-line block ×14, first 2 shown]
	v_mul_f32_e32 v23, v23, v78
	v_fma_f32 v22, v22, v105, -v23
	v_mul_f32_e32 v23, v25, v80
	v_add_f32_e32 v22, 0, v22
	v_fma_f32 v23, v24, v104, -v23
	v_mul_f32_e32 v19, v19, v100
	v_add_f32_e32 v22, v22, v23
	;; [unrolled: 3-line block ×7, first 2 shown]
	v_fma_f32 v7, v8, v113, -v7
	v_add_f32_e32 v6, v6, v7
	v_mul_f32_e32 v7, v11, v114
	v_fma_f32 v7, v10, v112, -v7
	v_add_f32_e32 v6, v6, v7
	v_mul_f32_e32 v7, v13, v115
	v_fma_f32 v7, v12, v111, -v7
	v_mul_f32_e32 v3, v3, v116
	v_add_f32_e32 v6, v6, v7
	v_fma_f32 v2, v2, v110, -v3
	v_mul_f32_e32 v3, v5, v118
	v_add_f32_e32 v2, v6, v2
	v_fma_f32 v3, v4, v117, -v3
	v_add_f32_e32 v2, v2, v3
	v_mul_f32_e32 v3, v29, v120
	v_fma_f32 v3, v28, v119, -v3
	v_add_f32_e32 v2, v2, v3
	v_mul_f32_e32 v3, v31, v122
	;; [unrolled: 3-line block ×20, first 2 shown]
	v_fma_f32 v3, v66, v157, -v3
	s_waitcnt vmcnt(15)
	v_mov_b32_e32 v16, v77
	s_waitcnt lgkmcnt(1)
	v_mul_f32_e32 v81, v68, v160
	v_add_f32_e32 v78, v2, v3
	v_mul_f32_e32 v2, v69, v160
	s_waitcnt lgkmcnt(0)
	v_pk_mul_f32 v[16:17], v[72:73], v[16:17] op_sel_hi:[1,0]
	v_fmac_f32_e32 v81, v69, v159
	v_mul_f32_e32 v83, v70, v162
	v_fma_f32 v80, v68, v159, -v2
	v_mul_f32_e32 v2, v71, v162
	s_waitcnt vmcnt(14)
	v_pk_fma_f32 v[18:19], v[72:73], v[76:77], v[16:17] op_sel:[0,0,1] op_sel_hi:[1,1,0] neg_lo:[0,0,1] neg_hi:[0,0,1]
	v_pk_fma_f32 v[16:17], v[72:73], v[76:77], v[16:17] op_sel:[0,0,1] op_sel_hi:[1,0,0]
	v_fmac_f32_e32 v83, v71, v161
	v_fma_f32 v82, v70, v161, -v2
	v_pk_add_f32 v[14:15], v[78:79], v[80:81]
	s_waitcnt vmcnt(7)
	v_mov_b32_e32 v16, v91
	ds_read_b128 v[2:5], v1 offset:976
	ds_read_b128 v[6:9], v1 offset:992
	;; [unrolled: 1-line block ×3, first 2 shown]
	v_pk_add_f32 v[14:15], v[14:15], v[82:83]
	v_mov_b32_e32 v19, v17
	v_pk_mul_f32 v[16:17], v[74:75], v[16:17] op_sel_hi:[1,0]
	v_pk_add_f32 v[14:15], v[14:15], v[18:19]
	s_waitcnt vmcnt(6)
	v_pk_fma_f32 v[18:19], v[74:75], v[90:91], v[16:17] op_sel:[0,0,1] op_sel_hi:[1,1,0] neg_lo:[0,0,1] neg_hi:[0,0,1]
	v_pk_fma_f32 v[16:17], v[74:75], v[90:91], v[16:17] op_sel:[0,0,1] op_sel_hi:[1,0,0]
	v_mov_b32_e32 v16, v89
	v_mov_b32_e32 v19, v17
	s_waitcnt lgkmcnt(2)
	v_pk_mul_f32 v[16:17], v[2:3], v[16:17] op_sel_hi:[1,0]
	v_pk_add_f32 v[14:15], v[14:15], v[18:19]
	v_pk_fma_f32 v[18:19], v[2:3], v[88:89], v[16:17] op_sel:[0,0,1] op_sel_hi:[1,1,0] neg_lo:[0,0,1] neg_hi:[0,0,1]
	v_pk_fma_f32 v[2:3], v[2:3], v[88:89], v[16:17] op_sel:[0,0,1] op_sel_hi:[1,0,0]
	v_mov_b32_e32 v19, v3
	v_pk_add_f32 v[2:3], v[14:15], v[18:19]
	v_mov_b32_e32 v14, v87
	v_pk_mul_f32 v[14:15], v[4:5], v[14:15] op_sel_hi:[1,0]
	v_pk_fma_f32 v[16:17], v[4:5], v[86:87], v[14:15] op_sel:[0,0,1] op_sel_hi:[1,1,0] neg_lo:[0,0,1] neg_hi:[0,0,1]
	v_pk_fma_f32 v[4:5], v[4:5], v[86:87], v[14:15] op_sel:[0,0,1] op_sel_hi:[1,0,0]
	v_mov_b32_e32 v4, v85
	v_mov_b32_e32 v17, v5
	s_waitcnt lgkmcnt(1)
	v_pk_mul_f32 v[4:5], v[6:7], v[4:5] op_sel_hi:[1,0]
	v_pk_fma_f32 v[14:15], v[6:7], v[84:85], v[4:5] op_sel:[0,0,1] op_sel_hi:[1,1,0] neg_lo:[0,0,1] neg_hi:[0,0,1]
	v_pk_fma_f32 v[4:5], v[6:7], v[84:85], v[4:5] op_sel:[0,0,1] op_sel_hi:[1,0,0]
	s_waitcnt vmcnt(1)
	v_mov_b32_e32 v4, v97
	v_mov_b32_e32 v15, v5
	v_pk_mul_f32 v[4:5], v[8:9], v[4:5] op_sel_hi:[1,0]
	s_waitcnt vmcnt(0)
	v_pk_fma_f32 v[6:7], v[8:9], v[96:97], v[4:5] op_sel:[0,0,1] op_sel_hi:[1,1,0] neg_lo:[0,0,1] neg_hi:[0,0,1]
	v_pk_fma_f32 v[4:5], v[8:9], v[96:97], v[4:5] op_sel:[0,0,1] op_sel_hi:[1,0,0]
	v_pk_add_f32 v[2:3], v[2:3], v[16:17]
	v_mov_b32_e32 v4, v95
	v_pk_add_f32 v[2:3], v[2:3], v[14:15]
	v_mov_b32_e32 v7, v5
	s_waitcnt lgkmcnt(0)
	v_pk_mul_f32 v[4:5], v[10:11], v[4:5] op_sel_hi:[1,0]
	v_pk_add_f32 v[2:3], v[2:3], v[6:7]
	v_pk_fma_f32 v[6:7], v[10:11], v[94:95], v[4:5] op_sel:[0,0,1] op_sel_hi:[1,1,0] neg_lo:[0,0,1] neg_hi:[0,0,1]
	v_pk_fma_f32 v[4:5], v[10:11], v[94:95], v[4:5] op_sel:[0,0,1] op_sel_hi:[1,0,0]
	v_mov_b32_e32 v4, v93
	v_mov_b32_e32 v7, v5
	v_pk_mul_f32 v[4:5], v[12:13], v[4:5] op_sel_hi:[1,0]
	v_pk_add_f32 v[2:3], v[2:3], v[6:7]
	v_pk_fma_f32 v[6:7], v[12:13], v[92:93], v[4:5] op_sel:[0,0,1] op_sel_hi:[1,1,0] neg_lo:[0,0,1] neg_hi:[0,0,1]
	v_pk_fma_f32 v[4:5], v[12:13], v[92:93], v[4:5] op_sel:[0,0,1] op_sel_hi:[1,0,0]
	v_mov_b32_e32 v7, v5
	v_pk_add_f32 v[2:3], v[2:3], v[6:7]
	v_pk_add_f32 v[2:3], v[26:27], v[2:3] neg_lo:[0,1] neg_hi:[0,1]
	buffer_store_dword v3, off, s[0:3], 0 offset:172
	buffer_store_dword v2, off, s[0:3], 0 offset:168
	s_and_saveexec_b64 s[4:5], vcc
	s_cbranch_execz .LBB127_357
; %bb.356:
	buffer_load_dword v2, off, s[0:3], 0 offset:160
	buffer_load_dword v3, off, s[0:3], 0 offset:164
	v_mov_b32_e32 v1, 0
	buffer_store_dword v1, off, s[0:3], 0 offset:160
	buffer_store_dword v1, off, s[0:3], 0 offset:164
	s_waitcnt vmcnt(2)
	ds_write_b64 v223, v[2:3]
.LBB127_357:
	s_or_b64 exec, exec, s[4:5]
	s_waitcnt lgkmcnt(0)
	; wave barrier
	s_waitcnt lgkmcnt(0)
	buffer_load_dword v76, off, s[0:3], 0 offset:172
	buffer_load_dword v78, off, s[0:3], 0 offset:180
	;; [unrolled: 1-line block ×56, first 2 shown]
	v_mov_b32_e32 v1, 0
	ds_read2_b64 v[4:7], v1 offset0:85 offset1:86
	ds_read2_b64 v[8:11], v1 offset0:87 offset1:88
	;; [unrolled: 1-line block ×6, first 2 shown]
	buffer_load_dword v149, off, s[0:3], 0 offset:384
	buffer_load_dword v150, off, s[0:3], 0 offset:388
	;; [unrolled: 1-line block ×16, first 2 shown]
	v_cmp_lt_u32_e32 vcc, 19, v0
	s_waitcnt vmcnt(62) lgkmcnt(5)
	v_mul_f32_e32 v28, v4, v76
	v_mul_f32_e32 v29, v6, v78
	s_waitcnt lgkmcnt(4)
	v_mul_f32_e32 v31, v10, v80
	s_waitcnt lgkmcnt(3)
	v_mul_f32_e32 v32, v12, v98
	v_mul_f32_e32 v33, v14, v99
	;; [unrolled: 1-line block ×3, first 2 shown]
	s_waitcnt lgkmcnt(2)
	v_mul_f32_e32 v34, v16, v101
	v_mul_f32_e32 v35, v18, v102
	s_waitcnt lgkmcnt(1)
	v_mul_f32_e32 v36, v20, v103
	v_fmac_f32_e32 v30, v9, v104
	s_waitcnt vmcnt(61)
	v_fmac_f32_e32 v29, v7, v105
	s_waitcnt vmcnt(60)
	v_fmac_f32_e32 v28, v5, v106
	v_add_f32_e32 v28, 0, v28
	v_add_f32_e32 v28, v28, v29
	;; [unrolled: 1-line block ×3, first 2 shown]
	s_waitcnt vmcnt(56)
	v_fmac_f32_e32 v31, v11, v110
	v_fmac_f32_e32 v32, v13, v109
	v_add_f32_e32 v28, v28, v31
	v_fmac_f32_e32 v33, v15, v108
	v_add_f32_e32 v28, v28, v32
	;; [unrolled: 2-line block ×3, first 2 shown]
	s_waitcnt vmcnt(52)
	v_fmac_f32_e32 v35, v19, v114
	v_add_f32_e32 v28, v28, v34
	v_add_f32_e32 v28, v28, v35
	v_fmac_f32_e32 v36, v21, v113
	s_waitcnt vmcnt(51)
	v_mul_f32_e32 v29, v22, v115
	v_add_f32_e32 v28, v28, v36
	v_fmac_f32_e32 v29, v23, v112
	v_add_f32_e32 v28, v28, v29
	s_waitcnt vmcnt(50) lgkmcnt(0)
	v_mul_f32_e32 v29, v24, v116
	v_fmac_f32_e32 v29, v25, v111
	v_add_f32_e32 v32, v28, v29
	ds_read2_b64 v[28:31], v1 offset0:97 offset1:98
	s_waitcnt vmcnt(46)
	v_mul_f32_e32 v33, v26, v118
	v_fmac_f32_e32 v33, v27, v117
	v_add_f32_e32 v36, v32, v33
	ds_read2_b64 v[32:35], v1 offset0:99 offset1:100
	s_waitcnt vmcnt(44) lgkmcnt(1)
	v_mul_f32_e32 v37, v28, v120
	v_fmac_f32_e32 v37, v29, v119
	v_add_f32_e32 v36, v36, v37
	s_waitcnt vmcnt(42)
	v_mul_f32_e32 v37, v30, v122
	v_fmac_f32_e32 v37, v31, v121
	v_add_f32_e32 v36, v36, v37
	s_waitcnt vmcnt(40) lgkmcnt(0)
	v_mul_f32_e32 v37, v32, v124
	v_fmac_f32_e32 v37, v33, v123
	v_add_f32_e32 v40, v36, v37
	ds_read2_b64 v[36:39], v1 offset0:101 offset1:102
	s_waitcnt vmcnt(38)
	v_mul_f32_e32 v41, v34, v126
	v_fmac_f32_e32 v41, v35, v125
	v_add_f32_e32 v44, v40, v41
	ds_read2_b64 v[40:43], v1 offset0:103 offset1:104
	s_waitcnt vmcnt(36) lgkmcnt(1)
	v_mul_f32_e32 v45, v36, v128
	v_fmac_f32_e32 v45, v37, v127
	v_add_f32_e32 v44, v44, v45
	s_waitcnt vmcnt(34)
	v_mul_f32_e32 v45, v38, v130
	;; [unrolled: 18-line block ×5, first 2 shown]
	v_fmac_f32_e32 v69, v63, v153
	v_add_f32_e32 v68, v68, v69
	s_waitcnt vmcnt(8) lgkmcnt(0)
	v_mul_f32_e32 v69, v64, v156
	v_fmac_f32_e32 v69, v65, v155
	s_waitcnt vmcnt(6)
	v_mul_f32_e32 v73, v66, v158
	v_add_f32_e32 v72, v68, v69
	v_fmac_f32_e32 v73, v67, v157
	ds_read2_b64 v[68:71], v1 offset0:117 offset1:118
	v_add_f32_e32 v77, v72, v73
	ds_read2_b64 v[72:75], v1 offset0:119 offset1:120
	buffer_load_dword v83, off, s[0:3], 0 offset:476
	buffer_load_dword v82, off, s[0:3], 0 offset:472
	;; [unrolled: 1-line block ×16, first 2 shown]
	v_mul_f32_e32 v5, v5, v76
	v_fma_f32 v4, v4, v106, -v5
	v_mul_f32_e32 v5, v7, v78
	v_add_f32_e32 v4, 0, v4
	v_fma_f32 v5, v6, v105, -v5
	v_add_f32_e32 v4, v4, v5
	v_mul_f32_e32 v5, v9, v100
	v_fma_f32 v5, v8, v104, -v5
	v_add_f32_e32 v4, v4, v5
	v_mul_f32_e32 v5, v11, v80
	;; [unrolled: 3-line block ×30, first 2 shown]
	v_fma_f32 v5, v66, v157, -v5
	v_add_f32_e32 v4, v4, v5
	s_waitcnt vmcnt(20) lgkmcnt(1)
	v_mul_f32_e32 v5, v69, v160
	v_mul_f32_e32 v79, v68, v160
	v_fma_f32 v5, v68, v159, -v5
	v_fmac_f32_e32 v79, v69, v159
	v_add_f32_e32 v76, v4, v5
	s_waitcnt vmcnt(18)
	v_mul_f32_e32 v4, v71, v162
	s_waitcnt vmcnt(9)
	v_mov_b32_e32 v20, v89
	v_add_f32_e32 v77, v77, v79
	v_mul_f32_e32 v79, v70, v162
	v_fma_f32 v78, v70, v161, -v4
	s_waitcnt lgkmcnt(0)
	v_mul_f32_e32 v4, v73, v164
	v_pk_mul_f32 v[20:21], v[74:75], v[20:21] op_sel_hi:[1,0]
	v_fmac_f32_e32 v79, v71, v161
	v_mul_f32_e32 v81, v72, v164
	v_fma_f32 v80, v72, v163, -v4
	ds_read2_b64 v[4:7], v1 offset0:121 offset1:122
	ds_read2_b64 v[8:11], v1 offset0:123 offset1:124
	;; [unrolled: 1-line block ×3, first 2 shown]
	ds_read_b64 v[16:17], v1 offset:1016
	s_waitcnt vmcnt(8)
	v_pk_fma_f32 v[22:23], v[74:75], v[88:89], v[20:21] op_sel:[0,0,1] op_sel_hi:[1,1,0] neg_lo:[0,0,1] neg_hi:[0,0,1]
	v_pk_fma_f32 v[20:21], v[74:75], v[88:89], v[20:21] op_sel:[0,0,1] op_sel_hi:[1,0,0]
	v_fmac_f32_e32 v81, v73, v163
	v_pk_add_f32 v[18:19], v[76:77], v[78:79]
	v_mov_b32_e32 v20, v87
	v_pk_add_f32 v[18:19], v[18:19], v[80:81]
	v_mov_b32_e32 v23, v21
	s_waitcnt lgkmcnt(3)
	v_pk_mul_f32 v[20:21], v[4:5], v[20:21] op_sel_hi:[1,0]
	v_pk_add_f32 v[18:19], v[18:19], v[22:23]
	v_pk_fma_f32 v[22:23], v[4:5], v[86:87], v[20:21] op_sel:[0,0,1] op_sel_hi:[1,1,0] neg_lo:[0,0,1] neg_hi:[0,0,1]
	v_pk_fma_f32 v[4:5], v[4:5], v[86:87], v[20:21] op_sel:[0,0,1] op_sel_hi:[1,0,0]
	v_mov_b32_e32 v23, v5
	v_pk_add_f32 v[4:5], v[18:19], v[22:23]
	v_mov_b32_e32 v18, v85
	v_pk_mul_f32 v[18:19], v[6:7], v[18:19] op_sel_hi:[1,0]
	v_pk_fma_f32 v[20:21], v[6:7], v[84:85], v[18:19] op_sel:[0,0,1] op_sel_hi:[1,1,0] neg_lo:[0,0,1] neg_hi:[0,0,1]
	v_pk_fma_f32 v[6:7], v[6:7], v[84:85], v[18:19] op_sel:[0,0,1] op_sel_hi:[1,0,0]
	v_mov_b32_e32 v6, v83
	v_mov_b32_e32 v21, v7
	s_waitcnt lgkmcnt(2)
	v_pk_mul_f32 v[6:7], v[8:9], v[6:7] op_sel_hi:[1,0]
	v_pk_fma_f32 v[18:19], v[8:9], v[82:83], v[6:7] op_sel:[0,0,1] op_sel_hi:[1,1,0] neg_lo:[0,0,1] neg_hi:[0,0,1]
	v_pk_fma_f32 v[6:7], v[8:9], v[82:83], v[6:7] op_sel:[0,0,1] op_sel_hi:[1,0,0]
	s_waitcnt vmcnt(1)
	v_mov_b32_e32 v6, v97
	v_mov_b32_e32 v19, v7
	v_pk_mul_f32 v[6:7], v[10:11], v[6:7] op_sel_hi:[1,0]
	s_waitcnt vmcnt(0)
	v_pk_fma_f32 v[8:9], v[10:11], v[96:97], v[6:7] op_sel:[0,0,1] op_sel_hi:[1,1,0] neg_lo:[0,0,1] neg_hi:[0,0,1]
	v_pk_fma_f32 v[6:7], v[10:11], v[96:97], v[6:7] op_sel:[0,0,1] op_sel_hi:[1,0,0]
	v_pk_add_f32 v[4:5], v[4:5], v[20:21]
	v_mov_b32_e32 v6, v95
	v_pk_add_f32 v[4:5], v[4:5], v[18:19]
	v_mov_b32_e32 v9, v7
	s_waitcnt lgkmcnt(1)
	v_pk_mul_f32 v[6:7], v[12:13], v[6:7] op_sel_hi:[1,0]
	v_pk_add_f32 v[4:5], v[4:5], v[8:9]
	v_pk_fma_f32 v[8:9], v[12:13], v[94:95], v[6:7] op_sel:[0,0,1] op_sel_hi:[1,1,0] neg_lo:[0,0,1] neg_hi:[0,0,1]
	v_pk_fma_f32 v[6:7], v[12:13], v[94:95], v[6:7] op_sel:[0,0,1] op_sel_hi:[1,0,0]
	v_mov_b32_e32 v6, v93
	v_mov_b32_e32 v9, v7
	v_pk_mul_f32 v[6:7], v[14:15], v[6:7] op_sel_hi:[1,0]
	v_pk_add_f32 v[4:5], v[4:5], v[8:9]
	v_pk_fma_f32 v[8:9], v[14:15], v[92:93], v[6:7] op_sel:[0,0,1] op_sel_hi:[1,1,0] neg_lo:[0,0,1] neg_hi:[0,0,1]
	v_pk_fma_f32 v[6:7], v[14:15], v[92:93], v[6:7] op_sel:[0,0,1] op_sel_hi:[1,0,0]
	v_mov_b32_e32 v6, v91
	v_mov_b32_e32 v9, v7
	s_waitcnt lgkmcnt(0)
	v_pk_mul_f32 v[6:7], v[16:17], v[6:7] op_sel_hi:[1,0]
	v_pk_add_f32 v[4:5], v[4:5], v[8:9]
	v_pk_fma_f32 v[8:9], v[16:17], v[90:91], v[6:7] op_sel:[0,0,1] op_sel_hi:[1,1,0] neg_lo:[0,0,1] neg_hi:[0,0,1]
	v_pk_fma_f32 v[6:7], v[16:17], v[90:91], v[6:7] op_sel:[0,0,1] op_sel_hi:[1,0,0]
	v_mov_b32_e32 v9, v7
	v_pk_add_f32 v[4:5], v[4:5], v[8:9]
	v_pk_add_f32 v[2:3], v[2:3], v[4:5] neg_lo:[0,1] neg_hi:[0,1]
	buffer_store_dword v3, off, s[0:3], 0 offset:164
	buffer_store_dword v2, off, s[0:3], 0 offset:160
	s_and_saveexec_b64 s[4:5], vcc
	s_cbranch_execz .LBB127_359
; %bb.358:
	buffer_load_dword v2, off, s[0:3], 0 offset:152
	buffer_load_dword v3, off, s[0:3], 0 offset:156
	s_waitcnt vmcnt(0)
	ds_write_b64 v223, v[2:3]
	buffer_store_dword v1, off, s[0:3], 0 offset:152
	buffer_store_dword v1, off, s[0:3], 0 offset:156
.LBB127_359:
	s_or_b64 exec, exec, s[4:5]
	s_waitcnt lgkmcnt(0)
	; wave barrier
	s_waitcnt lgkmcnt(0)
	buffer_load_dword v76, off, s[0:3], 0 offset:164
	buffer_load_dword v78, off, s[0:3], 0 offset:172
	;; [unrolled: 1-line block ×26, first 2 shown]
	ds_read_b128 v[22:25], v1 offset:672
	ds_read_b128 v[18:21], v1 offset:688
	;; [unrolled: 1-line block ×6, first 2 shown]
	buffer_load_dword v119, off, s[0:3], 0 offset:256
	buffer_load_dword v120, off, s[0:3], 0 offset:260
	;; [unrolled: 1-line block ×42, first 2 shown]
	v_cmp_lt_u32_e32 vcc, 18, v0
	s_waitcnt vmcnt(62) lgkmcnt(5)
	v_mul_f32_e32 v28, v22, v76
	v_mul_f32_e32 v29, v24, v78
	s_waitcnt lgkmcnt(4)
	v_mul_f32_e32 v31, v20, v86
	s_waitcnt lgkmcnt(3)
	v_mul_f32_e32 v32, v14, v98
	v_mul_f32_e32 v33, v16, v99
	;; [unrolled: 1-line block ×3, first 2 shown]
	s_waitcnt vmcnt(61) lgkmcnt(2)
	v_mul_f32_e32 v34, v10, v101
	s_waitcnt vmcnt(60)
	v_mul_f32_e32 v35, v12, v102
	s_waitcnt vmcnt(59) lgkmcnt(1)
	v_mul_f32_e32 v36, v6, v103
	s_waitcnt vmcnt(58)
	v_fmac_f32_e32 v30, v19, v104
	s_waitcnt vmcnt(57)
	v_fmac_f32_e32 v29, v25, v105
	;; [unrolled: 2-line block ×3, first 2 shown]
	v_add_f32_e32 v28, 0, v28
	v_add_f32_e32 v28, v28, v29
	;; [unrolled: 1-line block ×3, first 2 shown]
	s_waitcnt vmcnt(52)
	v_fmac_f32_e32 v31, v21, v110
	v_fmac_f32_e32 v32, v15, v109
	v_add_f32_e32 v28, v28, v31
	v_fmac_f32_e32 v33, v17, v108
	v_add_f32_e32 v28, v28, v32
	;; [unrolled: 2-line block ×3, first 2 shown]
	s_waitcnt vmcnt(48)
	v_fmac_f32_e32 v35, v13, v114
	v_add_f32_e32 v28, v28, v34
	v_fmac_f32_e32 v36, v7, v113
	v_add_f32_e32 v28, v28, v35
	s_waitcnt vmcnt(47)
	v_mul_f32_e32 v29, v8, v115
	v_add_f32_e32 v28, v28, v36
	v_fmac_f32_e32 v29, v9, v112
	v_add_f32_e32 v28, v28, v29
	s_waitcnt vmcnt(46) lgkmcnt(0)
	v_mul_f32_e32 v29, v2, v116
	v_fmac_f32_e32 v29, v3, v111
	v_add_f32_e32 v32, v28, v29
	ds_read_b128 v[28:31], v1 offset:768
	s_waitcnt vmcnt(42)
	v_mul_f32_e32 v33, v4, v118
	v_fmac_f32_e32 v33, v5, v117
	buffer_load_dword v161, off, s[0:3], 0 offset:424
	buffer_load_dword v162, off, s[0:3], 0 offset:428
	v_add_f32_e32 v36, v32, v33
	buffer_load_dword v163, off, s[0:3], 0 offset:432
	buffer_load_dword v164, off, s[0:3], 0 offset:436
	ds_read_b128 v[32:35], v1 offset:784
	s_waitcnt vmcnt(44) lgkmcnt(1)
	v_mul_f32_e32 v37, v28, v120
	v_fmac_f32_e32 v37, v29, v119
	v_add_f32_e32 v36, v36, v37
	s_waitcnt vmcnt(42)
	v_mul_f32_e32 v37, v30, v122
	v_fmac_f32_e32 v37, v31, v121
	v_add_f32_e32 v36, v36, v37
	s_waitcnt vmcnt(40) lgkmcnt(0)
	v_mul_f32_e32 v37, v32, v124
	v_fmac_f32_e32 v37, v33, v123
	buffer_load_dword v165, off, s[0:3], 0 offset:440
	buffer_load_dword v166, off, s[0:3], 0 offset:444
	v_add_f32_e32 v40, v36, v37
	ds_read_b128 v[36:39], v1 offset:800
	s_waitcnt vmcnt(40)
	v_mul_f32_e32 v41, v34, v126
	v_fmac_f32_e32 v41, v35, v125
	v_add_f32_e32 v44, v40, v41
	ds_read_b128 v[40:43], v1 offset:816
	s_waitcnt vmcnt(38) lgkmcnt(1)
	v_mul_f32_e32 v45, v36, v128
	v_fmac_f32_e32 v45, v37, v127
	v_add_f32_e32 v44, v44, v45
	s_waitcnt vmcnt(36)
	v_mul_f32_e32 v45, v38, v130
	v_fmac_f32_e32 v45, v39, v129
	v_add_f32_e32 v44, v44, v45
	s_waitcnt vmcnt(34) lgkmcnt(0)
	v_mul_f32_e32 v45, v40, v132
	v_fmac_f32_e32 v45, v41, v131
	v_add_f32_e32 v48, v44, v45
	ds_read_b128 v[44:47], v1 offset:832
	s_waitcnt vmcnt(32)
	v_mul_f32_e32 v49, v42, v134
	v_fmac_f32_e32 v49, v43, v133
	v_add_f32_e32 v52, v48, v49
	ds_read_b128 v[48:51], v1 offset:848
	s_waitcnt vmcnt(30) lgkmcnt(1)
	v_mul_f32_e32 v53, v44, v136
	v_fmac_f32_e32 v53, v45, v135
	v_add_f32_e32 v52, v52, v53
	s_waitcnt vmcnt(28)
	v_mul_f32_e32 v53, v46, v138
	v_fmac_f32_e32 v53, v47, v137
	v_add_f32_e32 v52, v52, v53
	s_waitcnt vmcnt(26) lgkmcnt(0)
	v_mul_f32_e32 v53, v48, v140
	v_fmac_f32_e32 v53, v49, v139
	;; [unrolled: 18-line block ×4, first 2 shown]
	s_waitcnt vmcnt(8)
	v_mul_f32_e32 v73, v66, v158
	v_add_f32_e32 v72, v68, v69
	v_fmac_f32_e32 v73, v67, v157
	ds_read_b128 v[68:71], v1 offset:928
	v_add_f32_e32 v77, v72, v73
	ds_read_b128 v[72:75], v1 offset:944
	buffer_load_dword v81, off, s[0:3], 0 offset:468
	buffer_load_dword v80, off, s[0:3], 0 offset:464
	;; [unrolled: 1-line block ×16, first 2 shown]
	v_mul_f32_e32 v23, v23, v76
	v_fma_f32 v22, v22, v106, -v23
	v_mul_f32_e32 v23, v25, v78
	v_add_f32_e32 v22, 0, v22
	v_fma_f32 v23, v24, v105, -v23
	v_mul_f32_e32 v19, v19, v100
	v_add_f32_e32 v22, v22, v23
	;; [unrolled: 3-line block ×11, first 2 shown]
	v_fma_f32 v3, v4, v117, -v3
	v_add_f32_e32 v2, v2, v3
	v_mul_f32_e32 v3, v29, v120
	v_fma_f32 v3, v28, v119, -v3
	v_add_f32_e32 v2, v2, v3
	v_mul_f32_e32 v3, v31, v122
	;; [unrolled: 3-line block ×20, first 2 shown]
	v_fma_f32 v3, v66, v157, -v3
	v_add_f32_e32 v2, v2, v3
	s_waitcnt vmcnt(22) lgkmcnt(1)
	v_mul_f32_e32 v3, v69, v160
	v_fma_f32 v3, v68, v159, -v3
	v_add_f32_e32 v2, v2, v3
	s_waitcnt vmcnt(20)
	v_mul_f32_e32 v3, v71, v162
	v_mul_f32_e32 v79, v68, v160
	v_fma_f32 v3, v70, v161, -v3
	v_fmac_f32_e32 v79, v69, v159
	v_add_f32_e32 v76, v2, v3
	s_waitcnt vmcnt(18) lgkmcnt(0)
	v_mul_f32_e32 v2, v73, v164
	v_add_f32_e32 v77, v77, v79
	v_mul_f32_e32 v79, v70, v162
	v_fma_f32 v78, v72, v163, -v2
	s_waitcnt vmcnt(16)
	v_mul_f32_e32 v2, v75, v166
	v_fmac_f32_e32 v79, v71, v161
	v_fma_f32 v86, v74, v165, -v2
	ds_read_b128 v[2:5], v1 offset:960
	ds_read_b128 v[6:9], v1 offset:976
	;; [unrolled: 1-line block ×4, first 2 shown]
	v_add_f32_e32 v77, v77, v79
	v_mul_f32_e32 v79, v72, v164
	s_waitcnt vmcnt(11)
	v_mov_b32_e32 v20, v85
	v_fmac_f32_e32 v79, v73, v163
	v_mul_f32_e32 v87, v74, v166
	s_waitcnt lgkmcnt(3)
	v_pk_mul_f32 v[20:21], v[2:3], v[20:21] op_sel_hi:[1,0]
	v_fmac_f32_e32 v87, v75, v165
	v_pk_add_f32 v[18:19], v[76:77], v[78:79]
	s_waitcnt vmcnt(10)
	v_pk_fma_f32 v[22:23], v[2:3], v[84:85], v[20:21] op_sel:[0,0,1] op_sel_hi:[1,1,0] neg_lo:[0,0,1] neg_hi:[0,0,1]
	v_pk_fma_f32 v[2:3], v[2:3], v[84:85], v[20:21] op_sel:[0,0,1] op_sel_hi:[1,0,0]
	v_pk_add_f32 v[18:19], v[18:19], v[86:87]
	v_mov_b32_e32 v23, v3
	v_pk_add_f32 v[2:3], v[18:19], v[22:23]
	v_mov_b32_e32 v18, v83
	v_pk_mul_f32 v[18:19], v[4:5], v[18:19] op_sel_hi:[1,0]
	v_pk_fma_f32 v[20:21], v[4:5], v[82:83], v[18:19] op_sel:[0,0,1] op_sel_hi:[1,1,0] neg_lo:[0,0,1] neg_hi:[0,0,1]
	v_pk_fma_f32 v[4:5], v[4:5], v[82:83], v[18:19] op_sel:[0,0,1] op_sel_hi:[1,0,0]
	v_mov_b32_e32 v4, v81
	v_mov_b32_e32 v21, v5
	s_waitcnt lgkmcnt(2)
	v_pk_mul_f32 v[4:5], v[6:7], v[4:5] op_sel_hi:[1,0]
	v_pk_fma_f32 v[18:19], v[6:7], v[80:81], v[4:5] op_sel:[0,0,1] op_sel_hi:[1,1,0] neg_lo:[0,0,1] neg_hi:[0,0,1]
	v_pk_fma_f32 v[4:5], v[6:7], v[80:81], v[4:5] op_sel:[0,0,1] op_sel_hi:[1,0,0]
	s_waitcnt vmcnt(3)
	v_mov_b32_e32 v4, v95
	v_mov_b32_e32 v19, v5
	v_pk_mul_f32 v[4:5], v[8:9], v[4:5] op_sel_hi:[1,0]
	s_waitcnt vmcnt(2)
	v_pk_fma_f32 v[6:7], v[8:9], v[94:95], v[4:5] op_sel:[0,0,1] op_sel_hi:[1,1,0] neg_lo:[0,0,1] neg_hi:[0,0,1]
	v_pk_fma_f32 v[4:5], v[8:9], v[94:95], v[4:5] op_sel:[0,0,1] op_sel_hi:[1,0,0]
	v_pk_add_f32 v[2:3], v[2:3], v[20:21]
	v_mov_b32_e32 v4, v93
	v_pk_add_f32 v[2:3], v[2:3], v[18:19]
	v_mov_b32_e32 v7, v5
	s_waitcnt lgkmcnt(1)
	v_pk_mul_f32 v[4:5], v[10:11], v[4:5] op_sel_hi:[1,0]
	v_pk_add_f32 v[2:3], v[2:3], v[6:7]
	v_pk_fma_f32 v[6:7], v[10:11], v[92:93], v[4:5] op_sel:[0,0,1] op_sel_hi:[1,1,0] neg_lo:[0,0,1] neg_hi:[0,0,1]
	v_pk_fma_f32 v[4:5], v[10:11], v[92:93], v[4:5] op_sel:[0,0,1] op_sel_hi:[1,0,0]
	v_mov_b32_e32 v4, v91
	v_mov_b32_e32 v7, v5
	v_pk_mul_f32 v[4:5], v[12:13], v[4:5] op_sel_hi:[1,0]
	v_pk_add_f32 v[2:3], v[2:3], v[6:7]
	v_pk_fma_f32 v[6:7], v[12:13], v[90:91], v[4:5] op_sel:[0,0,1] op_sel_hi:[1,1,0] neg_lo:[0,0,1] neg_hi:[0,0,1]
	v_pk_fma_f32 v[4:5], v[12:13], v[90:91], v[4:5] op_sel:[0,0,1] op_sel_hi:[1,0,0]
	v_mov_b32_e32 v4, v89
	v_mov_b32_e32 v7, v5
	s_waitcnt lgkmcnt(0)
	v_pk_mul_f32 v[4:5], v[14:15], v[4:5] op_sel_hi:[1,0]
	v_pk_add_f32 v[2:3], v[2:3], v[6:7]
	v_pk_fma_f32 v[6:7], v[14:15], v[88:89], v[4:5] op_sel:[0,0,1] op_sel_hi:[1,1,0] neg_lo:[0,0,1] neg_hi:[0,0,1]
	v_pk_fma_f32 v[4:5], v[14:15], v[88:89], v[4:5] op_sel:[0,0,1] op_sel_hi:[1,0,0]
	s_waitcnt vmcnt(1)
	v_mov_b32_e32 v4, v97
	v_mov_b32_e32 v7, v5
	v_pk_mul_f32 v[4:5], v[16:17], v[4:5] op_sel_hi:[1,0]
	v_pk_add_f32 v[2:3], v[2:3], v[6:7]
	s_waitcnt vmcnt(0)
	v_pk_fma_f32 v[6:7], v[16:17], v[96:97], v[4:5] op_sel:[0,0,1] op_sel_hi:[1,1,0] neg_lo:[0,0,1] neg_hi:[0,0,1]
	v_pk_fma_f32 v[4:5], v[16:17], v[96:97], v[4:5] op_sel:[0,0,1] op_sel_hi:[1,0,0]
	v_mov_b32_e32 v7, v5
	v_pk_add_f32 v[2:3], v[2:3], v[6:7]
	v_pk_add_f32 v[2:3], v[26:27], v[2:3] neg_lo:[0,1] neg_hi:[0,1]
	buffer_store_dword v3, off, s[0:3], 0 offset:156
	buffer_store_dword v2, off, s[0:3], 0 offset:152
	s_and_saveexec_b64 s[4:5], vcc
	s_cbranch_execz .LBB127_361
; %bb.360:
	buffer_load_dword v2, off, s[0:3], 0 offset:144
	buffer_load_dword v3, off, s[0:3], 0 offset:148
	v_mov_b32_e32 v1, 0
	buffer_store_dword v1, off, s[0:3], 0 offset:144
	buffer_store_dword v1, off, s[0:3], 0 offset:148
	s_waitcnt vmcnt(2)
	ds_write_b64 v223, v[2:3]
.LBB127_361:
	s_or_b64 exec, exec, s[4:5]
	v_mov_b32_e32 v1, 0
	s_waitcnt lgkmcnt(0)
	; wave barrier
	s_waitcnt lgkmcnt(0)
	ds_read2_b64 v[2:5], v1 offset0:83 offset1:84
	buffer_load_dword v78, off, s[0:3], 0 offset:144
	buffer_load_dword v79, off, s[0:3], 0 offset:148
	;; [unrolled: 1-line block ×16, first 2 shown]
	v_cmp_lt_u32_e32 vcc, 17, v0
	s_waitcnt vmcnt(12) lgkmcnt(0)
	v_mul_f32_e32 v6, v2, v102
	v_fmac_f32_e32 v6, v3, v80
	s_waitcnt vmcnt(10)
	v_mul_f32_e32 v7, v4, v104
	v_add_f32_e32 v6, 0, v6
	v_fmac_f32_e32 v7, v5, v82
	v_add_f32_e32 v10, v6, v7
	ds_read2_b64 v[6:9], v1 offset0:85 offset1:86
	v_mul_f32_e32 v3, v3, v102
	v_fma_f32 v2, v2, v80, -v3
	v_mul_f32_e32 v3, v5, v104
	v_add_f32_e32 v2, 0, v2
	s_waitcnt vmcnt(8) lgkmcnt(0)
	v_mul_f32_e32 v11, v6, v106
	v_fmac_f32_e32 v11, v7, v86
	v_add_f32_e32 v10, v10, v11
	s_waitcnt vmcnt(6)
	v_mul_f32_e32 v11, v8, v108
	v_fmac_f32_e32 v11, v9, v103
	v_add_f32_e32 v14, v10, v11
	ds_read2_b64 v[10:13], v1 offset0:87 offset1:88
	v_fma_f32 v3, v4, v82, -v3
	v_add_f32_e32 v2, v2, v3
	v_mul_f32_e32 v3, v7, v106
	v_fma_f32 v3, v6, v86, -v3
	s_waitcnt vmcnt(4) lgkmcnt(0)
	v_mul_f32_e32 v15, v10, v110
	v_fmac_f32_e32 v15, v11, v105
	v_add_f32_e32 v14, v14, v15
	s_waitcnt vmcnt(2)
	v_mul_f32_e32 v15, v12, v111
	v_fmac_f32_e32 v15, v13, v107
	v_add_f32_e32 v18, v14, v15
	ds_read2_b64 v[14:17], v1 offset0:89 offset1:90
	buffer_load_dword v113, off, s[0:3], 0 offset:208
	buffer_load_dword v114, off, s[0:3], 0 offset:212
	v_add_f32_e32 v2, v2, v3
	v_mul_f32_e32 v3, v9, v108
	v_fma_f32 v3, v8, v103, -v3
	s_waitcnt vmcnt(2) lgkmcnt(0)
	v_mul_f32_e32 v19, v14, v112
	v_fmac_f32_e32 v19, v15, v109
	v_add_f32_e32 v18, v18, v19
	v_add_f32_e32 v2, v2, v3
	v_mul_f32_e32 v3, v11, v110
	v_fma_f32 v3, v10, v105, -v3
	v_add_f32_e32 v2, v2, v3
	v_mul_f32_e32 v3, v13, v111
	v_fma_f32 v3, v12, v107, -v3
	;; [unrolled: 3-line block ×3, first 2 shown]
	v_add_f32_e32 v2, v2, v3
	s_waitcnt vmcnt(0)
	v_mul_f32_e32 v19, v16, v114
	v_fmac_f32_e32 v19, v17, v113
	v_add_f32_e32 v22, v18, v19
	ds_read2_b64 v[18:21], v1 offset0:91 offset1:92
	buffer_load_dword v115, off, s[0:3], 0 offset:216
	buffer_load_dword v116, off, s[0:3], 0 offset:220
	;; [unrolled: 1-line block ×4, first 2 shown]
	v_mul_f32_e32 v3, v17, v114
	v_fma_f32 v3, v16, v113, -v3
	v_add_f32_e32 v2, v2, v3
	s_waitcnt vmcnt(2) lgkmcnt(0)
	v_mul_f32_e32 v23, v18, v116
	v_fmac_f32_e32 v23, v19, v115
	v_add_f32_e32 v22, v22, v23
	s_waitcnt vmcnt(0)
	v_mul_f32_e32 v23, v20, v118
	v_fmac_f32_e32 v23, v21, v117
	v_add_f32_e32 v26, v22, v23
	ds_read2_b64 v[22:25], v1 offset0:93 offset1:94
	buffer_load_dword v119, off, s[0:3], 0 offset:232
	buffer_load_dword v120, off, s[0:3], 0 offset:236
	buffer_load_dword v121, off, s[0:3], 0 offset:240
	buffer_load_dword v122, off, s[0:3], 0 offset:244
	ds_read2_b64 v[30:33], v1 offset0:95 offset1:96
	buffer_load_dword v123, off, s[0:3], 0 offset:248
	buffer_load_dword v124, off, s[0:3], 0 offset:252
	buffer_load_dword v125, off, s[0:3], 0 offset:256
	buffer_load_dword v126, off, s[0:3], 0 offset:260
	;; [unrolled: 5-line block ×13, first 2 shown]
	v_mul_f32_e32 v3, v19, v116
	v_fma_f32 v3, v18, v115, -v3
	v_add_f32_e32 v2, v2, v3
	v_mul_f32_e32 v3, v21, v118
	v_fma_f32 v3, v20, v117, -v3
	v_add_f32_e32 v2, v2, v3
	s_waitcnt vmcnt(50) lgkmcnt(12)
	v_mul_f32_e32 v27, v22, v120
	v_fmac_f32_e32 v27, v23, v119
	v_add_f32_e32 v26, v26, v27
	s_waitcnt vmcnt(48)
	v_mul_f32_e32 v27, v24, v122
	v_fmac_f32_e32 v27, v25, v121
	v_add_f32_e32 v26, v26, v27
	s_waitcnt vmcnt(46) lgkmcnt(11)
	v_mul_f32_e32 v27, v30, v124
	v_fmac_f32_e32 v27, v31, v123
	v_add_f32_e32 v26, v26, v27
	s_waitcnt vmcnt(44)
	v_mul_f32_e32 v27, v32, v126
	v_fmac_f32_e32 v27, v33, v125
	;; [unrolled: 8-line block ×12, first 2 shown]
	v_add_f32_e32 v26, v26, v27
	s_waitcnt vmcnt(2) lgkmcnt(0)
	v_mul_f32_e32 v27, v74, v168
	v_fmac_f32_e32 v27, v75, v167
	v_add_f32_e32 v81, v26, v27
	ds_read2_b64 v[26:29], v1 offset0:119 offset1:120
	buffer_load_dword v171, off, s[0:3], 0 offset:440
	buffer_load_dword v172, off, s[0:3], 0 offset:444
	;; [unrolled: 1-line block ×18, first 2 shown]
	v_mul_f32_e32 v3, v23, v120
	v_fma_f32 v3, v22, v119, -v3
	v_add_f32_e32 v2, v2, v3
	v_mul_f32_e32 v3, v25, v122
	v_fma_f32 v3, v24, v121, -v3
	v_add_f32_e32 v2, v2, v3
	;; [unrolled: 3-line block ×25, first 2 shown]
	s_waitcnt vmcnt(18)
	v_mul_f32_e32 v2, v77, v170
	s_waitcnt vmcnt(15)
	v_mov_b32_e32 v18, v85
	v_mul_f32_e32 v83, v76, v170
	v_fma_f32 v82, v76, v169, -v2
	s_waitcnt lgkmcnt(0)
	v_mul_f32_e32 v2, v27, v172
	v_pk_mul_f32 v[18:19], v[28:29], v[18:19] op_sel_hi:[1,0]
	v_fmac_f32_e32 v83, v77, v169
	v_mul_f32_e32 v87, v26, v172
	v_fma_f32 v86, v26, v171, -v2
	ds_read2_b64 v[2:5], v1 offset0:121 offset1:122
	ds_read2_b64 v[6:9], v1 offset0:123 offset1:124
	;; [unrolled: 1-line block ×3, first 2 shown]
	ds_read_b64 v[14:15], v1 offset:1016
	s_waitcnt vmcnt(14)
	v_pk_fma_f32 v[20:21], v[28:29], v[84:85], v[18:19] op_sel:[0,0,1] op_sel_hi:[1,1,0] neg_lo:[0,0,1] neg_hi:[0,0,1]
	v_pk_fma_f32 v[18:19], v[28:29], v[84:85], v[18:19] op_sel:[0,0,1] op_sel_hi:[1,0,0]
	v_fmac_f32_e32 v87, v27, v171
	v_pk_add_f32 v[16:17], v[80:81], v[82:83]
	s_waitcnt vmcnt(13)
	v_mov_b32_e32 v18, v101
	v_pk_add_f32 v[16:17], v[16:17], v[86:87]
	v_mov_b32_e32 v21, v19
	s_waitcnt lgkmcnt(3)
	v_pk_mul_f32 v[18:19], v[2:3], v[18:19] op_sel_hi:[1,0]
	v_pk_add_f32 v[16:17], v[16:17], v[20:21]
	s_waitcnt vmcnt(12)
	v_pk_fma_f32 v[20:21], v[2:3], v[100:101], v[18:19] op_sel:[0,0,1] op_sel_hi:[1,1,0] neg_lo:[0,0,1] neg_hi:[0,0,1]
	v_pk_fma_f32 v[2:3], v[2:3], v[100:101], v[18:19] op_sel:[0,0,1] op_sel_hi:[1,0,0]
	v_mov_b32_e32 v21, v3
	v_pk_add_f32 v[2:3], v[16:17], v[20:21]
	s_waitcnt vmcnt(11)
	v_mov_b32_e32 v16, v99
	v_pk_mul_f32 v[16:17], v[4:5], v[16:17] op_sel_hi:[1,0]
	s_waitcnt vmcnt(10)
	v_pk_fma_f32 v[18:19], v[4:5], v[98:99], v[16:17] op_sel:[0,0,1] op_sel_hi:[1,1,0] neg_lo:[0,0,1] neg_hi:[0,0,1]
	v_pk_fma_f32 v[4:5], v[4:5], v[98:99], v[16:17] op_sel:[0,0,1] op_sel_hi:[1,0,0]
	s_waitcnt vmcnt(9)
	v_mov_b32_e32 v4, v97
	v_mov_b32_e32 v19, v5
	s_waitcnt lgkmcnt(2)
	v_pk_mul_f32 v[4:5], v[6:7], v[4:5] op_sel_hi:[1,0]
	s_waitcnt vmcnt(8)
	v_pk_fma_f32 v[16:17], v[6:7], v[96:97], v[4:5] op_sel:[0,0,1] op_sel_hi:[1,1,0] neg_lo:[0,0,1] neg_hi:[0,0,1]
	v_pk_fma_f32 v[4:5], v[6:7], v[96:97], v[4:5] op_sel:[0,0,1] op_sel_hi:[1,0,0]
	s_waitcnt vmcnt(7)
	v_mov_b32_e32 v4, v95
	v_mov_b32_e32 v17, v5
	v_pk_mul_f32 v[4:5], v[8:9], v[4:5] op_sel_hi:[1,0]
	s_waitcnt vmcnt(6)
	v_pk_fma_f32 v[6:7], v[8:9], v[94:95], v[4:5] op_sel:[0,0,1] op_sel_hi:[1,1,0] neg_lo:[0,0,1] neg_hi:[0,0,1]
	v_pk_fma_f32 v[4:5], v[8:9], v[94:95], v[4:5] op_sel:[0,0,1] op_sel_hi:[1,0,0]
	v_pk_add_f32 v[2:3], v[2:3], v[18:19]
	s_waitcnt vmcnt(5)
	v_mov_b32_e32 v4, v93
	v_pk_add_f32 v[2:3], v[2:3], v[16:17]
	v_mov_b32_e32 v7, v5
	s_waitcnt lgkmcnt(1)
	v_pk_mul_f32 v[4:5], v[10:11], v[4:5] op_sel_hi:[1,0]
	v_pk_add_f32 v[2:3], v[2:3], v[6:7]
	s_waitcnt vmcnt(4)
	v_pk_fma_f32 v[6:7], v[10:11], v[92:93], v[4:5] op_sel:[0,0,1] op_sel_hi:[1,1,0] neg_lo:[0,0,1] neg_hi:[0,0,1]
	v_pk_fma_f32 v[4:5], v[10:11], v[92:93], v[4:5] op_sel:[0,0,1] op_sel_hi:[1,0,0]
	s_waitcnt vmcnt(3)
	v_mov_b32_e32 v4, v91
	v_mov_b32_e32 v7, v5
	v_pk_mul_f32 v[4:5], v[12:13], v[4:5] op_sel_hi:[1,0]
	v_pk_add_f32 v[2:3], v[2:3], v[6:7]
	s_waitcnt vmcnt(2)
	v_pk_fma_f32 v[6:7], v[12:13], v[90:91], v[4:5] op_sel:[0,0,1] op_sel_hi:[1,1,0] neg_lo:[0,0,1] neg_hi:[0,0,1]
	v_pk_fma_f32 v[4:5], v[12:13], v[90:91], v[4:5] op_sel:[0,0,1] op_sel_hi:[1,0,0]
	s_waitcnt vmcnt(1)
	v_mov_b32_e32 v4, v89
	v_mov_b32_e32 v7, v5
	s_waitcnt lgkmcnt(0)
	v_pk_mul_f32 v[4:5], v[14:15], v[4:5] op_sel_hi:[1,0]
	v_pk_add_f32 v[2:3], v[2:3], v[6:7]
	s_waitcnt vmcnt(0)
	v_pk_fma_f32 v[6:7], v[14:15], v[88:89], v[4:5] op_sel:[0,0,1] op_sel_hi:[1,1,0] neg_lo:[0,0,1] neg_hi:[0,0,1]
	v_pk_fma_f32 v[4:5], v[14:15], v[88:89], v[4:5] op_sel:[0,0,1] op_sel_hi:[1,0,0]
	v_mov_b32_e32 v7, v5
	v_pk_add_f32 v[2:3], v[2:3], v[6:7]
	v_pk_add_f32 v[2:3], v[78:79], v[2:3] neg_lo:[0,1] neg_hi:[0,1]
	buffer_store_dword v3, off, s[0:3], 0 offset:148
	buffer_store_dword v2, off, s[0:3], 0 offset:144
	s_and_saveexec_b64 s[4:5], vcc
	s_cbranch_execz .LBB127_363
; %bb.362:
	buffer_load_dword v2, off, s[0:3], 0 offset:136
	buffer_load_dword v3, off, s[0:3], 0 offset:140
	s_waitcnt vmcnt(0)
	ds_write_b64 v223, v[2:3]
	buffer_store_dword v1, off, s[0:3], 0 offset:136
	buffer_store_dword v1, off, s[0:3], 0 offset:140
.LBB127_363:
	s_or_b64 exec, exec, s[4:5]
	s_waitcnt lgkmcnt(0)
	; wave barrier
	s_waitcnt lgkmcnt(0)
	buffer_load_dword v86, off, s[0:3], 0 offset:148
	buffer_load_dword v88, off, s[0:3], 0 offset:156
	;; [unrolled: 1-line block ×32, first 2 shown]
	ds_read_b128 v[22:25], v1 offset:656
	ds_read_b128 v[18:21], v1 offset:672
	;; [unrolled: 1-line block ×6, first 2 shown]
	buffer_load_dword v133, off, s[0:3], 0 offset:264
	buffer_load_dword v134, off, s[0:3], 0 offset:268
	;; [unrolled: 1-line block ×32, first 2 shown]
	v_cmp_lt_u32_e32 vcc, 16, v0
	s_waitcnt vmcnt(62) lgkmcnt(5)
	v_mul_f32_e32 v28, v22, v86
	v_mul_f32_e32 v29, v24, v88
	s_waitcnt vmcnt(61) lgkmcnt(4)
	v_mul_f32_e32 v31, v20, v90
	s_waitcnt vmcnt(60) lgkmcnt(3)
	v_mul_f32_e32 v32, v14, v106
	s_waitcnt vmcnt(59)
	v_mul_f32_e32 v33, v16, v107
	s_waitcnt vmcnt(58)
	v_mul_f32_e32 v30, v18, v108
	s_waitcnt vmcnt(57) lgkmcnt(2)
	v_mul_f32_e32 v34, v10, v109
	s_waitcnt vmcnt(56)
	v_mul_f32_e32 v35, v12, v110
	s_waitcnt vmcnt(55) lgkmcnt(1)
	v_mul_f32_e32 v36, v6, v111
	s_waitcnt vmcnt(54)
	v_mul_f32_e32 v37, v8, v112
	s_waitcnt vmcnt(53)
	v_fmac_f32_e32 v30, v19, v113
	s_waitcnt vmcnt(52)
	v_fmac_f32_e32 v29, v25, v114
	;; [unrolled: 2-line block ×3, first 2 shown]
	v_add_f32_e32 v28, 0, v28
	v_add_f32_e32 v28, v28, v29
	;; [unrolled: 1-line block ×3, first 2 shown]
	s_waitcnt vmcnt(47)
	v_fmac_f32_e32 v31, v21, v119
	v_fmac_f32_e32 v32, v15, v118
	v_add_f32_e32 v28, v28, v31
	v_fmac_f32_e32 v33, v17, v117
	v_add_f32_e32 v28, v28, v32
	;; [unrolled: 2-line block ×3, first 2 shown]
	s_waitcnt vmcnt(43)
	v_fmac_f32_e32 v35, v13, v123
	v_add_f32_e32 v28, v28, v34
	v_fmac_f32_e32 v36, v7, v122
	v_add_f32_e32 v28, v28, v35
	;; [unrolled: 2-line block ×3, first 2 shown]
	s_waitcnt vmcnt(42) lgkmcnt(0)
	v_mul_f32_e32 v29, v2, v124
	v_add_f32_e32 v28, v28, v37
	v_fmac_f32_e32 v29, v3, v120
	v_add_f32_e32 v32, v28, v29
	ds_read_b128 v[28:31], v1 offset:752
	buffer_load_dword v165, off, s[0:3], 0 offset:392
	buffer_load_dword v166, off, s[0:3], 0 offset:396
	s_waitcnt vmcnt(43)
	v_mul_f32_e32 v33, v4, v125
	s_waitcnt vmcnt(36)
	v_fmac_f32_e32 v33, v5, v132
	v_add_f32_e32 v36, v32, v33
	ds_read_b128 v[32:35], v1 offset:768
	buffer_load_dword v167, off, s[0:3], 0 offset:400
	buffer_load_dword v168, off, s[0:3], 0 offset:404
	;; [unrolled: 1-line block ×8, first 2 shown]
	s_waitcnt lgkmcnt(1)
	v_mul_f32_e32 v37, v28, v127
	v_fmac_f32_e32 v37, v29, v126
	v_add_f32_e32 v36, v36, v37
	v_mul_f32_e32 v37, v30, v129
	v_fmac_f32_e32 v37, v31, v128
	v_add_f32_e32 v36, v36, v37
	s_waitcnt lgkmcnt(0)
	v_mul_f32_e32 v37, v32, v131
	v_fmac_f32_e32 v37, v33, v130
	v_add_f32_e32 v40, v36, v37
	buffer_load_dword v175, off, s[0:3], 0 offset:432
	buffer_load_dword v176, off, s[0:3], 0 offset:436
	;; [unrolled: 1-line block ×4, first 2 shown]
	ds_read_b128 v[36:39], v1 offset:784
	s_waitcnt vmcnt(44)
	v_mul_f32_e32 v41, v34, v134
	v_fmac_f32_e32 v41, v35, v133
	v_add_f32_e32 v44, v40, v41
	ds_read_b128 v[40:43], v1 offset:800
	s_waitcnt vmcnt(42) lgkmcnt(1)
	v_mul_f32_e32 v45, v36, v136
	v_fmac_f32_e32 v45, v37, v135
	v_add_f32_e32 v44, v44, v45
	s_waitcnt vmcnt(40)
	v_mul_f32_e32 v45, v38, v138
	v_fmac_f32_e32 v45, v39, v137
	v_add_f32_e32 v44, v44, v45
	s_waitcnt vmcnt(38) lgkmcnt(0)
	v_mul_f32_e32 v45, v40, v140
	v_fmac_f32_e32 v45, v41, v139
	v_add_f32_e32 v48, v44, v45
	ds_read_b128 v[44:47], v1 offset:816
	s_waitcnt vmcnt(36)
	v_mul_f32_e32 v49, v42, v142
	v_fmac_f32_e32 v49, v43, v141
	v_add_f32_e32 v52, v48, v49
	ds_read_b128 v[48:51], v1 offset:832
	s_waitcnt vmcnt(34) lgkmcnt(1)
	v_mul_f32_e32 v53, v44, v144
	v_fmac_f32_e32 v53, v45, v143
	v_add_f32_e32 v52, v52, v53
	s_waitcnt vmcnt(32)
	v_mul_f32_e32 v53, v46, v146
	v_fmac_f32_e32 v53, v47, v145
	v_add_f32_e32 v52, v52, v53
	s_waitcnt vmcnt(30) lgkmcnt(0)
	v_mul_f32_e32 v53, v48, v148
	v_fmac_f32_e32 v53, v49, v147
	v_add_f32_e32 v56, v52, v53
	;; [unrolled: 18-line block ×4, first 2 shown]
	ds_read_b128 v[68:71], v1 offset:912
	v_mul_f32_e32 v23, v23, v86
	v_fma_f32 v22, v22, v115, -v23
	v_mul_f32_e32 v23, v25, v88
	v_add_f32_e32 v22, 0, v22
	s_waitcnt vmcnt(12)
	v_mul_f32_e32 v73, v66, v166
	v_fmac_f32_e32 v73, v67, v165
	v_add_f32_e32 v76, v72, v73
	ds_read_b128 v[72:75], v1 offset:928
	buffer_load_dword v85, off, s[0:3], 0 offset:452
	buffer_load_dword v84, off, s[0:3], 0 offset:448
	s_waitcnt vmcnt(12) lgkmcnt(1)
	v_mul_f32_e32 v77, v68, v168
	v_fmac_f32_e32 v77, v69, v167
	v_add_f32_e32 v76, v76, v77
	s_waitcnt vmcnt(10)
	v_mul_f32_e32 v77, v70, v170
	v_fmac_f32_e32 v77, v71, v169
	v_add_f32_e32 v76, v76, v77
	s_waitcnt vmcnt(8) lgkmcnt(0)
	v_mul_f32_e32 v77, v72, v172
	v_fmac_f32_e32 v77, v73, v171
	s_waitcnt vmcnt(6)
	v_mul_f32_e32 v81, v74, v174
	v_add_f32_e32 v80, v76, v77
	v_fmac_f32_e32 v81, v75, v173
	ds_read_b128 v[76:79], v1 offset:944
	v_add_f32_e32 v87, v80, v81
	ds_read_b128 v[80:83], v1 offset:960
	buffer_load_dword v93, off, s[0:3], 0 offset:484
	buffer_load_dword v92, off, s[0:3], 0 offset:480
	buffer_load_dword v95, off, s[0:3], 0 offset:476
	buffer_load_dword v94, off, s[0:3], 0 offset:472
	buffer_load_dword v97, off, s[0:3], 0 offset:468
	buffer_load_dword v96, off, s[0:3], 0 offset:464
	buffer_load_dword v99, off, s[0:3], 0 offset:460
	buffer_load_dword v98, off, s[0:3], 0 offset:456
	buffer_load_dword v101, off, s[0:3], 0 offset:508
	buffer_load_dword v100, off, s[0:3], 0 offset:504
	buffer_load_dword v103, off, s[0:3], 0 offset:500
	buffer_load_dword v102, off, s[0:3], 0 offset:496
	buffer_load_dword v105, off, s[0:3], 0 offset:492
	buffer_load_dword v104, off, s[0:3], 0 offset:488
	v_fma_f32 v23, v24, v114, -v23
	v_mul_f32_e32 v19, v19, v108
	v_add_f32_e32 v22, v22, v23
	v_fma_f32 v18, v18, v113, -v19
	v_mul_f32_e32 v19, v21, v90
	v_add_f32_e32 v18, v22, v18
	;; [unrolled: 3-line block ×10, first 2 shown]
	v_fma_f32 v3, v4, v132, -v3
	v_add_f32_e32 v2, v2, v3
	v_mul_f32_e32 v3, v29, v127
	v_fma_f32 v3, v28, v126, -v3
	v_add_f32_e32 v2, v2, v3
	v_mul_f32_e32 v3, v31, v129
	;; [unrolled: 3-line block ×24, first 2 shown]
	v_fma_f32 v3, v74, v173, -v3
	s_waitcnt vmcnt(15)
	v_mov_b32_e32 v16, v85
	s_waitcnt lgkmcnt(1)
	v_mul_f32_e32 v89, v76, v176
	v_add_f32_e32 v86, v2, v3
	v_mul_f32_e32 v2, v77, v176
	s_waitcnt lgkmcnt(0)
	v_pk_mul_f32 v[16:17], v[80:81], v[16:17] op_sel_hi:[1,0]
	v_fmac_f32_e32 v89, v77, v175
	v_mul_f32_e32 v91, v78, v178
	v_fma_f32 v88, v76, v175, -v2
	v_mul_f32_e32 v2, v79, v178
	s_waitcnt vmcnt(14)
	v_pk_fma_f32 v[18:19], v[80:81], v[84:85], v[16:17] op_sel:[0,0,1] op_sel_hi:[1,1,0] neg_lo:[0,0,1] neg_hi:[0,0,1]
	v_pk_fma_f32 v[16:17], v[80:81], v[84:85], v[16:17] op_sel:[0,0,1] op_sel_hi:[1,0,0]
	v_fmac_f32_e32 v91, v79, v177
	v_fma_f32 v90, v78, v177, -v2
	v_pk_add_f32 v[14:15], v[86:87], v[88:89]
	s_waitcnt vmcnt(7)
	v_mov_b32_e32 v16, v99
	ds_read_b128 v[2:5], v1 offset:976
	ds_read_b128 v[6:9], v1 offset:992
	;; [unrolled: 1-line block ×3, first 2 shown]
	v_pk_add_f32 v[14:15], v[14:15], v[90:91]
	v_mov_b32_e32 v19, v17
	v_pk_mul_f32 v[16:17], v[82:83], v[16:17] op_sel_hi:[1,0]
	v_pk_add_f32 v[14:15], v[14:15], v[18:19]
	s_waitcnt vmcnt(6)
	v_pk_fma_f32 v[18:19], v[82:83], v[98:99], v[16:17] op_sel:[0,0,1] op_sel_hi:[1,1,0] neg_lo:[0,0,1] neg_hi:[0,0,1]
	v_pk_fma_f32 v[16:17], v[82:83], v[98:99], v[16:17] op_sel:[0,0,1] op_sel_hi:[1,0,0]
	v_mov_b32_e32 v16, v97
	v_mov_b32_e32 v19, v17
	s_waitcnt lgkmcnt(2)
	v_pk_mul_f32 v[16:17], v[2:3], v[16:17] op_sel_hi:[1,0]
	v_pk_add_f32 v[14:15], v[14:15], v[18:19]
	v_pk_fma_f32 v[18:19], v[2:3], v[96:97], v[16:17] op_sel:[0,0,1] op_sel_hi:[1,1,0] neg_lo:[0,0,1] neg_hi:[0,0,1]
	v_pk_fma_f32 v[2:3], v[2:3], v[96:97], v[16:17] op_sel:[0,0,1] op_sel_hi:[1,0,0]
	v_mov_b32_e32 v19, v3
	v_pk_add_f32 v[2:3], v[14:15], v[18:19]
	v_mov_b32_e32 v14, v95
	v_pk_mul_f32 v[14:15], v[4:5], v[14:15] op_sel_hi:[1,0]
	v_pk_fma_f32 v[16:17], v[4:5], v[94:95], v[14:15] op_sel:[0,0,1] op_sel_hi:[1,1,0] neg_lo:[0,0,1] neg_hi:[0,0,1]
	v_pk_fma_f32 v[4:5], v[4:5], v[94:95], v[14:15] op_sel:[0,0,1] op_sel_hi:[1,0,0]
	v_mov_b32_e32 v4, v93
	v_mov_b32_e32 v17, v5
	s_waitcnt lgkmcnt(1)
	v_pk_mul_f32 v[4:5], v[6:7], v[4:5] op_sel_hi:[1,0]
	v_pk_fma_f32 v[14:15], v[6:7], v[92:93], v[4:5] op_sel:[0,0,1] op_sel_hi:[1,1,0] neg_lo:[0,0,1] neg_hi:[0,0,1]
	v_pk_fma_f32 v[4:5], v[6:7], v[92:93], v[4:5] op_sel:[0,0,1] op_sel_hi:[1,0,0]
	s_waitcnt vmcnt(1)
	v_mov_b32_e32 v4, v105
	v_mov_b32_e32 v15, v5
	v_pk_mul_f32 v[4:5], v[8:9], v[4:5] op_sel_hi:[1,0]
	s_waitcnt vmcnt(0)
	v_pk_fma_f32 v[6:7], v[8:9], v[104:105], v[4:5] op_sel:[0,0,1] op_sel_hi:[1,1,0] neg_lo:[0,0,1] neg_hi:[0,0,1]
	v_pk_fma_f32 v[4:5], v[8:9], v[104:105], v[4:5] op_sel:[0,0,1] op_sel_hi:[1,0,0]
	v_pk_add_f32 v[2:3], v[2:3], v[16:17]
	v_mov_b32_e32 v4, v103
	v_pk_add_f32 v[2:3], v[2:3], v[14:15]
	v_mov_b32_e32 v7, v5
	s_waitcnt lgkmcnt(0)
	v_pk_mul_f32 v[4:5], v[10:11], v[4:5] op_sel_hi:[1,0]
	v_pk_add_f32 v[2:3], v[2:3], v[6:7]
	v_pk_fma_f32 v[6:7], v[10:11], v[102:103], v[4:5] op_sel:[0,0,1] op_sel_hi:[1,1,0] neg_lo:[0,0,1] neg_hi:[0,0,1]
	v_pk_fma_f32 v[4:5], v[10:11], v[102:103], v[4:5] op_sel:[0,0,1] op_sel_hi:[1,0,0]
	v_mov_b32_e32 v4, v101
	v_mov_b32_e32 v7, v5
	v_pk_mul_f32 v[4:5], v[12:13], v[4:5] op_sel_hi:[1,0]
	v_pk_add_f32 v[2:3], v[2:3], v[6:7]
	v_pk_fma_f32 v[6:7], v[12:13], v[100:101], v[4:5] op_sel:[0,0,1] op_sel_hi:[1,1,0] neg_lo:[0,0,1] neg_hi:[0,0,1]
	v_pk_fma_f32 v[4:5], v[12:13], v[100:101], v[4:5] op_sel:[0,0,1] op_sel_hi:[1,0,0]
	v_mov_b32_e32 v7, v5
	v_pk_add_f32 v[2:3], v[2:3], v[6:7]
	v_pk_add_f32 v[2:3], v[26:27], v[2:3] neg_lo:[0,1] neg_hi:[0,1]
	buffer_store_dword v3, off, s[0:3], 0 offset:140
	buffer_store_dword v2, off, s[0:3], 0 offset:136
	s_and_saveexec_b64 s[4:5], vcc
	s_cbranch_execz .LBB127_365
; %bb.364:
	buffer_load_dword v2, off, s[0:3], 0 offset:128
	buffer_load_dword v3, off, s[0:3], 0 offset:132
	v_mov_b32_e32 v1, 0
	buffer_store_dword v1, off, s[0:3], 0 offset:128
	buffer_store_dword v1, off, s[0:3], 0 offset:132
	s_waitcnt vmcnt(2)
	ds_write_b64 v223, v[2:3]
.LBB127_365:
	s_or_b64 exec, exec, s[4:5]
	s_waitcnt lgkmcnt(0)
	; wave barrier
	s_waitcnt lgkmcnt(0)
	buffer_load_dword v33, off, s[0:3], 0 offset:140
	buffer_load_dword v32, off, s[0:3], 0 offset:148
	;; [unrolled: 1-line block ×48, first 2 shown]
	v_mov_b32_e32 v1, 0
	ds_read2_b64 v[22:25], v1 offset0:81 offset1:82
	ds_read2_b64 v[18:21], v1 offset0:83 offset1:84
	;; [unrolled: 1-line block ×6, first 2 shown]
	buffer_load_dword v149, off, s[0:3], 0 offset:320
	buffer_load_dword v150, off, s[0:3], 0 offset:324
	;; [unrolled: 1-line block ×12, first 2 shown]
	v_cmp_lt_u32_e32 vcc, 15, v0
	s_waitcnt vmcnt(59) lgkmcnt(5)
	v_mul_f32_e32 v35, v22, v33
	s_waitcnt vmcnt(58)
	v_mul_f32_e32 v36, v24, v32
	s_waitcnt vmcnt(57) lgkmcnt(4)
	v_mul_f32_e32 v38, v20, v31
	s_waitcnt vmcnt(56) lgkmcnt(3)
	v_mul_f32_e32 v39, v14, v30
	s_waitcnt vmcnt(55)
	v_mul_f32_e32 v40, v16, v28
	s_waitcnt vmcnt(54)
	v_mul_f32_e32 v37, v18, v34
	s_waitcnt vmcnt(53) lgkmcnt(2)
	v_mul_f32_e32 v41, v10, v29
	s_waitcnt vmcnt(52)
	v_mul_f32_e32 v42, v12, v92
	s_waitcnt vmcnt(51) lgkmcnt(1)
	v_mul_f32_e32 v43, v6, v94
	s_waitcnt vmcnt(50)
	v_mul_f32_e32 v44, v8, v112
	s_waitcnt vmcnt(49)
	v_fmac_f32_e32 v37, v19, v113
	s_waitcnt vmcnt(48)
	v_fmac_f32_e32 v36, v25, v114
	;; [unrolled: 2-line block ×3, first 2 shown]
	v_add_f32_e32 v35, 0, v35
	v_add_f32_e32 v35, v35, v36
	;; [unrolled: 1-line block ×3, first 2 shown]
	s_waitcnt vmcnt(43)
	v_fmac_f32_e32 v38, v21, v119
	v_fmac_f32_e32 v39, v15, v118
	v_add_f32_e32 v35, v35, v38
	v_fmac_f32_e32 v40, v17, v117
	v_add_f32_e32 v35, v35, v39
	;; [unrolled: 2-line block ×3, first 2 shown]
	s_waitcnt vmcnt(39)
	v_fmac_f32_e32 v42, v13, v123
	v_add_f32_e32 v35, v35, v41
	v_fmac_f32_e32 v43, v7, v122
	v_add_f32_e32 v35, v35, v42
	;; [unrolled: 2-line block ×3, first 2 shown]
	s_waitcnt vmcnt(38) lgkmcnt(0)
	v_mul_f32_e32 v36, v2, v124
	v_add_f32_e32 v35, v35, v44
	v_fmac_f32_e32 v36, v3, v120
	v_add_f32_e32 v35, v35, v36
	ds_read2_b64 v[36:39], v1 offset0:93 offset1:94
	buffer_load_dword v161, off, s[0:3], 0 offset:368
	buffer_load_dword v162, off, s[0:3], 0 offset:372
	;; [unrolled: 1-line block ×4, first 2 shown]
	s_waitcnt vmcnt(35)
	v_mul_f32_e32 v40, v4, v131
	s_waitcnt vmcnt(34)
	v_fmac_f32_e32 v40, v5, v132
	v_add_f32_e32 v35, v35, v40
	ds_read2_b64 v[40:43], v1 offset0:95 offset1:96
	buffer_load_dword v165, off, s[0:3], 0 offset:384
	buffer_load_dword v166, off, s[0:3], 0 offset:388
	;; [unrolled: 1-line block ×10, first 2 shown]
	s_waitcnt lgkmcnt(1)
	v_mul_f32_e32 v44, v36, v126
	v_fmac_f32_e32 v44, v37, v125
	v_add_f32_e32 v35, v35, v44
	v_mul_f32_e32 v44, v38, v128
	v_fmac_f32_e32 v44, v39, v127
	v_add_f32_e32 v35, v35, v44
	s_waitcnt lgkmcnt(0)
	v_mul_f32_e32 v44, v40, v130
	v_fmac_f32_e32 v44, v41, v129
	v_add_f32_e32 v35, v35, v44
	buffer_load_dword v175, off, s[0:3], 0 offset:424
	buffer_load_dword v176, off, s[0:3], 0 offset:428
	;; [unrolled: 1-line block ×6, first 2 shown]
	ds_read2_b64 v[44:47], v1 offset0:97 offset1:98
	s_waitcnt vmcnt(46)
	v_mul_f32_e32 v48, v42, v134
	v_fmac_f32_e32 v48, v43, v133
	v_add_f32_e32 v35, v35, v48
	ds_read2_b64 v[48:51], v1 offset0:99 offset1:100
	s_waitcnt vmcnt(44) lgkmcnt(1)
	v_mul_f32_e32 v52, v44, v136
	v_fmac_f32_e32 v52, v45, v135
	v_add_f32_e32 v35, v35, v52
	s_waitcnt vmcnt(42)
	v_mul_f32_e32 v52, v46, v138
	v_fmac_f32_e32 v52, v47, v137
	v_add_f32_e32 v35, v35, v52
	s_waitcnt vmcnt(40) lgkmcnt(0)
	v_mul_f32_e32 v52, v48, v140
	v_fmac_f32_e32 v52, v49, v139
	v_add_f32_e32 v35, v35, v52
	ds_read2_b64 v[52:55], v1 offset0:101 offset1:102
	s_waitcnt vmcnt(38)
	v_mul_f32_e32 v56, v50, v142
	v_fmac_f32_e32 v56, v51, v141
	v_add_f32_e32 v35, v35, v56
	ds_read2_b64 v[56:59], v1 offset0:103 offset1:104
	s_waitcnt vmcnt(36) lgkmcnt(1)
	v_mul_f32_e32 v60, v52, v144
	v_fmac_f32_e32 v60, v53, v143
	v_add_f32_e32 v35, v35, v60
	s_waitcnt vmcnt(34)
	v_mul_f32_e32 v60, v54, v146
	v_fmac_f32_e32 v60, v55, v145
	v_add_f32_e32 v35, v35, v60
	s_waitcnt vmcnt(32) lgkmcnt(0)
	v_mul_f32_e32 v60, v56, v148
	v_fmac_f32_e32 v60, v57, v147
	v_add_f32_e32 v35, v35, v60
	;; [unrolled: 18-line block ×3, first 2 shown]
	ds_read2_b64 v[68:71], v1 offset0:109 offset1:110
	s_waitcnt vmcnt(22)
	v_mul_f32_e32 v72, v66, v158
	v_fmac_f32_e32 v72, v67, v157
	v_add_f32_e32 v35, v35, v72
	ds_read2_b64 v[72:75], v1 offset0:111 offset1:112
	s_waitcnt vmcnt(20) lgkmcnt(1)
	v_mul_f32_e32 v76, v68, v160
	v_fmac_f32_e32 v76, v69, v159
	v_add_f32_e32 v35, v35, v76
	v_mul_f32_e32 v23, v23, v33
	v_fma_f32 v22, v22, v115, -v23
	v_mul_f32_e32 v23, v25, v32
	v_add_f32_e32 v22, 0, v22
	v_fma_f32 v23, v24, v114, -v23
	v_mul_f32_e32 v19, v19, v34
	v_add_f32_e32 v22, v22, v23
	v_fma_f32 v18, v18, v113, -v19
	v_mul_f32_e32 v19, v21, v31
	s_waitcnt vmcnt(18)
	v_mul_f32_e32 v76, v70, v162
	v_fmac_f32_e32 v76, v71, v161
	v_add_f32_e32 v35, v35, v76
	s_waitcnt vmcnt(16) lgkmcnt(0)
	v_mul_f32_e32 v76, v72, v164
	v_fmac_f32_e32 v76, v73, v163
	v_add_f32_e32 v35, v35, v76
	ds_read2_b64 v[76:79], v1 offset0:113 offset1:114
	s_waitcnt vmcnt(14)
	v_mul_f32_e32 v80, v74, v166
	v_fmac_f32_e32 v80, v75, v165
	v_add_f32_e32 v35, v35, v80
	ds_read2_b64 v[80:83], v1 offset0:115 offset1:116
	s_waitcnt vmcnt(12) lgkmcnt(1)
	v_mul_f32_e32 v84, v76, v168
	v_fmac_f32_e32 v84, v77, v167
	v_add_f32_e32 v35, v35, v84
	s_waitcnt vmcnt(10)
	v_mul_f32_e32 v84, v78, v170
	v_fmac_f32_e32 v84, v79, v169
	v_add_f32_e32 v35, v35, v84
	s_waitcnt vmcnt(8) lgkmcnt(0)
	v_mul_f32_e32 v84, v80, v172
	v_fmac_f32_e32 v84, v81, v171
	s_waitcnt vmcnt(6)
	v_mul_f32_e32 v88, v82, v174
	v_add_f32_e32 v35, v35, v84
	v_fmac_f32_e32 v88, v83, v173
	ds_read2_b64 v[84:87], v1 offset0:117 offset1:118
	v_add_f32_e32 v35, v35, v88
	ds_read2_b64 v[88:91], v1 offset0:119 offset1:120
	buffer_load_dword v97, off, s[0:3], 0 offset:476
	buffer_load_dword v96, off, s[0:3], 0 offset:472
	;; [unrolled: 1-line block ×16, first 2 shown]
	v_add_f32_e32 v18, v22, v18
	v_fma_f32 v19, v20, v119, -v19
	v_mul_f32_e32 v15, v15, v30
	v_add_f32_e32 v18, v18, v19
	v_fma_f32 v14, v14, v118, -v15
	v_mul_f32_e32 v15, v17, v28
	;; [unrolled: 3-line block ×8, first 2 shown]
	v_add_f32_e32 v2, v6, v2
	v_fma_f32 v3, v4, v132, -v3
	v_add_f32_e32 v2, v2, v3
	v_mul_f32_e32 v3, v37, v126
	v_fma_f32 v3, v36, v125, -v3
	v_add_f32_e32 v2, v2, v3
	v_mul_f32_e32 v3, v39, v128
	;; [unrolled: 3-line block ×24, first 2 shown]
	v_fma_f32 v3, v82, v173, -v3
	v_add_f32_e32 v2, v2, v3
	s_waitcnt vmcnt(20) lgkmcnt(1)
	v_mul_f32_e32 v3, v85, v176
	v_mul_f32_e32 v93, v84, v176
	v_fma_f32 v3, v84, v175, -v3
	v_fmac_f32_e32 v93, v85, v175
	v_add_f32_e32 v34, v2, v3
	s_waitcnt vmcnt(18)
	v_mul_f32_e32 v2, v87, v178
	s_waitcnt vmcnt(9)
	v_mov_b32_e32 v18, v103
	v_add_f32_e32 v35, v35, v93
	v_mul_f32_e32 v93, v86, v178
	v_fma_f32 v92, v86, v177, -v2
	s_waitcnt lgkmcnt(0)
	v_mul_f32_e32 v2, v89, v180
	v_pk_mul_f32 v[18:19], v[90:91], v[18:19] op_sel_hi:[1,0]
	v_fmac_f32_e32 v93, v87, v177
	v_mul_f32_e32 v95, v88, v180
	v_fma_f32 v94, v88, v179, -v2
	ds_read2_b64 v[2:5], v1 offset0:121 offset1:122
	ds_read2_b64 v[6:9], v1 offset0:123 offset1:124
	;; [unrolled: 1-line block ×3, first 2 shown]
	ds_read_b64 v[14:15], v1 offset:1016
	s_waitcnt vmcnt(8)
	v_pk_fma_f32 v[20:21], v[90:91], v[102:103], v[18:19] op_sel:[0,0,1] op_sel_hi:[1,1,0] neg_lo:[0,0,1] neg_hi:[0,0,1]
	v_pk_fma_f32 v[18:19], v[90:91], v[102:103], v[18:19] op_sel:[0,0,1] op_sel_hi:[1,0,0]
	v_fmac_f32_e32 v95, v89, v179
	v_pk_add_f32 v[16:17], v[34:35], v[92:93]
	v_mov_b32_e32 v18, v101
	v_pk_add_f32 v[16:17], v[16:17], v[94:95]
	v_mov_b32_e32 v21, v19
	s_waitcnt lgkmcnt(3)
	v_pk_mul_f32 v[18:19], v[2:3], v[18:19] op_sel_hi:[1,0]
	v_pk_add_f32 v[16:17], v[16:17], v[20:21]
	v_pk_fma_f32 v[20:21], v[2:3], v[100:101], v[18:19] op_sel:[0,0,1] op_sel_hi:[1,1,0] neg_lo:[0,0,1] neg_hi:[0,0,1]
	v_pk_fma_f32 v[2:3], v[2:3], v[100:101], v[18:19] op_sel:[0,0,1] op_sel_hi:[1,0,0]
	v_mov_b32_e32 v21, v3
	v_pk_add_f32 v[2:3], v[16:17], v[20:21]
	v_mov_b32_e32 v16, v99
	v_pk_mul_f32 v[16:17], v[4:5], v[16:17] op_sel_hi:[1,0]
	v_pk_fma_f32 v[18:19], v[4:5], v[98:99], v[16:17] op_sel:[0,0,1] op_sel_hi:[1,1,0] neg_lo:[0,0,1] neg_hi:[0,0,1]
	v_pk_fma_f32 v[4:5], v[4:5], v[98:99], v[16:17] op_sel:[0,0,1] op_sel_hi:[1,0,0]
	v_mov_b32_e32 v4, v97
	v_mov_b32_e32 v19, v5
	s_waitcnt lgkmcnt(2)
	v_pk_mul_f32 v[4:5], v[6:7], v[4:5] op_sel_hi:[1,0]
	v_pk_fma_f32 v[16:17], v[6:7], v[96:97], v[4:5] op_sel:[0,0,1] op_sel_hi:[1,1,0] neg_lo:[0,0,1] neg_hi:[0,0,1]
	v_pk_fma_f32 v[4:5], v[6:7], v[96:97], v[4:5] op_sel:[0,0,1] op_sel_hi:[1,0,0]
	s_waitcnt vmcnt(1)
	v_mov_b32_e32 v4, v111
	v_mov_b32_e32 v17, v5
	v_pk_mul_f32 v[4:5], v[8:9], v[4:5] op_sel_hi:[1,0]
	s_waitcnt vmcnt(0)
	v_pk_fma_f32 v[6:7], v[8:9], v[110:111], v[4:5] op_sel:[0,0,1] op_sel_hi:[1,1,0] neg_lo:[0,0,1] neg_hi:[0,0,1]
	v_pk_fma_f32 v[4:5], v[8:9], v[110:111], v[4:5] op_sel:[0,0,1] op_sel_hi:[1,0,0]
	v_pk_add_f32 v[2:3], v[2:3], v[18:19]
	v_mov_b32_e32 v4, v109
	v_pk_add_f32 v[2:3], v[2:3], v[16:17]
	v_mov_b32_e32 v7, v5
	s_waitcnt lgkmcnt(1)
	v_pk_mul_f32 v[4:5], v[10:11], v[4:5] op_sel_hi:[1,0]
	v_pk_add_f32 v[2:3], v[2:3], v[6:7]
	v_pk_fma_f32 v[6:7], v[10:11], v[108:109], v[4:5] op_sel:[0,0,1] op_sel_hi:[1,1,0] neg_lo:[0,0,1] neg_hi:[0,0,1]
	v_pk_fma_f32 v[4:5], v[10:11], v[108:109], v[4:5] op_sel:[0,0,1] op_sel_hi:[1,0,0]
	v_mov_b32_e32 v4, v107
	v_mov_b32_e32 v7, v5
	v_pk_mul_f32 v[4:5], v[12:13], v[4:5] op_sel_hi:[1,0]
	v_pk_add_f32 v[2:3], v[2:3], v[6:7]
	v_pk_fma_f32 v[6:7], v[12:13], v[106:107], v[4:5] op_sel:[0,0,1] op_sel_hi:[1,1,0] neg_lo:[0,0,1] neg_hi:[0,0,1]
	v_pk_fma_f32 v[4:5], v[12:13], v[106:107], v[4:5] op_sel:[0,0,1] op_sel_hi:[1,0,0]
	v_mov_b32_e32 v4, v105
	v_mov_b32_e32 v7, v5
	s_waitcnt lgkmcnt(0)
	v_pk_mul_f32 v[4:5], v[14:15], v[4:5] op_sel_hi:[1,0]
	v_pk_add_f32 v[2:3], v[2:3], v[6:7]
	v_pk_fma_f32 v[6:7], v[14:15], v[104:105], v[4:5] op_sel:[0,0,1] op_sel_hi:[1,1,0] neg_lo:[0,0,1] neg_hi:[0,0,1]
	v_pk_fma_f32 v[4:5], v[14:15], v[104:105], v[4:5] op_sel:[0,0,1] op_sel_hi:[1,0,0]
	v_mov_b32_e32 v7, v5
	v_pk_add_f32 v[2:3], v[2:3], v[6:7]
	v_pk_add_f32 v[2:3], v[26:27], v[2:3] neg_lo:[0,1] neg_hi:[0,1]
	buffer_store_dword v3, off, s[0:3], 0 offset:132
	buffer_store_dword v2, off, s[0:3], 0 offset:128
	s_and_saveexec_b64 s[4:5], vcc
	s_cbranch_execz .LBB127_367
; %bb.366:
	buffer_load_dword v2, off, s[0:3], 0 offset:120
	buffer_load_dword v3, off, s[0:3], 0 offset:124
	s_waitcnt vmcnt(0)
	ds_write_b64 v223, v[2:3]
	buffer_store_dword v1, off, s[0:3], 0 offset:120
	buffer_store_dword v1, off, s[0:3], 0 offset:124
.LBB127_367:
	s_or_b64 exec, exec, s[4:5]
	s_waitcnt lgkmcnt(0)
	; wave barrier
	s_waitcnt lgkmcnt(0)
	buffer_load_dword v41, off, s[0:3], 0 offset:132
	buffer_load_dword v40, off, s[0:3], 0 offset:140
	;; [unrolled: 1-line block ×32, first 2 shown]
	ds_read_b128 v[22:25], v1 offset:640
	ds_read_b128 v[18:21], v1 offset:656
	;; [unrolled: 1-line block ×6, first 2 shown]
	buffer_load_dword v133, off, s[0:3], 0 offset:248
	buffer_load_dword v134, off, s[0:3], 0 offset:252
	;; [unrolled: 1-line block ×26, first 2 shown]
	v_cmp_lt_u32_e32 vcc, 14, v0
	s_waitcnt vmcnt(57) lgkmcnt(5)
	v_mul_f32_e32 v26, v22, v41
	s_waitcnt vmcnt(56)
	v_mul_f32_e32 v27, v24, v40
	s_waitcnt vmcnt(55) lgkmcnt(4)
	v_mul_f32_e32 v29, v20, v39
	s_waitcnt vmcnt(54) lgkmcnt(3)
	v_mul_f32_e32 v30, v14, v38
	s_waitcnt vmcnt(53)
	v_mul_f32_e32 v31, v16, v36
	s_waitcnt vmcnt(52)
	v_mul_f32_e32 v28, v18, v42
	s_waitcnt vmcnt(51) lgkmcnt(2)
	v_mul_f32_e32 v32, v10, v37
	s_waitcnt vmcnt(50)
	v_mul_f32_e32 v33, v12, v43
	s_waitcnt vmcnt(49) lgkmcnt(1)
	;; [unrolled: 4-line block ×3, first 2 shown]
	v_mul_f32_e32 v46, v2, v102
	s_waitcnt vmcnt(46)
	v_fmac_f32_e32 v28, v19, v114
	s_waitcnt vmcnt(45)
	v_fmac_f32_e32 v27, v25, v115
	;; [unrolled: 2-line block ×3, first 2 shown]
	v_add_f32_e32 v26, 0, v26
	v_add_f32_e32 v26, v26, v27
	v_add_f32_e32 v26, v26, v28
	s_waitcnt vmcnt(40)
	v_fmac_f32_e32 v29, v21, v120
	v_fmac_f32_e32 v30, v15, v119
	v_add_f32_e32 v26, v26, v29
	v_fmac_f32_e32 v31, v17, v118
	v_add_f32_e32 v26, v26, v30
	;; [unrolled: 2-line block ×3, first 2 shown]
	s_waitcnt vmcnt(36)
	v_fmac_f32_e32 v33, v13, v124
	v_add_f32_e32 v26, v26, v32
	v_fmac_f32_e32 v44, v7, v123
	v_add_f32_e32 v26, v26, v33
	;; [unrolled: 2-line block ×4, first 2 shown]
	s_waitcnt vmcnt(30)
	v_mul_f32_e32 v27, v4, v130
	v_add_f32_e32 v26, v26, v46
	s_waitcnt vmcnt(29)
	v_fmac_f32_e32 v27, v5, v131
	v_add_f32_e32 v44, v26, v27
	ds_read_b128 v[26:29], v1 offset:736
	buffer_load_dword v159, off, s[0:3], 0 offset:352
	buffer_load_dword v160, off, s[0:3], 0 offset:356
	ds_read_b128 v[30:33], v1 offset:752
	buffer_load_dword v161, off, s[0:3], 0 offset:360
	buffer_load_dword v162, off, s[0:3], 0 offset:364
	;; [unrolled: 1-line block ×14, first 2 shown]
	s_waitcnt vmcnt(44) lgkmcnt(1)
	v_mul_f32_e32 v45, v26, v132
	v_fmac_f32_e32 v45, v27, v129
	v_add_f32_e32 v44, v44, v45
	v_mul_f32_e32 v45, v28, v126
	v_fmac_f32_e32 v45, v29, v125
	v_add_f32_e32 v44, v44, v45
	s_waitcnt lgkmcnt(0)
	v_mul_f32_e32 v45, v30, v128
	v_fmac_f32_e32 v45, v31, v127
	v_add_f32_e32 v48, v44, v45
	buffer_load_dword v175, off, s[0:3], 0 offset:416
	buffer_load_dword v176, off, s[0:3], 0 offset:420
	ds_read_b128 v[44:47], v1 offset:768
	s_waitcnt vmcnt(42)
	v_mul_f32_e32 v49, v32, v134
	v_fmac_f32_e32 v49, v33, v133
	buffer_load_dword v177, off, s[0:3], 0 offset:424
	buffer_load_dword v178, off, s[0:3], 0 offset:428
	v_add_f32_e32 v52, v48, v49
	buffer_load_dword v179, off, s[0:3], 0 offset:432
	buffer_load_dword v180, off, s[0:3], 0 offset:436
	ds_read_b128 v[48:51], v1 offset:784
	s_waitcnt vmcnt(44) lgkmcnt(1)
	v_mul_f32_e32 v53, v44, v136
	v_fmac_f32_e32 v53, v45, v135
	v_add_f32_e32 v52, v52, v53
	s_waitcnt vmcnt(42)
	v_mul_f32_e32 v53, v46, v138
	v_fmac_f32_e32 v53, v47, v137
	v_add_f32_e32 v52, v52, v53
	s_waitcnt vmcnt(40) lgkmcnt(0)
	v_mul_f32_e32 v53, v48, v140
	v_fmac_f32_e32 v53, v49, v139
	buffer_load_dword v181, off, s[0:3], 0 offset:440
	buffer_load_dword v182, off, s[0:3], 0 offset:444
	v_add_f32_e32 v56, v52, v53
	ds_read_b128 v[52:55], v1 offset:800
	s_waitcnt vmcnt(40)
	v_mul_f32_e32 v57, v50, v142
	v_fmac_f32_e32 v57, v51, v141
	v_add_f32_e32 v60, v56, v57
	ds_read_b128 v[56:59], v1 offset:816
	s_waitcnt vmcnt(38) lgkmcnt(1)
	v_mul_f32_e32 v61, v52, v144
	v_fmac_f32_e32 v61, v53, v143
	v_add_f32_e32 v60, v60, v61
	s_waitcnt vmcnt(36)
	v_mul_f32_e32 v61, v54, v146
	v_fmac_f32_e32 v61, v55, v145
	v_add_f32_e32 v60, v60, v61
	s_waitcnt vmcnt(34) lgkmcnt(0)
	v_mul_f32_e32 v61, v56, v148
	v_fmac_f32_e32 v61, v57, v147
	v_add_f32_e32 v64, v60, v61
	ds_read_b128 v[60:63], v1 offset:832
	s_waitcnt vmcnt(32)
	v_mul_f32_e32 v65, v58, v150
	v_fmac_f32_e32 v65, v59, v149
	v_add_f32_e32 v68, v64, v65
	ds_read_b128 v[64:67], v1 offset:848
	s_waitcnt vmcnt(30) lgkmcnt(1)
	v_mul_f32_e32 v69, v60, v152
	v_fmac_f32_e32 v69, v61, v151
	v_add_f32_e32 v68, v68, v69
	s_waitcnt vmcnt(28)
	v_mul_f32_e32 v69, v62, v154
	v_fmac_f32_e32 v69, v63, v153
	v_add_f32_e32 v68, v68, v69
	s_waitcnt vmcnt(26) lgkmcnt(0)
	v_mul_f32_e32 v69, v64, v156
	v_fmac_f32_e32 v69, v65, v155
	v_add_f32_e32 v72, v68, v69
	ds_read_b128 v[68:71], v1 offset:864
	s_waitcnt vmcnt(24)
	v_mul_f32_e32 v73, v66, v158
	v_fmac_f32_e32 v73, v67, v157
	v_add_f32_e32 v76, v72, v73
	ds_read_b128 v[72:75], v1 offset:880
	v_mul_f32_e32 v23, v23, v41
	v_fma_f32 v22, v22, v116, -v23
	v_mul_f32_e32 v23, v25, v40
	v_add_f32_e32 v22, 0, v22
	v_fma_f32 v23, v24, v115, -v23
	v_mul_f32_e32 v19, v19, v42
	v_add_f32_e32 v22, v22, v23
	;; [unrolled: 3-line block ×3, first 2 shown]
	v_fma_f32 v19, v20, v120, -v19
	s_waitcnt vmcnt(22) lgkmcnt(1)
	v_mul_f32_e32 v77, v68, v160
	v_fmac_f32_e32 v77, v69, v159
	v_add_f32_e32 v76, v76, v77
	s_waitcnt vmcnt(20)
	v_mul_f32_e32 v77, v70, v162
	v_fmac_f32_e32 v77, v71, v161
	v_add_f32_e32 v76, v76, v77
	s_waitcnt vmcnt(18) lgkmcnt(0)
	v_mul_f32_e32 v77, v72, v164
	v_fmac_f32_e32 v77, v73, v163
	v_add_f32_e32 v80, v76, v77
	ds_read_b128 v[76:79], v1 offset:896
	s_waitcnt vmcnt(16)
	v_mul_f32_e32 v81, v74, v166
	v_fmac_f32_e32 v81, v75, v165
	v_add_f32_e32 v84, v80, v81
	ds_read_b128 v[80:83], v1 offset:912
	s_waitcnt vmcnt(14) lgkmcnt(1)
	v_mul_f32_e32 v85, v76, v168
	v_fmac_f32_e32 v85, v77, v167
	v_add_f32_e32 v84, v84, v85
	s_waitcnt vmcnt(12)
	v_mul_f32_e32 v85, v78, v170
	v_fmac_f32_e32 v85, v79, v169
	v_add_f32_e32 v84, v84, v85
	s_waitcnt vmcnt(10) lgkmcnt(0)
	v_mul_f32_e32 v85, v80, v172
	v_fmac_f32_e32 v85, v81, v171
	s_waitcnt vmcnt(8)
	v_mul_f32_e32 v89, v82, v174
	v_add_f32_e32 v88, v84, v85
	v_fmac_f32_e32 v89, v83, v173
	ds_read_b128 v[84:87], v1 offset:928
	v_add_f32_e32 v93, v88, v89
	ds_read_b128 v[88:91], v1 offset:944
	buffer_load_dword v97, off, s[0:3], 0 offset:468
	buffer_load_dword v96, off, s[0:3], 0 offset:464
	;; [unrolled: 1-line block ×16, first 2 shown]
	v_mul_f32_e32 v15, v15, v38
	v_add_f32_e32 v18, v18, v19
	v_fma_f32 v14, v14, v119, -v15
	v_mul_f32_e32 v15, v17, v36
	v_add_f32_e32 v14, v18, v14
	v_fma_f32 v15, v16, v118, -v15
	;; [unrolled: 3-line block ×8, first 2 shown]
	v_add_f32_e32 v2, v2, v3
	v_mul_f32_e32 v3, v27, v132
	v_fma_f32 v3, v26, v129, -v3
	v_add_f32_e32 v2, v2, v3
	v_mul_f32_e32 v3, v29, v126
	v_fma_f32 v3, v28, v125, -v3
	;; [unrolled: 3-line block ×24, first 2 shown]
	v_add_f32_e32 v2, v2, v3
	s_waitcnt vmcnt(22) lgkmcnt(1)
	v_mul_f32_e32 v3, v85, v176
	v_fma_f32 v3, v84, v175, -v3
	v_add_f32_e32 v2, v2, v3
	s_waitcnt vmcnt(20)
	v_mul_f32_e32 v3, v87, v178
	v_mul_f32_e32 v95, v84, v176
	v_fma_f32 v3, v86, v177, -v3
	v_fmac_f32_e32 v95, v85, v175
	v_add_f32_e32 v92, v2, v3
	s_waitcnt vmcnt(18) lgkmcnt(0)
	v_mul_f32_e32 v2, v89, v180
	v_add_f32_e32 v93, v93, v95
	v_mul_f32_e32 v95, v86, v178
	v_fma_f32 v94, v88, v179, -v2
	s_waitcnt vmcnt(16)
	v_mul_f32_e32 v2, v91, v182
	v_fmac_f32_e32 v95, v87, v177
	v_fma_f32 v102, v90, v181, -v2
	ds_read_b128 v[2:5], v1 offset:960
	ds_read_b128 v[6:9], v1 offset:976
	;; [unrolled: 1-line block ×4, first 2 shown]
	v_add_f32_e32 v93, v93, v95
	v_mul_f32_e32 v95, v88, v180
	s_waitcnt vmcnt(11)
	v_mov_b32_e32 v20, v101
	v_fmac_f32_e32 v95, v89, v179
	v_mul_f32_e32 v103, v90, v182
	s_waitcnt lgkmcnt(3)
	v_pk_mul_f32 v[20:21], v[2:3], v[20:21] op_sel_hi:[1,0]
	v_fmac_f32_e32 v103, v91, v181
	v_pk_add_f32 v[18:19], v[92:93], v[94:95]
	s_waitcnt vmcnt(10)
	v_pk_fma_f32 v[22:23], v[2:3], v[100:101], v[20:21] op_sel:[0,0,1] op_sel_hi:[1,1,0] neg_lo:[0,0,1] neg_hi:[0,0,1]
	v_pk_fma_f32 v[2:3], v[2:3], v[100:101], v[20:21] op_sel:[0,0,1] op_sel_hi:[1,0,0]
	v_pk_add_f32 v[18:19], v[18:19], v[102:103]
	v_mov_b32_e32 v23, v3
	v_pk_add_f32 v[2:3], v[18:19], v[22:23]
	v_mov_b32_e32 v18, v99
	v_pk_mul_f32 v[18:19], v[4:5], v[18:19] op_sel_hi:[1,0]
	v_pk_fma_f32 v[20:21], v[4:5], v[98:99], v[18:19] op_sel:[0,0,1] op_sel_hi:[1,1,0] neg_lo:[0,0,1] neg_hi:[0,0,1]
	v_pk_fma_f32 v[4:5], v[4:5], v[98:99], v[18:19] op_sel:[0,0,1] op_sel_hi:[1,0,0]
	v_mov_b32_e32 v4, v97
	v_mov_b32_e32 v21, v5
	s_waitcnt lgkmcnt(2)
	v_pk_mul_f32 v[4:5], v[6:7], v[4:5] op_sel_hi:[1,0]
	v_pk_fma_f32 v[18:19], v[6:7], v[96:97], v[4:5] op_sel:[0,0,1] op_sel_hi:[1,1,0] neg_lo:[0,0,1] neg_hi:[0,0,1]
	v_pk_fma_f32 v[4:5], v[6:7], v[96:97], v[4:5] op_sel:[0,0,1] op_sel_hi:[1,0,0]
	s_waitcnt vmcnt(3)
	v_mov_b32_e32 v4, v111
	v_mov_b32_e32 v19, v5
	v_pk_mul_f32 v[4:5], v[8:9], v[4:5] op_sel_hi:[1,0]
	s_waitcnt vmcnt(2)
	v_pk_fma_f32 v[6:7], v[8:9], v[110:111], v[4:5] op_sel:[0,0,1] op_sel_hi:[1,1,0] neg_lo:[0,0,1] neg_hi:[0,0,1]
	v_pk_fma_f32 v[4:5], v[8:9], v[110:111], v[4:5] op_sel:[0,0,1] op_sel_hi:[1,0,0]
	v_pk_add_f32 v[2:3], v[2:3], v[20:21]
	v_mov_b32_e32 v4, v109
	v_pk_add_f32 v[2:3], v[2:3], v[18:19]
	v_mov_b32_e32 v7, v5
	s_waitcnt lgkmcnt(1)
	v_pk_mul_f32 v[4:5], v[10:11], v[4:5] op_sel_hi:[1,0]
	v_pk_add_f32 v[2:3], v[2:3], v[6:7]
	v_pk_fma_f32 v[6:7], v[10:11], v[108:109], v[4:5] op_sel:[0,0,1] op_sel_hi:[1,1,0] neg_lo:[0,0,1] neg_hi:[0,0,1]
	v_pk_fma_f32 v[4:5], v[10:11], v[108:109], v[4:5] op_sel:[0,0,1] op_sel_hi:[1,0,0]
	v_mov_b32_e32 v4, v107
	v_mov_b32_e32 v7, v5
	v_pk_mul_f32 v[4:5], v[12:13], v[4:5] op_sel_hi:[1,0]
	v_pk_add_f32 v[2:3], v[2:3], v[6:7]
	v_pk_fma_f32 v[6:7], v[12:13], v[106:107], v[4:5] op_sel:[0,0,1] op_sel_hi:[1,1,0] neg_lo:[0,0,1] neg_hi:[0,0,1]
	v_pk_fma_f32 v[4:5], v[12:13], v[106:107], v[4:5] op_sel:[0,0,1] op_sel_hi:[1,0,0]
	v_mov_b32_e32 v4, v105
	v_mov_b32_e32 v7, v5
	s_waitcnt lgkmcnt(0)
	v_pk_mul_f32 v[4:5], v[14:15], v[4:5] op_sel_hi:[1,0]
	v_pk_add_f32 v[2:3], v[2:3], v[6:7]
	v_pk_fma_f32 v[6:7], v[14:15], v[104:105], v[4:5] op_sel:[0,0,1] op_sel_hi:[1,1,0] neg_lo:[0,0,1] neg_hi:[0,0,1]
	v_pk_fma_f32 v[4:5], v[14:15], v[104:105], v[4:5] op_sel:[0,0,1] op_sel_hi:[1,0,0]
	s_waitcnt vmcnt(1)
	v_mov_b32_e32 v4, v113
	v_mov_b32_e32 v7, v5
	v_pk_mul_f32 v[4:5], v[16:17], v[4:5] op_sel_hi:[1,0]
	v_pk_add_f32 v[2:3], v[2:3], v[6:7]
	s_waitcnt vmcnt(0)
	v_pk_fma_f32 v[6:7], v[16:17], v[112:113], v[4:5] op_sel:[0,0,1] op_sel_hi:[1,1,0] neg_lo:[0,0,1] neg_hi:[0,0,1]
	v_pk_fma_f32 v[4:5], v[16:17], v[112:113], v[4:5] op_sel:[0,0,1] op_sel_hi:[1,0,0]
	v_mov_b32_e32 v7, v5
	v_pk_add_f32 v[2:3], v[2:3], v[6:7]
	v_pk_add_f32 v[2:3], v[34:35], v[2:3] neg_lo:[0,1] neg_hi:[0,1]
	buffer_store_dword v3, off, s[0:3], 0 offset:124
	buffer_store_dword v2, off, s[0:3], 0 offset:120
	s_and_saveexec_b64 s[4:5], vcc
	s_cbranch_execz .LBB127_369
; %bb.368:
	buffer_load_dword v2, off, s[0:3], 0 offset:112
	buffer_load_dword v3, off, s[0:3], 0 offset:116
	v_mov_b32_e32 v1, 0
	buffer_store_dword v1, off, s[0:3], 0 offset:112
	buffer_store_dword v1, off, s[0:3], 0 offset:116
	s_waitcnt vmcnt(2)
	ds_write_b64 v223, v[2:3]
.LBB127_369:
	s_or_b64 exec, exec, s[4:5]
	v_mov_b32_e32 v1, 0
	s_waitcnt lgkmcnt(0)
	; wave barrier
	s_waitcnt lgkmcnt(0)
	ds_read2_b64 v[2:5], v1 offset0:79 offset1:80
	buffer_load_dword v86, off, s[0:3], 0 offset:112
	buffer_load_dword v87, off, s[0:3], 0 offset:116
	;; [unrolled: 1-line block ×16, first 2 shown]
	v_cmp_lt_u32_e32 vcc, 13, v0
	s_waitcnt vmcnt(12) lgkmcnt(0)
	v_mul_f32_e32 v6, v2, v110
	v_fmac_f32_e32 v6, v3, v88
	s_waitcnt vmcnt(10)
	v_mul_f32_e32 v7, v4, v112
	v_add_f32_e32 v6, 0, v6
	v_fmac_f32_e32 v7, v5, v90
	v_add_f32_e32 v10, v6, v7
	ds_read2_b64 v[6:9], v1 offset0:81 offset1:82
	v_mul_f32_e32 v3, v3, v110
	v_fma_f32 v2, v2, v88, -v3
	v_mul_f32_e32 v3, v5, v112
	v_add_f32_e32 v2, 0, v2
	s_waitcnt vmcnt(8) lgkmcnt(0)
	v_mul_f32_e32 v11, v6, v114
	v_fmac_f32_e32 v11, v7, v94
	v_add_f32_e32 v10, v10, v11
	s_waitcnt vmcnt(6)
	v_mul_f32_e32 v11, v8, v116
	v_fmac_f32_e32 v11, v9, v111
	v_add_f32_e32 v14, v10, v11
	ds_read2_b64 v[10:13], v1 offset0:83 offset1:84
	v_fma_f32 v3, v4, v90, -v3
	v_add_f32_e32 v2, v2, v3
	v_mul_f32_e32 v3, v7, v114
	v_fma_f32 v3, v6, v94, -v3
	s_waitcnt vmcnt(4) lgkmcnt(0)
	v_mul_f32_e32 v15, v10, v118
	v_fmac_f32_e32 v15, v11, v113
	v_add_f32_e32 v14, v14, v15
	s_waitcnt vmcnt(2)
	v_mul_f32_e32 v15, v12, v119
	v_fmac_f32_e32 v15, v13, v115
	v_add_f32_e32 v18, v14, v15
	ds_read2_b64 v[14:17], v1 offset0:85 offset1:86
	buffer_load_dword v121, off, s[0:3], 0 offset:176
	buffer_load_dword v122, off, s[0:3], 0 offset:180
	v_add_f32_e32 v2, v2, v3
	v_mul_f32_e32 v3, v9, v116
	v_fma_f32 v3, v8, v111, -v3
	s_waitcnt vmcnt(2) lgkmcnt(0)
	v_mul_f32_e32 v19, v14, v120
	v_fmac_f32_e32 v19, v15, v117
	v_add_f32_e32 v18, v18, v19
	v_add_f32_e32 v2, v2, v3
	v_mul_f32_e32 v3, v11, v118
	v_fma_f32 v3, v10, v113, -v3
	v_add_f32_e32 v2, v2, v3
	v_mul_f32_e32 v3, v13, v119
	v_fma_f32 v3, v12, v115, -v3
	;; [unrolled: 3-line block ×3, first 2 shown]
	v_add_f32_e32 v2, v2, v3
	s_waitcnt vmcnt(0)
	v_mul_f32_e32 v19, v16, v122
	v_fmac_f32_e32 v19, v17, v121
	v_add_f32_e32 v22, v18, v19
	ds_read2_b64 v[18:21], v1 offset0:87 offset1:88
	buffer_load_dword v123, off, s[0:3], 0 offset:184
	buffer_load_dword v124, off, s[0:3], 0 offset:188
	;; [unrolled: 1-line block ×4, first 2 shown]
	v_mul_f32_e32 v3, v17, v122
	v_fma_f32 v3, v16, v121, -v3
	v_add_f32_e32 v2, v2, v3
	s_waitcnt vmcnt(2) lgkmcnt(0)
	v_mul_f32_e32 v23, v18, v124
	v_fmac_f32_e32 v23, v19, v123
	v_add_f32_e32 v22, v22, v23
	s_waitcnt vmcnt(0)
	v_mul_f32_e32 v23, v20, v126
	v_fmac_f32_e32 v23, v21, v125
	v_add_f32_e32 v26, v22, v23
	ds_read2_b64 v[22:25], v1 offset0:89 offset1:90
	buffer_load_dword v127, off, s[0:3], 0 offset:200
	buffer_load_dword v128, off, s[0:3], 0 offset:204
	;; [unrolled: 1-line block ×4, first 2 shown]
	v_mul_f32_e32 v3, v19, v124
	v_fma_f32 v3, v18, v123, -v3
	v_add_f32_e32 v2, v2, v3
	v_mul_f32_e32 v3, v21, v126
	v_fma_f32 v3, v20, v125, -v3
	v_add_f32_e32 v2, v2, v3
	s_waitcnt vmcnt(2) lgkmcnt(0)
	v_mul_f32_e32 v27, v22, v128
	v_fmac_f32_e32 v27, v23, v127
	v_add_f32_e32 v26, v26, v27
	s_waitcnt vmcnt(0)
	v_mul_f32_e32 v27, v24, v130
	v_fmac_f32_e32 v27, v25, v129
	v_add_f32_e32 v30, v26, v27
	ds_read2_b64 v[26:29], v1 offset0:91 offset1:92
	buffer_load_dword v131, off, s[0:3], 0 offset:216
	buffer_load_dword v132, off, s[0:3], 0 offset:220
	;; [unrolled: 1-line block ×4, first 2 shown]
	v_mul_f32_e32 v3, v23, v128
	v_fma_f32 v3, v22, v127, -v3
	v_add_f32_e32 v2, v2, v3
	v_mul_f32_e32 v3, v25, v130
	v_fma_f32 v3, v24, v129, -v3
	v_add_f32_e32 v2, v2, v3
	s_waitcnt vmcnt(2) lgkmcnt(0)
	v_mul_f32_e32 v31, v26, v132
	v_fmac_f32_e32 v31, v27, v131
	v_add_f32_e32 v30, v30, v31
	s_waitcnt vmcnt(0)
	v_mul_f32_e32 v31, v28, v134
	v_fmac_f32_e32 v31, v29, v133
	v_add_f32_e32 v34, v30, v31
	ds_read2_b64 v[30:33], v1 offset0:93 offset1:94
	buffer_load_dword v135, off, s[0:3], 0 offset:232
	buffer_load_dword v136, off, s[0:3], 0 offset:236
	buffer_load_dword v137, off, s[0:3], 0 offset:240
	buffer_load_dword v138, off, s[0:3], 0 offset:244
	ds_read2_b64 v[38:41], v1 offset0:95 offset1:96
	buffer_load_dword v139, off, s[0:3], 0 offset:248
	buffer_load_dword v140, off, s[0:3], 0 offset:252
	buffer_load_dword v141, off, s[0:3], 0 offset:256
	buffer_load_dword v142, off, s[0:3], 0 offset:260
	;; [unrolled: 5-line block ×13, first 2 shown]
	v_mul_f32_e32 v3, v27, v132
	v_fma_f32 v3, v26, v131, -v3
	v_add_f32_e32 v2, v2, v3
	v_mul_f32_e32 v3, v29, v134
	v_fma_f32 v3, v28, v133, -v3
	v_add_f32_e32 v2, v2, v3
	s_waitcnt vmcnt(50) lgkmcnt(12)
	v_mul_f32_e32 v35, v30, v136
	v_fmac_f32_e32 v35, v31, v135
	v_add_f32_e32 v34, v34, v35
	s_waitcnt vmcnt(48)
	v_mul_f32_e32 v35, v32, v138
	v_fmac_f32_e32 v35, v33, v137
	v_add_f32_e32 v34, v34, v35
	s_waitcnt vmcnt(46) lgkmcnt(11)
	v_mul_f32_e32 v35, v38, v140
	v_fmac_f32_e32 v35, v39, v139
	v_add_f32_e32 v34, v34, v35
	s_waitcnt vmcnt(44)
	v_mul_f32_e32 v35, v40, v142
	v_fmac_f32_e32 v35, v41, v141
	;; [unrolled: 8-line block ×12, first 2 shown]
	v_add_f32_e32 v34, v34, v35
	s_waitcnt vmcnt(2) lgkmcnt(0)
	v_mul_f32_e32 v35, v82, v184
	v_fmac_f32_e32 v35, v83, v183
	v_add_f32_e32 v89, v34, v35
	ds_read2_b64 v[34:37], v1 offset0:119 offset1:120
	buffer_load_dword v187, off, s[0:3], 0 offset:440
	buffer_load_dword v188, off, s[0:3], 0 offset:444
	buffer_load_dword v93, off, s[0:3], 0 offset:452
	buffer_load_dword v92, off, s[0:3], 0 offset:448
	buffer_load_dword v109, off, s[0:3], 0 offset:460
	buffer_load_dword v108, off, s[0:3], 0 offset:456
	buffer_load_dword v107, off, s[0:3], 0 offset:468
	buffer_load_dword v106, off, s[0:3], 0 offset:464
	buffer_load_dword v105, off, s[0:3], 0 offset:476
	buffer_load_dword v104, off, s[0:3], 0 offset:472
	buffer_load_dword v103, off, s[0:3], 0 offset:484
	buffer_load_dword v102, off, s[0:3], 0 offset:480
	buffer_load_dword v101, off, s[0:3], 0 offset:492
	buffer_load_dword v100, off, s[0:3], 0 offset:488
	buffer_load_dword v99, off, s[0:3], 0 offset:500
	buffer_load_dword v98, off, s[0:3], 0 offset:496
	buffer_load_dword v97, off, s[0:3], 0 offset:508
	buffer_load_dword v96, off, s[0:3], 0 offset:504
	v_mul_f32_e32 v3, v31, v136
	v_fma_f32 v3, v30, v135, -v3
	v_add_f32_e32 v2, v2, v3
	v_mul_f32_e32 v3, v33, v138
	v_fma_f32 v3, v32, v137, -v3
	v_add_f32_e32 v2, v2, v3
	;; [unrolled: 3-line block ×25, first 2 shown]
	s_waitcnt vmcnt(18)
	v_mul_f32_e32 v2, v85, v186
	s_waitcnt vmcnt(15)
	v_mov_b32_e32 v18, v93
	v_mul_f32_e32 v91, v84, v186
	v_fma_f32 v90, v84, v185, -v2
	s_waitcnt lgkmcnt(0)
	v_mul_f32_e32 v2, v35, v188
	v_pk_mul_f32 v[18:19], v[36:37], v[18:19] op_sel_hi:[1,0]
	v_fmac_f32_e32 v91, v85, v185
	v_mul_f32_e32 v95, v34, v188
	v_fma_f32 v94, v34, v187, -v2
	ds_read2_b64 v[2:5], v1 offset0:121 offset1:122
	ds_read2_b64 v[6:9], v1 offset0:123 offset1:124
	;; [unrolled: 1-line block ×3, first 2 shown]
	ds_read_b64 v[14:15], v1 offset:1016
	s_waitcnt vmcnt(14)
	v_pk_fma_f32 v[20:21], v[36:37], v[92:93], v[18:19] op_sel:[0,0,1] op_sel_hi:[1,1,0] neg_lo:[0,0,1] neg_hi:[0,0,1]
	v_pk_fma_f32 v[18:19], v[36:37], v[92:93], v[18:19] op_sel:[0,0,1] op_sel_hi:[1,0,0]
	v_fmac_f32_e32 v95, v35, v187
	v_pk_add_f32 v[16:17], v[88:89], v[90:91]
	s_waitcnt vmcnt(13)
	v_mov_b32_e32 v18, v109
	v_pk_add_f32 v[16:17], v[16:17], v[94:95]
	v_mov_b32_e32 v21, v19
	s_waitcnt lgkmcnt(3)
	v_pk_mul_f32 v[18:19], v[2:3], v[18:19] op_sel_hi:[1,0]
	v_pk_add_f32 v[16:17], v[16:17], v[20:21]
	s_waitcnt vmcnt(12)
	v_pk_fma_f32 v[20:21], v[2:3], v[108:109], v[18:19] op_sel:[0,0,1] op_sel_hi:[1,1,0] neg_lo:[0,0,1] neg_hi:[0,0,1]
	v_pk_fma_f32 v[2:3], v[2:3], v[108:109], v[18:19] op_sel:[0,0,1] op_sel_hi:[1,0,0]
	v_mov_b32_e32 v21, v3
	v_pk_add_f32 v[2:3], v[16:17], v[20:21]
	s_waitcnt vmcnt(11)
	v_mov_b32_e32 v16, v107
	v_pk_mul_f32 v[16:17], v[4:5], v[16:17] op_sel_hi:[1,0]
	s_waitcnt vmcnt(10)
	v_pk_fma_f32 v[18:19], v[4:5], v[106:107], v[16:17] op_sel:[0,0,1] op_sel_hi:[1,1,0] neg_lo:[0,0,1] neg_hi:[0,0,1]
	v_pk_fma_f32 v[4:5], v[4:5], v[106:107], v[16:17] op_sel:[0,0,1] op_sel_hi:[1,0,0]
	s_waitcnt vmcnt(9)
	v_mov_b32_e32 v4, v105
	v_mov_b32_e32 v19, v5
	s_waitcnt lgkmcnt(2)
	v_pk_mul_f32 v[4:5], v[6:7], v[4:5] op_sel_hi:[1,0]
	s_waitcnt vmcnt(8)
	v_pk_fma_f32 v[16:17], v[6:7], v[104:105], v[4:5] op_sel:[0,0,1] op_sel_hi:[1,1,0] neg_lo:[0,0,1] neg_hi:[0,0,1]
	v_pk_fma_f32 v[4:5], v[6:7], v[104:105], v[4:5] op_sel:[0,0,1] op_sel_hi:[1,0,0]
	s_waitcnt vmcnt(7)
	v_mov_b32_e32 v4, v103
	v_mov_b32_e32 v17, v5
	v_pk_mul_f32 v[4:5], v[8:9], v[4:5] op_sel_hi:[1,0]
	s_waitcnt vmcnt(6)
	v_pk_fma_f32 v[6:7], v[8:9], v[102:103], v[4:5] op_sel:[0,0,1] op_sel_hi:[1,1,0] neg_lo:[0,0,1] neg_hi:[0,0,1]
	v_pk_fma_f32 v[4:5], v[8:9], v[102:103], v[4:5] op_sel:[0,0,1] op_sel_hi:[1,0,0]
	v_pk_add_f32 v[2:3], v[2:3], v[18:19]
	s_waitcnt vmcnt(5)
	v_mov_b32_e32 v4, v101
	v_pk_add_f32 v[2:3], v[2:3], v[16:17]
	v_mov_b32_e32 v7, v5
	s_waitcnt lgkmcnt(1)
	v_pk_mul_f32 v[4:5], v[10:11], v[4:5] op_sel_hi:[1,0]
	v_pk_add_f32 v[2:3], v[2:3], v[6:7]
	s_waitcnt vmcnt(4)
	v_pk_fma_f32 v[6:7], v[10:11], v[100:101], v[4:5] op_sel:[0,0,1] op_sel_hi:[1,1,0] neg_lo:[0,0,1] neg_hi:[0,0,1]
	v_pk_fma_f32 v[4:5], v[10:11], v[100:101], v[4:5] op_sel:[0,0,1] op_sel_hi:[1,0,0]
	s_waitcnt vmcnt(3)
	v_mov_b32_e32 v4, v99
	v_mov_b32_e32 v7, v5
	v_pk_mul_f32 v[4:5], v[12:13], v[4:5] op_sel_hi:[1,0]
	v_pk_add_f32 v[2:3], v[2:3], v[6:7]
	s_waitcnt vmcnt(2)
	v_pk_fma_f32 v[6:7], v[12:13], v[98:99], v[4:5] op_sel:[0,0,1] op_sel_hi:[1,1,0] neg_lo:[0,0,1] neg_hi:[0,0,1]
	v_pk_fma_f32 v[4:5], v[12:13], v[98:99], v[4:5] op_sel:[0,0,1] op_sel_hi:[1,0,0]
	s_waitcnt vmcnt(1)
	v_mov_b32_e32 v4, v97
	v_mov_b32_e32 v7, v5
	s_waitcnt lgkmcnt(0)
	v_pk_mul_f32 v[4:5], v[14:15], v[4:5] op_sel_hi:[1,0]
	v_pk_add_f32 v[2:3], v[2:3], v[6:7]
	s_waitcnt vmcnt(0)
	v_pk_fma_f32 v[6:7], v[14:15], v[96:97], v[4:5] op_sel:[0,0,1] op_sel_hi:[1,1,0] neg_lo:[0,0,1] neg_hi:[0,0,1]
	v_pk_fma_f32 v[4:5], v[14:15], v[96:97], v[4:5] op_sel:[0,0,1] op_sel_hi:[1,0,0]
	v_mov_b32_e32 v7, v5
	v_pk_add_f32 v[2:3], v[2:3], v[6:7]
	v_pk_add_f32 v[2:3], v[86:87], v[2:3] neg_lo:[0,1] neg_hi:[0,1]
	buffer_store_dword v3, off, s[0:3], 0 offset:116
	buffer_store_dword v2, off, s[0:3], 0 offset:112
	s_and_saveexec_b64 s[4:5], vcc
	s_cbranch_execz .LBB127_371
; %bb.370:
	buffer_load_dword v2, off, s[0:3], 0 offset:104
	buffer_load_dword v3, off, s[0:3], 0 offset:108
	s_waitcnt vmcnt(0)
	ds_write_b64 v223, v[2:3]
	buffer_store_dword v1, off, s[0:3], 0 offset:104
	buffer_store_dword v1, off, s[0:3], 0 offset:108
.LBB127_371:
	s_or_b64 exec, exec, s[4:5]
	s_waitcnt lgkmcnt(0)
	; wave barrier
	s_waitcnt lgkmcnt(0)
	buffer_load_dword v41, off, s[0:3], 0 offset:116
	buffer_load_dword v40, off, s[0:3], 0 offset:124
	;; [unrolled: 1-line block ×32, first 2 shown]
	ds_read_b128 v[22:25], v1 offset:624
	ds_read_b128 v[18:21], v1 offset:640
	;; [unrolled: 1-line block ×6, first 2 shown]
	buffer_load_dword v141, off, s[0:3], 0 offset:232
	buffer_load_dword v142, off, s[0:3], 0 offset:236
	;; [unrolled: 1-line block ×20, first 2 shown]
	v_cmp_lt_u32_e32 vcc, 12, v0
	s_waitcnt vmcnt(51) lgkmcnt(5)
	v_mul_f32_e32 v26, v22, v41
	s_waitcnt vmcnt(50)
	v_mul_f32_e32 v27, v24, v40
	s_waitcnt vmcnt(49) lgkmcnt(4)
	v_mul_f32_e32 v29, v20, v39
	s_waitcnt vmcnt(48) lgkmcnt(3)
	v_mul_f32_e32 v30, v14, v38
	s_waitcnt vmcnt(47)
	v_mul_f32_e32 v31, v16, v37
	s_waitcnt vmcnt(46) lgkmcnt(2)
	v_mul_f32_e32 v32, v10, v36
	s_waitcnt vmcnt(45)
	v_mul_f32_e32 v28, v18, v42
	s_waitcnt vmcnt(44)
	v_mul_f32_e32 v33, v12, v43
	s_waitcnt vmcnt(43) lgkmcnt(1)
	v_mul_f32_e32 v48, v6, v44
	s_waitcnt vmcnt(42)
	v_mul_f32_e32 v49, v8, v45
	s_waitcnt vmcnt(41) lgkmcnt(0)
	v_mul_f32_e32 v50, v2, v46
	s_waitcnt vmcnt(40)
	v_mul_f32_e32 v51, v4, v47
	s_waitcnt vmcnt(39)
	v_fmac_f32_e32 v28, v19, v106
	s_waitcnt vmcnt(38)
	v_fmac_f32_e32 v27, v25, v108
	;; [unrolled: 2-line block ×3, first 2 shown]
	v_add_f32_e32 v26, 0, v26
	v_add_f32_e32 v26, v26, v27
	;; [unrolled: 1-line block ×3, first 2 shown]
	s_waitcnt vmcnt(33)
	v_fmac_f32_e32 v29, v21, v129
	v_fmac_f32_e32 v30, v15, v128
	v_add_f32_e32 v26, v26, v29
	v_fmac_f32_e32 v31, v17, v127
	v_add_f32_e32 v26, v26, v30
	;; [unrolled: 2-line block ×3, first 2 shown]
	s_waitcnt vmcnt(29)
	v_fmac_f32_e32 v33, v13, v133
	v_add_f32_e32 v26, v26, v32
	v_fmac_f32_e32 v48, v7, v132
	v_add_f32_e32 v26, v26, v33
	;; [unrolled: 2-line block ×4, first 2 shown]
	v_add_f32_e32 v30, v26, v50
	ds_read_b128 v[26:29], v1 offset:720
	buffer_load_dword v161, off, s[0:3], 0 offset:312
	buffer_load_dword v162, off, s[0:3], 0 offset:316
	;; [unrolled: 1-line block ×4, first 2 shown]
	s_waitcnt vmcnt(28)
	v_fmac_f32_e32 v51, v5, v138
	v_add_f32_e32 v48, v30, v51
	ds_read_b128 v[30:33], v1 offset:736
	buffer_load_dword v165, off, s[0:3], 0 offset:328
	buffer_load_dword v166, off, s[0:3], 0 offset:332
	;; [unrolled: 1-line block ×12, first 2 shown]
	s_waitcnt vmcnt(39) lgkmcnt(1)
	v_mul_f32_e32 v49, v26, v139
	v_fmac_f32_e32 v49, v27, v137
	buffer_load_dword v177, off, s[0:3], 0 offset:376
	buffer_load_dword v178, off, s[0:3], 0 offset:380
	v_add_f32_e32 v48, v48, v49
	s_waitcnt vmcnt(40)
	v_mul_f32_e32 v49, v28, v140
	v_fmac_f32_e32 v49, v29, v136
	buffer_load_dword v179, off, s[0:3], 0 offset:384
	buffer_load_dword v180, off, s[0:3], 0 offset:388
	v_add_f32_e32 v48, v48, v49
	s_waitcnt lgkmcnt(0)
	v_mul_f32_e32 v49, v30, v135
	v_fmac_f32_e32 v49, v31, v134
	v_add_f32_e32 v52, v48, v49
	ds_read_b128 v[48:51], v1 offset:752
	buffer_load_dword v181, off, s[0:3], 0 offset:392
	buffer_load_dword v182, off, s[0:3], 0 offset:396
	s_waitcnt vmcnt(40)
	v_mul_f32_e32 v53, v32, v142
	v_fmac_f32_e32 v53, v33, v141
	v_add_f32_e32 v56, v52, v53
	ds_read_b128 v[52:55], v1 offset:768
	buffer_load_dword v183, off, s[0:3], 0 offset:400
	buffer_load_dword v184, off, s[0:3], 0 offset:404
	;; [unrolled: 1-line block ×8, first 2 shown]
	s_waitcnt vmcnt(46) lgkmcnt(1)
	v_mul_f32_e32 v57, v48, v144
	v_fmac_f32_e32 v57, v49, v143
	v_add_f32_e32 v56, v56, v57
	s_waitcnt vmcnt(44)
	v_mul_f32_e32 v57, v50, v146
	v_fmac_f32_e32 v57, v51, v145
	v_add_f32_e32 v56, v56, v57
	s_waitcnt vmcnt(42) lgkmcnt(0)
	v_mul_f32_e32 v57, v52, v148
	v_fmac_f32_e32 v57, v53, v147
	v_add_f32_e32 v60, v56, v57
	buffer_load_dword v191, off, s[0:3], 0 offset:432
	buffer_load_dword v192, off, s[0:3], 0 offset:436
	;; [unrolled: 1-line block ×4, first 2 shown]
	ds_read_b128 v[56:59], v1 offset:784
	s_waitcnt vmcnt(44)
	v_mul_f32_e32 v61, v54, v150
	v_fmac_f32_e32 v61, v55, v149
	v_add_f32_e32 v64, v60, v61
	ds_read_b128 v[60:63], v1 offset:800
	s_waitcnt vmcnt(42) lgkmcnt(1)
	v_mul_f32_e32 v65, v56, v152
	v_fmac_f32_e32 v65, v57, v151
	v_add_f32_e32 v64, v64, v65
	s_waitcnt vmcnt(40)
	v_mul_f32_e32 v65, v58, v154
	v_fmac_f32_e32 v65, v59, v153
	v_add_f32_e32 v64, v64, v65
	s_waitcnt vmcnt(38) lgkmcnt(0)
	v_mul_f32_e32 v65, v60, v156
	v_fmac_f32_e32 v65, v61, v155
	v_add_f32_e32 v68, v64, v65
	ds_read_b128 v[64:67], v1 offset:816
	s_waitcnt vmcnt(36)
	v_mul_f32_e32 v69, v62, v158
	v_fmac_f32_e32 v69, v63, v157
	v_add_f32_e32 v72, v68, v69
	ds_read_b128 v[68:71], v1 offset:832
	s_waitcnt vmcnt(34) lgkmcnt(1)
	v_mul_f32_e32 v73, v64, v160
	v_fmac_f32_e32 v73, v65, v159
	v_add_f32_e32 v72, v72, v73
	v_mul_f32_e32 v23, v23, v41
	v_fma_f32 v22, v22, v110, -v23
	v_mul_f32_e32 v23, v25, v40
	v_add_f32_e32 v22, 0, v22
	v_fma_f32 v23, v24, v108, -v23
	v_mul_f32_e32 v19, v19, v42
	v_add_f32_e32 v22, v22, v23
	;; [unrolled: 3-line block ×5, first 2 shown]
	s_waitcnt vmcnt(32)
	v_mul_f32_e32 v73, v66, v162
	v_fmac_f32_e32 v73, v67, v161
	v_add_f32_e32 v72, v72, v73
	s_waitcnt vmcnt(30) lgkmcnt(0)
	v_mul_f32_e32 v73, v68, v164
	v_fmac_f32_e32 v73, v69, v163
	v_add_f32_e32 v76, v72, v73
	ds_read_b128 v[72:75], v1 offset:848
	s_waitcnt vmcnt(28)
	v_mul_f32_e32 v77, v70, v166
	v_fmac_f32_e32 v77, v71, v165
	v_add_f32_e32 v80, v76, v77
	ds_read_b128 v[76:79], v1 offset:864
	s_waitcnt vmcnt(26) lgkmcnt(1)
	v_mul_f32_e32 v81, v72, v168
	v_fmac_f32_e32 v81, v73, v167
	v_add_f32_e32 v80, v80, v81
	s_waitcnt vmcnt(24)
	v_mul_f32_e32 v81, v74, v170
	v_fmac_f32_e32 v81, v75, v169
	v_add_f32_e32 v80, v80, v81
	s_waitcnt vmcnt(22) lgkmcnt(0)
	v_mul_f32_e32 v81, v76, v172
	v_fmac_f32_e32 v81, v77, v171
	v_add_f32_e32 v84, v80, v81
	ds_read_b128 v[80:83], v1 offset:880
	s_waitcnt vmcnt(20)
	v_mul_f32_e32 v85, v78, v174
	v_fmac_f32_e32 v85, v79, v173
	v_add_f32_e32 v88, v84, v85
	ds_read_b128 v[84:87], v1 offset:896
	s_waitcnt vmcnt(18) lgkmcnt(1)
	v_mul_f32_e32 v89, v80, v176
	v_fmac_f32_e32 v89, v81, v175
	v_add_f32_e32 v88, v88, v89
	s_waitcnt vmcnt(16)
	v_mul_f32_e32 v89, v82, v178
	v_fmac_f32_e32 v89, v83, v177
	v_add_f32_e32 v88, v88, v89
	s_waitcnt vmcnt(14) lgkmcnt(0)
	v_mul_f32_e32 v89, v84, v180
	v_fmac_f32_e32 v89, v85, v179
	v_add_f32_e32 v92, v88, v89
	ds_read_b128 v[88:91], v1 offset:912
	s_waitcnt vmcnt(12)
	v_mul_f32_e32 v93, v86, v182
	v_fmac_f32_e32 v93, v87, v181
	v_add_f32_e32 v96, v92, v93
	ds_read_b128 v[92:95], v1 offset:928
	buffer_load_dword v105, off, s[0:3], 0 offset:452
	buffer_load_dword v104, off, s[0:3], 0 offset:448
	s_waitcnt vmcnt(12) lgkmcnt(1)
	v_mul_f32_e32 v97, v88, v184
	v_fmac_f32_e32 v97, v89, v183
	v_add_f32_e32 v96, v96, v97
	s_waitcnt vmcnt(10)
	v_mul_f32_e32 v97, v90, v186
	v_fmac_f32_e32 v97, v91, v185
	v_add_f32_e32 v96, v96, v97
	s_waitcnt vmcnt(8) lgkmcnt(0)
	v_mul_f32_e32 v97, v92, v188
	v_fmac_f32_e32 v97, v93, v187
	s_waitcnt vmcnt(6)
	v_mul_f32_e32 v101, v94, v190
	v_add_f32_e32 v100, v96, v97
	v_fmac_f32_e32 v101, v95, v189
	ds_read_b128 v[96:99], v1 offset:944
	v_add_f32_e32 v107, v100, v101
	ds_read_b128 v[100:103], v1 offset:960
	buffer_load_dword v113, off, s[0:3], 0 offset:484
	buffer_load_dword v112, off, s[0:3], 0 offset:480
	;; [unrolled: 1-line block ×14, first 2 shown]
	v_fma_f32 v15, v16, v127, -v15
	v_mul_f32_e32 v11, v11, v36
	v_add_f32_e32 v14, v14, v15
	v_fma_f32 v10, v10, v126, -v11
	v_mul_f32_e32 v11, v13, v43
	v_add_f32_e32 v10, v14, v10
	;; [unrolled: 3-line block ×6, first 2 shown]
	v_fma_f32 v3, v4, v138, -v3
	v_add_f32_e32 v2, v2, v3
	v_mul_f32_e32 v3, v27, v139
	v_fma_f32 v3, v26, v137, -v3
	v_add_f32_e32 v2, v2, v3
	v_mul_f32_e32 v3, v29, v140
	;; [unrolled: 3-line block ×28, first 2 shown]
	v_fma_f32 v3, v94, v189, -v3
	s_waitcnt vmcnt(15)
	v_mov_b32_e32 v16, v105
	s_waitcnt lgkmcnt(1)
	v_mul_f32_e32 v109, v96, v192
	v_add_f32_e32 v106, v2, v3
	v_mul_f32_e32 v2, v97, v192
	s_waitcnt lgkmcnt(0)
	v_pk_mul_f32 v[16:17], v[100:101], v[16:17] op_sel_hi:[1,0]
	v_fmac_f32_e32 v109, v97, v191
	v_mul_f32_e32 v111, v98, v194
	v_fma_f32 v108, v96, v191, -v2
	v_mul_f32_e32 v2, v99, v194
	s_waitcnt vmcnt(14)
	v_pk_fma_f32 v[18:19], v[100:101], v[104:105], v[16:17] op_sel:[0,0,1] op_sel_hi:[1,1,0] neg_lo:[0,0,1] neg_hi:[0,0,1]
	v_pk_fma_f32 v[16:17], v[100:101], v[104:105], v[16:17] op_sel:[0,0,1] op_sel_hi:[1,0,0]
	v_fmac_f32_e32 v111, v99, v193
	v_fma_f32 v110, v98, v193, -v2
	v_pk_add_f32 v[14:15], v[106:107], v[108:109]
	s_waitcnt vmcnt(7)
	v_mov_b32_e32 v16, v119
	ds_read_b128 v[2:5], v1 offset:976
	ds_read_b128 v[6:9], v1 offset:992
	;; [unrolled: 1-line block ×3, first 2 shown]
	v_pk_add_f32 v[14:15], v[14:15], v[110:111]
	v_mov_b32_e32 v19, v17
	v_pk_mul_f32 v[16:17], v[102:103], v[16:17] op_sel_hi:[1,0]
	v_pk_add_f32 v[14:15], v[14:15], v[18:19]
	s_waitcnt vmcnt(6)
	v_pk_fma_f32 v[18:19], v[102:103], v[118:119], v[16:17] op_sel:[0,0,1] op_sel_hi:[1,1,0] neg_lo:[0,0,1] neg_hi:[0,0,1]
	v_pk_fma_f32 v[16:17], v[102:103], v[118:119], v[16:17] op_sel:[0,0,1] op_sel_hi:[1,0,0]
	v_mov_b32_e32 v16, v117
	v_mov_b32_e32 v19, v17
	s_waitcnt lgkmcnt(2)
	v_pk_mul_f32 v[16:17], v[2:3], v[16:17] op_sel_hi:[1,0]
	v_pk_add_f32 v[14:15], v[14:15], v[18:19]
	v_pk_fma_f32 v[18:19], v[2:3], v[116:117], v[16:17] op_sel:[0,0,1] op_sel_hi:[1,1,0] neg_lo:[0,0,1] neg_hi:[0,0,1]
	v_pk_fma_f32 v[2:3], v[2:3], v[116:117], v[16:17] op_sel:[0,0,1] op_sel_hi:[1,0,0]
	v_mov_b32_e32 v19, v3
	v_pk_add_f32 v[2:3], v[14:15], v[18:19]
	v_mov_b32_e32 v14, v115
	v_pk_mul_f32 v[14:15], v[4:5], v[14:15] op_sel_hi:[1,0]
	v_pk_fma_f32 v[16:17], v[4:5], v[114:115], v[14:15] op_sel:[0,0,1] op_sel_hi:[1,1,0] neg_lo:[0,0,1] neg_hi:[0,0,1]
	v_pk_fma_f32 v[4:5], v[4:5], v[114:115], v[14:15] op_sel:[0,0,1] op_sel_hi:[1,0,0]
	v_mov_b32_e32 v4, v113
	v_mov_b32_e32 v17, v5
	s_waitcnt lgkmcnt(1)
	v_pk_mul_f32 v[4:5], v[6:7], v[4:5] op_sel_hi:[1,0]
	v_pk_fma_f32 v[14:15], v[6:7], v[112:113], v[4:5] op_sel:[0,0,1] op_sel_hi:[1,1,0] neg_lo:[0,0,1] neg_hi:[0,0,1]
	v_pk_fma_f32 v[4:5], v[6:7], v[112:113], v[4:5] op_sel:[0,0,1] op_sel_hi:[1,0,0]
	s_waitcnt vmcnt(1)
	v_mov_b32_e32 v4, v125
	v_mov_b32_e32 v15, v5
	v_pk_mul_f32 v[4:5], v[8:9], v[4:5] op_sel_hi:[1,0]
	s_waitcnt vmcnt(0)
	v_pk_fma_f32 v[6:7], v[8:9], v[124:125], v[4:5] op_sel:[0,0,1] op_sel_hi:[1,1,0] neg_lo:[0,0,1] neg_hi:[0,0,1]
	v_pk_fma_f32 v[4:5], v[8:9], v[124:125], v[4:5] op_sel:[0,0,1] op_sel_hi:[1,0,0]
	v_pk_add_f32 v[2:3], v[2:3], v[16:17]
	v_mov_b32_e32 v4, v123
	v_pk_add_f32 v[2:3], v[2:3], v[14:15]
	v_mov_b32_e32 v7, v5
	s_waitcnt lgkmcnt(0)
	v_pk_mul_f32 v[4:5], v[10:11], v[4:5] op_sel_hi:[1,0]
	v_pk_add_f32 v[2:3], v[2:3], v[6:7]
	v_pk_fma_f32 v[6:7], v[10:11], v[122:123], v[4:5] op_sel:[0,0,1] op_sel_hi:[1,1,0] neg_lo:[0,0,1] neg_hi:[0,0,1]
	v_pk_fma_f32 v[4:5], v[10:11], v[122:123], v[4:5] op_sel:[0,0,1] op_sel_hi:[1,0,0]
	v_mov_b32_e32 v4, v121
	v_mov_b32_e32 v7, v5
	v_pk_mul_f32 v[4:5], v[12:13], v[4:5] op_sel_hi:[1,0]
	v_pk_add_f32 v[2:3], v[2:3], v[6:7]
	v_pk_fma_f32 v[6:7], v[12:13], v[120:121], v[4:5] op_sel:[0,0,1] op_sel_hi:[1,1,0] neg_lo:[0,0,1] neg_hi:[0,0,1]
	v_pk_fma_f32 v[4:5], v[12:13], v[120:121], v[4:5] op_sel:[0,0,1] op_sel_hi:[1,0,0]
	v_mov_b32_e32 v7, v5
	v_pk_add_f32 v[2:3], v[2:3], v[6:7]
	v_pk_add_f32 v[2:3], v[34:35], v[2:3] neg_lo:[0,1] neg_hi:[0,1]
	buffer_store_dword v3, off, s[0:3], 0 offset:108
	buffer_store_dword v2, off, s[0:3], 0 offset:104
	s_and_saveexec_b64 s[4:5], vcc
	s_cbranch_execz .LBB127_373
; %bb.372:
	buffer_load_dword v2, off, s[0:3], 0 offset:96
	buffer_load_dword v3, off, s[0:3], 0 offset:100
	v_mov_b32_e32 v1, 0
	buffer_store_dword v1, off, s[0:3], 0 offset:96
	buffer_store_dword v1, off, s[0:3], 0 offset:100
	s_waitcnt vmcnt(2)
	ds_write_b64 v223, v[2:3]
.LBB127_373:
	s_or_b64 exec, exec, s[4:5]
	s_waitcnt lgkmcnt(0)
	; wave barrier
	s_waitcnt lgkmcnt(0)
	buffer_load_dword v45, off, s[0:3], 0 offset:108
	buffer_load_dword v44, off, s[0:3], 0 offset:116
	;; [unrolled: 1-line block ×48, first 2 shown]
	v_mov_b32_e32 v1, 0
	ds_read2_b64 v[22:25], v1 offset0:77 offset1:78
	ds_read2_b64 v[18:21], v1 offset0:79 offset1:80
	;; [unrolled: 1-line block ×6, first 2 shown]
	buffer_load_dword v157, off, s[0:3], 0 offset:288
	buffer_load_dword v158, off, s[0:3], 0 offset:292
	v_cmp_lt_u32_e32 vcc, 11, v0
	s_waitcnt vmcnt(49) lgkmcnt(5)
	v_mul_f32_e32 v26, v22, v45
	s_waitcnt vmcnt(48)
	v_mul_f32_e32 v27, v24, v44
	s_waitcnt vmcnt(47) lgkmcnt(4)
	v_mul_f32_e32 v29, v20, v43
	s_waitcnt vmcnt(46) lgkmcnt(3)
	v_mul_f32_e32 v30, v14, v42
	s_waitcnt vmcnt(45)
	v_mul_f32_e32 v31, v16, v41
	s_waitcnt vmcnt(44) lgkmcnt(2)
	v_mul_f32_e32 v32, v10, v40
	s_waitcnt vmcnt(43)
	v_mul_f32_e32 v28, v18, v46
	s_waitcnt vmcnt(42)
	v_mul_f32_e32 v33, v12, v47
	s_waitcnt vmcnt(41) lgkmcnt(1)
	v_mul_f32_e32 v34, v6, v48
	s_waitcnt vmcnt(40)
	v_mul_f32_e32 v35, v8, v49
	s_waitcnt vmcnt(39) lgkmcnt(0)
	v_mul_f32_e32 v36, v2, v50
	s_waitcnt vmcnt(38)
	v_mul_f32_e32 v37, v4, v51
	s_waitcnt vmcnt(37)
	v_fmac_f32_e32 v28, v19, v57
	s_waitcnt vmcnt(36)
	v_fmac_f32_e32 v27, v25, v60
	;; [unrolled: 2-line block ×3, first 2 shown]
	v_add_f32_e32 v26, 0, v26
	v_add_f32_e32 v26, v26, v27
	;; [unrolled: 1-line block ×3, first 2 shown]
	s_waitcnt vmcnt(31)
	v_fmac_f32_e32 v29, v21, v62
	v_fmac_f32_e32 v30, v15, v59
	v_add_f32_e32 v26, v26, v29
	v_fmac_f32_e32 v31, v17, v56
	v_add_f32_e32 v26, v26, v30
	;; [unrolled: 2-line block ×3, first 2 shown]
	s_waitcnt vmcnt(27)
	v_fmac_f32_e32 v33, v13, v58
	v_add_f32_e32 v26, v26, v32
	v_fmac_f32_e32 v34, v7, v55
	v_add_f32_e32 v26, v26, v33
	v_fmac_f32_e32 v35, v9, v53
	v_add_f32_e32 v26, v26, v34
	v_fmac_f32_e32 v36, v3, v52
	v_add_f32_e32 v26, v26, v35
	s_waitcnt vmcnt(22)
	v_fmac_f32_e32 v37, v5, v138
	v_add_f32_e32 v26, v26, v36
	v_add_f32_e32 v34, v26, v37
	ds_read2_b64 v[26:29], v1 offset0:89 offset1:90
	buffer_load_dword v159, off, s[0:3], 0 offset:296
	buffer_load_dword v160, off, s[0:3], 0 offset:300
	ds_read2_b64 v[30:33], v1 offset0:91 offset1:92
	buffer_load_dword v161, off, s[0:3], 0 offset:304
	buffer_load_dword v162, off, s[0:3], 0 offset:308
	;; [unrolled: 1-line block ×12, first 2 shown]
	s_waitcnt vmcnt(35) lgkmcnt(1)
	v_mul_f32_e32 v35, v26, v139
	v_fmac_f32_e32 v35, v27, v137
	buffer_load_dword v173, off, s[0:3], 0 offset:352
	buffer_load_dword v174, off, s[0:3], 0 offset:356
	v_add_f32_e32 v34, v34, v35
	s_waitcnt vmcnt(36)
	v_mul_f32_e32 v35, v28, v140
	v_fmac_f32_e32 v35, v29, v136
	v_add_f32_e32 v34, v34, v35
	s_waitcnt lgkmcnt(0)
	v_mul_f32_e32 v35, v30, v118
	buffer_load_dword v175, off, s[0:3], 0 offset:360
	buffer_load_dword v176, off, s[0:3], 0 offset:364
	v_fmac_f32_e32 v35, v31, v61
	v_add_f32_e32 v63, v34, v35
	ds_read2_b64 v[34:37], v1 offset0:93 offset1:94
	buffer_load_dword v177, off, s[0:3], 0 offset:368
	buffer_load_dword v178, off, s[0:3], 0 offset:372
	;; [unrolled: 1-line block ×4, first 2 shown]
	s_waitcnt vmcnt(38)
	v_mul_f32_e32 v64, v32, v142
	v_fmac_f32_e32 v64, v33, v141
	v_add_f32_e32 v63, v63, v64
	ds_read2_b64 v[64:67], v1 offset0:95 offset1:96
	buffer_load_dword v181, off, s[0:3], 0 offset:384
	buffer_load_dword v182, off, s[0:3], 0 offset:388
	;; [unrolled: 1-line block ×10, first 2 shown]
	s_waitcnt vmcnt(46) lgkmcnt(1)
	v_mul_f32_e32 v68, v34, v144
	v_fmac_f32_e32 v68, v35, v143
	v_add_f32_e32 v63, v63, v68
	s_waitcnt vmcnt(44)
	v_mul_f32_e32 v68, v36, v146
	v_fmac_f32_e32 v68, v37, v145
	v_add_f32_e32 v63, v63, v68
	s_waitcnt vmcnt(42) lgkmcnt(0)
	v_mul_f32_e32 v68, v64, v148
	v_fmac_f32_e32 v68, v65, v147
	v_add_f32_e32 v63, v63, v68
	buffer_load_dword v191, off, s[0:3], 0 offset:424
	buffer_load_dword v192, off, s[0:3], 0 offset:428
	;; [unrolled: 1-line block ×6, first 2 shown]
	ds_read2_b64 v[68:71], v1 offset0:97 offset1:98
	s_waitcnt vmcnt(46)
	v_mul_f32_e32 v72, v66, v150
	v_fmac_f32_e32 v72, v67, v149
	v_add_f32_e32 v63, v63, v72
	ds_read2_b64 v[72:75], v1 offset0:99 offset1:100
	s_waitcnt vmcnt(44) lgkmcnt(1)
	v_mul_f32_e32 v76, v68, v152
	v_fmac_f32_e32 v76, v69, v151
	v_add_f32_e32 v63, v63, v76
	s_waitcnt vmcnt(42)
	v_mul_f32_e32 v76, v70, v154
	v_fmac_f32_e32 v76, v71, v153
	v_add_f32_e32 v63, v63, v76
	s_waitcnt vmcnt(40) lgkmcnt(0)
	v_mul_f32_e32 v76, v72, v156
	v_fmac_f32_e32 v76, v73, v155
	v_add_f32_e32 v63, v63, v76
	ds_read2_b64 v[76:79], v1 offset0:101 offset1:102
	s_waitcnt vmcnt(38)
	v_mul_f32_e32 v80, v74, v158
	v_fmac_f32_e32 v80, v75, v157
	v_add_f32_e32 v63, v63, v80
	ds_read2_b64 v[80:83], v1 offset0:103 offset1:104
	v_mul_f32_e32 v23, v23, v45
	v_fma_f32 v22, v22, v116, -v23
	v_mul_f32_e32 v23, v25, v44
	v_add_f32_e32 v22, 0, v22
	v_fma_f32 v23, v24, v60, -v23
	v_mul_f32_e32 v19, v19, v46
	v_add_f32_e32 v22, v22, v23
	v_fma_f32 v18, v18, v57, -v19
	v_mul_f32_e32 v19, v21, v43
	v_add_f32_e32 v18, v22, v18
	v_fma_f32 v19, v20, v62, -v19
	v_mul_f32_e32 v15, v15, v42
	v_add_f32_e32 v18, v18, v19
	v_fma_f32 v14, v14, v59, -v15
	v_mul_f32_e32 v15, v17, v41
	v_add_f32_e32 v14, v18, v14
	v_fma_f32 v15, v16, v56, -v15
	v_mul_f32_e32 v11, v11, v40
	v_add_f32_e32 v14, v14, v15
	v_fma_f32 v10, v10, v54, -v11
	s_waitcnt vmcnt(36) lgkmcnt(1)
	v_mul_f32_e32 v84, v76, v160
	v_fmac_f32_e32 v84, v77, v159
	v_add_f32_e32 v63, v63, v84
	s_waitcnt vmcnt(34)
	v_mul_f32_e32 v84, v78, v162
	v_fmac_f32_e32 v84, v79, v161
	v_add_f32_e32 v63, v63, v84
	s_waitcnt vmcnt(32) lgkmcnt(0)
	v_mul_f32_e32 v84, v80, v164
	v_fmac_f32_e32 v84, v81, v163
	v_add_f32_e32 v63, v63, v84
	ds_read2_b64 v[84:87], v1 offset0:105 offset1:106
	s_waitcnt vmcnt(30)
	v_mul_f32_e32 v88, v82, v166
	v_fmac_f32_e32 v88, v83, v165
	v_add_f32_e32 v63, v63, v88
	ds_read2_b64 v[88:91], v1 offset0:107 offset1:108
	s_waitcnt vmcnt(28) lgkmcnt(1)
	v_mul_f32_e32 v92, v84, v168
	v_fmac_f32_e32 v92, v85, v167
	v_add_f32_e32 v63, v63, v92
	s_waitcnt vmcnt(26)
	v_mul_f32_e32 v92, v86, v170
	v_fmac_f32_e32 v92, v87, v169
	v_add_f32_e32 v63, v63, v92
	s_waitcnt vmcnt(24) lgkmcnt(0)
	v_mul_f32_e32 v92, v88, v172
	v_fmac_f32_e32 v92, v89, v171
	v_add_f32_e32 v63, v63, v92
	ds_read2_b64 v[92:95], v1 offset0:109 offset1:110
	s_waitcnt vmcnt(22)
	v_mul_f32_e32 v96, v90, v174
	v_fmac_f32_e32 v96, v91, v173
	v_add_f32_e32 v63, v63, v96
	ds_read2_b64 v[96:99], v1 offset0:111 offset1:112
	;; [unrolled: 18-line block ×3, first 2 shown]
	s_waitcnt vmcnt(12) lgkmcnt(1)
	v_mul_f32_e32 v108, v100, v184
	v_fmac_f32_e32 v108, v101, v183
	v_add_f32_e32 v63, v63, v108
	s_waitcnt vmcnt(10)
	v_mul_f32_e32 v108, v102, v186
	v_fmac_f32_e32 v108, v103, v185
	v_add_f32_e32 v63, v63, v108
	s_waitcnt vmcnt(8) lgkmcnt(0)
	v_mul_f32_e32 v108, v104, v188
	v_fmac_f32_e32 v108, v105, v187
	s_waitcnt vmcnt(6)
	v_mul_f32_e32 v112, v106, v190
	v_add_f32_e32 v63, v63, v108
	v_fmac_f32_e32 v112, v107, v189
	ds_read2_b64 v[108:111], v1 offset0:117 offset1:118
	v_add_f32_e32 v63, v63, v112
	ds_read2_b64 v[112:115], v1 offset0:119 offset1:120
	buffer_load_dword v121, off, s[0:3], 0 offset:476
	buffer_load_dword v120, off, s[0:3], 0 offset:472
	;; [unrolled: 1-line block ×16, first 2 shown]
	v_mul_f32_e32 v11, v13, v47
	v_add_f32_e32 v10, v14, v10
	v_fma_f32 v11, v12, v58, -v11
	v_mul_f32_e32 v7, v7, v48
	v_add_f32_e32 v10, v10, v11
	v_fma_f32 v6, v6, v55, -v7
	;; [unrolled: 3-line block ×5, first 2 shown]
	v_add_f32_e32 v2, v2, v3
	v_mul_f32_e32 v3, v27, v139
	v_fma_f32 v3, v26, v137, -v3
	v_add_f32_e32 v2, v2, v3
	v_mul_f32_e32 v3, v29, v140
	v_fma_f32 v3, v28, v136, -v3
	;; [unrolled: 3-line block ×28, first 2 shown]
	v_add_f32_e32 v2, v2, v3
	s_waitcnt vmcnt(20) lgkmcnt(1)
	v_mul_f32_e32 v3, v109, v192
	v_mul_f32_e32 v117, v108, v192
	v_fma_f32 v3, v108, v191, -v3
	v_fmac_f32_e32 v117, v109, v191
	v_add_f32_e32 v62, v2, v3
	s_waitcnt vmcnt(18)
	v_mul_f32_e32 v2, v111, v194
	s_waitcnt vmcnt(9)
	v_mov_b32_e32 v18, v127
	v_add_f32_e32 v63, v63, v117
	v_mul_f32_e32 v117, v110, v194
	v_fma_f32 v116, v110, v193, -v2
	s_waitcnt lgkmcnt(0)
	v_mul_f32_e32 v2, v113, v196
	v_pk_mul_f32 v[18:19], v[114:115], v[18:19] op_sel_hi:[1,0]
	v_fmac_f32_e32 v117, v111, v193
	v_mul_f32_e32 v119, v112, v196
	v_fma_f32 v118, v112, v195, -v2
	ds_read2_b64 v[2:5], v1 offset0:121 offset1:122
	ds_read2_b64 v[6:9], v1 offset0:123 offset1:124
	ds_read2_b64 v[10:13], v1 offset0:125 offset1:126
	ds_read_b64 v[14:15], v1 offset:1016
	s_waitcnt vmcnt(8)
	v_pk_fma_f32 v[20:21], v[114:115], v[126:127], v[18:19] op_sel:[0,0,1] op_sel_hi:[1,1,0] neg_lo:[0,0,1] neg_hi:[0,0,1]
	v_pk_fma_f32 v[18:19], v[114:115], v[126:127], v[18:19] op_sel:[0,0,1] op_sel_hi:[1,0,0]
	v_fmac_f32_e32 v119, v113, v195
	v_pk_add_f32 v[16:17], v[62:63], v[116:117]
	v_mov_b32_e32 v18, v125
	v_pk_add_f32 v[16:17], v[16:17], v[118:119]
	v_mov_b32_e32 v21, v19
	s_waitcnt lgkmcnt(3)
	v_pk_mul_f32 v[18:19], v[2:3], v[18:19] op_sel_hi:[1,0]
	v_pk_add_f32 v[16:17], v[16:17], v[20:21]
	v_pk_fma_f32 v[20:21], v[2:3], v[124:125], v[18:19] op_sel:[0,0,1] op_sel_hi:[1,1,0] neg_lo:[0,0,1] neg_hi:[0,0,1]
	v_pk_fma_f32 v[2:3], v[2:3], v[124:125], v[18:19] op_sel:[0,0,1] op_sel_hi:[1,0,0]
	v_mov_b32_e32 v21, v3
	v_pk_add_f32 v[2:3], v[16:17], v[20:21]
	v_mov_b32_e32 v16, v123
	v_pk_mul_f32 v[16:17], v[4:5], v[16:17] op_sel_hi:[1,0]
	v_pk_fma_f32 v[18:19], v[4:5], v[122:123], v[16:17] op_sel:[0,0,1] op_sel_hi:[1,1,0] neg_lo:[0,0,1] neg_hi:[0,0,1]
	v_pk_fma_f32 v[4:5], v[4:5], v[122:123], v[16:17] op_sel:[0,0,1] op_sel_hi:[1,0,0]
	v_mov_b32_e32 v4, v121
	v_mov_b32_e32 v19, v5
	s_waitcnt lgkmcnt(2)
	v_pk_mul_f32 v[4:5], v[6:7], v[4:5] op_sel_hi:[1,0]
	v_pk_fma_f32 v[16:17], v[6:7], v[120:121], v[4:5] op_sel:[0,0,1] op_sel_hi:[1,1,0] neg_lo:[0,0,1] neg_hi:[0,0,1]
	v_pk_fma_f32 v[4:5], v[6:7], v[120:121], v[4:5] op_sel:[0,0,1] op_sel_hi:[1,0,0]
	s_waitcnt vmcnt(1)
	v_mov_b32_e32 v4, v135
	v_mov_b32_e32 v17, v5
	v_pk_mul_f32 v[4:5], v[8:9], v[4:5] op_sel_hi:[1,0]
	s_waitcnt vmcnt(0)
	v_pk_fma_f32 v[6:7], v[8:9], v[134:135], v[4:5] op_sel:[0,0,1] op_sel_hi:[1,1,0] neg_lo:[0,0,1] neg_hi:[0,0,1]
	v_pk_fma_f32 v[4:5], v[8:9], v[134:135], v[4:5] op_sel:[0,0,1] op_sel_hi:[1,0,0]
	v_pk_add_f32 v[2:3], v[2:3], v[18:19]
	v_mov_b32_e32 v4, v133
	v_pk_add_f32 v[2:3], v[2:3], v[16:17]
	v_mov_b32_e32 v7, v5
	s_waitcnt lgkmcnt(1)
	v_pk_mul_f32 v[4:5], v[10:11], v[4:5] op_sel_hi:[1,0]
	v_pk_add_f32 v[2:3], v[2:3], v[6:7]
	v_pk_fma_f32 v[6:7], v[10:11], v[132:133], v[4:5] op_sel:[0,0,1] op_sel_hi:[1,1,0] neg_lo:[0,0,1] neg_hi:[0,0,1]
	v_pk_fma_f32 v[4:5], v[10:11], v[132:133], v[4:5] op_sel:[0,0,1] op_sel_hi:[1,0,0]
	v_mov_b32_e32 v4, v131
	v_mov_b32_e32 v7, v5
	v_pk_mul_f32 v[4:5], v[12:13], v[4:5] op_sel_hi:[1,0]
	v_pk_add_f32 v[2:3], v[2:3], v[6:7]
	v_pk_fma_f32 v[6:7], v[12:13], v[130:131], v[4:5] op_sel:[0,0,1] op_sel_hi:[1,1,0] neg_lo:[0,0,1] neg_hi:[0,0,1]
	v_pk_fma_f32 v[4:5], v[12:13], v[130:131], v[4:5] op_sel:[0,0,1] op_sel_hi:[1,0,0]
	v_mov_b32_e32 v4, v129
	v_mov_b32_e32 v7, v5
	s_waitcnt lgkmcnt(0)
	v_pk_mul_f32 v[4:5], v[14:15], v[4:5] op_sel_hi:[1,0]
	v_pk_add_f32 v[2:3], v[2:3], v[6:7]
	v_pk_fma_f32 v[6:7], v[14:15], v[128:129], v[4:5] op_sel:[0,0,1] op_sel_hi:[1,1,0] neg_lo:[0,0,1] neg_hi:[0,0,1]
	v_pk_fma_f32 v[4:5], v[14:15], v[128:129], v[4:5] op_sel:[0,0,1] op_sel_hi:[1,0,0]
	v_mov_b32_e32 v7, v5
	v_pk_add_f32 v[2:3], v[2:3], v[6:7]
	v_pk_add_f32 v[2:3], v[38:39], v[2:3] neg_lo:[0,1] neg_hi:[0,1]
	buffer_store_dword v3, off, s[0:3], 0 offset:100
	buffer_store_dword v2, off, s[0:3], 0 offset:96
	s_and_saveexec_b64 s[4:5], vcc
	s_cbranch_execz .LBB127_375
; %bb.374:
	buffer_load_dword v2, off, s[0:3], 0 offset:88
	buffer_load_dword v3, off, s[0:3], 0 offset:92
	s_waitcnt vmcnt(0)
	ds_write_b64 v223, v[2:3]
	buffer_store_dword v1, off, s[0:3], 0 offset:88
	buffer_store_dword v1, off, s[0:3], 0 offset:92
.LBB127_375:
	s_or_b64 exec, exec, s[4:5]
	s_waitcnt lgkmcnt(0)
	; wave barrier
	s_waitcnt lgkmcnt(0)
	buffer_load_dword v49, off, s[0:3], 0 offset:100
	buffer_load_dword v48, off, s[0:3], 0 offset:108
	buffer_load_dword v47, off, s[0:3], 0 offset:124
	buffer_load_dword v46, off, s[0:3], 0 offset:132
	buffer_load_dword v44, off, s[0:3], 0 offset:140
	buffer_load_dword v50, off, s[0:3], 0 offset:116
	buffer_load_dword v45, off, s[0:3], 0 offset:148
	buffer_load_dword v51, off, s[0:3], 0 offset:156
	buffer_load_dword v52, off, s[0:3], 0 offset:164
	buffer_load_dword v53, off, s[0:3], 0 offset:172
	buffer_load_dword v54, off, s[0:3], 0 offset:180
	buffer_load_dword v55, off, s[0:3], 0 offset:188
	buffer_load_dword v61, off, s[0:3], 0 offset:112
	buffer_load_dword v64, off, s[0:3], 0 offset:104
	buffer_load_dword v116, off, s[0:3], 0 offset:96
	buffer_load_dword v58, off, s[0:3], 0 offset:144
	buffer_load_dword v60, off, s[0:3], 0 offset:136
	buffer_load_dword v63, off, s[0:3], 0 offset:128
	buffer_load_dword v65, off, s[0:3], 0 offset:120
	buffer_load_dword v56, off, s[0:3], 0 offset:176
	buffer_load_dword v57, off, s[0:3], 0 offset:168
	buffer_load_dword v59, off, s[0:3], 0 offset:160
	buffer_load_dword v62, off, s[0:3], 0 offset:152
	buffer_load_dword v66, off, s[0:3], 0 offset:208
	buffer_load_dword v124, off, s[0:3], 0 offset:200
	buffer_load_dword v136, off, s[0:3], 0 offset:192
	buffer_load_dword v137, off, s[0:3], 0 offset:184
	buffer_load_dword v138, off, s[0:3], 0 offset:196
	buffer_load_dword v139, off, s[0:3], 0 offset:204
	buffer_load_dword v140, off, s[0:3], 0 offset:212
	buffer_load_dword v42, off, s[0:3], 0 offset:88
	buffer_load_dword v43, off, s[0:3], 0 offset:92
	ds_read_b128 v[26:29], v1 offset:608
	ds_read_b128 v[22:25], v1 offset:624
	;; [unrolled: 1-line block ×4, first 2 shown]
	buffer_load_dword v141, off, s[0:3], 0 offset:216
	buffer_load_dword v142, off, s[0:3], 0 offset:220
	ds_read_b128 v[14:17], v1 offset:672
	ds_read_b128 v[6:9], v1 offset:688
	;; [unrolled: 1-line block ×3, first 2 shown]
	buffer_load_dword v143, off, s[0:3], 0 offset:224
	buffer_load_dword v144, off, s[0:3], 0 offset:228
	;; [unrolled: 1-line block ×16, first 2 shown]
	v_cmp_lt_u32_e32 vcc, 10, v0
	s_waitcnt vmcnt(49) lgkmcnt(6)
	v_mul_f32_e32 v30, v26, v49
	s_waitcnt vmcnt(48)
	v_mul_f32_e32 v31, v28, v48
	s_waitcnt vmcnt(47) lgkmcnt(5)
	v_mul_f32_e32 v33, v24, v47
	s_waitcnt vmcnt(46) lgkmcnt(4)
	v_mul_f32_e32 v34, v18, v46
	s_waitcnt vmcnt(45)
	v_mul_f32_e32 v35, v20, v44
	s_waitcnt vmcnt(44)
	v_mul_f32_e32 v32, v22, v50
	s_waitcnt vmcnt(43) lgkmcnt(3)
	v_mul_f32_e32 v36, v10, v45
	s_waitcnt vmcnt(42)
	v_mul_f32_e32 v37, v12, v51
	s_waitcnt vmcnt(41) lgkmcnt(2)
	;; [unrolled: 4-line block ×3, first 2 shown]
	v_mul_f32_e32 v40, v6, v54
	s_waitcnt vmcnt(38)
	v_mul_f32_e32 v41, v8, v55
	s_waitcnt vmcnt(37)
	v_fmac_f32_e32 v32, v23, v61
	s_waitcnt vmcnt(36)
	v_fmac_f32_e32 v31, v29, v64
	s_waitcnt vmcnt(35)
	v_fmac_f32_e32 v30, v27, v116
	v_add_f32_e32 v30, 0, v30
	v_add_f32_e32 v30, v30, v31
	;; [unrolled: 1-line block ×3, first 2 shown]
	s_waitcnt vmcnt(31)
	v_fmac_f32_e32 v33, v25, v65
	v_fmac_f32_e32 v34, v19, v63
	v_add_f32_e32 v30, v30, v33
	v_fmac_f32_e32 v35, v21, v60
	v_add_f32_e32 v30, v30, v34
	;; [unrolled: 2-line block ×3, first 2 shown]
	s_waitcnt vmcnt(27)
	v_fmac_f32_e32 v37, v13, v62
	v_add_f32_e32 v30, v30, v36
	v_fmac_f32_e32 v38, v15, v59
	v_add_f32_e32 v30, v30, v37
	;; [unrolled: 2-line block ×4, first 2 shown]
	s_waitcnt vmcnt(23)
	v_fmac_f32_e32 v41, v9, v137
	v_add_f32_e32 v30, v30, v40
	v_add_f32_e32 v34, v30, v41
	ds_read_b128 v[30:33], v1 offset:720
	buffer_load_dword v159, off, s[0:3], 0 offset:288
	buffer_load_dword v160, off, s[0:3], 0 offset:292
	;; [unrolled: 1-line block ×12, first 2 shown]
	s_waitcnt vmcnt(34) lgkmcnt(1)
	v_mul_f32_e32 v35, v2, v138
	v_fmac_f32_e32 v35, v3, v136
	buffer_load_dword v171, off, s[0:3], 0 offset:336
	buffer_load_dword v172, off, s[0:3], 0 offset:340
	v_add_f32_e32 v34, v34, v35
	s_waitcnt vmcnt(35)
	v_mul_f32_e32 v35, v4, v139
	v_fmac_f32_e32 v35, v5, v124
	v_add_f32_e32 v34, v34, v35
	s_waitcnt vmcnt(34) lgkmcnt(0)
	v_mul_f32_e32 v35, v30, v140
	v_fmac_f32_e32 v35, v31, v66
	buffer_load_dword v173, off, s[0:3], 0 offset:344
	buffer_load_dword v174, off, s[0:3], 0 offset:348
	v_add_f32_e32 v34, v34, v35
	s_waitcnt vmcnt(32)
	v_mul_f32_e32 v35, v32, v142
	v_fmac_f32_e32 v35, v33, v141
	v_add_f32_e32 v67, v34, v35
	ds_read_b128 v[34:37], v1 offset:736
	buffer_load_dword v175, off, s[0:3], 0 offset:352
	buffer_load_dword v176, off, s[0:3], 0 offset:356
	ds_read_b128 v[38:41], v1 offset:752
	buffer_load_dword v177, off, s[0:3], 0 offset:360
	buffer_load_dword v178, off, s[0:3], 0 offset:364
	;; [unrolled: 1-line block ×14, first 2 shown]
	s_waitcnt vmcnt(46) lgkmcnt(1)
	v_mul_f32_e32 v68, v34, v144
	v_fmac_f32_e32 v68, v35, v143
	v_add_f32_e32 v67, v67, v68
	s_waitcnt vmcnt(44)
	v_mul_f32_e32 v68, v36, v146
	v_fmac_f32_e32 v68, v37, v145
	v_add_f32_e32 v67, v67, v68
	s_waitcnt vmcnt(42) lgkmcnt(0)
	v_mul_f32_e32 v68, v38, v148
	v_fmac_f32_e32 v68, v39, v147
	v_add_f32_e32 v67, v67, v68
	buffer_load_dword v191, off, s[0:3], 0 offset:416
	buffer_load_dword v192, off, s[0:3], 0 offset:420
	ds_read_b128 v[68:71], v1 offset:768
	s_waitcnt vmcnt(42)
	v_mul_f32_e32 v72, v40, v150
	v_fmac_f32_e32 v72, v41, v149
	buffer_load_dword v193, off, s[0:3], 0 offset:424
	buffer_load_dword v194, off, s[0:3], 0 offset:428
	v_add_f32_e32 v67, v67, v72
	buffer_load_dword v195, off, s[0:3], 0 offset:432
	buffer_load_dword v196, off, s[0:3], 0 offset:436
	ds_read_b128 v[72:75], v1 offset:784
	s_waitcnt vmcnt(44) lgkmcnt(1)
	v_mul_f32_e32 v76, v68, v152
	v_fmac_f32_e32 v76, v69, v151
	v_add_f32_e32 v67, v67, v76
	s_waitcnt vmcnt(42)
	v_mul_f32_e32 v76, v70, v154
	v_fmac_f32_e32 v76, v71, v153
	v_add_f32_e32 v67, v67, v76
	s_waitcnt vmcnt(40) lgkmcnt(0)
	v_mul_f32_e32 v76, v72, v156
	v_fmac_f32_e32 v76, v73, v155
	buffer_load_dword v197, off, s[0:3], 0 offset:440
	buffer_load_dword v198, off, s[0:3], 0 offset:444
	v_add_f32_e32 v67, v67, v76
	ds_read_b128 v[76:79], v1 offset:800
	s_waitcnt vmcnt(40)
	v_mul_f32_e32 v80, v74, v158
	v_fmac_f32_e32 v80, v75, v157
	v_add_f32_e32 v67, v67, v80
	ds_read_b128 v[80:83], v1 offset:816
	v_mul_f32_e32 v27, v27, v49
	v_fma_f32 v26, v26, v116, -v27
	v_mul_f32_e32 v27, v29, v48
	v_add_f32_e32 v26, 0, v26
	v_fma_f32 v27, v28, v64, -v27
	v_mul_f32_e32 v23, v23, v50
	v_add_f32_e32 v26, v26, v27
	;; [unrolled: 3-line block ×5, first 2 shown]
	v_fma_f32 v19, v20, v60, -v19
	v_mul_f32_e32 v11, v11, v45
	s_waitcnt vmcnt(38) lgkmcnt(1)
	v_mul_f32_e32 v84, v76, v160
	v_fmac_f32_e32 v84, v77, v159
	v_add_f32_e32 v67, v67, v84
	s_waitcnt vmcnt(36)
	v_mul_f32_e32 v84, v78, v162
	v_fmac_f32_e32 v84, v79, v161
	v_add_f32_e32 v67, v67, v84
	s_waitcnt vmcnt(34) lgkmcnt(0)
	v_mul_f32_e32 v84, v80, v164
	v_fmac_f32_e32 v84, v81, v163
	v_add_f32_e32 v67, v67, v84
	ds_read_b128 v[84:87], v1 offset:832
	s_waitcnt vmcnt(32)
	v_mul_f32_e32 v88, v82, v166
	v_fmac_f32_e32 v88, v83, v165
	v_add_f32_e32 v67, v67, v88
	ds_read_b128 v[88:91], v1 offset:848
	s_waitcnt vmcnt(30) lgkmcnt(1)
	v_mul_f32_e32 v92, v84, v168
	v_fmac_f32_e32 v92, v85, v167
	v_add_f32_e32 v67, v67, v92
	s_waitcnt vmcnt(28)
	v_mul_f32_e32 v92, v86, v170
	v_fmac_f32_e32 v92, v87, v169
	v_add_f32_e32 v67, v67, v92
	s_waitcnt vmcnt(26) lgkmcnt(0)
	v_mul_f32_e32 v92, v88, v172
	v_fmac_f32_e32 v92, v89, v171
	v_add_f32_e32 v67, v67, v92
	ds_read_b128 v[92:95], v1 offset:864
	s_waitcnt vmcnt(24)
	v_mul_f32_e32 v96, v90, v174
	v_fmac_f32_e32 v96, v91, v173
	v_add_f32_e32 v67, v67, v96
	ds_read_b128 v[96:99], v1 offset:880
	;; [unrolled: 18-line block ×3, first 2 shown]
	s_waitcnt vmcnt(14) lgkmcnt(1)
	v_mul_f32_e32 v108, v100, v184
	v_fmac_f32_e32 v108, v101, v183
	v_add_f32_e32 v67, v67, v108
	s_waitcnt vmcnt(12)
	v_mul_f32_e32 v108, v102, v186
	v_fmac_f32_e32 v108, v103, v185
	v_add_f32_e32 v67, v67, v108
	s_waitcnt vmcnt(10) lgkmcnt(0)
	v_mul_f32_e32 v108, v104, v188
	v_fmac_f32_e32 v108, v105, v187
	s_waitcnt vmcnt(8)
	v_mul_f32_e32 v112, v106, v190
	v_add_f32_e32 v67, v67, v108
	v_fmac_f32_e32 v112, v107, v189
	ds_read_b128 v[108:111], v1 offset:928
	v_add_f32_e32 v67, v67, v112
	ds_read_b128 v[112:115], v1 offset:944
	buffer_load_dword v119, off, s[0:3], 0 offset:468
	buffer_load_dword v118, off, s[0:3], 0 offset:464
	;; [unrolled: 1-line block ×6, first 2 shown]
	v_add_f32_e32 v18, v18, v19
	v_fma_f32 v10, v10, v58, -v11
	v_mul_f32_e32 v11, v13, v51
	v_add_f32_e32 v10, v18, v10
	v_fma_f32 v11, v12, v62, -v11
	buffer_load_dword v127, off, s[0:3], 0 offset:500
	buffer_load_dword v126, off, s[0:3], 0 offset:496
	;; [unrolled: 1-line block ×10, first 2 shown]
	v_add_f32_e32 v10, v10, v11
	v_mul_f32_e32 v11, v15, v52
	v_fma_f32 v11, v14, v59, -v11
	v_add_f32_e32 v10, v10, v11
	v_mul_f32_e32 v11, v17, v53
	v_fma_f32 v11, v16, v57, -v11
	v_mul_f32_e32 v7, v7, v54
	v_add_f32_e32 v10, v10, v11
	v_fma_f32 v6, v6, v56, -v7
	v_mul_f32_e32 v7, v9, v55
	v_add_f32_e32 v6, v10, v6
	;; [unrolled: 3-line block ×4, first 2 shown]
	v_fma_f32 v3, v4, v124, -v3
	v_add_f32_e32 v2, v2, v3
	v_mul_f32_e32 v3, v31, v140
	v_fma_f32 v3, v30, v66, -v3
	v_add_f32_e32 v2, v2, v3
	v_mul_f32_e32 v3, v33, v142
	;; [unrolled: 3-line block ×26, first 2 shown]
	v_fma_f32 v3, v106, v189, -v3
	v_add_f32_e32 v2, v2, v3
	s_waitcnt vmcnt(22) lgkmcnt(1)
	v_mul_f32_e32 v3, v109, v192
	v_fma_f32 v3, v108, v191, -v3
	v_add_f32_e32 v2, v2, v3
	s_waitcnt vmcnt(20)
	v_mul_f32_e32 v3, v111, v194
	v_mul_f32_e32 v117, v108, v192
	v_fma_f32 v3, v110, v193, -v3
	v_fmac_f32_e32 v117, v109, v191
	v_add_f32_e32 v66, v2, v3
	s_waitcnt vmcnt(18) lgkmcnt(0)
	v_mul_f32_e32 v2, v113, v196
	v_add_f32_e32 v67, v67, v117
	v_mul_f32_e32 v117, v110, v194
	v_fma_f32 v116, v112, v195, -v2
	s_waitcnt vmcnt(16)
	v_mul_f32_e32 v2, v115, v198
	v_fmac_f32_e32 v117, v111, v193
	v_fma_f32 v124, v114, v197, -v2
	ds_read_b128 v[2:5], v1 offset:960
	ds_read_b128 v[6:9], v1 offset:976
	ds_read_b128 v[10:13], v1 offset:992
	ds_read_b128 v[14:17], v1 offset:1008
	v_add_f32_e32 v67, v67, v117
	v_mul_f32_e32 v117, v112, v196
	s_waitcnt vmcnt(11)
	v_mov_b32_e32 v20, v123
	v_fmac_f32_e32 v117, v113, v195
	v_mul_f32_e32 v125, v114, v198
	s_waitcnt lgkmcnt(3)
	v_pk_mul_f32 v[20:21], v[2:3], v[20:21] op_sel_hi:[1,0]
	v_fmac_f32_e32 v125, v115, v197
	v_pk_add_f32 v[18:19], v[66:67], v[116:117]
	s_waitcnt vmcnt(10)
	v_pk_fma_f32 v[22:23], v[2:3], v[122:123], v[20:21] op_sel:[0,0,1] op_sel_hi:[1,1,0] neg_lo:[0,0,1] neg_hi:[0,0,1]
	v_pk_fma_f32 v[2:3], v[2:3], v[122:123], v[20:21] op_sel:[0,0,1] op_sel_hi:[1,0,0]
	v_pk_add_f32 v[18:19], v[18:19], v[124:125]
	v_mov_b32_e32 v23, v3
	v_pk_add_f32 v[2:3], v[18:19], v[22:23]
	v_mov_b32_e32 v18, v121
	v_pk_mul_f32 v[18:19], v[4:5], v[18:19] op_sel_hi:[1,0]
	v_pk_fma_f32 v[20:21], v[4:5], v[120:121], v[18:19] op_sel:[0,0,1] op_sel_hi:[1,1,0] neg_lo:[0,0,1] neg_hi:[0,0,1]
	v_pk_fma_f32 v[4:5], v[4:5], v[120:121], v[18:19] op_sel:[0,0,1] op_sel_hi:[1,0,0]
	v_mov_b32_e32 v4, v119
	v_mov_b32_e32 v21, v5
	s_waitcnt lgkmcnt(2)
	v_pk_mul_f32 v[4:5], v[6:7], v[4:5] op_sel_hi:[1,0]
	v_pk_fma_f32 v[18:19], v[6:7], v[118:119], v[4:5] op_sel:[0,0,1] op_sel_hi:[1,1,0] neg_lo:[0,0,1] neg_hi:[0,0,1]
	v_pk_fma_f32 v[4:5], v[6:7], v[118:119], v[4:5] op_sel:[0,0,1] op_sel_hi:[1,0,0]
	s_waitcnt vmcnt(3)
	v_mov_b32_e32 v4, v133
	v_mov_b32_e32 v19, v5
	v_pk_mul_f32 v[4:5], v[8:9], v[4:5] op_sel_hi:[1,0]
	s_waitcnt vmcnt(2)
	v_pk_fma_f32 v[6:7], v[8:9], v[132:133], v[4:5] op_sel:[0,0,1] op_sel_hi:[1,1,0] neg_lo:[0,0,1] neg_hi:[0,0,1]
	v_pk_fma_f32 v[4:5], v[8:9], v[132:133], v[4:5] op_sel:[0,0,1] op_sel_hi:[1,0,0]
	v_pk_add_f32 v[2:3], v[2:3], v[20:21]
	v_mov_b32_e32 v4, v131
	v_pk_add_f32 v[2:3], v[2:3], v[18:19]
	v_mov_b32_e32 v7, v5
	s_waitcnt lgkmcnt(1)
	v_pk_mul_f32 v[4:5], v[10:11], v[4:5] op_sel_hi:[1,0]
	v_pk_add_f32 v[2:3], v[2:3], v[6:7]
	v_pk_fma_f32 v[6:7], v[10:11], v[130:131], v[4:5] op_sel:[0,0,1] op_sel_hi:[1,1,0] neg_lo:[0,0,1] neg_hi:[0,0,1]
	v_pk_fma_f32 v[4:5], v[10:11], v[130:131], v[4:5] op_sel:[0,0,1] op_sel_hi:[1,0,0]
	v_mov_b32_e32 v4, v129
	v_mov_b32_e32 v7, v5
	v_pk_mul_f32 v[4:5], v[12:13], v[4:5] op_sel_hi:[1,0]
	v_pk_add_f32 v[2:3], v[2:3], v[6:7]
	v_pk_fma_f32 v[6:7], v[12:13], v[128:129], v[4:5] op_sel:[0,0,1] op_sel_hi:[1,1,0] neg_lo:[0,0,1] neg_hi:[0,0,1]
	v_pk_fma_f32 v[4:5], v[12:13], v[128:129], v[4:5] op_sel:[0,0,1] op_sel_hi:[1,0,0]
	v_mov_b32_e32 v4, v127
	v_mov_b32_e32 v7, v5
	s_waitcnt lgkmcnt(0)
	v_pk_mul_f32 v[4:5], v[14:15], v[4:5] op_sel_hi:[1,0]
	v_pk_add_f32 v[2:3], v[2:3], v[6:7]
	v_pk_fma_f32 v[6:7], v[14:15], v[126:127], v[4:5] op_sel:[0,0,1] op_sel_hi:[1,1,0] neg_lo:[0,0,1] neg_hi:[0,0,1]
	v_pk_fma_f32 v[4:5], v[14:15], v[126:127], v[4:5] op_sel:[0,0,1] op_sel_hi:[1,0,0]
	s_waitcnt vmcnt(1)
	v_mov_b32_e32 v4, v135
	v_mov_b32_e32 v7, v5
	v_pk_mul_f32 v[4:5], v[16:17], v[4:5] op_sel_hi:[1,0]
	v_pk_add_f32 v[2:3], v[2:3], v[6:7]
	s_waitcnt vmcnt(0)
	v_pk_fma_f32 v[6:7], v[16:17], v[134:135], v[4:5] op_sel:[0,0,1] op_sel_hi:[1,1,0] neg_lo:[0,0,1] neg_hi:[0,0,1]
	v_pk_fma_f32 v[4:5], v[16:17], v[134:135], v[4:5] op_sel:[0,0,1] op_sel_hi:[1,0,0]
	v_mov_b32_e32 v7, v5
	v_pk_add_f32 v[2:3], v[2:3], v[6:7]
	v_pk_add_f32 v[2:3], v[42:43], v[2:3] neg_lo:[0,1] neg_hi:[0,1]
	buffer_store_dword v3, off, s[0:3], 0 offset:92
	buffer_store_dword v2, off, s[0:3], 0 offset:88
	s_and_saveexec_b64 s[4:5], vcc
	s_cbranch_execz .LBB127_377
; %bb.376:
	buffer_load_dword v2, off, s[0:3], 0 offset:80
	buffer_load_dword v3, off, s[0:3], 0 offset:84
	v_mov_b32_e32 v1, 0
	buffer_store_dword v1, off, s[0:3], 0 offset:80
	buffer_store_dword v1, off, s[0:3], 0 offset:84
	s_waitcnt vmcnt(2)
	ds_write_b64 v223, v[2:3]
.LBB127_377:
	s_or_b64 exec, exec, s[4:5]
	v_mov_b32_e32 v1, 0
	s_waitcnt lgkmcnt(0)
	; wave barrier
	s_waitcnt lgkmcnt(0)
	ds_read2_b64 v[2:5], v1 offset0:75 offset1:76
	buffer_load_dword v94, off, s[0:3], 0 offset:80
	buffer_load_dword v95, off, s[0:3], 0 offset:84
	;; [unrolled: 1-line block ×16, first 2 shown]
	v_cmp_lt_u32_e32 vcc, 9, v0
	s_waitcnt vmcnt(12) lgkmcnt(0)
	v_mul_f32_e32 v6, v2, v116
	v_fmac_f32_e32 v6, v3, v96
	s_waitcnt vmcnt(10)
	v_mul_f32_e32 v7, v4, v118
	v_add_f32_e32 v6, 0, v6
	v_fmac_f32_e32 v7, v5, v98
	v_add_f32_e32 v10, v6, v7
	ds_read2_b64 v[6:9], v1 offset0:77 offset1:78
	v_mul_f32_e32 v3, v3, v116
	v_fma_f32 v2, v2, v96, -v3
	v_mul_f32_e32 v3, v5, v118
	v_add_f32_e32 v2, 0, v2
	s_waitcnt vmcnt(8) lgkmcnt(0)
	v_mul_f32_e32 v11, v6, v120
	v_fmac_f32_e32 v11, v7, v102
	v_add_f32_e32 v10, v10, v11
	s_waitcnt vmcnt(6)
	v_mul_f32_e32 v11, v8, v122
	v_fmac_f32_e32 v11, v9, v117
	v_add_f32_e32 v14, v10, v11
	ds_read2_b64 v[10:13], v1 offset0:79 offset1:80
	v_fma_f32 v3, v4, v98, -v3
	v_add_f32_e32 v2, v2, v3
	v_mul_f32_e32 v3, v7, v120
	v_fma_f32 v3, v6, v102, -v3
	s_waitcnt vmcnt(4) lgkmcnt(0)
	v_mul_f32_e32 v15, v10, v124
	v_fmac_f32_e32 v15, v11, v119
	v_add_f32_e32 v14, v14, v15
	s_waitcnt vmcnt(2)
	v_mul_f32_e32 v15, v12, v125
	v_fmac_f32_e32 v15, v13, v121
	v_add_f32_e32 v18, v14, v15
	ds_read2_b64 v[14:17], v1 offset0:81 offset1:82
	buffer_load_dword v127, off, s[0:3], 0 offset:144
	buffer_load_dword v128, off, s[0:3], 0 offset:148
	v_add_f32_e32 v2, v2, v3
	v_mul_f32_e32 v3, v9, v122
	v_fma_f32 v3, v8, v117, -v3
	s_waitcnt vmcnt(2) lgkmcnt(0)
	v_mul_f32_e32 v19, v14, v126
	v_fmac_f32_e32 v19, v15, v123
	v_add_f32_e32 v18, v18, v19
	v_add_f32_e32 v2, v2, v3
	v_mul_f32_e32 v3, v11, v124
	v_fma_f32 v3, v10, v119, -v3
	v_add_f32_e32 v2, v2, v3
	v_mul_f32_e32 v3, v13, v125
	v_fma_f32 v3, v12, v121, -v3
	;; [unrolled: 3-line block ×3, first 2 shown]
	v_add_f32_e32 v2, v2, v3
	s_waitcnt vmcnt(0)
	v_mul_f32_e32 v19, v16, v128
	v_fmac_f32_e32 v19, v17, v127
	v_add_f32_e32 v22, v18, v19
	ds_read2_b64 v[18:21], v1 offset0:83 offset1:84
	buffer_load_dword v129, off, s[0:3], 0 offset:152
	buffer_load_dword v130, off, s[0:3], 0 offset:156
	;; [unrolled: 1-line block ×4, first 2 shown]
	v_mul_f32_e32 v3, v17, v128
	v_fma_f32 v3, v16, v127, -v3
	v_add_f32_e32 v2, v2, v3
	s_waitcnt vmcnt(2) lgkmcnt(0)
	v_mul_f32_e32 v23, v18, v130
	v_fmac_f32_e32 v23, v19, v129
	v_add_f32_e32 v22, v22, v23
	s_waitcnt vmcnt(0)
	v_mul_f32_e32 v23, v20, v132
	v_fmac_f32_e32 v23, v21, v131
	v_add_f32_e32 v26, v22, v23
	ds_read2_b64 v[22:25], v1 offset0:85 offset1:86
	buffer_load_dword v133, off, s[0:3], 0 offset:168
	buffer_load_dword v134, off, s[0:3], 0 offset:172
	buffer_load_dword v135, off, s[0:3], 0 offset:176
	buffer_load_dword v136, off, s[0:3], 0 offset:180
	v_mul_f32_e32 v3, v19, v130
	v_fma_f32 v3, v18, v129, -v3
	v_add_f32_e32 v2, v2, v3
	v_mul_f32_e32 v3, v21, v132
	v_fma_f32 v3, v20, v131, -v3
	v_add_f32_e32 v2, v2, v3
	s_waitcnt vmcnt(2) lgkmcnt(0)
	v_mul_f32_e32 v27, v22, v134
	v_fmac_f32_e32 v27, v23, v133
	v_add_f32_e32 v26, v26, v27
	s_waitcnt vmcnt(0)
	v_mul_f32_e32 v27, v24, v136
	v_fmac_f32_e32 v27, v25, v135
	v_add_f32_e32 v30, v26, v27
	ds_read2_b64 v[26:29], v1 offset0:87 offset1:88
	buffer_load_dword v137, off, s[0:3], 0 offset:184
	buffer_load_dword v138, off, s[0:3], 0 offset:188
	buffer_load_dword v139, off, s[0:3], 0 offset:192
	buffer_load_dword v140, off, s[0:3], 0 offset:196
	v_mul_f32_e32 v3, v23, v134
	v_fma_f32 v3, v22, v133, -v3
	v_add_f32_e32 v2, v2, v3
	;; [unrolled: 19-line block ×4, first 2 shown]
	v_mul_f32_e32 v3, v33, v144
	v_fma_f32 v3, v32, v143, -v3
	v_add_f32_e32 v2, v2, v3
	s_waitcnt vmcnt(2) lgkmcnt(0)
	v_mul_f32_e32 v39, v34, v146
	v_fmac_f32_e32 v39, v35, v145
	v_add_f32_e32 v38, v38, v39
	s_waitcnt vmcnt(0)
	v_mul_f32_e32 v39, v36, v148
	v_fmac_f32_e32 v39, v37, v147
	v_add_f32_e32 v42, v38, v39
	ds_read2_b64 v[38:41], v1 offset0:93 offset1:94
	buffer_load_dword v149, off, s[0:3], 0 offset:232
	buffer_load_dword v150, off, s[0:3], 0 offset:236
	buffer_load_dword v151, off, s[0:3], 0 offset:240
	buffer_load_dword v152, off, s[0:3], 0 offset:244
	ds_read2_b64 v[46:49], v1 offset0:95 offset1:96
	buffer_load_dword v153, off, s[0:3], 0 offset:248
	buffer_load_dword v154, off, s[0:3], 0 offset:252
	buffer_load_dword v155, off, s[0:3], 0 offset:256
	buffer_load_dword v156, off, s[0:3], 0 offset:260
	;; [unrolled: 5-line block ×13, first 2 shown]
	v_mul_f32_e32 v3, v35, v146
	v_fma_f32 v3, v34, v145, -v3
	v_add_f32_e32 v2, v2, v3
	v_mul_f32_e32 v3, v37, v148
	v_fma_f32 v3, v36, v147, -v3
	v_add_f32_e32 v2, v2, v3
	s_waitcnt vmcnt(50) lgkmcnt(12)
	v_mul_f32_e32 v43, v38, v150
	v_fmac_f32_e32 v43, v39, v149
	v_add_f32_e32 v42, v42, v43
	s_waitcnt vmcnt(48)
	v_mul_f32_e32 v43, v40, v152
	v_fmac_f32_e32 v43, v41, v151
	v_add_f32_e32 v42, v42, v43
	s_waitcnt vmcnt(46) lgkmcnt(11)
	v_mul_f32_e32 v43, v46, v154
	v_fmac_f32_e32 v43, v47, v153
	v_add_f32_e32 v42, v42, v43
	s_waitcnt vmcnt(44)
	v_mul_f32_e32 v43, v48, v156
	v_fmac_f32_e32 v43, v49, v155
	;; [unrolled: 8-line block ×12, first 2 shown]
	v_add_f32_e32 v42, v42, v43
	s_waitcnt vmcnt(2) lgkmcnt(0)
	v_mul_f32_e32 v43, v90, v198
	v_fmac_f32_e32 v43, v91, v197
	v_add_f32_e32 v97, v42, v43
	ds_read2_b64 v[42:45], v1 offset0:119 offset1:120
	buffer_load_dword v201, off, s[0:3], 0 offset:440
	buffer_load_dword v202, off, s[0:3], 0 offset:444
	;; [unrolled: 1-line block ×18, first 2 shown]
	v_mul_f32_e32 v3, v39, v150
	v_fma_f32 v3, v38, v149, -v3
	v_add_f32_e32 v2, v2, v3
	v_mul_f32_e32 v3, v41, v152
	v_fma_f32 v3, v40, v151, -v3
	v_add_f32_e32 v2, v2, v3
	v_mul_f32_e32 v3, v47, v154
	v_fma_f32 v3, v46, v153, -v3
	v_add_f32_e32 v2, v2, v3
	v_mul_f32_e32 v3, v49, v156
	v_fma_f32 v3, v48, v155, -v3
	v_add_f32_e32 v2, v2, v3
	v_mul_f32_e32 v3, v51, v158
	v_fma_f32 v3, v50, v157, -v3
	v_add_f32_e32 v2, v2, v3
	v_mul_f32_e32 v3, v53, v160
	v_fma_f32 v3, v52, v159, -v3
	v_add_f32_e32 v2, v2, v3
	v_mul_f32_e32 v3, v55, v162
	v_fma_f32 v3, v54, v161, -v3
	v_add_f32_e32 v2, v2, v3
	v_mul_f32_e32 v3, v57, v164
	v_fma_f32 v3, v56, v163, -v3
	v_add_f32_e32 v2, v2, v3
	v_mul_f32_e32 v3, v59, v166
	v_fma_f32 v3, v58, v165, -v3
	v_add_f32_e32 v2, v2, v3
	v_mul_f32_e32 v3, v61, v168
	v_fma_f32 v3, v60, v167, -v3
	v_add_f32_e32 v2, v2, v3
	v_mul_f32_e32 v3, v63, v170
	v_fma_f32 v3, v62, v169, -v3
	v_add_f32_e32 v2, v2, v3
	v_mul_f32_e32 v3, v65, v172
	v_fma_f32 v3, v64, v171, -v3
	v_add_f32_e32 v2, v2, v3
	v_mul_f32_e32 v3, v67, v174
	v_fma_f32 v3, v66, v173, -v3
	v_add_f32_e32 v2, v2, v3
	v_mul_f32_e32 v3, v69, v176
	v_fma_f32 v3, v68, v175, -v3
	v_add_f32_e32 v2, v2, v3
	v_mul_f32_e32 v3, v71, v178
	v_fma_f32 v3, v70, v177, -v3
	v_add_f32_e32 v2, v2, v3
	v_mul_f32_e32 v3, v73, v180
	v_fma_f32 v3, v72, v179, -v3
	v_add_f32_e32 v2, v2, v3
	v_mul_f32_e32 v3, v75, v182
	v_fma_f32 v3, v74, v181, -v3
	v_add_f32_e32 v2, v2, v3
	v_mul_f32_e32 v3, v77, v184
	v_fma_f32 v3, v76, v183, -v3
	v_add_f32_e32 v2, v2, v3
	v_mul_f32_e32 v3, v79, v186
	v_fma_f32 v3, v78, v185, -v3
	v_add_f32_e32 v2, v2, v3
	v_mul_f32_e32 v3, v81, v188
	v_fma_f32 v3, v80, v187, -v3
	v_add_f32_e32 v2, v2, v3
	v_mul_f32_e32 v3, v83, v190
	v_fma_f32 v3, v82, v189, -v3
	v_add_f32_e32 v2, v2, v3
	v_mul_f32_e32 v3, v85, v192
	v_fma_f32 v3, v84, v191, -v3
	v_add_f32_e32 v2, v2, v3
	v_mul_f32_e32 v3, v87, v194
	v_fma_f32 v3, v86, v193, -v3
	v_add_f32_e32 v2, v2, v3
	v_mul_f32_e32 v3, v89, v196
	v_fma_f32 v3, v88, v195, -v3
	v_add_f32_e32 v2, v2, v3
	v_mul_f32_e32 v3, v91, v198
	v_fma_f32 v3, v90, v197, -v3
	v_add_f32_e32 v96, v2, v3
	s_waitcnt vmcnt(18)
	v_mul_f32_e32 v2, v93, v200
	s_waitcnt vmcnt(15)
	v_mov_b32_e32 v18, v101
	v_mul_f32_e32 v99, v92, v200
	v_fma_f32 v98, v92, v199, -v2
	s_waitcnt lgkmcnt(0)
	v_mul_f32_e32 v2, v43, v202
	v_pk_mul_f32 v[18:19], v[44:45], v[18:19] op_sel_hi:[1,0]
	v_fmac_f32_e32 v99, v93, v199
	v_mul_f32_e32 v103, v42, v202
	v_fma_f32 v102, v42, v201, -v2
	ds_read2_b64 v[2:5], v1 offset0:121 offset1:122
	ds_read2_b64 v[6:9], v1 offset0:123 offset1:124
	;; [unrolled: 1-line block ×3, first 2 shown]
	ds_read_b64 v[14:15], v1 offset:1016
	s_waitcnt vmcnt(14)
	v_pk_fma_f32 v[20:21], v[44:45], v[100:101], v[18:19] op_sel:[0,0,1] op_sel_hi:[1,1,0] neg_lo:[0,0,1] neg_hi:[0,0,1]
	v_pk_fma_f32 v[18:19], v[44:45], v[100:101], v[18:19] op_sel:[0,0,1] op_sel_hi:[1,0,0]
	v_fmac_f32_e32 v103, v43, v201
	v_pk_add_f32 v[16:17], v[96:97], v[98:99]
	s_waitcnt vmcnt(13)
	v_mov_b32_e32 v18, v239
	v_pk_add_f32 v[16:17], v[16:17], v[102:103]
	v_mov_b32_e32 v21, v19
	s_waitcnt lgkmcnt(3)
	v_pk_mul_f32 v[18:19], v[2:3], v[18:19] op_sel_hi:[1,0]
	v_pk_add_f32 v[16:17], v[16:17], v[20:21]
	s_waitcnt vmcnt(12)
	v_pk_fma_f32 v[20:21], v[2:3], v[238:239], v[18:19] op_sel:[0,0,1] op_sel_hi:[1,1,0] neg_lo:[0,0,1] neg_hi:[0,0,1]
	v_pk_fma_f32 v[2:3], v[2:3], v[238:239], v[18:19] op_sel:[0,0,1] op_sel_hi:[1,0,0]
	v_mov_b32_e32 v21, v3
	v_pk_add_f32 v[2:3], v[16:17], v[20:21]
	s_waitcnt vmcnt(11)
	v_mov_b32_e32 v16, v115
	v_pk_mul_f32 v[16:17], v[4:5], v[16:17] op_sel_hi:[1,0]
	s_waitcnt vmcnt(10)
	v_pk_fma_f32 v[18:19], v[4:5], v[114:115], v[16:17] op_sel:[0,0,1] op_sel_hi:[1,1,0] neg_lo:[0,0,1] neg_hi:[0,0,1]
	v_pk_fma_f32 v[4:5], v[4:5], v[114:115], v[16:17] op_sel:[0,0,1] op_sel_hi:[1,0,0]
	s_waitcnt vmcnt(9)
	v_mov_b32_e32 v4, v113
	v_mov_b32_e32 v19, v5
	s_waitcnt lgkmcnt(2)
	v_pk_mul_f32 v[4:5], v[6:7], v[4:5] op_sel_hi:[1,0]
	s_waitcnt vmcnt(8)
	v_pk_fma_f32 v[16:17], v[6:7], v[112:113], v[4:5] op_sel:[0,0,1] op_sel_hi:[1,1,0] neg_lo:[0,0,1] neg_hi:[0,0,1]
	v_pk_fma_f32 v[4:5], v[6:7], v[112:113], v[4:5] op_sel:[0,0,1] op_sel_hi:[1,0,0]
	s_waitcnt vmcnt(7)
	v_mov_b32_e32 v4, v111
	v_mov_b32_e32 v17, v5
	v_pk_mul_f32 v[4:5], v[8:9], v[4:5] op_sel_hi:[1,0]
	s_waitcnt vmcnt(6)
	v_pk_fma_f32 v[6:7], v[8:9], v[110:111], v[4:5] op_sel:[0,0,1] op_sel_hi:[1,1,0] neg_lo:[0,0,1] neg_hi:[0,0,1]
	v_pk_fma_f32 v[4:5], v[8:9], v[110:111], v[4:5] op_sel:[0,0,1] op_sel_hi:[1,0,0]
	v_pk_add_f32 v[2:3], v[2:3], v[18:19]
	s_waitcnt vmcnt(5)
	v_mov_b32_e32 v4, v109
	v_pk_add_f32 v[2:3], v[2:3], v[16:17]
	v_mov_b32_e32 v7, v5
	s_waitcnt lgkmcnt(1)
	v_pk_mul_f32 v[4:5], v[10:11], v[4:5] op_sel_hi:[1,0]
	v_pk_add_f32 v[2:3], v[2:3], v[6:7]
	s_waitcnt vmcnt(4)
	v_pk_fma_f32 v[6:7], v[10:11], v[108:109], v[4:5] op_sel:[0,0,1] op_sel_hi:[1,1,0] neg_lo:[0,0,1] neg_hi:[0,0,1]
	v_pk_fma_f32 v[4:5], v[10:11], v[108:109], v[4:5] op_sel:[0,0,1] op_sel_hi:[1,0,0]
	s_waitcnt vmcnt(3)
	v_mov_b32_e32 v4, v107
	v_mov_b32_e32 v7, v5
	v_pk_mul_f32 v[4:5], v[12:13], v[4:5] op_sel_hi:[1,0]
	v_pk_add_f32 v[2:3], v[2:3], v[6:7]
	s_waitcnt vmcnt(2)
	v_pk_fma_f32 v[6:7], v[12:13], v[106:107], v[4:5] op_sel:[0,0,1] op_sel_hi:[1,1,0] neg_lo:[0,0,1] neg_hi:[0,0,1]
	v_pk_fma_f32 v[4:5], v[12:13], v[106:107], v[4:5] op_sel:[0,0,1] op_sel_hi:[1,0,0]
	s_waitcnt vmcnt(1)
	v_mov_b32_e32 v4, v105
	v_mov_b32_e32 v7, v5
	s_waitcnt lgkmcnt(0)
	v_pk_mul_f32 v[4:5], v[14:15], v[4:5] op_sel_hi:[1,0]
	v_pk_add_f32 v[2:3], v[2:3], v[6:7]
	s_waitcnt vmcnt(0)
	v_pk_fma_f32 v[6:7], v[14:15], v[104:105], v[4:5] op_sel:[0,0,1] op_sel_hi:[1,1,0] neg_lo:[0,0,1] neg_hi:[0,0,1]
	v_pk_fma_f32 v[4:5], v[14:15], v[104:105], v[4:5] op_sel:[0,0,1] op_sel_hi:[1,0,0]
	v_mov_b32_e32 v7, v5
	v_pk_add_f32 v[2:3], v[2:3], v[6:7]
	v_pk_add_f32 v[2:3], v[94:95], v[2:3] neg_lo:[0,1] neg_hi:[0,1]
	buffer_store_dword v3, off, s[0:3], 0 offset:84
	buffer_store_dword v2, off, s[0:3], 0 offset:80
	s_and_saveexec_b64 s[4:5], vcc
	s_cbranch_execz .LBB127_379
; %bb.378:
	buffer_load_dword v2, off, s[0:3], 0 offset:72
	buffer_load_dword v3, off, s[0:3], 0 offset:76
	s_waitcnt vmcnt(0)
	ds_write_b64 v223, v[2:3]
	buffer_store_dword v1, off, s[0:3], 0 offset:72
	buffer_store_dword v1, off, s[0:3], 0 offset:76
.LBB127_379:
	s_or_b64 exec, exec, s[4:5]
	s_waitcnt lgkmcnt(0)
	; wave barrier
	s_waitcnt lgkmcnt(0)
	buffer_load_dword v49, off, s[0:3], 0 offset:84
	buffer_load_dword v48, off, s[0:3], 0 offset:92
	;; [unrolled: 1-line block ×34, first 2 shown]
	ds_read_b128 v[30:33], v1 offset:592
	ds_read_b128 v[26:29], v1 offset:608
	;; [unrolled: 1-line block ×6, first 2 shown]
	buffer_load_dword v151, off, s[0:3], 0 offset:208
	buffer_load_dword v152, off, s[0:3], 0 offset:212
	ds_read_b128 v[10:13], v1 offset:688
	ds_read_b128 v[2:5], v1 offset:704
	buffer_load_dword v153, off, s[0:3], 0 offset:216
	buffer_load_dword v154, off, s[0:3], 0 offset:220
	;; [unrolled: 1-line block ×24, first 2 shown]
	v_cmp_lt_u32_e32 vcc, 8, v0
	s_waitcnt vmcnt(59) lgkmcnt(7)
	v_mul_f32_e32 v34, v30, v49
	s_waitcnt vmcnt(58)
	v_mul_f32_e32 v35, v32, v48
	s_waitcnt vmcnt(57) lgkmcnt(6)
	v_mul_f32_e32 v37, v28, v47
	s_waitcnt vmcnt(56) lgkmcnt(5)
	v_mul_f32_e32 v38, v22, v46
	s_waitcnt vmcnt(55)
	v_mul_f32_e32 v39, v24, v44
	s_waitcnt vmcnt(54)
	v_mul_f32_e32 v36, v26, v50
	s_waitcnt vmcnt(53) lgkmcnt(4)
	v_mul_f32_e32 v40, v18, v45
	s_waitcnt vmcnt(52)
	v_mul_f32_e32 v41, v20, v110
	s_waitcnt vmcnt(51) lgkmcnt(3)
	;; [unrolled: 4-line block ×3, first 2 shown]
	v_mul_f32_e32 v53, v6, v129
	s_waitcnt vmcnt(48)
	v_mul_f32_e32 v54, v8, v130
	s_waitcnt vmcnt(47)
	v_fmac_f32_e32 v36, v27, v131
	s_waitcnt vmcnt(46)
	v_fmac_f32_e32 v35, v33, v132
	;; [unrolled: 2-line block ×3, first 2 shown]
	v_add_f32_e32 v34, 0, v34
	v_add_f32_e32 v34, v34, v35
	;; [unrolled: 1-line block ×3, first 2 shown]
	s_waitcnt vmcnt(41)
	v_fmac_f32_e32 v37, v29, v137
	v_fmac_f32_e32 v38, v23, v136
	v_add_f32_e32 v34, v34, v37
	v_fmac_f32_e32 v39, v25, v135
	v_add_f32_e32 v34, v34, v38
	v_fmac_f32_e32 v40, v19, v134
	v_add_f32_e32 v34, v34, v39
	s_waitcnt vmcnt(37)
	v_fmac_f32_e32 v41, v21, v141
	v_add_f32_e32 v34, v34, v40
	v_fmac_f32_e32 v51, v15, v140
	v_add_f32_e32 v34, v34, v41
	;; [unrolled: 2-line block ×4, first 2 shown]
	s_waitcnt vmcnt(33)
	v_fmac_f32_e32 v54, v9, v145
	v_add_f32_e32 v34, v34, v53
	s_waitcnt vmcnt(32) lgkmcnt(1)
	v_mul_f32_e32 v35, v10, v146
	v_add_f32_e32 v34, v34, v54
	v_fmac_f32_e32 v35, v11, v144
	v_add_f32_e32 v34, v34, v35
	s_waitcnt vmcnt(31)
	v_mul_f32_e32 v35, v12, v147
	v_fmac_f32_e32 v35, v13, v143
	v_add_f32_e32 v34, v34, v35
	s_waitcnt vmcnt(30) lgkmcnt(0)
	v_mul_f32_e32 v35, v2, v148
	v_fmac_f32_e32 v35, v3, v142
	v_add_f32_e32 v38, v34, v35
	ds_read_b128 v[34:37], v1 offset:720
	buffer_load_dword v177, off, s[0:3], 0 offset:312
	buffer_load_dword v178, off, s[0:3], 0 offset:316
	buffer_load_dword v179, off, s[0:3], 0 offset:320
	buffer_load_dword v180, off, s[0:3], 0 offset:324
	s_waitcnt vmcnt(32)
	v_mul_f32_e32 v39, v4, v150
	v_fmac_f32_e32 v39, v5, v149
	v_add_f32_e32 v51, v38, v39
	ds_read_b128 v[38:41], v1 offset:736
	buffer_load_dword v181, off, s[0:3], 0 offset:328
	buffer_load_dword v182, off, s[0:3], 0 offset:332
	buffer_load_dword v183, off, s[0:3], 0 offset:336
	buffer_load_dword v184, off, s[0:3], 0 offset:340
	buffer_load_dword v185, off, s[0:3], 0 offset:344
	buffer_load_dword v186, off, s[0:3], 0 offset:348
	buffer_load_dword v187, off, s[0:3], 0 offset:352
	buffer_load_dword v188, off, s[0:3], 0 offset:356
	buffer_load_dword v189, off, s[0:3], 0 offset:360
	buffer_load_dword v190, off, s[0:3], 0 offset:364
	buffer_load_dword v191, off, s[0:3], 0 offset:368
	buffer_load_dword v192, off, s[0:3], 0 offset:372
	s_waitcnt vmcnt(40) lgkmcnt(1)
	v_mul_f32_e32 v52, v34, v152
	v_fmac_f32_e32 v52, v35, v151
	buffer_load_dword v193, off, s[0:3], 0 offset:376
	buffer_load_dword v194, off, s[0:3], 0 offset:380
	v_add_f32_e32 v51, v51, v52
	s_waitcnt vmcnt(40)
	v_mul_f32_e32 v52, v36, v154
	v_fmac_f32_e32 v52, v37, v153
	buffer_load_dword v195, off, s[0:3], 0 offset:384
	buffer_load_dword v196, off, s[0:3], 0 offset:388
	v_add_f32_e32 v51, v51, v52
	s_waitcnt vmcnt(40) lgkmcnt(0)
	v_mul_f32_e32 v52, v38, v156
	v_fmac_f32_e32 v52, v39, v155
	v_add_f32_e32 v51, v51, v52
	ds_read_b128 v[52:55], v1 offset:752
	buffer_load_dword v197, off, s[0:3], 0 offset:392
	buffer_load_dword v198, off, s[0:3], 0 offset:396
	s_waitcnt vmcnt(40)
	v_mul_f32_e32 v56, v40, v158
	v_fmac_f32_e32 v56, v41, v157
	v_add_f32_e32 v51, v51, v56
	ds_read_b128 v[56:59], v1 offset:768
	buffer_load_dword v199, off, s[0:3], 0 offset:400
	buffer_load_dword v200, off, s[0:3], 0 offset:404
	;; [unrolled: 1-line block ×8, first 2 shown]
	s_waitcnt vmcnt(46) lgkmcnt(1)
	v_mul_f32_e32 v60, v52, v160
	v_fmac_f32_e32 v60, v53, v159
	v_add_f32_e32 v51, v51, v60
	s_waitcnt vmcnt(44)
	v_mul_f32_e32 v60, v54, v162
	v_fmac_f32_e32 v60, v55, v161
	v_add_f32_e32 v51, v51, v60
	s_waitcnt vmcnt(42) lgkmcnt(0)
	v_mul_f32_e32 v60, v56, v164
	v_fmac_f32_e32 v60, v57, v163
	v_add_f32_e32 v51, v51, v60
	buffer_load_dword v207, off, s[0:3], 0 offset:432
	buffer_load_dword v208, off, s[0:3], 0 offset:436
	;; [unrolled: 1-line block ×4, first 2 shown]
	ds_read_b128 v[60:63], v1 offset:784
	s_waitcnt vmcnt(44)
	v_mul_f32_e32 v64, v58, v166
	v_fmac_f32_e32 v64, v59, v165
	v_add_f32_e32 v51, v51, v64
	ds_read_b128 v[64:67], v1 offset:800
	s_waitcnt vmcnt(42) lgkmcnt(1)
	v_mul_f32_e32 v68, v60, v168
	v_fmac_f32_e32 v68, v61, v167
	v_add_f32_e32 v51, v51, v68
	s_waitcnt vmcnt(40)
	v_mul_f32_e32 v68, v62, v170
	v_fmac_f32_e32 v68, v63, v169
	v_add_f32_e32 v51, v51, v68
	s_waitcnt vmcnt(38) lgkmcnt(0)
	v_mul_f32_e32 v68, v64, v172
	v_fmac_f32_e32 v68, v65, v171
	v_add_f32_e32 v51, v51, v68
	ds_read_b128 v[68:71], v1 offset:816
	s_waitcnt vmcnt(36)
	v_mul_f32_e32 v72, v66, v174
	v_fmac_f32_e32 v72, v67, v173
	v_add_f32_e32 v51, v51, v72
	ds_read_b128 v[72:75], v1 offset:832
	s_waitcnt vmcnt(34) lgkmcnt(1)
	v_mul_f32_e32 v76, v68, v176
	v_fmac_f32_e32 v76, v69, v175
	v_add_f32_e32 v51, v51, v76
	v_mul_f32_e32 v31, v31, v49
	v_fma_f32 v30, v30, v133, -v31
	v_mul_f32_e32 v31, v33, v48
	v_add_f32_e32 v30, 0, v30
	v_fma_f32 v31, v32, v132, -v31
	v_mul_f32_e32 v27, v27, v50
	v_add_f32_e32 v30, v30, v31
	;; [unrolled: 3-line block ×4, first 2 shown]
	v_fma_f32 v22, v22, v136, -v23
	v_mul_f32_e32 v23, v25, v44
	s_waitcnt vmcnt(32)
	v_mul_f32_e32 v76, v70, v178
	v_fmac_f32_e32 v76, v71, v177
	v_add_f32_e32 v51, v51, v76
	s_waitcnt vmcnt(30) lgkmcnt(0)
	v_mul_f32_e32 v76, v72, v180
	v_fmac_f32_e32 v76, v73, v179
	v_add_f32_e32 v51, v51, v76
	ds_read_b128 v[76:79], v1 offset:848
	s_waitcnt vmcnt(28)
	v_mul_f32_e32 v80, v74, v182
	v_fmac_f32_e32 v80, v75, v181
	v_add_f32_e32 v51, v51, v80
	ds_read_b128 v[80:83], v1 offset:864
	s_waitcnt vmcnt(26) lgkmcnt(1)
	v_mul_f32_e32 v84, v76, v184
	v_fmac_f32_e32 v84, v77, v183
	v_add_f32_e32 v51, v51, v84
	s_waitcnt vmcnt(24)
	v_mul_f32_e32 v84, v78, v186
	v_fmac_f32_e32 v84, v79, v185
	v_add_f32_e32 v51, v51, v84
	s_waitcnt vmcnt(22) lgkmcnt(0)
	v_mul_f32_e32 v84, v80, v188
	v_fmac_f32_e32 v84, v81, v187
	v_add_f32_e32 v51, v51, v84
	ds_read_b128 v[84:87], v1 offset:880
	s_waitcnt vmcnt(20)
	v_mul_f32_e32 v88, v82, v190
	v_fmac_f32_e32 v88, v83, v189
	v_add_f32_e32 v51, v51, v88
	ds_read_b128 v[88:91], v1 offset:896
	s_waitcnt vmcnt(18) lgkmcnt(1)
	v_mul_f32_e32 v92, v84, v192
	v_fmac_f32_e32 v92, v85, v191
	v_add_f32_e32 v51, v51, v92
	s_waitcnt vmcnt(16)
	v_mul_f32_e32 v92, v86, v194
	v_fmac_f32_e32 v92, v87, v193
	v_add_f32_e32 v51, v51, v92
	s_waitcnt vmcnt(14) lgkmcnt(0)
	v_mul_f32_e32 v92, v88, v196
	v_fmac_f32_e32 v92, v89, v195
	v_add_f32_e32 v51, v51, v92
	ds_read_b128 v[92:95], v1 offset:912
	s_waitcnt vmcnt(12)
	v_mul_f32_e32 v96, v90, v198
	v_fmac_f32_e32 v96, v91, v197
	v_add_f32_e32 v51, v51, v96
	ds_read_b128 v[96:99], v1 offset:928
	buffer_load_dword v109, off, s[0:3], 0 offset:452
	buffer_load_dword v108, off, s[0:3], 0 offset:448
	s_waitcnt vmcnt(12) lgkmcnt(1)
	v_mul_f32_e32 v100, v92, v200
	v_fmac_f32_e32 v100, v93, v199
	v_add_f32_e32 v51, v51, v100
	s_waitcnt vmcnt(10)
	v_mul_f32_e32 v100, v94, v202
	v_fmac_f32_e32 v100, v95, v201
	v_add_f32_e32 v51, v51, v100
	s_waitcnt vmcnt(8) lgkmcnt(0)
	v_mul_f32_e32 v100, v96, v204
	v_fmac_f32_e32 v100, v97, v203
	s_waitcnt vmcnt(6)
	v_mul_f32_e32 v104, v98, v206
	v_add_f32_e32 v51, v51, v100
	v_fmac_f32_e32 v104, v99, v205
	ds_read_b128 v[100:103], v1 offset:944
	v_add_f32_e32 v51, v51, v104
	ds_read_b128 v[104:107], v1 offset:960
	buffer_load_dword v115, off, s[0:3], 0 offset:484
	buffer_load_dword v114, off, s[0:3], 0 offset:480
	;; [unrolled: 1-line block ×14, first 2 shown]
	v_add_f32_e32 v22, v26, v22
	v_fma_f32 v23, v24, v135, -v23
	v_mul_f32_e32 v19, v19, v45
	v_add_f32_e32 v22, v22, v23
	v_fma_f32 v18, v18, v134, -v19
	v_mul_f32_e32 v19, v21, v110
	v_add_f32_e32 v18, v22, v18
	v_fma_f32 v19, v20, v141, -v19
	v_mul_f32_e32 v15, v15, v112
	v_add_f32_e32 v18, v18, v19
	v_fma_f32 v14, v14, v140, -v15
	v_mul_f32_e32 v15, v17, v128
	v_add_f32_e32 v14, v18, v14
	v_fma_f32 v15, v16, v139, -v15
	v_mul_f32_e32 v7, v7, v129
	v_add_f32_e32 v14, v14, v15
	v_fma_f32 v6, v6, v138, -v7
	v_mul_f32_e32 v7, v9, v130
	v_add_f32_e32 v6, v14, v6
	v_fma_f32 v7, v8, v145, -v7
	v_add_f32_e32 v6, v6, v7
	v_mul_f32_e32 v7, v11, v146
	v_fma_f32 v7, v10, v144, -v7
	v_add_f32_e32 v6, v6, v7
	v_mul_f32_e32 v7, v13, v147
	v_fma_f32 v7, v12, v143, -v7
	v_mul_f32_e32 v3, v3, v148
	v_add_f32_e32 v6, v6, v7
	v_fma_f32 v2, v2, v142, -v3
	v_mul_f32_e32 v3, v5, v150
	v_add_f32_e32 v2, v6, v2
	v_fma_f32 v3, v4, v149, -v3
	v_add_f32_e32 v2, v2, v3
	v_mul_f32_e32 v3, v35, v152
	v_fma_f32 v3, v34, v151, -v3
	v_add_f32_e32 v2, v2, v3
	v_mul_f32_e32 v3, v37, v154
	;; [unrolled: 3-line block ×28, first 2 shown]
	v_fma_f32 v3, v98, v205, -v3
	s_waitcnt vmcnt(15)
	v_mov_b32_e32 v16, v109
	s_waitcnt lgkmcnt(1)
	v_mul_f32_e32 v111, v100, v208
	v_add_f32_e32 v50, v2, v3
	v_mul_f32_e32 v2, v101, v208
	s_waitcnt lgkmcnt(0)
	v_pk_mul_f32 v[16:17], v[104:105], v[16:17] op_sel_hi:[1,0]
	v_fmac_f32_e32 v111, v101, v207
	v_mul_f32_e32 v113, v102, v238
	v_fma_f32 v110, v100, v207, -v2
	v_mul_f32_e32 v2, v103, v238
	s_waitcnt vmcnt(14)
	v_pk_fma_f32 v[18:19], v[104:105], v[108:109], v[16:17] op_sel:[0,0,1] op_sel_hi:[1,1,0] neg_lo:[0,0,1] neg_hi:[0,0,1]
	v_pk_fma_f32 v[16:17], v[104:105], v[108:109], v[16:17] op_sel:[0,0,1] op_sel_hi:[1,0,0]
	v_fmac_f32_e32 v113, v103, v209
	v_fma_f32 v112, v102, v209, -v2
	v_pk_add_f32 v[14:15], v[50:51], v[110:111]
	s_waitcnt vmcnt(7)
	v_mov_b32_e32 v16, v121
	ds_read_b128 v[2:5], v1 offset:976
	ds_read_b128 v[6:9], v1 offset:992
	;; [unrolled: 1-line block ×3, first 2 shown]
	v_pk_add_f32 v[14:15], v[14:15], v[112:113]
	v_mov_b32_e32 v19, v17
	v_pk_mul_f32 v[16:17], v[106:107], v[16:17] op_sel_hi:[1,0]
	v_pk_add_f32 v[14:15], v[14:15], v[18:19]
	s_waitcnt vmcnt(6)
	v_pk_fma_f32 v[18:19], v[106:107], v[120:121], v[16:17] op_sel:[0,0,1] op_sel_hi:[1,1,0] neg_lo:[0,0,1] neg_hi:[0,0,1]
	v_pk_fma_f32 v[16:17], v[106:107], v[120:121], v[16:17] op_sel:[0,0,1] op_sel_hi:[1,0,0]
	v_mov_b32_e32 v16, v119
	v_mov_b32_e32 v19, v17
	s_waitcnt lgkmcnt(2)
	v_pk_mul_f32 v[16:17], v[2:3], v[16:17] op_sel_hi:[1,0]
	v_pk_add_f32 v[14:15], v[14:15], v[18:19]
	v_pk_fma_f32 v[18:19], v[2:3], v[118:119], v[16:17] op_sel:[0,0,1] op_sel_hi:[1,1,0] neg_lo:[0,0,1] neg_hi:[0,0,1]
	v_pk_fma_f32 v[2:3], v[2:3], v[118:119], v[16:17] op_sel:[0,0,1] op_sel_hi:[1,0,0]
	v_mov_b32_e32 v19, v3
	v_pk_add_f32 v[2:3], v[14:15], v[18:19]
	v_mov_b32_e32 v14, v117
	v_pk_mul_f32 v[14:15], v[4:5], v[14:15] op_sel_hi:[1,0]
	v_pk_fma_f32 v[16:17], v[4:5], v[116:117], v[14:15] op_sel:[0,0,1] op_sel_hi:[1,1,0] neg_lo:[0,0,1] neg_hi:[0,0,1]
	v_pk_fma_f32 v[4:5], v[4:5], v[116:117], v[14:15] op_sel:[0,0,1] op_sel_hi:[1,0,0]
	v_mov_b32_e32 v4, v115
	v_mov_b32_e32 v17, v5
	s_waitcnt lgkmcnt(1)
	v_pk_mul_f32 v[4:5], v[6:7], v[4:5] op_sel_hi:[1,0]
	v_pk_fma_f32 v[14:15], v[6:7], v[114:115], v[4:5] op_sel:[0,0,1] op_sel_hi:[1,1,0] neg_lo:[0,0,1] neg_hi:[0,0,1]
	v_pk_fma_f32 v[4:5], v[6:7], v[114:115], v[4:5] op_sel:[0,0,1] op_sel_hi:[1,0,0]
	s_waitcnt vmcnt(1)
	v_mov_b32_e32 v4, v127
	v_mov_b32_e32 v15, v5
	v_pk_mul_f32 v[4:5], v[8:9], v[4:5] op_sel_hi:[1,0]
	s_waitcnt vmcnt(0)
	v_pk_fma_f32 v[6:7], v[8:9], v[126:127], v[4:5] op_sel:[0,0,1] op_sel_hi:[1,1,0] neg_lo:[0,0,1] neg_hi:[0,0,1]
	v_pk_fma_f32 v[4:5], v[8:9], v[126:127], v[4:5] op_sel:[0,0,1] op_sel_hi:[1,0,0]
	v_pk_add_f32 v[2:3], v[2:3], v[16:17]
	v_mov_b32_e32 v4, v125
	v_pk_add_f32 v[2:3], v[2:3], v[14:15]
	v_mov_b32_e32 v7, v5
	s_waitcnt lgkmcnt(0)
	v_pk_mul_f32 v[4:5], v[10:11], v[4:5] op_sel_hi:[1,0]
	v_pk_add_f32 v[2:3], v[2:3], v[6:7]
	v_pk_fma_f32 v[6:7], v[10:11], v[124:125], v[4:5] op_sel:[0,0,1] op_sel_hi:[1,1,0] neg_lo:[0,0,1] neg_hi:[0,0,1]
	v_pk_fma_f32 v[4:5], v[10:11], v[124:125], v[4:5] op_sel:[0,0,1] op_sel_hi:[1,0,0]
	v_mov_b32_e32 v4, v123
	v_mov_b32_e32 v7, v5
	v_pk_mul_f32 v[4:5], v[12:13], v[4:5] op_sel_hi:[1,0]
	v_pk_add_f32 v[2:3], v[2:3], v[6:7]
	v_pk_fma_f32 v[6:7], v[12:13], v[122:123], v[4:5] op_sel:[0,0,1] op_sel_hi:[1,1,0] neg_lo:[0,0,1] neg_hi:[0,0,1]
	v_pk_fma_f32 v[4:5], v[12:13], v[122:123], v[4:5] op_sel:[0,0,1] op_sel_hi:[1,0,0]
	v_mov_b32_e32 v7, v5
	v_pk_add_f32 v[2:3], v[2:3], v[6:7]
	v_pk_add_f32 v[2:3], v[42:43], v[2:3] neg_lo:[0,1] neg_hi:[0,1]
	buffer_store_dword v3, off, s[0:3], 0 offset:76
	buffer_store_dword v2, off, s[0:3], 0 offset:72
	s_and_saveexec_b64 s[4:5], vcc
	s_cbranch_execz .LBB127_381
; %bb.380:
	buffer_load_dword v2, off, s[0:3], 0 offset:64
	buffer_load_dword v3, off, s[0:3], 0 offset:68
	v_mov_b32_e32 v1, 0
	buffer_store_dword v1, off, s[0:3], 0 offset:64
	buffer_store_dword v1, off, s[0:3], 0 offset:68
	s_waitcnt vmcnt(2)
	ds_write_b64 v223, v[2:3]
.LBB127_381:
	s_or_b64 exec, exec, s[4:5]
	s_waitcnt lgkmcnt(0)
	; wave barrier
	s_waitcnt lgkmcnt(0)
	buffer_load_dword v57, off, s[0:3], 0 offset:76
	buffer_load_dword v56, off, s[0:3], 0 offset:84
	;; [unrolled: 1-line block ×48, first 2 shown]
	v_mov_b32_e32 v1, 0
	ds_read2_b64 v[22:25], v1 offset0:73 offset1:74
	ds_read2_b64 v[18:21], v1 offset0:75 offset1:76
	ds_read2_b64 v[14:17], v1 offset0:77 offset1:78
	ds_read2_b64 v[10:13], v1 offset0:79 offset1:80
	ds_read2_b64 v[6:9], v1 offset0:81 offset1:82
	ds_read2_b64 v[2:5], v1 offset0:83 offset1:84
	v_cmp_lt_u32_e32 vcc, 7, v0
	s_waitcnt vmcnt(47) lgkmcnt(5)
	v_mul_f32_e32 v26, v22, v57
	s_waitcnt vmcnt(46)
	v_mul_f32_e32 v27, v24, v56
	s_waitcnt vmcnt(45) lgkmcnt(4)
	v_mul_f32_e32 v29, v20, v55
	s_waitcnt vmcnt(44) lgkmcnt(3)
	v_mul_f32_e32 v30, v14, v54
	s_waitcnt vmcnt(43)
	v_mul_f32_e32 v31, v16, v52
	s_waitcnt vmcnt(42)
	v_mul_f32_e32 v28, v18, v58
	s_waitcnt vmcnt(41) lgkmcnt(2)
	v_mul_f32_e32 v32, v10, v53
	s_waitcnt vmcnt(40)
	v_mul_f32_e32 v33, v12, v59
	s_waitcnt vmcnt(39) lgkmcnt(1)
	;; [unrolled: 4-line block ×3, first 2 shown]
	v_mul_f32_e32 v36, v2, v62
	s_waitcnt vmcnt(36)
	v_mul_f32_e32 v37, v4, v63
	s_waitcnt vmcnt(35)
	v_fmac_f32_e32 v28, v19, v69
	s_waitcnt vmcnt(34)
	v_fmac_f32_e32 v27, v25, v72
	;; [unrolled: 2-line block ×3, first 2 shown]
	v_add_f32_e32 v26, 0, v26
	v_add_f32_e32 v26, v26, v27
	;; [unrolled: 1-line block ×3, first 2 shown]
	s_waitcnt vmcnt(29)
	v_fmac_f32_e32 v29, v21, v74
	v_fmac_f32_e32 v30, v15, v71
	v_add_f32_e32 v26, v26, v29
	v_fmac_f32_e32 v31, v17, v68
	v_add_f32_e32 v26, v26, v30
	;; [unrolled: 2-line block ×3, first 2 shown]
	s_waitcnt vmcnt(25)
	v_fmac_f32_e32 v33, v13, v70
	v_add_f32_e32 v26, v26, v32
	v_fmac_f32_e32 v34, v7, v67
	v_add_f32_e32 v26, v26, v33
	;; [unrolled: 2-line block ×4, first 2 shown]
	s_waitcnt vmcnt(21)
	v_fmac_f32_e32 v37, v5, v81
	v_add_f32_e32 v30, v30, v36
	ds_read2_b64 v[26:29], v1 offset0:85 offset1:86
	v_add_f32_e32 v34, v30, v37
	ds_read2_b64 v[30:33], v1 offset0:87 offset1:88
	buffer_load_dword v165, off, s[0:3], 0 offset:256
	buffer_load_dword v166, off, s[0:3], 0 offset:260
	;; [unrolled: 1-line block ×6, first 2 shown]
	s_waitcnt vmcnt(26) lgkmcnt(1)
	v_mul_f32_e32 v35, v26, v80
	v_fmac_f32_e32 v35, v27, v78
	buffer_load_dword v171, off, s[0:3], 0 offset:280
	buffer_load_dword v172, off, s[0:3], 0 offset:284
	v_add_f32_e32 v34, v34, v35
	s_waitcnt vmcnt(27)
	v_mul_f32_e32 v35, v28, v79
	v_fmac_f32_e32 v35, v29, v76
	v_add_f32_e32 v34, v34, v35
	s_waitcnt vmcnt(26) lgkmcnt(0)
	v_mul_f32_e32 v35, v30, v77
	v_fmac_f32_e32 v35, v31, v73
	buffer_load_dword v173, off, s[0:3], 0 offset:288
	buffer_load_dword v174, off, s[0:3], 0 offset:292
	v_add_f32_e32 v34, v34, v35
	s_waitcnt vmcnt(21)
	v_mul_f32_e32 v35, v32, v138
	s_waitcnt vmcnt(20)
	v_fmac_f32_e32 v35, v33, v140
	v_add_f32_e32 v42, v34, v35
	ds_read2_b64 v[34:37], v1 offset0:89 offset1:90
	buffer_load_dword v175, off, s[0:3], 0 offset:296
	buffer_load_dword v176, off, s[0:3], 0 offset:300
	ds_read2_b64 v[38:41], v1 offset0:91 offset1:92
	buffer_load_dword v177, off, s[0:3], 0 offset:304
	buffer_load_dword v178, off, s[0:3], 0 offset:308
	;; [unrolled: 1-line block ×12, first 2 shown]
	s_waitcnt lgkmcnt(1)
	v_mul_f32_e32 v43, v34, v83
	v_fmac_f32_e32 v43, v35, v82
	buffer_load_dword v189, off, s[0:3], 0 offset:352
	buffer_load_dword v190, off, s[0:3], 0 offset:356
	v_add_f32_e32 v42, v42, v43
	v_mul_f32_e32 v43, v36, v85
	v_fmac_f32_e32 v43, v37, v84
	v_add_f32_e32 v42, v42, v43
	s_waitcnt lgkmcnt(0)
	v_mul_f32_e32 v43, v38, v87
	buffer_load_dword v191, off, s[0:3], 0 offset:360
	buffer_load_dword v192, off, s[0:3], 0 offset:364
	v_fmac_f32_e32 v43, v39, v86
	v_add_f32_e32 v46, v42, v43
	ds_read2_b64 v[42:45], v1 offset0:93 offset1:94
	buffer_load_dword v193, off, s[0:3], 0 offset:368
	buffer_load_dword v194, off, s[0:3], 0 offset:372
	;; [unrolled: 1-line block ×4, first 2 shown]
	s_waitcnt vmcnt(38)
	v_mul_f32_e32 v47, v40, v158
	v_fmac_f32_e32 v47, v41, v88
	v_add_f32_e32 v89, v46, v47
	ds_read2_b64 v[46:49], v1 offset0:95 offset1:96
	buffer_load_dword v197, off, s[0:3], 0 offset:384
	buffer_load_dword v198, off, s[0:3], 0 offset:388
	;; [unrolled: 1-line block ×10, first 2 shown]
	s_waitcnt vmcnt(46) lgkmcnt(1)
	v_mul_f32_e32 v90, v42, v160
	v_fmac_f32_e32 v90, v43, v159
	v_add_f32_e32 v89, v89, v90
	s_waitcnt vmcnt(44)
	v_mul_f32_e32 v90, v44, v162
	v_fmac_f32_e32 v90, v45, v161
	v_add_f32_e32 v89, v89, v90
	s_waitcnt vmcnt(42) lgkmcnt(0)
	v_mul_f32_e32 v90, v46, v164
	v_fmac_f32_e32 v90, v47, v163
	v_add_f32_e32 v89, v89, v90
	buffer_load_dword v207, off, s[0:3], 0 offset:424
	buffer_load_dword v208, off, s[0:3], 0 offset:428
	;; [unrolled: 1-line block ×6, first 2 shown]
	ds_read2_b64 v[90:93], v1 offset0:97 offset1:98
	v_mul_f32_e32 v23, v23, v57
	v_fma_f32 v22, v22, v75, -v23
	v_mul_f32_e32 v23, v25, v56
	v_add_f32_e32 v22, 0, v22
	v_fma_f32 v23, v24, v72, -v23
	v_mul_f32_e32 v19, v19, v58
	v_add_f32_e32 v22, v22, v23
	;; [unrolled: 3-line block ×6, first 2 shown]
	v_fma_f32 v10, v10, v66, -v11
	s_waitcnt vmcnt(46)
	v_mul_f32_e32 v94, v48, v166
	v_fmac_f32_e32 v94, v49, v165
	v_add_f32_e32 v89, v89, v94
	ds_read2_b64 v[94:97], v1 offset0:99 offset1:100
	s_waitcnt vmcnt(44) lgkmcnt(1)
	v_mul_f32_e32 v98, v90, v168
	v_fmac_f32_e32 v98, v91, v167
	v_add_f32_e32 v89, v89, v98
	s_waitcnt vmcnt(42)
	v_mul_f32_e32 v98, v92, v170
	v_fmac_f32_e32 v98, v93, v169
	v_add_f32_e32 v89, v89, v98
	s_waitcnt vmcnt(40) lgkmcnt(0)
	v_mul_f32_e32 v98, v94, v172
	v_fmac_f32_e32 v98, v95, v171
	v_add_f32_e32 v89, v89, v98
	ds_read2_b64 v[98:101], v1 offset0:101 offset1:102
	s_waitcnt vmcnt(38)
	v_mul_f32_e32 v102, v96, v174
	v_fmac_f32_e32 v102, v97, v173
	v_add_f32_e32 v89, v89, v102
	ds_read2_b64 v[102:105], v1 offset0:103 offset1:104
	s_waitcnt vmcnt(36) lgkmcnt(1)
	v_mul_f32_e32 v106, v98, v176
	v_fmac_f32_e32 v106, v99, v175
	v_add_f32_e32 v89, v89, v106
	s_waitcnt vmcnt(34)
	v_mul_f32_e32 v106, v100, v178
	v_fmac_f32_e32 v106, v101, v177
	v_add_f32_e32 v89, v89, v106
	s_waitcnt vmcnt(32) lgkmcnt(0)
	v_mul_f32_e32 v106, v102, v180
	v_fmac_f32_e32 v106, v103, v179
	v_add_f32_e32 v89, v89, v106
	ds_read2_b64 v[106:109], v1 offset0:105 offset1:106
	s_waitcnt vmcnt(30)
	v_mul_f32_e32 v110, v104, v182
	v_fmac_f32_e32 v110, v105, v181
	v_add_f32_e32 v89, v89, v110
	ds_read2_b64 v[110:113], v1 offset0:107 offset1:108
	s_waitcnt vmcnt(28) lgkmcnt(1)
	v_mul_f32_e32 v114, v106, v184
	v_fmac_f32_e32 v114, v107, v183
	v_add_f32_e32 v89, v89, v114
	s_waitcnt vmcnt(26)
	v_mul_f32_e32 v114, v108, v186
	v_fmac_f32_e32 v114, v109, v185
	v_add_f32_e32 v89, v89, v114
	s_waitcnt vmcnt(24) lgkmcnt(0)
	v_mul_f32_e32 v114, v110, v188
	v_fmac_f32_e32 v114, v111, v187
	v_add_f32_e32 v89, v89, v114
	ds_read2_b64 v[114:117], v1 offset0:109 offset1:110
	s_waitcnt vmcnt(22)
	v_mul_f32_e32 v118, v112, v190
	v_fmac_f32_e32 v118, v113, v189
	v_add_f32_e32 v89, v89, v118
	ds_read2_b64 v[118:121], v1 offset0:111 offset1:112
	s_waitcnt vmcnt(20) lgkmcnt(1)
	v_mul_f32_e32 v122, v114, v192
	v_fmac_f32_e32 v122, v115, v191
	v_add_f32_e32 v89, v89, v122
	s_waitcnt vmcnt(18)
	v_mul_f32_e32 v122, v116, v194
	v_fmac_f32_e32 v122, v117, v193
	v_add_f32_e32 v89, v89, v122
	s_waitcnt vmcnt(16) lgkmcnt(0)
	v_mul_f32_e32 v122, v118, v196
	v_fmac_f32_e32 v122, v119, v195
	v_add_f32_e32 v89, v89, v122
	ds_read2_b64 v[122:125], v1 offset0:113 offset1:114
	s_waitcnt vmcnt(14)
	v_mul_f32_e32 v126, v120, v198
	v_fmac_f32_e32 v126, v121, v197
	v_add_f32_e32 v89, v89, v126
	ds_read2_b64 v[126:129], v1 offset0:115 offset1:116
	s_waitcnt vmcnt(12) lgkmcnt(1)
	v_mul_f32_e32 v130, v122, v200
	v_fmac_f32_e32 v130, v123, v199
	v_add_f32_e32 v89, v89, v130
	s_waitcnt vmcnt(10)
	v_mul_f32_e32 v130, v124, v202
	v_fmac_f32_e32 v130, v125, v201
	v_add_f32_e32 v89, v89, v130
	s_waitcnt vmcnt(8) lgkmcnt(0)
	v_mul_f32_e32 v130, v126, v204
	v_fmac_f32_e32 v130, v127, v203
	s_waitcnt vmcnt(6)
	v_mul_f32_e32 v134, v128, v206
	v_add_f32_e32 v89, v89, v130
	v_fmac_f32_e32 v134, v129, v205
	v_mul_f32_e32 v11, v13, v59
	ds_read2_b64 v[130:133], v1 offset0:117 offset1:118
	v_add_f32_e32 v89, v89, v134
	ds_read2_b64 v[134:137], v1 offset0:119 offset1:120
	buffer_load_dword v143, off, s[0:3], 0 offset:476
	buffer_load_dword v142, off, s[0:3], 0 offset:472
	;; [unrolled: 1-line block ×16, first 2 shown]
	v_add_f32_e32 v10, v14, v10
	v_fma_f32 v11, v12, v70, -v11
	v_mul_f32_e32 v7, v7, v60
	v_add_f32_e32 v10, v10, v11
	v_fma_f32 v6, v6, v67, -v7
	v_mul_f32_e32 v7, v9, v61
	;; [unrolled: 3-line block ×4, first 2 shown]
	v_add_f32_e32 v2, v6, v2
	v_fma_f32 v3, v4, v81, -v3
	v_add_f32_e32 v2, v2, v3
	v_mul_f32_e32 v3, v27, v80
	v_fma_f32 v3, v26, v78, -v3
	v_add_f32_e32 v2, v2, v3
	v_mul_f32_e32 v3, v29, v79
	;; [unrolled: 3-line block ×32, first 2 shown]
	v_fma_f32 v3, v128, v205, -v3
	v_add_f32_e32 v2, v2, v3
	s_waitcnt vmcnt(20) lgkmcnt(1)
	v_mul_f32_e32 v3, v131, v208
	v_mul_f32_e32 v139, v130, v208
	v_fma_f32 v3, v130, v207, -v3
	v_fmac_f32_e32 v139, v131, v207
	v_add_f32_e32 v88, v2, v3
	s_waitcnt vmcnt(18)
	v_mul_f32_e32 v2, v133, v238
	s_waitcnt vmcnt(9)
	v_mov_b32_e32 v18, v149
	v_add_f32_e32 v89, v89, v139
	v_mul_f32_e32 v139, v132, v238
	v_fma_f32 v138, v132, v209, -v2
	s_waitcnt lgkmcnt(0)
	v_mul_f32_e32 v2, v135, v240
	v_pk_mul_f32 v[18:19], v[136:137], v[18:19] op_sel_hi:[1,0]
	v_fmac_f32_e32 v139, v133, v209
	v_mul_f32_e32 v141, v134, v240
	v_fma_f32 v140, v134, v239, -v2
	ds_read2_b64 v[2:5], v1 offset0:121 offset1:122
	ds_read2_b64 v[6:9], v1 offset0:123 offset1:124
	;; [unrolled: 1-line block ×3, first 2 shown]
	ds_read_b64 v[14:15], v1 offset:1016
	s_waitcnt vmcnt(8)
	v_pk_fma_f32 v[20:21], v[136:137], v[148:149], v[18:19] op_sel:[0,0,1] op_sel_hi:[1,1,0] neg_lo:[0,0,1] neg_hi:[0,0,1]
	v_pk_fma_f32 v[18:19], v[136:137], v[148:149], v[18:19] op_sel:[0,0,1] op_sel_hi:[1,0,0]
	v_fmac_f32_e32 v141, v135, v239
	v_pk_add_f32 v[16:17], v[88:89], v[138:139]
	v_mov_b32_e32 v18, v147
	v_pk_add_f32 v[16:17], v[16:17], v[140:141]
	v_mov_b32_e32 v21, v19
	s_waitcnt lgkmcnt(3)
	v_pk_mul_f32 v[18:19], v[2:3], v[18:19] op_sel_hi:[1,0]
	v_pk_add_f32 v[16:17], v[16:17], v[20:21]
	v_pk_fma_f32 v[20:21], v[2:3], v[146:147], v[18:19] op_sel:[0,0,1] op_sel_hi:[1,1,0] neg_lo:[0,0,1] neg_hi:[0,0,1]
	v_pk_fma_f32 v[2:3], v[2:3], v[146:147], v[18:19] op_sel:[0,0,1] op_sel_hi:[1,0,0]
	v_mov_b32_e32 v21, v3
	v_pk_add_f32 v[2:3], v[16:17], v[20:21]
	v_mov_b32_e32 v16, v145
	v_pk_mul_f32 v[16:17], v[4:5], v[16:17] op_sel_hi:[1,0]
	v_pk_fma_f32 v[18:19], v[4:5], v[144:145], v[16:17] op_sel:[0,0,1] op_sel_hi:[1,1,0] neg_lo:[0,0,1] neg_hi:[0,0,1]
	v_pk_fma_f32 v[4:5], v[4:5], v[144:145], v[16:17] op_sel:[0,0,1] op_sel_hi:[1,0,0]
	v_mov_b32_e32 v4, v143
	v_mov_b32_e32 v19, v5
	s_waitcnt lgkmcnt(2)
	v_pk_mul_f32 v[4:5], v[6:7], v[4:5] op_sel_hi:[1,0]
	v_pk_fma_f32 v[16:17], v[6:7], v[142:143], v[4:5] op_sel:[0,0,1] op_sel_hi:[1,1,0] neg_lo:[0,0,1] neg_hi:[0,0,1]
	v_pk_fma_f32 v[4:5], v[6:7], v[142:143], v[4:5] op_sel:[0,0,1] op_sel_hi:[1,0,0]
	s_waitcnt vmcnt(1)
	v_mov_b32_e32 v4, v157
	v_mov_b32_e32 v17, v5
	v_pk_mul_f32 v[4:5], v[8:9], v[4:5] op_sel_hi:[1,0]
	s_waitcnt vmcnt(0)
	v_pk_fma_f32 v[6:7], v[8:9], v[156:157], v[4:5] op_sel:[0,0,1] op_sel_hi:[1,1,0] neg_lo:[0,0,1] neg_hi:[0,0,1]
	v_pk_fma_f32 v[4:5], v[8:9], v[156:157], v[4:5] op_sel:[0,0,1] op_sel_hi:[1,0,0]
	v_pk_add_f32 v[2:3], v[2:3], v[18:19]
	v_mov_b32_e32 v4, v155
	v_pk_add_f32 v[2:3], v[2:3], v[16:17]
	v_mov_b32_e32 v7, v5
	s_waitcnt lgkmcnt(1)
	v_pk_mul_f32 v[4:5], v[10:11], v[4:5] op_sel_hi:[1,0]
	v_pk_add_f32 v[2:3], v[2:3], v[6:7]
	v_pk_fma_f32 v[6:7], v[10:11], v[154:155], v[4:5] op_sel:[0,0,1] op_sel_hi:[1,1,0] neg_lo:[0,0,1] neg_hi:[0,0,1]
	v_pk_fma_f32 v[4:5], v[10:11], v[154:155], v[4:5] op_sel:[0,0,1] op_sel_hi:[1,0,0]
	v_mov_b32_e32 v4, v153
	v_mov_b32_e32 v7, v5
	v_pk_mul_f32 v[4:5], v[12:13], v[4:5] op_sel_hi:[1,0]
	v_pk_add_f32 v[2:3], v[2:3], v[6:7]
	v_pk_fma_f32 v[6:7], v[12:13], v[152:153], v[4:5] op_sel:[0,0,1] op_sel_hi:[1,1,0] neg_lo:[0,0,1] neg_hi:[0,0,1]
	v_pk_fma_f32 v[4:5], v[12:13], v[152:153], v[4:5] op_sel:[0,0,1] op_sel_hi:[1,0,0]
	v_mov_b32_e32 v4, v151
	v_mov_b32_e32 v7, v5
	s_waitcnt lgkmcnt(0)
	v_pk_mul_f32 v[4:5], v[14:15], v[4:5] op_sel_hi:[1,0]
	v_pk_add_f32 v[2:3], v[2:3], v[6:7]
	v_pk_fma_f32 v[6:7], v[14:15], v[150:151], v[4:5] op_sel:[0,0,1] op_sel_hi:[1,1,0] neg_lo:[0,0,1] neg_hi:[0,0,1]
	v_pk_fma_f32 v[4:5], v[14:15], v[150:151], v[4:5] op_sel:[0,0,1] op_sel_hi:[1,0,0]
	v_mov_b32_e32 v7, v5
	v_pk_add_f32 v[2:3], v[2:3], v[6:7]
	v_pk_add_f32 v[2:3], v[50:51], v[2:3] neg_lo:[0,1] neg_hi:[0,1]
	buffer_store_dword v3, off, s[0:3], 0 offset:68
	buffer_store_dword v2, off, s[0:3], 0 offset:64
	s_and_saveexec_b64 s[4:5], vcc
	s_cbranch_execz .LBB127_383
; %bb.382:
	buffer_load_dword v2, off, s[0:3], 0 offset:56
	buffer_load_dword v3, off, s[0:3], 0 offset:60
	s_waitcnt vmcnt(0)
	ds_write_b64 v223, v[2:3]
	buffer_store_dword v1, off, s[0:3], 0 offset:56
	buffer_store_dword v1, off, s[0:3], 0 offset:60
.LBB127_383:
	s_or_b64 exec, exec, s[4:5]
	s_waitcnt lgkmcnt(0)
	; wave barrier
	s_waitcnt lgkmcnt(0)
	buffer_load_dword v57, off, s[0:3], 0 offset:68
	buffer_load_dword v56, off, s[0:3], 0 offset:76
	;; [unrolled: 1-line block ×40, first 2 shown]
	ds_read_b128 v[26:29], v1 offset:576
	ds_read_b128 v[22:25], v1 offset:592
	;; [unrolled: 1-line block ×7, first 2 shown]
	buffer_load_dword v90, off, s[0:3], 0 offset:216
	buffer_load_dword v91, off, s[0:3], 0 offset:220
	;; [unrolled: 1-line block ×10, first 2 shown]
	v_cmp_lt_u32_e32 vcc, 6, v0
	s_waitcnt vmcnt(49) lgkmcnt(6)
	v_mul_f32_e32 v30, v26, v57
	s_waitcnt vmcnt(48)
	v_mul_f32_e32 v31, v28, v56
	s_waitcnt vmcnt(47) lgkmcnt(5)
	v_mul_f32_e32 v33, v24, v55
	s_waitcnt vmcnt(46) lgkmcnt(4)
	v_mul_f32_e32 v34, v18, v54
	s_waitcnt vmcnt(45)
	v_mul_f32_e32 v35, v20, v52
	s_waitcnt vmcnt(44)
	v_mul_f32_e32 v32, v22, v58
	s_waitcnt vmcnt(43) lgkmcnt(3)
	v_mul_f32_e32 v36, v14, v53
	s_waitcnt vmcnt(42)
	v_mul_f32_e32 v37, v16, v59
	s_waitcnt vmcnt(41) lgkmcnt(2)
	;; [unrolled: 4-line block ×3, first 2 shown]
	v_mul_f32_e32 v40, v6, v62
	s_waitcnt vmcnt(38)
	v_mul_f32_e32 v41, v8, v63
	s_waitcnt vmcnt(37)
	v_fmac_f32_e32 v32, v23, v69
	s_waitcnt vmcnt(36)
	v_fmac_f32_e32 v31, v29, v72
	;; [unrolled: 2-line block ×3, first 2 shown]
	v_add_f32_e32 v30, 0, v30
	v_add_f32_e32 v30, v30, v31
	;; [unrolled: 1-line block ×3, first 2 shown]
	s_waitcnt vmcnt(31)
	v_fmac_f32_e32 v33, v25, v74
	v_fmac_f32_e32 v34, v19, v71
	v_add_f32_e32 v30, v30, v33
	v_fmac_f32_e32 v35, v21, v68
	v_add_f32_e32 v30, v30, v34
	;; [unrolled: 2-line block ×3, first 2 shown]
	s_waitcnt vmcnt(27)
	v_fmac_f32_e32 v37, v17, v70
	v_add_f32_e32 v30, v30, v36
	v_fmac_f32_e32 v38, v11, v67
	v_add_f32_e32 v30, v30, v37
	;; [unrolled: 2-line block ×4, first 2 shown]
	s_waitcnt vmcnt(23)
	v_fmac_f32_e32 v41, v9, v81
	v_add_f32_e32 v30, v30, v40
	v_add_f32_e32 v34, v30, v41
	ds_read_b128 v[30:33], v1 offset:688
	buffer_load_dword v167, off, s[0:3], 0 offset:256
	buffer_load_dword v168, off, s[0:3], 0 offset:260
	s_waitcnt vmcnt(24) lgkmcnt(1)
	v_mul_f32_e32 v35, v2, v80
	buffer_load_dword v169, off, s[0:3], 0 offset:264
	buffer_load_dword v170, off, s[0:3], 0 offset:268
	v_fmac_f32_e32 v35, v3, v78
	v_add_f32_e32 v34, v34, v35
	s_waitcnt vmcnt(25)
	v_mul_f32_e32 v35, v4, v79
	buffer_load_dword v171, off, s[0:3], 0 offset:272
	buffer_load_dword v172, off, s[0:3], 0 offset:276
	v_fmac_f32_e32 v35, v5, v76
	v_add_f32_e32 v34, v34, v35
	s_waitcnt vmcnt(26) lgkmcnt(0)
	v_mul_f32_e32 v35, v30, v77
	v_fmac_f32_e32 v35, v31, v73
	v_add_f32_e32 v38, v34, v35
	ds_read_b128 v[34:37], v1 offset:704
	buffer_load_dword v173, off, s[0:3], 0 offset:280
	buffer_load_dword v174, off, s[0:3], 0 offset:284
	s_waitcnt vmcnt(21)
	v_mul_f32_e32 v39, v32, v89
	s_waitcnt vmcnt(20)
	v_fmac_f32_e32 v39, v33, v88
	v_add_f32_e32 v42, v38, v39
	ds_read_b128 v[38:41], v1 offset:720
	buffer_load_dword v175, off, s[0:3], 0 offset:288
	buffer_load_dword v176, off, s[0:3], 0 offset:292
	;; [unrolled: 1-line block ×12, first 2 shown]
	s_waitcnt lgkmcnt(1)
	v_mul_f32_e32 v43, v34, v83
	v_fmac_f32_e32 v43, v35, v82
	buffer_load_dword v187, off, s[0:3], 0 offset:336
	buffer_load_dword v188, off, s[0:3], 0 offset:340
	v_add_f32_e32 v42, v42, v43
	v_mul_f32_e32 v43, v36, v85
	v_fmac_f32_e32 v43, v37, v84
	v_add_f32_e32 v42, v42, v43
	s_waitcnt lgkmcnt(0)
	v_mul_f32_e32 v43, v38, v87
	v_fmac_f32_e32 v43, v39, v86
	buffer_load_dword v189, off, s[0:3], 0 offset:344
	buffer_load_dword v190, off, s[0:3], 0 offset:348
	v_add_f32_e32 v42, v42, v43
	s_waitcnt vmcnt(32)
	v_mul_f32_e32 v43, v40, v91
	v_fmac_f32_e32 v43, v41, v90
	v_add_f32_e32 v95, v42, v43
	ds_read_b128 v[42:45], v1 offset:736
	buffer_load_dword v191, off, s[0:3], 0 offset:352
	buffer_load_dword v192, off, s[0:3], 0 offset:356
	ds_read_b128 v[46:49], v1 offset:752
	buffer_load_dword v193, off, s[0:3], 0 offset:360
	buffer_load_dword v194, off, s[0:3], 0 offset:364
	;; [unrolled: 1-line block ×14, first 2 shown]
	s_waitcnt vmcnt(46) lgkmcnt(1)
	v_mul_f32_e32 v96, v42, v93
	v_fmac_f32_e32 v96, v43, v92
	v_add_f32_e32 v95, v95, v96
	s_waitcnt vmcnt(44)
	v_mul_f32_e32 v96, v44, v144
	v_fmac_f32_e32 v96, v45, v94
	v_add_f32_e32 v95, v95, v96
	s_waitcnt vmcnt(42) lgkmcnt(0)
	v_mul_f32_e32 v96, v46, v164
	v_fmac_f32_e32 v96, v47, v152
	v_add_f32_e32 v95, v95, v96
	buffer_load_dword v207, off, s[0:3], 0 offset:416
	buffer_load_dword v208, off, s[0:3], 0 offset:420
	ds_read_b128 v[96:99], v1 offset:768
	s_waitcnt vmcnt(42)
	v_mul_f32_e32 v100, v48, v166
	v_fmac_f32_e32 v100, v49, v165
	buffer_load_dword v209, off, s[0:3], 0 offset:424
	buffer_load_dword v238, off, s[0:3], 0 offset:428
	v_add_f32_e32 v95, v95, v100
	buffer_load_dword v239, off, s[0:3], 0 offset:432
	buffer_load_dword v240, off, s[0:3], 0 offset:436
	ds_read_b128 v[100:103], v1 offset:784
	buffer_load_dword v241, off, s[0:3], 0 offset:440
	buffer_load_dword v242, off, s[0:3], 0 offset:444
	v_mul_f32_e32 v27, v27, v57
	v_fma_f32 v26, v26, v75, -v27
	v_mul_f32_e32 v27, v29, v56
	v_add_f32_e32 v26, 0, v26
	v_fma_f32 v27, v28, v72, -v27
	v_mul_f32_e32 v23, v23, v58
	v_add_f32_e32 v26, v26, v27
	;; [unrolled: 3-line block ×4, first 2 shown]
	v_fma_f32 v18, v18, v71, -v19
	s_waitcnt vmcnt(46) lgkmcnt(1)
	v_mul_f32_e32 v104, v96, v168
	v_fmac_f32_e32 v104, v97, v167
	v_add_f32_e32 v95, v95, v104
	s_waitcnt vmcnt(44)
	v_mul_f32_e32 v104, v98, v170
	v_fmac_f32_e32 v104, v99, v169
	v_add_f32_e32 v95, v95, v104
	s_waitcnt vmcnt(42) lgkmcnt(0)
	v_mul_f32_e32 v104, v100, v172
	v_fmac_f32_e32 v104, v101, v171
	v_add_f32_e32 v95, v95, v104
	ds_read_b128 v[104:107], v1 offset:800
	v_mul_f32_e32 v19, v21, v52
	v_add_f32_e32 v18, v22, v18
	v_fma_f32 v19, v20, v68, -v19
	s_waitcnt vmcnt(40)
	v_mul_f32_e32 v108, v102, v174
	v_fmac_f32_e32 v108, v103, v173
	v_add_f32_e32 v95, v95, v108
	ds_read_b128 v[108:111], v1 offset:816
	v_mul_f32_e32 v15, v15, v53
	s_waitcnt vmcnt(38) lgkmcnt(1)
	v_mul_f32_e32 v112, v104, v176
	v_fmac_f32_e32 v112, v105, v175
	v_add_f32_e32 v95, v95, v112
	s_waitcnt vmcnt(36)
	v_mul_f32_e32 v112, v106, v178
	v_fmac_f32_e32 v112, v107, v177
	v_add_f32_e32 v95, v95, v112
	s_waitcnt vmcnt(34) lgkmcnt(0)
	v_mul_f32_e32 v112, v108, v180
	v_fmac_f32_e32 v112, v109, v179
	v_add_f32_e32 v95, v95, v112
	ds_read_b128 v[112:115], v1 offset:832
	s_waitcnt vmcnt(32)
	v_mul_f32_e32 v116, v110, v182
	v_fmac_f32_e32 v116, v111, v181
	v_add_f32_e32 v95, v95, v116
	ds_read_b128 v[116:119], v1 offset:848
	s_waitcnt vmcnt(30) lgkmcnt(1)
	v_mul_f32_e32 v120, v112, v184
	v_fmac_f32_e32 v120, v113, v183
	v_add_f32_e32 v95, v95, v120
	s_waitcnt vmcnt(28)
	v_mul_f32_e32 v120, v114, v186
	v_fmac_f32_e32 v120, v115, v185
	v_add_f32_e32 v95, v95, v120
	s_waitcnt vmcnt(26) lgkmcnt(0)
	v_mul_f32_e32 v120, v116, v188
	v_fmac_f32_e32 v120, v117, v187
	v_add_f32_e32 v95, v95, v120
	ds_read_b128 v[120:123], v1 offset:864
	s_waitcnt vmcnt(24)
	v_mul_f32_e32 v124, v118, v190
	v_fmac_f32_e32 v124, v119, v189
	v_add_f32_e32 v95, v95, v124
	ds_read_b128 v[124:127], v1 offset:880
	;; [unrolled: 18-line block ×3, first 2 shown]
	s_waitcnt vmcnt(14) lgkmcnt(1)
	v_mul_f32_e32 v136, v128, v200
	v_fmac_f32_e32 v136, v129, v199
	v_add_f32_e32 v95, v95, v136
	s_waitcnt vmcnt(12)
	v_mul_f32_e32 v136, v130, v202
	v_fmac_f32_e32 v136, v131, v201
	v_add_f32_e32 v95, v95, v136
	s_waitcnt vmcnt(10) lgkmcnt(0)
	v_mul_f32_e32 v136, v132, v204
	v_fmac_f32_e32 v136, v133, v203
	s_waitcnt vmcnt(8)
	v_mul_f32_e32 v140, v134, v206
	v_add_f32_e32 v95, v95, v136
	v_fmac_f32_e32 v140, v135, v205
	ds_read_b128 v[136:139], v1 offset:928
	v_add_f32_e32 v95, v95, v140
	ds_read_b128 v[140:143], v1 offset:944
	buffer_load_dword v147, off, s[0:3], 0 offset:468
	buffer_load_dword v146, off, s[0:3], 0 offset:464
	;; [unrolled: 1-line block ×6, first 2 shown]
	v_add_f32_e32 v18, v18, v19
	v_fma_f32 v14, v14, v66, -v15
	v_mul_f32_e32 v15, v17, v59
	v_add_f32_e32 v14, v18, v14
	v_fma_f32 v15, v16, v70, -v15
	v_mul_f32_e32 v11, v11, v60
	;; [unrolled: 3-line block ×7, first 2 shown]
	v_add_f32_e32 v2, v6, v2
	v_fma_f32 v3, v4, v76, -v3
	buffer_load_dword v155, off, s[0:3], 0 offset:500
	buffer_load_dword v154, off, s[0:3], 0 offset:496
	buffer_load_dword v157, off, s[0:3], 0 offset:492
	buffer_load_dword v156, off, s[0:3], 0 offset:488
	buffer_load_dword v159, off, s[0:3], 0 offset:484
	buffer_load_dword v158, off, s[0:3], 0 offset:480
	buffer_load_dword v161, off, s[0:3], 0 offset:476
	buffer_load_dword v160, off, s[0:3], 0 offset:472
	buffer_load_dword v163, off, s[0:3], 0 offset:508
	buffer_load_dword v162, off, s[0:3], 0 offset:504
	v_add_f32_e32 v2, v2, v3
	v_mul_f32_e32 v3, v31, v77
	v_fma_f32 v3, v30, v73, -v3
	v_add_f32_e32 v2, v2, v3
	v_mul_f32_e32 v3, v33, v89
	v_fma_f32 v3, v32, v88, -v3
	;; [unrolled: 3-line block ×30, first 2 shown]
	v_add_f32_e32 v2, v2, v3
	s_waitcnt vmcnt(22) lgkmcnt(1)
	v_mul_f32_e32 v3, v137, v208
	v_fma_f32 v3, v136, v207, -v3
	v_add_f32_e32 v2, v2, v3
	s_waitcnt vmcnt(20)
	v_mul_f32_e32 v3, v139, v238
	v_mul_f32_e32 v145, v136, v208
	v_fma_f32 v3, v138, v209, -v3
	v_fmac_f32_e32 v145, v137, v207
	v_add_f32_e32 v94, v2, v3
	s_waitcnt vmcnt(18) lgkmcnt(0)
	v_mul_f32_e32 v2, v141, v240
	v_add_f32_e32 v95, v95, v145
	v_mul_f32_e32 v145, v138, v238
	v_fma_f32 v144, v140, v239, -v2
	s_waitcnt vmcnt(16)
	v_mul_f32_e32 v2, v143, v242
	v_fmac_f32_e32 v145, v139, v209
	v_fma_f32 v152, v142, v241, -v2
	ds_read_b128 v[2:5], v1 offset:960
	ds_read_b128 v[6:9], v1 offset:976
	;; [unrolled: 1-line block ×4, first 2 shown]
	v_add_f32_e32 v95, v95, v145
	v_mul_f32_e32 v145, v140, v240
	s_waitcnt vmcnt(11)
	v_mov_b32_e32 v20, v151
	v_fmac_f32_e32 v145, v141, v239
	v_mul_f32_e32 v153, v142, v242
	s_waitcnt lgkmcnt(3)
	v_pk_mul_f32 v[20:21], v[2:3], v[20:21] op_sel_hi:[1,0]
	v_fmac_f32_e32 v153, v143, v241
	v_pk_add_f32 v[18:19], v[94:95], v[144:145]
	s_waitcnt vmcnt(10)
	v_pk_fma_f32 v[22:23], v[2:3], v[150:151], v[20:21] op_sel:[0,0,1] op_sel_hi:[1,1,0] neg_lo:[0,0,1] neg_hi:[0,0,1]
	v_pk_fma_f32 v[2:3], v[2:3], v[150:151], v[20:21] op_sel:[0,0,1] op_sel_hi:[1,0,0]
	v_pk_add_f32 v[18:19], v[18:19], v[152:153]
	v_mov_b32_e32 v23, v3
	v_pk_add_f32 v[2:3], v[18:19], v[22:23]
	v_mov_b32_e32 v18, v149
	v_pk_mul_f32 v[18:19], v[4:5], v[18:19] op_sel_hi:[1,0]
	v_pk_fma_f32 v[20:21], v[4:5], v[148:149], v[18:19] op_sel:[0,0,1] op_sel_hi:[1,1,0] neg_lo:[0,0,1] neg_hi:[0,0,1]
	v_pk_fma_f32 v[4:5], v[4:5], v[148:149], v[18:19] op_sel:[0,0,1] op_sel_hi:[1,0,0]
	v_mov_b32_e32 v4, v147
	v_mov_b32_e32 v21, v5
	s_waitcnt lgkmcnt(2)
	v_pk_mul_f32 v[4:5], v[6:7], v[4:5] op_sel_hi:[1,0]
	v_pk_fma_f32 v[18:19], v[6:7], v[146:147], v[4:5] op_sel:[0,0,1] op_sel_hi:[1,1,0] neg_lo:[0,0,1] neg_hi:[0,0,1]
	v_pk_fma_f32 v[4:5], v[6:7], v[146:147], v[4:5] op_sel:[0,0,1] op_sel_hi:[1,0,0]
	s_waitcnt vmcnt(3)
	v_mov_b32_e32 v4, v161
	v_mov_b32_e32 v19, v5
	v_pk_mul_f32 v[4:5], v[8:9], v[4:5] op_sel_hi:[1,0]
	s_waitcnt vmcnt(2)
	v_pk_fma_f32 v[6:7], v[8:9], v[160:161], v[4:5] op_sel:[0,0,1] op_sel_hi:[1,1,0] neg_lo:[0,0,1] neg_hi:[0,0,1]
	v_pk_fma_f32 v[4:5], v[8:9], v[160:161], v[4:5] op_sel:[0,0,1] op_sel_hi:[1,0,0]
	v_pk_add_f32 v[2:3], v[2:3], v[20:21]
	v_mov_b32_e32 v4, v159
	v_pk_add_f32 v[2:3], v[2:3], v[18:19]
	v_mov_b32_e32 v7, v5
	s_waitcnt lgkmcnt(1)
	v_pk_mul_f32 v[4:5], v[10:11], v[4:5] op_sel_hi:[1,0]
	v_pk_add_f32 v[2:3], v[2:3], v[6:7]
	v_pk_fma_f32 v[6:7], v[10:11], v[158:159], v[4:5] op_sel:[0,0,1] op_sel_hi:[1,1,0] neg_lo:[0,0,1] neg_hi:[0,0,1]
	v_pk_fma_f32 v[4:5], v[10:11], v[158:159], v[4:5] op_sel:[0,0,1] op_sel_hi:[1,0,0]
	v_mov_b32_e32 v4, v157
	v_mov_b32_e32 v7, v5
	v_pk_mul_f32 v[4:5], v[12:13], v[4:5] op_sel_hi:[1,0]
	v_pk_add_f32 v[2:3], v[2:3], v[6:7]
	v_pk_fma_f32 v[6:7], v[12:13], v[156:157], v[4:5] op_sel:[0,0,1] op_sel_hi:[1,1,0] neg_lo:[0,0,1] neg_hi:[0,0,1]
	v_pk_fma_f32 v[4:5], v[12:13], v[156:157], v[4:5] op_sel:[0,0,1] op_sel_hi:[1,0,0]
	v_mov_b32_e32 v4, v155
	v_mov_b32_e32 v7, v5
	s_waitcnt lgkmcnt(0)
	v_pk_mul_f32 v[4:5], v[14:15], v[4:5] op_sel_hi:[1,0]
	v_pk_add_f32 v[2:3], v[2:3], v[6:7]
	v_pk_fma_f32 v[6:7], v[14:15], v[154:155], v[4:5] op_sel:[0,0,1] op_sel_hi:[1,1,0] neg_lo:[0,0,1] neg_hi:[0,0,1]
	v_pk_fma_f32 v[4:5], v[14:15], v[154:155], v[4:5] op_sel:[0,0,1] op_sel_hi:[1,0,0]
	s_waitcnt vmcnt(1)
	v_mov_b32_e32 v4, v163
	v_mov_b32_e32 v7, v5
	v_pk_mul_f32 v[4:5], v[16:17], v[4:5] op_sel_hi:[1,0]
	v_pk_add_f32 v[2:3], v[2:3], v[6:7]
	s_waitcnt vmcnt(0)
	v_pk_fma_f32 v[6:7], v[16:17], v[162:163], v[4:5] op_sel:[0,0,1] op_sel_hi:[1,1,0] neg_lo:[0,0,1] neg_hi:[0,0,1]
	v_pk_fma_f32 v[4:5], v[16:17], v[162:163], v[4:5] op_sel:[0,0,1] op_sel_hi:[1,0,0]
	v_mov_b32_e32 v7, v5
	v_pk_add_f32 v[2:3], v[2:3], v[6:7]
	v_pk_add_f32 v[2:3], v[50:51], v[2:3] neg_lo:[0,1] neg_hi:[0,1]
	buffer_store_dword v3, off, s[0:3], 0 offset:60
	buffer_store_dword v2, off, s[0:3], 0 offset:56
	s_and_saveexec_b64 s[4:5], vcc
	s_cbranch_execz .LBB127_385
; %bb.384:
	buffer_load_dword v2, off, s[0:3], 0 offset:48
	buffer_load_dword v3, off, s[0:3], 0 offset:52
	v_mov_b32_e32 v1, 0
	buffer_store_dword v1, off, s[0:3], 0 offset:48
	buffer_store_dword v1, off, s[0:3], 0 offset:52
	s_waitcnt vmcnt(2)
	ds_write_b64 v223, v[2:3]
.LBB127_385:
	s_or_b64 exec, exec, s[4:5]
	v_mov_b32_e32 v1, 0
	s_waitcnt lgkmcnt(0)
	; wave barrier
	s_waitcnt lgkmcnt(0)
	ds_read2_b64 v[2:5], v1 offset0:71 offset1:72
	buffer_load_dword v102, off, s[0:3], 0 offset:48
	buffer_load_dword v103, off, s[0:3], 0 offset:52
	;; [unrolled: 1-line block ×16, first 2 shown]
	v_cmp_lt_u32_e32 vcc, 5, v0
	s_waitcnt vmcnt(12) lgkmcnt(0)
	v_mul_f32_e32 v6, v2, v117
	v_fmac_f32_e32 v6, v3, v104
	s_waitcnt vmcnt(10)
	v_mul_f32_e32 v7, v4, v119
	v_add_f32_e32 v6, 0, v6
	v_fmac_f32_e32 v7, v5, v106
	v_add_f32_e32 v10, v6, v7
	ds_read2_b64 v[6:9], v1 offset0:73 offset1:74
	v_mul_f32_e32 v3, v3, v117
	v_fma_f32 v2, v2, v104, -v3
	v_mul_f32_e32 v3, v5, v119
	v_add_f32_e32 v2, 0, v2
	s_waitcnt vmcnt(8) lgkmcnt(0)
	v_mul_f32_e32 v11, v6, v121
	v_fmac_f32_e32 v11, v7, v116
	v_add_f32_e32 v10, v10, v11
	s_waitcnt vmcnt(6)
	v_mul_f32_e32 v11, v8, v123
	v_fmac_f32_e32 v11, v9, v118
	v_add_f32_e32 v14, v10, v11
	ds_read2_b64 v[10:13], v1 offset0:75 offset1:76
	v_fma_f32 v3, v4, v106, -v3
	v_add_f32_e32 v2, v2, v3
	v_mul_f32_e32 v3, v7, v121
	v_fma_f32 v3, v6, v116, -v3
	s_waitcnt vmcnt(4) lgkmcnt(0)
	v_mul_f32_e32 v15, v10, v125
	v_fmac_f32_e32 v15, v11, v120
	v_add_f32_e32 v14, v14, v15
	s_waitcnt vmcnt(2)
	v_mul_f32_e32 v15, v12, v126
	v_fmac_f32_e32 v15, v13, v122
	v_add_f32_e32 v18, v14, v15
	ds_read2_b64 v[14:17], v1 offset0:77 offset1:78
	buffer_load_dword v128, off, s[0:3], 0 offset:112
	buffer_load_dword v129, off, s[0:3], 0 offset:116
	v_add_f32_e32 v2, v2, v3
	v_mul_f32_e32 v3, v9, v123
	v_fma_f32 v3, v8, v118, -v3
	s_waitcnt vmcnt(2) lgkmcnt(0)
	v_mul_f32_e32 v19, v14, v127
	v_fmac_f32_e32 v19, v15, v124
	v_add_f32_e32 v18, v18, v19
	v_add_f32_e32 v2, v2, v3
	v_mul_f32_e32 v3, v11, v125
	v_fma_f32 v3, v10, v120, -v3
	v_add_f32_e32 v2, v2, v3
	v_mul_f32_e32 v3, v13, v126
	v_fma_f32 v3, v12, v122, -v3
	;; [unrolled: 3-line block ×3, first 2 shown]
	v_add_f32_e32 v2, v2, v3
	s_waitcnt vmcnt(0)
	v_mul_f32_e32 v19, v16, v129
	v_fmac_f32_e32 v19, v17, v128
	v_add_f32_e32 v22, v18, v19
	ds_read2_b64 v[18:21], v1 offset0:79 offset1:80
	buffer_load_dword v130, off, s[0:3], 0 offset:120
	buffer_load_dword v131, off, s[0:3], 0 offset:124
	;; [unrolled: 1-line block ×4, first 2 shown]
	v_mul_f32_e32 v3, v17, v129
	v_fma_f32 v3, v16, v128, -v3
	v_add_f32_e32 v2, v2, v3
	s_waitcnt vmcnt(2) lgkmcnt(0)
	v_mul_f32_e32 v23, v18, v131
	v_fmac_f32_e32 v23, v19, v130
	v_add_f32_e32 v22, v22, v23
	s_waitcnt vmcnt(0)
	v_mul_f32_e32 v23, v20, v133
	v_fmac_f32_e32 v23, v21, v132
	v_add_f32_e32 v26, v22, v23
	ds_read2_b64 v[22:25], v1 offset0:81 offset1:82
	buffer_load_dword v134, off, s[0:3], 0 offset:136
	buffer_load_dword v135, off, s[0:3], 0 offset:140
	buffer_load_dword v136, off, s[0:3], 0 offset:144
	buffer_load_dword v137, off, s[0:3], 0 offset:148
	v_mul_f32_e32 v3, v19, v131
	v_fma_f32 v3, v18, v130, -v3
	v_add_f32_e32 v2, v2, v3
	v_mul_f32_e32 v3, v21, v133
	v_fma_f32 v3, v20, v132, -v3
	v_add_f32_e32 v2, v2, v3
	s_waitcnt vmcnt(2) lgkmcnt(0)
	v_mul_f32_e32 v27, v22, v135
	v_fmac_f32_e32 v27, v23, v134
	v_add_f32_e32 v26, v26, v27
	s_waitcnt vmcnt(0)
	v_mul_f32_e32 v27, v24, v137
	v_fmac_f32_e32 v27, v25, v136
	v_add_f32_e32 v30, v26, v27
	ds_read2_b64 v[26:29], v1 offset0:83 offset1:84
	buffer_load_dword v138, off, s[0:3], 0 offset:152
	buffer_load_dword v139, off, s[0:3], 0 offset:156
	buffer_load_dword v140, off, s[0:3], 0 offset:160
	buffer_load_dword v141, off, s[0:3], 0 offset:164
	v_mul_f32_e32 v3, v23, v135
	v_fma_f32 v3, v22, v134, -v3
	v_add_f32_e32 v2, v2, v3
	;; [unrolled: 19-line block ×6, first 2 shown]
	v_mul_f32_e32 v3, v41, v153
	v_fma_f32 v3, v40, v152, -v3
	v_add_f32_e32 v2, v2, v3
	s_waitcnt vmcnt(2) lgkmcnt(0)
	v_mul_f32_e32 v47, v42, v155
	v_fmac_f32_e32 v47, v43, v154
	v_add_f32_e32 v46, v46, v47
	s_waitcnt vmcnt(0)
	v_mul_f32_e32 v47, v44, v157
	v_fmac_f32_e32 v47, v45, v156
	v_add_f32_e32 v50, v46, v47
	ds_read2_b64 v[46:49], v1 offset0:93 offset1:94
	buffer_load_dword v158, off, s[0:3], 0 offset:232
	buffer_load_dword v159, off, s[0:3], 0 offset:236
	buffer_load_dword v160, off, s[0:3], 0 offset:240
	buffer_load_dword v161, off, s[0:3], 0 offset:244
	ds_read2_b64 v[54:57], v1 offset0:95 offset1:96
	buffer_load_dword v162, off, s[0:3], 0 offset:248
	buffer_load_dword v163, off, s[0:3], 0 offset:252
	buffer_load_dword v164, off, s[0:3], 0 offset:256
	buffer_load_dword v165, off, s[0:3], 0 offset:260
	;; [unrolled: 5-line block ×13, first 2 shown]
	v_mul_f32_e32 v3, v43, v155
	v_fma_f32 v3, v42, v154, -v3
	v_add_f32_e32 v2, v2, v3
	v_mul_f32_e32 v3, v45, v157
	v_fma_f32 v3, v44, v156, -v3
	v_add_f32_e32 v2, v2, v3
	s_waitcnt vmcnt(50) lgkmcnt(12)
	v_mul_f32_e32 v51, v46, v159
	v_fmac_f32_e32 v51, v47, v158
	v_add_f32_e32 v50, v50, v51
	s_waitcnt vmcnt(48)
	v_mul_f32_e32 v51, v48, v161
	v_fmac_f32_e32 v51, v49, v160
	v_add_f32_e32 v50, v50, v51
	s_waitcnt vmcnt(46) lgkmcnt(11)
	v_mul_f32_e32 v51, v54, v163
	v_fmac_f32_e32 v51, v55, v162
	v_add_f32_e32 v50, v50, v51
	s_waitcnt vmcnt(44)
	v_mul_f32_e32 v51, v56, v165
	v_fmac_f32_e32 v51, v57, v164
	;; [unrolled: 8-line block ×12, first 2 shown]
	v_add_f32_e32 v50, v50, v51
	s_waitcnt vmcnt(2) lgkmcnt(0)
	v_mul_f32_e32 v51, v98, v207
	v_fmac_f32_e32 v51, v99, v206
	v_add_f32_e32 v105, v50, v51
	ds_read2_b64 v[50:53], v1 offset0:119 offset1:120
	buffer_load_dword v238, off, s[0:3], 0 offset:440
	buffer_load_dword v248, off, s[0:3], 0 offset:444
	;; [unrolled: 1-line block ×18, first 2 shown]
	v_mul_f32_e32 v3, v47, v159
	v_fma_f32 v3, v46, v158, -v3
	v_add_f32_e32 v2, v2, v3
	v_mul_f32_e32 v3, v49, v161
	v_fma_f32 v3, v48, v160, -v3
	v_add_f32_e32 v2, v2, v3
	;; [unrolled: 3-line block ×25, first 2 shown]
	s_waitcnt vmcnt(18)
	v_mul_f32_e32 v2, v101, v209
	s_waitcnt vmcnt(15)
	v_mov_b32_e32 v18, v109
	v_mul_f32_e32 v107, v100, v209
	s_waitcnt lgkmcnt(0)
	v_mul_f32_e32 v239, v50, v248
	v_fma_f32 v106, v100, v208, -v2
	v_mul_f32_e32 v2, v51, v248
	v_pk_mul_f32 v[18:19], v[52:53], v[18:19] op_sel_hi:[1,0]
	v_fmac_f32_e32 v107, v101, v208
	v_fmac_f32_e32 v239, v51, v238
	v_fma_f32 v238, v50, v238, -v2
	ds_read2_b64 v[2:5], v1 offset0:121 offset1:122
	ds_read2_b64 v[6:9], v1 offset0:123 offset1:124
	;; [unrolled: 1-line block ×3, first 2 shown]
	ds_read_b64 v[14:15], v1 offset:1016
	s_waitcnt vmcnt(14)
	v_pk_fma_f32 v[20:21], v[52:53], v[108:109], v[18:19] op_sel:[0,0,1] op_sel_hi:[1,1,0] neg_lo:[0,0,1] neg_hi:[0,0,1]
	v_pk_fma_f32 v[18:19], v[52:53], v[108:109], v[18:19] op_sel:[0,0,1] op_sel_hi:[1,0,0]
	v_pk_add_f32 v[16:17], v[104:105], v[106:107]
	s_waitcnt vmcnt(13)
	v_mov_b32_e32 v18, v247
	v_pk_add_f32 v[16:17], v[16:17], v[238:239]
	v_mov_b32_e32 v21, v19
	s_waitcnt lgkmcnt(3)
	v_pk_mul_f32 v[18:19], v[2:3], v[18:19] op_sel_hi:[1,0]
	v_pk_add_f32 v[16:17], v[16:17], v[20:21]
	s_waitcnt vmcnt(12)
	v_pk_fma_f32 v[20:21], v[2:3], v[246:247], v[18:19] op_sel:[0,0,1] op_sel_hi:[1,1,0] neg_lo:[0,0,1] neg_hi:[0,0,1]
	v_pk_fma_f32 v[2:3], v[2:3], v[246:247], v[18:19] op_sel:[0,0,1] op_sel_hi:[1,0,0]
	v_mov_b32_e32 v21, v3
	v_pk_add_f32 v[2:3], v[16:17], v[20:21]
	s_waitcnt vmcnt(11)
	v_mov_b32_e32 v16, v245
	v_pk_mul_f32 v[16:17], v[4:5], v[16:17] op_sel_hi:[1,0]
	s_waitcnt vmcnt(10)
	v_pk_fma_f32 v[18:19], v[4:5], v[244:245], v[16:17] op_sel:[0,0,1] op_sel_hi:[1,1,0] neg_lo:[0,0,1] neg_hi:[0,0,1]
	v_pk_fma_f32 v[4:5], v[4:5], v[244:245], v[16:17] op_sel:[0,0,1] op_sel_hi:[1,0,0]
	s_waitcnt vmcnt(9)
	v_mov_b32_e32 v4, v243
	v_mov_b32_e32 v19, v5
	s_waitcnt lgkmcnt(2)
	v_pk_mul_f32 v[4:5], v[6:7], v[4:5] op_sel_hi:[1,0]
	s_waitcnt vmcnt(8)
	v_pk_fma_f32 v[16:17], v[6:7], v[242:243], v[4:5] op_sel:[0,0,1] op_sel_hi:[1,1,0] neg_lo:[0,0,1] neg_hi:[0,0,1]
	v_pk_fma_f32 v[4:5], v[6:7], v[242:243], v[4:5] op_sel:[0,0,1] op_sel_hi:[1,0,0]
	s_waitcnt vmcnt(7)
	v_mov_b32_e32 v4, v241
	v_mov_b32_e32 v17, v5
	v_pk_mul_f32 v[4:5], v[8:9], v[4:5] op_sel_hi:[1,0]
	s_waitcnt vmcnt(6)
	v_pk_fma_f32 v[6:7], v[8:9], v[240:241], v[4:5] op_sel:[0,0,1] op_sel_hi:[1,1,0] neg_lo:[0,0,1] neg_hi:[0,0,1]
	v_pk_fma_f32 v[4:5], v[8:9], v[240:241], v[4:5] op_sel:[0,0,1] op_sel_hi:[1,0,0]
	v_pk_add_f32 v[2:3], v[2:3], v[18:19]
	s_waitcnt vmcnt(5)
	v_mov_b32_e32 v4, v115
	v_pk_add_f32 v[2:3], v[2:3], v[16:17]
	v_mov_b32_e32 v7, v5
	s_waitcnt lgkmcnt(1)
	v_pk_mul_f32 v[4:5], v[10:11], v[4:5] op_sel_hi:[1,0]
	v_pk_add_f32 v[2:3], v[2:3], v[6:7]
	s_waitcnt vmcnt(4)
	v_pk_fma_f32 v[6:7], v[10:11], v[114:115], v[4:5] op_sel:[0,0,1] op_sel_hi:[1,1,0] neg_lo:[0,0,1] neg_hi:[0,0,1]
	v_pk_fma_f32 v[4:5], v[10:11], v[114:115], v[4:5] op_sel:[0,0,1] op_sel_hi:[1,0,0]
	s_waitcnt vmcnt(3)
	v_mov_b32_e32 v4, v113
	v_mov_b32_e32 v7, v5
	v_pk_mul_f32 v[4:5], v[12:13], v[4:5] op_sel_hi:[1,0]
	v_pk_add_f32 v[2:3], v[2:3], v[6:7]
	s_waitcnt vmcnt(2)
	v_pk_fma_f32 v[6:7], v[12:13], v[112:113], v[4:5] op_sel:[0,0,1] op_sel_hi:[1,1,0] neg_lo:[0,0,1] neg_hi:[0,0,1]
	v_pk_fma_f32 v[4:5], v[12:13], v[112:113], v[4:5] op_sel:[0,0,1] op_sel_hi:[1,0,0]
	s_waitcnt vmcnt(1)
	v_mov_b32_e32 v4, v111
	v_mov_b32_e32 v7, v5
	s_waitcnt lgkmcnt(0)
	v_pk_mul_f32 v[4:5], v[14:15], v[4:5] op_sel_hi:[1,0]
	v_pk_add_f32 v[2:3], v[2:3], v[6:7]
	s_waitcnt vmcnt(0)
	v_pk_fma_f32 v[6:7], v[14:15], v[110:111], v[4:5] op_sel:[0,0,1] op_sel_hi:[1,1,0] neg_lo:[0,0,1] neg_hi:[0,0,1]
	v_pk_fma_f32 v[4:5], v[14:15], v[110:111], v[4:5] op_sel:[0,0,1] op_sel_hi:[1,0,0]
	v_mov_b32_e32 v7, v5
	v_pk_add_f32 v[2:3], v[2:3], v[6:7]
	v_pk_add_f32 v[2:3], v[102:103], v[2:3] neg_lo:[0,1] neg_hi:[0,1]
	buffer_store_dword v3, off, s[0:3], 0 offset:52
	buffer_store_dword v2, off, s[0:3], 0 offset:48
	s_and_saveexec_b64 s[4:5], vcc
	s_cbranch_execz .LBB127_387
; %bb.386:
	buffer_load_dword v2, off, s[0:3], 0 offset:40
	buffer_load_dword v3, off, s[0:3], 0 offset:44
	s_waitcnt vmcnt(0)
	ds_write_b64 v223, v[2:3]
	buffer_store_dword v1, off, s[0:3], 0 offset:40
	buffer_store_dword v1, off, s[0:3], 0 offset:44
.LBB127_387:
	s_or_b64 exec, exec, s[4:5]
	s_waitcnt lgkmcnt(0)
	; wave barrier
	s_waitcnt lgkmcnt(0)
	buffer_load_dword v65, off, s[0:3], 0 offset:52
	buffer_load_dword v64, off, s[0:3], 0 offset:60
	;; [unrolled: 1-line block ×40, first 2 shown]
	ds_read_b128 v[22:25], v1 offset:560
	ds_read_b128 v[18:21], v1 offset:576
	;; [unrolled: 1-line block ×6, first 2 shown]
	buffer_load_dword v98, off, s[0:3], 0 offset:200
	buffer_load_dword v99, off, s[0:3], 0 offset:204
	;; [unrolled: 1-line block ×10, first 2 shown]
	v_cmp_lt_u32_e32 vcc, 4, v0
	s_waitcnt vmcnt(49) lgkmcnt(5)
	v_mul_f32_e32 v26, v22, v65
	s_waitcnt vmcnt(48)
	v_mul_f32_e32 v27, v24, v64
	s_waitcnt vmcnt(47) lgkmcnt(4)
	v_mul_f32_e32 v29, v20, v63
	s_waitcnt vmcnt(46) lgkmcnt(3)
	v_mul_f32_e32 v30, v14, v62
	s_waitcnt vmcnt(45)
	v_mul_f32_e32 v31, v16, v60
	s_waitcnt vmcnt(44)
	v_mul_f32_e32 v28, v18, v66
	s_waitcnt vmcnt(43) lgkmcnt(2)
	v_mul_f32_e32 v32, v10, v61
	s_waitcnt vmcnt(42)
	v_mul_f32_e32 v33, v12, v67
	s_waitcnt vmcnt(41) lgkmcnt(1)
	;; [unrolled: 4-line block ×3, first 2 shown]
	v_mul_f32_e32 v36, v2, v70
	s_waitcnt vmcnt(38)
	v_mul_f32_e32 v37, v4, v71
	s_waitcnt vmcnt(37)
	v_fmac_f32_e32 v28, v19, v77
	s_waitcnt vmcnt(36)
	v_fmac_f32_e32 v27, v25, v80
	;; [unrolled: 2-line block ×3, first 2 shown]
	v_add_f32_e32 v26, 0, v26
	v_add_f32_e32 v26, v26, v27
	;; [unrolled: 1-line block ×3, first 2 shown]
	s_waitcnt vmcnt(31)
	v_fmac_f32_e32 v29, v21, v82
	v_fmac_f32_e32 v30, v15, v79
	v_add_f32_e32 v26, v26, v29
	v_fmac_f32_e32 v31, v17, v76
	v_add_f32_e32 v26, v26, v30
	;; [unrolled: 2-line block ×3, first 2 shown]
	s_waitcnt vmcnt(27)
	v_fmac_f32_e32 v33, v13, v78
	v_add_f32_e32 v26, v26, v32
	v_fmac_f32_e32 v34, v7, v75
	v_add_f32_e32 v26, v26, v33
	;; [unrolled: 2-line block ×3, first 2 shown]
	v_add_f32_e32 v30, v26, v35
	ds_read_b128 v[26:29], v1 offset:656
	v_fmac_f32_e32 v36, v3, v72
	v_add_f32_e32 v30, v30, v36
	s_waitcnt vmcnt(23)
	v_fmac_f32_e32 v37, v5, v89
	v_add_f32_e32 v34, v30, v37
	ds_read_b128 v[30:33], v1 offset:672
	s_waitcnt vmcnt(22) lgkmcnt(1)
	v_mul_f32_e32 v35, v26, v88
	buffer_load_dword v158, off, s[0:3], 0 offset:240
	buffer_load_dword v160, off, s[0:3], 0 offset:244
	v_fmac_f32_e32 v35, v27, v86
	v_add_f32_e32 v34, v34, v35
	s_waitcnt vmcnt(23)
	v_mul_f32_e32 v35, v28, v87
	buffer_load_dword v162, off, s[0:3], 0 offset:248
	buffer_load_dword v178, off, s[0:3], 0 offset:252
	v_fmac_f32_e32 v35, v29, v84
	v_add_f32_e32 v34, v34, v35
	s_waitcnt vmcnt(24) lgkmcnt(0)
	v_mul_f32_e32 v35, v30, v85
	buffer_load_dword v179, off, s[0:3], 0 offset:256
	buffer_load_dword v180, off, s[0:3], 0 offset:260
	v_fmac_f32_e32 v35, v31, v81
	v_add_f32_e32 v34, v34, v35
	s_waitcnt vmcnt(20)
	v_mul_f32_e32 v35, v32, v97
	s_waitcnt vmcnt(19)
	v_fmac_f32_e32 v35, v33, v96
	ds_read_b128 v[38:41], v1 offset:688
	v_add_f32_e32 v42, v34, v35
	ds_read_b128 v[34:37], v1 offset:704
	buffer_load_dword v181, off, s[0:3], 0 offset:264
	buffer_load_dword v182, off, s[0:3], 0 offset:268
	;; [unrolled: 1-line block ×8, first 2 shown]
	s_waitcnt vmcnt(26) lgkmcnt(1)
	v_mul_f32_e32 v43, v38, v95
	v_fmac_f32_e32 v43, v39, v94
	buffer_load_dword v189, off, s[0:3], 0 offset:296
	buffer_load_dword v190, off, s[0:3], 0 offset:300
	v_add_f32_e32 v42, v42, v43
	v_mul_f32_e32 v43, v40, v91
	v_fmac_f32_e32 v43, v41, v90
	v_add_f32_e32 v42, v42, v43
	s_waitcnt lgkmcnt(0)
	v_mul_f32_e32 v43, v34, v93
	buffer_load_dword v191, off, s[0:3], 0 offset:304
	buffer_load_dword v192, off, s[0:3], 0 offset:308
	v_fmac_f32_e32 v43, v35, v92
	v_add_f32_e32 v46, v42, v43
	ds_read_b128 v[42:45], v1 offset:720
	buffer_load_dword v193, off, s[0:3], 0 offset:312
	buffer_load_dword v194, off, s[0:3], 0 offset:316
	;; [unrolled: 1-line block ×4, first 2 shown]
	s_waitcnt vmcnt(30)
	v_mul_f32_e32 v47, v36, v99
	v_fmac_f32_e32 v47, v37, v98
	v_add_f32_e32 v50, v46, v47
	ds_read_b128 v[46:49], v1 offset:736
	buffer_load_dword v197, off, s[0:3], 0 offset:328
	buffer_load_dword v198, off, s[0:3], 0 offset:332
	;; [unrolled: 1-line block ×12, first 2 shown]
	s_waitcnt vmcnt(40) lgkmcnt(1)
	v_mul_f32_e32 v51, v42, v101
	v_fmac_f32_e32 v51, v43, v100
	buffer_load_dword v209, off, s[0:3], 0 offset:376
	buffer_load_dword v238, off, s[0:3], 0 offset:380
	v_add_f32_e32 v50, v50, v51
	s_waitcnt vmcnt(40)
	v_mul_f32_e32 v51, v44, v103
	v_fmac_f32_e32 v51, v45, v102
	buffer_load_dword v239, off, s[0:3], 0 offset:384
	buffer_load_dword v240, off, s[0:3], 0 offset:388
	v_add_f32_e32 v50, v50, v51
	s_waitcnt vmcnt(40) lgkmcnt(0)
	v_mul_f32_e32 v51, v46, v105
	v_fmac_f32_e32 v51, v47, v104
	v_add_f32_e32 v54, v50, v51
	ds_read_b128 v[50:53], v1 offset:752
	buffer_load_dword v241, off, s[0:3], 0 offset:392
	buffer_load_dword v242, off, s[0:3], 0 offset:396
	s_waitcnt vmcnt(40)
	v_mul_f32_e32 v55, v48, v107
	v_fmac_f32_e32 v55, v49, v106
	v_add_f32_e32 v108, v54, v55
	ds_read_b128 v[54:57], v1 offset:768
	buffer_load_dword v243, off, s[0:3], 0 offset:400
	buffer_load_dword v244, off, s[0:3], 0 offset:404
	;; [unrolled: 1-line block ×12, first 2 shown]
	v_mul_f32_e32 v23, v23, v65
	v_fma_f32 v22, v22, v83, -v23
	v_mul_f32_e32 v23, v25, v64
	v_add_f32_e32 v22, 0, v22
	v_fma_f32 v23, v24, v80, -v23
	v_mul_f32_e32 v19, v19, v66
	v_add_f32_e32 v22, v22, v23
	;; [unrolled: 3-line block ×4, first 2 shown]
	v_fma_f32 v14, v14, v79, -v15
	s_waitcnt vmcnt(50) lgkmcnt(1)
	v_mul_f32_e32 v109, v50, v160
	v_fmac_f32_e32 v109, v51, v158
	v_add_f32_e32 v108, v108, v109
	v_mul_f32_e32 v15, v17, v60
	s_waitcnt vmcnt(48)
	v_mul_f32_e32 v109, v52, v178
	v_fmac_f32_e32 v109, v53, v162
	v_add_f32_e32 v108, v108, v109
	v_add_f32_e32 v14, v18, v14
	s_waitcnt vmcnt(46) lgkmcnt(0)
	v_mul_f32_e32 v109, v54, v180
	v_fmac_f32_e32 v109, v55, v179
	v_add_f32_e32 v112, v108, v109
	ds_read_b128 v[108:111], v1 offset:784
	v_fma_f32 v15, v16, v76, -v15
	v_mul_f32_e32 v11, v11, v61
	v_add_f32_e32 v14, v14, v15
	v_fma_f32 v10, v10, v74, -v11
	s_waitcnt vmcnt(44)
	v_mul_f32_e32 v113, v56, v182
	v_fmac_f32_e32 v113, v57, v181
	v_add_f32_e32 v116, v112, v113
	ds_read_b128 v[112:115], v1 offset:800
	s_waitcnt vmcnt(42) lgkmcnt(1)
	v_mul_f32_e32 v117, v108, v184
	v_fmac_f32_e32 v117, v109, v183
	v_add_f32_e32 v116, v116, v117
	s_waitcnt vmcnt(40)
	v_mul_f32_e32 v117, v110, v186
	v_fmac_f32_e32 v117, v111, v185
	v_add_f32_e32 v116, v116, v117
	s_waitcnt vmcnt(38) lgkmcnt(0)
	v_mul_f32_e32 v117, v112, v188
	v_fmac_f32_e32 v117, v113, v187
	v_add_f32_e32 v120, v116, v117
	ds_read_b128 v[116:119], v1 offset:816
	s_waitcnt vmcnt(36)
	v_mul_f32_e32 v121, v114, v190
	v_fmac_f32_e32 v121, v115, v189
	v_add_f32_e32 v124, v120, v121
	ds_read_b128 v[120:123], v1 offset:832
	s_waitcnt vmcnt(34) lgkmcnt(1)
	v_mul_f32_e32 v125, v116, v192
	v_fmac_f32_e32 v125, v117, v191
	v_add_f32_e32 v124, v124, v125
	s_waitcnt vmcnt(32)
	v_mul_f32_e32 v125, v118, v194
	v_fmac_f32_e32 v125, v119, v193
	v_add_f32_e32 v124, v124, v125
	s_waitcnt vmcnt(30) lgkmcnt(0)
	v_mul_f32_e32 v125, v120, v196
	v_fmac_f32_e32 v125, v121, v195
	v_add_f32_e32 v128, v124, v125
	ds_read_b128 v[124:127], v1 offset:848
	;; [unrolled: 18-line block ×4, first 2 shown]
	s_waitcnt vmcnt(12)
	v_mul_f32_e32 v145, v138, v242
	v_fmac_f32_e32 v145, v139, v241
	v_add_f32_e32 v148, v144, v145
	ds_read_b128 v[144:147], v1 offset:928
	buffer_load_dword v157, off, s[0:3], 0 offset:452
	buffer_load_dword v156, off, s[0:3], 0 offset:448
	s_waitcnt vmcnt(12) lgkmcnt(1)
	v_mul_f32_e32 v149, v140, v244
	v_mul_f32_e32 v11, v13, v67
	v_fmac_f32_e32 v149, v141, v243
	v_add_f32_e32 v10, v14, v10
	v_fma_f32 v11, v12, v78, -v11
	v_mul_f32_e32 v7, v7, v68
	v_add_f32_e32 v148, v148, v149
	s_waitcnt vmcnt(10)
	v_mul_f32_e32 v149, v142, v246
	v_add_f32_e32 v10, v10, v11
	v_fma_f32 v6, v6, v75, -v7
	v_mul_f32_e32 v7, v9, v69
	v_fmac_f32_e32 v149, v143, v245
	v_add_f32_e32 v6, v10, v6
	v_fma_f32 v7, v8, v73, -v7
	v_mul_f32_e32 v3, v3, v70
	v_add_f32_e32 v148, v148, v149
	s_waitcnt vmcnt(8) lgkmcnt(0)
	v_mul_f32_e32 v149, v144, v248
	v_add_f32_e32 v6, v6, v7
	v_fma_f32 v2, v2, v72, -v3
	v_mul_f32_e32 v3, v5, v71
	v_fmac_f32_e32 v149, v145, v247
	s_waitcnt vmcnt(6)
	v_mul_f32_e32 v153, v146, v250
	v_add_f32_e32 v2, v6, v2
	v_fma_f32 v3, v4, v89, -v3
	v_add_f32_e32 v152, v148, v149
	v_fmac_f32_e32 v153, v147, v249
	v_add_f32_e32 v2, v2, v3
	v_mul_f32_e32 v3, v27, v88
	ds_read_b128 v[148:151], v1 offset:944
	v_add_f32_e32 v159, v152, v153
	ds_read_b128 v[152:155], v1 offset:960
	buffer_load_dword v165, off, s[0:3], 0 offset:484
	buffer_load_dword v164, off, s[0:3], 0 offset:480
	;; [unrolled: 1-line block ×14, first 2 shown]
	v_fma_f32 v3, v26, v86, -v3
	v_add_f32_e32 v2, v2, v3
	v_mul_f32_e32 v3, v29, v87
	v_fma_f32 v3, v28, v84, -v3
	v_add_f32_e32 v2, v2, v3
	v_mul_f32_e32 v3, v31, v85
	;; [unrolled: 3-line block ×35, first 2 shown]
	v_fma_f32 v3, v146, v249, -v3
	s_waitcnt vmcnt(15)
	v_mov_b32_e32 v16, v157
	s_waitcnt lgkmcnt(1)
	v_mul_f32_e32 v161, v148, v252
	v_add_f32_e32 v158, v2, v3
	v_mul_f32_e32 v2, v149, v252
	s_waitcnt lgkmcnt(0)
	v_pk_mul_f32 v[16:17], v[152:153], v[16:17] op_sel_hi:[1,0]
	v_fmac_f32_e32 v161, v149, v251
	v_mul_f32_e32 v163, v150, v254
	v_fma_f32 v160, v148, v251, -v2
	v_mul_f32_e32 v2, v151, v254
	s_waitcnt vmcnt(14)
	v_pk_fma_f32 v[18:19], v[152:153], v[156:157], v[16:17] op_sel:[0,0,1] op_sel_hi:[1,1,0] neg_lo:[0,0,1] neg_hi:[0,0,1]
	v_pk_fma_f32 v[16:17], v[152:153], v[156:157], v[16:17] op_sel:[0,0,1] op_sel_hi:[1,0,0]
	v_fmac_f32_e32 v163, v151, v253
	v_fma_f32 v162, v150, v253, -v2
	v_pk_add_f32 v[14:15], v[158:159], v[160:161]
	s_waitcnt vmcnt(7)
	v_mov_b32_e32 v16, v171
	ds_read_b128 v[2:5], v1 offset:976
	ds_read_b128 v[6:9], v1 offset:992
	;; [unrolled: 1-line block ×3, first 2 shown]
	v_pk_add_f32 v[14:15], v[14:15], v[162:163]
	v_mov_b32_e32 v19, v17
	v_pk_mul_f32 v[16:17], v[154:155], v[16:17] op_sel_hi:[1,0]
	v_pk_add_f32 v[14:15], v[14:15], v[18:19]
	s_waitcnt vmcnt(6)
	v_pk_fma_f32 v[18:19], v[154:155], v[170:171], v[16:17] op_sel:[0,0,1] op_sel_hi:[1,1,0] neg_lo:[0,0,1] neg_hi:[0,0,1]
	v_pk_fma_f32 v[16:17], v[154:155], v[170:171], v[16:17] op_sel:[0,0,1] op_sel_hi:[1,0,0]
	v_mov_b32_e32 v16, v169
	v_mov_b32_e32 v19, v17
	s_waitcnt lgkmcnt(2)
	v_pk_mul_f32 v[16:17], v[2:3], v[16:17] op_sel_hi:[1,0]
	v_pk_add_f32 v[14:15], v[14:15], v[18:19]
	v_pk_fma_f32 v[18:19], v[2:3], v[168:169], v[16:17] op_sel:[0,0,1] op_sel_hi:[1,1,0] neg_lo:[0,0,1] neg_hi:[0,0,1]
	v_pk_fma_f32 v[2:3], v[2:3], v[168:169], v[16:17] op_sel:[0,0,1] op_sel_hi:[1,0,0]
	v_mov_b32_e32 v19, v3
	v_pk_add_f32 v[2:3], v[14:15], v[18:19]
	v_mov_b32_e32 v14, v167
	v_pk_mul_f32 v[14:15], v[4:5], v[14:15] op_sel_hi:[1,0]
	v_pk_fma_f32 v[16:17], v[4:5], v[166:167], v[14:15] op_sel:[0,0,1] op_sel_hi:[1,1,0] neg_lo:[0,0,1] neg_hi:[0,0,1]
	v_pk_fma_f32 v[4:5], v[4:5], v[166:167], v[14:15] op_sel:[0,0,1] op_sel_hi:[1,0,0]
	v_mov_b32_e32 v4, v165
	v_mov_b32_e32 v17, v5
	s_waitcnt lgkmcnt(1)
	v_pk_mul_f32 v[4:5], v[6:7], v[4:5] op_sel_hi:[1,0]
	v_pk_fma_f32 v[14:15], v[6:7], v[164:165], v[4:5] op_sel:[0,0,1] op_sel_hi:[1,1,0] neg_lo:[0,0,1] neg_hi:[0,0,1]
	v_pk_fma_f32 v[4:5], v[6:7], v[164:165], v[4:5] op_sel:[0,0,1] op_sel_hi:[1,0,0]
	s_waitcnt vmcnt(1)
	v_mov_b32_e32 v4, v177
	v_mov_b32_e32 v15, v5
	v_pk_mul_f32 v[4:5], v[8:9], v[4:5] op_sel_hi:[1,0]
	s_waitcnt vmcnt(0)
	v_pk_fma_f32 v[6:7], v[8:9], v[176:177], v[4:5] op_sel:[0,0,1] op_sel_hi:[1,1,0] neg_lo:[0,0,1] neg_hi:[0,0,1]
	v_pk_fma_f32 v[4:5], v[8:9], v[176:177], v[4:5] op_sel:[0,0,1] op_sel_hi:[1,0,0]
	v_pk_add_f32 v[2:3], v[2:3], v[16:17]
	v_mov_b32_e32 v4, v175
	v_pk_add_f32 v[2:3], v[2:3], v[14:15]
	v_mov_b32_e32 v7, v5
	s_waitcnt lgkmcnt(0)
	v_pk_mul_f32 v[4:5], v[10:11], v[4:5] op_sel_hi:[1,0]
	v_pk_add_f32 v[2:3], v[2:3], v[6:7]
	v_pk_fma_f32 v[6:7], v[10:11], v[174:175], v[4:5] op_sel:[0,0,1] op_sel_hi:[1,1,0] neg_lo:[0,0,1] neg_hi:[0,0,1]
	v_pk_fma_f32 v[4:5], v[10:11], v[174:175], v[4:5] op_sel:[0,0,1] op_sel_hi:[1,0,0]
	v_mov_b32_e32 v4, v173
	v_mov_b32_e32 v7, v5
	v_pk_mul_f32 v[4:5], v[12:13], v[4:5] op_sel_hi:[1,0]
	v_pk_add_f32 v[2:3], v[2:3], v[6:7]
	v_pk_fma_f32 v[6:7], v[12:13], v[172:173], v[4:5] op_sel:[0,0,1] op_sel_hi:[1,1,0] neg_lo:[0,0,1] neg_hi:[0,0,1]
	v_pk_fma_f32 v[4:5], v[12:13], v[172:173], v[4:5] op_sel:[0,0,1] op_sel_hi:[1,0,0]
	v_mov_b32_e32 v7, v5
	v_pk_add_f32 v[2:3], v[2:3], v[6:7]
	v_pk_add_f32 v[2:3], v[58:59], v[2:3] neg_lo:[0,1] neg_hi:[0,1]
	buffer_store_dword v3, off, s[0:3], 0 offset:44
	buffer_store_dword v2, off, s[0:3], 0 offset:40
	s_and_saveexec_b64 s[4:5], vcc
	s_cbranch_execz .LBB127_389
; %bb.388:
	buffer_load_dword v2, off, s[0:3], 0 offset:32
	buffer_load_dword v3, off, s[0:3], 0 offset:36
	v_mov_b32_e32 v1, 0
	buffer_store_dword v1, off, s[0:3], 0 offset:32
	buffer_store_dword v1, off, s[0:3], 0 offset:36
	s_waitcnt vmcnt(2)
	ds_write_b64 v223, v[2:3]
.LBB127_389:
	s_or_b64 exec, exec, s[4:5]
	s_waitcnt lgkmcnt(0)
	; wave barrier
	s_waitcnt lgkmcnt(0)
	buffer_load_dword v65, off, s[0:3], 0 offset:44
	buffer_load_dword v64, off, s[0:3], 0 offset:52
	;; [unrolled: 1-line block ×48, first 2 shown]
	v_mov_b32_e32 v1, 0
	ds_read2_b64 v[22:25], v1 offset0:69 offset1:70
	ds_read2_b64 v[18:21], v1 offset0:71 offset1:72
	;; [unrolled: 1-line block ×6, first 2 shown]
	buffer_load_dword v154, off, s[0:3], 0 offset:224
	buffer_load_dword v156, off, s[0:3], 0 offset:228
	v_cmp_lt_u32_e32 vcc, 3, v0
	s_waitcnt vmcnt(49) lgkmcnt(5)
	v_mul_f32_e32 v26, v22, v65
	s_waitcnt vmcnt(48)
	v_mul_f32_e32 v27, v24, v64
	s_waitcnt vmcnt(47) lgkmcnt(4)
	v_mul_f32_e32 v29, v20, v63
	s_waitcnt vmcnt(46) lgkmcnt(3)
	v_mul_f32_e32 v30, v14, v62
	s_waitcnt vmcnt(45)
	v_mul_f32_e32 v31, v16, v60
	s_waitcnt vmcnt(44)
	v_mul_f32_e32 v28, v18, v66
	s_waitcnt vmcnt(43) lgkmcnt(2)
	v_mul_f32_e32 v32, v10, v61
	s_waitcnt vmcnt(42)
	v_mul_f32_e32 v33, v12, v67
	s_waitcnt vmcnt(41) lgkmcnt(1)
	;; [unrolled: 4-line block ×3, first 2 shown]
	v_mul_f32_e32 v36, v2, v70
	s_waitcnt vmcnt(38)
	v_mul_f32_e32 v37, v4, v71
	s_waitcnt vmcnt(37)
	v_fmac_f32_e32 v28, v19, v77
	s_waitcnt vmcnt(36)
	v_fmac_f32_e32 v27, v25, v80
	;; [unrolled: 2-line block ×3, first 2 shown]
	v_add_f32_e32 v26, 0, v26
	v_add_f32_e32 v26, v26, v27
	;; [unrolled: 1-line block ×3, first 2 shown]
	s_waitcnt vmcnt(31)
	v_fmac_f32_e32 v29, v21, v82
	v_fmac_f32_e32 v30, v15, v79
	v_add_f32_e32 v26, v26, v29
	v_fmac_f32_e32 v31, v17, v76
	v_add_f32_e32 v26, v26, v30
	;; [unrolled: 2-line block ×3, first 2 shown]
	s_waitcnt vmcnt(27)
	v_fmac_f32_e32 v33, v13, v78
	v_add_f32_e32 v26, v26, v32
	v_fmac_f32_e32 v34, v7, v75
	v_add_f32_e32 v26, v26, v33
	v_fmac_f32_e32 v35, v9, v73
	v_add_f32_e32 v26, v26, v34
	v_fmac_f32_e32 v36, v3, v72
	v_add_f32_e32 v26, v26, v35
	v_add_f32_e32 v30, v26, v36
	ds_read2_b64 v[26:29], v1 offset0:81 offset1:82
	s_waitcnt vmcnt(23)
	v_fmac_f32_e32 v37, v5, v91
	v_add_f32_e32 v34, v30, v37
	buffer_load_dword v158, off, s[0:3], 0 offset:232
	buffer_load_dword v176, off, s[0:3], 0 offset:236
	ds_read2_b64 v[30:33], v1 offset0:83 offset1:84
	s_waitcnt vmcnt(24) lgkmcnt(1)
	v_mul_f32_e32 v35, v26, v90
	v_fmac_f32_e32 v35, v27, v86
	v_add_f32_e32 v34, v34, v35
	s_waitcnt vmcnt(23)
	v_mul_f32_e32 v35, v28, v88
	buffer_load_dword v177, off, s[0:3], 0 offset:240
	buffer_load_dword v178, off, s[0:3], 0 offset:244
	v_fmac_f32_e32 v35, v29, v84
	v_add_f32_e32 v34, v34, v35
	s_waitcnt vmcnt(24) lgkmcnt(0)
	v_mul_f32_e32 v35, v30, v85
	buffer_load_dword v179, off, s[0:3], 0 offset:248
	buffer_load_dword v180, off, s[0:3], 0 offset:252
	v_fmac_f32_e32 v35, v31, v81
	v_add_f32_e32 v34, v34, v35
	s_waitcnt vmcnt(24)
	v_mul_f32_e32 v35, v32, v89
	v_fmac_f32_e32 v35, v33, v87
	ds_read2_b64 v[38:41], v1 offset0:85 offset1:86
	v_add_f32_e32 v42, v34, v35
	ds_read2_b64 v[34:37], v1 offset0:87 offset1:88
	buffer_load_dword v181, off, s[0:3], 0 offset:256
	buffer_load_dword v182, off, s[0:3], 0 offset:260
	;; [unrolled: 1-line block ×6, first 2 shown]
	s_waitcnt vmcnt(26) lgkmcnt(1)
	v_mul_f32_e32 v43, v38, v93
	v_fmac_f32_e32 v43, v39, v92
	buffer_load_dword v187, off, s[0:3], 0 offset:280
	buffer_load_dword v188, off, s[0:3], 0 offset:284
	v_add_f32_e32 v42, v42, v43
	s_waitcnt vmcnt(26)
	v_mul_f32_e32 v43, v40, v95
	v_fmac_f32_e32 v43, v41, v94
	v_add_f32_e32 v42, v42, v43
	s_waitcnt vmcnt(24) lgkmcnt(0)
	v_mul_f32_e32 v43, v34, v97
	v_fmac_f32_e32 v43, v35, v96
	buffer_load_dword v189, off, s[0:3], 0 offset:288
	buffer_load_dword v190, off, s[0:3], 0 offset:292
	v_add_f32_e32 v42, v42, v43
	s_waitcnt vmcnt(24)
	v_mul_f32_e32 v43, v36, v99
	v_fmac_f32_e32 v43, v37, v98
	v_add_f32_e32 v50, v42, v43
	ds_read2_b64 v[42:45], v1 offset0:89 offset1:90
	buffer_load_dword v191, off, s[0:3], 0 offset:296
	buffer_load_dword v192, off, s[0:3], 0 offset:300
	ds_read2_b64 v[46:49], v1 offset0:91 offset1:92
	buffer_load_dword v193, off, s[0:3], 0 offset:304
	buffer_load_dword v194, off, s[0:3], 0 offset:308
	;; [unrolled: 1-line block ×12, first 2 shown]
	s_waitcnt vmcnt(36) lgkmcnt(1)
	v_mul_f32_e32 v51, v42, v101
	v_fmac_f32_e32 v51, v43, v100
	buffer_load_dword v205, off, s[0:3], 0 offset:352
	buffer_load_dword v206, off, s[0:3], 0 offset:356
	v_add_f32_e32 v50, v50, v51
	s_waitcnt vmcnt(36)
	v_mul_f32_e32 v51, v44, v103
	v_fmac_f32_e32 v51, v45, v102
	v_add_f32_e32 v50, v50, v51
	s_waitcnt vmcnt(34) lgkmcnt(0)
	v_mul_f32_e32 v51, v46, v105
	buffer_load_dword v207, off, s[0:3], 0 offset:360
	buffer_load_dword v208, off, s[0:3], 0 offset:364
	v_fmac_f32_e32 v51, v47, v104
	v_add_f32_e32 v54, v50, v51
	ds_read2_b64 v[50:53], v1 offset0:93 offset1:94
	buffer_load_dword v209, off, s[0:3], 0 offset:368
	buffer_load_dword v238, off, s[0:3], 0 offset:372
	;; [unrolled: 1-line block ×4, first 2 shown]
	s_waitcnt vmcnt(38)
	v_mul_f32_e32 v55, v48, v156
	v_fmac_f32_e32 v55, v49, v154
	v_add_f32_e32 v106, v54, v55
	ds_read2_b64 v[54:57], v1 offset0:95 offset1:96
	buffer_load_dword v241, off, s[0:3], 0 offset:384
	buffer_load_dword v242, off, s[0:3], 0 offset:388
	;; [unrolled: 1-line block ×16, first 2 shown]
	v_mul_f32_e32 v23, v23, v65
	v_fma_f32 v22, v22, v83, -v23
	v_mul_f32_e32 v23, v25, v64
	v_add_f32_e32 v22, 0, v22
	v_fma_f32 v23, v24, v80, -v23
	v_mul_f32_e32 v19, v19, v66
	v_add_f32_e32 v22, v22, v23
	;; [unrolled: 3-line block ×3, first 2 shown]
	v_fma_f32 v19, v20, v82, -v19
	v_mul_f32_e32 v15, v15, v62
	s_waitcnt vmcnt(52) lgkmcnt(1)
	v_mul_f32_e32 v107, v50, v176
	v_fmac_f32_e32 v107, v51, v158
	v_add_f32_e32 v106, v106, v107
	v_add_f32_e32 v18, v18, v19
	v_fma_f32 v14, v14, v79, -v15
	v_mul_f32_e32 v15, v17, v60
	s_waitcnt vmcnt(50)
	v_mul_f32_e32 v107, v52, v178
	v_fmac_f32_e32 v107, v53, v177
	v_add_f32_e32 v106, v106, v107
	v_add_f32_e32 v14, v18, v14
	s_waitcnt vmcnt(48) lgkmcnt(0)
	v_mul_f32_e32 v107, v54, v180
	v_fmac_f32_e32 v107, v55, v179
	v_add_f32_e32 v110, v106, v107
	ds_read2_b64 v[106:109], v1 offset0:97 offset1:98
	v_fma_f32 v15, v16, v76, -v15
	v_mul_f32_e32 v11, v11, v61
	v_add_f32_e32 v14, v14, v15
	v_fma_f32 v10, v10, v74, -v11
	s_waitcnt vmcnt(46)
	v_mul_f32_e32 v111, v56, v182
	v_fmac_f32_e32 v111, v57, v181
	v_add_f32_e32 v114, v110, v111
	ds_read2_b64 v[110:113], v1 offset0:99 offset1:100
	s_waitcnt vmcnt(44) lgkmcnt(1)
	v_mul_f32_e32 v115, v106, v184
	v_fmac_f32_e32 v115, v107, v183
	v_add_f32_e32 v114, v114, v115
	s_waitcnt vmcnt(42)
	v_mul_f32_e32 v115, v108, v186
	v_fmac_f32_e32 v115, v109, v185
	v_add_f32_e32 v114, v114, v115
	s_waitcnt vmcnt(40) lgkmcnt(0)
	v_mul_f32_e32 v115, v110, v188
	v_fmac_f32_e32 v115, v111, v187
	v_add_f32_e32 v118, v114, v115
	ds_read2_b64 v[114:117], v1 offset0:101 offset1:102
	s_waitcnt vmcnt(38)
	v_mul_f32_e32 v119, v112, v190
	v_fmac_f32_e32 v119, v113, v189
	v_add_f32_e32 v122, v118, v119
	ds_read2_b64 v[118:121], v1 offset0:103 offset1:104
	s_waitcnt vmcnt(36) lgkmcnt(1)
	v_mul_f32_e32 v123, v114, v192
	v_fmac_f32_e32 v123, v115, v191
	v_add_f32_e32 v122, v122, v123
	s_waitcnt vmcnt(34)
	v_mul_f32_e32 v123, v116, v194
	v_fmac_f32_e32 v123, v117, v193
	v_add_f32_e32 v122, v122, v123
	s_waitcnt vmcnt(32) lgkmcnt(0)
	v_mul_f32_e32 v123, v118, v196
	v_fmac_f32_e32 v123, v119, v195
	v_add_f32_e32 v126, v122, v123
	ds_read2_b64 v[122:125], v1 offset0:105 offset1:106
	;; [unrolled: 18-line block ×4, first 2 shown]
	s_waitcnt vmcnt(14)
	v_mul_f32_e32 v143, v136, v242
	v_fmac_f32_e32 v143, v137, v241
	v_mul_f32_e32 v11, v13, v67
	v_add_f32_e32 v146, v142, v143
	ds_read2_b64 v[142:145], v1 offset0:115 offset1:116
	v_add_f32_e32 v10, v14, v10
	v_fma_f32 v11, v12, v78, -v11
	v_mul_f32_e32 v7, v7, v68
	s_waitcnt vmcnt(12) lgkmcnt(1)
	v_mul_f32_e32 v147, v138, v244
	v_add_f32_e32 v10, v10, v11
	v_fma_f32 v6, v6, v75, -v7
	v_mul_f32_e32 v7, v9, v69
	v_fmac_f32_e32 v147, v139, v243
	v_add_f32_e32 v6, v10, v6
	v_fma_f32 v7, v8, v73, -v7
	v_mul_f32_e32 v3, v3, v70
	v_add_f32_e32 v146, v146, v147
	s_waitcnt vmcnt(10)
	v_mul_f32_e32 v147, v140, v246
	v_add_f32_e32 v6, v6, v7
	v_fma_f32 v2, v2, v72, -v3
	v_mul_f32_e32 v3, v5, v71
	v_fmac_f32_e32 v147, v141, v245
	v_add_f32_e32 v2, v6, v2
	v_fma_f32 v3, v4, v91, -v3
	v_add_f32_e32 v146, v146, v147
	s_waitcnt vmcnt(8) lgkmcnt(0)
	v_mul_f32_e32 v147, v142, v248
	v_add_f32_e32 v2, v2, v3
	v_mul_f32_e32 v3, v27, v90
	v_fmac_f32_e32 v147, v143, v247
	s_waitcnt vmcnt(6)
	v_mul_f32_e32 v151, v144, v250
	v_fma_f32 v3, v26, v86, -v3
	v_add_f32_e32 v150, v146, v147
	v_fmac_f32_e32 v151, v145, v249
	v_add_f32_e32 v2, v2, v3
	v_mul_f32_e32 v3, v29, v88
	ds_read2_b64 v[146:149], v1 offset0:117 offset1:118
	v_add_f32_e32 v155, v150, v151
	ds_read2_b64 v[150:153], v1 offset0:119 offset1:120
	buffer_load_dword v161, off, s[0:3], 0 offset:476
	buffer_load_dword v160, off, s[0:3], 0 offset:472
	;; [unrolled: 1-line block ×16, first 2 shown]
	v_fma_f32 v3, v28, v84, -v3
	v_add_f32_e32 v2, v2, v3
	v_mul_f32_e32 v3, v31, v85
	v_fma_f32 v3, v30, v81, -v3
	v_add_f32_e32 v2, v2, v3
	v_mul_f32_e32 v3, v33, v89
	;; [unrolled: 3-line block ×34, first 2 shown]
	v_fma_f32 v3, v144, v249, -v3
	v_add_f32_e32 v2, v2, v3
	s_waitcnt vmcnt(20) lgkmcnt(1)
	v_mul_f32_e32 v3, v147, v252
	v_mul_f32_e32 v157, v146, v252
	v_fma_f32 v3, v146, v251, -v3
	v_fmac_f32_e32 v157, v147, v251
	v_add_f32_e32 v154, v2, v3
	s_waitcnt vmcnt(18)
	v_mul_f32_e32 v2, v149, v254
	s_waitcnt vmcnt(9)
	v_mov_b32_e32 v18, v167
	v_add_f32_e32 v155, v155, v157
	v_mul_f32_e32 v157, v148, v254
	v_fma_f32 v156, v148, v253, -v2
	s_waitcnt lgkmcnt(0)
	v_mul_f32_e32 v2, v151, v210
	v_pk_mul_f32 v[18:19], v[152:153], v[18:19] op_sel_hi:[1,0]
	v_fmac_f32_e32 v157, v149, v253
	v_mul_f32_e32 v159, v150, v210
	v_fma_f32 v158, v150, v255, -v2
	ds_read2_b64 v[2:5], v1 offset0:121 offset1:122
	ds_read2_b64 v[6:9], v1 offset0:123 offset1:124
	;; [unrolled: 1-line block ×3, first 2 shown]
	ds_read_b64 v[14:15], v1 offset:1016
	s_waitcnt vmcnt(8)
	v_pk_fma_f32 v[20:21], v[152:153], v[166:167], v[18:19] op_sel:[0,0,1] op_sel_hi:[1,1,0] neg_lo:[0,0,1] neg_hi:[0,0,1]
	v_pk_fma_f32 v[18:19], v[152:153], v[166:167], v[18:19] op_sel:[0,0,1] op_sel_hi:[1,0,0]
	v_fmac_f32_e32 v159, v151, v255
	v_pk_add_f32 v[16:17], v[154:155], v[156:157]
	v_mov_b32_e32 v18, v165
	v_pk_add_f32 v[16:17], v[16:17], v[158:159]
	v_mov_b32_e32 v21, v19
	s_waitcnt lgkmcnt(3)
	v_pk_mul_f32 v[18:19], v[2:3], v[18:19] op_sel_hi:[1,0]
	v_pk_add_f32 v[16:17], v[16:17], v[20:21]
	v_pk_fma_f32 v[20:21], v[2:3], v[164:165], v[18:19] op_sel:[0,0,1] op_sel_hi:[1,1,0] neg_lo:[0,0,1] neg_hi:[0,0,1]
	v_pk_fma_f32 v[2:3], v[2:3], v[164:165], v[18:19] op_sel:[0,0,1] op_sel_hi:[1,0,0]
	v_mov_b32_e32 v21, v3
	v_pk_add_f32 v[2:3], v[16:17], v[20:21]
	v_mov_b32_e32 v16, v163
	v_pk_mul_f32 v[16:17], v[4:5], v[16:17] op_sel_hi:[1,0]
	v_pk_fma_f32 v[18:19], v[4:5], v[162:163], v[16:17] op_sel:[0,0,1] op_sel_hi:[1,1,0] neg_lo:[0,0,1] neg_hi:[0,0,1]
	v_pk_fma_f32 v[4:5], v[4:5], v[162:163], v[16:17] op_sel:[0,0,1] op_sel_hi:[1,0,0]
	v_mov_b32_e32 v4, v161
	v_mov_b32_e32 v19, v5
	s_waitcnt lgkmcnt(2)
	v_pk_mul_f32 v[4:5], v[6:7], v[4:5] op_sel_hi:[1,0]
	v_pk_fma_f32 v[16:17], v[6:7], v[160:161], v[4:5] op_sel:[0,0,1] op_sel_hi:[1,1,0] neg_lo:[0,0,1] neg_hi:[0,0,1]
	v_pk_fma_f32 v[4:5], v[6:7], v[160:161], v[4:5] op_sel:[0,0,1] op_sel_hi:[1,0,0]
	s_waitcnt vmcnt(1)
	v_mov_b32_e32 v4, v175
	v_mov_b32_e32 v17, v5
	v_pk_mul_f32 v[4:5], v[8:9], v[4:5] op_sel_hi:[1,0]
	s_waitcnt vmcnt(0)
	v_pk_fma_f32 v[6:7], v[8:9], v[174:175], v[4:5] op_sel:[0,0,1] op_sel_hi:[1,1,0] neg_lo:[0,0,1] neg_hi:[0,0,1]
	v_pk_fma_f32 v[4:5], v[8:9], v[174:175], v[4:5] op_sel:[0,0,1] op_sel_hi:[1,0,0]
	v_pk_add_f32 v[2:3], v[2:3], v[18:19]
	v_mov_b32_e32 v4, v173
	v_pk_add_f32 v[2:3], v[2:3], v[16:17]
	v_mov_b32_e32 v7, v5
	s_waitcnt lgkmcnt(1)
	v_pk_mul_f32 v[4:5], v[10:11], v[4:5] op_sel_hi:[1,0]
	v_pk_add_f32 v[2:3], v[2:3], v[6:7]
	v_pk_fma_f32 v[6:7], v[10:11], v[172:173], v[4:5] op_sel:[0,0,1] op_sel_hi:[1,1,0] neg_lo:[0,0,1] neg_hi:[0,0,1]
	v_pk_fma_f32 v[4:5], v[10:11], v[172:173], v[4:5] op_sel:[0,0,1] op_sel_hi:[1,0,0]
	v_mov_b32_e32 v4, v171
	v_mov_b32_e32 v7, v5
	v_pk_mul_f32 v[4:5], v[12:13], v[4:5] op_sel_hi:[1,0]
	v_pk_add_f32 v[2:3], v[2:3], v[6:7]
	v_pk_fma_f32 v[6:7], v[12:13], v[170:171], v[4:5] op_sel:[0,0,1] op_sel_hi:[1,1,0] neg_lo:[0,0,1] neg_hi:[0,0,1]
	v_pk_fma_f32 v[4:5], v[12:13], v[170:171], v[4:5] op_sel:[0,0,1] op_sel_hi:[1,0,0]
	v_mov_b32_e32 v4, v169
	v_mov_b32_e32 v7, v5
	s_waitcnt lgkmcnt(0)
	v_pk_mul_f32 v[4:5], v[14:15], v[4:5] op_sel_hi:[1,0]
	v_pk_add_f32 v[2:3], v[2:3], v[6:7]
	v_pk_fma_f32 v[6:7], v[14:15], v[168:169], v[4:5] op_sel:[0,0,1] op_sel_hi:[1,1,0] neg_lo:[0,0,1] neg_hi:[0,0,1]
	v_pk_fma_f32 v[4:5], v[14:15], v[168:169], v[4:5] op_sel:[0,0,1] op_sel_hi:[1,0,0]
	v_mov_b32_e32 v7, v5
	v_pk_add_f32 v[2:3], v[2:3], v[6:7]
	v_pk_add_f32 v[2:3], v[58:59], v[2:3] neg_lo:[0,1] neg_hi:[0,1]
	buffer_store_dword v3, off, s[0:3], 0 offset:36
	buffer_store_dword v2, off, s[0:3], 0 offset:32
	s_and_saveexec_b64 s[4:5], vcc
	s_cbranch_execz .LBB127_391
; %bb.390:
	buffer_load_dword v2, off, s[0:3], 0 offset:24
	buffer_load_dword v3, off, s[0:3], 0 offset:28
	s_waitcnt vmcnt(0)
	ds_write_b64 v223, v[2:3]
	buffer_store_dword v1, off, s[0:3], 0 offset:24
	buffer_store_dword v1, off, s[0:3], 0 offset:28
.LBB127_391:
	s_or_b64 exec, exec, s[4:5]
	s_waitcnt lgkmcnt(0)
	; wave barrier
	s_waitcnt lgkmcnt(0)
	buffer_load_dword v65, off, s[0:3], 0 offset:36
	buffer_load_dword v64, off, s[0:3], 0 offset:44
	;; [unrolled: 1-line block ×40, first 2 shown]
	ds_read_b128 v[26:29], v1 offset:544
	ds_read_b128 v[22:25], v1 offset:560
	;; [unrolled: 1-line block ×7, first 2 shown]
	buffer_load_dword v98, off, s[0:3], 0 offset:184
	buffer_load_dword v99, off, s[0:3], 0 offset:188
	buffer_load_dword v100, off, s[0:3], 0 offset:192
	buffer_load_dword v101, off, s[0:3], 0 offset:196
	buffer_load_dword v102, off, s[0:3], 0 offset:200
	buffer_load_dword v103, off, s[0:3], 0 offset:204
	buffer_load_dword v104, off, s[0:3], 0 offset:208
	buffer_load_dword v105, off, s[0:3], 0 offset:212
	buffer_load_dword v154, off, s[0:3], 0 offset:216
	buffer_load_dword v156, off, s[0:3], 0 offset:220
	buffer_load_dword v164, off, s[0:3], 0 offset:224
	buffer_load_dword v176, off, s[0:3], 0 offset:228
	v_cmp_lt_u32_e32 vcc, 2, v0
	s_waitcnt vmcnt(51) lgkmcnt(6)
	v_mul_f32_e32 v30, v26, v65
	s_waitcnt vmcnt(50)
	v_mul_f32_e32 v31, v28, v64
	s_waitcnt vmcnt(49) lgkmcnt(5)
	v_mul_f32_e32 v33, v24, v63
	s_waitcnt vmcnt(48) lgkmcnt(4)
	v_mul_f32_e32 v34, v18, v62
	s_waitcnt vmcnt(47)
	v_mul_f32_e32 v35, v20, v60
	s_waitcnt vmcnt(46)
	v_mul_f32_e32 v32, v22, v66
	s_waitcnt vmcnt(45) lgkmcnt(3)
	v_mul_f32_e32 v36, v14, v61
	s_waitcnt vmcnt(44)
	v_mul_f32_e32 v37, v16, v67
	s_waitcnt vmcnt(43) lgkmcnt(2)
	;; [unrolled: 4-line block ×3, first 2 shown]
	v_mul_f32_e32 v40, v6, v70
	s_waitcnt vmcnt(40)
	v_mul_f32_e32 v41, v8, v71
	s_waitcnt vmcnt(39)
	v_fmac_f32_e32 v32, v23, v77
	s_waitcnt vmcnt(38)
	v_fmac_f32_e32 v31, v29, v80
	;; [unrolled: 2-line block ×3, first 2 shown]
	v_add_f32_e32 v30, 0, v30
	v_add_f32_e32 v30, v30, v31
	;; [unrolled: 1-line block ×3, first 2 shown]
	s_waitcnt vmcnt(33)
	v_fmac_f32_e32 v33, v25, v82
	v_fmac_f32_e32 v34, v19, v79
	v_add_f32_e32 v30, v30, v33
	v_fmac_f32_e32 v35, v21, v76
	v_add_f32_e32 v30, v30, v34
	v_fmac_f32_e32 v36, v15, v74
	v_add_f32_e32 v30, v30, v35
	s_waitcnt vmcnt(29)
	v_fmac_f32_e32 v37, v17, v78
	v_add_f32_e32 v30, v30, v36
	v_fmac_f32_e32 v38, v11, v75
	v_add_f32_e32 v30, v30, v37
	;; [unrolled: 2-line block ×4, first 2 shown]
	v_add_f32_e32 v30, v30, v40
	s_waitcnt vmcnt(25)
	v_fmac_f32_e32 v41, v9, v89
	v_add_f32_e32 v34, v30, v41
	ds_read_b128 v[30:33], v1 offset:656
	s_waitcnt vmcnt(24) lgkmcnt(1)
	v_mul_f32_e32 v35, v2, v88
	buffer_load_dword v177, off, s[0:3], 0 offset:232
	buffer_load_dword v178, off, s[0:3], 0 offset:236
	v_fmac_f32_e32 v35, v3, v86
	v_add_f32_e32 v34, v34, v35
	s_waitcnt vmcnt(25)
	v_mul_f32_e32 v35, v4, v87
	buffer_load_dword v179, off, s[0:3], 0 offset:240
	buffer_load_dword v180, off, s[0:3], 0 offset:244
	v_fmac_f32_e32 v35, v5, v84
	v_add_f32_e32 v34, v34, v35
	s_waitcnt vmcnt(26) lgkmcnt(0)
	v_mul_f32_e32 v35, v30, v85
	v_fmac_f32_e32 v35, v31, v81
	v_add_f32_e32 v38, v34, v35
	ds_read_b128 v[34:37], v1 offset:672
	buffer_load_dword v181, off, s[0:3], 0 offset:248
	buffer_load_dword v182, off, s[0:3], 0 offset:252
	s_waitcnt vmcnt(21)
	v_mul_f32_e32 v39, v32, v97
	s_waitcnt vmcnt(20)
	v_fmac_f32_e32 v39, v33, v96
	v_add_f32_e32 v42, v38, v39
	ds_read_b128 v[38:41], v1 offset:688
	buffer_load_dword v183, off, s[0:3], 0 offset:256
	buffer_load_dword v184, off, s[0:3], 0 offset:260
	s_waitcnt lgkmcnt(1)
	v_mul_f32_e32 v43, v34, v91
	buffer_load_dword v185, off, s[0:3], 0 offset:264
	buffer_load_dword v186, off, s[0:3], 0 offset:268
	v_fmac_f32_e32 v43, v35, v90
	v_add_f32_e32 v42, v42, v43
	v_mul_f32_e32 v43, v36, v93
	buffer_load_dword v187, off, s[0:3], 0 offset:272
	buffer_load_dword v188, off, s[0:3], 0 offset:276
	v_fmac_f32_e32 v43, v37, v92
	v_add_f32_e32 v42, v42, v43
	s_waitcnt lgkmcnt(0)
	v_mul_f32_e32 v43, v38, v95
	v_fmac_f32_e32 v43, v39, v94
	v_add_f32_e32 v46, v42, v43
	ds_read_b128 v[42:45], v1 offset:704
	buffer_load_dword v189, off, s[0:3], 0 offset:280
	buffer_load_dword v190, off, s[0:3], 0 offset:284
	s_waitcnt vmcnt(24)
	v_mul_f32_e32 v47, v40, v99
	v_fmac_f32_e32 v47, v41, v98
	v_add_f32_e32 v50, v46, v47
	ds_read_b128 v[46:49], v1 offset:720
	buffer_load_dword v191, off, s[0:3], 0 offset:288
	buffer_load_dword v192, off, s[0:3], 0 offset:292
	;; [unrolled: 1-line block ×12, first 2 shown]
	s_waitcnt vmcnt(34) lgkmcnt(1)
	v_mul_f32_e32 v51, v42, v101
	v_fmac_f32_e32 v51, v43, v100
	buffer_load_dword v203, off, s[0:3], 0 offset:336
	buffer_load_dword v204, off, s[0:3], 0 offset:340
	v_add_f32_e32 v50, v50, v51
	s_waitcnt vmcnt(34)
	v_mul_f32_e32 v51, v44, v103
	v_fmac_f32_e32 v51, v45, v102
	v_add_f32_e32 v50, v50, v51
	s_waitcnt vmcnt(32) lgkmcnt(0)
	v_mul_f32_e32 v51, v46, v105
	v_fmac_f32_e32 v51, v47, v104
	buffer_load_dword v205, off, s[0:3], 0 offset:344
	buffer_load_dword v206, off, s[0:3], 0 offset:348
	v_add_f32_e32 v50, v50, v51
	s_waitcnt vmcnt(32)
	v_mul_f32_e32 v51, v48, v156
	v_fmac_f32_e32 v51, v49, v154
	v_add_f32_e32 v106, v50, v51
	ds_read_b128 v[50:53], v1 offset:736
	buffer_load_dword v207, off, s[0:3], 0 offset:352
	buffer_load_dword v208, off, s[0:3], 0 offset:356
	ds_read_b128 v[54:57], v1 offset:752
	buffer_load_dword v209, off, s[0:3], 0 offset:360
	buffer_load_dword v210, off, s[0:3], 0 offset:364
	;; [unrolled: 1-line block ×14, first 2 shown]
	s_waitcnt vmcnt(46) lgkmcnt(1)
	v_mul_f32_e32 v107, v50, v176
	v_fmac_f32_e32 v107, v51, v164
	v_add_f32_e32 v106, v106, v107
	buffer_load_dword v249, off, s[0:3], 0 offset:416
	buffer_load_dword v250, off, s[0:3], 0 offset:420
	v_mul_f32_e32 v27, v27, v65
	v_fma_f32 v26, v26, v83, -v27
	v_mul_f32_e32 v27, v29, v64
	v_add_f32_e32 v26, 0, v26
	v_fma_f32 v27, v28, v80, -v27
	v_mul_f32_e32 v23, v23, v66
	v_add_f32_e32 v26, v26, v27
	;; [unrolled: 3-line block ×3, first 2 shown]
	v_fma_f32 v23, v24, v82, -v23
	v_mul_f32_e32 v19, v19, v62
	s_waitcnt vmcnt(46)
	v_mul_f32_e32 v107, v52, v178
	v_fmac_f32_e32 v107, v53, v177
	v_add_f32_e32 v106, v106, v107
	v_add_f32_e32 v22, v22, v23
	s_waitcnt vmcnt(44) lgkmcnt(0)
	v_mul_f32_e32 v107, v54, v180
	v_fmac_f32_e32 v107, v55, v179
	v_add_f32_e32 v110, v106, v107
	ds_read_b128 v[106:109], v1 offset:768
	buffer_load_dword v251, off, s[0:3], 0 offset:424
	buffer_load_dword v252, off, s[0:3], 0 offset:428
	;; [unrolled: 1-line block ×4, first 2 shown]
	v_fma_f32 v18, v18, v79, -v19
	s_waitcnt vmcnt(46)
	v_mul_f32_e32 v111, v56, v182
	v_fmac_f32_e32 v111, v57, v181
	v_add_f32_e32 v114, v110, v111
	ds_read_b128 v[110:113], v1 offset:784
	buffer_load_dword v255, off, s[0:3], 0 offset:440
	buffer_load_dword v212, off, s[0:3], 0 offset:444
	s_waitcnt vmcnt(46) lgkmcnt(1)
	v_mul_f32_e32 v115, v106, v184
	v_fmac_f32_e32 v115, v107, v183
	v_add_f32_e32 v114, v114, v115
	s_waitcnt vmcnt(44)
	v_mul_f32_e32 v115, v108, v186
	v_fmac_f32_e32 v115, v109, v185
	v_add_f32_e32 v114, v114, v115
	s_waitcnt vmcnt(42) lgkmcnt(0)
	v_mul_f32_e32 v115, v110, v188
	v_fmac_f32_e32 v115, v111, v187
	v_add_f32_e32 v118, v114, v115
	ds_read_b128 v[114:117], v1 offset:800
	v_mul_f32_e32 v19, v21, v60
	v_add_f32_e32 v18, v22, v18
	v_fma_f32 v19, v20, v76, -v19
	s_waitcnt vmcnt(40)
	v_mul_f32_e32 v119, v112, v190
	v_fmac_f32_e32 v119, v113, v189
	v_add_f32_e32 v122, v118, v119
	ds_read_b128 v[118:121], v1 offset:816
	v_mul_f32_e32 v15, v15, v61
	s_waitcnt vmcnt(38) lgkmcnt(1)
	v_mul_f32_e32 v123, v114, v192
	v_fmac_f32_e32 v123, v115, v191
	v_add_f32_e32 v122, v122, v123
	s_waitcnt vmcnt(36)
	v_mul_f32_e32 v123, v116, v194
	v_fmac_f32_e32 v123, v117, v193
	v_add_f32_e32 v122, v122, v123
	s_waitcnt vmcnt(34) lgkmcnt(0)
	v_mul_f32_e32 v123, v118, v196
	v_fmac_f32_e32 v123, v119, v195
	v_add_f32_e32 v126, v122, v123
	ds_read_b128 v[122:125], v1 offset:832
	s_waitcnt vmcnt(32)
	v_mul_f32_e32 v127, v120, v198
	v_fmac_f32_e32 v127, v121, v197
	v_add_f32_e32 v130, v126, v127
	ds_read_b128 v[126:129], v1 offset:848
	s_waitcnt vmcnt(30) lgkmcnt(1)
	v_mul_f32_e32 v131, v122, v200
	v_fmac_f32_e32 v131, v123, v199
	v_add_f32_e32 v130, v130, v131
	s_waitcnt vmcnt(28)
	v_mul_f32_e32 v131, v124, v202
	v_fmac_f32_e32 v131, v125, v201
	v_add_f32_e32 v130, v130, v131
	s_waitcnt vmcnt(26) lgkmcnt(0)
	v_mul_f32_e32 v131, v126, v204
	v_fmac_f32_e32 v131, v127, v203
	v_add_f32_e32 v134, v130, v131
	ds_read_b128 v[130:133], v1 offset:864
	s_waitcnt vmcnt(24)
	v_mul_f32_e32 v135, v128, v206
	v_fmac_f32_e32 v135, v129, v205
	v_add_f32_e32 v138, v134, v135
	ds_read_b128 v[134:137], v1 offset:880
	;; [unrolled: 18-line block ×3, first 2 shown]
	s_waitcnt vmcnt(14) lgkmcnt(1)
	v_mul_f32_e32 v147, v138, v242
	v_fmac_f32_e32 v147, v139, v241
	v_add_f32_e32 v146, v146, v147
	s_waitcnt vmcnt(12)
	v_mul_f32_e32 v147, v140, v244
	v_fmac_f32_e32 v147, v141, v243
	v_add_f32_e32 v18, v18, v19
	v_fma_f32 v14, v14, v74, -v15
	v_mul_f32_e32 v15, v17, v67
	v_add_f32_e32 v146, v146, v147
	s_waitcnt vmcnt(10) lgkmcnt(0)
	v_mul_f32_e32 v147, v142, v246
	v_add_f32_e32 v14, v18, v14
	v_fma_f32 v15, v16, v78, -v15
	v_mul_f32_e32 v11, v11, v68
	v_fmac_f32_e32 v147, v143, v245
	s_waitcnt vmcnt(8)
	v_mul_f32_e32 v151, v144, v248
	v_add_f32_e32 v14, v14, v15
	v_fma_f32 v10, v10, v75, -v11
	v_mul_f32_e32 v11, v13, v69
	v_add_f32_e32 v150, v146, v147
	v_fmac_f32_e32 v151, v145, v247
	v_add_f32_e32 v10, v14, v10
	v_fma_f32 v11, v12, v73, -v11
	v_mul_f32_e32 v7, v7, v70
	ds_read_b128 v[146:149], v1 offset:928
	v_add_f32_e32 v155, v150, v151
	ds_read_b128 v[150:153], v1 offset:944
	buffer_load_dword v159, off, s[0:3], 0 offset:468
	buffer_load_dword v158, off, s[0:3], 0 offset:464
	;; [unrolled: 1-line block ×6, first 2 shown]
	v_add_f32_e32 v10, v10, v11
	v_fma_f32 v6, v6, v72, -v7
	v_mul_f32_e32 v7, v9, v71
	v_add_f32_e32 v6, v10, v6
	v_fma_f32 v7, v8, v89, -v7
	v_mul_f32_e32 v3, v3, v88
	;; [unrolled: 3-line block ×3, first 2 shown]
	v_add_f32_e32 v2, v6, v2
	v_fma_f32 v3, v4, v84, -v3
	v_add_f32_e32 v2, v2, v3
	v_mul_f32_e32 v3, v31, v85
	v_fma_f32 v3, v30, v81, -v3
	v_add_f32_e32 v2, v2, v3
	v_mul_f32_e32 v3, v33, v97
	;; [unrolled: 3-line block ×4, first 2 shown]
	v_fma_f32 v3, v36, v92, -v3
	buffer_load_dword v167, off, s[0:3], 0 offset:500
	buffer_load_dword v166, off, s[0:3], 0 offset:496
	;; [unrolled: 1-line block ×10, first 2 shown]
	v_add_f32_e32 v2, v2, v3
	v_mul_f32_e32 v3, v39, v95
	v_fma_f32 v3, v38, v94, -v3
	v_add_f32_e32 v2, v2, v3
	v_mul_f32_e32 v3, v41, v99
	v_fma_f32 v3, v40, v98, -v3
	;; [unrolled: 3-line block ×30, first 2 shown]
	v_add_f32_e32 v2, v2, v3
	s_waitcnt vmcnt(22) lgkmcnt(1)
	v_mul_f32_e32 v3, v147, v250
	v_fma_f32 v3, v146, v249, -v3
	v_add_f32_e32 v2, v2, v3
	s_waitcnt vmcnt(20)
	v_mul_f32_e32 v3, v149, v252
	v_mul_f32_e32 v157, v146, v250
	v_fma_f32 v3, v148, v251, -v3
	v_fmac_f32_e32 v157, v147, v249
	v_add_f32_e32 v154, v2, v3
	s_waitcnt vmcnt(18) lgkmcnt(0)
	v_mul_f32_e32 v2, v151, v254
	v_add_f32_e32 v155, v155, v157
	v_mul_f32_e32 v157, v148, v252
	v_fma_f32 v156, v150, v253, -v2
	s_waitcnt vmcnt(16)
	v_mul_f32_e32 v2, v153, v212
	v_fmac_f32_e32 v157, v149, v251
	v_fma_f32 v164, v152, v255, -v2
	ds_read_b128 v[2:5], v1 offset:960
	ds_read_b128 v[6:9], v1 offset:976
	;; [unrolled: 1-line block ×4, first 2 shown]
	v_add_f32_e32 v155, v155, v157
	v_mul_f32_e32 v157, v150, v254
	s_waitcnt vmcnt(11)
	v_mov_b32_e32 v20, v163
	v_fmac_f32_e32 v157, v151, v253
	v_mul_f32_e32 v165, v152, v212
	s_waitcnt lgkmcnt(3)
	v_pk_mul_f32 v[20:21], v[2:3], v[20:21] op_sel_hi:[1,0]
	v_fmac_f32_e32 v165, v153, v255
	v_pk_add_f32 v[18:19], v[154:155], v[156:157]
	s_waitcnt vmcnt(10)
	v_pk_fma_f32 v[22:23], v[2:3], v[162:163], v[20:21] op_sel:[0,0,1] op_sel_hi:[1,1,0] neg_lo:[0,0,1] neg_hi:[0,0,1]
	v_pk_fma_f32 v[2:3], v[2:3], v[162:163], v[20:21] op_sel:[0,0,1] op_sel_hi:[1,0,0]
	v_pk_add_f32 v[18:19], v[18:19], v[164:165]
	v_mov_b32_e32 v23, v3
	v_pk_add_f32 v[2:3], v[18:19], v[22:23]
	v_mov_b32_e32 v18, v161
	v_pk_mul_f32 v[18:19], v[4:5], v[18:19] op_sel_hi:[1,0]
	v_pk_fma_f32 v[20:21], v[4:5], v[160:161], v[18:19] op_sel:[0,0,1] op_sel_hi:[1,1,0] neg_lo:[0,0,1] neg_hi:[0,0,1]
	v_pk_fma_f32 v[4:5], v[4:5], v[160:161], v[18:19] op_sel:[0,0,1] op_sel_hi:[1,0,0]
	v_mov_b32_e32 v4, v159
	v_mov_b32_e32 v21, v5
	s_waitcnt lgkmcnt(2)
	v_pk_mul_f32 v[4:5], v[6:7], v[4:5] op_sel_hi:[1,0]
	v_pk_fma_f32 v[18:19], v[6:7], v[158:159], v[4:5] op_sel:[0,0,1] op_sel_hi:[1,1,0] neg_lo:[0,0,1] neg_hi:[0,0,1]
	v_pk_fma_f32 v[4:5], v[6:7], v[158:159], v[4:5] op_sel:[0,0,1] op_sel_hi:[1,0,0]
	s_waitcnt vmcnt(3)
	v_mov_b32_e32 v4, v173
	v_mov_b32_e32 v19, v5
	v_pk_mul_f32 v[4:5], v[8:9], v[4:5] op_sel_hi:[1,0]
	s_waitcnt vmcnt(2)
	v_pk_fma_f32 v[6:7], v[8:9], v[172:173], v[4:5] op_sel:[0,0,1] op_sel_hi:[1,1,0] neg_lo:[0,0,1] neg_hi:[0,0,1]
	v_pk_fma_f32 v[4:5], v[8:9], v[172:173], v[4:5] op_sel:[0,0,1] op_sel_hi:[1,0,0]
	v_pk_add_f32 v[2:3], v[2:3], v[20:21]
	v_mov_b32_e32 v4, v171
	v_pk_add_f32 v[2:3], v[2:3], v[18:19]
	v_mov_b32_e32 v7, v5
	s_waitcnt lgkmcnt(1)
	v_pk_mul_f32 v[4:5], v[10:11], v[4:5] op_sel_hi:[1,0]
	v_pk_add_f32 v[2:3], v[2:3], v[6:7]
	v_pk_fma_f32 v[6:7], v[10:11], v[170:171], v[4:5] op_sel:[0,0,1] op_sel_hi:[1,1,0] neg_lo:[0,0,1] neg_hi:[0,0,1]
	v_pk_fma_f32 v[4:5], v[10:11], v[170:171], v[4:5] op_sel:[0,0,1] op_sel_hi:[1,0,0]
	v_mov_b32_e32 v4, v169
	v_mov_b32_e32 v7, v5
	v_pk_mul_f32 v[4:5], v[12:13], v[4:5] op_sel_hi:[1,0]
	v_pk_add_f32 v[2:3], v[2:3], v[6:7]
	v_pk_fma_f32 v[6:7], v[12:13], v[168:169], v[4:5] op_sel:[0,0,1] op_sel_hi:[1,1,0] neg_lo:[0,0,1] neg_hi:[0,0,1]
	v_pk_fma_f32 v[4:5], v[12:13], v[168:169], v[4:5] op_sel:[0,0,1] op_sel_hi:[1,0,0]
	v_mov_b32_e32 v4, v167
	v_mov_b32_e32 v7, v5
	s_waitcnt lgkmcnt(0)
	v_pk_mul_f32 v[4:5], v[14:15], v[4:5] op_sel_hi:[1,0]
	v_pk_add_f32 v[2:3], v[2:3], v[6:7]
	v_pk_fma_f32 v[6:7], v[14:15], v[166:167], v[4:5] op_sel:[0,0,1] op_sel_hi:[1,1,0] neg_lo:[0,0,1] neg_hi:[0,0,1]
	v_pk_fma_f32 v[4:5], v[14:15], v[166:167], v[4:5] op_sel:[0,0,1] op_sel_hi:[1,0,0]
	s_waitcnt vmcnt(1)
	v_mov_b32_e32 v4, v175
	v_mov_b32_e32 v7, v5
	v_pk_mul_f32 v[4:5], v[16:17], v[4:5] op_sel_hi:[1,0]
	v_pk_add_f32 v[2:3], v[2:3], v[6:7]
	s_waitcnt vmcnt(0)
	v_pk_fma_f32 v[6:7], v[16:17], v[174:175], v[4:5] op_sel:[0,0,1] op_sel_hi:[1,1,0] neg_lo:[0,0,1] neg_hi:[0,0,1]
	v_pk_fma_f32 v[4:5], v[16:17], v[174:175], v[4:5] op_sel:[0,0,1] op_sel_hi:[1,0,0]
	v_mov_b32_e32 v7, v5
	v_pk_add_f32 v[2:3], v[2:3], v[6:7]
	v_pk_add_f32 v[2:3], v[58:59], v[2:3] neg_lo:[0,1] neg_hi:[0,1]
	buffer_store_dword v3, off, s[0:3], 0 offset:28
	buffer_store_dword v2, off, s[0:3], 0 offset:24
	s_and_saveexec_b64 s[4:5], vcc
	s_cbranch_execz .LBB127_393
; %bb.392:
	buffer_load_dword v2, off, s[0:3], 0 offset:16
	buffer_load_dword v3, off, s[0:3], 0 offset:20
	v_mov_b32_e32 v1, 0
	buffer_store_dword v1, off, s[0:3], 0 offset:16
	buffer_store_dword v1, off, s[0:3], 0 offset:20
	s_waitcnt vmcnt(2)
	ds_write_b64 v223, v[2:3]
.LBB127_393:
	s_or_b64 exec, exec, s[4:5]
	v_mov_b32_e32 v1, 0
	s_waitcnt lgkmcnt(0)
	; wave barrier
	s_waitcnt lgkmcnt(0)
	ds_read2_b64 v[2:5], v1 offset0:67 offset1:68
	buffer_load_dword v238, off, s[0:3], 0 offset:16
	buffer_load_dword v239, off, s[0:3], 0 offset:20
	;; [unrolled: 1-line block ×16, first 2 shown]
	v_cmp_lt_u32_e32 vcc, 1, v0
	s_waitcnt vmcnt(12) lgkmcnt(0)
	v_mul_f32_e32 v6, v2, v116
	v_fmac_f32_e32 v6, v3, v240
	s_waitcnt vmcnt(10)
	v_mul_f32_e32 v7, v4, v118
	v_add_f32_e32 v6, 0, v6
	v_fmac_f32_e32 v7, v5, v242
	v_add_f32_e32 v10, v6, v7
	ds_read2_b64 v[6:9], v1 offset0:69 offset1:70
	v_mul_f32_e32 v3, v3, v116
	v_fma_f32 v2, v2, v240, -v3
	v_mul_f32_e32 v3, v5, v118
	v_add_f32_e32 v2, 0, v2
	s_waitcnt vmcnt(8) lgkmcnt(0)
	v_mul_f32_e32 v11, v6, v120
	v_fmac_f32_e32 v11, v7, v246
	v_add_f32_e32 v10, v10, v11
	s_waitcnt vmcnt(6)
	v_mul_f32_e32 v11, v8, v122
	v_fmac_f32_e32 v11, v9, v117
	v_add_f32_e32 v14, v10, v11
	ds_read2_b64 v[10:13], v1 offset0:71 offset1:72
	v_fma_f32 v3, v4, v242, -v3
	v_add_f32_e32 v2, v2, v3
	v_mul_f32_e32 v3, v7, v120
	v_fma_f32 v3, v6, v246, -v3
	s_waitcnt vmcnt(4) lgkmcnt(0)
	v_mul_f32_e32 v15, v10, v124
	v_fmac_f32_e32 v15, v11, v119
	v_add_f32_e32 v14, v14, v15
	s_waitcnt vmcnt(2)
	v_mul_f32_e32 v15, v12, v125
	v_fmac_f32_e32 v15, v13, v121
	v_add_f32_e32 v18, v14, v15
	ds_read2_b64 v[14:17], v1 offset0:73 offset1:74
	buffer_load_dword v127, off, s[0:3], 0 offset:80
	buffer_load_dword v128, off, s[0:3], 0 offset:84
	v_add_f32_e32 v2, v2, v3
	v_mul_f32_e32 v3, v9, v122
	v_fma_f32 v3, v8, v117, -v3
	s_waitcnt vmcnt(2) lgkmcnt(0)
	v_mul_f32_e32 v19, v14, v126
	v_fmac_f32_e32 v19, v15, v123
	v_add_f32_e32 v18, v18, v19
	v_add_f32_e32 v2, v2, v3
	v_mul_f32_e32 v3, v11, v124
	v_fma_f32 v3, v10, v119, -v3
	v_add_f32_e32 v2, v2, v3
	v_mul_f32_e32 v3, v13, v125
	v_fma_f32 v3, v12, v121, -v3
	;; [unrolled: 3-line block ×3, first 2 shown]
	v_add_f32_e32 v2, v2, v3
	s_waitcnt vmcnt(0)
	v_mul_f32_e32 v19, v16, v128
	v_fmac_f32_e32 v19, v17, v127
	v_add_f32_e32 v22, v18, v19
	ds_read2_b64 v[18:21], v1 offset0:75 offset1:76
	buffer_load_dword v129, off, s[0:3], 0 offset:88
	buffer_load_dword v130, off, s[0:3], 0 offset:92
	;; [unrolled: 1-line block ×4, first 2 shown]
	v_mul_f32_e32 v3, v17, v128
	v_fma_f32 v3, v16, v127, -v3
	v_add_f32_e32 v2, v2, v3
	s_waitcnt vmcnt(2) lgkmcnt(0)
	v_mul_f32_e32 v23, v18, v130
	v_fmac_f32_e32 v23, v19, v129
	v_add_f32_e32 v22, v22, v23
	s_waitcnt vmcnt(0)
	v_mul_f32_e32 v23, v20, v132
	v_fmac_f32_e32 v23, v21, v131
	v_add_f32_e32 v26, v22, v23
	ds_read2_b64 v[22:25], v1 offset0:77 offset1:78
	buffer_load_dword v133, off, s[0:3], 0 offset:104
	buffer_load_dword v134, off, s[0:3], 0 offset:108
	buffer_load_dword v135, off, s[0:3], 0 offset:112
	buffer_load_dword v136, off, s[0:3], 0 offset:116
	v_mul_f32_e32 v3, v19, v130
	v_fma_f32 v3, v18, v129, -v3
	v_add_f32_e32 v2, v2, v3
	v_mul_f32_e32 v3, v21, v132
	v_fma_f32 v3, v20, v131, -v3
	v_add_f32_e32 v2, v2, v3
	s_waitcnt vmcnt(2) lgkmcnt(0)
	v_mul_f32_e32 v27, v22, v134
	v_fmac_f32_e32 v27, v23, v133
	v_add_f32_e32 v26, v26, v27
	s_waitcnt vmcnt(0)
	v_mul_f32_e32 v27, v24, v136
	v_fmac_f32_e32 v27, v25, v135
	v_add_f32_e32 v30, v26, v27
	ds_read2_b64 v[26:29], v1 offset0:79 offset1:80
	buffer_load_dword v137, off, s[0:3], 0 offset:120
	buffer_load_dword v138, off, s[0:3], 0 offset:124
	buffer_load_dword v139, off, s[0:3], 0 offset:128
	buffer_load_dword v140, off, s[0:3], 0 offset:132
	v_mul_f32_e32 v3, v23, v134
	v_fma_f32 v3, v22, v133, -v3
	v_add_f32_e32 v2, v2, v3
	;; [unrolled: 19-line block ×7, first 2 shown]
	v_mul_f32_e32 v3, v45, v156
	v_fma_f32 v3, v44, v155, -v3
	v_add_f32_e32 v2, v2, v3
	s_waitcnt vmcnt(2) lgkmcnt(0)
	v_mul_f32_e32 v51, v46, v158
	v_fmac_f32_e32 v51, v47, v157
	v_add_f32_e32 v50, v50, v51
	s_waitcnt vmcnt(0)
	v_mul_f32_e32 v51, v48, v160
	v_fmac_f32_e32 v51, v49, v159
	v_add_f32_e32 v54, v50, v51
	ds_read2_b64 v[50:53], v1 offset0:91 offset1:92
	buffer_load_dword v161, off, s[0:3], 0 offset:216
	buffer_load_dword v162, off, s[0:3], 0 offset:220
	buffer_load_dword v163, off, s[0:3], 0 offset:224
	buffer_load_dword v164, off, s[0:3], 0 offset:228
	ds_read2_b64 v[58:61], v1 offset0:93 offset1:94
	buffer_load_dword v165, off, s[0:3], 0 offset:232
	buffer_load_dword v166, off, s[0:3], 0 offset:236
	buffer_load_dword v167, off, s[0:3], 0 offset:240
	buffer_load_dword v168, off, s[0:3], 0 offset:244
	;; [unrolled: 5-line block ×14, first 2 shown]
	v_mul_f32_e32 v3, v47, v158
	v_fma_f32 v3, v46, v157, -v3
	v_add_f32_e32 v2, v2, v3
	v_mul_f32_e32 v3, v49, v160
	v_fma_f32 v3, v48, v159, -v3
	v_add_f32_e32 v2, v2, v3
	s_waitcnt vmcnt(54) lgkmcnt(13)
	v_mul_f32_e32 v55, v50, v162
	v_fmac_f32_e32 v55, v51, v161
	v_add_f32_e32 v54, v54, v55
	s_waitcnt vmcnt(52)
	v_mul_f32_e32 v55, v52, v164
	v_fmac_f32_e32 v55, v53, v163
	v_add_f32_e32 v54, v54, v55
	s_waitcnt vmcnt(50) lgkmcnt(12)
	v_mul_f32_e32 v55, v58, v166
	v_fmac_f32_e32 v55, v59, v165
	v_add_f32_e32 v54, v54, v55
	s_waitcnt vmcnt(48)
	v_mul_f32_e32 v55, v60, v168
	v_fmac_f32_e32 v55, v61, v167
	;; [unrolled: 8-line block ×13, first 2 shown]
	v_add_f32_e32 v54, v54, v55
	s_waitcnt vmcnt(2) lgkmcnt(0)
	v_mul_f32_e32 v55, v106, v214
	v_fmac_f32_e32 v55, v107, v213
	v_add_f32_e32 v241, v54, v55
	ds_read2_b64 v[54:57], v1 offset0:119 offset1:120
	buffer_load_dword v217, off, s[0:3], 0 offset:440
	buffer_load_dword v218, off, s[0:3], 0 offset:444
	;; [unrolled: 1-line block ×18, first 2 shown]
	v_mul_f32_e32 v3, v51, v162
	v_fma_f32 v3, v50, v161, -v3
	v_add_f32_e32 v2, v2, v3
	v_mul_f32_e32 v3, v53, v164
	v_fma_f32 v3, v52, v163, -v3
	v_add_f32_e32 v2, v2, v3
	;; [unrolled: 3-line block ×27, first 2 shown]
	s_waitcnt vmcnt(18)
	v_mul_f32_e32 v2, v109, v216
	s_waitcnt vmcnt(15)
	v_mov_b32_e32 v18, v245
	v_mul_f32_e32 v243, v108, v216
	v_fma_f32 v242, v108, v215, -v2
	s_waitcnt lgkmcnt(0)
	v_mul_f32_e32 v2, v55, v218
	v_pk_mul_f32 v[18:19], v[56:57], v[18:19] op_sel_hi:[1,0]
	v_fmac_f32_e32 v243, v109, v215
	v_mul_f32_e32 v247, v54, v218
	v_fma_f32 v246, v54, v217, -v2
	ds_read2_b64 v[2:5], v1 offset0:121 offset1:122
	ds_read2_b64 v[6:9], v1 offset0:123 offset1:124
	;; [unrolled: 1-line block ×3, first 2 shown]
	ds_read_b64 v[14:15], v1 offset:1016
	s_waitcnt vmcnt(14)
	v_pk_fma_f32 v[20:21], v[56:57], v[244:245], v[18:19] op_sel:[0,0,1] op_sel_hi:[1,1,0] neg_lo:[0,0,1] neg_hi:[0,0,1]
	v_pk_fma_f32 v[18:19], v[56:57], v[244:245], v[18:19] op_sel:[0,0,1] op_sel_hi:[1,0,0]
	v_fmac_f32_e32 v247, v55, v217
	v_pk_add_f32 v[16:17], v[240:241], v[242:243]
	s_waitcnt vmcnt(13)
	v_mov_b32_e32 v18, v115
	v_pk_add_f32 v[16:17], v[16:17], v[246:247]
	v_mov_b32_e32 v21, v19
	s_waitcnt lgkmcnt(3)
	v_pk_mul_f32 v[18:19], v[2:3], v[18:19] op_sel_hi:[1,0]
	v_pk_add_f32 v[16:17], v[16:17], v[20:21]
	s_waitcnt vmcnt(12)
	v_pk_fma_f32 v[20:21], v[2:3], v[114:115], v[18:19] op_sel:[0,0,1] op_sel_hi:[1,1,0] neg_lo:[0,0,1] neg_hi:[0,0,1]
	v_pk_fma_f32 v[2:3], v[2:3], v[114:115], v[18:19] op_sel:[0,0,1] op_sel_hi:[1,0,0]
	v_mov_b32_e32 v21, v3
	v_pk_add_f32 v[2:3], v[16:17], v[20:21]
	s_waitcnt vmcnt(11)
	v_mov_b32_e32 v16, v113
	v_pk_mul_f32 v[16:17], v[4:5], v[16:17] op_sel_hi:[1,0]
	s_waitcnt vmcnt(10)
	v_pk_fma_f32 v[18:19], v[4:5], v[112:113], v[16:17] op_sel:[0,0,1] op_sel_hi:[1,1,0] neg_lo:[0,0,1] neg_hi:[0,0,1]
	v_pk_fma_f32 v[4:5], v[4:5], v[112:113], v[16:17] op_sel:[0,0,1] op_sel_hi:[1,0,0]
	s_waitcnt vmcnt(9)
	v_mov_b32_e32 v4, v111
	v_mov_b32_e32 v19, v5
	s_waitcnt lgkmcnt(2)
	v_pk_mul_f32 v[4:5], v[6:7], v[4:5] op_sel_hi:[1,0]
	s_waitcnt vmcnt(8)
	v_pk_fma_f32 v[16:17], v[6:7], v[110:111], v[4:5] op_sel:[0,0,1] op_sel_hi:[1,1,0] neg_lo:[0,0,1] neg_hi:[0,0,1]
	v_pk_fma_f32 v[4:5], v[6:7], v[110:111], v[4:5] op_sel:[0,0,1] op_sel_hi:[1,0,0]
	s_waitcnt vmcnt(7)
	v_mov_b32_e32 v4, v255
	v_mov_b32_e32 v17, v5
	v_pk_mul_f32 v[4:5], v[8:9], v[4:5] op_sel_hi:[1,0]
	s_waitcnt vmcnt(6)
	v_pk_fma_f32 v[6:7], v[8:9], v[254:255], v[4:5] op_sel:[0,0,1] op_sel_hi:[1,1,0] neg_lo:[0,0,1] neg_hi:[0,0,1]
	v_pk_fma_f32 v[4:5], v[8:9], v[254:255], v[4:5] op_sel:[0,0,1] op_sel_hi:[1,0,0]
	v_pk_add_f32 v[2:3], v[2:3], v[18:19]
	s_waitcnt vmcnt(5)
	v_mov_b32_e32 v4, v253
	v_pk_add_f32 v[2:3], v[2:3], v[16:17]
	v_mov_b32_e32 v7, v5
	s_waitcnt lgkmcnt(1)
	v_pk_mul_f32 v[4:5], v[10:11], v[4:5] op_sel_hi:[1,0]
	v_pk_add_f32 v[2:3], v[2:3], v[6:7]
	s_waitcnt vmcnt(4)
	v_pk_fma_f32 v[6:7], v[10:11], v[252:253], v[4:5] op_sel:[0,0,1] op_sel_hi:[1,1,0] neg_lo:[0,0,1] neg_hi:[0,0,1]
	v_pk_fma_f32 v[4:5], v[10:11], v[252:253], v[4:5] op_sel:[0,0,1] op_sel_hi:[1,0,0]
	s_waitcnt vmcnt(3)
	v_mov_b32_e32 v4, v251
	v_mov_b32_e32 v7, v5
	v_pk_mul_f32 v[4:5], v[12:13], v[4:5] op_sel_hi:[1,0]
	v_pk_add_f32 v[2:3], v[2:3], v[6:7]
	s_waitcnt vmcnt(2)
	v_pk_fma_f32 v[6:7], v[12:13], v[250:251], v[4:5] op_sel:[0,0,1] op_sel_hi:[1,1,0] neg_lo:[0,0,1] neg_hi:[0,0,1]
	v_pk_fma_f32 v[4:5], v[12:13], v[250:251], v[4:5] op_sel:[0,0,1] op_sel_hi:[1,0,0]
	s_waitcnt vmcnt(1)
	v_mov_b32_e32 v4, v249
	v_mov_b32_e32 v7, v5
	s_waitcnt lgkmcnt(0)
	v_pk_mul_f32 v[4:5], v[14:15], v[4:5] op_sel_hi:[1,0]
	v_pk_add_f32 v[2:3], v[2:3], v[6:7]
	s_waitcnt vmcnt(0)
	v_pk_fma_f32 v[6:7], v[14:15], v[248:249], v[4:5] op_sel:[0,0,1] op_sel_hi:[1,1,0] neg_lo:[0,0,1] neg_hi:[0,0,1]
	v_pk_fma_f32 v[4:5], v[14:15], v[248:249], v[4:5] op_sel:[0,0,1] op_sel_hi:[1,0,0]
	v_mov_b32_e32 v7, v5
	v_pk_add_f32 v[2:3], v[2:3], v[6:7]
	v_pk_add_f32 v[2:3], v[238:239], v[2:3] neg_lo:[0,1] neg_hi:[0,1]
	buffer_store_dword v3, off, s[0:3], 0 offset:20
	buffer_store_dword v2, off, s[0:3], 0 offset:16
	s_and_saveexec_b64 s[4:5], vcc
	s_cbranch_execz .LBB127_395
; %bb.394:
	buffer_load_dword v2, off, s[0:3], 0 offset:8
	buffer_load_dword v3, off, s[0:3], 0 offset:12
	s_waitcnt vmcnt(0)
	ds_write_b64 v223, v[2:3]
	buffer_store_dword v1, off, s[0:3], 0 offset:8
	buffer_store_dword v1, off, s[0:3], 0 offset:12
.LBB127_395:
	s_or_b64 exec, exec, s[4:5]
	s_waitcnt lgkmcnt(0)
	; wave barrier
	s_waitcnt lgkmcnt(0)
	buffer_load_dword v74, off, s[0:3], 0 offset:20
	buffer_load_dword v72, off, s[0:3], 0 offset:28
	;; [unrolled: 1-line block ×40, first 2 shown]
	ds_read_b128 v[22:25], v1 offset:528
	ds_read_b128 v[18:21], v1 offset:544
	;; [unrolled: 1-line block ×6, first 2 shown]
	buffer_load_dword v106, off, s[0:3], 0 offset:168
	buffer_load_dword v107, off, s[0:3], 0 offset:172
	;; [unrolled: 1-line block ×14, first 2 shown]
	v_cmp_ne_u32_e32 vcc, 0, v0
	s_waitcnt vmcnt(53) lgkmcnt(5)
	v_mul_f32_e32 v26, v22, v74
	s_waitcnt vmcnt(52)
	v_mul_f32_e32 v27, v24, v72
	s_waitcnt vmcnt(51) lgkmcnt(4)
	v_mul_f32_e32 v29, v20, v71
	s_waitcnt vmcnt(50) lgkmcnt(3)
	v_mul_f32_e32 v30, v14, v70
	s_waitcnt vmcnt(49)
	v_mul_f32_e32 v31, v16, v68
	s_waitcnt vmcnt(48)
	v_mul_f32_e32 v28, v18, v73
	s_waitcnt vmcnt(47) lgkmcnt(2)
	v_mul_f32_e32 v32, v10, v69
	s_waitcnt vmcnt(46)
	v_mul_f32_e32 v33, v12, v75
	s_waitcnt vmcnt(45) lgkmcnt(1)
	;; [unrolled: 4-line block ×3, first 2 shown]
	v_mul_f32_e32 v36, v2, v78
	s_waitcnt vmcnt(42)
	v_fmac_f32_e32 v28, v19, v84
	s_waitcnt vmcnt(41)
	v_fmac_f32_e32 v27, v25, v87
	;; [unrolled: 2-line block ×3, first 2 shown]
	v_add_f32_e32 v26, 0, v26
	v_add_f32_e32 v26, v26, v27
	;; [unrolled: 1-line block ×3, first 2 shown]
	s_waitcnt vmcnt(36)
	v_fmac_f32_e32 v29, v21, v88
	v_fmac_f32_e32 v30, v15, v86
	v_add_f32_e32 v26, v26, v29
	v_fmac_f32_e32 v31, v17, v83
	v_add_f32_e32 v26, v26, v30
	;; [unrolled: 2-line block ×3, first 2 shown]
	s_waitcnt vmcnt(32)
	v_fmac_f32_e32 v33, v13, v85
	v_add_f32_e32 v26, v26, v32
	v_fmac_f32_e32 v34, v7, v82
	v_add_f32_e32 v26, v26, v33
	v_fmac_f32_e32 v35, v9, v80
	v_add_f32_e32 v26, v26, v34
	v_fmac_f32_e32 v36, v3, v79
	v_add_f32_e32 v26, v26, v35
	s_waitcnt vmcnt(28)
	v_mul_f32_e32 v27, v4, v97
	v_add_f32_e32 v26, v26, v36
	s_waitcnt vmcnt(27)
	v_fmac_f32_e32 v27, v5, v96
	ds_read_b128 v[30:33], v1 offset:624
	v_add_f32_e32 v34, v26, v27
	ds_read_b128 v[26:29], v1 offset:640
	buffer_load_dword v185, off, s[0:3], 0 offset:224
	buffer_load_dword v186, off, s[0:3], 0 offset:228
	;; [unrolled: 1-line block ×4, first 2 shown]
	s_waitcnt vmcnt(30) lgkmcnt(1)
	v_mul_f32_e32 v35, v30, v95
	v_fmac_f32_e32 v35, v31, v92
	v_add_f32_e32 v34, v34, v35
	s_waitcnt vmcnt(29)
	v_mul_f32_e32 v35, v32, v94
	v_fmac_f32_e32 v35, v33, v91
	v_add_f32_e32 v34, v34, v35
	s_waitcnt vmcnt(28) lgkmcnt(0)
	v_mul_f32_e32 v35, v26, v93
	ds_read_b128 v[38:41], v1 offset:656
	v_fmac_f32_e32 v35, v27, v89
	v_add_f32_e32 v34, v34, v35
	s_waitcnt vmcnt(21)
	v_mul_f32_e32 v35, v28, v105
	s_waitcnt vmcnt(20)
	v_fmac_f32_e32 v35, v29, v104
	v_add_f32_e32 v42, v34, v35
	ds_read_b128 v[34:37], v1 offset:672
	s_waitcnt lgkmcnt(1)
	v_mul_f32_e32 v43, v38, v99
	buffer_load_dword v189, off, s[0:3], 0 offset:240
	buffer_load_dword v190, off, s[0:3], 0 offset:244
	v_fmac_f32_e32 v43, v39, v98
	v_add_f32_e32 v42, v42, v43
	v_mul_f32_e32 v43, v40, v101
	buffer_load_dword v191, off, s[0:3], 0 offset:248
	buffer_load_dword v192, off, s[0:3], 0 offset:252
	v_fmac_f32_e32 v43, v41, v100
	v_add_f32_e32 v42, v42, v43
	s_waitcnt lgkmcnt(0)
	v_mul_f32_e32 v43, v34, v103
	buffer_load_dword v193, off, s[0:3], 0 offset:256
	buffer_load_dword v194, off, s[0:3], 0 offset:260
	v_fmac_f32_e32 v43, v35, v102
	v_add_f32_e32 v42, v42, v43
	s_waitcnt vmcnt(22)
	v_mul_f32_e32 v43, v36, v107
	v_fmac_f32_e32 v43, v37, v106
	ds_read_b128 v[46:49], v1 offset:688
	v_add_f32_e32 v50, v42, v43
	ds_read_b128 v[42:45], v1 offset:704
	buffer_load_dword v195, off, s[0:3], 0 offset:264
	buffer_load_dword v196, off, s[0:3], 0 offset:268
	;; [unrolled: 1-line block ×8, first 2 shown]
	s_waitcnt vmcnt(28) lgkmcnt(1)
	v_mul_f32_e32 v51, v46, v109
	v_fmac_f32_e32 v51, v47, v108
	buffer_load_dword v203, off, s[0:3], 0 offset:296
	buffer_load_dword v204, off, s[0:3], 0 offset:300
	v_add_f32_e32 v50, v50, v51
	s_waitcnt vmcnt(28)
	v_mul_f32_e32 v51, v48, v111
	v_fmac_f32_e32 v51, v49, v110
	v_add_f32_e32 v50, v50, v51
	s_waitcnt vmcnt(26) lgkmcnt(0)
	v_mul_f32_e32 v51, v42, v113
	buffer_load_dword v205, off, s[0:3], 0 offset:304
	buffer_load_dword v206, off, s[0:3], 0 offset:308
	v_fmac_f32_e32 v51, v43, v112
	v_add_f32_e32 v54, v50, v51
	ds_read_b128 v[50:53], v1 offset:720
	buffer_load_dword v207, off, s[0:3], 0 offset:312
	buffer_load_dword v208, off, s[0:3], 0 offset:316
	;; [unrolled: 1-line block ×4, first 2 shown]
	s_waitcnt vmcnt(30)
	v_mul_f32_e32 v55, v44, v166
	v_fmac_f32_e32 v55, v45, v164
	v_add_f32_e32 v58, v54, v55
	ds_read_b128 v[54:57], v1 offset:736
	buffer_load_dword v211, off, s[0:3], 0 offset:328
	buffer_load_dword v212, off, s[0:3], 0 offset:332
	;; [unrolled: 1-line block ×12, first 2 shown]
	s_waitcnt vmcnt(40) lgkmcnt(1)
	v_mul_f32_e32 v59, v50, v182
	buffer_load_dword v241, off, s[0:3], 0 offset:376
	buffer_load_dword v242, off, s[0:3], 0 offset:380
	v_fmac_f32_e32 v59, v51, v168
	v_add_f32_e32 v58, v58, v59
	s_waitcnt vmcnt(40)
	v_mul_f32_e32 v59, v52, v184
	buffer_load_dword v243, off, s[0:3], 0 offset:384
	buffer_load_dword v244, off, s[0:3], 0 offset:388
	v_fmac_f32_e32 v59, v53, v183
	v_add_f32_e32 v58, v58, v59
	v_mul_f32_e32 v23, v23, v74
	v_fma_f32 v74, v22, v90, -v23
	v_mul_f32_e32 v25, v25, v72
	v_add_f32_e32 v74, 0, v74
	v_fma_f32 v24, v24, v87, -v25
	v_mul_f32_e32 v19, v19, v73
	v_add_f32_e32 v24, v74, v24
	;; [unrolled: 3-line block ×3, first 2 shown]
	v_fma_f32 v19, v20, v88, -v19
	s_waitcnt vmcnt(40) lgkmcnt(0)
	v_mul_f32_e32 v59, v54, v186
	v_fmac_f32_e32 v59, v55, v185
	v_add_f32_e32 v62, v58, v59
	ds_read_b128 v[58:61], v1 offset:752
	buffer_load_dword v245, off, s[0:3], 0 offset:392
	buffer_load_dword v246, off, s[0:3], 0 offset:396
	s_waitcnt vmcnt(40)
	v_mul_f32_e32 v63, v56, v188
	v_fmac_f32_e32 v63, v57, v187
	v_add_f32_e32 v114, v62, v63
	ds_read_b128 v[62:65], v1 offset:768
	buffer_load_dword v247, off, s[0:3], 0 offset:400
	buffer_load_dword v248, off, s[0:3], 0 offset:404
	buffer_load_dword v249, off, s[0:3], 0 offset:408
	buffer_load_dword v250, off, s[0:3], 0 offset:412
	buffer_load_dword v251, off, s[0:3], 0 offset:416
	buffer_load_dword v252, off, s[0:3], 0 offset:420
	buffer_load_dword v253, off, s[0:3], 0 offset:424
	buffer_load_dword v254, off, s[0:3], 0 offset:428
	buffer_load_dword v255, off, s[0:3], 0 offset:432
	buffer_load_dword v220, off, s[0:3], 0 offset:436
	buffer_load_dword v221, off, s[0:3], 0 offset:440
	buffer_load_dword v222, off, s[0:3], 0 offset:444
	v_mul_f32_e32 v15, v15, v70
	v_add_f32_e32 v18, v18, v19
	v_fma_f32 v14, v14, v86, -v15
	s_waitcnt vmcnt(50) lgkmcnt(1)
	v_mul_f32_e32 v115, v58, v190
	v_fmac_f32_e32 v115, v59, v189
	v_add_f32_e32 v114, v114, v115
	v_mul_f32_e32 v15, v17, v68
	s_waitcnt vmcnt(48)
	v_mul_f32_e32 v115, v60, v192
	v_fmac_f32_e32 v115, v61, v191
	v_add_f32_e32 v114, v114, v115
	v_add_f32_e32 v14, v18, v14
	s_waitcnt vmcnt(46) lgkmcnt(0)
	v_mul_f32_e32 v115, v62, v194
	v_fmac_f32_e32 v115, v63, v193
	v_add_f32_e32 v118, v114, v115
	ds_read_b128 v[114:117], v1 offset:784
	v_fma_f32 v15, v16, v83, -v15
	v_mul_f32_e32 v11, v11, v69
	v_add_f32_e32 v14, v14, v15
	v_fma_f32 v10, v10, v81, -v11
	s_waitcnt vmcnt(44)
	v_mul_f32_e32 v119, v64, v196
	v_fmac_f32_e32 v119, v65, v195
	v_add_f32_e32 v122, v118, v119
	ds_read_b128 v[118:121], v1 offset:800
	s_waitcnt vmcnt(42) lgkmcnt(1)
	v_mul_f32_e32 v123, v114, v198
	v_fmac_f32_e32 v123, v115, v197
	v_add_f32_e32 v122, v122, v123
	s_waitcnt vmcnt(40)
	v_mul_f32_e32 v123, v116, v200
	v_fmac_f32_e32 v123, v117, v199
	v_add_f32_e32 v122, v122, v123
	s_waitcnt vmcnt(38) lgkmcnt(0)
	v_mul_f32_e32 v123, v118, v202
	v_fmac_f32_e32 v123, v119, v201
	v_add_f32_e32 v126, v122, v123
	ds_read_b128 v[122:125], v1 offset:816
	s_waitcnt vmcnt(36)
	v_mul_f32_e32 v127, v120, v204
	v_fmac_f32_e32 v127, v121, v203
	v_add_f32_e32 v130, v126, v127
	ds_read_b128 v[126:129], v1 offset:832
	s_waitcnt vmcnt(34) lgkmcnt(1)
	v_mul_f32_e32 v131, v122, v206
	v_fmac_f32_e32 v131, v123, v205
	v_add_f32_e32 v130, v130, v131
	s_waitcnt vmcnt(32)
	v_mul_f32_e32 v131, v124, v208
	v_fmac_f32_e32 v131, v125, v207
	v_add_f32_e32 v130, v130, v131
	s_waitcnt vmcnt(30) lgkmcnt(0)
	v_mul_f32_e32 v131, v126, v210
	v_fmac_f32_e32 v131, v127, v209
	v_add_f32_e32 v134, v130, v131
	ds_read_b128 v[130:133], v1 offset:848
	;; [unrolled: 18-line block ×4, first 2 shown]
	s_waitcnt vmcnt(12)
	v_mul_f32_e32 v151, v144, v246
	v_fmac_f32_e32 v151, v145, v245
	v_mul_f32_e32 v11, v13, v75
	v_add_f32_e32 v154, v150, v151
	ds_read_b128 v[150:153], v1 offset:928
	v_add_f32_e32 v10, v14, v10
	v_fma_f32 v11, v12, v85, -v11
	v_mul_f32_e32 v7, v7, v76
	s_waitcnt vmcnt(10) lgkmcnt(1)
	v_mul_f32_e32 v155, v146, v248
	v_add_f32_e32 v10, v10, v11
	v_fma_f32 v6, v6, v82, -v7
	v_mul_f32_e32 v7, v9, v77
	v_fmac_f32_e32 v155, v147, v247
	v_add_f32_e32 v6, v10, v6
	v_fma_f32 v7, v8, v80, -v7
	v_mul_f32_e32 v3, v3, v78
	v_add_f32_e32 v154, v154, v155
	s_waitcnt vmcnt(8)
	v_mul_f32_e32 v155, v148, v250
	v_add_f32_e32 v6, v6, v7
	v_fma_f32 v2, v2, v79, -v3
	v_mul_f32_e32 v3, v5, v97
	v_fmac_f32_e32 v155, v149, v249
	v_add_f32_e32 v2, v6, v2
	v_fma_f32 v3, v4, v96, -v3
	v_add_f32_e32 v154, v154, v155
	s_waitcnt vmcnt(6) lgkmcnt(0)
	v_mul_f32_e32 v155, v150, v252
	buffer_load_dword v163, off, s[0:3], 0 offset:452
	buffer_load_dword v162, off, s[0:3], 0 offset:448
	v_add_f32_e32 v2, v2, v3
	v_mul_f32_e32 v3, v31, v95
	v_fmac_f32_e32 v155, v151, v251
	s_waitcnt vmcnt(6)
	v_mul_f32_e32 v159, v152, v254
	v_fma_f32 v3, v30, v92, -v3
	v_add_f32_e32 v158, v154, v155
	v_fmac_f32_e32 v159, v153, v253
	v_add_f32_e32 v2, v2, v3
	v_mul_f32_e32 v3, v33, v94
	ds_read_b128 v[154:157], v1 offset:944
	v_add_f32_e32 v165, v158, v159
	ds_read_b128 v[158:161], v1 offset:960
	buffer_load_dword v171, off, s[0:3], 0 offset:484
	buffer_load_dword v170, off, s[0:3], 0 offset:480
	;; [unrolled: 1-line block ×8, first 2 shown]
	v_fma_f32 v3, v32, v91, -v3
	v_add_f32_e32 v2, v2, v3
	v_mul_f32_e32 v3, v27, v93
	v_fma_f32 v3, v26, v89, -v3
	v_add_f32_e32 v2, v2, v3
	v_mul_f32_e32 v3, v29, v105
	;; [unrolled: 3-line block ×6, first 2 shown]
	v_fma_f32 v3, v36, v106, -v3
	buffer_load_dword v23, off, s[0:3], 0 offset:508
	buffer_load_dword v22, off, s[0:3], 0 offset:504
	;; [unrolled: 1-line block ×6, first 2 shown]
	v_add_f32_e32 v2, v2, v3
	v_mul_f32_e32 v3, v47, v109
	v_fma_f32 v3, v46, v108, -v3
	v_add_f32_e32 v2, v2, v3
	v_mul_f32_e32 v3, v49, v111
	v_fma_f32 v3, v48, v110, -v3
	;; [unrolled: 3-line block ×32, first 2 shown]
	s_waitcnt vmcnt(15)
	v_mov_b32_e32 v16, v163
	s_waitcnt lgkmcnt(1)
	v_mul_f32_e32 v167, v154, v220
	v_add_f32_e32 v164, v2, v3
	v_mul_f32_e32 v2, v155, v220
	s_waitcnt lgkmcnt(0)
	v_pk_mul_f32 v[16:17], v[158:159], v[16:17] op_sel_hi:[1,0]
	v_fmac_f32_e32 v167, v155, v255
	v_mul_f32_e32 v169, v156, v222
	v_fma_f32 v166, v154, v255, -v2
	v_mul_f32_e32 v2, v157, v222
	s_waitcnt vmcnt(14)
	v_pk_fma_f32 v[18:19], v[158:159], v[162:163], v[16:17] op_sel:[0,0,1] op_sel_hi:[1,1,0] neg_lo:[0,0,1] neg_hi:[0,0,1]
	v_pk_fma_f32 v[16:17], v[158:159], v[162:163], v[16:17] op_sel:[0,0,1] op_sel_hi:[1,0,0]
	v_fmac_f32_e32 v169, v157, v221
	v_fma_f32 v168, v156, v221, -v2
	v_pk_add_f32 v[14:15], v[164:165], v[166:167]
	s_waitcnt vmcnt(7)
	v_mov_b32_e32 v16, v177
	ds_read_b128 v[2:5], v1 offset:976
	ds_read_b128 v[6:9], v1 offset:992
	;; [unrolled: 1-line block ×3, first 2 shown]
	v_pk_add_f32 v[14:15], v[14:15], v[168:169]
	v_mov_b32_e32 v19, v17
	v_pk_mul_f32 v[16:17], v[160:161], v[16:17] op_sel_hi:[1,0]
	v_pk_add_f32 v[14:15], v[14:15], v[18:19]
	s_waitcnt vmcnt(6)
	v_pk_fma_f32 v[18:19], v[160:161], v[176:177], v[16:17] op_sel:[0,0,1] op_sel_hi:[1,1,0] neg_lo:[0,0,1] neg_hi:[0,0,1]
	v_pk_fma_f32 v[16:17], v[160:161], v[176:177], v[16:17] op_sel:[0,0,1] op_sel_hi:[1,0,0]
	v_mov_b32_e32 v16, v175
	v_mov_b32_e32 v19, v17
	s_waitcnt lgkmcnt(2)
	v_pk_mul_f32 v[16:17], v[2:3], v[16:17] op_sel_hi:[1,0]
	v_pk_add_f32 v[14:15], v[14:15], v[18:19]
	v_pk_fma_f32 v[18:19], v[2:3], v[174:175], v[16:17] op_sel:[0,0,1] op_sel_hi:[1,1,0] neg_lo:[0,0,1] neg_hi:[0,0,1]
	v_pk_fma_f32 v[2:3], v[2:3], v[174:175], v[16:17] op_sel:[0,0,1] op_sel_hi:[1,0,0]
	v_mov_b32_e32 v19, v3
	v_pk_add_f32 v[2:3], v[14:15], v[18:19]
	v_mov_b32_e32 v14, v173
	v_pk_mul_f32 v[14:15], v[4:5], v[14:15] op_sel_hi:[1,0]
	v_pk_fma_f32 v[16:17], v[4:5], v[172:173], v[14:15] op_sel:[0,0,1] op_sel_hi:[1,1,0] neg_lo:[0,0,1] neg_hi:[0,0,1]
	v_pk_fma_f32 v[4:5], v[4:5], v[172:173], v[14:15] op_sel:[0,0,1] op_sel_hi:[1,0,0]
	v_mov_b32_e32 v4, v171
	v_mov_b32_e32 v17, v5
	s_waitcnt lgkmcnt(1)
	v_pk_mul_f32 v[4:5], v[6:7], v[4:5] op_sel_hi:[1,0]
	v_pk_fma_f32 v[14:15], v[6:7], v[170:171], v[4:5] op_sel:[0,0,1] op_sel_hi:[1,1,0] neg_lo:[0,0,1] neg_hi:[0,0,1]
	v_pk_fma_f32 v[4:5], v[6:7], v[170:171], v[4:5] op_sel:[0,0,1] op_sel_hi:[1,0,0]
	s_waitcnt vmcnt(1)
	v_mov_b32_e32 v4, v181
	v_mov_b32_e32 v15, v5
	v_pk_mul_f32 v[4:5], v[8:9], v[4:5] op_sel_hi:[1,0]
	s_waitcnt vmcnt(0)
	v_pk_fma_f32 v[6:7], v[8:9], v[180:181], v[4:5] op_sel:[0,0,1] op_sel_hi:[1,1,0] neg_lo:[0,0,1] neg_hi:[0,0,1]
	v_pk_fma_f32 v[4:5], v[8:9], v[180:181], v[4:5] op_sel:[0,0,1] op_sel_hi:[1,0,0]
	v_pk_add_f32 v[2:3], v[2:3], v[16:17]
	v_mov_b32_e32 v4, v179
	v_pk_add_f32 v[2:3], v[2:3], v[14:15]
	v_mov_b32_e32 v7, v5
	s_waitcnt lgkmcnt(0)
	v_pk_mul_f32 v[4:5], v[10:11], v[4:5] op_sel_hi:[1,0]
	v_pk_add_f32 v[2:3], v[2:3], v[6:7]
	v_pk_fma_f32 v[6:7], v[10:11], v[178:179], v[4:5] op_sel:[0,0,1] op_sel_hi:[1,1,0] neg_lo:[0,0,1] neg_hi:[0,0,1]
	v_pk_fma_f32 v[4:5], v[10:11], v[178:179], v[4:5] op_sel:[0,0,1] op_sel_hi:[1,0,0]
	v_mov_b32_e32 v4, v23
	v_mov_b32_e32 v7, v5
	v_pk_mul_f32 v[4:5], v[12:13], v[4:5] op_sel_hi:[1,0]
	v_pk_add_f32 v[2:3], v[2:3], v[6:7]
	v_pk_fma_f32 v[6:7], v[12:13], v[22:23], v[4:5] op_sel:[0,0,1] op_sel_hi:[1,1,0] neg_lo:[0,0,1] neg_hi:[0,0,1]
	v_pk_fma_f32 v[4:5], v[12:13], v[22:23], v[4:5] op_sel:[0,0,1] op_sel_hi:[1,0,0]
	v_mov_b32_e32 v7, v5
	v_pk_add_f32 v[2:3], v[2:3], v[6:7]
	v_pk_add_f32 v[2:3], v[66:67], v[2:3] neg_lo:[0,1] neg_hi:[0,1]
	buffer_store_dword v3, off, s[0:3], 0 offset:12
	buffer_store_dword v2, off, s[0:3], 0 offset:8
	s_and_saveexec_b64 s[4:5], vcc
	s_cbranch_execz .LBB127_397
; %bb.396:
	buffer_load_dword v0, off, s[0:3], 0
	buffer_load_dword v1, off, s[0:3], 0 offset:4
	v_mov_b32_e32 v2, 0
	buffer_store_dword v2, off, s[0:3], 0
	buffer_store_dword v2, off, s[0:3], 0 offset:4
	s_waitcnt vmcnt(2)
	ds_write_b64 v223, v[0:1]
.LBB127_397:
	s_or_b64 exec, exec, s[4:5]
	s_waitcnt lgkmcnt(0)
	; wave barrier
	s_waitcnt lgkmcnt(0)
	buffer_load_dword v73, off, s[0:3], 0 offset:12
	buffer_load_dword v72, off, s[0:3], 0 offset:20
	;; [unrolled: 1-line block ×38, first 2 shown]
	buffer_load_dword v64, off, s[0:3], 0
	buffer_load_dword v65, off, s[0:3], 0 offset:4
	buffer_load_dword v103, off, s[0:3], 0 offset:160
	;; [unrolled: 1-line block ×9, first 2 shown]
	v_mov_b32_e32 v66, 0
	ds_read2_b64 v[20:23], v66 offset0:65 offset1:66
	ds_read2_b64 v[16:19], v66 offset0:67 offset1:68
	;; [unrolled: 1-line block ×6, first 2 shown]
	buffer_load_dword v162, off, s[0:3], 0 offset:192
	buffer_load_dword v164, off, s[0:3], 0 offset:196
	;; [unrolled: 1-line block ×6, first 2 shown]
	s_and_b64 vcc, exec, s[16:17]
	s_waitcnt vmcnt(53) lgkmcnt(5)
	v_mul_f32_e32 v24, v20, v73
	s_waitcnt vmcnt(52)
	v_mul_f32_e32 v25, v22, v72
	s_waitcnt vmcnt(51) lgkmcnt(4)
	v_mul_f32_e32 v27, v18, v70
	s_waitcnt vmcnt(50) lgkmcnt(3)
	v_mul_f32_e32 v28, v12, v69
	s_waitcnt vmcnt(49)
	v_mul_f32_e32 v29, v14, v67
	s_waitcnt vmcnt(48)
	v_mul_f32_e32 v26, v16, v71
	s_waitcnt vmcnt(47) lgkmcnt(2)
	v_mul_f32_e32 v30, v8, v68
	s_waitcnt vmcnt(46)
	v_mul_f32_e32 v31, v10, v74
	s_waitcnt vmcnt(45) lgkmcnt(1)
	;; [unrolled: 4-line block ×3, first 2 shown]
	v_mul_f32_e32 v34, v0, v77
	s_waitcnt vmcnt(42)
	v_fmac_f32_e32 v26, v17, v83
	s_waitcnt vmcnt(41)
	v_fmac_f32_e32 v25, v23, v89
	;; [unrolled: 2-line block ×3, first 2 shown]
	v_add_f32_e32 v24, 0, v24
	v_add_f32_e32 v24, v24, v25
	;; [unrolled: 1-line block ×3, first 2 shown]
	s_waitcnt vmcnt(36)
	v_fmac_f32_e32 v27, v19, v86
	v_fmac_f32_e32 v28, v13, v85
	v_add_f32_e32 v24, v24, v27
	v_fmac_f32_e32 v29, v15, v82
	v_add_f32_e32 v24, v24, v28
	;; [unrolled: 2-line block ×3, first 2 shown]
	s_waitcnt vmcnt(32)
	v_fmac_f32_e32 v31, v11, v84
	v_add_f32_e32 v24, v24, v30
	v_fmac_f32_e32 v32, v5, v81
	v_add_f32_e32 v24, v24, v31
	;; [unrolled: 2-line block ×3, first 2 shown]
	v_add_f32_e32 v24, v24, v33
	v_fmac_f32_e32 v34, v1, v78
	v_add_f32_e32 v28, v24, v34
	ds_read2_b64 v[24:27], v66 offset0:77 offset1:78
	buffer_load_dword v180, off, s[0:3], 0 offset:216
	buffer_load_dword v181, off, s[0:3], 0 offset:220
	s_waitcnt vmcnt(29)
	v_mul_f32_e32 v29, v2, v96
	s_waitcnt vmcnt(28)
	v_fmac_f32_e32 v29, v3, v95
	v_add_f32_e32 v32, v28, v29
	ds_read2_b64 v[28:31], v66 offset0:79 offset1:80
	buffer_load_dword v182, off, s[0:3], 0 offset:224
	buffer_load_dword v183, off, s[0:3], 0 offset:228
	s_waitcnt vmcnt(29) lgkmcnt(1)
	v_mul_f32_e32 v33, v24, v94
	v_fmac_f32_e32 v33, v25, v92
	v_add_f32_e32 v32, v32, v33
	s_waitcnt vmcnt(28)
	v_mul_f32_e32 v33, v26, v93
	v_fmac_f32_e32 v33, v27, v90
	v_add_f32_e32 v32, v32, v33
	s_waitcnt lgkmcnt(0)
	v_mul_f32_e32 v33, v28, v88
	v_fmac_f32_e32 v33, v29, v87
	v_add_f32_e32 v36, v32, v33
	ds_read2_b64 v[32:35], v66 offset0:81 offset1:82
	s_waitcnt vmcnt(21)
	v_mul_f32_e32 v37, v30, v106
	s_waitcnt vmcnt(20)
	v_fmac_f32_e32 v37, v31, v105
	v_add_f32_e32 v40, v36, v37
	buffer_load_dword v184, off, s[0:3], 0 offset:232
	buffer_load_dword v185, off, s[0:3], 0 offset:236
	ds_read2_b64 v[36:39], v66 offset0:83 offset1:84
	s_waitcnt lgkmcnt(1)
	v_mul_f32_e32 v41, v32, v98
	v_fmac_f32_e32 v41, v33, v97
	v_add_f32_e32 v40, v40, v41
	v_mul_f32_e32 v41, v34, v100
	buffer_load_dword v186, off, s[0:3], 0 offset:240
	buffer_load_dword v187, off, s[0:3], 0 offset:244
	v_fmac_f32_e32 v41, v35, v99
	v_add_f32_e32 v40, v40, v41
	s_waitcnt lgkmcnt(0)
	v_mul_f32_e32 v41, v36, v102
	buffer_load_dword v188, off, s[0:3], 0 offset:248
	buffer_load_dword v189, off, s[0:3], 0 offset:252
	v_fmac_f32_e32 v41, v37, v101
	v_add_f32_e32 v40, v40, v41
	s_waitcnt vmcnt(22)
	v_mul_f32_e32 v41, v38, v104
	v_fmac_f32_e32 v41, v39, v103
	ds_read2_b64 v[44:47], v66 offset0:85 offset1:86
	v_add_f32_e32 v48, v40, v41
	ds_read2_b64 v[40:43], v66 offset0:87 offset1:88
	buffer_load_dword v190, off, s[0:3], 0 offset:256
	buffer_load_dword v191, off, s[0:3], 0 offset:260
	;; [unrolled: 1-line block ×6, first 2 shown]
	s_waitcnt vmcnt(26) lgkmcnt(1)
	v_mul_f32_e32 v49, v44, v108
	v_fmac_f32_e32 v49, v45, v107
	buffer_load_dword v196, off, s[0:3], 0 offset:280
	buffer_load_dword v197, off, s[0:3], 0 offset:284
	v_add_f32_e32 v48, v48, v49
	s_waitcnt vmcnt(26)
	v_mul_f32_e32 v49, v46, v110
	v_fmac_f32_e32 v49, v47, v109
	v_add_f32_e32 v48, v48, v49
	s_waitcnt vmcnt(24) lgkmcnt(0)
	v_mul_f32_e32 v49, v40, v112
	v_fmac_f32_e32 v49, v41, v111
	buffer_load_dword v198, off, s[0:3], 0 offset:288
	buffer_load_dword v199, off, s[0:3], 0 offset:292
	v_add_f32_e32 v48, v48, v49
	s_waitcnt vmcnt(24)
	v_mul_f32_e32 v49, v42, v164
	v_fmac_f32_e32 v49, v43, v162
	v_add_f32_e32 v56, v48, v49
	ds_read2_b64 v[48:51], v66 offset0:89 offset1:90
	buffer_load_dword v200, off, s[0:3], 0 offset:296
	buffer_load_dword v201, off, s[0:3], 0 offset:300
	ds_read2_b64 v[52:55], v66 offset0:91 offset1:92
	buffer_load_dword v202, off, s[0:3], 0 offset:304
	buffer_load_dword v203, off, s[0:3], 0 offset:308
	;; [unrolled: 1-line block ×12, first 2 shown]
	s_waitcnt vmcnt(36) lgkmcnt(1)
	v_mul_f32_e32 v57, v48, v177
	v_fmac_f32_e32 v57, v49, v176
	buffer_load_dword v214, off, s[0:3], 0 offset:352
	buffer_load_dword v215, off, s[0:3], 0 offset:356
	v_add_f32_e32 v56, v56, v57
	s_waitcnt vmcnt(36)
	v_mul_f32_e32 v57, v50, v179
	v_fmac_f32_e32 v57, v51, v178
	v_add_f32_e32 v56, v56, v57
	buffer_load_dword v216, off, s[0:3], 0 offset:360
	buffer_load_dword v217, off, s[0:3], 0 offset:364
	v_mul_f32_e32 v21, v21, v73
	v_fma_f32 v91, v20, v91, -v21
	v_mul_f32_e32 v20, v23, v72
	v_fma_f32 v89, v22, v89, -v20
	v_add_f32_e32 v91, 0, v91
	v_mul_f32_e32 v17, v17, v71
	v_add_f32_e32 v89, v91, v89
	v_fma_f32 v16, v16, v83, -v17
	v_mul_f32_e32 v17, v19, v70
	s_waitcnt vmcnt(36) lgkmcnt(0)
	v_mul_f32_e32 v57, v52, v181
	v_fmac_f32_e32 v57, v53, v180
	v_add_f32_e32 v60, v56, v57
	ds_read2_b64 v[56:59], v66 offset0:93 offset1:94
	buffer_load_dword v218, off, s[0:3], 0 offset:368
	buffer_load_dword v219, off, s[0:3], 0 offset:372
	buffer_load_dword v220, off, s[0:3], 0 offset:376
	buffer_load_dword v221, off, s[0:3], 0 offset:380
	s_waitcnt vmcnt(38)
	v_mul_f32_e32 v61, v54, v183
	v_fmac_f32_e32 v61, v55, v182
	v_add_f32_e32 v113, v60, v61
	ds_read2_b64 v[60:63], v66 offset0:95 offset1:96
	buffer_load_dword v222, off, s[0:3], 0 offset:384
	buffer_load_dword v223, off, s[0:3], 0 offset:388
	;; [unrolled: 1-line block ×16, first 2 shown]
	v_add_f32_e32 v16, v89, v16
	v_fma_f32 v17, v18, v86, -v17
	v_mul_f32_e32 v13, v13, v69
	s_waitcnt vmcnt(52) lgkmcnt(1)
	v_mul_f32_e32 v114, v56, v185
	v_fmac_f32_e32 v114, v57, v184
	v_add_f32_e32 v113, v113, v114
	v_add_f32_e32 v16, v16, v17
	v_fma_f32 v12, v12, v85, -v13
	v_mul_f32_e32 v13, v15, v67
	s_waitcnt vmcnt(50)
	v_mul_f32_e32 v114, v58, v187
	v_fmac_f32_e32 v114, v59, v186
	v_add_f32_e32 v113, v113, v114
	v_add_f32_e32 v12, v16, v12
	s_waitcnt vmcnt(48) lgkmcnt(0)
	v_mul_f32_e32 v114, v60, v189
	v_fmac_f32_e32 v114, v61, v188
	v_add_f32_e32 v113, v113, v114
	ds_read2_b64 v[114:117], v66 offset0:97 offset1:98
	v_fma_f32 v13, v14, v82, -v13
	v_mul_f32_e32 v9, v9, v68
	v_add_f32_e32 v12, v12, v13
	v_fma_f32 v8, v8, v80, -v9
	s_waitcnt vmcnt(46)
	v_mul_f32_e32 v118, v62, v191
	v_fmac_f32_e32 v118, v63, v190
	v_add_f32_e32 v113, v113, v118
	ds_read2_b64 v[118:121], v66 offset0:99 offset1:100
	s_waitcnt vmcnt(44) lgkmcnt(1)
	v_mul_f32_e32 v122, v114, v193
	v_fmac_f32_e32 v122, v115, v192
	v_add_f32_e32 v113, v113, v122
	s_waitcnt vmcnt(42)
	v_mul_f32_e32 v122, v116, v195
	v_fmac_f32_e32 v122, v117, v194
	v_add_f32_e32 v113, v113, v122
	s_waitcnt vmcnt(40) lgkmcnt(0)
	v_mul_f32_e32 v122, v118, v197
	v_fmac_f32_e32 v122, v119, v196
	v_add_f32_e32 v113, v113, v122
	ds_read2_b64 v[122:125], v66 offset0:101 offset1:102
	s_waitcnt vmcnt(38)
	v_mul_f32_e32 v126, v120, v199
	v_fmac_f32_e32 v126, v121, v198
	v_add_f32_e32 v113, v113, v126
	ds_read2_b64 v[126:129], v66 offset0:103 offset1:104
	s_waitcnt vmcnt(36) lgkmcnt(1)
	v_mul_f32_e32 v130, v122, v201
	v_fmac_f32_e32 v130, v123, v200
	v_add_f32_e32 v113, v113, v130
	s_waitcnt vmcnt(34)
	v_mul_f32_e32 v130, v124, v203
	v_fmac_f32_e32 v130, v125, v202
	v_add_f32_e32 v113, v113, v130
	s_waitcnt vmcnt(32) lgkmcnt(0)
	v_mul_f32_e32 v130, v126, v205
	v_fmac_f32_e32 v130, v127, v204
	v_add_f32_e32 v113, v113, v130
	ds_read2_b64 v[130:133], v66 offset0:105 offset1:106
	;; [unrolled: 18-line block ×4, first 2 shown]
	s_waitcnt vmcnt(14)
	v_mul_f32_e32 v150, v144, v223
	v_fmac_f32_e32 v150, v145, v222
	v_mul_f32_e32 v9, v11, v74
	v_add_f32_e32 v113, v113, v150
	ds_read2_b64 v[150:153], v66 offset0:115 offset1:116
	v_add_f32_e32 v8, v12, v8
	v_fma_f32 v9, v10, v84, -v9
	v_mul_f32_e32 v5, v5, v75
	s_waitcnt vmcnt(12) lgkmcnt(1)
	v_mul_f32_e32 v154, v146, v239
	v_add_f32_e32 v8, v8, v9
	v_fma_f32 v4, v4, v81, -v5
	v_mul_f32_e32 v5, v7, v76
	v_fmac_f32_e32 v154, v147, v238
	v_add_f32_e32 v4, v8, v4
	v_fma_f32 v5, v6, v79, -v5
	v_mul_f32_e32 v1, v1, v77
	v_add_f32_e32 v113, v113, v154
	s_waitcnt vmcnt(10)
	v_mul_f32_e32 v154, v148, v241
	v_add_f32_e32 v4, v4, v5
	v_fma_f32 v0, v0, v78, -v1
	v_mul_f32_e32 v1, v3, v96
	v_fmac_f32_e32 v154, v149, v240
	v_add_f32_e32 v0, v4, v0
	v_fma_f32 v1, v2, v95, -v1
	v_add_f32_e32 v113, v113, v154
	s_waitcnt vmcnt(8) lgkmcnt(0)
	v_mul_f32_e32 v154, v150, v243
	v_add_f32_e32 v0, v0, v1
	v_mul_f32_e32 v1, v25, v94
	v_fmac_f32_e32 v154, v151, v242
	s_waitcnt vmcnt(6)
	v_mul_f32_e32 v158, v152, v245
	v_fma_f32 v1, v24, v92, -v1
	v_add_f32_e32 v113, v113, v154
	v_fmac_f32_e32 v158, v153, v244
	v_add_f32_e32 v0, v0, v1
	v_mul_f32_e32 v1, v27, v93
	ds_read2_b64 v[154:157], v66 offset0:117 offset1:118
	v_add_f32_e32 v113, v113, v158
	ds_read2_b64 v[158:161], v66 offset0:119 offset1:120
	buffer_load_dword v167, off, s[0:3], 0 offset:476
	buffer_load_dword v166, off, s[0:3], 0 offset:472
	;; [unrolled: 1-line block ×8, first 2 shown]
	v_fma_f32 v1, v26, v90, -v1
	v_add_f32_e32 v0, v0, v1
	v_mul_f32_e32 v1, v29, v88
	v_fma_f32 v1, v28, v87, -v1
	v_add_f32_e32 v0, v0, v1
	v_mul_f32_e32 v1, v31, v106
	;; [unrolled: 3-line block ×6, first 2 shown]
	v_fma_f32 v1, v38, v103, -v1
	buffer_load_dword v21, off, s[0:3], 0 offset:508
	buffer_load_dword v20, off, s[0:3], 0 offset:504
	;; [unrolled: 1-line block ×8, first 2 shown]
	v_add_f32_e32 v0, v0, v1
	v_mul_f32_e32 v1, v45, v108
	v_fma_f32 v1, v44, v107, -v1
	v_add_f32_e32 v0, v0, v1
	v_mul_f32_e32 v1, v47, v110
	v_fma_f32 v1, v46, v109, -v1
	v_add_f32_e32 v0, v0, v1
	v_mul_f32_e32 v1, v41, v112
	v_fma_f32 v1, v40, v111, -v1
	v_add_f32_e32 v0, v0, v1
	v_mul_f32_e32 v1, v43, v164
	v_fma_f32 v1, v42, v162, -v1
	v_add_f32_e32 v0, v0, v1
	v_mul_f32_e32 v1, v49, v177
	v_fma_f32 v1, v48, v176, -v1
	v_add_f32_e32 v0, v0, v1
	v_mul_f32_e32 v1, v51, v179
	v_fma_f32 v1, v50, v178, -v1
	v_add_f32_e32 v0, v0, v1
	v_mul_f32_e32 v1, v53, v181
	v_fma_f32 v1, v52, v180, -v1
	v_add_f32_e32 v0, v0, v1
	v_mul_f32_e32 v1, v55, v183
	v_fma_f32 v1, v54, v182, -v1
	v_add_f32_e32 v0, v0, v1
	v_mul_f32_e32 v1, v57, v185
	v_fma_f32 v1, v56, v184, -v1
	v_add_f32_e32 v0, v0, v1
	v_mul_f32_e32 v1, v59, v187
	v_fma_f32 v1, v58, v186, -v1
	v_add_f32_e32 v0, v0, v1
	v_mul_f32_e32 v1, v61, v189
	v_fma_f32 v1, v60, v188, -v1
	v_add_f32_e32 v0, v0, v1
	v_mul_f32_e32 v1, v63, v191
	v_fma_f32 v1, v62, v190, -v1
	v_add_f32_e32 v0, v0, v1
	v_mul_f32_e32 v1, v115, v193
	v_fma_f32 v1, v114, v192, -v1
	v_add_f32_e32 v0, v0, v1
	v_mul_f32_e32 v1, v117, v195
	v_fma_f32 v1, v116, v194, -v1
	v_add_f32_e32 v0, v0, v1
	v_mul_f32_e32 v1, v119, v197
	v_fma_f32 v1, v118, v196, -v1
	v_add_f32_e32 v0, v0, v1
	v_mul_f32_e32 v1, v121, v199
	v_fma_f32 v1, v120, v198, -v1
	v_add_f32_e32 v0, v0, v1
	v_mul_f32_e32 v1, v123, v201
	v_fma_f32 v1, v122, v200, -v1
	v_add_f32_e32 v0, v0, v1
	v_mul_f32_e32 v1, v125, v203
	v_fma_f32 v1, v124, v202, -v1
	v_add_f32_e32 v0, v0, v1
	v_mul_f32_e32 v1, v127, v205
	v_fma_f32 v1, v126, v204, -v1
	v_add_f32_e32 v0, v0, v1
	v_mul_f32_e32 v1, v129, v207
	v_fma_f32 v1, v128, v206, -v1
	v_add_f32_e32 v0, v0, v1
	v_mul_f32_e32 v1, v131, v209
	v_fma_f32 v1, v130, v208, -v1
	v_add_f32_e32 v0, v0, v1
	v_mul_f32_e32 v1, v133, v211
	v_fma_f32 v1, v132, v210, -v1
	v_add_f32_e32 v0, v0, v1
	v_mul_f32_e32 v1, v135, v213
	v_fma_f32 v1, v134, v212, -v1
	v_add_f32_e32 v0, v0, v1
	v_mul_f32_e32 v1, v137, v215
	v_fma_f32 v1, v136, v214, -v1
	v_add_f32_e32 v0, v0, v1
	v_mul_f32_e32 v1, v139, v217
	v_fma_f32 v1, v138, v216, -v1
	v_add_f32_e32 v0, v0, v1
	v_mul_f32_e32 v1, v141, v219
	v_fma_f32 v1, v140, v218, -v1
	v_add_f32_e32 v0, v0, v1
	v_mul_f32_e32 v1, v143, v221
	v_fma_f32 v1, v142, v220, -v1
	v_add_f32_e32 v0, v0, v1
	v_mul_f32_e32 v1, v145, v223
	v_fma_f32 v1, v144, v222, -v1
	v_add_f32_e32 v0, v0, v1
	v_mul_f32_e32 v1, v147, v239
	v_fma_f32 v1, v146, v238, -v1
	v_add_f32_e32 v0, v0, v1
	v_mul_f32_e32 v1, v149, v241
	v_fma_f32 v1, v148, v240, -v1
	v_add_f32_e32 v0, v0, v1
	v_mul_f32_e32 v1, v151, v243
	v_fma_f32 v1, v150, v242, -v1
	v_add_f32_e32 v0, v0, v1
	v_mul_f32_e32 v1, v153, v245
	v_fma_f32 v1, v152, v244, -v1
	v_add_f32_e32 v0, v0, v1
	s_waitcnt vmcnt(20) lgkmcnt(1)
	v_mul_f32_e32 v1, v155, v247
	v_mul_f32_e32 v163, v154, v247
	v_fma_f32 v1, v154, v246, -v1
	v_fmac_f32_e32 v163, v155, v246
	v_add_f32_e32 v112, v0, v1
	s_waitcnt vmcnt(18)
	v_mul_f32_e32 v0, v157, v249
	s_waitcnt vmcnt(9)
	v_mov_b32_e32 v16, v173
	v_add_f32_e32 v113, v113, v163
	v_mul_f32_e32 v163, v156, v249
	v_fma_f32 v162, v156, v248, -v0
	s_waitcnt lgkmcnt(0)
	v_mul_f32_e32 v0, v159, v251
	v_pk_mul_f32 v[16:17], v[160:161], v[16:17] op_sel_hi:[1,0]
	v_fmac_f32_e32 v163, v157, v248
	v_mul_f32_e32 v165, v158, v251
	v_fma_f32 v164, v158, v250, -v0
	ds_read2_b64 v[0:3], v66 offset0:121 offset1:122
	ds_read2_b64 v[4:7], v66 offset0:123 offset1:124
	;; [unrolled: 1-line block ×3, first 2 shown]
	ds_read_b64 v[12:13], v66 offset:1016
	s_waitcnt vmcnt(8)
	v_pk_fma_f32 v[18:19], v[160:161], v[172:173], v[16:17] op_sel:[0,0,1] op_sel_hi:[1,1,0] neg_lo:[0,0,1] neg_hi:[0,0,1]
	v_pk_fma_f32 v[16:17], v[160:161], v[172:173], v[16:17] op_sel:[0,0,1] op_sel_hi:[1,0,0]
	v_fmac_f32_e32 v165, v159, v250
	v_pk_add_f32 v[14:15], v[112:113], v[162:163]
	v_mov_b32_e32 v16, v171
	v_pk_add_f32 v[14:15], v[14:15], v[164:165]
	v_mov_b32_e32 v19, v17
	s_waitcnt lgkmcnt(3)
	v_pk_mul_f32 v[16:17], v[0:1], v[16:17] op_sel_hi:[1,0]
	v_pk_add_f32 v[14:15], v[14:15], v[18:19]
	v_pk_fma_f32 v[18:19], v[0:1], v[170:171], v[16:17] op_sel:[0,0,1] op_sel_hi:[1,1,0] neg_lo:[0,0,1] neg_hi:[0,0,1]
	v_pk_fma_f32 v[0:1], v[0:1], v[170:171], v[16:17] op_sel:[0,0,1] op_sel_hi:[1,0,0]
	v_mov_b32_e32 v19, v1
	v_pk_add_f32 v[0:1], v[14:15], v[18:19]
	v_mov_b32_e32 v14, v169
	v_pk_mul_f32 v[14:15], v[2:3], v[14:15] op_sel_hi:[1,0]
	v_pk_fma_f32 v[16:17], v[2:3], v[168:169], v[14:15] op_sel:[0,0,1] op_sel_hi:[1,1,0] neg_lo:[0,0,1] neg_hi:[0,0,1]
	v_pk_fma_f32 v[2:3], v[2:3], v[168:169], v[14:15] op_sel:[0,0,1] op_sel_hi:[1,0,0]
	v_mov_b32_e32 v2, v167
	v_mov_b32_e32 v17, v3
	s_waitcnt lgkmcnt(2)
	v_pk_mul_f32 v[2:3], v[4:5], v[2:3] op_sel_hi:[1,0]
	v_pk_fma_f32 v[14:15], v[4:5], v[166:167], v[2:3] op_sel:[0,0,1] op_sel_hi:[1,1,0] neg_lo:[0,0,1] neg_hi:[0,0,1]
	v_pk_fma_f32 v[2:3], v[4:5], v[166:167], v[2:3] op_sel:[0,0,1] op_sel_hi:[1,0,0]
	s_waitcnt vmcnt(1)
	v_mov_b32_e32 v2, v175
	v_mov_b32_e32 v15, v3
	v_pk_mul_f32 v[2:3], v[6:7], v[2:3] op_sel_hi:[1,0]
	s_waitcnt vmcnt(0)
	v_pk_fma_f32 v[4:5], v[6:7], v[174:175], v[2:3] op_sel:[0,0,1] op_sel_hi:[1,1,0] neg_lo:[0,0,1] neg_hi:[0,0,1]
	v_pk_fma_f32 v[2:3], v[6:7], v[174:175], v[2:3] op_sel:[0,0,1] op_sel_hi:[1,0,0]
	v_pk_add_f32 v[0:1], v[0:1], v[16:17]
	v_mov_b32_e32 v2, v73
	v_pk_add_f32 v[0:1], v[0:1], v[14:15]
	v_mov_b32_e32 v5, v3
	s_waitcnt lgkmcnt(1)
	v_pk_mul_f32 v[2:3], v[8:9], v[2:3] op_sel_hi:[1,0]
	v_pk_add_f32 v[0:1], v[0:1], v[4:5]
	v_pk_fma_f32 v[4:5], v[8:9], v[72:73], v[2:3] op_sel:[0,0,1] op_sel_hi:[1,1,0] neg_lo:[0,0,1] neg_hi:[0,0,1]
	v_pk_fma_f32 v[2:3], v[8:9], v[72:73], v[2:3] op_sel:[0,0,1] op_sel_hi:[1,0,0]
	v_mov_b32_e32 v2, v23
	v_mov_b32_e32 v5, v3
	v_pk_mul_f32 v[2:3], v[10:11], v[2:3] op_sel_hi:[1,0]
	v_pk_add_f32 v[0:1], v[0:1], v[4:5]
	v_pk_fma_f32 v[4:5], v[10:11], v[22:23], v[2:3] op_sel:[0,0,1] op_sel_hi:[1,1,0] neg_lo:[0,0,1] neg_hi:[0,0,1]
	v_pk_fma_f32 v[2:3], v[10:11], v[22:23], v[2:3] op_sel:[0,0,1] op_sel_hi:[1,0,0]
	v_mov_b32_e32 v2, v21
	v_mov_b32_e32 v5, v3
	s_waitcnt lgkmcnt(0)
	v_pk_mul_f32 v[2:3], v[12:13], v[2:3] op_sel_hi:[1,0]
	v_pk_add_f32 v[0:1], v[0:1], v[4:5]
	v_pk_fma_f32 v[4:5], v[12:13], v[20:21], v[2:3] op_sel:[0,0,1] op_sel_hi:[1,1,0] neg_lo:[0,0,1] neg_hi:[0,0,1]
	v_pk_fma_f32 v[2:3], v[12:13], v[20:21], v[2:3] op_sel:[0,0,1] op_sel_hi:[1,0,0]
	v_mov_b32_e32 v5, v3
	v_pk_add_f32 v[0:1], v[0:1], v[4:5]
	v_pk_add_f32 v[0:1], v[64:65], v[0:1] neg_lo:[0,1] neg_hi:[0,1]
	buffer_store_dword v1, off, s[0:3], 0 offset:4
	buffer_store_dword v0, off, s[0:3], 0
	s_cbranch_vccz .LBB127_525
; %bb.398:
	v_pk_mov_b32 v[0:1], s[10:11], s[10:11] op_sel:[0,1]
	flat_load_dword v0, v[0:1] offset:248
	s_waitcnt vmcnt(0) lgkmcnt(0)
	v_add_u32_e32 v0, -1, v0
	v_cmp_ne_u32_e32 vcc, 62, v0
	s_and_saveexec_b64 s[4:5], vcc
	s_cbranch_execz .LBB127_400
; %bb.399:
	v_mov_b32_e32 v1, 0
	v_lshl_add_u32 v0, v0, 3, v1
	buffer_load_dword v1, v0, s[0:3], 0 offen
	buffer_load_dword v2, v0, s[0:3], 0 offen offset:4
	buffer_load_dword v3, off, s[0:3], 0 offset:500
	buffer_load_dword v4, off, s[0:3], 0 offset:496
	s_waitcnt vmcnt(3)
	buffer_store_dword v1, off, s[0:3], 0 offset:496
	s_waitcnt vmcnt(3)
	buffer_store_dword v2, off, s[0:3], 0 offset:500
	s_waitcnt vmcnt(3)
	buffer_store_dword v3, v0, s[0:3], 0 offen offset:4
	s_waitcnt vmcnt(3)
	buffer_store_dword v4, v0, s[0:3], 0 offen
.LBB127_400:
	s_or_b64 exec, exec, s[4:5]
	v_pk_mov_b32 v[0:1], s[10:11], s[10:11] op_sel:[0,1]
	flat_load_dword v0, v[0:1] offset:244
	s_waitcnt vmcnt(0) lgkmcnt(0)
	v_add_u32_e32 v0, -1, v0
	v_cmp_ne_u32_e32 vcc, 61, v0
	s_and_saveexec_b64 s[4:5], vcc
	s_cbranch_execz .LBB127_402
; %bb.401:
	v_mov_b32_e32 v1, 0
	v_lshl_add_u32 v0, v0, 3, v1
	buffer_load_dword v1, v0, s[0:3], 0 offen
	buffer_load_dword v2, v0, s[0:3], 0 offen offset:4
	buffer_load_dword v3, off, s[0:3], 0 offset:488
	buffer_load_dword v4, off, s[0:3], 0 offset:492
	s_waitcnt vmcnt(3)
	buffer_store_dword v1, off, s[0:3], 0 offset:488
	s_waitcnt vmcnt(3)
	buffer_store_dword v2, off, s[0:3], 0 offset:492
	s_waitcnt vmcnt(3)
	buffer_store_dword v3, v0, s[0:3], 0 offen
	s_waitcnt vmcnt(3)
	buffer_store_dword v4, v0, s[0:3], 0 offen offset:4
.LBB127_402:
	s_or_b64 exec, exec, s[4:5]
	v_pk_mov_b32 v[0:1], s[10:11], s[10:11] op_sel:[0,1]
	flat_load_dword v0, v[0:1] offset:240
	s_waitcnt vmcnt(0) lgkmcnt(0)
	v_add_u32_e32 v0, -1, v0
	v_cmp_ne_u32_e32 vcc, 60, v0
	s_and_saveexec_b64 s[4:5], vcc
	s_cbranch_execz .LBB127_404
; %bb.403:
	v_mov_b32_e32 v1, 0
	v_lshl_add_u32 v0, v0, 3, v1
	buffer_load_dword v1, v0, s[0:3], 0 offen
	buffer_load_dword v2, v0, s[0:3], 0 offen offset:4
	buffer_load_dword v3, off, s[0:3], 0 offset:484
	buffer_load_dword v4, off, s[0:3], 0 offset:480
	s_waitcnt vmcnt(3)
	buffer_store_dword v1, off, s[0:3], 0 offset:480
	s_waitcnt vmcnt(3)
	buffer_store_dword v2, off, s[0:3], 0 offset:484
	s_waitcnt vmcnt(3)
	buffer_store_dword v3, v0, s[0:3], 0 offen offset:4
	s_waitcnt vmcnt(3)
	buffer_store_dword v4, v0, s[0:3], 0 offen
.LBB127_404:
	s_or_b64 exec, exec, s[4:5]
	v_pk_mov_b32 v[0:1], s[10:11], s[10:11] op_sel:[0,1]
	flat_load_dword v0, v[0:1] offset:236
	s_waitcnt vmcnt(0) lgkmcnt(0)
	v_add_u32_e32 v0, -1, v0
	v_cmp_ne_u32_e32 vcc, 59, v0
	s_and_saveexec_b64 s[4:5], vcc
	s_cbranch_execz .LBB127_406
; %bb.405:
	v_mov_b32_e32 v1, 0
	v_lshl_add_u32 v0, v0, 3, v1
	buffer_load_dword v1, v0, s[0:3], 0 offen
	buffer_load_dword v2, v0, s[0:3], 0 offen offset:4
	buffer_load_dword v3, off, s[0:3], 0 offset:472
	buffer_load_dword v4, off, s[0:3], 0 offset:476
	s_waitcnt vmcnt(3)
	buffer_store_dword v1, off, s[0:3], 0 offset:472
	s_waitcnt vmcnt(3)
	buffer_store_dword v2, off, s[0:3], 0 offset:476
	s_waitcnt vmcnt(3)
	buffer_store_dword v3, v0, s[0:3], 0 offen
	s_waitcnt vmcnt(3)
	buffer_store_dword v4, v0, s[0:3], 0 offen offset:4
.LBB127_406:
	s_or_b64 exec, exec, s[4:5]
	;; [unrolled: 48-line block ×31, first 2 shown]
	v_pk_mov_b32 v[0:1], s[10:11], s[10:11] op_sel:[0,1]
	flat_load_dword v2, v[0:1]
	s_nop 0
	buffer_load_dword v0, off, s[0:3], 0
	buffer_load_dword v1, off, s[0:3], 0 offset:4
	s_waitcnt vmcnt(0) lgkmcnt(0)
	v_add_u32_e32 v2, -1, v2
	v_cmp_ne_u32_e32 vcc, 0, v2
	s_and_saveexec_b64 s[4:5], vcc
	s_cbranch_execz .LBB127_524
; %bb.523:
	v_mov_b32_e32 v3, 0
	v_lshl_add_u32 v2, v2, 3, v3
	buffer_load_dword v3, v2, s[0:3], 0 offen offset:4
	buffer_load_dword v4, v2, s[0:3], 0 offen
	s_waitcnt vmcnt(1)
	buffer_store_dword v3, off, s[0:3], 0 offset:4
	s_waitcnt vmcnt(1)
	buffer_store_dword v4, off, s[0:3], 0
	buffer_store_dword v1, v2, s[0:3], 0 offen offset:4
	buffer_store_dword v0, v2, s[0:3], 0 offen
	buffer_load_dword v0, off, s[0:3], 0
	s_nop 0
	buffer_load_dword v1, off, s[0:3], 0 offset:4
.LBB127_524:
	s_or_b64 exec, exec, s[4:5]
.LBB127_525:
	buffer_load_dword v2, off, s[0:3], 0 offset:8
	buffer_load_dword v3, off, s[0:3], 0 offset:12
	;; [unrolled: 1-line block ×126, first 2 shown]
	s_waitcnt vmcnt(62)
	global_store_dwordx2 v[228:229], v[0:1], off
	global_store_dwordx2 v[230:231], v[2:3], off
	v_accvgpr_read_b32 v0, a0
	v_accvgpr_read_b32 v1, a1
	global_store_dwordx2 v[0:1], v[4:5], off
	v_accvgpr_read_b32 v0, a2
	v_accvgpr_read_b32 v1, a3
	;; [unrolled: 3-line block ×32, first 2 shown]
	s_waitcnt vmcnt(62)
	global_store_dwordx2 v[0:1], v[66:67], off
	v_accvgpr_read_b32 v0, a64
	v_accvgpr_read_b32 v1, a65
	global_store_dwordx2 v[0:1], v[68:69], off
	v_accvgpr_read_b32 v0, a66
	v_accvgpr_read_b32 v1, a67
	;; [unrolled: 3-line block ×16, first 2 shown]
	s_waitcnt vmcnt(62)
	global_store_dwordx2 v[0:1], v[98:99], off
	v_accvgpr_read_b32 v0, a96
	v_accvgpr_read_b32 v1, a97
	global_store_dwordx2 v[0:1], v[100:101], off
	v_accvgpr_read_b32 v0, a98
	v_accvgpr_read_b32 v1, a99
	;; [unrolled: 3-line block ×8, first 2 shown]
	s_waitcnt vmcnt(62)
	global_store_dwordx2 v[0:1], v[114:115], off
	v_accvgpr_read_b32 v0, a112
	v_accvgpr_read_b32 v1, a113
	global_store_dwordx2 v[0:1], v[116:117], off
	global_store_dwordx2 v[224:225], v[118:119], off
	;; [unrolled: 1-line block ×3, first 2 shown]
	s_waitcnt vmcnt(62)
	global_store_dwordx2 v[232:233], v[122:123], off
	global_store_dwordx2 v[234:235], v[124:125], off
	s_waitcnt vmcnt(62)
	global_store_dwordx2 v[236:237], v[126:127], off
	s_endpgm
	.section	.rodata,"a",@progbits
	.p2align	6, 0x0
	.amdhsa_kernel _ZN9rocsolver6v33100L18getri_kernel_smallILi64E19rocblas_complex_numIfEPKPS3_EEvT1_iilPiilS8_bb
		.amdhsa_group_segment_fixed_size 1028
		.amdhsa_private_segment_fixed_size 528
		.amdhsa_kernarg_size 60
		.amdhsa_user_sgpr_count 8
		.amdhsa_user_sgpr_private_segment_buffer 1
		.amdhsa_user_sgpr_dispatch_ptr 0
		.amdhsa_user_sgpr_queue_ptr 0
		.amdhsa_user_sgpr_kernarg_segment_ptr 1
		.amdhsa_user_sgpr_dispatch_id 0
		.amdhsa_user_sgpr_flat_scratch_init 1
		.amdhsa_user_sgpr_kernarg_preload_length 0
		.amdhsa_user_sgpr_kernarg_preload_offset 0
		.amdhsa_user_sgpr_private_segment_size 0
		.amdhsa_uses_dynamic_stack 0
		.amdhsa_system_sgpr_private_segment_wavefront_offset 1
		.amdhsa_system_sgpr_workgroup_id_x 1
		.amdhsa_system_sgpr_workgroup_id_y 0
		.amdhsa_system_sgpr_workgroup_id_z 0
		.amdhsa_system_sgpr_workgroup_info 0
		.amdhsa_system_vgpr_workitem_id 0
		.amdhsa_next_free_vgpr 370
		.amdhsa_next_free_sgpr 22
		.amdhsa_accum_offset 256
		.amdhsa_reserve_vcc 1
		.amdhsa_reserve_flat_scratch 1
		.amdhsa_float_round_mode_32 0
		.amdhsa_float_round_mode_16_64 0
		.amdhsa_float_denorm_mode_32 3
		.amdhsa_float_denorm_mode_16_64 3
		.amdhsa_dx10_clamp 1
		.amdhsa_ieee_mode 1
		.amdhsa_fp16_overflow 0
		.amdhsa_tg_split 0
		.amdhsa_exception_fp_ieee_invalid_op 0
		.amdhsa_exception_fp_denorm_src 0
		.amdhsa_exception_fp_ieee_div_zero 0
		.amdhsa_exception_fp_ieee_overflow 0
		.amdhsa_exception_fp_ieee_underflow 0
		.amdhsa_exception_fp_ieee_inexact 0
		.amdhsa_exception_int_div_zero 0
	.end_amdhsa_kernel
	.section	.text._ZN9rocsolver6v33100L18getri_kernel_smallILi64E19rocblas_complex_numIfEPKPS3_EEvT1_iilPiilS8_bb,"axG",@progbits,_ZN9rocsolver6v33100L18getri_kernel_smallILi64E19rocblas_complex_numIfEPKPS3_EEvT1_iilPiilS8_bb,comdat
.Lfunc_end127:
	.size	_ZN9rocsolver6v33100L18getri_kernel_smallILi64E19rocblas_complex_numIfEPKPS3_EEvT1_iilPiilS8_bb, .Lfunc_end127-_ZN9rocsolver6v33100L18getri_kernel_smallILi64E19rocblas_complex_numIfEPKPS3_EEvT1_iilPiilS8_bb
                                        ; -- End function
	.section	.AMDGPU.csdata,"",@progbits
; Kernel info:
; codeLenInByte = 150368
; NumSgprs: 28
; NumVgprs: 256
; NumAgprs: 114
; TotalNumVgprs: 370
; ScratchSize: 528
; MemoryBound: 0
; FloatMode: 240
; IeeeMode: 1
; LDSByteSize: 1028 bytes/workgroup (compile time only)
; SGPRBlocks: 3
; VGPRBlocks: 46
; NumSGPRsForWavesPerEU: 28
; NumVGPRsForWavesPerEU: 370
; AccumOffset: 256
; Occupancy: 1
; WaveLimiterHint : 1
; COMPUTE_PGM_RSRC2:SCRATCH_EN: 1
; COMPUTE_PGM_RSRC2:USER_SGPR: 8
; COMPUTE_PGM_RSRC2:TRAP_HANDLER: 0
; COMPUTE_PGM_RSRC2:TGID_X_EN: 1
; COMPUTE_PGM_RSRC2:TGID_Y_EN: 0
; COMPUTE_PGM_RSRC2:TGID_Z_EN: 0
; COMPUTE_PGM_RSRC2:TIDIG_COMP_CNT: 0
; COMPUTE_PGM_RSRC3_GFX90A:ACCUM_OFFSET: 63
; COMPUTE_PGM_RSRC3_GFX90A:TG_SPLIT: 0
	.text
	.p2alignl 6, 3212836864
	.fill 256, 4, 3212836864
	.type	__hip_cuid_65b04daca2232d06,@object ; @__hip_cuid_65b04daca2232d06
	.section	.bss,"aw",@nobits
	.globl	__hip_cuid_65b04daca2232d06
__hip_cuid_65b04daca2232d06:
	.byte	0                               ; 0x0
	.size	__hip_cuid_65b04daca2232d06, 1

	.ident	"AMD clang version 19.0.0git (https://github.com/RadeonOpenCompute/llvm-project roc-6.4.0 25133 c7fe45cf4b819c5991fe208aaa96edf142730f1d)"
	.section	".note.GNU-stack","",@progbits
	.addrsig
	.addrsig_sym __hip_cuid_65b04daca2232d06
	.amdgpu_metadata
---
amdhsa.kernels:
  - .agpr_count:     0
    .args:
      - .address_space:  global
        .offset:         0
        .size:           8
        .value_kind:     global_buffer
      - .offset:         8
        .size:           4
        .value_kind:     by_value
      - .offset:         12
        .size:           4
        .value_kind:     by_value
      - .offset:         16
        .size:           8
        .value_kind:     by_value
      - .address_space:  global
        .offset:         24
        .size:           8
        .value_kind:     global_buffer
      - .offset:         32
        .size:           4
        .value_kind:     by_value
      - .offset:         40
        .size:           8
        .value_kind:     by_value
      - .address_space:  global
        .offset:         48
        .size:           8
        .value_kind:     global_buffer
      - .offset:         56
        .size:           1
        .value_kind:     by_value
      - .offset:         57
        .size:           1
        .value_kind:     by_value
    .group_segment_fixed_size: 4
    .kernarg_segment_align: 8
    .kernarg_segment_size: 60
    .language:       OpenCL C
    .language_version:
      - 2
      - 0
    .max_flat_workgroup_size: 64
    .name:           _ZN9rocsolver6v33100L18getri_kernel_smallILi1E19rocblas_complex_numIfEPS3_EEvT1_iilPiilS6_bb
    .private_segment_fixed_size: 0
    .sgpr_count:     18
    .sgpr_spill_count: 0
    .symbol:         _ZN9rocsolver6v33100L18getri_kernel_smallILi1E19rocblas_complex_numIfEPS3_EEvT1_iilPiilS6_bb.kd
    .uniform_work_group_size: 1
    .uses_dynamic_stack: false
    .vgpr_count:     7
    .vgpr_spill_count: 0
    .wavefront_size: 64
  - .agpr_count:     0
    .args:
      - .address_space:  global
        .offset:         0
        .size:           8
        .value_kind:     global_buffer
      - .offset:         8
        .size:           4
        .value_kind:     by_value
      - .offset:         12
        .size:           4
        .value_kind:     by_value
      - .offset:         16
        .size:           8
        .value_kind:     by_value
      - .address_space:  global
        .offset:         24
        .size:           8
        .value_kind:     global_buffer
      - .offset:         32
        .size:           4
        .value_kind:     by_value
      - .offset:         40
        .size:           8
        .value_kind:     by_value
      - .address_space:  global
        .offset:         48
        .size:           8
        .value_kind:     global_buffer
      - .offset:         56
        .size:           1
        .value_kind:     by_value
      - .offset:         57
        .size:           1
        .value_kind:     by_value
    .group_segment_fixed_size: 36
    .kernarg_segment_align: 8
    .kernarg_segment_size: 60
    .language:       OpenCL C
    .language_version:
      - 2
      - 0
    .max_flat_workgroup_size: 64
    .name:           _ZN9rocsolver6v33100L18getri_kernel_smallILi2E19rocblas_complex_numIfEPS3_EEvT1_iilPiilS6_bb
    .private_segment_fixed_size: 32
    .sgpr_count:     34
    .sgpr_spill_count: 0
    .symbol:         _ZN9rocsolver6v33100L18getri_kernel_smallILi2E19rocblas_complex_numIfEPS3_EEvT1_iilPiilS6_bb.kd
    .uniform_work_group_size: 1
    .uses_dynamic_stack: false
    .vgpr_count:     14
    .vgpr_spill_count: 0
    .wavefront_size: 64
  - .agpr_count:     0
    .args:
      - .address_space:  global
        .offset:         0
        .size:           8
        .value_kind:     global_buffer
      - .offset:         8
        .size:           4
        .value_kind:     by_value
      - .offset:         12
        .size:           4
        .value_kind:     by_value
      - .offset:         16
        .size:           8
        .value_kind:     by_value
      - .address_space:  global
        .offset:         24
        .size:           8
        .value_kind:     global_buffer
      - .offset:         32
        .size:           4
        .value_kind:     by_value
      - .offset:         40
        .size:           8
        .value_kind:     by_value
      - .address_space:  global
        .offset:         48
        .size:           8
        .value_kind:     global_buffer
      - .offset:         56
        .size:           1
        .value_kind:     by_value
      - .offset:         57
        .size:           1
        .value_kind:     by_value
    .group_segment_fixed_size: 56
    .kernarg_segment_align: 8
    .kernarg_segment_size: 60
    .language:       OpenCL C
    .language_version:
      - 2
      - 0
    .max_flat_workgroup_size: 64
    .name:           _ZN9rocsolver6v33100L18getri_kernel_smallILi3E19rocblas_complex_numIfEPS3_EEvT1_iilPiilS6_bb
    .private_segment_fixed_size: 32
    .sgpr_count:     29
    .sgpr_spill_count: 0
    .symbol:         _ZN9rocsolver6v33100L18getri_kernel_smallILi3E19rocblas_complex_numIfEPS3_EEvT1_iilPiilS6_bb.kd
    .uniform_work_group_size: 1
    .uses_dynamic_stack: false
    .vgpr_count:     22
    .vgpr_spill_count: 0
    .wavefront_size: 64
  - .agpr_count:     0
    .args:
      - .address_space:  global
        .offset:         0
        .size:           8
        .value_kind:     global_buffer
      - .offset:         8
        .size:           4
        .value_kind:     by_value
      - .offset:         12
        .size:           4
        .value_kind:     by_value
      - .offset:         16
        .size:           8
        .value_kind:     by_value
      - .address_space:  global
        .offset:         24
        .size:           8
        .value_kind:     global_buffer
      - .offset:         32
        .size:           4
        .value_kind:     by_value
      - .offset:         40
        .size:           8
        .value_kind:     by_value
      - .address_space:  global
        .offset:         48
        .size:           8
        .value_kind:     global_buffer
      - .offset:         56
        .size:           1
        .value_kind:     by_value
      - .offset:         57
        .size:           1
        .value_kind:     by_value
    .group_segment_fixed_size: 68
    .kernarg_segment_align: 8
    .kernarg_segment_size: 60
    .language:       OpenCL C
    .language_version:
      - 2
      - 0
    .max_flat_workgroup_size: 64
    .name:           _ZN9rocsolver6v33100L18getri_kernel_smallILi4E19rocblas_complex_numIfEPS3_EEvT1_iilPiilS6_bb
    .private_segment_fixed_size: 48
    .sgpr_count:     29
    .sgpr_spill_count: 0
    .symbol:         _ZN9rocsolver6v33100L18getri_kernel_smallILi4E19rocblas_complex_numIfEPS3_EEvT1_iilPiilS6_bb.kd
    .uniform_work_group_size: 1
    .uses_dynamic_stack: false
    .vgpr_count:     30
    .vgpr_spill_count: 0
    .wavefront_size: 64
  - .agpr_count:     0
    .args:
      - .address_space:  global
        .offset:         0
        .size:           8
        .value_kind:     global_buffer
      - .offset:         8
        .size:           4
        .value_kind:     by_value
      - .offset:         12
        .size:           4
        .value_kind:     by_value
      - .offset:         16
        .size:           8
        .value_kind:     by_value
      - .address_space:  global
        .offset:         24
        .size:           8
        .value_kind:     global_buffer
      - .offset:         32
        .size:           4
        .value_kind:     by_value
      - .offset:         40
        .size:           8
        .value_kind:     by_value
      - .address_space:  global
        .offset:         48
        .size:           8
        .value_kind:     global_buffer
      - .offset:         56
        .size:           1
        .value_kind:     by_value
      - .offset:         57
        .size:           1
        .value_kind:     by_value
    .group_segment_fixed_size: 88
    .kernarg_segment_align: 8
    .kernarg_segment_size: 60
    .language:       OpenCL C
    .language_version:
      - 2
      - 0
    .max_flat_workgroup_size: 64
    .name:           _ZN9rocsolver6v33100L18getri_kernel_smallILi5E19rocblas_complex_numIfEPS3_EEvT1_iilPiilS6_bb
    .private_segment_fixed_size: 48
    .sgpr_count:     29
    .sgpr_spill_count: 0
    .symbol:         _ZN9rocsolver6v33100L18getri_kernel_smallILi5E19rocblas_complex_numIfEPS3_EEvT1_iilPiilS6_bb.kd
    .uniform_work_group_size: 1
    .uses_dynamic_stack: false
    .vgpr_count:     38
    .vgpr_spill_count: 0
    .wavefront_size: 64
  - .agpr_count:     0
    .args:
      - .address_space:  global
        .offset:         0
        .size:           8
        .value_kind:     global_buffer
      - .offset:         8
        .size:           4
        .value_kind:     by_value
      - .offset:         12
        .size:           4
        .value_kind:     by_value
      - .offset:         16
        .size:           8
        .value_kind:     by_value
      - .address_space:  global
        .offset:         24
        .size:           8
        .value_kind:     global_buffer
      - .offset:         32
        .size:           4
        .value_kind:     by_value
      - .offset:         40
        .size:           8
        .value_kind:     by_value
      - .address_space:  global
        .offset:         48
        .size:           8
        .value_kind:     global_buffer
      - .offset:         56
        .size:           1
        .value_kind:     by_value
      - .offset:         57
        .size:           1
        .value_kind:     by_value
    .group_segment_fixed_size: 100
    .kernarg_segment_align: 8
    .kernarg_segment_size: 60
    .language:       OpenCL C
    .language_version:
      - 2
      - 0
    .max_flat_workgroup_size: 64
    .name:           _ZN9rocsolver6v33100L18getri_kernel_smallILi6E19rocblas_complex_numIfEPS3_EEvT1_iilPiilS6_bb
    .private_segment_fixed_size: 64
    .sgpr_count:     29
    .sgpr_spill_count: 0
    .symbol:         _ZN9rocsolver6v33100L18getri_kernel_smallILi6E19rocblas_complex_numIfEPS3_EEvT1_iilPiilS6_bb.kd
    .uniform_work_group_size: 1
    .uses_dynamic_stack: false
    .vgpr_count:     46
    .vgpr_spill_count: 0
    .wavefront_size: 64
  - .agpr_count:     0
    .args:
      - .address_space:  global
        .offset:         0
        .size:           8
        .value_kind:     global_buffer
      - .offset:         8
        .size:           4
        .value_kind:     by_value
      - .offset:         12
        .size:           4
        .value_kind:     by_value
      - .offset:         16
        .size:           8
        .value_kind:     by_value
      - .address_space:  global
        .offset:         24
        .size:           8
        .value_kind:     global_buffer
      - .offset:         32
        .size:           4
        .value_kind:     by_value
      - .offset:         40
        .size:           8
        .value_kind:     by_value
      - .address_space:  global
        .offset:         48
        .size:           8
        .value_kind:     global_buffer
      - .offset:         56
        .size:           1
        .value_kind:     by_value
      - .offset:         57
        .size:           1
        .value_kind:     by_value
    .group_segment_fixed_size: 120
    .kernarg_segment_align: 8
    .kernarg_segment_size: 60
    .language:       OpenCL C
    .language_version:
      - 2
      - 0
    .max_flat_workgroup_size: 64
    .name:           _ZN9rocsolver6v33100L18getri_kernel_smallILi7E19rocblas_complex_numIfEPS3_EEvT1_iilPiilS6_bb
    .private_segment_fixed_size: 64
    .sgpr_count:     29
    .sgpr_spill_count: 0
    .symbol:         _ZN9rocsolver6v33100L18getri_kernel_smallILi7E19rocblas_complex_numIfEPS3_EEvT1_iilPiilS6_bb.kd
    .uniform_work_group_size: 1
    .uses_dynamic_stack: false
    .vgpr_count:     54
    .vgpr_spill_count: 0
    .wavefront_size: 64
  - .agpr_count:     0
    .args:
      - .address_space:  global
        .offset:         0
        .size:           8
        .value_kind:     global_buffer
      - .offset:         8
        .size:           4
        .value_kind:     by_value
      - .offset:         12
        .size:           4
        .value_kind:     by_value
      - .offset:         16
        .size:           8
        .value_kind:     by_value
      - .address_space:  global
        .offset:         24
        .size:           8
        .value_kind:     global_buffer
      - .offset:         32
        .size:           4
        .value_kind:     by_value
      - .offset:         40
        .size:           8
        .value_kind:     by_value
      - .address_space:  global
        .offset:         48
        .size:           8
        .value_kind:     global_buffer
      - .offset:         56
        .size:           1
        .value_kind:     by_value
      - .offset:         57
        .size:           1
        .value_kind:     by_value
    .group_segment_fixed_size: 132
    .kernarg_segment_align: 8
    .kernarg_segment_size: 60
    .language:       OpenCL C
    .language_version:
      - 2
      - 0
    .max_flat_workgroup_size: 64
    .name:           _ZN9rocsolver6v33100L18getri_kernel_smallILi8E19rocblas_complex_numIfEPS3_EEvT1_iilPiilS6_bb
    .private_segment_fixed_size: 80
    .sgpr_count:     29
    .sgpr_spill_count: 0
    .symbol:         _ZN9rocsolver6v33100L18getri_kernel_smallILi8E19rocblas_complex_numIfEPS3_EEvT1_iilPiilS6_bb.kd
    .uniform_work_group_size: 1
    .uses_dynamic_stack: false
    .vgpr_count:     62
    .vgpr_spill_count: 0
    .wavefront_size: 64
  - .agpr_count:     0
    .args:
      - .address_space:  global
        .offset:         0
        .size:           8
        .value_kind:     global_buffer
      - .offset:         8
        .size:           4
        .value_kind:     by_value
      - .offset:         12
        .size:           4
        .value_kind:     by_value
      - .offset:         16
        .size:           8
        .value_kind:     by_value
      - .address_space:  global
        .offset:         24
        .size:           8
        .value_kind:     global_buffer
      - .offset:         32
        .size:           4
        .value_kind:     by_value
      - .offset:         40
        .size:           8
        .value_kind:     by_value
      - .address_space:  global
        .offset:         48
        .size:           8
        .value_kind:     global_buffer
      - .offset:         56
        .size:           1
        .value_kind:     by_value
      - .offset:         57
        .size:           1
        .value_kind:     by_value
    .group_segment_fixed_size: 152
    .kernarg_segment_align: 8
    .kernarg_segment_size: 60
    .language:       OpenCL C
    .language_version:
      - 2
      - 0
    .max_flat_workgroup_size: 64
    .name:           _ZN9rocsolver6v33100L18getri_kernel_smallILi9E19rocblas_complex_numIfEPS3_EEvT1_iilPiilS6_bb
    .private_segment_fixed_size: 80
    .sgpr_count:     29
    .sgpr_spill_count: 0
    .symbol:         _ZN9rocsolver6v33100L18getri_kernel_smallILi9E19rocblas_complex_numIfEPS3_EEvT1_iilPiilS6_bb.kd
    .uniform_work_group_size: 1
    .uses_dynamic_stack: false
    .vgpr_count:     60
    .vgpr_spill_count: 0
    .wavefront_size: 64
  - .agpr_count:     0
    .args:
      - .address_space:  global
        .offset:         0
        .size:           8
        .value_kind:     global_buffer
      - .offset:         8
        .size:           4
        .value_kind:     by_value
      - .offset:         12
        .size:           4
        .value_kind:     by_value
      - .offset:         16
        .size:           8
        .value_kind:     by_value
      - .address_space:  global
        .offset:         24
        .size:           8
        .value_kind:     global_buffer
      - .offset:         32
        .size:           4
        .value_kind:     by_value
      - .offset:         40
        .size:           8
        .value_kind:     by_value
      - .address_space:  global
        .offset:         48
        .size:           8
        .value_kind:     global_buffer
      - .offset:         56
        .size:           1
        .value_kind:     by_value
      - .offset:         57
        .size:           1
        .value_kind:     by_value
    .group_segment_fixed_size: 164
    .kernarg_segment_align: 8
    .kernarg_segment_size: 60
    .language:       OpenCL C
    .language_version:
      - 2
      - 0
    .max_flat_workgroup_size: 64
    .name:           _ZN9rocsolver6v33100L18getri_kernel_smallILi10E19rocblas_complex_numIfEPS3_EEvT1_iilPiilS6_bb
    .private_segment_fixed_size: 96
    .sgpr_count:     29
    .sgpr_spill_count: 0
    .symbol:         _ZN9rocsolver6v33100L18getri_kernel_smallILi10E19rocblas_complex_numIfEPS3_EEvT1_iilPiilS6_bb.kd
    .uniform_work_group_size: 1
    .uses_dynamic_stack: false
    .vgpr_count:     74
    .vgpr_spill_count: 0
    .wavefront_size: 64
  - .agpr_count:     0
    .args:
      - .address_space:  global
        .offset:         0
        .size:           8
        .value_kind:     global_buffer
      - .offset:         8
        .size:           4
        .value_kind:     by_value
      - .offset:         12
        .size:           4
        .value_kind:     by_value
      - .offset:         16
        .size:           8
        .value_kind:     by_value
      - .address_space:  global
        .offset:         24
        .size:           8
        .value_kind:     global_buffer
      - .offset:         32
        .size:           4
        .value_kind:     by_value
      - .offset:         40
        .size:           8
        .value_kind:     by_value
      - .address_space:  global
        .offset:         48
        .size:           8
        .value_kind:     global_buffer
      - .offset:         56
        .size:           1
        .value_kind:     by_value
      - .offset:         57
        .size:           1
        .value_kind:     by_value
    .group_segment_fixed_size: 184
    .kernarg_segment_align: 8
    .kernarg_segment_size: 60
    .language:       OpenCL C
    .language_version:
      - 2
      - 0
    .max_flat_workgroup_size: 64
    .name:           _ZN9rocsolver6v33100L18getri_kernel_smallILi11E19rocblas_complex_numIfEPS3_EEvT1_iilPiilS6_bb
    .private_segment_fixed_size: 96
    .sgpr_count:     29
    .sgpr_spill_count: 0
    .symbol:         _ZN9rocsolver6v33100L18getri_kernel_smallILi11E19rocblas_complex_numIfEPS3_EEvT1_iilPiilS6_bb.kd
    .uniform_work_group_size: 1
    .uses_dynamic_stack: false
    .vgpr_count:     80
    .vgpr_spill_count: 0
    .wavefront_size: 64
  - .agpr_count:     0
    .args:
      - .address_space:  global
        .offset:         0
        .size:           8
        .value_kind:     global_buffer
      - .offset:         8
        .size:           4
        .value_kind:     by_value
      - .offset:         12
        .size:           4
        .value_kind:     by_value
      - .offset:         16
        .size:           8
        .value_kind:     by_value
      - .address_space:  global
        .offset:         24
        .size:           8
        .value_kind:     global_buffer
      - .offset:         32
        .size:           4
        .value_kind:     by_value
      - .offset:         40
        .size:           8
        .value_kind:     by_value
      - .address_space:  global
        .offset:         48
        .size:           8
        .value_kind:     global_buffer
      - .offset:         56
        .size:           1
        .value_kind:     by_value
      - .offset:         57
        .size:           1
        .value_kind:     by_value
    .group_segment_fixed_size: 196
    .kernarg_segment_align: 8
    .kernarg_segment_size: 60
    .language:       OpenCL C
    .language_version:
      - 2
      - 0
    .max_flat_workgroup_size: 64
    .name:           _ZN9rocsolver6v33100L18getri_kernel_smallILi12E19rocblas_complex_numIfEPS3_EEvT1_iilPiilS6_bb
    .private_segment_fixed_size: 112
    .sgpr_count:     29
    .sgpr_spill_count: 0
    .symbol:         _ZN9rocsolver6v33100L18getri_kernel_smallILi12E19rocblas_complex_numIfEPS3_EEvT1_iilPiilS6_bb.kd
    .uniform_work_group_size: 1
    .uses_dynamic_stack: false
    .vgpr_count:     84
    .vgpr_spill_count: 0
    .wavefront_size: 64
  - .agpr_count:     0
    .args:
      - .address_space:  global
        .offset:         0
        .size:           8
        .value_kind:     global_buffer
      - .offset:         8
        .size:           4
        .value_kind:     by_value
      - .offset:         12
        .size:           4
        .value_kind:     by_value
      - .offset:         16
        .size:           8
        .value_kind:     by_value
      - .address_space:  global
        .offset:         24
        .size:           8
        .value_kind:     global_buffer
      - .offset:         32
        .size:           4
        .value_kind:     by_value
      - .offset:         40
        .size:           8
        .value_kind:     by_value
      - .address_space:  global
        .offset:         48
        .size:           8
        .value_kind:     global_buffer
      - .offset:         56
        .size:           1
        .value_kind:     by_value
      - .offset:         57
        .size:           1
        .value_kind:     by_value
    .group_segment_fixed_size: 216
    .kernarg_segment_align: 8
    .kernarg_segment_size: 60
    .language:       OpenCL C
    .language_version:
      - 2
      - 0
    .max_flat_workgroup_size: 64
    .name:           _ZN9rocsolver6v33100L18getri_kernel_smallILi13E19rocblas_complex_numIfEPS3_EEvT1_iilPiilS6_bb
    .private_segment_fixed_size: 112
    .sgpr_count:     29
    .sgpr_spill_count: 0
    .symbol:         _ZN9rocsolver6v33100L18getri_kernel_smallILi13E19rocblas_complex_numIfEPS3_EEvT1_iilPiilS6_bb.kd
    .uniform_work_group_size: 1
    .uses_dynamic_stack: false
    .vgpr_count:     90
    .vgpr_spill_count: 0
    .wavefront_size: 64
  - .agpr_count:     0
    .args:
      - .address_space:  global
        .offset:         0
        .size:           8
        .value_kind:     global_buffer
      - .offset:         8
        .size:           4
        .value_kind:     by_value
      - .offset:         12
        .size:           4
        .value_kind:     by_value
      - .offset:         16
        .size:           8
        .value_kind:     by_value
      - .address_space:  global
        .offset:         24
        .size:           8
        .value_kind:     global_buffer
      - .offset:         32
        .size:           4
        .value_kind:     by_value
      - .offset:         40
        .size:           8
        .value_kind:     by_value
      - .address_space:  global
        .offset:         48
        .size:           8
        .value_kind:     global_buffer
      - .offset:         56
        .size:           1
        .value_kind:     by_value
      - .offset:         57
        .size:           1
        .value_kind:     by_value
    .group_segment_fixed_size: 228
    .kernarg_segment_align: 8
    .kernarg_segment_size: 60
    .language:       OpenCL C
    .language_version:
      - 2
      - 0
    .max_flat_workgroup_size: 64
    .name:           _ZN9rocsolver6v33100L18getri_kernel_smallILi14E19rocblas_complex_numIfEPS3_EEvT1_iilPiilS6_bb
    .private_segment_fixed_size: 128
    .sgpr_count:     29
    .sgpr_spill_count: 0
    .symbol:         _ZN9rocsolver6v33100L18getri_kernel_smallILi14E19rocblas_complex_numIfEPS3_EEvT1_iilPiilS6_bb.kd
    .uniform_work_group_size: 1
    .uses_dynamic_stack: false
    .vgpr_count:     92
    .vgpr_spill_count: 0
    .wavefront_size: 64
  - .agpr_count:     0
    .args:
      - .address_space:  global
        .offset:         0
        .size:           8
        .value_kind:     global_buffer
      - .offset:         8
        .size:           4
        .value_kind:     by_value
      - .offset:         12
        .size:           4
        .value_kind:     by_value
      - .offset:         16
        .size:           8
        .value_kind:     by_value
      - .address_space:  global
        .offset:         24
        .size:           8
        .value_kind:     global_buffer
      - .offset:         32
        .size:           4
        .value_kind:     by_value
      - .offset:         40
        .size:           8
        .value_kind:     by_value
      - .address_space:  global
        .offset:         48
        .size:           8
        .value_kind:     global_buffer
      - .offset:         56
        .size:           1
        .value_kind:     by_value
      - .offset:         57
        .size:           1
        .value_kind:     by_value
    .group_segment_fixed_size: 248
    .kernarg_segment_align: 8
    .kernarg_segment_size: 60
    .language:       OpenCL C
    .language_version:
      - 2
      - 0
    .max_flat_workgroup_size: 64
    .name:           _ZN9rocsolver6v33100L18getri_kernel_smallILi15E19rocblas_complex_numIfEPS3_EEvT1_iilPiilS6_bb
    .private_segment_fixed_size: 128
    .sgpr_count:     29
    .sgpr_spill_count: 0
    .symbol:         _ZN9rocsolver6v33100L18getri_kernel_smallILi15E19rocblas_complex_numIfEPS3_EEvT1_iilPiilS6_bb.kd
    .uniform_work_group_size: 1
    .uses_dynamic_stack: false
    .vgpr_count:     97
    .vgpr_spill_count: 0
    .wavefront_size: 64
  - .agpr_count:     0
    .args:
      - .address_space:  global
        .offset:         0
        .size:           8
        .value_kind:     global_buffer
      - .offset:         8
        .size:           4
        .value_kind:     by_value
      - .offset:         12
        .size:           4
        .value_kind:     by_value
      - .offset:         16
        .size:           8
        .value_kind:     by_value
      - .address_space:  global
        .offset:         24
        .size:           8
        .value_kind:     global_buffer
      - .offset:         32
        .size:           4
        .value_kind:     by_value
      - .offset:         40
        .size:           8
        .value_kind:     by_value
      - .address_space:  global
        .offset:         48
        .size:           8
        .value_kind:     global_buffer
      - .offset:         56
        .size:           1
        .value_kind:     by_value
      - .offset:         57
        .size:           1
        .value_kind:     by_value
    .group_segment_fixed_size: 260
    .kernarg_segment_align: 8
    .kernarg_segment_size: 60
    .language:       OpenCL C
    .language_version:
      - 2
      - 0
    .max_flat_workgroup_size: 64
    .name:           _ZN9rocsolver6v33100L18getri_kernel_smallILi16E19rocblas_complex_numIfEPS3_EEvT1_iilPiilS6_bb
    .private_segment_fixed_size: 144
    .sgpr_count:     29
    .sgpr_spill_count: 0
    .symbol:         _ZN9rocsolver6v33100L18getri_kernel_smallILi16E19rocblas_complex_numIfEPS3_EEvT1_iilPiilS6_bb.kd
    .uniform_work_group_size: 1
    .uses_dynamic_stack: false
    .vgpr_count:     103
    .vgpr_spill_count: 0
    .wavefront_size: 64
  - .agpr_count:     0
    .args:
      - .address_space:  global
        .offset:         0
        .size:           8
        .value_kind:     global_buffer
      - .offset:         8
        .size:           4
        .value_kind:     by_value
      - .offset:         12
        .size:           4
        .value_kind:     by_value
      - .offset:         16
        .size:           8
        .value_kind:     by_value
      - .address_space:  global
        .offset:         24
        .size:           8
        .value_kind:     global_buffer
      - .offset:         32
        .size:           4
        .value_kind:     by_value
      - .offset:         40
        .size:           8
        .value_kind:     by_value
      - .address_space:  global
        .offset:         48
        .size:           8
        .value_kind:     global_buffer
      - .offset:         56
        .size:           1
        .value_kind:     by_value
      - .offset:         57
        .size:           1
        .value_kind:     by_value
    .group_segment_fixed_size: 280
    .kernarg_segment_align: 8
    .kernarg_segment_size: 60
    .language:       OpenCL C
    .language_version:
      - 2
      - 0
    .max_flat_workgroup_size: 64
    .name:           _ZN9rocsolver6v33100L18getri_kernel_smallILi17E19rocblas_complex_numIfEPS3_EEvT1_iilPiilS6_bb
    .private_segment_fixed_size: 144
    .sgpr_count:     29
    .sgpr_spill_count: 0
    .symbol:         _ZN9rocsolver6v33100L18getri_kernel_smallILi17E19rocblas_complex_numIfEPS3_EEvT1_iilPiilS6_bb.kd
    .uniform_work_group_size: 1
    .uses_dynamic_stack: false
    .vgpr_count:     109
    .vgpr_spill_count: 0
    .wavefront_size: 64
  - .agpr_count:     0
    .args:
      - .address_space:  global
        .offset:         0
        .size:           8
        .value_kind:     global_buffer
      - .offset:         8
        .size:           4
        .value_kind:     by_value
      - .offset:         12
        .size:           4
        .value_kind:     by_value
      - .offset:         16
        .size:           8
        .value_kind:     by_value
      - .address_space:  global
        .offset:         24
        .size:           8
        .value_kind:     global_buffer
      - .offset:         32
        .size:           4
        .value_kind:     by_value
      - .offset:         40
        .size:           8
        .value_kind:     by_value
      - .address_space:  global
        .offset:         48
        .size:           8
        .value_kind:     global_buffer
      - .offset:         56
        .size:           1
        .value_kind:     by_value
      - .offset:         57
        .size:           1
        .value_kind:     by_value
    .group_segment_fixed_size: 292
    .kernarg_segment_align: 8
    .kernarg_segment_size: 60
    .language:       OpenCL C
    .language_version:
      - 2
      - 0
    .max_flat_workgroup_size: 64
    .name:           _ZN9rocsolver6v33100L18getri_kernel_smallILi18E19rocblas_complex_numIfEPS3_EEvT1_iilPiilS6_bb
    .private_segment_fixed_size: 160
    .sgpr_count:     29
    .sgpr_spill_count: 0
    .symbol:         _ZN9rocsolver6v33100L18getri_kernel_smallILi18E19rocblas_complex_numIfEPS3_EEvT1_iilPiilS6_bb.kd
    .uniform_work_group_size: 1
    .uses_dynamic_stack: false
    .vgpr_count:     113
    .vgpr_spill_count: 0
    .wavefront_size: 64
  - .agpr_count:     0
    .args:
      - .address_space:  global
        .offset:         0
        .size:           8
        .value_kind:     global_buffer
      - .offset:         8
        .size:           4
        .value_kind:     by_value
      - .offset:         12
        .size:           4
        .value_kind:     by_value
      - .offset:         16
        .size:           8
        .value_kind:     by_value
      - .address_space:  global
        .offset:         24
        .size:           8
        .value_kind:     global_buffer
      - .offset:         32
        .size:           4
        .value_kind:     by_value
      - .offset:         40
        .size:           8
        .value_kind:     by_value
      - .address_space:  global
        .offset:         48
        .size:           8
        .value_kind:     global_buffer
      - .offset:         56
        .size:           1
        .value_kind:     by_value
      - .offset:         57
        .size:           1
        .value_kind:     by_value
    .group_segment_fixed_size: 312
    .kernarg_segment_align: 8
    .kernarg_segment_size: 60
    .language:       OpenCL C
    .language_version:
      - 2
      - 0
    .max_flat_workgroup_size: 64
    .name:           _ZN9rocsolver6v33100L18getri_kernel_smallILi19E19rocblas_complex_numIfEPS3_EEvT1_iilPiilS6_bb
    .private_segment_fixed_size: 160
    .sgpr_count:     29
    .sgpr_spill_count: 0
    .symbol:         _ZN9rocsolver6v33100L18getri_kernel_smallILi19E19rocblas_complex_numIfEPS3_EEvT1_iilPiilS6_bb.kd
    .uniform_work_group_size: 1
    .uses_dynamic_stack: false
    .vgpr_count:     115
    .vgpr_spill_count: 0
    .wavefront_size: 64
  - .agpr_count:     0
    .args:
      - .address_space:  global
        .offset:         0
        .size:           8
        .value_kind:     global_buffer
      - .offset:         8
        .size:           4
        .value_kind:     by_value
      - .offset:         12
        .size:           4
        .value_kind:     by_value
      - .offset:         16
        .size:           8
        .value_kind:     by_value
      - .address_space:  global
        .offset:         24
        .size:           8
        .value_kind:     global_buffer
      - .offset:         32
        .size:           4
        .value_kind:     by_value
      - .offset:         40
        .size:           8
        .value_kind:     by_value
      - .address_space:  global
        .offset:         48
        .size:           8
        .value_kind:     global_buffer
      - .offset:         56
        .size:           1
        .value_kind:     by_value
      - .offset:         57
        .size:           1
        .value_kind:     by_value
    .group_segment_fixed_size: 324
    .kernarg_segment_align: 8
    .kernarg_segment_size: 60
    .language:       OpenCL C
    .language_version:
      - 2
      - 0
    .max_flat_workgroup_size: 64
    .name:           _ZN9rocsolver6v33100L18getri_kernel_smallILi20E19rocblas_complex_numIfEPS3_EEvT1_iilPiilS6_bb
    .private_segment_fixed_size: 176
    .sgpr_count:     29
    .sgpr_spill_count: 0
    .symbol:         _ZN9rocsolver6v33100L18getri_kernel_smallILi20E19rocblas_complex_numIfEPS3_EEvT1_iilPiilS6_bb.kd
    .uniform_work_group_size: 1
    .uses_dynamic_stack: false
    .vgpr_count:     117
    .vgpr_spill_count: 0
    .wavefront_size: 64
  - .agpr_count:     0
    .args:
      - .address_space:  global
        .offset:         0
        .size:           8
        .value_kind:     global_buffer
      - .offset:         8
        .size:           4
        .value_kind:     by_value
      - .offset:         12
        .size:           4
        .value_kind:     by_value
      - .offset:         16
        .size:           8
        .value_kind:     by_value
      - .address_space:  global
        .offset:         24
        .size:           8
        .value_kind:     global_buffer
      - .offset:         32
        .size:           4
        .value_kind:     by_value
      - .offset:         40
        .size:           8
        .value_kind:     by_value
      - .address_space:  global
        .offset:         48
        .size:           8
        .value_kind:     global_buffer
      - .offset:         56
        .size:           1
        .value_kind:     by_value
      - .offset:         57
        .size:           1
        .value_kind:     by_value
    .group_segment_fixed_size: 344
    .kernarg_segment_align: 8
    .kernarg_segment_size: 60
    .language:       OpenCL C
    .language_version:
      - 2
      - 0
    .max_flat_workgroup_size: 64
    .name:           _ZN9rocsolver6v33100L18getri_kernel_smallILi21E19rocblas_complex_numIfEPS3_EEvT1_iilPiilS6_bb
    .private_segment_fixed_size: 176
    .sgpr_count:     29
    .sgpr_spill_count: 0
    .symbol:         _ZN9rocsolver6v33100L18getri_kernel_smallILi21E19rocblas_complex_numIfEPS3_EEvT1_iilPiilS6_bb.kd
    .uniform_work_group_size: 1
    .uses_dynamic_stack: false
    .vgpr_count:     121
    .vgpr_spill_count: 0
    .wavefront_size: 64
  - .agpr_count:     0
    .args:
      - .address_space:  global
        .offset:         0
        .size:           8
        .value_kind:     global_buffer
      - .offset:         8
        .size:           4
        .value_kind:     by_value
      - .offset:         12
        .size:           4
        .value_kind:     by_value
      - .offset:         16
        .size:           8
        .value_kind:     by_value
      - .address_space:  global
        .offset:         24
        .size:           8
        .value_kind:     global_buffer
      - .offset:         32
        .size:           4
        .value_kind:     by_value
      - .offset:         40
        .size:           8
        .value_kind:     by_value
      - .address_space:  global
        .offset:         48
        .size:           8
        .value_kind:     global_buffer
      - .offset:         56
        .size:           1
        .value_kind:     by_value
      - .offset:         57
        .size:           1
        .value_kind:     by_value
    .group_segment_fixed_size: 356
    .kernarg_segment_align: 8
    .kernarg_segment_size: 60
    .language:       OpenCL C
    .language_version:
      - 2
      - 0
    .max_flat_workgroup_size: 64
    .name:           _ZN9rocsolver6v33100L18getri_kernel_smallILi22E19rocblas_complex_numIfEPS3_EEvT1_iilPiilS6_bb
    .private_segment_fixed_size: 192
    .sgpr_count:     29
    .sgpr_spill_count: 0
    .symbol:         _ZN9rocsolver6v33100L18getri_kernel_smallILi22E19rocblas_complex_numIfEPS3_EEvT1_iilPiilS6_bb.kd
    .uniform_work_group_size: 1
    .uses_dynamic_stack: false
    .vgpr_count:     125
    .vgpr_spill_count: 0
    .wavefront_size: 64
  - .agpr_count:     0
    .args:
      - .address_space:  global
        .offset:         0
        .size:           8
        .value_kind:     global_buffer
      - .offset:         8
        .size:           4
        .value_kind:     by_value
      - .offset:         12
        .size:           4
        .value_kind:     by_value
      - .offset:         16
        .size:           8
        .value_kind:     by_value
      - .address_space:  global
        .offset:         24
        .size:           8
        .value_kind:     global_buffer
      - .offset:         32
        .size:           4
        .value_kind:     by_value
      - .offset:         40
        .size:           8
        .value_kind:     by_value
      - .address_space:  global
        .offset:         48
        .size:           8
        .value_kind:     global_buffer
      - .offset:         56
        .size:           1
        .value_kind:     by_value
      - .offset:         57
        .size:           1
        .value_kind:     by_value
    .group_segment_fixed_size: 376
    .kernarg_segment_align: 8
    .kernarg_segment_size: 60
    .language:       OpenCL C
    .language_version:
      - 2
      - 0
    .max_flat_workgroup_size: 64
    .name:           _ZN9rocsolver6v33100L18getri_kernel_smallILi23E19rocblas_complex_numIfEPS3_EEvT1_iilPiilS6_bb
    .private_segment_fixed_size: 192
    .sgpr_count:     29
    .sgpr_spill_count: 0
    .symbol:         _ZN9rocsolver6v33100L18getri_kernel_smallILi23E19rocblas_complex_numIfEPS3_EEvT1_iilPiilS6_bb.kd
    .uniform_work_group_size: 1
    .uses_dynamic_stack: false
    .vgpr_count:     138
    .vgpr_spill_count: 0
    .wavefront_size: 64
  - .agpr_count:     0
    .args:
      - .address_space:  global
        .offset:         0
        .size:           8
        .value_kind:     global_buffer
      - .offset:         8
        .size:           4
        .value_kind:     by_value
      - .offset:         12
        .size:           4
        .value_kind:     by_value
      - .offset:         16
        .size:           8
        .value_kind:     by_value
      - .address_space:  global
        .offset:         24
        .size:           8
        .value_kind:     global_buffer
      - .offset:         32
        .size:           4
        .value_kind:     by_value
      - .offset:         40
        .size:           8
        .value_kind:     by_value
      - .address_space:  global
        .offset:         48
        .size:           8
        .value_kind:     global_buffer
      - .offset:         56
        .size:           1
        .value_kind:     by_value
      - .offset:         57
        .size:           1
        .value_kind:     by_value
    .group_segment_fixed_size: 388
    .kernarg_segment_align: 8
    .kernarg_segment_size: 60
    .language:       OpenCL C
    .language_version:
      - 2
      - 0
    .max_flat_workgroup_size: 64
    .name:           _ZN9rocsolver6v33100L18getri_kernel_smallILi24E19rocblas_complex_numIfEPS3_EEvT1_iilPiilS6_bb
    .private_segment_fixed_size: 208
    .sgpr_count:     29
    .sgpr_spill_count: 0
    .symbol:         _ZN9rocsolver6v33100L18getri_kernel_smallILi24E19rocblas_complex_numIfEPS3_EEvT1_iilPiilS6_bb.kd
    .uniform_work_group_size: 1
    .uses_dynamic_stack: false
    .vgpr_count:     142
    .vgpr_spill_count: 0
    .wavefront_size: 64
  - .agpr_count:     0
    .args:
      - .address_space:  global
        .offset:         0
        .size:           8
        .value_kind:     global_buffer
      - .offset:         8
        .size:           4
        .value_kind:     by_value
      - .offset:         12
        .size:           4
        .value_kind:     by_value
      - .offset:         16
        .size:           8
        .value_kind:     by_value
      - .address_space:  global
        .offset:         24
        .size:           8
        .value_kind:     global_buffer
      - .offset:         32
        .size:           4
        .value_kind:     by_value
      - .offset:         40
        .size:           8
        .value_kind:     by_value
      - .address_space:  global
        .offset:         48
        .size:           8
        .value_kind:     global_buffer
      - .offset:         56
        .size:           1
        .value_kind:     by_value
      - .offset:         57
        .size:           1
        .value_kind:     by_value
    .group_segment_fixed_size: 408
    .kernarg_segment_align: 8
    .kernarg_segment_size: 60
    .language:       OpenCL C
    .language_version:
      - 2
      - 0
    .max_flat_workgroup_size: 64
    .name:           _ZN9rocsolver6v33100L18getri_kernel_smallILi25E19rocblas_complex_numIfEPS3_EEvT1_iilPiilS6_bb
    .private_segment_fixed_size: 208
    .sgpr_count:     29
    .sgpr_spill_count: 0
    .symbol:         _ZN9rocsolver6v33100L18getri_kernel_smallILi25E19rocblas_complex_numIfEPS3_EEvT1_iilPiilS6_bb.kd
    .uniform_work_group_size: 1
    .uses_dynamic_stack: false
    .vgpr_count:     144
    .vgpr_spill_count: 0
    .wavefront_size: 64
  - .agpr_count:     0
    .args:
      - .address_space:  global
        .offset:         0
        .size:           8
        .value_kind:     global_buffer
      - .offset:         8
        .size:           4
        .value_kind:     by_value
      - .offset:         12
        .size:           4
        .value_kind:     by_value
      - .offset:         16
        .size:           8
        .value_kind:     by_value
      - .address_space:  global
        .offset:         24
        .size:           8
        .value_kind:     global_buffer
      - .offset:         32
        .size:           4
        .value_kind:     by_value
      - .offset:         40
        .size:           8
        .value_kind:     by_value
      - .address_space:  global
        .offset:         48
        .size:           8
        .value_kind:     global_buffer
      - .offset:         56
        .size:           1
        .value_kind:     by_value
      - .offset:         57
        .size:           1
        .value_kind:     by_value
    .group_segment_fixed_size: 420
    .kernarg_segment_align: 8
    .kernarg_segment_size: 60
    .language:       OpenCL C
    .language_version:
      - 2
      - 0
    .max_flat_workgroup_size: 64
    .name:           _ZN9rocsolver6v33100L18getri_kernel_smallILi26E19rocblas_complex_numIfEPS3_EEvT1_iilPiilS6_bb
    .private_segment_fixed_size: 224
    .sgpr_count:     29
    .sgpr_spill_count: 0
    .symbol:         _ZN9rocsolver6v33100L18getri_kernel_smallILi26E19rocblas_complex_numIfEPS3_EEvT1_iilPiilS6_bb.kd
    .uniform_work_group_size: 1
    .uses_dynamic_stack: false
    .vgpr_count:     148
    .vgpr_spill_count: 0
    .wavefront_size: 64
  - .agpr_count:     0
    .args:
      - .address_space:  global
        .offset:         0
        .size:           8
        .value_kind:     global_buffer
      - .offset:         8
        .size:           4
        .value_kind:     by_value
      - .offset:         12
        .size:           4
        .value_kind:     by_value
      - .offset:         16
        .size:           8
        .value_kind:     by_value
      - .address_space:  global
        .offset:         24
        .size:           8
        .value_kind:     global_buffer
      - .offset:         32
        .size:           4
        .value_kind:     by_value
      - .offset:         40
        .size:           8
        .value_kind:     by_value
      - .address_space:  global
        .offset:         48
        .size:           8
        .value_kind:     global_buffer
      - .offset:         56
        .size:           1
        .value_kind:     by_value
      - .offset:         57
        .size:           1
        .value_kind:     by_value
    .group_segment_fixed_size: 440
    .kernarg_segment_align: 8
    .kernarg_segment_size: 60
    .language:       OpenCL C
    .language_version:
      - 2
      - 0
    .max_flat_workgroup_size: 64
    .name:           _ZN9rocsolver6v33100L18getri_kernel_smallILi27E19rocblas_complex_numIfEPS3_EEvT1_iilPiilS6_bb
    .private_segment_fixed_size: 224
    .sgpr_count:     29
    .sgpr_spill_count: 0
    .symbol:         _ZN9rocsolver6v33100L18getri_kernel_smallILi27E19rocblas_complex_numIfEPS3_EEvT1_iilPiilS6_bb.kd
    .uniform_work_group_size: 1
    .uses_dynamic_stack: false
    .vgpr_count:     152
    .vgpr_spill_count: 0
    .wavefront_size: 64
  - .agpr_count:     0
    .args:
      - .address_space:  global
        .offset:         0
        .size:           8
        .value_kind:     global_buffer
      - .offset:         8
        .size:           4
        .value_kind:     by_value
      - .offset:         12
        .size:           4
        .value_kind:     by_value
      - .offset:         16
        .size:           8
        .value_kind:     by_value
      - .address_space:  global
        .offset:         24
        .size:           8
        .value_kind:     global_buffer
      - .offset:         32
        .size:           4
        .value_kind:     by_value
      - .offset:         40
        .size:           8
        .value_kind:     by_value
      - .address_space:  global
        .offset:         48
        .size:           8
        .value_kind:     global_buffer
      - .offset:         56
        .size:           1
        .value_kind:     by_value
      - .offset:         57
        .size:           1
        .value_kind:     by_value
    .group_segment_fixed_size: 452
    .kernarg_segment_align: 8
    .kernarg_segment_size: 60
    .language:       OpenCL C
    .language_version:
      - 2
      - 0
    .max_flat_workgroup_size: 64
    .name:           _ZN9rocsolver6v33100L18getri_kernel_smallILi28E19rocblas_complex_numIfEPS3_EEvT1_iilPiilS6_bb
    .private_segment_fixed_size: 240
    .sgpr_count:     29
    .sgpr_spill_count: 0
    .symbol:         _ZN9rocsolver6v33100L18getri_kernel_smallILi28E19rocblas_complex_numIfEPS3_EEvT1_iilPiilS6_bb.kd
    .uniform_work_group_size: 1
    .uses_dynamic_stack: false
    .vgpr_count:     156
    .vgpr_spill_count: 0
    .wavefront_size: 64
  - .agpr_count:     0
    .args:
      - .address_space:  global
        .offset:         0
        .size:           8
        .value_kind:     global_buffer
      - .offset:         8
        .size:           4
        .value_kind:     by_value
      - .offset:         12
        .size:           4
        .value_kind:     by_value
      - .offset:         16
        .size:           8
        .value_kind:     by_value
      - .address_space:  global
        .offset:         24
        .size:           8
        .value_kind:     global_buffer
      - .offset:         32
        .size:           4
        .value_kind:     by_value
      - .offset:         40
        .size:           8
        .value_kind:     by_value
      - .address_space:  global
        .offset:         48
        .size:           8
        .value_kind:     global_buffer
      - .offset:         56
        .size:           1
        .value_kind:     by_value
      - .offset:         57
        .size:           1
        .value_kind:     by_value
    .group_segment_fixed_size: 472
    .kernarg_segment_align: 8
    .kernarg_segment_size: 60
    .language:       OpenCL C
    .language_version:
      - 2
      - 0
    .max_flat_workgroup_size: 64
    .name:           _ZN9rocsolver6v33100L18getri_kernel_smallILi29E19rocblas_complex_numIfEPS3_EEvT1_iilPiilS6_bb
    .private_segment_fixed_size: 240
    .sgpr_count:     29
    .sgpr_spill_count: 0
    .symbol:         _ZN9rocsolver6v33100L18getri_kernel_smallILi29E19rocblas_complex_numIfEPS3_EEvT1_iilPiilS6_bb.kd
    .uniform_work_group_size: 1
    .uses_dynamic_stack: false
    .vgpr_count:     160
    .vgpr_spill_count: 0
    .wavefront_size: 64
  - .agpr_count:     0
    .args:
      - .address_space:  global
        .offset:         0
        .size:           8
        .value_kind:     global_buffer
      - .offset:         8
        .size:           4
        .value_kind:     by_value
      - .offset:         12
        .size:           4
        .value_kind:     by_value
      - .offset:         16
        .size:           8
        .value_kind:     by_value
      - .address_space:  global
        .offset:         24
        .size:           8
        .value_kind:     global_buffer
      - .offset:         32
        .size:           4
        .value_kind:     by_value
      - .offset:         40
        .size:           8
        .value_kind:     by_value
      - .address_space:  global
        .offset:         48
        .size:           8
        .value_kind:     global_buffer
      - .offset:         56
        .size:           1
        .value_kind:     by_value
      - .offset:         57
        .size:           1
        .value_kind:     by_value
    .group_segment_fixed_size: 484
    .kernarg_segment_align: 8
    .kernarg_segment_size: 60
    .language:       OpenCL C
    .language_version:
      - 2
      - 0
    .max_flat_workgroup_size: 64
    .name:           _ZN9rocsolver6v33100L18getri_kernel_smallILi30E19rocblas_complex_numIfEPS3_EEvT1_iilPiilS6_bb
    .private_segment_fixed_size: 256
    .sgpr_count:     29
    .sgpr_spill_count: 0
    .symbol:         _ZN9rocsolver6v33100L18getri_kernel_smallILi30E19rocblas_complex_numIfEPS3_EEvT1_iilPiilS6_bb.kd
    .uniform_work_group_size: 1
    .uses_dynamic_stack: false
    .vgpr_count:     172
    .vgpr_spill_count: 0
    .wavefront_size: 64
  - .agpr_count:     0
    .args:
      - .address_space:  global
        .offset:         0
        .size:           8
        .value_kind:     global_buffer
      - .offset:         8
        .size:           4
        .value_kind:     by_value
      - .offset:         12
        .size:           4
        .value_kind:     by_value
      - .offset:         16
        .size:           8
        .value_kind:     by_value
      - .address_space:  global
        .offset:         24
        .size:           8
        .value_kind:     global_buffer
      - .offset:         32
        .size:           4
        .value_kind:     by_value
      - .offset:         40
        .size:           8
        .value_kind:     by_value
      - .address_space:  global
        .offset:         48
        .size:           8
        .value_kind:     global_buffer
      - .offset:         56
        .size:           1
        .value_kind:     by_value
      - .offset:         57
        .size:           1
        .value_kind:     by_value
    .group_segment_fixed_size: 504
    .kernarg_segment_align: 8
    .kernarg_segment_size: 60
    .language:       OpenCL C
    .language_version:
      - 2
      - 0
    .max_flat_workgroup_size: 64
    .name:           _ZN9rocsolver6v33100L18getri_kernel_smallILi31E19rocblas_complex_numIfEPS3_EEvT1_iilPiilS6_bb
    .private_segment_fixed_size: 256
    .sgpr_count:     29
    .sgpr_spill_count: 0
    .symbol:         _ZN9rocsolver6v33100L18getri_kernel_smallILi31E19rocblas_complex_numIfEPS3_EEvT1_iilPiilS6_bb.kd
    .uniform_work_group_size: 1
    .uses_dynamic_stack: false
    .vgpr_count:     176
    .vgpr_spill_count: 0
    .wavefront_size: 64
  - .agpr_count:     0
    .args:
      - .address_space:  global
        .offset:         0
        .size:           8
        .value_kind:     global_buffer
      - .offset:         8
        .size:           4
        .value_kind:     by_value
      - .offset:         12
        .size:           4
        .value_kind:     by_value
      - .offset:         16
        .size:           8
        .value_kind:     by_value
      - .address_space:  global
        .offset:         24
        .size:           8
        .value_kind:     global_buffer
      - .offset:         32
        .size:           4
        .value_kind:     by_value
      - .offset:         40
        .size:           8
        .value_kind:     by_value
      - .address_space:  global
        .offset:         48
        .size:           8
        .value_kind:     global_buffer
      - .offset:         56
        .size:           1
        .value_kind:     by_value
      - .offset:         57
        .size:           1
        .value_kind:     by_value
    .group_segment_fixed_size: 516
    .kernarg_segment_align: 8
    .kernarg_segment_size: 60
    .language:       OpenCL C
    .language_version:
      - 2
      - 0
    .max_flat_workgroup_size: 64
    .name:           _ZN9rocsolver6v33100L18getri_kernel_smallILi32E19rocblas_complex_numIfEPS3_EEvT1_iilPiilS6_bb
    .private_segment_fixed_size: 272
    .sgpr_count:     29
    .sgpr_spill_count: 0
    .symbol:         _ZN9rocsolver6v33100L18getri_kernel_smallILi32E19rocblas_complex_numIfEPS3_EEvT1_iilPiilS6_bb.kd
    .uniform_work_group_size: 1
    .uses_dynamic_stack: false
    .vgpr_count:     180
    .vgpr_spill_count: 0
    .wavefront_size: 64
  - .agpr_count:     0
    .args:
      - .address_space:  global
        .offset:         0
        .size:           8
        .value_kind:     global_buffer
      - .offset:         8
        .size:           4
        .value_kind:     by_value
      - .offset:         12
        .size:           4
        .value_kind:     by_value
      - .offset:         16
        .size:           8
        .value_kind:     by_value
      - .address_space:  global
        .offset:         24
        .size:           8
        .value_kind:     global_buffer
      - .offset:         32
        .size:           4
        .value_kind:     by_value
      - .offset:         40
        .size:           8
        .value_kind:     by_value
      - .address_space:  global
        .offset:         48
        .size:           8
        .value_kind:     global_buffer
      - .offset:         56
        .size:           1
        .value_kind:     by_value
      - .offset:         57
        .size:           1
        .value_kind:     by_value
    .group_segment_fixed_size: 536
    .kernarg_segment_align: 8
    .kernarg_segment_size: 60
    .language:       OpenCL C
    .language_version:
      - 2
      - 0
    .max_flat_workgroup_size: 64
    .name:           _ZN9rocsolver6v33100L18getri_kernel_smallILi33E19rocblas_complex_numIfEPS3_EEvT1_iilPiilS6_bb
    .private_segment_fixed_size: 272
    .sgpr_count:     29
    .sgpr_spill_count: 0
    .symbol:         _ZN9rocsolver6v33100L18getri_kernel_smallILi33E19rocblas_complex_numIfEPS3_EEvT1_iilPiilS6_bb.kd
    .uniform_work_group_size: 1
    .uses_dynamic_stack: false
    .vgpr_count:     184
    .vgpr_spill_count: 0
    .wavefront_size: 64
  - .agpr_count:     0
    .args:
      - .address_space:  global
        .offset:         0
        .size:           8
        .value_kind:     global_buffer
      - .offset:         8
        .size:           4
        .value_kind:     by_value
      - .offset:         12
        .size:           4
        .value_kind:     by_value
      - .offset:         16
        .size:           8
        .value_kind:     by_value
      - .address_space:  global
        .offset:         24
        .size:           8
        .value_kind:     global_buffer
      - .offset:         32
        .size:           4
        .value_kind:     by_value
      - .offset:         40
        .size:           8
        .value_kind:     by_value
      - .address_space:  global
        .offset:         48
        .size:           8
        .value_kind:     global_buffer
      - .offset:         56
        .size:           1
        .value_kind:     by_value
      - .offset:         57
        .size:           1
        .value_kind:     by_value
    .group_segment_fixed_size: 548
    .kernarg_segment_align: 8
    .kernarg_segment_size: 60
    .language:       OpenCL C
    .language_version:
      - 2
      - 0
    .max_flat_workgroup_size: 64
    .name:           _ZN9rocsolver6v33100L18getri_kernel_smallILi34E19rocblas_complex_numIfEPS3_EEvT1_iilPiilS6_bb
    .private_segment_fixed_size: 288
    .sgpr_count:     29
    .sgpr_spill_count: 0
    .symbol:         _ZN9rocsolver6v33100L18getri_kernel_smallILi34E19rocblas_complex_numIfEPS3_EEvT1_iilPiilS6_bb.kd
    .uniform_work_group_size: 1
    .uses_dynamic_stack: false
    .vgpr_count:     196
    .vgpr_spill_count: 0
    .wavefront_size: 64
  - .agpr_count:     0
    .args:
      - .address_space:  global
        .offset:         0
        .size:           8
        .value_kind:     global_buffer
      - .offset:         8
        .size:           4
        .value_kind:     by_value
      - .offset:         12
        .size:           4
        .value_kind:     by_value
      - .offset:         16
        .size:           8
        .value_kind:     by_value
      - .address_space:  global
        .offset:         24
        .size:           8
        .value_kind:     global_buffer
      - .offset:         32
        .size:           4
        .value_kind:     by_value
      - .offset:         40
        .size:           8
        .value_kind:     by_value
      - .address_space:  global
        .offset:         48
        .size:           8
        .value_kind:     global_buffer
      - .offset:         56
        .size:           1
        .value_kind:     by_value
      - .offset:         57
        .size:           1
        .value_kind:     by_value
    .group_segment_fixed_size: 568
    .kernarg_segment_align: 8
    .kernarg_segment_size: 60
    .language:       OpenCL C
    .language_version:
      - 2
      - 0
    .max_flat_workgroup_size: 64
    .name:           _ZN9rocsolver6v33100L18getri_kernel_smallILi35E19rocblas_complex_numIfEPS3_EEvT1_iilPiilS6_bb
    .private_segment_fixed_size: 288
    .sgpr_count:     29
    .sgpr_spill_count: 0
    .symbol:         _ZN9rocsolver6v33100L18getri_kernel_smallILi35E19rocblas_complex_numIfEPS3_EEvT1_iilPiilS6_bb.kd
    .uniform_work_group_size: 1
    .uses_dynamic_stack: false
    .vgpr_count:     200
    .vgpr_spill_count: 0
    .wavefront_size: 64
  - .agpr_count:     0
    .args:
      - .address_space:  global
        .offset:         0
        .size:           8
        .value_kind:     global_buffer
      - .offset:         8
        .size:           4
        .value_kind:     by_value
      - .offset:         12
        .size:           4
        .value_kind:     by_value
      - .offset:         16
        .size:           8
        .value_kind:     by_value
      - .address_space:  global
        .offset:         24
        .size:           8
        .value_kind:     global_buffer
      - .offset:         32
        .size:           4
        .value_kind:     by_value
      - .offset:         40
        .size:           8
        .value_kind:     by_value
      - .address_space:  global
        .offset:         48
        .size:           8
        .value_kind:     global_buffer
      - .offset:         56
        .size:           1
        .value_kind:     by_value
      - .offset:         57
        .size:           1
        .value_kind:     by_value
    .group_segment_fixed_size: 580
    .kernarg_segment_align: 8
    .kernarg_segment_size: 60
    .language:       OpenCL C
    .language_version:
      - 2
      - 0
    .max_flat_workgroup_size: 64
    .name:           _ZN9rocsolver6v33100L18getri_kernel_smallILi36E19rocblas_complex_numIfEPS3_EEvT1_iilPiilS6_bb
    .private_segment_fixed_size: 304
    .sgpr_count:     29
    .sgpr_spill_count: 0
    .symbol:         _ZN9rocsolver6v33100L18getri_kernel_smallILi36E19rocblas_complex_numIfEPS3_EEvT1_iilPiilS6_bb.kd
    .uniform_work_group_size: 1
    .uses_dynamic_stack: false
    .vgpr_count:     204
    .vgpr_spill_count: 0
    .wavefront_size: 64
  - .agpr_count:     0
    .args:
      - .address_space:  global
        .offset:         0
        .size:           8
        .value_kind:     global_buffer
      - .offset:         8
        .size:           4
        .value_kind:     by_value
      - .offset:         12
        .size:           4
        .value_kind:     by_value
      - .offset:         16
        .size:           8
        .value_kind:     by_value
      - .address_space:  global
        .offset:         24
        .size:           8
        .value_kind:     global_buffer
      - .offset:         32
        .size:           4
        .value_kind:     by_value
      - .offset:         40
        .size:           8
        .value_kind:     by_value
      - .address_space:  global
        .offset:         48
        .size:           8
        .value_kind:     global_buffer
      - .offset:         56
        .size:           1
        .value_kind:     by_value
      - .offset:         57
        .size:           1
        .value_kind:     by_value
    .group_segment_fixed_size: 600
    .kernarg_segment_align: 8
    .kernarg_segment_size: 60
    .language:       OpenCL C
    .language_version:
      - 2
      - 0
    .max_flat_workgroup_size: 64
    .name:           _ZN9rocsolver6v33100L18getri_kernel_smallILi37E19rocblas_complex_numIfEPS3_EEvT1_iilPiilS6_bb
    .private_segment_fixed_size: 304
    .sgpr_count:     29
    .sgpr_spill_count: 0
    .symbol:         _ZN9rocsolver6v33100L18getri_kernel_smallILi37E19rocblas_complex_numIfEPS3_EEvT1_iilPiilS6_bb.kd
    .uniform_work_group_size: 1
    .uses_dynamic_stack: false
    .vgpr_count:     208
    .vgpr_spill_count: 0
    .wavefront_size: 64
  - .agpr_count:     0
    .args:
      - .address_space:  global
        .offset:         0
        .size:           8
        .value_kind:     global_buffer
      - .offset:         8
        .size:           4
        .value_kind:     by_value
      - .offset:         12
        .size:           4
        .value_kind:     by_value
      - .offset:         16
        .size:           8
        .value_kind:     by_value
      - .address_space:  global
        .offset:         24
        .size:           8
        .value_kind:     global_buffer
      - .offset:         32
        .size:           4
        .value_kind:     by_value
      - .offset:         40
        .size:           8
        .value_kind:     by_value
      - .address_space:  global
        .offset:         48
        .size:           8
        .value_kind:     global_buffer
      - .offset:         56
        .size:           1
        .value_kind:     by_value
      - .offset:         57
        .size:           1
        .value_kind:     by_value
    .group_segment_fixed_size: 612
    .kernarg_segment_align: 8
    .kernarg_segment_size: 60
    .language:       OpenCL C
    .language_version:
      - 2
      - 0
    .max_flat_workgroup_size: 64
    .name:           _ZN9rocsolver6v33100L18getri_kernel_smallILi38E19rocblas_complex_numIfEPS3_EEvT1_iilPiilS6_bb
    .private_segment_fixed_size: 320
    .sgpr_count:     29
    .sgpr_spill_count: 0
    .symbol:         _ZN9rocsolver6v33100L18getri_kernel_smallILi38E19rocblas_complex_numIfEPS3_EEvT1_iilPiilS6_bb.kd
    .uniform_work_group_size: 1
    .uses_dynamic_stack: false
    .vgpr_count:     220
    .vgpr_spill_count: 0
    .wavefront_size: 64
  - .agpr_count:     0
    .args:
      - .address_space:  global
        .offset:         0
        .size:           8
        .value_kind:     global_buffer
      - .offset:         8
        .size:           4
        .value_kind:     by_value
      - .offset:         12
        .size:           4
        .value_kind:     by_value
      - .offset:         16
        .size:           8
        .value_kind:     by_value
      - .address_space:  global
        .offset:         24
        .size:           8
        .value_kind:     global_buffer
      - .offset:         32
        .size:           4
        .value_kind:     by_value
      - .offset:         40
        .size:           8
        .value_kind:     by_value
      - .address_space:  global
        .offset:         48
        .size:           8
        .value_kind:     global_buffer
      - .offset:         56
        .size:           1
        .value_kind:     by_value
      - .offset:         57
        .size:           1
        .value_kind:     by_value
    .group_segment_fixed_size: 632
    .kernarg_segment_align: 8
    .kernarg_segment_size: 60
    .language:       OpenCL C
    .language_version:
      - 2
      - 0
    .max_flat_workgroup_size: 64
    .name:           _ZN9rocsolver6v33100L18getri_kernel_smallILi39E19rocblas_complex_numIfEPS3_EEvT1_iilPiilS6_bb
    .private_segment_fixed_size: 320
    .sgpr_count:     29
    .sgpr_spill_count: 0
    .symbol:         _ZN9rocsolver6v33100L18getri_kernel_smallILi39E19rocblas_complex_numIfEPS3_EEvT1_iilPiilS6_bb.kd
    .uniform_work_group_size: 1
    .uses_dynamic_stack: false
    .vgpr_count:     224
    .vgpr_spill_count: 0
    .wavefront_size: 64
  - .agpr_count:     0
    .args:
      - .address_space:  global
        .offset:         0
        .size:           8
        .value_kind:     global_buffer
      - .offset:         8
        .size:           4
        .value_kind:     by_value
      - .offset:         12
        .size:           4
        .value_kind:     by_value
      - .offset:         16
        .size:           8
        .value_kind:     by_value
      - .address_space:  global
        .offset:         24
        .size:           8
        .value_kind:     global_buffer
      - .offset:         32
        .size:           4
        .value_kind:     by_value
      - .offset:         40
        .size:           8
        .value_kind:     by_value
      - .address_space:  global
        .offset:         48
        .size:           8
        .value_kind:     global_buffer
      - .offset:         56
        .size:           1
        .value_kind:     by_value
      - .offset:         57
        .size:           1
        .value_kind:     by_value
    .group_segment_fixed_size: 644
    .kernarg_segment_align: 8
    .kernarg_segment_size: 60
    .language:       OpenCL C
    .language_version:
      - 2
      - 0
    .max_flat_workgroup_size: 64
    .name:           _ZN9rocsolver6v33100L18getri_kernel_smallILi40E19rocblas_complex_numIfEPS3_EEvT1_iilPiilS6_bb
    .private_segment_fixed_size: 336
    .sgpr_count:     29
    .sgpr_spill_count: 0
    .symbol:         _ZN9rocsolver6v33100L18getri_kernel_smallILi40E19rocblas_complex_numIfEPS3_EEvT1_iilPiilS6_bb.kd
    .uniform_work_group_size: 1
    .uses_dynamic_stack: false
    .vgpr_count:     228
    .vgpr_spill_count: 0
    .wavefront_size: 64
  - .agpr_count:     0
    .args:
      - .address_space:  global
        .offset:         0
        .size:           8
        .value_kind:     global_buffer
      - .offset:         8
        .size:           4
        .value_kind:     by_value
      - .offset:         12
        .size:           4
        .value_kind:     by_value
      - .offset:         16
        .size:           8
        .value_kind:     by_value
      - .address_space:  global
        .offset:         24
        .size:           8
        .value_kind:     global_buffer
      - .offset:         32
        .size:           4
        .value_kind:     by_value
      - .offset:         40
        .size:           8
        .value_kind:     by_value
      - .address_space:  global
        .offset:         48
        .size:           8
        .value_kind:     global_buffer
      - .offset:         56
        .size:           1
        .value_kind:     by_value
      - .offset:         57
        .size:           1
        .value_kind:     by_value
    .group_segment_fixed_size: 664
    .kernarg_segment_align: 8
    .kernarg_segment_size: 60
    .language:       OpenCL C
    .language_version:
      - 2
      - 0
    .max_flat_workgroup_size: 64
    .name:           _ZN9rocsolver6v33100L18getri_kernel_smallILi41E19rocblas_complex_numIfEPS3_EEvT1_iilPiilS6_bb
    .private_segment_fixed_size: 336
    .sgpr_count:     29
    .sgpr_spill_count: 0
    .symbol:         _ZN9rocsolver6v33100L18getri_kernel_smallILi41E19rocblas_complex_numIfEPS3_EEvT1_iilPiilS6_bb.kd
    .uniform_work_group_size: 1
    .uses_dynamic_stack: false
    .vgpr_count:     232
    .vgpr_spill_count: 0
    .wavefront_size: 64
  - .agpr_count:     0
    .args:
      - .address_space:  global
        .offset:         0
        .size:           8
        .value_kind:     global_buffer
      - .offset:         8
        .size:           4
        .value_kind:     by_value
      - .offset:         12
        .size:           4
        .value_kind:     by_value
      - .offset:         16
        .size:           8
        .value_kind:     by_value
      - .address_space:  global
        .offset:         24
        .size:           8
        .value_kind:     global_buffer
      - .offset:         32
        .size:           4
        .value_kind:     by_value
      - .offset:         40
        .size:           8
        .value_kind:     by_value
      - .address_space:  global
        .offset:         48
        .size:           8
        .value_kind:     global_buffer
      - .offset:         56
        .size:           1
        .value_kind:     by_value
      - .offset:         57
        .size:           1
        .value_kind:     by_value
    .group_segment_fixed_size: 676
    .kernarg_segment_align: 8
    .kernarg_segment_size: 60
    .language:       OpenCL C
    .language_version:
      - 2
      - 0
    .max_flat_workgroup_size: 64
    .name:           _ZN9rocsolver6v33100L18getri_kernel_smallILi42E19rocblas_complex_numIfEPS3_EEvT1_iilPiilS6_bb
    .private_segment_fixed_size: 352
    .sgpr_count:     29
    .sgpr_spill_count: 0
    .symbol:         _ZN9rocsolver6v33100L18getri_kernel_smallILi42E19rocblas_complex_numIfEPS3_EEvT1_iilPiilS6_bb.kd
    .uniform_work_group_size: 1
    .uses_dynamic_stack: false
    .vgpr_count:     244
    .vgpr_spill_count: 0
    .wavefront_size: 64
  - .agpr_count:     0
    .args:
      - .address_space:  global
        .offset:         0
        .size:           8
        .value_kind:     global_buffer
      - .offset:         8
        .size:           4
        .value_kind:     by_value
      - .offset:         12
        .size:           4
        .value_kind:     by_value
      - .offset:         16
        .size:           8
        .value_kind:     by_value
      - .address_space:  global
        .offset:         24
        .size:           8
        .value_kind:     global_buffer
      - .offset:         32
        .size:           4
        .value_kind:     by_value
      - .offset:         40
        .size:           8
        .value_kind:     by_value
      - .address_space:  global
        .offset:         48
        .size:           8
        .value_kind:     global_buffer
      - .offset:         56
        .size:           1
        .value_kind:     by_value
      - .offset:         57
        .size:           1
        .value_kind:     by_value
    .group_segment_fixed_size: 696
    .kernarg_segment_align: 8
    .kernarg_segment_size: 60
    .language:       OpenCL C
    .language_version:
      - 2
      - 0
    .max_flat_workgroup_size: 64
    .name:           _ZN9rocsolver6v33100L18getri_kernel_smallILi43E19rocblas_complex_numIfEPS3_EEvT1_iilPiilS6_bb
    .private_segment_fixed_size: 352
    .sgpr_count:     29
    .sgpr_spill_count: 0
    .symbol:         _ZN9rocsolver6v33100L18getri_kernel_smallILi43E19rocblas_complex_numIfEPS3_EEvT1_iilPiilS6_bb.kd
    .uniform_work_group_size: 1
    .uses_dynamic_stack: false
    .vgpr_count:     248
    .vgpr_spill_count: 0
    .wavefront_size: 64
  - .agpr_count:     0
    .args:
      - .address_space:  global
        .offset:         0
        .size:           8
        .value_kind:     global_buffer
      - .offset:         8
        .size:           4
        .value_kind:     by_value
      - .offset:         12
        .size:           4
        .value_kind:     by_value
      - .offset:         16
        .size:           8
        .value_kind:     by_value
      - .address_space:  global
        .offset:         24
        .size:           8
        .value_kind:     global_buffer
      - .offset:         32
        .size:           4
        .value_kind:     by_value
      - .offset:         40
        .size:           8
        .value_kind:     by_value
      - .address_space:  global
        .offset:         48
        .size:           8
        .value_kind:     global_buffer
      - .offset:         56
        .size:           1
        .value_kind:     by_value
      - .offset:         57
        .size:           1
        .value_kind:     by_value
    .group_segment_fixed_size: 708
    .kernarg_segment_align: 8
    .kernarg_segment_size: 60
    .language:       OpenCL C
    .language_version:
      - 2
      - 0
    .max_flat_workgroup_size: 64
    .name:           _ZN9rocsolver6v33100L18getri_kernel_smallILi44E19rocblas_complex_numIfEPS3_EEvT1_iilPiilS6_bb
    .private_segment_fixed_size: 368
    .sgpr_count:     29
    .sgpr_spill_count: 0
    .symbol:         _ZN9rocsolver6v33100L18getri_kernel_smallILi44E19rocblas_complex_numIfEPS3_EEvT1_iilPiilS6_bb.kd
    .uniform_work_group_size: 1
    .uses_dynamic_stack: false
    .vgpr_count:     252
    .vgpr_spill_count: 0
    .wavefront_size: 64
  - .agpr_count:     0
    .args:
      - .address_space:  global
        .offset:         0
        .size:           8
        .value_kind:     global_buffer
      - .offset:         8
        .size:           4
        .value_kind:     by_value
      - .offset:         12
        .size:           4
        .value_kind:     by_value
      - .offset:         16
        .size:           8
        .value_kind:     by_value
      - .address_space:  global
        .offset:         24
        .size:           8
        .value_kind:     global_buffer
      - .offset:         32
        .size:           4
        .value_kind:     by_value
      - .offset:         40
        .size:           8
        .value_kind:     by_value
      - .address_space:  global
        .offset:         48
        .size:           8
        .value_kind:     global_buffer
      - .offset:         56
        .size:           1
        .value_kind:     by_value
      - .offset:         57
        .size:           1
        .value_kind:     by_value
    .group_segment_fixed_size: 728
    .kernarg_segment_align: 8
    .kernarg_segment_size: 60
    .language:       OpenCL C
    .language_version:
      - 2
      - 0
    .max_flat_workgroup_size: 64
    .name:           _ZN9rocsolver6v33100L18getri_kernel_smallILi45E19rocblas_complex_numIfEPS3_EEvT1_iilPiilS6_bb
    .private_segment_fixed_size: 368
    .sgpr_count:     29
    .sgpr_spill_count: 0
    .symbol:         _ZN9rocsolver6v33100L18getri_kernel_smallILi45E19rocblas_complex_numIfEPS3_EEvT1_iilPiilS6_bb.kd
    .uniform_work_group_size: 1
    .uses_dynamic_stack: false
    .vgpr_count:     256
    .vgpr_spill_count: 0
    .wavefront_size: 64
  - .agpr_count:     8
    .args:
      - .address_space:  global
        .offset:         0
        .size:           8
        .value_kind:     global_buffer
      - .offset:         8
        .size:           4
        .value_kind:     by_value
      - .offset:         12
        .size:           4
        .value_kind:     by_value
      - .offset:         16
        .size:           8
        .value_kind:     by_value
      - .address_space:  global
        .offset:         24
        .size:           8
        .value_kind:     global_buffer
      - .offset:         32
        .size:           4
        .value_kind:     by_value
      - .offset:         40
        .size:           8
        .value_kind:     by_value
      - .address_space:  global
        .offset:         48
        .size:           8
        .value_kind:     global_buffer
      - .offset:         56
        .size:           1
        .value_kind:     by_value
      - .offset:         57
        .size:           1
        .value_kind:     by_value
    .group_segment_fixed_size: 740
    .kernarg_segment_align: 8
    .kernarg_segment_size: 60
    .language:       OpenCL C
    .language_version:
      - 2
      - 0
    .max_flat_workgroup_size: 64
    .name:           _ZN9rocsolver6v33100L18getri_kernel_smallILi46E19rocblas_complex_numIfEPS3_EEvT1_iilPiilS6_bb
    .private_segment_fixed_size: 384
    .sgpr_count:     29
    .sgpr_spill_count: 0
    .symbol:         _ZN9rocsolver6v33100L18getri_kernel_smallILi46E19rocblas_complex_numIfEPS3_EEvT1_iilPiilS6_bb.kd
    .uniform_work_group_size: 1
    .uses_dynamic_stack: false
    .vgpr_count:     264
    .vgpr_spill_count: 0
    .wavefront_size: 64
  - .agpr_count:     16
    .args:
      - .address_space:  global
        .offset:         0
        .size:           8
        .value_kind:     global_buffer
      - .offset:         8
        .size:           4
        .value_kind:     by_value
      - .offset:         12
        .size:           4
        .value_kind:     by_value
      - .offset:         16
        .size:           8
        .value_kind:     by_value
      - .address_space:  global
        .offset:         24
        .size:           8
        .value_kind:     global_buffer
      - .offset:         32
        .size:           4
        .value_kind:     by_value
      - .offset:         40
        .size:           8
        .value_kind:     by_value
      - .address_space:  global
        .offset:         48
        .size:           8
        .value_kind:     global_buffer
      - .offset:         56
        .size:           1
        .value_kind:     by_value
      - .offset:         57
        .size:           1
        .value_kind:     by_value
    .group_segment_fixed_size: 760
    .kernarg_segment_align: 8
    .kernarg_segment_size: 60
    .language:       OpenCL C
    .language_version:
      - 2
      - 0
    .max_flat_workgroup_size: 64
    .name:           _ZN9rocsolver6v33100L18getri_kernel_smallILi47E19rocblas_complex_numIfEPS3_EEvT1_iilPiilS6_bb
    .private_segment_fixed_size: 384
    .sgpr_count:     29
    .sgpr_spill_count: 0
    .symbol:         _ZN9rocsolver6v33100L18getri_kernel_smallILi47E19rocblas_complex_numIfEPS3_EEvT1_iilPiilS6_bb.kd
    .uniform_work_group_size: 1
    .uses_dynamic_stack: false
    .vgpr_count:     272
    .vgpr_spill_count: 0
    .wavefront_size: 64
  - .agpr_count:     21
    .args:
      - .address_space:  global
        .offset:         0
        .size:           8
        .value_kind:     global_buffer
      - .offset:         8
        .size:           4
        .value_kind:     by_value
      - .offset:         12
        .size:           4
        .value_kind:     by_value
      - .offset:         16
        .size:           8
        .value_kind:     by_value
      - .address_space:  global
        .offset:         24
        .size:           8
        .value_kind:     global_buffer
      - .offset:         32
        .size:           4
        .value_kind:     by_value
      - .offset:         40
        .size:           8
        .value_kind:     by_value
      - .address_space:  global
        .offset:         48
        .size:           8
        .value_kind:     global_buffer
      - .offset:         56
        .size:           1
        .value_kind:     by_value
      - .offset:         57
        .size:           1
        .value_kind:     by_value
    .group_segment_fixed_size: 772
    .kernarg_segment_align: 8
    .kernarg_segment_size: 60
    .language:       OpenCL C
    .language_version:
      - 2
      - 0
    .max_flat_workgroup_size: 64
    .name:           _ZN9rocsolver6v33100L18getri_kernel_smallILi48E19rocblas_complex_numIfEPS3_EEvT1_iilPiilS6_bb
    .private_segment_fixed_size: 400
    .sgpr_count:     29
    .sgpr_spill_count: 0
    .symbol:         _ZN9rocsolver6v33100L18getri_kernel_smallILi48E19rocblas_complex_numIfEPS3_EEvT1_iilPiilS6_bb.kd
    .uniform_work_group_size: 1
    .uses_dynamic_stack: false
    .vgpr_count:     277
    .vgpr_spill_count: 0
    .wavefront_size: 64
  - .agpr_count:     25
    .args:
      - .address_space:  global
        .offset:         0
        .size:           8
        .value_kind:     global_buffer
      - .offset:         8
        .size:           4
        .value_kind:     by_value
      - .offset:         12
        .size:           4
        .value_kind:     by_value
      - .offset:         16
        .size:           8
        .value_kind:     by_value
      - .address_space:  global
        .offset:         24
        .size:           8
        .value_kind:     global_buffer
      - .offset:         32
        .size:           4
        .value_kind:     by_value
      - .offset:         40
        .size:           8
        .value_kind:     by_value
      - .address_space:  global
        .offset:         48
        .size:           8
        .value_kind:     global_buffer
      - .offset:         56
        .size:           1
        .value_kind:     by_value
      - .offset:         57
        .size:           1
        .value_kind:     by_value
    .group_segment_fixed_size: 792
    .kernarg_segment_align: 8
    .kernarg_segment_size: 60
    .language:       OpenCL C
    .language_version:
      - 2
      - 0
    .max_flat_workgroup_size: 64
    .name:           _ZN9rocsolver6v33100L18getri_kernel_smallILi49E19rocblas_complex_numIfEPS3_EEvT1_iilPiilS6_bb
    .private_segment_fixed_size: 400
    .sgpr_count:     29
    .sgpr_spill_count: 0
    .symbol:         _ZN9rocsolver6v33100L18getri_kernel_smallILi49E19rocblas_complex_numIfEPS3_EEvT1_iilPiilS6_bb.kd
    .uniform_work_group_size: 1
    .uses_dynamic_stack: false
    .vgpr_count:     281
    .vgpr_spill_count: 0
    .wavefront_size: 64
  - .agpr_count:     32
    .args:
      - .address_space:  global
        .offset:         0
        .size:           8
        .value_kind:     global_buffer
      - .offset:         8
        .size:           4
        .value_kind:     by_value
      - .offset:         12
        .size:           4
        .value_kind:     by_value
      - .offset:         16
        .size:           8
        .value_kind:     by_value
      - .address_space:  global
        .offset:         24
        .size:           8
        .value_kind:     global_buffer
      - .offset:         32
        .size:           4
        .value_kind:     by_value
      - .offset:         40
        .size:           8
        .value_kind:     by_value
      - .address_space:  global
        .offset:         48
        .size:           8
        .value_kind:     global_buffer
      - .offset:         56
        .size:           1
        .value_kind:     by_value
      - .offset:         57
        .size:           1
        .value_kind:     by_value
    .group_segment_fixed_size: 804
    .kernarg_segment_align: 8
    .kernarg_segment_size: 60
    .language:       OpenCL C
    .language_version:
      - 2
      - 0
    .max_flat_workgroup_size: 64
    .name:           _ZN9rocsolver6v33100L18getri_kernel_smallILi50E19rocblas_complex_numIfEPS3_EEvT1_iilPiilS6_bb
    .private_segment_fixed_size: 416
    .sgpr_count:     29
    .sgpr_spill_count: 0
    .symbol:         _ZN9rocsolver6v33100L18getri_kernel_smallILi50E19rocblas_complex_numIfEPS3_EEvT1_iilPiilS6_bb.kd
    .uniform_work_group_size: 1
    .uses_dynamic_stack: false
    .vgpr_count:     288
    .vgpr_spill_count: 0
    .wavefront_size: 64
  - .agpr_count:     40
    .args:
      - .address_space:  global
        .offset:         0
        .size:           8
        .value_kind:     global_buffer
      - .offset:         8
        .size:           4
        .value_kind:     by_value
      - .offset:         12
        .size:           4
        .value_kind:     by_value
      - .offset:         16
        .size:           8
        .value_kind:     by_value
      - .address_space:  global
        .offset:         24
        .size:           8
        .value_kind:     global_buffer
      - .offset:         32
        .size:           4
        .value_kind:     by_value
      - .offset:         40
        .size:           8
        .value_kind:     by_value
      - .address_space:  global
        .offset:         48
        .size:           8
        .value_kind:     global_buffer
      - .offset:         56
        .size:           1
        .value_kind:     by_value
      - .offset:         57
        .size:           1
        .value_kind:     by_value
    .group_segment_fixed_size: 824
    .kernarg_segment_align: 8
    .kernarg_segment_size: 60
    .language:       OpenCL C
    .language_version:
      - 2
      - 0
    .max_flat_workgroup_size: 64
    .name:           _ZN9rocsolver6v33100L18getri_kernel_smallILi51E19rocblas_complex_numIfEPS3_EEvT1_iilPiilS6_bb
    .private_segment_fixed_size: 416
    .sgpr_count:     29
    .sgpr_spill_count: 0
    .symbol:         _ZN9rocsolver6v33100L18getri_kernel_smallILi51E19rocblas_complex_numIfEPS3_EEvT1_iilPiilS6_bb.kd
    .uniform_work_group_size: 1
    .uses_dynamic_stack: false
    .vgpr_count:     296
    .vgpr_spill_count: 0
    .wavefront_size: 64
  - .agpr_count:     44
    .args:
      - .address_space:  global
        .offset:         0
        .size:           8
        .value_kind:     global_buffer
      - .offset:         8
        .size:           4
        .value_kind:     by_value
      - .offset:         12
        .size:           4
        .value_kind:     by_value
      - .offset:         16
        .size:           8
        .value_kind:     by_value
      - .address_space:  global
        .offset:         24
        .size:           8
        .value_kind:     global_buffer
      - .offset:         32
        .size:           4
        .value_kind:     by_value
      - .offset:         40
        .size:           8
        .value_kind:     by_value
      - .address_space:  global
        .offset:         48
        .size:           8
        .value_kind:     global_buffer
      - .offset:         56
        .size:           1
        .value_kind:     by_value
      - .offset:         57
        .size:           1
        .value_kind:     by_value
    .group_segment_fixed_size: 836
    .kernarg_segment_align: 8
    .kernarg_segment_size: 60
    .language:       OpenCL C
    .language_version:
      - 2
      - 0
    .max_flat_workgroup_size: 64
    .name:           _ZN9rocsolver6v33100L18getri_kernel_smallILi52E19rocblas_complex_numIfEPS3_EEvT1_iilPiilS6_bb
    .private_segment_fixed_size: 432
    .sgpr_count:     29
    .sgpr_spill_count: 0
    .symbol:         _ZN9rocsolver6v33100L18getri_kernel_smallILi52E19rocblas_complex_numIfEPS3_EEvT1_iilPiilS6_bb.kd
    .uniform_work_group_size: 1
    .uses_dynamic_stack: false
    .vgpr_count:     300
    .vgpr_spill_count: 0
    .wavefront_size: 64
  - .agpr_count:     49
    .args:
      - .address_space:  global
        .offset:         0
        .size:           8
        .value_kind:     global_buffer
      - .offset:         8
        .size:           4
        .value_kind:     by_value
      - .offset:         12
        .size:           4
        .value_kind:     by_value
      - .offset:         16
        .size:           8
        .value_kind:     by_value
      - .address_space:  global
        .offset:         24
        .size:           8
        .value_kind:     global_buffer
      - .offset:         32
        .size:           4
        .value_kind:     by_value
      - .offset:         40
        .size:           8
        .value_kind:     by_value
      - .address_space:  global
        .offset:         48
        .size:           8
        .value_kind:     global_buffer
      - .offset:         56
        .size:           1
        .value_kind:     by_value
      - .offset:         57
        .size:           1
        .value_kind:     by_value
    .group_segment_fixed_size: 856
    .kernarg_segment_align: 8
    .kernarg_segment_size: 60
    .language:       OpenCL C
    .language_version:
      - 2
      - 0
    .max_flat_workgroup_size: 64
    .name:           _ZN9rocsolver6v33100L18getri_kernel_smallILi53E19rocblas_complex_numIfEPS3_EEvT1_iilPiilS6_bb
    .private_segment_fixed_size: 432
    .sgpr_count:     29
    .sgpr_spill_count: 0
    .symbol:         _ZN9rocsolver6v33100L18getri_kernel_smallILi53E19rocblas_complex_numIfEPS3_EEvT1_iilPiilS6_bb.kd
    .uniform_work_group_size: 1
    .uses_dynamic_stack: false
    .vgpr_count:     305
    .vgpr_spill_count: 0
    .wavefront_size: 64
  - .agpr_count:     56
    .args:
      - .address_space:  global
        .offset:         0
        .size:           8
        .value_kind:     global_buffer
      - .offset:         8
        .size:           4
        .value_kind:     by_value
      - .offset:         12
        .size:           4
        .value_kind:     by_value
      - .offset:         16
        .size:           8
        .value_kind:     by_value
      - .address_space:  global
        .offset:         24
        .size:           8
        .value_kind:     global_buffer
      - .offset:         32
        .size:           4
        .value_kind:     by_value
      - .offset:         40
        .size:           8
        .value_kind:     by_value
      - .address_space:  global
        .offset:         48
        .size:           8
        .value_kind:     global_buffer
      - .offset:         56
        .size:           1
        .value_kind:     by_value
      - .offset:         57
        .size:           1
        .value_kind:     by_value
    .group_segment_fixed_size: 868
    .kernarg_segment_align: 8
    .kernarg_segment_size: 60
    .language:       OpenCL C
    .language_version:
      - 2
      - 0
    .max_flat_workgroup_size: 64
    .name:           _ZN9rocsolver6v33100L18getri_kernel_smallILi54E19rocblas_complex_numIfEPS3_EEvT1_iilPiilS6_bb
    .private_segment_fixed_size: 448
    .sgpr_count:     29
    .sgpr_spill_count: 0
    .symbol:         _ZN9rocsolver6v33100L18getri_kernel_smallILi54E19rocblas_complex_numIfEPS3_EEvT1_iilPiilS6_bb.kd
    .uniform_work_group_size: 1
    .uses_dynamic_stack: false
    .vgpr_count:     312
    .vgpr_spill_count: 0
    .wavefront_size: 64
  - .agpr_count:     64
    .args:
      - .address_space:  global
        .offset:         0
        .size:           8
        .value_kind:     global_buffer
      - .offset:         8
        .size:           4
        .value_kind:     by_value
      - .offset:         12
        .size:           4
        .value_kind:     by_value
      - .offset:         16
        .size:           8
        .value_kind:     by_value
      - .address_space:  global
        .offset:         24
        .size:           8
        .value_kind:     global_buffer
      - .offset:         32
        .size:           4
        .value_kind:     by_value
      - .offset:         40
        .size:           8
        .value_kind:     by_value
      - .address_space:  global
        .offset:         48
        .size:           8
        .value_kind:     global_buffer
      - .offset:         56
        .size:           1
        .value_kind:     by_value
      - .offset:         57
        .size:           1
        .value_kind:     by_value
    .group_segment_fixed_size: 888
    .kernarg_segment_align: 8
    .kernarg_segment_size: 60
    .language:       OpenCL C
    .language_version:
      - 2
      - 0
    .max_flat_workgroup_size: 64
    .name:           _ZN9rocsolver6v33100L18getri_kernel_smallILi55E19rocblas_complex_numIfEPS3_EEvT1_iilPiilS6_bb
    .private_segment_fixed_size: 448
    .sgpr_count:     29
    .sgpr_spill_count: 0
    .symbol:         _ZN9rocsolver6v33100L18getri_kernel_smallILi55E19rocblas_complex_numIfEPS3_EEvT1_iilPiilS6_bb.kd
    .uniform_work_group_size: 1
    .uses_dynamic_stack: false
    .vgpr_count:     320
    .vgpr_spill_count: 0
    .wavefront_size: 64
  - .agpr_count:     68
    .args:
      - .address_space:  global
        .offset:         0
        .size:           8
        .value_kind:     global_buffer
      - .offset:         8
        .size:           4
        .value_kind:     by_value
      - .offset:         12
        .size:           4
        .value_kind:     by_value
      - .offset:         16
        .size:           8
        .value_kind:     by_value
      - .address_space:  global
        .offset:         24
        .size:           8
        .value_kind:     global_buffer
      - .offset:         32
        .size:           4
        .value_kind:     by_value
      - .offset:         40
        .size:           8
        .value_kind:     by_value
      - .address_space:  global
        .offset:         48
        .size:           8
        .value_kind:     global_buffer
      - .offset:         56
        .size:           1
        .value_kind:     by_value
      - .offset:         57
        .size:           1
        .value_kind:     by_value
    .group_segment_fixed_size: 900
    .kernarg_segment_align: 8
    .kernarg_segment_size: 60
    .language:       OpenCL C
    .language_version:
      - 2
      - 0
    .max_flat_workgroup_size: 64
    .name:           _ZN9rocsolver6v33100L18getri_kernel_smallILi56E19rocblas_complex_numIfEPS3_EEvT1_iilPiilS6_bb
    .private_segment_fixed_size: 464
    .sgpr_count:     29
    .sgpr_spill_count: 0
    .symbol:         _ZN9rocsolver6v33100L18getri_kernel_smallILi56E19rocblas_complex_numIfEPS3_EEvT1_iilPiilS6_bb.kd
    .uniform_work_group_size: 1
    .uses_dynamic_stack: false
    .vgpr_count:     324
    .vgpr_spill_count: 0
    .wavefront_size: 64
  - .agpr_count:     72
    .args:
      - .address_space:  global
        .offset:         0
        .size:           8
        .value_kind:     global_buffer
      - .offset:         8
        .size:           4
        .value_kind:     by_value
      - .offset:         12
        .size:           4
        .value_kind:     by_value
      - .offset:         16
        .size:           8
        .value_kind:     by_value
      - .address_space:  global
        .offset:         24
        .size:           8
        .value_kind:     global_buffer
      - .offset:         32
        .size:           4
        .value_kind:     by_value
      - .offset:         40
        .size:           8
        .value_kind:     by_value
      - .address_space:  global
        .offset:         48
        .size:           8
        .value_kind:     global_buffer
      - .offset:         56
        .size:           1
        .value_kind:     by_value
      - .offset:         57
        .size:           1
        .value_kind:     by_value
    .group_segment_fixed_size: 920
    .kernarg_segment_align: 8
    .kernarg_segment_size: 60
    .language:       OpenCL C
    .language_version:
      - 2
      - 0
    .max_flat_workgroup_size: 64
    .name:           _ZN9rocsolver6v33100L18getri_kernel_smallILi57E19rocblas_complex_numIfEPS3_EEvT1_iilPiilS6_bb
    .private_segment_fixed_size: 464
    .sgpr_count:     29
    .sgpr_spill_count: 0
    .symbol:         _ZN9rocsolver6v33100L18getri_kernel_smallILi57E19rocblas_complex_numIfEPS3_EEvT1_iilPiilS6_bb.kd
    .uniform_work_group_size: 1
    .uses_dynamic_stack: false
    .vgpr_count:     328
    .vgpr_spill_count: 0
    .wavefront_size: 64
  - .agpr_count:     80
    .args:
      - .address_space:  global
        .offset:         0
        .size:           8
        .value_kind:     global_buffer
      - .offset:         8
        .size:           4
        .value_kind:     by_value
      - .offset:         12
        .size:           4
        .value_kind:     by_value
      - .offset:         16
        .size:           8
        .value_kind:     by_value
      - .address_space:  global
        .offset:         24
        .size:           8
        .value_kind:     global_buffer
      - .offset:         32
        .size:           4
        .value_kind:     by_value
      - .offset:         40
        .size:           8
        .value_kind:     by_value
      - .address_space:  global
        .offset:         48
        .size:           8
        .value_kind:     global_buffer
      - .offset:         56
        .size:           1
        .value_kind:     by_value
      - .offset:         57
        .size:           1
        .value_kind:     by_value
    .group_segment_fixed_size: 932
    .kernarg_segment_align: 8
    .kernarg_segment_size: 60
    .language:       OpenCL C
    .language_version:
      - 2
      - 0
    .max_flat_workgroup_size: 64
    .name:           _ZN9rocsolver6v33100L18getri_kernel_smallILi58E19rocblas_complex_numIfEPS3_EEvT1_iilPiilS6_bb
    .private_segment_fixed_size: 480
    .sgpr_count:     29
    .sgpr_spill_count: 0
    .symbol:         _ZN9rocsolver6v33100L18getri_kernel_smallILi58E19rocblas_complex_numIfEPS3_EEvT1_iilPiilS6_bb.kd
    .uniform_work_group_size: 1
    .uses_dynamic_stack: false
    .vgpr_count:     336
    .vgpr_spill_count: 0
    .wavefront_size: 64
  - .agpr_count:     88
    .args:
      - .address_space:  global
        .offset:         0
        .size:           8
        .value_kind:     global_buffer
      - .offset:         8
        .size:           4
        .value_kind:     by_value
      - .offset:         12
        .size:           4
        .value_kind:     by_value
      - .offset:         16
        .size:           8
        .value_kind:     by_value
      - .address_space:  global
        .offset:         24
        .size:           8
        .value_kind:     global_buffer
      - .offset:         32
        .size:           4
        .value_kind:     by_value
      - .offset:         40
        .size:           8
        .value_kind:     by_value
      - .address_space:  global
        .offset:         48
        .size:           8
        .value_kind:     global_buffer
      - .offset:         56
        .size:           1
        .value_kind:     by_value
      - .offset:         57
        .size:           1
        .value_kind:     by_value
    .group_segment_fixed_size: 952
    .kernarg_segment_align: 8
    .kernarg_segment_size: 60
    .language:       OpenCL C
    .language_version:
      - 2
      - 0
    .max_flat_workgroup_size: 64
    .name:           _ZN9rocsolver6v33100L18getri_kernel_smallILi59E19rocblas_complex_numIfEPS3_EEvT1_iilPiilS6_bb
    .private_segment_fixed_size: 480
    .sgpr_count:     29
    .sgpr_spill_count: 0
    .symbol:         _ZN9rocsolver6v33100L18getri_kernel_smallILi59E19rocblas_complex_numIfEPS3_EEvT1_iilPiilS6_bb.kd
    .uniform_work_group_size: 1
    .uses_dynamic_stack: false
    .vgpr_count:     344
    .vgpr_spill_count: 0
    .wavefront_size: 64
  - .agpr_count:     92
    .args:
      - .address_space:  global
        .offset:         0
        .size:           8
        .value_kind:     global_buffer
      - .offset:         8
        .size:           4
        .value_kind:     by_value
      - .offset:         12
        .size:           4
        .value_kind:     by_value
      - .offset:         16
        .size:           8
        .value_kind:     by_value
      - .address_space:  global
        .offset:         24
        .size:           8
        .value_kind:     global_buffer
      - .offset:         32
        .size:           4
        .value_kind:     by_value
      - .offset:         40
        .size:           8
        .value_kind:     by_value
      - .address_space:  global
        .offset:         48
        .size:           8
        .value_kind:     global_buffer
      - .offset:         56
        .size:           1
        .value_kind:     by_value
      - .offset:         57
        .size:           1
        .value_kind:     by_value
    .group_segment_fixed_size: 964
    .kernarg_segment_align: 8
    .kernarg_segment_size: 60
    .language:       OpenCL C
    .language_version:
      - 2
      - 0
    .max_flat_workgroup_size: 64
    .name:           _ZN9rocsolver6v33100L18getri_kernel_smallILi60E19rocblas_complex_numIfEPS3_EEvT1_iilPiilS6_bb
    .private_segment_fixed_size: 496
    .sgpr_count:     29
    .sgpr_spill_count: 0
    .symbol:         _ZN9rocsolver6v33100L18getri_kernel_smallILi60E19rocblas_complex_numIfEPS3_EEvT1_iilPiilS6_bb.kd
    .uniform_work_group_size: 1
    .uses_dynamic_stack: false
    .vgpr_count:     348
    .vgpr_spill_count: 0
    .wavefront_size: 64
  - .agpr_count:     96
    .args:
      - .address_space:  global
        .offset:         0
        .size:           8
        .value_kind:     global_buffer
      - .offset:         8
        .size:           4
        .value_kind:     by_value
      - .offset:         12
        .size:           4
        .value_kind:     by_value
      - .offset:         16
        .size:           8
        .value_kind:     by_value
      - .address_space:  global
        .offset:         24
        .size:           8
        .value_kind:     global_buffer
      - .offset:         32
        .size:           4
        .value_kind:     by_value
      - .offset:         40
        .size:           8
        .value_kind:     by_value
      - .address_space:  global
        .offset:         48
        .size:           8
        .value_kind:     global_buffer
      - .offset:         56
        .size:           1
        .value_kind:     by_value
      - .offset:         57
        .size:           1
        .value_kind:     by_value
    .group_segment_fixed_size: 984
    .kernarg_segment_align: 8
    .kernarg_segment_size: 60
    .language:       OpenCL C
    .language_version:
      - 2
      - 0
    .max_flat_workgroup_size: 64
    .name:           _ZN9rocsolver6v33100L18getri_kernel_smallILi61E19rocblas_complex_numIfEPS3_EEvT1_iilPiilS6_bb
    .private_segment_fixed_size: 496
    .sgpr_count:     29
    .sgpr_spill_count: 0
    .symbol:         _ZN9rocsolver6v33100L18getri_kernel_smallILi61E19rocblas_complex_numIfEPS3_EEvT1_iilPiilS6_bb.kd
    .uniform_work_group_size: 1
    .uses_dynamic_stack: false
    .vgpr_count:     352
    .vgpr_spill_count: 0
    .wavefront_size: 64
  - .agpr_count:     104
    .args:
      - .address_space:  global
        .offset:         0
        .size:           8
        .value_kind:     global_buffer
      - .offset:         8
        .size:           4
        .value_kind:     by_value
      - .offset:         12
        .size:           4
        .value_kind:     by_value
      - .offset:         16
        .size:           8
        .value_kind:     by_value
      - .address_space:  global
        .offset:         24
        .size:           8
        .value_kind:     global_buffer
      - .offset:         32
        .size:           4
        .value_kind:     by_value
      - .offset:         40
        .size:           8
        .value_kind:     by_value
      - .address_space:  global
        .offset:         48
        .size:           8
        .value_kind:     global_buffer
      - .offset:         56
        .size:           1
        .value_kind:     by_value
      - .offset:         57
        .size:           1
        .value_kind:     by_value
    .group_segment_fixed_size: 996
    .kernarg_segment_align: 8
    .kernarg_segment_size: 60
    .language:       OpenCL C
    .language_version:
      - 2
      - 0
    .max_flat_workgroup_size: 64
    .name:           _ZN9rocsolver6v33100L18getri_kernel_smallILi62E19rocblas_complex_numIfEPS3_EEvT1_iilPiilS6_bb
    .private_segment_fixed_size: 512
    .sgpr_count:     29
    .sgpr_spill_count: 0
    .symbol:         _ZN9rocsolver6v33100L18getri_kernel_smallILi62E19rocblas_complex_numIfEPS3_EEvT1_iilPiilS6_bb.kd
    .uniform_work_group_size: 1
    .uses_dynamic_stack: false
    .vgpr_count:     360
    .vgpr_spill_count: 0
    .wavefront_size: 64
  - .agpr_count:     112
    .args:
      - .address_space:  global
        .offset:         0
        .size:           8
        .value_kind:     global_buffer
      - .offset:         8
        .size:           4
        .value_kind:     by_value
      - .offset:         12
        .size:           4
        .value_kind:     by_value
      - .offset:         16
        .size:           8
        .value_kind:     by_value
      - .address_space:  global
        .offset:         24
        .size:           8
        .value_kind:     global_buffer
      - .offset:         32
        .size:           4
        .value_kind:     by_value
      - .offset:         40
        .size:           8
        .value_kind:     by_value
      - .address_space:  global
        .offset:         48
        .size:           8
        .value_kind:     global_buffer
      - .offset:         56
        .size:           1
        .value_kind:     by_value
      - .offset:         57
        .size:           1
        .value_kind:     by_value
    .group_segment_fixed_size: 1016
    .kernarg_segment_align: 8
    .kernarg_segment_size: 60
    .language:       OpenCL C
    .language_version:
      - 2
      - 0
    .max_flat_workgroup_size: 64
    .name:           _ZN9rocsolver6v33100L18getri_kernel_smallILi63E19rocblas_complex_numIfEPS3_EEvT1_iilPiilS6_bb
    .private_segment_fixed_size: 512
    .sgpr_count:     29
    .sgpr_spill_count: 0
    .symbol:         _ZN9rocsolver6v33100L18getri_kernel_smallILi63E19rocblas_complex_numIfEPS3_EEvT1_iilPiilS6_bb.kd
    .uniform_work_group_size: 1
    .uses_dynamic_stack: false
    .vgpr_count:     368
    .vgpr_spill_count: 0
    .wavefront_size: 64
  - .agpr_count:     114
    .args:
      - .address_space:  global
        .offset:         0
        .size:           8
        .value_kind:     global_buffer
      - .offset:         8
        .size:           4
        .value_kind:     by_value
      - .offset:         12
        .size:           4
        .value_kind:     by_value
      - .offset:         16
        .size:           8
        .value_kind:     by_value
      - .address_space:  global
        .offset:         24
        .size:           8
        .value_kind:     global_buffer
      - .offset:         32
        .size:           4
        .value_kind:     by_value
      - .offset:         40
        .size:           8
        .value_kind:     by_value
      - .address_space:  global
        .offset:         48
        .size:           8
        .value_kind:     global_buffer
      - .offset:         56
        .size:           1
        .value_kind:     by_value
      - .offset:         57
        .size:           1
        .value_kind:     by_value
    .group_segment_fixed_size: 1028
    .kernarg_segment_align: 8
    .kernarg_segment_size: 60
    .language:       OpenCL C
    .language_version:
      - 2
      - 0
    .max_flat_workgroup_size: 64
    .name:           _ZN9rocsolver6v33100L18getri_kernel_smallILi64E19rocblas_complex_numIfEPS3_EEvT1_iilPiilS6_bb
    .private_segment_fixed_size: 528
    .sgpr_count:     29
    .sgpr_spill_count: 0
    .symbol:         _ZN9rocsolver6v33100L18getri_kernel_smallILi64E19rocblas_complex_numIfEPS3_EEvT1_iilPiilS6_bb.kd
    .uniform_work_group_size: 1
    .uses_dynamic_stack: false
    .vgpr_count:     370
    .vgpr_spill_count: 0
    .wavefront_size: 64
  - .agpr_count:     0
    .args:
      - .address_space:  global
        .offset:         0
        .size:           8
        .value_kind:     global_buffer
      - .offset:         8
        .size:           4
        .value_kind:     by_value
      - .offset:         12
        .size:           4
        .value_kind:     by_value
      - .offset:         16
        .size:           8
        .value_kind:     by_value
      - .address_space:  global
        .offset:         24
        .size:           8
        .value_kind:     global_buffer
      - .offset:         32
        .size:           4
        .value_kind:     by_value
      - .offset:         40
        .size:           8
        .value_kind:     by_value
      - .address_space:  global
        .offset:         48
        .size:           8
        .value_kind:     global_buffer
      - .offset:         56
        .size:           1
        .value_kind:     by_value
      - .offset:         57
        .size:           1
        .value_kind:     by_value
    .group_segment_fixed_size: 4
    .kernarg_segment_align: 8
    .kernarg_segment_size: 60
    .language:       OpenCL C
    .language_version:
      - 2
      - 0
    .max_flat_workgroup_size: 64
    .name:           _ZN9rocsolver6v33100L18getri_kernel_smallILi1E19rocblas_complex_numIfEPKPS3_EEvT1_iilPiilS8_bb
    .private_segment_fixed_size: 0
    .sgpr_count:     18
    .sgpr_spill_count: 0
    .symbol:         _ZN9rocsolver6v33100L18getri_kernel_smallILi1E19rocblas_complex_numIfEPKPS3_EEvT1_iilPiilS8_bb.kd
    .uniform_work_group_size: 1
    .uses_dynamic_stack: false
    .vgpr_count:     7
    .vgpr_spill_count: 0
    .wavefront_size: 64
  - .agpr_count:     0
    .args:
      - .address_space:  global
        .offset:         0
        .size:           8
        .value_kind:     global_buffer
      - .offset:         8
        .size:           4
        .value_kind:     by_value
      - .offset:         12
        .size:           4
        .value_kind:     by_value
      - .offset:         16
        .size:           8
        .value_kind:     by_value
      - .address_space:  global
        .offset:         24
        .size:           8
        .value_kind:     global_buffer
      - .offset:         32
        .size:           4
        .value_kind:     by_value
      - .offset:         40
        .size:           8
        .value_kind:     by_value
      - .address_space:  global
        .offset:         48
        .size:           8
        .value_kind:     global_buffer
      - .offset:         56
        .size:           1
        .value_kind:     by_value
      - .offset:         57
        .size:           1
        .value_kind:     by_value
    .group_segment_fixed_size: 36
    .kernarg_segment_align: 8
    .kernarg_segment_size: 60
    .language:       OpenCL C
    .language_version:
      - 2
      - 0
    .max_flat_workgroup_size: 64
    .name:           _ZN9rocsolver6v33100L18getri_kernel_smallILi2E19rocblas_complex_numIfEPKPS3_EEvT1_iilPiilS8_bb
    .private_segment_fixed_size: 32
    .sgpr_count:     28
    .sgpr_spill_count: 0
    .symbol:         _ZN9rocsolver6v33100L18getri_kernel_smallILi2E19rocblas_complex_numIfEPKPS3_EEvT1_iilPiilS8_bb.kd
    .uniform_work_group_size: 1
    .uses_dynamic_stack: false
    .vgpr_count:     14
    .vgpr_spill_count: 0
    .wavefront_size: 64
  - .agpr_count:     0
    .args:
      - .address_space:  global
        .offset:         0
        .size:           8
        .value_kind:     global_buffer
      - .offset:         8
        .size:           4
        .value_kind:     by_value
      - .offset:         12
        .size:           4
        .value_kind:     by_value
      - .offset:         16
        .size:           8
        .value_kind:     by_value
      - .address_space:  global
        .offset:         24
        .size:           8
        .value_kind:     global_buffer
      - .offset:         32
        .size:           4
        .value_kind:     by_value
      - .offset:         40
        .size:           8
        .value_kind:     by_value
      - .address_space:  global
        .offset:         48
        .size:           8
        .value_kind:     global_buffer
      - .offset:         56
        .size:           1
        .value_kind:     by_value
      - .offset:         57
        .size:           1
        .value_kind:     by_value
    .group_segment_fixed_size: 56
    .kernarg_segment_align: 8
    .kernarg_segment_size: 60
    .language:       OpenCL C
    .language_version:
      - 2
      - 0
    .max_flat_workgroup_size: 64
    .name:           _ZN9rocsolver6v33100L18getri_kernel_smallILi3E19rocblas_complex_numIfEPKPS3_EEvT1_iilPiilS8_bb
    .private_segment_fixed_size: 32
    .sgpr_count:     28
    .sgpr_spill_count: 0
    .symbol:         _ZN9rocsolver6v33100L18getri_kernel_smallILi3E19rocblas_complex_numIfEPKPS3_EEvT1_iilPiilS8_bb.kd
    .uniform_work_group_size: 1
    .uses_dynamic_stack: false
    .vgpr_count:     22
    .vgpr_spill_count: 0
    .wavefront_size: 64
  - .agpr_count:     0
    .args:
      - .address_space:  global
        .offset:         0
        .size:           8
        .value_kind:     global_buffer
      - .offset:         8
        .size:           4
        .value_kind:     by_value
      - .offset:         12
        .size:           4
        .value_kind:     by_value
      - .offset:         16
        .size:           8
        .value_kind:     by_value
      - .address_space:  global
        .offset:         24
        .size:           8
        .value_kind:     global_buffer
      - .offset:         32
        .size:           4
        .value_kind:     by_value
      - .offset:         40
        .size:           8
        .value_kind:     by_value
      - .address_space:  global
        .offset:         48
        .size:           8
        .value_kind:     global_buffer
      - .offset:         56
        .size:           1
        .value_kind:     by_value
      - .offset:         57
        .size:           1
        .value_kind:     by_value
    .group_segment_fixed_size: 68
    .kernarg_segment_align: 8
    .kernarg_segment_size: 60
    .language:       OpenCL C
    .language_version:
      - 2
      - 0
    .max_flat_workgroup_size: 64
    .name:           _ZN9rocsolver6v33100L18getri_kernel_smallILi4E19rocblas_complex_numIfEPKPS3_EEvT1_iilPiilS8_bb
    .private_segment_fixed_size: 48
    .sgpr_count:     28
    .sgpr_spill_count: 0
    .symbol:         _ZN9rocsolver6v33100L18getri_kernel_smallILi4E19rocblas_complex_numIfEPKPS3_EEvT1_iilPiilS8_bb.kd
    .uniform_work_group_size: 1
    .uses_dynamic_stack: false
    .vgpr_count:     30
    .vgpr_spill_count: 0
    .wavefront_size: 64
  - .agpr_count:     0
    .args:
      - .address_space:  global
        .offset:         0
        .size:           8
        .value_kind:     global_buffer
      - .offset:         8
        .size:           4
        .value_kind:     by_value
      - .offset:         12
        .size:           4
        .value_kind:     by_value
      - .offset:         16
        .size:           8
        .value_kind:     by_value
      - .address_space:  global
        .offset:         24
        .size:           8
        .value_kind:     global_buffer
      - .offset:         32
        .size:           4
        .value_kind:     by_value
      - .offset:         40
        .size:           8
        .value_kind:     by_value
      - .address_space:  global
        .offset:         48
        .size:           8
        .value_kind:     global_buffer
      - .offset:         56
        .size:           1
        .value_kind:     by_value
      - .offset:         57
        .size:           1
        .value_kind:     by_value
    .group_segment_fixed_size: 88
    .kernarg_segment_align: 8
    .kernarg_segment_size: 60
    .language:       OpenCL C
    .language_version:
      - 2
      - 0
    .max_flat_workgroup_size: 64
    .name:           _ZN9rocsolver6v33100L18getri_kernel_smallILi5E19rocblas_complex_numIfEPKPS3_EEvT1_iilPiilS8_bb
    .private_segment_fixed_size: 48
    .sgpr_count:     28
    .sgpr_spill_count: 0
    .symbol:         _ZN9rocsolver6v33100L18getri_kernel_smallILi5E19rocblas_complex_numIfEPKPS3_EEvT1_iilPiilS8_bb.kd
    .uniform_work_group_size: 1
    .uses_dynamic_stack: false
    .vgpr_count:     38
    .vgpr_spill_count: 0
    .wavefront_size: 64
  - .agpr_count:     0
    .args:
      - .address_space:  global
        .offset:         0
        .size:           8
        .value_kind:     global_buffer
      - .offset:         8
        .size:           4
        .value_kind:     by_value
      - .offset:         12
        .size:           4
        .value_kind:     by_value
      - .offset:         16
        .size:           8
        .value_kind:     by_value
      - .address_space:  global
        .offset:         24
        .size:           8
        .value_kind:     global_buffer
      - .offset:         32
        .size:           4
        .value_kind:     by_value
      - .offset:         40
        .size:           8
        .value_kind:     by_value
      - .address_space:  global
        .offset:         48
        .size:           8
        .value_kind:     global_buffer
      - .offset:         56
        .size:           1
        .value_kind:     by_value
      - .offset:         57
        .size:           1
        .value_kind:     by_value
    .group_segment_fixed_size: 100
    .kernarg_segment_align: 8
    .kernarg_segment_size: 60
    .language:       OpenCL C
    .language_version:
      - 2
      - 0
    .max_flat_workgroup_size: 64
    .name:           _ZN9rocsolver6v33100L18getri_kernel_smallILi6E19rocblas_complex_numIfEPKPS3_EEvT1_iilPiilS8_bb
    .private_segment_fixed_size: 64
    .sgpr_count:     28
    .sgpr_spill_count: 0
    .symbol:         _ZN9rocsolver6v33100L18getri_kernel_smallILi6E19rocblas_complex_numIfEPKPS3_EEvT1_iilPiilS8_bb.kd
    .uniform_work_group_size: 1
    .uses_dynamic_stack: false
    .vgpr_count:     46
    .vgpr_spill_count: 0
    .wavefront_size: 64
  - .agpr_count:     0
    .args:
      - .address_space:  global
        .offset:         0
        .size:           8
        .value_kind:     global_buffer
      - .offset:         8
        .size:           4
        .value_kind:     by_value
      - .offset:         12
        .size:           4
        .value_kind:     by_value
      - .offset:         16
        .size:           8
        .value_kind:     by_value
      - .address_space:  global
        .offset:         24
        .size:           8
        .value_kind:     global_buffer
      - .offset:         32
        .size:           4
        .value_kind:     by_value
      - .offset:         40
        .size:           8
        .value_kind:     by_value
      - .address_space:  global
        .offset:         48
        .size:           8
        .value_kind:     global_buffer
      - .offset:         56
        .size:           1
        .value_kind:     by_value
      - .offset:         57
        .size:           1
        .value_kind:     by_value
    .group_segment_fixed_size: 120
    .kernarg_segment_align: 8
    .kernarg_segment_size: 60
    .language:       OpenCL C
    .language_version:
      - 2
      - 0
    .max_flat_workgroup_size: 64
    .name:           _ZN9rocsolver6v33100L18getri_kernel_smallILi7E19rocblas_complex_numIfEPKPS3_EEvT1_iilPiilS8_bb
    .private_segment_fixed_size: 64
    .sgpr_count:     28
    .sgpr_spill_count: 0
    .symbol:         _ZN9rocsolver6v33100L18getri_kernel_smallILi7E19rocblas_complex_numIfEPKPS3_EEvT1_iilPiilS8_bb.kd
    .uniform_work_group_size: 1
    .uses_dynamic_stack: false
    .vgpr_count:     54
    .vgpr_spill_count: 0
    .wavefront_size: 64
  - .agpr_count:     0
    .args:
      - .address_space:  global
        .offset:         0
        .size:           8
        .value_kind:     global_buffer
      - .offset:         8
        .size:           4
        .value_kind:     by_value
      - .offset:         12
        .size:           4
        .value_kind:     by_value
      - .offset:         16
        .size:           8
        .value_kind:     by_value
      - .address_space:  global
        .offset:         24
        .size:           8
        .value_kind:     global_buffer
      - .offset:         32
        .size:           4
        .value_kind:     by_value
      - .offset:         40
        .size:           8
        .value_kind:     by_value
      - .address_space:  global
        .offset:         48
        .size:           8
        .value_kind:     global_buffer
      - .offset:         56
        .size:           1
        .value_kind:     by_value
      - .offset:         57
        .size:           1
        .value_kind:     by_value
    .group_segment_fixed_size: 132
    .kernarg_segment_align: 8
    .kernarg_segment_size: 60
    .language:       OpenCL C
    .language_version:
      - 2
      - 0
    .max_flat_workgroup_size: 64
    .name:           _ZN9rocsolver6v33100L18getri_kernel_smallILi8E19rocblas_complex_numIfEPKPS3_EEvT1_iilPiilS8_bb
    .private_segment_fixed_size: 80
    .sgpr_count:     28
    .sgpr_spill_count: 0
    .symbol:         _ZN9rocsolver6v33100L18getri_kernel_smallILi8E19rocblas_complex_numIfEPKPS3_EEvT1_iilPiilS8_bb.kd
    .uniform_work_group_size: 1
    .uses_dynamic_stack: false
    .vgpr_count:     62
    .vgpr_spill_count: 0
    .wavefront_size: 64
  - .agpr_count:     0
    .args:
      - .address_space:  global
        .offset:         0
        .size:           8
        .value_kind:     global_buffer
      - .offset:         8
        .size:           4
        .value_kind:     by_value
      - .offset:         12
        .size:           4
        .value_kind:     by_value
      - .offset:         16
        .size:           8
        .value_kind:     by_value
      - .address_space:  global
        .offset:         24
        .size:           8
        .value_kind:     global_buffer
      - .offset:         32
        .size:           4
        .value_kind:     by_value
      - .offset:         40
        .size:           8
        .value_kind:     by_value
      - .address_space:  global
        .offset:         48
        .size:           8
        .value_kind:     global_buffer
      - .offset:         56
        .size:           1
        .value_kind:     by_value
      - .offset:         57
        .size:           1
        .value_kind:     by_value
    .group_segment_fixed_size: 152
    .kernarg_segment_align: 8
    .kernarg_segment_size: 60
    .language:       OpenCL C
    .language_version:
      - 2
      - 0
    .max_flat_workgroup_size: 64
    .name:           _ZN9rocsolver6v33100L18getri_kernel_smallILi9E19rocblas_complex_numIfEPKPS3_EEvT1_iilPiilS8_bb
    .private_segment_fixed_size: 80
    .sgpr_count:     28
    .sgpr_spill_count: 0
    .symbol:         _ZN9rocsolver6v33100L18getri_kernel_smallILi9E19rocblas_complex_numIfEPKPS3_EEvT1_iilPiilS8_bb.kd
    .uniform_work_group_size: 1
    .uses_dynamic_stack: false
    .vgpr_count:     70
    .vgpr_spill_count: 0
    .wavefront_size: 64
  - .agpr_count:     0
    .args:
      - .address_space:  global
        .offset:         0
        .size:           8
        .value_kind:     global_buffer
      - .offset:         8
        .size:           4
        .value_kind:     by_value
      - .offset:         12
        .size:           4
        .value_kind:     by_value
      - .offset:         16
        .size:           8
        .value_kind:     by_value
      - .address_space:  global
        .offset:         24
        .size:           8
        .value_kind:     global_buffer
      - .offset:         32
        .size:           4
        .value_kind:     by_value
      - .offset:         40
        .size:           8
        .value_kind:     by_value
      - .address_space:  global
        .offset:         48
        .size:           8
        .value_kind:     global_buffer
      - .offset:         56
        .size:           1
        .value_kind:     by_value
      - .offset:         57
        .size:           1
        .value_kind:     by_value
    .group_segment_fixed_size: 164
    .kernarg_segment_align: 8
    .kernarg_segment_size: 60
    .language:       OpenCL C
    .language_version:
      - 2
      - 0
    .max_flat_workgroup_size: 64
    .name:           _ZN9rocsolver6v33100L18getri_kernel_smallILi10E19rocblas_complex_numIfEPKPS3_EEvT1_iilPiilS8_bb
    .private_segment_fixed_size: 96
    .sgpr_count:     28
    .sgpr_spill_count: 0
    .symbol:         _ZN9rocsolver6v33100L18getri_kernel_smallILi10E19rocblas_complex_numIfEPKPS3_EEvT1_iilPiilS8_bb.kd
    .uniform_work_group_size: 1
    .uses_dynamic_stack: false
    .vgpr_count:     74
    .vgpr_spill_count: 0
    .wavefront_size: 64
  - .agpr_count:     0
    .args:
      - .address_space:  global
        .offset:         0
        .size:           8
        .value_kind:     global_buffer
      - .offset:         8
        .size:           4
        .value_kind:     by_value
      - .offset:         12
        .size:           4
        .value_kind:     by_value
      - .offset:         16
        .size:           8
        .value_kind:     by_value
      - .address_space:  global
        .offset:         24
        .size:           8
        .value_kind:     global_buffer
      - .offset:         32
        .size:           4
        .value_kind:     by_value
      - .offset:         40
        .size:           8
        .value_kind:     by_value
      - .address_space:  global
        .offset:         48
        .size:           8
        .value_kind:     global_buffer
      - .offset:         56
        .size:           1
        .value_kind:     by_value
      - .offset:         57
        .size:           1
        .value_kind:     by_value
    .group_segment_fixed_size: 184
    .kernarg_segment_align: 8
    .kernarg_segment_size: 60
    .language:       OpenCL C
    .language_version:
      - 2
      - 0
    .max_flat_workgroup_size: 64
    .name:           _ZN9rocsolver6v33100L18getri_kernel_smallILi11E19rocblas_complex_numIfEPKPS3_EEvT1_iilPiilS8_bb
    .private_segment_fixed_size: 96
    .sgpr_count:     28
    .sgpr_spill_count: 0
    .symbol:         _ZN9rocsolver6v33100L18getri_kernel_smallILi11E19rocblas_complex_numIfEPKPS3_EEvT1_iilPiilS8_bb.kd
    .uniform_work_group_size: 1
    .uses_dynamic_stack: false
    .vgpr_count:     80
    .vgpr_spill_count: 0
    .wavefront_size: 64
  - .agpr_count:     0
    .args:
      - .address_space:  global
        .offset:         0
        .size:           8
        .value_kind:     global_buffer
      - .offset:         8
        .size:           4
        .value_kind:     by_value
      - .offset:         12
        .size:           4
        .value_kind:     by_value
      - .offset:         16
        .size:           8
        .value_kind:     by_value
      - .address_space:  global
        .offset:         24
        .size:           8
        .value_kind:     global_buffer
      - .offset:         32
        .size:           4
        .value_kind:     by_value
      - .offset:         40
        .size:           8
        .value_kind:     by_value
      - .address_space:  global
        .offset:         48
        .size:           8
        .value_kind:     global_buffer
      - .offset:         56
        .size:           1
        .value_kind:     by_value
      - .offset:         57
        .size:           1
        .value_kind:     by_value
    .group_segment_fixed_size: 196
    .kernarg_segment_align: 8
    .kernarg_segment_size: 60
    .language:       OpenCL C
    .language_version:
      - 2
      - 0
    .max_flat_workgroup_size: 64
    .name:           _ZN9rocsolver6v33100L18getri_kernel_smallILi12E19rocblas_complex_numIfEPKPS3_EEvT1_iilPiilS8_bb
    .private_segment_fixed_size: 112
    .sgpr_count:     28
    .sgpr_spill_count: 0
    .symbol:         _ZN9rocsolver6v33100L18getri_kernel_smallILi12E19rocblas_complex_numIfEPKPS3_EEvT1_iilPiilS8_bb.kd
    .uniform_work_group_size: 1
    .uses_dynamic_stack: false
    .vgpr_count:     84
    .vgpr_spill_count: 0
    .wavefront_size: 64
  - .agpr_count:     0
    .args:
      - .address_space:  global
        .offset:         0
        .size:           8
        .value_kind:     global_buffer
      - .offset:         8
        .size:           4
        .value_kind:     by_value
      - .offset:         12
        .size:           4
        .value_kind:     by_value
      - .offset:         16
        .size:           8
        .value_kind:     by_value
      - .address_space:  global
        .offset:         24
        .size:           8
        .value_kind:     global_buffer
      - .offset:         32
        .size:           4
        .value_kind:     by_value
      - .offset:         40
        .size:           8
        .value_kind:     by_value
      - .address_space:  global
        .offset:         48
        .size:           8
        .value_kind:     global_buffer
      - .offset:         56
        .size:           1
        .value_kind:     by_value
      - .offset:         57
        .size:           1
        .value_kind:     by_value
    .group_segment_fixed_size: 216
    .kernarg_segment_align: 8
    .kernarg_segment_size: 60
    .language:       OpenCL C
    .language_version:
      - 2
      - 0
    .max_flat_workgroup_size: 64
    .name:           _ZN9rocsolver6v33100L18getri_kernel_smallILi13E19rocblas_complex_numIfEPKPS3_EEvT1_iilPiilS8_bb
    .private_segment_fixed_size: 112
    .sgpr_count:     28
    .sgpr_spill_count: 0
    .symbol:         _ZN9rocsolver6v33100L18getri_kernel_smallILi13E19rocblas_complex_numIfEPKPS3_EEvT1_iilPiilS8_bb.kd
    .uniform_work_group_size: 1
    .uses_dynamic_stack: false
    .vgpr_count:     90
    .vgpr_spill_count: 0
    .wavefront_size: 64
  - .agpr_count:     0
    .args:
      - .address_space:  global
        .offset:         0
        .size:           8
        .value_kind:     global_buffer
      - .offset:         8
        .size:           4
        .value_kind:     by_value
      - .offset:         12
        .size:           4
        .value_kind:     by_value
      - .offset:         16
        .size:           8
        .value_kind:     by_value
      - .address_space:  global
        .offset:         24
        .size:           8
        .value_kind:     global_buffer
      - .offset:         32
        .size:           4
        .value_kind:     by_value
      - .offset:         40
        .size:           8
        .value_kind:     by_value
      - .address_space:  global
        .offset:         48
        .size:           8
        .value_kind:     global_buffer
      - .offset:         56
        .size:           1
        .value_kind:     by_value
      - .offset:         57
        .size:           1
        .value_kind:     by_value
    .group_segment_fixed_size: 228
    .kernarg_segment_align: 8
    .kernarg_segment_size: 60
    .language:       OpenCL C
    .language_version:
      - 2
      - 0
    .max_flat_workgroup_size: 64
    .name:           _ZN9rocsolver6v33100L18getri_kernel_smallILi14E19rocblas_complex_numIfEPKPS3_EEvT1_iilPiilS8_bb
    .private_segment_fixed_size: 128
    .sgpr_count:     28
    .sgpr_spill_count: 0
    .symbol:         _ZN9rocsolver6v33100L18getri_kernel_smallILi14E19rocblas_complex_numIfEPKPS3_EEvT1_iilPiilS8_bb.kd
    .uniform_work_group_size: 1
    .uses_dynamic_stack: false
    .vgpr_count:     92
    .vgpr_spill_count: 0
    .wavefront_size: 64
  - .agpr_count:     0
    .args:
      - .address_space:  global
        .offset:         0
        .size:           8
        .value_kind:     global_buffer
      - .offset:         8
        .size:           4
        .value_kind:     by_value
      - .offset:         12
        .size:           4
        .value_kind:     by_value
      - .offset:         16
        .size:           8
        .value_kind:     by_value
      - .address_space:  global
        .offset:         24
        .size:           8
        .value_kind:     global_buffer
      - .offset:         32
        .size:           4
        .value_kind:     by_value
      - .offset:         40
        .size:           8
        .value_kind:     by_value
      - .address_space:  global
        .offset:         48
        .size:           8
        .value_kind:     global_buffer
      - .offset:         56
        .size:           1
        .value_kind:     by_value
      - .offset:         57
        .size:           1
        .value_kind:     by_value
    .group_segment_fixed_size: 248
    .kernarg_segment_align: 8
    .kernarg_segment_size: 60
    .language:       OpenCL C
    .language_version:
      - 2
      - 0
    .max_flat_workgroup_size: 64
    .name:           _ZN9rocsolver6v33100L18getri_kernel_smallILi15E19rocblas_complex_numIfEPKPS3_EEvT1_iilPiilS8_bb
    .private_segment_fixed_size: 128
    .sgpr_count:     28
    .sgpr_spill_count: 0
    .symbol:         _ZN9rocsolver6v33100L18getri_kernel_smallILi15E19rocblas_complex_numIfEPKPS3_EEvT1_iilPiilS8_bb.kd
    .uniform_work_group_size: 1
    .uses_dynamic_stack: false
    .vgpr_count:     97
    .vgpr_spill_count: 0
    .wavefront_size: 64
  - .agpr_count:     0
    .args:
      - .address_space:  global
        .offset:         0
        .size:           8
        .value_kind:     global_buffer
      - .offset:         8
        .size:           4
        .value_kind:     by_value
      - .offset:         12
        .size:           4
        .value_kind:     by_value
      - .offset:         16
        .size:           8
        .value_kind:     by_value
      - .address_space:  global
        .offset:         24
        .size:           8
        .value_kind:     global_buffer
      - .offset:         32
        .size:           4
        .value_kind:     by_value
      - .offset:         40
        .size:           8
        .value_kind:     by_value
      - .address_space:  global
        .offset:         48
        .size:           8
        .value_kind:     global_buffer
      - .offset:         56
        .size:           1
        .value_kind:     by_value
      - .offset:         57
        .size:           1
        .value_kind:     by_value
    .group_segment_fixed_size: 260
    .kernarg_segment_align: 8
    .kernarg_segment_size: 60
    .language:       OpenCL C
    .language_version:
      - 2
      - 0
    .max_flat_workgroup_size: 64
    .name:           _ZN9rocsolver6v33100L18getri_kernel_smallILi16E19rocblas_complex_numIfEPKPS3_EEvT1_iilPiilS8_bb
    .private_segment_fixed_size: 144
    .sgpr_count:     28
    .sgpr_spill_count: 0
    .symbol:         _ZN9rocsolver6v33100L18getri_kernel_smallILi16E19rocblas_complex_numIfEPKPS3_EEvT1_iilPiilS8_bb.kd
    .uniform_work_group_size: 1
    .uses_dynamic_stack: false
    .vgpr_count:     103
    .vgpr_spill_count: 0
    .wavefront_size: 64
  - .agpr_count:     0
    .args:
      - .address_space:  global
        .offset:         0
        .size:           8
        .value_kind:     global_buffer
      - .offset:         8
        .size:           4
        .value_kind:     by_value
      - .offset:         12
        .size:           4
        .value_kind:     by_value
      - .offset:         16
        .size:           8
        .value_kind:     by_value
      - .address_space:  global
        .offset:         24
        .size:           8
        .value_kind:     global_buffer
      - .offset:         32
        .size:           4
        .value_kind:     by_value
      - .offset:         40
        .size:           8
        .value_kind:     by_value
      - .address_space:  global
        .offset:         48
        .size:           8
        .value_kind:     global_buffer
      - .offset:         56
        .size:           1
        .value_kind:     by_value
      - .offset:         57
        .size:           1
        .value_kind:     by_value
    .group_segment_fixed_size: 280
    .kernarg_segment_align: 8
    .kernarg_segment_size: 60
    .language:       OpenCL C
    .language_version:
      - 2
      - 0
    .max_flat_workgroup_size: 64
    .name:           _ZN9rocsolver6v33100L18getri_kernel_smallILi17E19rocblas_complex_numIfEPKPS3_EEvT1_iilPiilS8_bb
    .private_segment_fixed_size: 144
    .sgpr_count:     28
    .sgpr_spill_count: 0
    .symbol:         _ZN9rocsolver6v33100L18getri_kernel_smallILi17E19rocblas_complex_numIfEPKPS3_EEvT1_iilPiilS8_bb.kd
    .uniform_work_group_size: 1
    .uses_dynamic_stack: false
    .vgpr_count:     109
    .vgpr_spill_count: 0
    .wavefront_size: 64
  - .agpr_count:     0
    .args:
      - .address_space:  global
        .offset:         0
        .size:           8
        .value_kind:     global_buffer
      - .offset:         8
        .size:           4
        .value_kind:     by_value
      - .offset:         12
        .size:           4
        .value_kind:     by_value
      - .offset:         16
        .size:           8
        .value_kind:     by_value
      - .address_space:  global
        .offset:         24
        .size:           8
        .value_kind:     global_buffer
      - .offset:         32
        .size:           4
        .value_kind:     by_value
      - .offset:         40
        .size:           8
        .value_kind:     by_value
      - .address_space:  global
        .offset:         48
        .size:           8
        .value_kind:     global_buffer
      - .offset:         56
        .size:           1
        .value_kind:     by_value
      - .offset:         57
        .size:           1
        .value_kind:     by_value
    .group_segment_fixed_size: 292
    .kernarg_segment_align: 8
    .kernarg_segment_size: 60
    .language:       OpenCL C
    .language_version:
      - 2
      - 0
    .max_flat_workgroup_size: 64
    .name:           _ZN9rocsolver6v33100L18getri_kernel_smallILi18E19rocblas_complex_numIfEPKPS3_EEvT1_iilPiilS8_bb
    .private_segment_fixed_size: 160
    .sgpr_count:     28
    .sgpr_spill_count: 0
    .symbol:         _ZN9rocsolver6v33100L18getri_kernel_smallILi18E19rocblas_complex_numIfEPKPS3_EEvT1_iilPiilS8_bb.kd
    .uniform_work_group_size: 1
    .uses_dynamic_stack: false
    .vgpr_count:     113
    .vgpr_spill_count: 0
    .wavefront_size: 64
  - .agpr_count:     0
    .args:
      - .address_space:  global
        .offset:         0
        .size:           8
        .value_kind:     global_buffer
      - .offset:         8
        .size:           4
        .value_kind:     by_value
      - .offset:         12
        .size:           4
        .value_kind:     by_value
      - .offset:         16
        .size:           8
        .value_kind:     by_value
      - .address_space:  global
        .offset:         24
        .size:           8
        .value_kind:     global_buffer
      - .offset:         32
        .size:           4
        .value_kind:     by_value
      - .offset:         40
        .size:           8
        .value_kind:     by_value
      - .address_space:  global
        .offset:         48
        .size:           8
        .value_kind:     global_buffer
      - .offset:         56
        .size:           1
        .value_kind:     by_value
      - .offset:         57
        .size:           1
        .value_kind:     by_value
    .group_segment_fixed_size: 312
    .kernarg_segment_align: 8
    .kernarg_segment_size: 60
    .language:       OpenCL C
    .language_version:
      - 2
      - 0
    .max_flat_workgroup_size: 64
    .name:           _ZN9rocsolver6v33100L18getri_kernel_smallILi19E19rocblas_complex_numIfEPKPS3_EEvT1_iilPiilS8_bb
    .private_segment_fixed_size: 160
    .sgpr_count:     28
    .sgpr_spill_count: 0
    .symbol:         _ZN9rocsolver6v33100L18getri_kernel_smallILi19E19rocblas_complex_numIfEPKPS3_EEvT1_iilPiilS8_bb.kd
    .uniform_work_group_size: 1
    .uses_dynamic_stack: false
    .vgpr_count:     115
    .vgpr_spill_count: 0
    .wavefront_size: 64
  - .agpr_count:     0
    .args:
      - .address_space:  global
        .offset:         0
        .size:           8
        .value_kind:     global_buffer
      - .offset:         8
        .size:           4
        .value_kind:     by_value
      - .offset:         12
        .size:           4
        .value_kind:     by_value
      - .offset:         16
        .size:           8
        .value_kind:     by_value
      - .address_space:  global
        .offset:         24
        .size:           8
        .value_kind:     global_buffer
      - .offset:         32
        .size:           4
        .value_kind:     by_value
      - .offset:         40
        .size:           8
        .value_kind:     by_value
      - .address_space:  global
        .offset:         48
        .size:           8
        .value_kind:     global_buffer
      - .offset:         56
        .size:           1
        .value_kind:     by_value
      - .offset:         57
        .size:           1
        .value_kind:     by_value
    .group_segment_fixed_size: 324
    .kernarg_segment_align: 8
    .kernarg_segment_size: 60
    .language:       OpenCL C
    .language_version:
      - 2
      - 0
    .max_flat_workgroup_size: 64
    .name:           _ZN9rocsolver6v33100L18getri_kernel_smallILi20E19rocblas_complex_numIfEPKPS3_EEvT1_iilPiilS8_bb
    .private_segment_fixed_size: 176
    .sgpr_count:     28
    .sgpr_spill_count: 0
    .symbol:         _ZN9rocsolver6v33100L18getri_kernel_smallILi20E19rocblas_complex_numIfEPKPS3_EEvT1_iilPiilS8_bb.kd
    .uniform_work_group_size: 1
    .uses_dynamic_stack: false
    .vgpr_count:     117
    .vgpr_spill_count: 0
    .wavefront_size: 64
  - .agpr_count:     0
    .args:
      - .address_space:  global
        .offset:         0
        .size:           8
        .value_kind:     global_buffer
      - .offset:         8
        .size:           4
        .value_kind:     by_value
      - .offset:         12
        .size:           4
        .value_kind:     by_value
      - .offset:         16
        .size:           8
        .value_kind:     by_value
      - .address_space:  global
        .offset:         24
        .size:           8
        .value_kind:     global_buffer
      - .offset:         32
        .size:           4
        .value_kind:     by_value
      - .offset:         40
        .size:           8
        .value_kind:     by_value
      - .address_space:  global
        .offset:         48
        .size:           8
        .value_kind:     global_buffer
      - .offset:         56
        .size:           1
        .value_kind:     by_value
      - .offset:         57
        .size:           1
        .value_kind:     by_value
    .group_segment_fixed_size: 344
    .kernarg_segment_align: 8
    .kernarg_segment_size: 60
    .language:       OpenCL C
    .language_version:
      - 2
      - 0
    .max_flat_workgroup_size: 64
    .name:           _ZN9rocsolver6v33100L18getri_kernel_smallILi21E19rocblas_complex_numIfEPKPS3_EEvT1_iilPiilS8_bb
    .private_segment_fixed_size: 176
    .sgpr_count:     28
    .sgpr_spill_count: 0
    .symbol:         _ZN9rocsolver6v33100L18getri_kernel_smallILi21E19rocblas_complex_numIfEPKPS3_EEvT1_iilPiilS8_bb.kd
    .uniform_work_group_size: 1
    .uses_dynamic_stack: false
    .vgpr_count:     121
    .vgpr_spill_count: 0
    .wavefront_size: 64
  - .agpr_count:     0
    .args:
      - .address_space:  global
        .offset:         0
        .size:           8
        .value_kind:     global_buffer
      - .offset:         8
        .size:           4
        .value_kind:     by_value
      - .offset:         12
        .size:           4
        .value_kind:     by_value
      - .offset:         16
        .size:           8
        .value_kind:     by_value
      - .address_space:  global
        .offset:         24
        .size:           8
        .value_kind:     global_buffer
      - .offset:         32
        .size:           4
        .value_kind:     by_value
      - .offset:         40
        .size:           8
        .value_kind:     by_value
      - .address_space:  global
        .offset:         48
        .size:           8
        .value_kind:     global_buffer
      - .offset:         56
        .size:           1
        .value_kind:     by_value
      - .offset:         57
        .size:           1
        .value_kind:     by_value
    .group_segment_fixed_size: 356
    .kernarg_segment_align: 8
    .kernarg_segment_size: 60
    .language:       OpenCL C
    .language_version:
      - 2
      - 0
    .max_flat_workgroup_size: 64
    .name:           _ZN9rocsolver6v33100L18getri_kernel_smallILi22E19rocblas_complex_numIfEPKPS3_EEvT1_iilPiilS8_bb
    .private_segment_fixed_size: 192
    .sgpr_count:     28
    .sgpr_spill_count: 0
    .symbol:         _ZN9rocsolver6v33100L18getri_kernel_smallILi22E19rocblas_complex_numIfEPKPS3_EEvT1_iilPiilS8_bb.kd
    .uniform_work_group_size: 1
    .uses_dynamic_stack: false
    .vgpr_count:     125
    .vgpr_spill_count: 0
    .wavefront_size: 64
  - .agpr_count:     0
    .args:
      - .address_space:  global
        .offset:         0
        .size:           8
        .value_kind:     global_buffer
      - .offset:         8
        .size:           4
        .value_kind:     by_value
      - .offset:         12
        .size:           4
        .value_kind:     by_value
      - .offset:         16
        .size:           8
        .value_kind:     by_value
      - .address_space:  global
        .offset:         24
        .size:           8
        .value_kind:     global_buffer
      - .offset:         32
        .size:           4
        .value_kind:     by_value
      - .offset:         40
        .size:           8
        .value_kind:     by_value
      - .address_space:  global
        .offset:         48
        .size:           8
        .value_kind:     global_buffer
      - .offset:         56
        .size:           1
        .value_kind:     by_value
      - .offset:         57
        .size:           1
        .value_kind:     by_value
    .group_segment_fixed_size: 376
    .kernarg_segment_align: 8
    .kernarg_segment_size: 60
    .language:       OpenCL C
    .language_version:
      - 2
      - 0
    .max_flat_workgroup_size: 64
    .name:           _ZN9rocsolver6v33100L18getri_kernel_smallILi23E19rocblas_complex_numIfEPKPS3_EEvT1_iilPiilS8_bb
    .private_segment_fixed_size: 192
    .sgpr_count:     28
    .sgpr_spill_count: 0
    .symbol:         _ZN9rocsolver6v33100L18getri_kernel_smallILi23E19rocblas_complex_numIfEPKPS3_EEvT1_iilPiilS8_bb.kd
    .uniform_work_group_size: 1
    .uses_dynamic_stack: false
    .vgpr_count:     138
    .vgpr_spill_count: 0
    .wavefront_size: 64
  - .agpr_count:     0
    .args:
      - .address_space:  global
        .offset:         0
        .size:           8
        .value_kind:     global_buffer
      - .offset:         8
        .size:           4
        .value_kind:     by_value
      - .offset:         12
        .size:           4
        .value_kind:     by_value
      - .offset:         16
        .size:           8
        .value_kind:     by_value
      - .address_space:  global
        .offset:         24
        .size:           8
        .value_kind:     global_buffer
      - .offset:         32
        .size:           4
        .value_kind:     by_value
      - .offset:         40
        .size:           8
        .value_kind:     by_value
      - .address_space:  global
        .offset:         48
        .size:           8
        .value_kind:     global_buffer
      - .offset:         56
        .size:           1
        .value_kind:     by_value
      - .offset:         57
        .size:           1
        .value_kind:     by_value
    .group_segment_fixed_size: 388
    .kernarg_segment_align: 8
    .kernarg_segment_size: 60
    .language:       OpenCL C
    .language_version:
      - 2
      - 0
    .max_flat_workgroup_size: 64
    .name:           _ZN9rocsolver6v33100L18getri_kernel_smallILi24E19rocblas_complex_numIfEPKPS3_EEvT1_iilPiilS8_bb
    .private_segment_fixed_size: 208
    .sgpr_count:     28
    .sgpr_spill_count: 0
    .symbol:         _ZN9rocsolver6v33100L18getri_kernel_smallILi24E19rocblas_complex_numIfEPKPS3_EEvT1_iilPiilS8_bb.kd
    .uniform_work_group_size: 1
    .uses_dynamic_stack: false
    .vgpr_count:     142
    .vgpr_spill_count: 0
    .wavefront_size: 64
  - .agpr_count:     0
    .args:
      - .address_space:  global
        .offset:         0
        .size:           8
        .value_kind:     global_buffer
      - .offset:         8
        .size:           4
        .value_kind:     by_value
      - .offset:         12
        .size:           4
        .value_kind:     by_value
      - .offset:         16
        .size:           8
        .value_kind:     by_value
      - .address_space:  global
        .offset:         24
        .size:           8
        .value_kind:     global_buffer
      - .offset:         32
        .size:           4
        .value_kind:     by_value
      - .offset:         40
        .size:           8
        .value_kind:     by_value
      - .address_space:  global
        .offset:         48
        .size:           8
        .value_kind:     global_buffer
      - .offset:         56
        .size:           1
        .value_kind:     by_value
      - .offset:         57
        .size:           1
        .value_kind:     by_value
    .group_segment_fixed_size: 408
    .kernarg_segment_align: 8
    .kernarg_segment_size: 60
    .language:       OpenCL C
    .language_version:
      - 2
      - 0
    .max_flat_workgroup_size: 64
    .name:           _ZN9rocsolver6v33100L18getri_kernel_smallILi25E19rocblas_complex_numIfEPKPS3_EEvT1_iilPiilS8_bb
    .private_segment_fixed_size: 208
    .sgpr_count:     28
    .sgpr_spill_count: 0
    .symbol:         _ZN9rocsolver6v33100L18getri_kernel_smallILi25E19rocblas_complex_numIfEPKPS3_EEvT1_iilPiilS8_bb.kd
    .uniform_work_group_size: 1
    .uses_dynamic_stack: false
    .vgpr_count:     144
    .vgpr_spill_count: 0
    .wavefront_size: 64
  - .agpr_count:     0
    .args:
      - .address_space:  global
        .offset:         0
        .size:           8
        .value_kind:     global_buffer
      - .offset:         8
        .size:           4
        .value_kind:     by_value
      - .offset:         12
        .size:           4
        .value_kind:     by_value
      - .offset:         16
        .size:           8
        .value_kind:     by_value
      - .address_space:  global
        .offset:         24
        .size:           8
        .value_kind:     global_buffer
      - .offset:         32
        .size:           4
        .value_kind:     by_value
      - .offset:         40
        .size:           8
        .value_kind:     by_value
      - .address_space:  global
        .offset:         48
        .size:           8
        .value_kind:     global_buffer
      - .offset:         56
        .size:           1
        .value_kind:     by_value
      - .offset:         57
        .size:           1
        .value_kind:     by_value
    .group_segment_fixed_size: 420
    .kernarg_segment_align: 8
    .kernarg_segment_size: 60
    .language:       OpenCL C
    .language_version:
      - 2
      - 0
    .max_flat_workgroup_size: 64
    .name:           _ZN9rocsolver6v33100L18getri_kernel_smallILi26E19rocblas_complex_numIfEPKPS3_EEvT1_iilPiilS8_bb
    .private_segment_fixed_size: 224
    .sgpr_count:     28
    .sgpr_spill_count: 0
    .symbol:         _ZN9rocsolver6v33100L18getri_kernel_smallILi26E19rocblas_complex_numIfEPKPS3_EEvT1_iilPiilS8_bb.kd
    .uniform_work_group_size: 1
    .uses_dynamic_stack: false
    .vgpr_count:     148
    .vgpr_spill_count: 0
    .wavefront_size: 64
  - .agpr_count:     0
    .args:
      - .address_space:  global
        .offset:         0
        .size:           8
        .value_kind:     global_buffer
      - .offset:         8
        .size:           4
        .value_kind:     by_value
      - .offset:         12
        .size:           4
        .value_kind:     by_value
      - .offset:         16
        .size:           8
        .value_kind:     by_value
      - .address_space:  global
        .offset:         24
        .size:           8
        .value_kind:     global_buffer
      - .offset:         32
        .size:           4
        .value_kind:     by_value
      - .offset:         40
        .size:           8
        .value_kind:     by_value
      - .address_space:  global
        .offset:         48
        .size:           8
        .value_kind:     global_buffer
      - .offset:         56
        .size:           1
        .value_kind:     by_value
      - .offset:         57
        .size:           1
        .value_kind:     by_value
    .group_segment_fixed_size: 440
    .kernarg_segment_align: 8
    .kernarg_segment_size: 60
    .language:       OpenCL C
    .language_version:
      - 2
      - 0
    .max_flat_workgroup_size: 64
    .name:           _ZN9rocsolver6v33100L18getri_kernel_smallILi27E19rocblas_complex_numIfEPKPS3_EEvT1_iilPiilS8_bb
    .private_segment_fixed_size: 224
    .sgpr_count:     28
    .sgpr_spill_count: 0
    .symbol:         _ZN9rocsolver6v33100L18getri_kernel_smallILi27E19rocblas_complex_numIfEPKPS3_EEvT1_iilPiilS8_bb.kd
    .uniform_work_group_size: 1
    .uses_dynamic_stack: false
    .vgpr_count:     152
    .vgpr_spill_count: 0
    .wavefront_size: 64
  - .agpr_count:     0
    .args:
      - .address_space:  global
        .offset:         0
        .size:           8
        .value_kind:     global_buffer
      - .offset:         8
        .size:           4
        .value_kind:     by_value
      - .offset:         12
        .size:           4
        .value_kind:     by_value
      - .offset:         16
        .size:           8
        .value_kind:     by_value
      - .address_space:  global
        .offset:         24
        .size:           8
        .value_kind:     global_buffer
      - .offset:         32
        .size:           4
        .value_kind:     by_value
      - .offset:         40
        .size:           8
        .value_kind:     by_value
      - .address_space:  global
        .offset:         48
        .size:           8
        .value_kind:     global_buffer
      - .offset:         56
        .size:           1
        .value_kind:     by_value
      - .offset:         57
        .size:           1
        .value_kind:     by_value
    .group_segment_fixed_size: 452
    .kernarg_segment_align: 8
    .kernarg_segment_size: 60
    .language:       OpenCL C
    .language_version:
      - 2
      - 0
    .max_flat_workgroup_size: 64
    .name:           _ZN9rocsolver6v33100L18getri_kernel_smallILi28E19rocblas_complex_numIfEPKPS3_EEvT1_iilPiilS8_bb
    .private_segment_fixed_size: 240
    .sgpr_count:     28
    .sgpr_spill_count: 0
    .symbol:         _ZN9rocsolver6v33100L18getri_kernel_smallILi28E19rocblas_complex_numIfEPKPS3_EEvT1_iilPiilS8_bb.kd
    .uniform_work_group_size: 1
    .uses_dynamic_stack: false
    .vgpr_count:     156
    .vgpr_spill_count: 0
    .wavefront_size: 64
  - .agpr_count:     0
    .args:
      - .address_space:  global
        .offset:         0
        .size:           8
        .value_kind:     global_buffer
      - .offset:         8
        .size:           4
        .value_kind:     by_value
      - .offset:         12
        .size:           4
        .value_kind:     by_value
      - .offset:         16
        .size:           8
        .value_kind:     by_value
      - .address_space:  global
        .offset:         24
        .size:           8
        .value_kind:     global_buffer
      - .offset:         32
        .size:           4
        .value_kind:     by_value
      - .offset:         40
        .size:           8
        .value_kind:     by_value
      - .address_space:  global
        .offset:         48
        .size:           8
        .value_kind:     global_buffer
      - .offset:         56
        .size:           1
        .value_kind:     by_value
      - .offset:         57
        .size:           1
        .value_kind:     by_value
    .group_segment_fixed_size: 472
    .kernarg_segment_align: 8
    .kernarg_segment_size: 60
    .language:       OpenCL C
    .language_version:
      - 2
      - 0
    .max_flat_workgroup_size: 64
    .name:           _ZN9rocsolver6v33100L18getri_kernel_smallILi29E19rocblas_complex_numIfEPKPS3_EEvT1_iilPiilS8_bb
    .private_segment_fixed_size: 240
    .sgpr_count:     28
    .sgpr_spill_count: 0
    .symbol:         _ZN9rocsolver6v33100L18getri_kernel_smallILi29E19rocblas_complex_numIfEPKPS3_EEvT1_iilPiilS8_bb.kd
    .uniform_work_group_size: 1
    .uses_dynamic_stack: false
    .vgpr_count:     160
    .vgpr_spill_count: 0
    .wavefront_size: 64
  - .agpr_count:     0
    .args:
      - .address_space:  global
        .offset:         0
        .size:           8
        .value_kind:     global_buffer
      - .offset:         8
        .size:           4
        .value_kind:     by_value
      - .offset:         12
        .size:           4
        .value_kind:     by_value
      - .offset:         16
        .size:           8
        .value_kind:     by_value
      - .address_space:  global
        .offset:         24
        .size:           8
        .value_kind:     global_buffer
      - .offset:         32
        .size:           4
        .value_kind:     by_value
      - .offset:         40
        .size:           8
        .value_kind:     by_value
      - .address_space:  global
        .offset:         48
        .size:           8
        .value_kind:     global_buffer
      - .offset:         56
        .size:           1
        .value_kind:     by_value
      - .offset:         57
        .size:           1
        .value_kind:     by_value
    .group_segment_fixed_size: 484
    .kernarg_segment_align: 8
    .kernarg_segment_size: 60
    .language:       OpenCL C
    .language_version:
      - 2
      - 0
    .max_flat_workgroup_size: 64
    .name:           _ZN9rocsolver6v33100L18getri_kernel_smallILi30E19rocblas_complex_numIfEPKPS3_EEvT1_iilPiilS8_bb
    .private_segment_fixed_size: 256
    .sgpr_count:     28
    .sgpr_spill_count: 0
    .symbol:         _ZN9rocsolver6v33100L18getri_kernel_smallILi30E19rocblas_complex_numIfEPKPS3_EEvT1_iilPiilS8_bb.kd
    .uniform_work_group_size: 1
    .uses_dynamic_stack: false
    .vgpr_count:     172
    .vgpr_spill_count: 0
    .wavefront_size: 64
  - .agpr_count:     0
    .args:
      - .address_space:  global
        .offset:         0
        .size:           8
        .value_kind:     global_buffer
      - .offset:         8
        .size:           4
        .value_kind:     by_value
      - .offset:         12
        .size:           4
        .value_kind:     by_value
      - .offset:         16
        .size:           8
        .value_kind:     by_value
      - .address_space:  global
        .offset:         24
        .size:           8
        .value_kind:     global_buffer
      - .offset:         32
        .size:           4
        .value_kind:     by_value
      - .offset:         40
        .size:           8
        .value_kind:     by_value
      - .address_space:  global
        .offset:         48
        .size:           8
        .value_kind:     global_buffer
      - .offset:         56
        .size:           1
        .value_kind:     by_value
      - .offset:         57
        .size:           1
        .value_kind:     by_value
    .group_segment_fixed_size: 504
    .kernarg_segment_align: 8
    .kernarg_segment_size: 60
    .language:       OpenCL C
    .language_version:
      - 2
      - 0
    .max_flat_workgroup_size: 64
    .name:           _ZN9rocsolver6v33100L18getri_kernel_smallILi31E19rocblas_complex_numIfEPKPS3_EEvT1_iilPiilS8_bb
    .private_segment_fixed_size: 256
    .sgpr_count:     28
    .sgpr_spill_count: 0
    .symbol:         _ZN9rocsolver6v33100L18getri_kernel_smallILi31E19rocblas_complex_numIfEPKPS3_EEvT1_iilPiilS8_bb.kd
    .uniform_work_group_size: 1
    .uses_dynamic_stack: false
    .vgpr_count:     176
    .vgpr_spill_count: 0
    .wavefront_size: 64
  - .agpr_count:     0
    .args:
      - .address_space:  global
        .offset:         0
        .size:           8
        .value_kind:     global_buffer
      - .offset:         8
        .size:           4
        .value_kind:     by_value
      - .offset:         12
        .size:           4
        .value_kind:     by_value
      - .offset:         16
        .size:           8
        .value_kind:     by_value
      - .address_space:  global
        .offset:         24
        .size:           8
        .value_kind:     global_buffer
      - .offset:         32
        .size:           4
        .value_kind:     by_value
      - .offset:         40
        .size:           8
        .value_kind:     by_value
      - .address_space:  global
        .offset:         48
        .size:           8
        .value_kind:     global_buffer
      - .offset:         56
        .size:           1
        .value_kind:     by_value
      - .offset:         57
        .size:           1
        .value_kind:     by_value
    .group_segment_fixed_size: 516
    .kernarg_segment_align: 8
    .kernarg_segment_size: 60
    .language:       OpenCL C
    .language_version:
      - 2
      - 0
    .max_flat_workgroup_size: 64
    .name:           _ZN9rocsolver6v33100L18getri_kernel_smallILi32E19rocblas_complex_numIfEPKPS3_EEvT1_iilPiilS8_bb
    .private_segment_fixed_size: 272
    .sgpr_count:     28
    .sgpr_spill_count: 0
    .symbol:         _ZN9rocsolver6v33100L18getri_kernel_smallILi32E19rocblas_complex_numIfEPKPS3_EEvT1_iilPiilS8_bb.kd
    .uniform_work_group_size: 1
    .uses_dynamic_stack: false
    .vgpr_count:     180
    .vgpr_spill_count: 0
    .wavefront_size: 64
  - .agpr_count:     0
    .args:
      - .address_space:  global
        .offset:         0
        .size:           8
        .value_kind:     global_buffer
      - .offset:         8
        .size:           4
        .value_kind:     by_value
      - .offset:         12
        .size:           4
        .value_kind:     by_value
      - .offset:         16
        .size:           8
        .value_kind:     by_value
      - .address_space:  global
        .offset:         24
        .size:           8
        .value_kind:     global_buffer
      - .offset:         32
        .size:           4
        .value_kind:     by_value
      - .offset:         40
        .size:           8
        .value_kind:     by_value
      - .address_space:  global
        .offset:         48
        .size:           8
        .value_kind:     global_buffer
      - .offset:         56
        .size:           1
        .value_kind:     by_value
      - .offset:         57
        .size:           1
        .value_kind:     by_value
    .group_segment_fixed_size: 536
    .kernarg_segment_align: 8
    .kernarg_segment_size: 60
    .language:       OpenCL C
    .language_version:
      - 2
      - 0
    .max_flat_workgroup_size: 64
    .name:           _ZN9rocsolver6v33100L18getri_kernel_smallILi33E19rocblas_complex_numIfEPKPS3_EEvT1_iilPiilS8_bb
    .private_segment_fixed_size: 272
    .sgpr_count:     28
    .sgpr_spill_count: 0
    .symbol:         _ZN9rocsolver6v33100L18getri_kernel_smallILi33E19rocblas_complex_numIfEPKPS3_EEvT1_iilPiilS8_bb.kd
    .uniform_work_group_size: 1
    .uses_dynamic_stack: false
    .vgpr_count:     184
    .vgpr_spill_count: 0
    .wavefront_size: 64
  - .agpr_count:     0
    .args:
      - .address_space:  global
        .offset:         0
        .size:           8
        .value_kind:     global_buffer
      - .offset:         8
        .size:           4
        .value_kind:     by_value
      - .offset:         12
        .size:           4
        .value_kind:     by_value
      - .offset:         16
        .size:           8
        .value_kind:     by_value
      - .address_space:  global
        .offset:         24
        .size:           8
        .value_kind:     global_buffer
      - .offset:         32
        .size:           4
        .value_kind:     by_value
      - .offset:         40
        .size:           8
        .value_kind:     by_value
      - .address_space:  global
        .offset:         48
        .size:           8
        .value_kind:     global_buffer
      - .offset:         56
        .size:           1
        .value_kind:     by_value
      - .offset:         57
        .size:           1
        .value_kind:     by_value
    .group_segment_fixed_size: 548
    .kernarg_segment_align: 8
    .kernarg_segment_size: 60
    .language:       OpenCL C
    .language_version:
      - 2
      - 0
    .max_flat_workgroup_size: 64
    .name:           _ZN9rocsolver6v33100L18getri_kernel_smallILi34E19rocblas_complex_numIfEPKPS3_EEvT1_iilPiilS8_bb
    .private_segment_fixed_size: 288
    .sgpr_count:     28
    .sgpr_spill_count: 0
    .symbol:         _ZN9rocsolver6v33100L18getri_kernel_smallILi34E19rocblas_complex_numIfEPKPS3_EEvT1_iilPiilS8_bb.kd
    .uniform_work_group_size: 1
    .uses_dynamic_stack: false
    .vgpr_count:     196
    .vgpr_spill_count: 0
    .wavefront_size: 64
  - .agpr_count:     0
    .args:
      - .address_space:  global
        .offset:         0
        .size:           8
        .value_kind:     global_buffer
      - .offset:         8
        .size:           4
        .value_kind:     by_value
      - .offset:         12
        .size:           4
        .value_kind:     by_value
      - .offset:         16
        .size:           8
        .value_kind:     by_value
      - .address_space:  global
        .offset:         24
        .size:           8
        .value_kind:     global_buffer
      - .offset:         32
        .size:           4
        .value_kind:     by_value
      - .offset:         40
        .size:           8
        .value_kind:     by_value
      - .address_space:  global
        .offset:         48
        .size:           8
        .value_kind:     global_buffer
      - .offset:         56
        .size:           1
        .value_kind:     by_value
      - .offset:         57
        .size:           1
        .value_kind:     by_value
    .group_segment_fixed_size: 568
    .kernarg_segment_align: 8
    .kernarg_segment_size: 60
    .language:       OpenCL C
    .language_version:
      - 2
      - 0
    .max_flat_workgroup_size: 64
    .name:           _ZN9rocsolver6v33100L18getri_kernel_smallILi35E19rocblas_complex_numIfEPKPS3_EEvT1_iilPiilS8_bb
    .private_segment_fixed_size: 288
    .sgpr_count:     28
    .sgpr_spill_count: 0
    .symbol:         _ZN9rocsolver6v33100L18getri_kernel_smallILi35E19rocblas_complex_numIfEPKPS3_EEvT1_iilPiilS8_bb.kd
    .uniform_work_group_size: 1
    .uses_dynamic_stack: false
    .vgpr_count:     200
    .vgpr_spill_count: 0
    .wavefront_size: 64
  - .agpr_count:     0
    .args:
      - .address_space:  global
        .offset:         0
        .size:           8
        .value_kind:     global_buffer
      - .offset:         8
        .size:           4
        .value_kind:     by_value
      - .offset:         12
        .size:           4
        .value_kind:     by_value
      - .offset:         16
        .size:           8
        .value_kind:     by_value
      - .address_space:  global
        .offset:         24
        .size:           8
        .value_kind:     global_buffer
      - .offset:         32
        .size:           4
        .value_kind:     by_value
      - .offset:         40
        .size:           8
        .value_kind:     by_value
      - .address_space:  global
        .offset:         48
        .size:           8
        .value_kind:     global_buffer
      - .offset:         56
        .size:           1
        .value_kind:     by_value
      - .offset:         57
        .size:           1
        .value_kind:     by_value
    .group_segment_fixed_size: 580
    .kernarg_segment_align: 8
    .kernarg_segment_size: 60
    .language:       OpenCL C
    .language_version:
      - 2
      - 0
    .max_flat_workgroup_size: 64
    .name:           _ZN9rocsolver6v33100L18getri_kernel_smallILi36E19rocblas_complex_numIfEPKPS3_EEvT1_iilPiilS8_bb
    .private_segment_fixed_size: 304
    .sgpr_count:     28
    .sgpr_spill_count: 0
    .symbol:         _ZN9rocsolver6v33100L18getri_kernel_smallILi36E19rocblas_complex_numIfEPKPS3_EEvT1_iilPiilS8_bb.kd
    .uniform_work_group_size: 1
    .uses_dynamic_stack: false
    .vgpr_count:     204
    .vgpr_spill_count: 0
    .wavefront_size: 64
  - .agpr_count:     0
    .args:
      - .address_space:  global
        .offset:         0
        .size:           8
        .value_kind:     global_buffer
      - .offset:         8
        .size:           4
        .value_kind:     by_value
      - .offset:         12
        .size:           4
        .value_kind:     by_value
      - .offset:         16
        .size:           8
        .value_kind:     by_value
      - .address_space:  global
        .offset:         24
        .size:           8
        .value_kind:     global_buffer
      - .offset:         32
        .size:           4
        .value_kind:     by_value
      - .offset:         40
        .size:           8
        .value_kind:     by_value
      - .address_space:  global
        .offset:         48
        .size:           8
        .value_kind:     global_buffer
      - .offset:         56
        .size:           1
        .value_kind:     by_value
      - .offset:         57
        .size:           1
        .value_kind:     by_value
    .group_segment_fixed_size: 600
    .kernarg_segment_align: 8
    .kernarg_segment_size: 60
    .language:       OpenCL C
    .language_version:
      - 2
      - 0
    .max_flat_workgroup_size: 64
    .name:           _ZN9rocsolver6v33100L18getri_kernel_smallILi37E19rocblas_complex_numIfEPKPS3_EEvT1_iilPiilS8_bb
    .private_segment_fixed_size: 304
    .sgpr_count:     28
    .sgpr_spill_count: 0
    .symbol:         _ZN9rocsolver6v33100L18getri_kernel_smallILi37E19rocblas_complex_numIfEPKPS3_EEvT1_iilPiilS8_bb.kd
    .uniform_work_group_size: 1
    .uses_dynamic_stack: false
    .vgpr_count:     208
    .vgpr_spill_count: 0
    .wavefront_size: 64
  - .agpr_count:     0
    .args:
      - .address_space:  global
        .offset:         0
        .size:           8
        .value_kind:     global_buffer
      - .offset:         8
        .size:           4
        .value_kind:     by_value
      - .offset:         12
        .size:           4
        .value_kind:     by_value
      - .offset:         16
        .size:           8
        .value_kind:     by_value
      - .address_space:  global
        .offset:         24
        .size:           8
        .value_kind:     global_buffer
      - .offset:         32
        .size:           4
        .value_kind:     by_value
      - .offset:         40
        .size:           8
        .value_kind:     by_value
      - .address_space:  global
        .offset:         48
        .size:           8
        .value_kind:     global_buffer
      - .offset:         56
        .size:           1
        .value_kind:     by_value
      - .offset:         57
        .size:           1
        .value_kind:     by_value
    .group_segment_fixed_size: 612
    .kernarg_segment_align: 8
    .kernarg_segment_size: 60
    .language:       OpenCL C
    .language_version:
      - 2
      - 0
    .max_flat_workgroup_size: 64
    .name:           _ZN9rocsolver6v33100L18getri_kernel_smallILi38E19rocblas_complex_numIfEPKPS3_EEvT1_iilPiilS8_bb
    .private_segment_fixed_size: 320
    .sgpr_count:     28
    .sgpr_spill_count: 0
    .symbol:         _ZN9rocsolver6v33100L18getri_kernel_smallILi38E19rocblas_complex_numIfEPKPS3_EEvT1_iilPiilS8_bb.kd
    .uniform_work_group_size: 1
    .uses_dynamic_stack: false
    .vgpr_count:     220
    .vgpr_spill_count: 0
    .wavefront_size: 64
  - .agpr_count:     0
    .args:
      - .address_space:  global
        .offset:         0
        .size:           8
        .value_kind:     global_buffer
      - .offset:         8
        .size:           4
        .value_kind:     by_value
      - .offset:         12
        .size:           4
        .value_kind:     by_value
      - .offset:         16
        .size:           8
        .value_kind:     by_value
      - .address_space:  global
        .offset:         24
        .size:           8
        .value_kind:     global_buffer
      - .offset:         32
        .size:           4
        .value_kind:     by_value
      - .offset:         40
        .size:           8
        .value_kind:     by_value
      - .address_space:  global
        .offset:         48
        .size:           8
        .value_kind:     global_buffer
      - .offset:         56
        .size:           1
        .value_kind:     by_value
      - .offset:         57
        .size:           1
        .value_kind:     by_value
    .group_segment_fixed_size: 632
    .kernarg_segment_align: 8
    .kernarg_segment_size: 60
    .language:       OpenCL C
    .language_version:
      - 2
      - 0
    .max_flat_workgroup_size: 64
    .name:           _ZN9rocsolver6v33100L18getri_kernel_smallILi39E19rocblas_complex_numIfEPKPS3_EEvT1_iilPiilS8_bb
    .private_segment_fixed_size: 320
    .sgpr_count:     28
    .sgpr_spill_count: 0
    .symbol:         _ZN9rocsolver6v33100L18getri_kernel_smallILi39E19rocblas_complex_numIfEPKPS3_EEvT1_iilPiilS8_bb.kd
    .uniform_work_group_size: 1
    .uses_dynamic_stack: false
    .vgpr_count:     224
    .vgpr_spill_count: 0
    .wavefront_size: 64
  - .agpr_count:     0
    .args:
      - .address_space:  global
        .offset:         0
        .size:           8
        .value_kind:     global_buffer
      - .offset:         8
        .size:           4
        .value_kind:     by_value
      - .offset:         12
        .size:           4
        .value_kind:     by_value
      - .offset:         16
        .size:           8
        .value_kind:     by_value
      - .address_space:  global
        .offset:         24
        .size:           8
        .value_kind:     global_buffer
      - .offset:         32
        .size:           4
        .value_kind:     by_value
      - .offset:         40
        .size:           8
        .value_kind:     by_value
      - .address_space:  global
        .offset:         48
        .size:           8
        .value_kind:     global_buffer
      - .offset:         56
        .size:           1
        .value_kind:     by_value
      - .offset:         57
        .size:           1
        .value_kind:     by_value
    .group_segment_fixed_size: 644
    .kernarg_segment_align: 8
    .kernarg_segment_size: 60
    .language:       OpenCL C
    .language_version:
      - 2
      - 0
    .max_flat_workgroup_size: 64
    .name:           _ZN9rocsolver6v33100L18getri_kernel_smallILi40E19rocblas_complex_numIfEPKPS3_EEvT1_iilPiilS8_bb
    .private_segment_fixed_size: 336
    .sgpr_count:     28
    .sgpr_spill_count: 0
    .symbol:         _ZN9rocsolver6v33100L18getri_kernel_smallILi40E19rocblas_complex_numIfEPKPS3_EEvT1_iilPiilS8_bb.kd
    .uniform_work_group_size: 1
    .uses_dynamic_stack: false
    .vgpr_count:     228
    .vgpr_spill_count: 0
    .wavefront_size: 64
  - .agpr_count:     0
    .args:
      - .address_space:  global
        .offset:         0
        .size:           8
        .value_kind:     global_buffer
      - .offset:         8
        .size:           4
        .value_kind:     by_value
      - .offset:         12
        .size:           4
        .value_kind:     by_value
      - .offset:         16
        .size:           8
        .value_kind:     by_value
      - .address_space:  global
        .offset:         24
        .size:           8
        .value_kind:     global_buffer
      - .offset:         32
        .size:           4
        .value_kind:     by_value
      - .offset:         40
        .size:           8
        .value_kind:     by_value
      - .address_space:  global
        .offset:         48
        .size:           8
        .value_kind:     global_buffer
      - .offset:         56
        .size:           1
        .value_kind:     by_value
      - .offset:         57
        .size:           1
        .value_kind:     by_value
    .group_segment_fixed_size: 664
    .kernarg_segment_align: 8
    .kernarg_segment_size: 60
    .language:       OpenCL C
    .language_version:
      - 2
      - 0
    .max_flat_workgroup_size: 64
    .name:           _ZN9rocsolver6v33100L18getri_kernel_smallILi41E19rocblas_complex_numIfEPKPS3_EEvT1_iilPiilS8_bb
    .private_segment_fixed_size: 336
    .sgpr_count:     28
    .sgpr_spill_count: 0
    .symbol:         _ZN9rocsolver6v33100L18getri_kernel_smallILi41E19rocblas_complex_numIfEPKPS3_EEvT1_iilPiilS8_bb.kd
    .uniform_work_group_size: 1
    .uses_dynamic_stack: false
    .vgpr_count:     232
    .vgpr_spill_count: 0
    .wavefront_size: 64
  - .agpr_count:     0
    .args:
      - .address_space:  global
        .offset:         0
        .size:           8
        .value_kind:     global_buffer
      - .offset:         8
        .size:           4
        .value_kind:     by_value
      - .offset:         12
        .size:           4
        .value_kind:     by_value
      - .offset:         16
        .size:           8
        .value_kind:     by_value
      - .address_space:  global
        .offset:         24
        .size:           8
        .value_kind:     global_buffer
      - .offset:         32
        .size:           4
        .value_kind:     by_value
      - .offset:         40
        .size:           8
        .value_kind:     by_value
      - .address_space:  global
        .offset:         48
        .size:           8
        .value_kind:     global_buffer
      - .offset:         56
        .size:           1
        .value_kind:     by_value
      - .offset:         57
        .size:           1
        .value_kind:     by_value
    .group_segment_fixed_size: 676
    .kernarg_segment_align: 8
    .kernarg_segment_size: 60
    .language:       OpenCL C
    .language_version:
      - 2
      - 0
    .max_flat_workgroup_size: 64
    .name:           _ZN9rocsolver6v33100L18getri_kernel_smallILi42E19rocblas_complex_numIfEPKPS3_EEvT1_iilPiilS8_bb
    .private_segment_fixed_size: 352
    .sgpr_count:     28
    .sgpr_spill_count: 0
    .symbol:         _ZN9rocsolver6v33100L18getri_kernel_smallILi42E19rocblas_complex_numIfEPKPS3_EEvT1_iilPiilS8_bb.kd
    .uniform_work_group_size: 1
    .uses_dynamic_stack: false
    .vgpr_count:     244
    .vgpr_spill_count: 0
    .wavefront_size: 64
  - .agpr_count:     0
    .args:
      - .address_space:  global
        .offset:         0
        .size:           8
        .value_kind:     global_buffer
      - .offset:         8
        .size:           4
        .value_kind:     by_value
      - .offset:         12
        .size:           4
        .value_kind:     by_value
      - .offset:         16
        .size:           8
        .value_kind:     by_value
      - .address_space:  global
        .offset:         24
        .size:           8
        .value_kind:     global_buffer
      - .offset:         32
        .size:           4
        .value_kind:     by_value
      - .offset:         40
        .size:           8
        .value_kind:     by_value
      - .address_space:  global
        .offset:         48
        .size:           8
        .value_kind:     global_buffer
      - .offset:         56
        .size:           1
        .value_kind:     by_value
      - .offset:         57
        .size:           1
        .value_kind:     by_value
    .group_segment_fixed_size: 696
    .kernarg_segment_align: 8
    .kernarg_segment_size: 60
    .language:       OpenCL C
    .language_version:
      - 2
      - 0
    .max_flat_workgroup_size: 64
    .name:           _ZN9rocsolver6v33100L18getri_kernel_smallILi43E19rocblas_complex_numIfEPKPS3_EEvT1_iilPiilS8_bb
    .private_segment_fixed_size: 352
    .sgpr_count:     28
    .sgpr_spill_count: 0
    .symbol:         _ZN9rocsolver6v33100L18getri_kernel_smallILi43E19rocblas_complex_numIfEPKPS3_EEvT1_iilPiilS8_bb.kd
    .uniform_work_group_size: 1
    .uses_dynamic_stack: false
    .vgpr_count:     248
    .vgpr_spill_count: 0
    .wavefront_size: 64
  - .agpr_count:     0
    .args:
      - .address_space:  global
        .offset:         0
        .size:           8
        .value_kind:     global_buffer
      - .offset:         8
        .size:           4
        .value_kind:     by_value
      - .offset:         12
        .size:           4
        .value_kind:     by_value
      - .offset:         16
        .size:           8
        .value_kind:     by_value
      - .address_space:  global
        .offset:         24
        .size:           8
        .value_kind:     global_buffer
      - .offset:         32
        .size:           4
        .value_kind:     by_value
      - .offset:         40
        .size:           8
        .value_kind:     by_value
      - .address_space:  global
        .offset:         48
        .size:           8
        .value_kind:     global_buffer
      - .offset:         56
        .size:           1
        .value_kind:     by_value
      - .offset:         57
        .size:           1
        .value_kind:     by_value
    .group_segment_fixed_size: 708
    .kernarg_segment_align: 8
    .kernarg_segment_size: 60
    .language:       OpenCL C
    .language_version:
      - 2
      - 0
    .max_flat_workgroup_size: 64
    .name:           _ZN9rocsolver6v33100L18getri_kernel_smallILi44E19rocblas_complex_numIfEPKPS3_EEvT1_iilPiilS8_bb
    .private_segment_fixed_size: 368
    .sgpr_count:     28
    .sgpr_spill_count: 0
    .symbol:         _ZN9rocsolver6v33100L18getri_kernel_smallILi44E19rocblas_complex_numIfEPKPS3_EEvT1_iilPiilS8_bb.kd
    .uniform_work_group_size: 1
    .uses_dynamic_stack: false
    .vgpr_count:     252
    .vgpr_spill_count: 0
    .wavefront_size: 64
  - .agpr_count:     0
    .args:
      - .address_space:  global
        .offset:         0
        .size:           8
        .value_kind:     global_buffer
      - .offset:         8
        .size:           4
        .value_kind:     by_value
      - .offset:         12
        .size:           4
        .value_kind:     by_value
      - .offset:         16
        .size:           8
        .value_kind:     by_value
      - .address_space:  global
        .offset:         24
        .size:           8
        .value_kind:     global_buffer
      - .offset:         32
        .size:           4
        .value_kind:     by_value
      - .offset:         40
        .size:           8
        .value_kind:     by_value
      - .address_space:  global
        .offset:         48
        .size:           8
        .value_kind:     global_buffer
      - .offset:         56
        .size:           1
        .value_kind:     by_value
      - .offset:         57
        .size:           1
        .value_kind:     by_value
    .group_segment_fixed_size: 728
    .kernarg_segment_align: 8
    .kernarg_segment_size: 60
    .language:       OpenCL C
    .language_version:
      - 2
      - 0
    .max_flat_workgroup_size: 64
    .name:           _ZN9rocsolver6v33100L18getri_kernel_smallILi45E19rocblas_complex_numIfEPKPS3_EEvT1_iilPiilS8_bb
    .private_segment_fixed_size: 368
    .sgpr_count:     28
    .sgpr_spill_count: 0
    .symbol:         _ZN9rocsolver6v33100L18getri_kernel_smallILi45E19rocblas_complex_numIfEPKPS3_EEvT1_iilPiilS8_bb.kd
    .uniform_work_group_size: 1
    .uses_dynamic_stack: false
    .vgpr_count:     256
    .vgpr_spill_count: 0
    .wavefront_size: 64
  - .agpr_count:     8
    .args:
      - .address_space:  global
        .offset:         0
        .size:           8
        .value_kind:     global_buffer
      - .offset:         8
        .size:           4
        .value_kind:     by_value
      - .offset:         12
        .size:           4
        .value_kind:     by_value
      - .offset:         16
        .size:           8
        .value_kind:     by_value
      - .address_space:  global
        .offset:         24
        .size:           8
        .value_kind:     global_buffer
      - .offset:         32
        .size:           4
        .value_kind:     by_value
      - .offset:         40
        .size:           8
        .value_kind:     by_value
      - .address_space:  global
        .offset:         48
        .size:           8
        .value_kind:     global_buffer
      - .offset:         56
        .size:           1
        .value_kind:     by_value
      - .offset:         57
        .size:           1
        .value_kind:     by_value
    .group_segment_fixed_size: 740
    .kernarg_segment_align: 8
    .kernarg_segment_size: 60
    .language:       OpenCL C
    .language_version:
      - 2
      - 0
    .max_flat_workgroup_size: 64
    .name:           _ZN9rocsolver6v33100L18getri_kernel_smallILi46E19rocblas_complex_numIfEPKPS3_EEvT1_iilPiilS8_bb
    .private_segment_fixed_size: 384
    .sgpr_count:     28
    .sgpr_spill_count: 0
    .symbol:         _ZN9rocsolver6v33100L18getri_kernel_smallILi46E19rocblas_complex_numIfEPKPS3_EEvT1_iilPiilS8_bb.kd
    .uniform_work_group_size: 1
    .uses_dynamic_stack: false
    .vgpr_count:     264
    .vgpr_spill_count: 0
    .wavefront_size: 64
  - .agpr_count:     16
    .args:
      - .address_space:  global
        .offset:         0
        .size:           8
        .value_kind:     global_buffer
      - .offset:         8
        .size:           4
        .value_kind:     by_value
      - .offset:         12
        .size:           4
        .value_kind:     by_value
      - .offset:         16
        .size:           8
        .value_kind:     by_value
      - .address_space:  global
        .offset:         24
        .size:           8
        .value_kind:     global_buffer
      - .offset:         32
        .size:           4
        .value_kind:     by_value
      - .offset:         40
        .size:           8
        .value_kind:     by_value
      - .address_space:  global
        .offset:         48
        .size:           8
        .value_kind:     global_buffer
      - .offset:         56
        .size:           1
        .value_kind:     by_value
      - .offset:         57
        .size:           1
        .value_kind:     by_value
    .group_segment_fixed_size: 760
    .kernarg_segment_align: 8
    .kernarg_segment_size: 60
    .language:       OpenCL C
    .language_version:
      - 2
      - 0
    .max_flat_workgroup_size: 64
    .name:           _ZN9rocsolver6v33100L18getri_kernel_smallILi47E19rocblas_complex_numIfEPKPS3_EEvT1_iilPiilS8_bb
    .private_segment_fixed_size: 384
    .sgpr_count:     28
    .sgpr_spill_count: 0
    .symbol:         _ZN9rocsolver6v33100L18getri_kernel_smallILi47E19rocblas_complex_numIfEPKPS3_EEvT1_iilPiilS8_bb.kd
    .uniform_work_group_size: 1
    .uses_dynamic_stack: false
    .vgpr_count:     272
    .vgpr_spill_count: 0
    .wavefront_size: 64
  - .agpr_count:     21
    .args:
      - .address_space:  global
        .offset:         0
        .size:           8
        .value_kind:     global_buffer
      - .offset:         8
        .size:           4
        .value_kind:     by_value
      - .offset:         12
        .size:           4
        .value_kind:     by_value
      - .offset:         16
        .size:           8
        .value_kind:     by_value
      - .address_space:  global
        .offset:         24
        .size:           8
        .value_kind:     global_buffer
      - .offset:         32
        .size:           4
        .value_kind:     by_value
      - .offset:         40
        .size:           8
        .value_kind:     by_value
      - .address_space:  global
        .offset:         48
        .size:           8
        .value_kind:     global_buffer
      - .offset:         56
        .size:           1
        .value_kind:     by_value
      - .offset:         57
        .size:           1
        .value_kind:     by_value
    .group_segment_fixed_size: 772
    .kernarg_segment_align: 8
    .kernarg_segment_size: 60
    .language:       OpenCL C
    .language_version:
      - 2
      - 0
    .max_flat_workgroup_size: 64
    .name:           _ZN9rocsolver6v33100L18getri_kernel_smallILi48E19rocblas_complex_numIfEPKPS3_EEvT1_iilPiilS8_bb
    .private_segment_fixed_size: 400
    .sgpr_count:     28
    .sgpr_spill_count: 0
    .symbol:         _ZN9rocsolver6v33100L18getri_kernel_smallILi48E19rocblas_complex_numIfEPKPS3_EEvT1_iilPiilS8_bb.kd
    .uniform_work_group_size: 1
    .uses_dynamic_stack: false
    .vgpr_count:     277
    .vgpr_spill_count: 0
    .wavefront_size: 64
  - .agpr_count:     25
    .args:
      - .address_space:  global
        .offset:         0
        .size:           8
        .value_kind:     global_buffer
      - .offset:         8
        .size:           4
        .value_kind:     by_value
      - .offset:         12
        .size:           4
        .value_kind:     by_value
      - .offset:         16
        .size:           8
        .value_kind:     by_value
      - .address_space:  global
        .offset:         24
        .size:           8
        .value_kind:     global_buffer
      - .offset:         32
        .size:           4
        .value_kind:     by_value
      - .offset:         40
        .size:           8
        .value_kind:     by_value
      - .address_space:  global
        .offset:         48
        .size:           8
        .value_kind:     global_buffer
      - .offset:         56
        .size:           1
        .value_kind:     by_value
      - .offset:         57
        .size:           1
        .value_kind:     by_value
    .group_segment_fixed_size: 792
    .kernarg_segment_align: 8
    .kernarg_segment_size: 60
    .language:       OpenCL C
    .language_version:
      - 2
      - 0
    .max_flat_workgroup_size: 64
    .name:           _ZN9rocsolver6v33100L18getri_kernel_smallILi49E19rocblas_complex_numIfEPKPS3_EEvT1_iilPiilS8_bb
    .private_segment_fixed_size: 400
    .sgpr_count:     28
    .sgpr_spill_count: 0
    .symbol:         _ZN9rocsolver6v33100L18getri_kernel_smallILi49E19rocblas_complex_numIfEPKPS3_EEvT1_iilPiilS8_bb.kd
    .uniform_work_group_size: 1
    .uses_dynamic_stack: false
    .vgpr_count:     281
    .vgpr_spill_count: 0
    .wavefront_size: 64
  - .agpr_count:     32
    .args:
      - .address_space:  global
        .offset:         0
        .size:           8
        .value_kind:     global_buffer
      - .offset:         8
        .size:           4
        .value_kind:     by_value
      - .offset:         12
        .size:           4
        .value_kind:     by_value
      - .offset:         16
        .size:           8
        .value_kind:     by_value
      - .address_space:  global
        .offset:         24
        .size:           8
        .value_kind:     global_buffer
      - .offset:         32
        .size:           4
        .value_kind:     by_value
      - .offset:         40
        .size:           8
        .value_kind:     by_value
      - .address_space:  global
        .offset:         48
        .size:           8
        .value_kind:     global_buffer
      - .offset:         56
        .size:           1
        .value_kind:     by_value
      - .offset:         57
        .size:           1
        .value_kind:     by_value
    .group_segment_fixed_size: 804
    .kernarg_segment_align: 8
    .kernarg_segment_size: 60
    .language:       OpenCL C
    .language_version:
      - 2
      - 0
    .max_flat_workgroup_size: 64
    .name:           _ZN9rocsolver6v33100L18getri_kernel_smallILi50E19rocblas_complex_numIfEPKPS3_EEvT1_iilPiilS8_bb
    .private_segment_fixed_size: 416
    .sgpr_count:     28
    .sgpr_spill_count: 0
    .symbol:         _ZN9rocsolver6v33100L18getri_kernel_smallILi50E19rocblas_complex_numIfEPKPS3_EEvT1_iilPiilS8_bb.kd
    .uniform_work_group_size: 1
    .uses_dynamic_stack: false
    .vgpr_count:     288
    .vgpr_spill_count: 0
    .wavefront_size: 64
  - .agpr_count:     40
    .args:
      - .address_space:  global
        .offset:         0
        .size:           8
        .value_kind:     global_buffer
      - .offset:         8
        .size:           4
        .value_kind:     by_value
      - .offset:         12
        .size:           4
        .value_kind:     by_value
      - .offset:         16
        .size:           8
        .value_kind:     by_value
      - .address_space:  global
        .offset:         24
        .size:           8
        .value_kind:     global_buffer
      - .offset:         32
        .size:           4
        .value_kind:     by_value
      - .offset:         40
        .size:           8
        .value_kind:     by_value
      - .address_space:  global
        .offset:         48
        .size:           8
        .value_kind:     global_buffer
      - .offset:         56
        .size:           1
        .value_kind:     by_value
      - .offset:         57
        .size:           1
        .value_kind:     by_value
    .group_segment_fixed_size: 824
    .kernarg_segment_align: 8
    .kernarg_segment_size: 60
    .language:       OpenCL C
    .language_version:
      - 2
      - 0
    .max_flat_workgroup_size: 64
    .name:           _ZN9rocsolver6v33100L18getri_kernel_smallILi51E19rocblas_complex_numIfEPKPS3_EEvT1_iilPiilS8_bb
    .private_segment_fixed_size: 416
    .sgpr_count:     28
    .sgpr_spill_count: 0
    .symbol:         _ZN9rocsolver6v33100L18getri_kernel_smallILi51E19rocblas_complex_numIfEPKPS3_EEvT1_iilPiilS8_bb.kd
    .uniform_work_group_size: 1
    .uses_dynamic_stack: false
    .vgpr_count:     296
    .vgpr_spill_count: 0
    .wavefront_size: 64
  - .agpr_count:     44
    .args:
      - .address_space:  global
        .offset:         0
        .size:           8
        .value_kind:     global_buffer
      - .offset:         8
        .size:           4
        .value_kind:     by_value
      - .offset:         12
        .size:           4
        .value_kind:     by_value
      - .offset:         16
        .size:           8
        .value_kind:     by_value
      - .address_space:  global
        .offset:         24
        .size:           8
        .value_kind:     global_buffer
      - .offset:         32
        .size:           4
        .value_kind:     by_value
      - .offset:         40
        .size:           8
        .value_kind:     by_value
      - .address_space:  global
        .offset:         48
        .size:           8
        .value_kind:     global_buffer
      - .offset:         56
        .size:           1
        .value_kind:     by_value
      - .offset:         57
        .size:           1
        .value_kind:     by_value
    .group_segment_fixed_size: 836
    .kernarg_segment_align: 8
    .kernarg_segment_size: 60
    .language:       OpenCL C
    .language_version:
      - 2
      - 0
    .max_flat_workgroup_size: 64
    .name:           _ZN9rocsolver6v33100L18getri_kernel_smallILi52E19rocblas_complex_numIfEPKPS3_EEvT1_iilPiilS8_bb
    .private_segment_fixed_size: 432
    .sgpr_count:     28
    .sgpr_spill_count: 0
    .symbol:         _ZN9rocsolver6v33100L18getri_kernel_smallILi52E19rocblas_complex_numIfEPKPS3_EEvT1_iilPiilS8_bb.kd
    .uniform_work_group_size: 1
    .uses_dynamic_stack: false
    .vgpr_count:     300
    .vgpr_spill_count: 0
    .wavefront_size: 64
  - .agpr_count:     49
    .args:
      - .address_space:  global
        .offset:         0
        .size:           8
        .value_kind:     global_buffer
      - .offset:         8
        .size:           4
        .value_kind:     by_value
      - .offset:         12
        .size:           4
        .value_kind:     by_value
      - .offset:         16
        .size:           8
        .value_kind:     by_value
      - .address_space:  global
        .offset:         24
        .size:           8
        .value_kind:     global_buffer
      - .offset:         32
        .size:           4
        .value_kind:     by_value
      - .offset:         40
        .size:           8
        .value_kind:     by_value
      - .address_space:  global
        .offset:         48
        .size:           8
        .value_kind:     global_buffer
      - .offset:         56
        .size:           1
        .value_kind:     by_value
      - .offset:         57
        .size:           1
        .value_kind:     by_value
    .group_segment_fixed_size: 856
    .kernarg_segment_align: 8
    .kernarg_segment_size: 60
    .language:       OpenCL C
    .language_version:
      - 2
      - 0
    .max_flat_workgroup_size: 64
    .name:           _ZN9rocsolver6v33100L18getri_kernel_smallILi53E19rocblas_complex_numIfEPKPS3_EEvT1_iilPiilS8_bb
    .private_segment_fixed_size: 432
    .sgpr_count:     28
    .sgpr_spill_count: 0
    .symbol:         _ZN9rocsolver6v33100L18getri_kernel_smallILi53E19rocblas_complex_numIfEPKPS3_EEvT1_iilPiilS8_bb.kd
    .uniform_work_group_size: 1
    .uses_dynamic_stack: false
    .vgpr_count:     305
    .vgpr_spill_count: 0
    .wavefront_size: 64
  - .agpr_count:     56
    .args:
      - .address_space:  global
        .offset:         0
        .size:           8
        .value_kind:     global_buffer
      - .offset:         8
        .size:           4
        .value_kind:     by_value
      - .offset:         12
        .size:           4
        .value_kind:     by_value
      - .offset:         16
        .size:           8
        .value_kind:     by_value
      - .address_space:  global
        .offset:         24
        .size:           8
        .value_kind:     global_buffer
      - .offset:         32
        .size:           4
        .value_kind:     by_value
      - .offset:         40
        .size:           8
        .value_kind:     by_value
      - .address_space:  global
        .offset:         48
        .size:           8
        .value_kind:     global_buffer
      - .offset:         56
        .size:           1
        .value_kind:     by_value
      - .offset:         57
        .size:           1
        .value_kind:     by_value
    .group_segment_fixed_size: 868
    .kernarg_segment_align: 8
    .kernarg_segment_size: 60
    .language:       OpenCL C
    .language_version:
      - 2
      - 0
    .max_flat_workgroup_size: 64
    .name:           _ZN9rocsolver6v33100L18getri_kernel_smallILi54E19rocblas_complex_numIfEPKPS3_EEvT1_iilPiilS8_bb
    .private_segment_fixed_size: 448
    .sgpr_count:     28
    .sgpr_spill_count: 0
    .symbol:         _ZN9rocsolver6v33100L18getri_kernel_smallILi54E19rocblas_complex_numIfEPKPS3_EEvT1_iilPiilS8_bb.kd
    .uniform_work_group_size: 1
    .uses_dynamic_stack: false
    .vgpr_count:     312
    .vgpr_spill_count: 0
    .wavefront_size: 64
  - .agpr_count:     64
    .args:
      - .address_space:  global
        .offset:         0
        .size:           8
        .value_kind:     global_buffer
      - .offset:         8
        .size:           4
        .value_kind:     by_value
      - .offset:         12
        .size:           4
        .value_kind:     by_value
      - .offset:         16
        .size:           8
        .value_kind:     by_value
      - .address_space:  global
        .offset:         24
        .size:           8
        .value_kind:     global_buffer
      - .offset:         32
        .size:           4
        .value_kind:     by_value
      - .offset:         40
        .size:           8
        .value_kind:     by_value
      - .address_space:  global
        .offset:         48
        .size:           8
        .value_kind:     global_buffer
      - .offset:         56
        .size:           1
        .value_kind:     by_value
      - .offset:         57
        .size:           1
        .value_kind:     by_value
    .group_segment_fixed_size: 888
    .kernarg_segment_align: 8
    .kernarg_segment_size: 60
    .language:       OpenCL C
    .language_version:
      - 2
      - 0
    .max_flat_workgroup_size: 64
    .name:           _ZN9rocsolver6v33100L18getri_kernel_smallILi55E19rocblas_complex_numIfEPKPS3_EEvT1_iilPiilS8_bb
    .private_segment_fixed_size: 448
    .sgpr_count:     28
    .sgpr_spill_count: 0
    .symbol:         _ZN9rocsolver6v33100L18getri_kernel_smallILi55E19rocblas_complex_numIfEPKPS3_EEvT1_iilPiilS8_bb.kd
    .uniform_work_group_size: 1
    .uses_dynamic_stack: false
    .vgpr_count:     320
    .vgpr_spill_count: 0
    .wavefront_size: 64
  - .agpr_count:     68
    .args:
      - .address_space:  global
        .offset:         0
        .size:           8
        .value_kind:     global_buffer
      - .offset:         8
        .size:           4
        .value_kind:     by_value
      - .offset:         12
        .size:           4
        .value_kind:     by_value
      - .offset:         16
        .size:           8
        .value_kind:     by_value
      - .address_space:  global
        .offset:         24
        .size:           8
        .value_kind:     global_buffer
      - .offset:         32
        .size:           4
        .value_kind:     by_value
      - .offset:         40
        .size:           8
        .value_kind:     by_value
      - .address_space:  global
        .offset:         48
        .size:           8
        .value_kind:     global_buffer
      - .offset:         56
        .size:           1
        .value_kind:     by_value
      - .offset:         57
        .size:           1
        .value_kind:     by_value
    .group_segment_fixed_size: 900
    .kernarg_segment_align: 8
    .kernarg_segment_size: 60
    .language:       OpenCL C
    .language_version:
      - 2
      - 0
    .max_flat_workgroup_size: 64
    .name:           _ZN9rocsolver6v33100L18getri_kernel_smallILi56E19rocblas_complex_numIfEPKPS3_EEvT1_iilPiilS8_bb
    .private_segment_fixed_size: 464
    .sgpr_count:     28
    .sgpr_spill_count: 0
    .symbol:         _ZN9rocsolver6v33100L18getri_kernel_smallILi56E19rocblas_complex_numIfEPKPS3_EEvT1_iilPiilS8_bb.kd
    .uniform_work_group_size: 1
    .uses_dynamic_stack: false
    .vgpr_count:     324
    .vgpr_spill_count: 0
    .wavefront_size: 64
  - .agpr_count:     72
    .args:
      - .address_space:  global
        .offset:         0
        .size:           8
        .value_kind:     global_buffer
      - .offset:         8
        .size:           4
        .value_kind:     by_value
      - .offset:         12
        .size:           4
        .value_kind:     by_value
      - .offset:         16
        .size:           8
        .value_kind:     by_value
      - .address_space:  global
        .offset:         24
        .size:           8
        .value_kind:     global_buffer
      - .offset:         32
        .size:           4
        .value_kind:     by_value
      - .offset:         40
        .size:           8
        .value_kind:     by_value
      - .address_space:  global
        .offset:         48
        .size:           8
        .value_kind:     global_buffer
      - .offset:         56
        .size:           1
        .value_kind:     by_value
      - .offset:         57
        .size:           1
        .value_kind:     by_value
    .group_segment_fixed_size: 920
    .kernarg_segment_align: 8
    .kernarg_segment_size: 60
    .language:       OpenCL C
    .language_version:
      - 2
      - 0
    .max_flat_workgroup_size: 64
    .name:           _ZN9rocsolver6v33100L18getri_kernel_smallILi57E19rocblas_complex_numIfEPKPS3_EEvT1_iilPiilS8_bb
    .private_segment_fixed_size: 464
    .sgpr_count:     28
    .sgpr_spill_count: 0
    .symbol:         _ZN9rocsolver6v33100L18getri_kernel_smallILi57E19rocblas_complex_numIfEPKPS3_EEvT1_iilPiilS8_bb.kd
    .uniform_work_group_size: 1
    .uses_dynamic_stack: false
    .vgpr_count:     328
    .vgpr_spill_count: 0
    .wavefront_size: 64
  - .agpr_count:     80
    .args:
      - .address_space:  global
        .offset:         0
        .size:           8
        .value_kind:     global_buffer
      - .offset:         8
        .size:           4
        .value_kind:     by_value
      - .offset:         12
        .size:           4
        .value_kind:     by_value
      - .offset:         16
        .size:           8
        .value_kind:     by_value
      - .address_space:  global
        .offset:         24
        .size:           8
        .value_kind:     global_buffer
      - .offset:         32
        .size:           4
        .value_kind:     by_value
      - .offset:         40
        .size:           8
        .value_kind:     by_value
      - .address_space:  global
        .offset:         48
        .size:           8
        .value_kind:     global_buffer
      - .offset:         56
        .size:           1
        .value_kind:     by_value
      - .offset:         57
        .size:           1
        .value_kind:     by_value
    .group_segment_fixed_size: 932
    .kernarg_segment_align: 8
    .kernarg_segment_size: 60
    .language:       OpenCL C
    .language_version:
      - 2
      - 0
    .max_flat_workgroup_size: 64
    .name:           _ZN9rocsolver6v33100L18getri_kernel_smallILi58E19rocblas_complex_numIfEPKPS3_EEvT1_iilPiilS8_bb
    .private_segment_fixed_size: 480
    .sgpr_count:     28
    .sgpr_spill_count: 0
    .symbol:         _ZN9rocsolver6v33100L18getri_kernel_smallILi58E19rocblas_complex_numIfEPKPS3_EEvT1_iilPiilS8_bb.kd
    .uniform_work_group_size: 1
    .uses_dynamic_stack: false
    .vgpr_count:     336
    .vgpr_spill_count: 0
    .wavefront_size: 64
  - .agpr_count:     88
    .args:
      - .address_space:  global
        .offset:         0
        .size:           8
        .value_kind:     global_buffer
      - .offset:         8
        .size:           4
        .value_kind:     by_value
      - .offset:         12
        .size:           4
        .value_kind:     by_value
      - .offset:         16
        .size:           8
        .value_kind:     by_value
      - .address_space:  global
        .offset:         24
        .size:           8
        .value_kind:     global_buffer
      - .offset:         32
        .size:           4
        .value_kind:     by_value
      - .offset:         40
        .size:           8
        .value_kind:     by_value
      - .address_space:  global
        .offset:         48
        .size:           8
        .value_kind:     global_buffer
      - .offset:         56
        .size:           1
        .value_kind:     by_value
      - .offset:         57
        .size:           1
        .value_kind:     by_value
    .group_segment_fixed_size: 952
    .kernarg_segment_align: 8
    .kernarg_segment_size: 60
    .language:       OpenCL C
    .language_version:
      - 2
      - 0
    .max_flat_workgroup_size: 64
    .name:           _ZN9rocsolver6v33100L18getri_kernel_smallILi59E19rocblas_complex_numIfEPKPS3_EEvT1_iilPiilS8_bb
    .private_segment_fixed_size: 480
    .sgpr_count:     28
    .sgpr_spill_count: 0
    .symbol:         _ZN9rocsolver6v33100L18getri_kernel_smallILi59E19rocblas_complex_numIfEPKPS3_EEvT1_iilPiilS8_bb.kd
    .uniform_work_group_size: 1
    .uses_dynamic_stack: false
    .vgpr_count:     344
    .vgpr_spill_count: 0
    .wavefront_size: 64
  - .agpr_count:     92
    .args:
      - .address_space:  global
        .offset:         0
        .size:           8
        .value_kind:     global_buffer
      - .offset:         8
        .size:           4
        .value_kind:     by_value
      - .offset:         12
        .size:           4
        .value_kind:     by_value
      - .offset:         16
        .size:           8
        .value_kind:     by_value
      - .address_space:  global
        .offset:         24
        .size:           8
        .value_kind:     global_buffer
      - .offset:         32
        .size:           4
        .value_kind:     by_value
      - .offset:         40
        .size:           8
        .value_kind:     by_value
      - .address_space:  global
        .offset:         48
        .size:           8
        .value_kind:     global_buffer
      - .offset:         56
        .size:           1
        .value_kind:     by_value
      - .offset:         57
        .size:           1
        .value_kind:     by_value
    .group_segment_fixed_size: 964
    .kernarg_segment_align: 8
    .kernarg_segment_size: 60
    .language:       OpenCL C
    .language_version:
      - 2
      - 0
    .max_flat_workgroup_size: 64
    .name:           _ZN9rocsolver6v33100L18getri_kernel_smallILi60E19rocblas_complex_numIfEPKPS3_EEvT1_iilPiilS8_bb
    .private_segment_fixed_size: 496
    .sgpr_count:     28
    .sgpr_spill_count: 0
    .symbol:         _ZN9rocsolver6v33100L18getri_kernel_smallILi60E19rocblas_complex_numIfEPKPS3_EEvT1_iilPiilS8_bb.kd
    .uniform_work_group_size: 1
    .uses_dynamic_stack: false
    .vgpr_count:     348
    .vgpr_spill_count: 0
    .wavefront_size: 64
  - .agpr_count:     96
    .args:
      - .address_space:  global
        .offset:         0
        .size:           8
        .value_kind:     global_buffer
      - .offset:         8
        .size:           4
        .value_kind:     by_value
      - .offset:         12
        .size:           4
        .value_kind:     by_value
      - .offset:         16
        .size:           8
        .value_kind:     by_value
      - .address_space:  global
        .offset:         24
        .size:           8
        .value_kind:     global_buffer
      - .offset:         32
        .size:           4
        .value_kind:     by_value
      - .offset:         40
        .size:           8
        .value_kind:     by_value
      - .address_space:  global
        .offset:         48
        .size:           8
        .value_kind:     global_buffer
      - .offset:         56
        .size:           1
        .value_kind:     by_value
      - .offset:         57
        .size:           1
        .value_kind:     by_value
    .group_segment_fixed_size: 984
    .kernarg_segment_align: 8
    .kernarg_segment_size: 60
    .language:       OpenCL C
    .language_version:
      - 2
      - 0
    .max_flat_workgroup_size: 64
    .name:           _ZN9rocsolver6v33100L18getri_kernel_smallILi61E19rocblas_complex_numIfEPKPS3_EEvT1_iilPiilS8_bb
    .private_segment_fixed_size: 496
    .sgpr_count:     28
    .sgpr_spill_count: 0
    .symbol:         _ZN9rocsolver6v33100L18getri_kernel_smallILi61E19rocblas_complex_numIfEPKPS3_EEvT1_iilPiilS8_bb.kd
    .uniform_work_group_size: 1
    .uses_dynamic_stack: false
    .vgpr_count:     352
    .vgpr_spill_count: 0
    .wavefront_size: 64
  - .agpr_count:     104
    .args:
      - .address_space:  global
        .offset:         0
        .size:           8
        .value_kind:     global_buffer
      - .offset:         8
        .size:           4
        .value_kind:     by_value
      - .offset:         12
        .size:           4
        .value_kind:     by_value
      - .offset:         16
        .size:           8
        .value_kind:     by_value
      - .address_space:  global
        .offset:         24
        .size:           8
        .value_kind:     global_buffer
      - .offset:         32
        .size:           4
        .value_kind:     by_value
      - .offset:         40
        .size:           8
        .value_kind:     by_value
      - .address_space:  global
        .offset:         48
        .size:           8
        .value_kind:     global_buffer
      - .offset:         56
        .size:           1
        .value_kind:     by_value
      - .offset:         57
        .size:           1
        .value_kind:     by_value
    .group_segment_fixed_size: 996
    .kernarg_segment_align: 8
    .kernarg_segment_size: 60
    .language:       OpenCL C
    .language_version:
      - 2
      - 0
    .max_flat_workgroup_size: 64
    .name:           _ZN9rocsolver6v33100L18getri_kernel_smallILi62E19rocblas_complex_numIfEPKPS3_EEvT1_iilPiilS8_bb
    .private_segment_fixed_size: 512
    .sgpr_count:     28
    .sgpr_spill_count: 0
    .symbol:         _ZN9rocsolver6v33100L18getri_kernel_smallILi62E19rocblas_complex_numIfEPKPS3_EEvT1_iilPiilS8_bb.kd
    .uniform_work_group_size: 1
    .uses_dynamic_stack: false
    .vgpr_count:     360
    .vgpr_spill_count: 0
    .wavefront_size: 64
  - .agpr_count:     112
    .args:
      - .address_space:  global
        .offset:         0
        .size:           8
        .value_kind:     global_buffer
      - .offset:         8
        .size:           4
        .value_kind:     by_value
      - .offset:         12
        .size:           4
        .value_kind:     by_value
      - .offset:         16
        .size:           8
        .value_kind:     by_value
      - .address_space:  global
        .offset:         24
        .size:           8
        .value_kind:     global_buffer
      - .offset:         32
        .size:           4
        .value_kind:     by_value
      - .offset:         40
        .size:           8
        .value_kind:     by_value
      - .address_space:  global
        .offset:         48
        .size:           8
        .value_kind:     global_buffer
      - .offset:         56
        .size:           1
        .value_kind:     by_value
      - .offset:         57
        .size:           1
        .value_kind:     by_value
    .group_segment_fixed_size: 1016
    .kernarg_segment_align: 8
    .kernarg_segment_size: 60
    .language:       OpenCL C
    .language_version:
      - 2
      - 0
    .max_flat_workgroup_size: 64
    .name:           _ZN9rocsolver6v33100L18getri_kernel_smallILi63E19rocblas_complex_numIfEPKPS3_EEvT1_iilPiilS8_bb
    .private_segment_fixed_size: 512
    .sgpr_count:     28
    .sgpr_spill_count: 0
    .symbol:         _ZN9rocsolver6v33100L18getri_kernel_smallILi63E19rocblas_complex_numIfEPKPS3_EEvT1_iilPiilS8_bb.kd
    .uniform_work_group_size: 1
    .uses_dynamic_stack: false
    .vgpr_count:     368
    .vgpr_spill_count: 0
    .wavefront_size: 64
  - .agpr_count:     114
    .args:
      - .address_space:  global
        .offset:         0
        .size:           8
        .value_kind:     global_buffer
      - .offset:         8
        .size:           4
        .value_kind:     by_value
      - .offset:         12
        .size:           4
        .value_kind:     by_value
      - .offset:         16
        .size:           8
        .value_kind:     by_value
      - .address_space:  global
        .offset:         24
        .size:           8
        .value_kind:     global_buffer
      - .offset:         32
        .size:           4
        .value_kind:     by_value
      - .offset:         40
        .size:           8
        .value_kind:     by_value
      - .address_space:  global
        .offset:         48
        .size:           8
        .value_kind:     global_buffer
      - .offset:         56
        .size:           1
        .value_kind:     by_value
      - .offset:         57
        .size:           1
        .value_kind:     by_value
    .group_segment_fixed_size: 1028
    .kernarg_segment_align: 8
    .kernarg_segment_size: 60
    .language:       OpenCL C
    .language_version:
      - 2
      - 0
    .max_flat_workgroup_size: 64
    .name:           _ZN9rocsolver6v33100L18getri_kernel_smallILi64E19rocblas_complex_numIfEPKPS3_EEvT1_iilPiilS8_bb
    .private_segment_fixed_size: 528
    .sgpr_count:     28
    .sgpr_spill_count: 0
    .symbol:         _ZN9rocsolver6v33100L18getri_kernel_smallILi64E19rocblas_complex_numIfEPKPS3_EEvT1_iilPiilS8_bb.kd
    .uniform_work_group_size: 1
    .uses_dynamic_stack: false
    .vgpr_count:     370
    .vgpr_spill_count: 0
    .wavefront_size: 64
amdhsa.target:   amdgcn-amd-amdhsa--gfx90a
amdhsa.version:
  - 1
  - 2
...

	.end_amdgpu_metadata
